;; amdgpu-corpus repo=ROCm/rocBLAS kind=compiled arch=gfx1250 opt=O3
	.amdgcn_target "amdgcn-amd-amdhsa--gfx1250"
	.amdhsa_code_object_version 6
	.section	.text._ZL17rocblas_trsv_initPi,"axG",@progbits,_ZL17rocblas_trsv_initPi,comdat
	.globl	_ZL17rocblas_trsv_initPi        ; -- Begin function _ZL17rocblas_trsv_initPi
	.p2align	8
	.type	_ZL17rocblas_trsv_initPi,@function
_ZL17rocblas_trsv_initPi:               ; @_ZL17rocblas_trsv_initPi
; %bb.0:
	s_load_b64 s[0:1], s[0:1], 0x0
	s_bfe_u32 s2, ttmp6, 0x4000c
	s_and_b32 s3, ttmp6, 15
	s_add_co_i32 s2, s2, 1
	s_getreg_b32 s4, hwreg(HW_REG_IB_STS2, 6, 4)
	s_mul_i32 s2, ttmp9, s2
	s_delay_alu instid0(SALU_CYCLE_1) | instskip(SKIP_2) | instid1(SALU_CYCLE_1)
	s_add_co_i32 s3, s3, s2
	s_cmp_eq_u32 s4, 0
	s_cselect_b32 s2, ttmp9, s3
	v_dual_mov_b32 v0, -1 :: v_dual_mov_b32 v1, s2
	s_wait_kmcnt 0x0
	global_store_b32 v1, v0, s[0:1] scale_offset
	s_endpgm
	.section	.rodata,"a",@progbits
	.p2align	6, 0x0
	.amdhsa_kernel _ZL17rocblas_trsv_initPi
		.amdhsa_group_segment_fixed_size 0
		.amdhsa_private_segment_fixed_size 0
		.amdhsa_kernarg_size 8
		.amdhsa_user_sgpr_count 2
		.amdhsa_user_sgpr_dispatch_ptr 0
		.amdhsa_user_sgpr_queue_ptr 0
		.amdhsa_user_sgpr_kernarg_segment_ptr 1
		.amdhsa_user_sgpr_dispatch_id 0
		.amdhsa_user_sgpr_kernarg_preload_length 0
		.amdhsa_user_sgpr_kernarg_preload_offset 0
		.amdhsa_user_sgpr_private_segment_size 0
		.amdhsa_wavefront_size32 1
		.amdhsa_uses_dynamic_stack 0
		.amdhsa_enable_private_segment 0
		.amdhsa_system_sgpr_workgroup_id_x 1
		.amdhsa_system_sgpr_workgroup_id_y 0
		.amdhsa_system_sgpr_workgroup_id_z 0
		.amdhsa_system_sgpr_workgroup_info 0
		.amdhsa_system_vgpr_workitem_id 0
		.amdhsa_next_free_vgpr 2
		.amdhsa_next_free_sgpr 5
		.amdhsa_named_barrier_count 0
		.amdhsa_reserve_vcc 0
		.amdhsa_float_round_mode_32 0
		.amdhsa_float_round_mode_16_64 0
		.amdhsa_float_denorm_mode_32 3
		.amdhsa_float_denorm_mode_16_64 3
		.amdhsa_fp16_overflow 0
		.amdhsa_memory_ordered 1
		.amdhsa_forward_progress 1
		.amdhsa_inst_pref_size 1
		.amdhsa_round_robin_scheduling 0
		.amdhsa_exception_fp_ieee_invalid_op 0
		.amdhsa_exception_fp_denorm_src 0
		.amdhsa_exception_fp_ieee_div_zero 0
		.amdhsa_exception_fp_ieee_overflow 0
		.amdhsa_exception_fp_ieee_underflow 0
		.amdhsa_exception_fp_ieee_inexact 0
		.amdhsa_exception_int_div_zero 0
	.end_amdhsa_kernel
	.section	.text._ZL17rocblas_trsv_initPi,"axG",@progbits,_ZL17rocblas_trsv_initPi,comdat
.Lfunc_end0:
	.size	_ZL17rocblas_trsv_initPi, .Lfunc_end0-_ZL17rocblas_trsv_initPi
                                        ; -- End function
	.set _ZL17rocblas_trsv_initPi.num_vgpr, 2
	.set _ZL17rocblas_trsv_initPi.num_agpr, 0
	.set _ZL17rocblas_trsv_initPi.numbered_sgpr, 5
	.set _ZL17rocblas_trsv_initPi.num_named_barrier, 0
	.set _ZL17rocblas_trsv_initPi.private_seg_size, 0
	.set _ZL17rocblas_trsv_initPi.uses_vcc, 0
	.set _ZL17rocblas_trsv_initPi.uses_flat_scratch, 0
	.set _ZL17rocblas_trsv_initPi.has_dyn_sized_stack, 0
	.set _ZL17rocblas_trsv_initPi.has_recursion, 0
	.set _ZL17rocblas_trsv_initPi.has_indirect_call, 0
	.section	.AMDGPU.csdata,"",@progbits
; Kernel info:
; codeLenInByte = 76
; TotalNumSgprs: 5
; NumVgprs: 2
; ScratchSize: 0
; MemoryBound: 0
; FloatMode: 240
; IeeeMode: 1
; LDSByteSize: 0 bytes/workgroup (compile time only)
; SGPRBlocks: 0
; VGPRBlocks: 0
; NumSGPRsForWavesPerEU: 5
; NumVGPRsForWavesPerEU: 2
; NamedBarCnt: 0
; Occupancy: 16
; WaveLimiterHint : 0
; COMPUTE_PGM_RSRC2:SCRATCH_EN: 0
; COMPUTE_PGM_RSRC2:USER_SGPR: 2
; COMPUTE_PGM_RSRC2:TRAP_HANDLER: 0
; COMPUTE_PGM_RSRC2:TGID_X_EN: 1
; COMPUTE_PGM_RSRC2:TGID_Y_EN: 0
; COMPUTE_PGM_RSRC2:TGID_Z_EN: 0
; COMPUTE_PGM_RSRC2:TIDIG_COMP_CNT: 0
	.section	.text._ZL19rocblas_trsv_deviceILi64ELi16ELb0ELb0ELb0ELb1EfPKfS1_PfEviT7_lllT6_T8_lllPii,"axG",@progbits,_ZL19rocblas_trsv_deviceILi64ELi16ELb0ELb0ELb0ELb1EfPKfS1_PfEviT7_lllT6_T8_lllPii,comdat
	.globl	_ZL19rocblas_trsv_deviceILi64ELi16ELb0ELb0ELb0ELb1EfPKfS1_PfEviT7_lllT6_T8_lllPii ; -- Begin function _ZL19rocblas_trsv_deviceILi64ELi16ELb0ELb0ELb0ELb1EfPKfS1_PfEviT7_lllT6_T8_lllPii
	.p2align	8
	.type	_ZL19rocblas_trsv_deviceILi64ELi16ELb0ELb0ELb0ELb1EfPKfS1_PfEviT7_lllT6_T8_lllPii,@function
_ZL19rocblas_trsv_deviceILi64ELi16ELb0ELb0ELb0ELb1EfPKfS1_PfEviT7_lllT6_T8_lllPii: ; @_ZL19rocblas_trsv_deviceILi64ELi16ELb0ELb0ELb0ELb1EfPKfS1_PfEviT7_lllT6_T8_lllPii
; %bb.0:
	s_load_b32 s6, s[0:1], 0x58
	s_bfe_u32 s2, ttmp6, 0x40014
	s_lshr_b32 s3, ttmp7, 16
	s_add_co_i32 s2, s2, 1
	s_bfe_u32 s5, ttmp6, 0x40008
	s_mul_i32 s4, s3, s2
	s_getreg_b32 s2, hwreg(HW_REG_IB_STS2, 6, 4)
	s_add_co_i32 s5, s5, s4
	s_cmp_eq_u32 s2, 0
	s_mov_b32 s85, 0
	s_cselect_b32 s84, s3, s5
                                        ; implicit-def: $vgpr76 : SGPR spill to VGPR lane
	s_wait_kmcnt 0x0
	s_cmp_ge_u32 s84, s6
	v_writelane_b32 v76, s6, 0
	s_cbranch_scc1 .LBB1_1163
; %bb.1:
	s_clause 0x3
	s_load_b512 s[64:79], s[0:1], 0x8
	s_load_b32 s3, s[0:1], 0x6c
	s_load_b32 s99, s[0:1], 0x60
	s_load_b32 s86, s[0:1], 0x0
	s_bfe_u32 s4, ttmp6, 0x4000c
	s_and_b32 s5, ttmp6, 15
	s_add_co_i32 s4, s4, 1
	v_bfe_u32 v2, v0, 10, 10
	s_mul_i32 s4, ttmp9, s4
	v_and_b32_e32 v4, 0x3ff, v0
	s_add_co_i32 s5, s5, s4
	v_dual_mov_b32 v7, 0 :: v_dual_bitop2_b32 v1, 1, v0 bitop3:0x40
	v_dual_add_nc_u32 v28, 16, v2 :: v_dual_bitop2_b32 v14, 3, v0 bitop3:0x40
	s_delay_alu instid0(VALU_DEP_3) | instskip(NEXT) | instid1(VALU_DEP_3)
	v_lshl_add_u32 v66, v2, 6, v4
	v_cmp_eq_u32_e32 vcc_lo, 1, v1
	v_dual_add_nc_u32 v26, 32, v2 :: v_dual_bitop2_b32 v15, 7, v0 bitop3:0x40
	v_dual_add_nc_u32 v24, 48, v2 :: v_dual_bitop2_b32 v16, 15, v0 bitop3:0x40
	s_wait_kmcnt 0x0
	s_lshl_b64 s[14:15], s[66:67], 2
	s_lshl_b64 s[20:21], s[76:77], 2
	s_cmp_eq_u32 s2, 0
	v_cmp_ne_u32_e64 s7, 15, v16
	s_cselect_b32 s67, ttmp9, s5
	s_add_co_i32 s2, s86, -1
	s_ashr_i32 s87, s86, 31
	s_ashr_i32 s4, s2, 31
	s_lshr_b32 s5, s87, 26
	s_lshr_b32 s4, s4, 26
	s_add_co_i32 s5, s86, s5
	s_add_co_i32 s99, s99, -1
	s_add_co_i32 s2, s2, s4
	s_and_not1_b32 s5, s5, 63
	s_sub_co_i32 s13, s99, s67
	s_ashr_i32 s2, s2, 6
	s_and_b32 s3, s3, 0xffff
	s_sub_co_i32 s57, s86, s5
	s_cmp_eq_u32 s2, s13
	v_mad_u32_u24 v6, v2, s3, v4
	s_cselect_b32 s2, -1, 0
	s_cmp_lg_u32 s57, 0
	v_cmp_gt_u32_e64 s8, 14, v16
	s_cselect_b32 s4, -1, 0
                                        ; implicit-def: $vgpr75 : SGPR spill to VGPR lane
                                        ; implicit-def: $vgpr74 : SGPR spill to VGPR lane
	v_lshlrev_b32_e32 v32, 2, v4
	s_and_b32 s24, s4, s2
	s_add_nc_u64 s[4:5], s[68:69], 1
	s_xor_b32 s100, s24, -1
	s_cmp_lg_u32 s67, 0
	v_cmp_gt_u32_e64 s2, 4, v66
	s_cselect_b32 s6, -1, 0
	s_lshl_b32 s18, s13, 6
	v_writelane_b32 v76, s6, 1
	s_ashr_i32 s19, s18, 31
	s_cmp_gt_i32 s67, 4
	s_mul_u64 s[16:17], s[4:5], s[18:19]
	v_cmp_eq_u32_e64 s4, 0, v1
	s_cselect_b32 s3, -1, 0
	v_cmp_eq_u32_e64 s5, 3, v14
	s_and_b32 s102, s3, s100
	v_cmp_gt_u32_e64 s3, 16, v66
	v_cmp_eq_u32_e64 s6, 2, v14
	s_and_b32 s104, s4, s2
	v_cmp_gt_u32_e64 s4, 2, v14
	s_and_b32 s103, vcc_lo, s2
	v_cmp_ne_u32_e32 vcc_lo, 3, v14
	s_and_b32 vcc_hi, s5, s3
	s_and_b32 s35, s6, s3
	s_and_b32 s36, s4, s3
	v_cmp_eq_u32_e64 s5, 0, v14
	v_cmp_gt_u32_e64 s4, 64, v66
	v_cmp_eq_u32_e64 s6, 7, v15
	s_and_b32 s34, vcc_lo, s3
	v_cmp_eq_u32_e32 vcc_lo, 1, v14
	s_and_b32 s38, s5, s3
	v_cmp_eq_u32_e64 s5, 6, v15
	s_and_b32 s39, s6, s4
	v_cmp_gt_u32_e64 s6, 6, v15
	s_and_b32 s37, vcc_lo, s3
	v_cmp_ne_u32_e32 vcc_lo, 7, v15
	s_and_b32 s41, s5, s4
	v_cmp_gt_u32_e64 s5, 5, v15
	s_and_b32 s42, s6, s4
	v_cmp_eq_u32_e64 s6, 4, v15
	s_and_b32 s40, vcc_lo, s4
	v_cmp_eq_u32_e32 vcc_lo, 5, v15
	s_and_b32 s44, s5, s4
	v_cmp_eq_u32_e64 s5, 3, v15
	s_and_b32 s45, s6, s4
	v_cmp_gt_u32_e64 s6, 3, v15
	s_and_b32 s43, vcc_lo, s4
	v_cmp_gt_u32_e32 vcc_lo, 4, v15
	s_and_b32 s47, s5, s4
	v_cmp_gt_u32_e64 s5, 2, v15
	s_and_b32 s48, s6, s4
	v_cmp_eq_u32_e64 s6, 1, v15
	s_and_b32 s46, vcc_lo, s4
	v_cmp_eq_u32_e32 vcc_lo, 2, v15
	s_and_b32 s50, s5, s4
	v_cmp_gt_u32_e64 s5, 0x100, v66
	s_and_b32 s51, s6, s4
	v_cmp_eq_u32_e64 s6, 15, v16
	s_and_b32 s49, vcc_lo, s4
	v_cmp_eq_u32_e32 vcc_lo, 0, v15
	v_dual_add_nc_u32 v3, s18, v2 :: v_dual_add_nc_u32 v8, s18, v4
	s_and_b32 s6, s6, s5
	v_and_b32_e32 v17, 31, v0
	v_writelane_b32 v76, s6, 2
	s_and_b32 s52, vcc_lo, s4
	v_cmp_eq_u32_e32 vcc_lo, 14, v16
	s_and_b32 s6, s7, s5
	v_add_nc_u32_e32 v18, 64, v3
	v_writelane_b32 v76, s6, 3
	v_cmp_eq_u32_e64 s6, 13, v16
	s_and_b32 s7, vcc_lo, s5
	v_cmp_gt_u32_e32 vcc_lo, 13, v16
	v_cmp_gt_u32_e64 s10, 30, v17
	v_writelane_b32 v76, s7, 4
	s_and_b32 s7, s8, s5
	s_and_b32 s6, s6, s5
	s_and_b32 s9, vcc_lo, s5
	v_cmp_eq_u32_e64 s8, 11, v16
	v_writelane_b32 v76, s7, 5
	v_cmp_eq_u32_e64 s7, 12, v16
	v_cmp_gt_u32_e32 vcc_lo, 11, v16
	v_add_nc_u64_e32 v[12:13], s[18:19], v[6:7]
	v_dual_ashrrev_i32 v19, 31, v18 :: v_dual_lshrrev_b32 v20, 10, v0
	v_writelane_b32 v76, s6, 6
	v_cmp_gt_u32_e64 s6, 12, v16
	s_and_b32 s7, s7, s5
	v_dual_lshrrev_b32 v5, 1, v66 :: v_dual_ashrrev_i32 v9, 31, v8
	v_writelane_b32 v76, s9, 7
	s_and_b32 s6, s6, s5
	v_cmp_eq_u32_e64 s9, 30, v17
	v_mul_u64_e32 v[10:11], s[68:69], v[18:19]
	v_lshlrev_b32_e32 v19, 8, v5
	v_writelane_b32 v76, s7, 8
	v_cmp_gt_u32_e64 s7, 10, v16
	v_bitop3_b32 v67, v0, v20, 0x3ff bitop3:0xa8
	s_delay_alu instid0(VALU_DEP_4)
	v_dual_lshlrev_b32 v0, 6, v66 :: v_dual_sub_nc_u32 v30, 0, v19
	v_lshlrev_b32_e32 v31, 2, v1
	v_writelane_b32 v76, s6, 9
	s_and_b32 s6, s8, s5
	s_and_b32 s8, vcc_lo, s5
	v_cmp_eq_u32_e32 vcc_lo, 9, v16
	s_and_b32 s59, s7, s5
	v_writelane_b32 v76, s6, 10
	v_cmp_eq_u32_e64 s6, 10, v16
	v_and_b32_e32 v1, 0x1fffc, v66
	s_and_b32 s7, vcc_lo, s5
	v_cmp_gt_u32_e32 vcc_lo, 8, v16
	v_writelane_b32 v76, s8, 11
	s_and_b32 s6, s6, s5
	v_cmp_gt_u32_e64 s8, 9, v16
	v_and_b32_e32 v0, 0xffffff00, v0
	s_and_b32 s66, vcc_lo, s5
	v_writelane_b32 v76, s6, 12
	v_cmp_eq_u32_e64 s6, 8, v16
	s_and_b32 s62, s8, s5
	v_cmp_eq_u32_e64 s8, 6, v16
	v_cmp_gt_u32_e32 vcc_lo, 6, v16
	v_writelane_b32 v76, s7, 13
	s_and_b32 s63, s6, s5
	v_cmp_gt_u32_e64 s6, 7, v16
	v_cmp_eq_u32_e64 s7, 7, v16
	s_and_b32 s23, s8, s5
	v_cmp_gt_u32_e64 s8, 4, v16
	s_and_b32 s25, vcc_lo, s5
	s_and_b32 s12, s6, s5
	v_cmp_eq_u32_e64 s6, 5, v16
	s_and_b32 s11, s7, s5
	v_cmp_gt_u32_e64 s7, 5, v16
	s_and_b32 s101, s8, s5
	v_cmp_eq_u32_e64 s8, 1, v16
	s_and_b32 s27, s6, s5
	v_cmp_eq_u32_e64 s6, 3, v16
	;; [unrolled: 2-line block ×3, first 2 shown]
	v_cmp_eq_u32_e32 vcc_lo, 4, v16
	s_and_b32 s56, s8, s5
	s_and_b32 s98, s6, s5
	v_cmp_gt_u32_e64 s6, 2, v16
	s_and_b32 s54, s7, s5
	v_cmp_eq_u32_e64 s7, 31, v17
	v_cmp_ne_u32_e64 s8, 31, v17
	s_and_b32 s31, vcc_lo, s5
	s_and_b32 s55, s6, s5
	v_cmp_gt_u32_e64 s6, 0x400, v66
	v_cmp_gt_u32_e32 vcc_lo, 3, v16
	v_lshrrev_b32_e32 v20, 3, v66
	v_dual_lshlrev_b32 v33, 2, v14 :: v_dual_sub_nc_u32 v34, v31, v19
	s_and_b32 s7, s7, s6
	s_and_b32 s53, vcc_lo, s5
	v_writelane_b32 v76, s7, 14
	s_and_b32 s7, s8, s6
	v_cmp_eq_u32_e32 vcc_lo, 0, v16
	v_cmp_eq_u32_e64 s8, 28, v17
	v_dual_mov_b32 v60, 1.0 :: v_dual_add_nc_u32 v35, 0x4000, v1
	v_writelane_b32 v76, s7, 15
	s_and_b32 s7, s9, s6
	s_and_b32 s22, vcc_lo, s5
	v_cmp_eq_u32_e32 vcc_lo, 29, v17
	v_cmp_gt_u32_e64 s9, 28, v17
	v_writelane_b32 v76, s7, 16
	s_and_b32 s7, s10, s6
	v_cmp_eq_u32_e64 s10, 27, v17
	s_and_b32 s18, vcc_lo, s6
	v_cmp_gt_u32_e32 vcc_lo, 27, v17
	v_writelane_b32 v76, s7, 17
	v_cmp_gt_u32_e64 s7, 29, v17
	v_dual_sub_nc_u32 v36, 0, v0 :: v_dual_sub_nc_u32 v37, v33, v0
	v_dual_lshlrev_b32 v1, 8, v20 :: v_dual_lshlrev_b32 v38, 2, v15
	v_writelane_b32 v76, s18, 18
	s_and_b32 s7, s7, s6
	s_delay_alu instid0(VALU_DEP_2) | instskip(NEXT) | instid1(VALU_DEP_3)
	v_dual_lshrrev_b32 v0, 4, v66 :: v_dual_sub_nc_u32 v40, 0, v1
	v_dual_lshrrev_b32 v14, 5, v66 :: v_dual_sub_nc_u32 v41, v38, v1
	v_writelane_b32 v76, s7, 19
	s_and_b32 s7, s8, s6
	s_delay_alu instid0(VALU_DEP_3)
	v_lshlrev_b32_e32 v1, 8, v0
	v_lshl_add_u32 v43, v0, 2, 0x4000
	v_lshlrev_b32_e32 v0, 8, v14
	v_writelane_b32 v76, s7, 20
	s_and_b32 s7, s9, s6
	v_lshl_add_u32 v47, v14, 2, 0x4000
	v_add_nc_u32_e32 v14, 0x50, v3
	s_add_nc_u64 s[76:77], s[64:65], s[14:15]
	v_writelane_b32 v76, s7, 21
	s_and_b32 s7, s10, s6
	v_add_nc_u32_e32 v15, 0x60, v3
	v_cmp_gt_u32_e64 s26, 0xf0, v66
                                        ; implicit-def: $vgpr73 : SGPR spill to VGPR lane
	v_dual_lshlrev_b32 v42, 2, v16 :: v_dual_lshlrev_b32 v44, 2, v17
	v_writelane_b32 v76, s7, 22
	s_and_b32 s7, vcc_lo, s6
	v_cmp_eq_u32_e32 vcc_lo, 26, v17
	v_dual_mov_b32 v27, v7 :: v_dual_bitop2_b32 v68, v28, v4 bitop3:0x54
	v_writelane_b32 v76, s7, 23
	v_lshl_add_u32 v39, v20, 2, 0x4000
	s_and_b32 s7, vcc_lo, s6
	v_cmp_gt_u32_e32 vcc_lo, 26, v17
	v_dual_sub_nc_u32 v45, 0, v1 :: v_dual_sub_nc_u32 v46, v42, v1
	v_writelane_b32 v76, s7, 24
	v_dual_sub_nc_u32 v48, 0, v0 :: v_dual_sub_nc_u32 v49, v44, v0
	s_and_b32 s7, vcc_lo, s6
	v_cmp_eq_u32_e32 vcc_lo, 25, v17
	v_writelane_b32 v76, s7, 25
	v_mul_u64_e32 v[0:1], s[78:79], v[8:9]
	v_mul_u64_e32 v[12:13], s[78:79], v[12:13]
                                        ; implicit-def: $vgpr72 : SGPR spill to VGPR lane
	v_lshl_add_u32 v51, v2, 2, 0x5000
	s_and_b32 s7, vcc_lo, s6
	v_cmp_gt_u32_e32 vcc_lo, 25, v17
	v_writelane_b32 v76, s7, 26
	s_add_nc_u64 s[74:75], s[74:75], s[20:21]
	v_lshl_add_u32 v5, v5, 2, 0x4000
	v_lshl_add_u32 v50, v6, 2, 0x5000
	s_and_b32 s7, vcc_lo, s6
	v_cmp_eq_u32_e32 vcc_lo, 24, v17
	v_writelane_b32 v76, s7, 27
	v_lshl_add_u32 v52, v66, 2, 0x4000
	v_add_nc_u32_e32 v53, 0x4000, v32
	v_lshl_add_u32 v54, v2, 8, v32
	s_and_b32 s7, vcc_lo, s6
	v_cmp_gt_u32_e32 vcc_lo, 24, v17
	v_writelane_b32 v76, s7, 28
	v_add_nc_u32_e32 v55, v51, v32
	v_lshl_add_u32 v56, v26, 8, v32
	v_lshl_add_u32 v57, v24, 8, v32
	s_and_b32 s7, vcc_lo, s6
	v_cmp_eq_u32_e32 vcc_lo, 23, v17
	v_writelane_b32 v76, s7, 29
	v_dual_mov_b32 v23, v7 :: v_dual_add_nc_u32 v58, 0x3c00, v32
	v_subrev_nc_u32_e32 v59, 63, v4
	s_and_b32 s7, vcc_lo, s6
	v_cmp_gt_u32_e32 vcc_lo, 23, v17
	v_writelane_b32 v76, s7, 30
	v_add_nc_u32_e64 v61, 0x3c00, 0
	v_cmp_gt_u32_e64 s14, 2, v66
	v_cmp_gt_u32_e64 s15, 12, v66
	s_and_b32 s7, vcc_lo, s6
	v_cmp_eq_u32_e32 vcc_lo, 22, v17
	v_writelane_b32 v76, s7, 31
	v_cmp_gt_u32_e64 s20, 32, v66
	v_cmp_gt_u32_e64 s21, 24, v66
	s_mul_u64 s[92:93], s[68:69], 0xc0
	s_and_b32 s7, vcc_lo, s6
	v_cmp_gt_u32_e32 vcc_lo, 22, v17
	v_writelane_b32 v75, s7, 0
                                        ; implicit-def: $vgpr63
                                        ; implicit-def: $vgpr62
                                        ; implicit-def: $vgpr64
                                        ; implicit-def: $vgpr65
	v_dual_mov_b32 v29, v7 :: v_dual_lshlrev_b32 v22, 2, v4
	v_mov_b32_e32 v25, v7
	s_and_b32 s7, vcc_lo, s6
	v_cmp_eq_u32_e32 vcc_lo, 21, v17
	v_writelane_b32 v75, s7, 1
	s_delay_alu instid0(VALU_DEP_3)
	v_mul_u64_e32 v[20:21], s[68:69], v[24:25]
	s_and_b32 s7, vcc_lo, s6
	v_cmp_gt_u32_e32 vcc_lo, 21, v17
	v_writelane_b32 v75, s7, 2
	s_and_b32 s7, vcc_lo, s6
	v_cmp_eq_u32_e32 vcc_lo, 20, v17
	v_writelane_b32 v75, s7, 3
	s_and_b32 s7, vcc_lo, s6
	v_cmp_gt_u32_e32 vcc_lo, 20, v17
	v_writelane_b32 v75, s7, 4
	s_and_b32 s7, vcc_lo, s6
	v_cmp_eq_u32_e32 vcc_lo, 19, v17
	v_writelane_b32 v75, s7, 5
	;; [unrolled: 6-line block ×20, first 2 shown]
	s_and_b32 s7, vcc_lo, s6
	v_cmp_eq_u32_e32 vcc_lo, 0, v17
	v_writelane_b32 v74, s7, 10
	v_cmp_eq_u32_e64 s7, 0, v2
	v_mul_u64_e32 v[16:17], s[68:69], v[28:29]
	v_or_b32_e32 v29, v26, v4
	s_and_b32 s10, vcc_lo, s6
	v_cmp_le_i32_e32 vcc_lo, s57, v4
	s_and_b32 s8, vcc_lo, s24
	s_delay_alu instid0(SALU_CYCLE_1) | instskip(SKIP_1) | instid1(SALU_CYCLE_1)
	v_writelane_b32 v74, s8, 11
	s_xor_b32 s8, s8, -1
	s_and_b32 s9, s7, s8
	v_cmp_le_i32_e64 s8, s57, v2
	s_cmp_gt_i32 s67, 0
	s_cselect_b32 s24, -1, 0
	s_add_co_i32 s64, s13, 1
	s_or_b32 s18, s8, vcc_lo
	v_cmp_le_i32_e64 s8, s57, v28
	s_lshl_b64 s[88:89], s[16:17], 2
	v_cmp_gt_u32_e64 s16, 8, v66
	v_cmp_gt_u32_e64 s17, 56, v66
	s_lshl_b64 s[90:91], s[68:69], 7
	s_or_b32 s19, s8, vcc_lo
	v_cmp_le_i32_e64 s8, s57, v26
	s_or_b32 s58, s8, vcc_lo
	v_cmp_le_i32_e64 s8, s57, v24
	s_or_b32 s80, s8, vcc_lo
	v_cmp_gt_i32_e32 vcc_lo, s57, v4
	v_cmp_eq_u32_e64 s57, 0, v6
	s_and_b32 s8, s7, vcc_lo
	v_cmp_gt_i32_e32 vcc_lo, s86, v18
	v_writelane_b32 v74, s8, 12
	v_cmp_gt_i32_e64 s8, s86, v8
	v_mul_u64_e32 v[18:19], s[68:69], v[26:27]
	v_or_b32_e32 v27, v24, v4
	s_and_b32 s13, s8, vcc_lo
	v_cmp_gt_i32_e32 vcc_lo, s86, v14
	v_writelane_b32 v74, s13, 13
	v_dual_mov_b32 v3, v7 :: v_dual_add_nc_u32 v14, 0x70, v3
	s_and_b32 s13, s8, vcc_lo
	v_cmp_gt_i32_e32 vcc_lo, s86, v15
	v_writelane_b32 v74, s13, 14
	s_and_b32 s13, s8, vcc_lo
	v_cmp_gt_i32_e32 vcc_lo, s86, v14
	v_writelane_b32 v74, s13, 15
	v_mul_u64_e32 v[14:15], s[68:69], v[2:3]
	v_lshl_add_u32 v3, v28, 8, v32
	s_and_b32 s13, s8, vcc_lo
	s_delay_alu instid0(SALU_CYCLE_1) | instskip(SKIP_1) | instid1(VALU_DEP_1)
	v_writelane_b32 v74, s13, 16
	v_cmp_le_u32_e64 s13, v2, v4
	v_writelane_b32 v74, s13, 17
	s_or_b32 s13, s18, s13
	v_cmp_gt_u32_e64 s18, 48, v66
	v_writelane_b32 v74, s13, 18
	v_cmp_le_u32_e64 s13, v28, v4
	s_delay_alu instid0(VALU_DEP_1) | instskip(SKIP_4) | instid1(VALU_DEP_1)
	v_writelane_b32 v74, s13, 19
	s_or_b32 s13, s19, s13
	v_cmp_gt_u32_e64 s19, 40, v66
	v_writelane_b32 v74, s13, 20
	v_cmp_le_u32_e64 s13, v26, v4
	v_writelane_b32 v74, s13, 21
	s_or_b32 s13, s58, s13
	v_cmp_gt_u32_e64 s58, 64, v6
	v_writelane_b32 v74, s13, 22
	v_cmp_le_u32_e64 s13, v24, v4
	s_delay_alu instid0(VALU_DEP_1)
	v_writelane_b32 v74, s13, 23
	s_or_b32 s13, s80, s13
	s_load_b128 s[80:83], s[0:1], 0x48
	s_wait_xcnt 0x0
	s_lshl_b64 s[0:1], s[68:69], 6
	v_writelane_b32 v74, s13, 24
	v_cmp_eq_u32_e64 s13, 0, v67
	v_writelane_b32 v74, s26, 25
	v_cmp_gt_u32_e64 s26, 0xe0, v66
	s_delay_alu instid0(VALU_DEP_1) | instskip(SKIP_1) | instid1(VALU_DEP_1)
	v_writelane_b32 v74, s26, 26
	v_cmp_gt_u32_e64 s26, 0xd0, v66
	v_writelane_b32 v74, s26, 27
	v_cmp_gt_u32_e64 s26, 0xc0, v66
	s_delay_alu instid0(VALU_DEP_1) | instskip(SKIP_1) | instid1(VALU_DEP_1)
	v_writelane_b32 v74, s26, 28
	v_cmp_gt_u32_e64 s26, 0xb0, v66
	;; [unrolled: 5-line block ×16, first 2 shown]
	v_writelane_b32 v73, s26, 25
	v_cmp_gt_u32_e64 s26, 0x120, v66
	s_delay_alu instid0(VALU_DEP_1) | instskip(SKIP_1) | instid1(VALU_DEP_1)
	v_writelane_b32 v73, s26, 26
	v_cmp_le_u32_e64 s26, v4, v2
	v_writelane_b32 v73, s26, 27
	v_cmp_le_u32_e64 s26, v4, v28
	s_delay_alu instid0(VALU_DEP_1) | instskip(SKIP_1) | instid1(VALU_DEP_1)
	v_writelane_b32 v73, s26, 28
	v_cmp_le_u32_e64 s26, v4, v26
	v_writelane_b32 v73, s26, 29
	v_cmp_le_u32_e64 s26, v4, v24
	s_delay_alu instid0(VALU_DEP_1) | instskip(SKIP_1) | instid1(VALU_DEP_1)
	v_writelane_b32 v73, s26, 30
	v_cmp_gt_u32_e64 s26, 64, v67
	v_writelane_b32 v73, s26, 31
	v_cmp_gt_u32_e64 s26, 64, v68
	s_delay_alu instid0(VALU_DEP_1) | instskip(SKIP_1) | instid1(VALU_DEP_1)
	v_writelane_b32 v72, s26, 0
	v_cmp_gt_u32_e64 s26, 64, v29
	v_writelane_b32 v72, s26, 1
	v_cmp_gt_u32_e64 s26, 64, v27
	s_delay_alu instid0(VALU_DEP_1)
	v_writelane_b32 v72, s26, 2
	s_branch .LBB1_3
.LBB1_2:                                ;   in Loop: Header=BB1_3 Depth=1
	s_wait_xcnt 0x0
	s_or_b32 exec_lo, exec_lo, s26
	v_readlane_b32 s26, v76, 0
	s_add_co_i32 s84, s84, 0x10000
	global_wb scope:SCOPE_DEV
	s_wait_storecnt 0x0
	global_inv scope:SCOPE_DEV
	s_cmp_lt_u32 s84, s26
	s_cbranch_scc0 .LBB1_1163
.LBB1_3:                                ; =>This Loop Header: Depth=1
                                        ;     Child Loop BB1_1043 Depth 2
                                        ;       Child Loop BB1_1045 Depth 3
                                        ;     Child Loop BB1_1083 Depth 2
	global_load_b32 v26, v7, s[72:73]
	v_readlane_b32 s26, v76, 1
	s_mul_u64 s[94:95], s[70:71], s[84:85]
	s_delay_alu instid0(SALU_CYCLE_1)
	s_lshl_b64 s[94:95], s[94:95], 2
	s_and_not1_b32 vcc_lo, exec_lo, s26
	s_add_nc_u64 s[94:95], s[76:77], s[94:95]
	s_cbranch_vccnz .LBB1_13
; %bb.4:                                ;   in Loop: Header=BB1_3 Depth=1
	v_lshl_add_u64 v[24:25], v[10:11], 2, s[94:95]
	v_dual_mov_b32 v62, 0 :: v_dual_mov_b32 v63, 0
	s_wait_loadcnt 0x0
	s_barrier_signal -1
	s_delay_alu instid0(VALU_DEP_2)
	v_lshl_add_u64 v[24:25], v[8:9], 2, v[24:25]
	s_barrier_wait -1
	s_wait_xcnt 0x0
	s_mov_b32 s26, exec_lo
	v_readlane_b32 s28, v74, 13
	s_and_b32 s28, s26, s28
	s_delay_alu instid0(SALU_CYCLE_1)
	s_mov_b32 exec_lo, s28
	s_cbranch_execz .LBB1_6
; %bb.5:                                ;   in Loop: Header=BB1_3 Depth=1
	global_load_b32 v63, v[24:25], off
.LBB1_6:                                ;   in Loop: Header=BB1_3 Depth=1
	s_wait_xcnt 0x0
	s_or_b32 exec_lo, exec_lo, s26
	s_wait_loadcnt 0x0
	s_barrier_signal -1
	s_barrier_wait -1
	s_mov_b32 s26, exec_lo
	v_readlane_b32 s28, v74, 14
	s_and_b32 s28, s26, s28
	s_delay_alu instid0(SALU_CYCLE_1)
	s_mov_b32 exec_lo, s28
	s_cbranch_execz .LBB1_8
; %bb.7:                                ;   in Loop: Header=BB1_3 Depth=1
	v_add_nc_u64_e32 v[28:29], s[0:1], v[24:25]
	global_load_b32 v62, v[28:29], off
.LBB1_8:                                ;   in Loop: Header=BB1_3 Depth=1
	s_wait_xcnt 0x0
	s_or_b32 exec_lo, exec_lo, s26
	v_dual_mov_b32 v65, 0 :: v_dual_mov_b32 v64, 0
	s_wait_loadcnt 0x0
	s_barrier_signal -1
	s_barrier_wait -1
	s_mov_b32 s26, exec_lo
	v_readlane_b32 s28, v74, 15
	s_and_b32 s28, s26, s28
	s_delay_alu instid0(SALU_CYCLE_1)
	s_mov_b32 exec_lo, s28
	s_cbranch_execz .LBB1_10
; %bb.9:                                ;   in Loop: Header=BB1_3 Depth=1
	v_add_nc_u64_e32 v[28:29], s[90:91], v[24:25]
	global_load_b32 v64, v[28:29], off
.LBB1_10:                               ;   in Loop: Header=BB1_3 Depth=1
	s_wait_xcnt 0x0
	s_or_b32 exec_lo, exec_lo, s26
	s_wait_loadcnt 0x0
	s_barrier_signal -1
	s_barrier_wait -1
	s_mov_b32 s26, exec_lo
	v_readlane_b32 s28, v74, 16
	s_and_b32 s28, s26, s28
	s_delay_alu instid0(SALU_CYCLE_1)
	s_mov_b32 exec_lo, s28
	s_cbranch_execz .LBB1_12
; %bb.11:                               ;   in Loop: Header=BB1_3 Depth=1
	v_add_nc_u64_e32 v[24:25], s[92:93], v[24:25]
	global_load_b32 v65, v[24:25], off
.LBB1_12:                               ;   in Loop: Header=BB1_3 Depth=1
	s_wait_xcnt 0x0
	s_or_b32 exec_lo, exec_lo, s26
.LBB1_13:                               ;   in Loop: Header=BB1_3 Depth=1
	s_add_nc_u64 s[96:97], s[94:95], s[88:89]
	s_and_not1_b32 vcc_lo, exec_lo, s100
	v_add_nc_u64_e32 v[24:25], s[96:97], v[22:23]
	s_mov_b32 s26, -1
	s_cbranch_vccnz .LBB1_37
; %bb.14:                               ;   in Loop: Header=BB1_3 Depth=1
	s_mov_b32 s26, 0
	s_wait_xcnt 0x0
	s_mov_b32 s28, exec_lo
	v_readlane_b32 s30, v74, 17
	s_and_b32 s30, s28, s30
	s_delay_alu instid0(SALU_CYCLE_1)
	s_xor_b32 s28, s30, s28
	s_mov_b32 exec_lo, s30
	s_cbranch_execnz .LBB1_1105
; %bb.15:                               ;   in Loop: Header=BB1_3 Depth=1
	s_or_saveexec_b32 s28, s28
	v_mov_b32_e32 v27, 0
	s_xor_b32 exec_lo, exec_lo, s28
	s_cbranch_execnz .LBB1_1106
.LBB1_16:                               ;   in Loop: Header=BB1_3 Depth=1
	s_or_b32 exec_lo, exec_lo, s28
	s_and_saveexec_b32 s28, s26
.LBB1_17:                               ;   in Loop: Header=BB1_3 Depth=1
	ds_store_b32 v54, v27
.LBB1_18:                               ;   in Loop: Header=BB1_3 Depth=1
	s_or_b32 exec_lo, exec_lo, s28
	s_delay_alu instid0(SALU_CYCLE_1) | instskip(SKIP_2) | instid1(SALU_CYCLE_1)
	s_mov_b32 s26, exec_lo
	v_readlane_b32 s28, v74, 19
	s_and_b32 s28, s26, s28
	s_xor_b32 s26, s28, s26
	s_mov_b32 exec_lo, s28
	s_cbranch_execz .LBB1_22
; %bb.19:                               ;   in Loop: Header=BB1_3 Depth=1
	s_mov_b32 s28, exec_lo
	v_readlane_b32 s30, v72, 0
	s_and_b32 s30, s28, s30
	s_delay_alu instid0(SALU_CYCLE_1)
	s_mov_b32 exec_lo, s30
; %bb.20:                               ;   in Loop: Header=BB1_3 Depth=1
	ds_store_b32 v3, v7
; %bb.21:                               ;   in Loop: Header=BB1_3 Depth=1
	s_or_b32 exec_lo, exec_lo, s28
.LBB1_22:                               ;   in Loop: Header=BB1_3 Depth=1
	s_and_not1_saveexec_b32 s26, s26
	s_cbranch_execz .LBB1_24
; %bb.23:                               ;   in Loop: Header=BB1_3 Depth=1
	v_lshl_add_u64 v[28:29], v[16:17], 2, v[24:25]
	global_load_b32 v27, v[28:29], off
	s_wait_loadcnt 0x0
	v_xor_b32_e32 v27, 0x80000000, v27
	ds_store_b32 v3, v27
.LBB1_24:                               ;   in Loop: Header=BB1_3 Depth=1
	s_or_b32 exec_lo, exec_lo, s26
	s_delay_alu instid0(SALU_CYCLE_1) | instskip(SKIP_2) | instid1(SALU_CYCLE_1)
	s_mov_b32 s26, exec_lo
	v_readlane_b32 s28, v74, 21
	s_and_b32 s28, s26, s28
	s_xor_b32 s26, s28, s26
	s_mov_b32 exec_lo, s28
	s_cbranch_execz .LBB1_28
; %bb.25:                               ;   in Loop: Header=BB1_3 Depth=1
	s_mov_b32 s28, exec_lo
	v_readlane_b32 s30, v72, 1
	s_and_b32 s30, s28, s30
	s_delay_alu instid0(SALU_CYCLE_1)
	s_mov_b32 exec_lo, s30
; %bb.26:                               ;   in Loop: Header=BB1_3 Depth=1
	ds_store_b32 v56, v7
; %bb.27:                               ;   in Loop: Header=BB1_3 Depth=1
	s_or_b32 exec_lo, exec_lo, s28
.LBB1_28:                               ;   in Loop: Header=BB1_3 Depth=1
	s_and_not1_saveexec_b32 s26, s26
	s_cbranch_execz .LBB1_30
; %bb.29:                               ;   in Loop: Header=BB1_3 Depth=1
	v_lshl_add_u64 v[28:29], v[18:19], 2, v[24:25]
	global_load_b32 v27, v[28:29], off
	s_wait_loadcnt 0x0
	v_xor_b32_e32 v27, 0x80000000, v27
	ds_store_b32 v56, v27
.LBB1_30:                               ;   in Loop: Header=BB1_3 Depth=1
	;; [unrolled: 28-line block ×3, first 2 shown]
	s_or_b32 exec_lo, exec_lo, s26
	s_mov_b32 s26, 0
.LBB1_37:                               ;   in Loop: Header=BB1_3 Depth=1
	s_delay_alu instid0(SALU_CYCLE_1)
	s_and_b32 vcc_lo, exec_lo, s26
	s_cbranch_vccz .LBB1_61
; %bb.38:                               ;   in Loop: Header=BB1_3 Depth=1
	s_mov_b32 s26, 0
	s_wait_xcnt 0x0
	s_mov_b32 s28, exec_lo
	v_readlane_b32 s30, v74, 18
	s_and_b32 s30, s28, s30
	s_delay_alu instid0(SALU_CYCLE_1)
	s_xor_b32 s28, s30, s28
	s_mov_b32 exec_lo, s30
	s_cbranch_execnz .LBB1_1107
; %bb.39:                               ;   in Loop: Header=BB1_3 Depth=1
	s_or_saveexec_b32 s28, s28
	v_mov_b32_e32 v27, 0
	s_xor_b32 exec_lo, exec_lo, s28
	s_cbranch_execnz .LBB1_1108
.LBB1_40:                               ;   in Loop: Header=BB1_3 Depth=1
	s_or_b32 exec_lo, exec_lo, s28
	s_and_saveexec_b32 s28, s26
.LBB1_41:                               ;   in Loop: Header=BB1_3 Depth=1
	ds_store_b32 v54, v27
.LBB1_42:                               ;   in Loop: Header=BB1_3 Depth=1
	s_or_b32 exec_lo, exec_lo, s28
	s_delay_alu instid0(SALU_CYCLE_1) | instskip(SKIP_2) | instid1(SALU_CYCLE_1)
	s_mov_b32 s26, exec_lo
	v_readlane_b32 s28, v74, 20
	s_and_b32 s28, s26, s28
	s_xor_b32 s26, s28, s26
	s_mov_b32 exec_lo, s28
	s_cbranch_execz .LBB1_46
; %bb.43:                               ;   in Loop: Header=BB1_3 Depth=1
	s_mov_b32 s28, exec_lo
	v_readlane_b32 s30, v72, 0
	s_and_b32 s30, s28, s30
	s_delay_alu instid0(SALU_CYCLE_1)
	s_mov_b32 exec_lo, s30
; %bb.44:                               ;   in Loop: Header=BB1_3 Depth=1
	ds_store_b32 v3, v7
; %bb.45:                               ;   in Loop: Header=BB1_3 Depth=1
	s_or_b32 exec_lo, exec_lo, s28
.LBB1_46:                               ;   in Loop: Header=BB1_3 Depth=1
	s_and_not1_saveexec_b32 s26, s26
	s_cbranch_execz .LBB1_48
; %bb.47:                               ;   in Loop: Header=BB1_3 Depth=1
	v_lshl_add_u64 v[28:29], v[16:17], 2, v[24:25]
	global_load_b32 v27, v[28:29], off
	s_wait_loadcnt 0x0
	v_xor_b32_e32 v27, 0x80000000, v27
	ds_store_b32 v3, v27
.LBB1_48:                               ;   in Loop: Header=BB1_3 Depth=1
	s_or_b32 exec_lo, exec_lo, s26
	s_delay_alu instid0(SALU_CYCLE_1) | instskip(SKIP_2) | instid1(SALU_CYCLE_1)
	s_mov_b32 s26, exec_lo
	v_readlane_b32 s28, v74, 22
	s_and_b32 s28, s26, s28
	s_xor_b32 s26, s28, s26
	s_mov_b32 exec_lo, s28
	s_cbranch_execz .LBB1_52
; %bb.49:                               ;   in Loop: Header=BB1_3 Depth=1
	s_mov_b32 s28, exec_lo
	v_readlane_b32 s30, v72, 1
	s_and_b32 s30, s28, s30
	s_delay_alu instid0(SALU_CYCLE_1)
	s_mov_b32 exec_lo, s30
; %bb.50:                               ;   in Loop: Header=BB1_3 Depth=1
	ds_store_b32 v56, v7
; %bb.51:                               ;   in Loop: Header=BB1_3 Depth=1
	s_or_b32 exec_lo, exec_lo, s28
.LBB1_52:                               ;   in Loop: Header=BB1_3 Depth=1
	s_and_not1_saveexec_b32 s26, s26
	s_cbranch_execz .LBB1_54
; %bb.53:                               ;   in Loop: Header=BB1_3 Depth=1
	v_lshl_add_u64 v[28:29], v[18:19], 2, v[24:25]
	global_load_b32 v27, v[28:29], off
	s_wait_loadcnt 0x0
	v_xor_b32_e32 v27, 0x80000000, v27
	ds_store_b32 v56, v27
.LBB1_54:                               ;   in Loop: Header=BB1_3 Depth=1
	s_or_b32 exec_lo, exec_lo, s26
	s_delay_alu instid0(SALU_CYCLE_1) | instskip(SKIP_2) | instid1(SALU_CYCLE_1)
	s_mov_b32 s26, exec_lo
	v_readlane_b32 s28, v74, 24
	s_and_b32 s28, s26, s28
	s_xor_b32 s26, s28, s26
	s_mov_b32 exec_lo, s28
	s_cbranch_execz .LBB1_58
; %bb.55:                               ;   in Loop: Header=BB1_3 Depth=1
	s_mov_b32 s28, exec_lo
	v_readlane_b32 s30, v72, 2
	s_and_b32 s30, s28, s30
	s_delay_alu instid0(SALU_CYCLE_1)
	s_mov_b32 exec_lo, s30
; %bb.56:                               ;   in Loop: Header=BB1_3 Depth=1
	ds_store_b32 v57, v7
; %bb.57:                               ;   in Loop: Header=BB1_3 Depth=1
	s_or_b32 exec_lo, exec_lo, s28
                                        ; implicit-def: $vgpr24_vgpr25
.LBB1_58:                               ;   in Loop: Header=BB1_3 Depth=1
	s_and_not1_saveexec_b32 s26, s26
	s_cbranch_execz .LBB1_60
; %bb.59:                               ;   in Loop: Header=BB1_3 Depth=1
	v_lshl_add_u64 v[24:25], v[20:21], 2, v[24:25]
	global_load_b32 v24, v[24:25], off
	s_wait_loadcnt 0x0
	v_xor_b32_e32 v24, 0x80000000, v24
	ds_store_b32 v57, v24
.LBB1_60:                               ;   in Loop: Header=BB1_3 Depth=1
	s_or_b32 exec_lo, exec_lo, s26
.LBB1_61:                               ;   in Loop: Header=BB1_3 Depth=1
	s_delay_alu instid0(SALU_CYCLE_1)
	s_and_not1_b32 vcc_lo, exec_lo, s102
	s_wait_loadcnt_dscnt 0x0
	s_barrier_signal -1
	s_barrier_wait -1
	s_cbranch_vccnz .LBB1_1037
; %bb.62:                               ;   in Loop: Header=BB1_3 Depth=1
	s_and_saveexec_b32 s26, s13
; %bb.63:                               ;   in Loop: Header=BB1_3 Depth=1
	ds_store_2addr_b32 v61, v60, v60 offset0:190 offset1:255
; %bb.64:                               ;   in Loop: Header=BB1_3 Depth=1
	s_or_b32 exec_lo, exec_lo, s26
	v_mov_b32_e32 v24, 0
	s_wait_dscnt 0x0
	s_barrier_signal -1
	s_barrier_wait -1
	global_wb scope:SCOPE_DEV
	s_wait_storecnt 0x0
	global_inv scope:SCOPE_DEV
	s_and_saveexec_b32 s26, s2
	s_cbranch_execz .LBB1_68
; %bb.65:                               ;   in Loop: Header=BB1_3 Depth=1
	ds_load_b32 v24, v31 offset:16112
	ds_load_b32 v25, v30 offset:16376
	s_wait_dscnt 0x0
	v_fma_f32 v24, v24, v25, 0
	s_and_saveexec_b32 s28, s14
	s_cbranch_execz .LBB1_67
; %bb.66:                               ;   in Loop: Header=BB1_3 Depth=1
	ds_load_b32 v25, v32 offset:16368
	ds_load_b32 v27, v7 offset:16380
	s_wait_dscnt 0x0
	v_fmac_f32_e32 v24, v25, v27
.LBB1_67:                               ;   in Loop: Header=BB1_3 Depth=1
	s_or_b32 exec_lo, exec_lo, s28
.LBB1_68:                               ;   in Loop: Header=BB1_3 Depth=1
	s_delay_alu instid0(SALU_CYCLE_1)
	s_or_b32 exec_lo, exec_lo, s26
	s_and_saveexec_b32 s26, s103
; %bb.69:                               ;   in Loop: Header=BB1_3 Depth=1
	s_delay_alu instid0(VALU_DEP_1)
	v_xor_b32_e32 v25, 0x80000000, v24
	ds_store_b32 v5, v25
; %bb.70:                               ;   in Loop: Header=BB1_3 Depth=1
	s_or_b32 exec_lo, exec_lo, s26
	s_wait_loadcnt_dscnt 0x0
	s_barrier_signal -1
	s_barrier_wait -1
	s_and_saveexec_b32 s26, s104
	s_cbranch_execz .LBB1_72
; %bb.71:                               ;   in Loop: Header=BB1_3 Depth=1
	ds_load_b32 v25, v7 offset:15856
	ds_load_b32 v27, v5
	s_wait_dscnt 0x0
	v_fma_f32 v24, -v25, v27, v24
.LBB1_72:                               ;   in Loop: Header=BB1_3 Depth=1
	s_or_b32 exec_lo, exec_lo, s26
	s_barrier_signal -1
	s_barrier_wait -1
	s_and_saveexec_b32 s26, s104
; %bb.73:                               ;   in Loop: Header=BB1_3 Depth=1
	v_xor_b32_e32 v25, 0x80000000, v24
	ds_store_b32 v5, v25
; %bb.74:                               ;   in Loop: Header=BB1_3 Depth=1
	s_or_b32 exec_lo, exec_lo, s26
	s_wait_dscnt 0x0
	s_barrier_signal -1
	s_barrier_wait -1
	s_barrier_signal -1
	s_barrier_wait -1
	s_and_saveexec_b32 s26, s2
; %bb.75:                               ;   in Loop: Header=BB1_3 Depth=1
	ds_store_b32 v34, v24 offset:16368
; %bb.76:                               ;   in Loop: Header=BB1_3 Depth=1
	s_or_b32 exec_lo, exec_lo, s26
	s_wait_dscnt 0x0
	s_barrier_signal -1
	s_barrier_wait -1
	s_barrier_signal -1
	s_barrier_wait -1
	s_and_saveexec_b32 s26, s13
; %bb.77:                               ;   in Loop: Header=BB1_3 Depth=1
	ds_store_2addr_b32 v61, v60, v60 offset0:60 offset1:125
; %bb.78:                               ;   in Loop: Header=BB1_3 Depth=1
	s_or_b32 exec_lo, exec_lo, s26
	v_mov_b32_e32 v24, 0
	s_wait_dscnt 0x0
	s_barrier_signal -1
	s_barrier_wait -1
	global_wb scope:SCOPE_DEV
	s_wait_storecnt 0x0
	global_inv scope:SCOPE_DEV
	s_and_saveexec_b32 s65, s3
	s_cbranch_execz .LBB1_84
; %bb.79:                               ;   in Loop: Header=BB1_3 Depth=1
	ds_load_b32 v24, v33 offset:15584
	ds_load_b32 v25, v36 offset:16368
	s_wait_dscnt 0x0
	v_fma_f32 v24, v24, v25, 0
	s_and_saveexec_b32 s26, s15
	s_cbranch_execnz .LBB1_1113
; %bb.80:                               ;   in Loop: Header=BB1_3 Depth=1
	s_or_b32 exec_lo, exec_lo, s26
	s_and_saveexec_b32 s26, s16
	s_cbranch_execnz .LBB1_1114
.LBB1_81:                               ;   in Loop: Header=BB1_3 Depth=1
	s_or_b32 exec_lo, exec_lo, s26
	s_and_saveexec_b32 s26, s2
	s_cbranch_execz .LBB1_83
.LBB1_82:                               ;   in Loop: Header=BB1_3 Depth=1
	ds_load_b32 v25, v32 offset:16352
	ds_load_b32 v27, v7 offset:16380
	s_wait_dscnt 0x0
	v_fmac_f32_e32 v24, v25, v27
.LBB1_83:                               ;   in Loop: Header=BB1_3 Depth=1
	s_or_b32 exec_lo, exec_lo, s26
.LBB1_84:                               ;   in Loop: Header=BB1_3 Depth=1
	s_delay_alu instid0(SALU_CYCLE_1)
	s_or_b32 exec_lo, exec_lo, s65
	s_and_saveexec_b32 s26, vcc_hi
; %bb.85:                               ;   in Loop: Header=BB1_3 Depth=1
	s_delay_alu instid0(VALU_DEP_1)
	v_xor_b32_e32 v25, 0x80000000, v24
	ds_store_b32 v35, v25
; %bb.86:                               ;   in Loop: Header=BB1_3 Depth=1
	s_or_b32 exec_lo, exec_lo, s26
	s_wait_loadcnt_dscnt 0x0
	s_barrier_signal -1
	s_barrier_wait -1
	s_and_saveexec_b32 s26, s34
	s_cbranch_execz .LBB1_88
; %bb.87:                               ;   in Loop: Header=BB1_3 Depth=1
	ds_load_b32 v25, v33 offset:15328
	ds_load_b32 v27, v35
	s_wait_dscnt 0x0
	v_fma_f32 v24, -v25, v27, v24
.LBB1_88:                               ;   in Loop: Header=BB1_3 Depth=1
	s_or_b32 exec_lo, exec_lo, s26
	s_barrier_signal -1
	s_barrier_wait -1
	s_and_saveexec_b32 s26, s35
; %bb.89:                               ;   in Loop: Header=BB1_3 Depth=1
	v_xor_b32_e32 v25, 0x80000000, v24
	ds_store_b32 v35, v25
; %bb.90:                               ;   in Loop: Header=BB1_3 Depth=1
	s_or_b32 exec_lo, exec_lo, s26
	s_wait_dscnt 0x0
	s_barrier_signal -1
	s_barrier_wait -1
	s_and_saveexec_b32 s26, s36
	s_cbranch_execz .LBB1_92
; %bb.91:                               ;   in Loop: Header=BB1_3 Depth=1
	ds_load_b32 v25, v33 offset:15072
	ds_load_b32 v27, v35
	s_wait_dscnt 0x0
	v_fma_f32 v24, -v25, v27, v24
.LBB1_92:                               ;   in Loop: Header=BB1_3 Depth=1
	s_or_b32 exec_lo, exec_lo, s26
	s_barrier_signal -1
	s_barrier_wait -1
	s_and_saveexec_b32 s26, s37
; %bb.93:                               ;   in Loop: Header=BB1_3 Depth=1
	v_xor_b32_e32 v25, 0x80000000, v24
	ds_store_b32 v35, v25
; %bb.94:                               ;   in Loop: Header=BB1_3 Depth=1
	s_or_b32 exec_lo, exec_lo, s26
	s_wait_dscnt 0x0
	;; [unrolled: 20-line block ×3, first 2 shown]
	s_barrier_signal -1
	s_barrier_wait -1
	s_barrier_signal -1
	s_barrier_wait -1
	s_and_saveexec_b32 s26, s3
; %bb.99:                               ;   in Loop: Header=BB1_3 Depth=1
	ds_store_b32 v37, v24 offset:16352
; %bb.100:                              ;   in Loop: Header=BB1_3 Depth=1
	s_or_b32 exec_lo, exec_lo, s26
	s_wait_dscnt 0x0
	s_barrier_signal -1
	s_barrier_wait -1
	s_barrier_signal -1
	s_barrier_wait -1
	s_and_saveexec_b32 s26, s13
; %bb.101:                              ;   in Loop: Header=BB1_3 Depth=1
	v_add_nc_u32_e64 v24, 0x3800, 0
	ds_store_2addr_b32 v24, v60, v60 offset0:186 offset1:251
; %bb.102:                              ;   in Loop: Header=BB1_3 Depth=1
	s_or_b32 exec_lo, exec_lo, s26
	v_mov_b32_e32 v24, 0
	s_wait_dscnt 0x0
	s_barrier_signal -1
	s_barrier_wait -1
	global_wb scope:SCOPE_DEV
	s_wait_storecnt 0x0
	global_inv scope:SCOPE_DEV
	s_and_saveexec_b32 s26, s2
	s_cbranch_execz .LBB1_106
; %bb.103:                              ;   in Loop: Header=BB1_3 Depth=1
	ds_load_b32 v24, v31 offset:15072
	ds_load_b32 v25, v30 offset:15336
	s_wait_dscnt 0x0
	v_fma_f32 v24, v24, v25, 0
	s_and_saveexec_b32 s28, s14
	s_cbranch_execz .LBB1_105
; %bb.104:                              ;   in Loop: Header=BB1_3 Depth=1
	ds_load_b32 v25, v32 offset:15328
	ds_load_b32 v27, v7 offset:15340
	s_wait_dscnt 0x0
	v_fmac_f32_e32 v24, v25, v27
.LBB1_105:                              ;   in Loop: Header=BB1_3 Depth=1
	s_or_b32 exec_lo, exec_lo, s28
.LBB1_106:                              ;   in Loop: Header=BB1_3 Depth=1
	s_delay_alu instid0(SALU_CYCLE_1)
	s_or_b32 exec_lo, exec_lo, s26
	s_and_saveexec_b32 s26, s103
; %bb.107:                              ;   in Loop: Header=BB1_3 Depth=1
	s_delay_alu instid0(VALU_DEP_1)
	v_xor_b32_e32 v25, 0x80000000, v24
	ds_store_b32 v5, v25
; %bb.108:                              ;   in Loop: Header=BB1_3 Depth=1
	s_or_b32 exec_lo, exec_lo, s26
	s_wait_loadcnt_dscnt 0x0
	s_barrier_signal -1
	s_barrier_wait -1
	s_and_saveexec_b32 s26, s104
	s_cbranch_execz .LBB1_110
; %bb.109:                              ;   in Loop: Header=BB1_3 Depth=1
	ds_load_b32 v25, v7 offset:14816
	ds_load_b32 v27, v5
	s_wait_dscnt 0x0
	v_fma_f32 v24, -v25, v27, v24
.LBB1_110:                              ;   in Loop: Header=BB1_3 Depth=1
	s_or_b32 exec_lo, exec_lo, s26
	s_barrier_signal -1
	s_barrier_wait -1
	s_and_saveexec_b32 s26, s104
; %bb.111:                              ;   in Loop: Header=BB1_3 Depth=1
	v_xor_b32_e32 v25, 0x80000000, v24
	ds_store_b32 v5, v25
; %bb.112:                              ;   in Loop: Header=BB1_3 Depth=1
	s_or_b32 exec_lo, exec_lo, s26
	s_wait_dscnt 0x0
	s_barrier_signal -1
	s_barrier_wait -1
	s_barrier_signal -1
	s_barrier_wait -1
	s_and_saveexec_b32 s26, s2
; %bb.113:                              ;   in Loop: Header=BB1_3 Depth=1
	ds_store_b32 v34, v24 offset:15328
; %bb.114:                              ;   in Loop: Header=BB1_3 Depth=1
	s_or_b32 exec_lo, exec_lo, s26
	s_wait_dscnt 0x0
	s_barrier_signal -1
	s_barrier_wait -1
	s_barrier_signal -1
	s_barrier_wait -1
	s_and_saveexec_b32 s26, s13
; %bb.115:                              ;   in Loop: Header=BB1_3 Depth=1
	v_add_nc_u32_e64 v24, 0x3800, 0
	ds_store_2addr_b32 v24, v60, v60 offset0:56 offset1:121
; %bb.116:                              ;   in Loop: Header=BB1_3 Depth=1
	s_or_b32 exec_lo, exec_lo, s26
	v_mov_b32_e32 v24, 0
	s_wait_dscnt 0x0
	s_barrier_signal -1
	s_barrier_wait -1
	global_wb scope:SCOPE_DEV
	s_wait_storecnt 0x0
	global_inv scope:SCOPE_DEV
	s_and_saveexec_b32 s65, s4
	s_cbranch_execz .LBB1_126
; %bb.117:                              ;   in Loop: Header=BB1_3 Depth=1
	ds_load_b32 v24, v38 offset:14528
	ds_load_b32 v25, v40 offset:16352
	s_wait_dscnt 0x0
	v_fma_f32 v24, v24, v25, 0
	s_and_saveexec_b32 s26, s17
	s_cbranch_execnz .LBB1_1115
; %bb.118:                              ;   in Loop: Header=BB1_3 Depth=1
	s_or_b32 exec_lo, exec_lo, s26
	s_and_saveexec_b32 s26, s18
	s_cbranch_execnz .LBB1_1116
.LBB1_119:                              ;   in Loop: Header=BB1_3 Depth=1
	s_or_b32 exec_lo, exec_lo, s26
	s_and_saveexec_b32 s26, s19
	s_cbranch_execnz .LBB1_1117
.LBB1_120:                              ;   in Loop: Header=BB1_3 Depth=1
	s_or_b32 exec_lo, exec_lo, s26
	s_and_saveexec_b32 s26, s20
	s_cbranch_execnz .LBB1_1118
.LBB1_121:                              ;   in Loop: Header=BB1_3 Depth=1
	s_or_b32 exec_lo, exec_lo, s26
	s_and_saveexec_b32 s26, s21
	s_cbranch_execnz .LBB1_1119
.LBB1_122:                              ;   in Loop: Header=BB1_3 Depth=1
	s_or_b32 exec_lo, exec_lo, s26
	s_and_saveexec_b32 s26, s3
	s_cbranch_execnz .LBB1_1120
.LBB1_123:                              ;   in Loop: Header=BB1_3 Depth=1
	s_or_b32 exec_lo, exec_lo, s26
	s_and_saveexec_b32 s26, s16
	s_cbranch_execz .LBB1_125
.LBB1_124:                              ;   in Loop: Header=BB1_3 Depth=1
	ds_load_b32 v25, v32 offset:16320
	ds_load_b32 v27, v7 offset:16380
	s_wait_dscnt 0x0
	v_fmac_f32_e32 v24, v25, v27
.LBB1_125:                              ;   in Loop: Header=BB1_3 Depth=1
	s_or_b32 exec_lo, exec_lo, s26
.LBB1_126:                              ;   in Loop: Header=BB1_3 Depth=1
	s_delay_alu instid0(SALU_CYCLE_1)
	s_or_b32 exec_lo, exec_lo, s65
	s_and_saveexec_b32 s26, s39
; %bb.127:                              ;   in Loop: Header=BB1_3 Depth=1
	s_delay_alu instid0(VALU_DEP_1)
	v_xor_b32_e32 v25, 0x80000000, v24
	ds_store_b32 v39, v25
; %bb.128:                              ;   in Loop: Header=BB1_3 Depth=1
	s_or_b32 exec_lo, exec_lo, s26
	s_wait_loadcnt_dscnt 0x0
	s_barrier_signal -1
	s_barrier_wait -1
	s_and_saveexec_b32 s26, s40
	s_cbranch_execz .LBB1_130
; %bb.129:                              ;   in Loop: Header=BB1_3 Depth=1
	ds_load_b32 v25, v38 offset:14272
	ds_load_b32 v27, v39
	s_wait_dscnt 0x0
	v_fma_f32 v24, -v25, v27, v24
.LBB1_130:                              ;   in Loop: Header=BB1_3 Depth=1
	s_or_b32 exec_lo, exec_lo, s26
	s_barrier_signal -1
	s_barrier_wait -1
	s_and_saveexec_b32 s26, s41
; %bb.131:                              ;   in Loop: Header=BB1_3 Depth=1
	v_xor_b32_e32 v25, 0x80000000, v24
	ds_store_b32 v39, v25
; %bb.132:                              ;   in Loop: Header=BB1_3 Depth=1
	s_or_b32 exec_lo, exec_lo, s26
	s_wait_dscnt 0x0
	s_barrier_signal -1
	s_barrier_wait -1
	s_and_saveexec_b32 s26, s42
	s_cbranch_execz .LBB1_134
; %bb.133:                              ;   in Loop: Header=BB1_3 Depth=1
	ds_load_b32 v25, v38 offset:14016
	ds_load_b32 v27, v39
	s_wait_dscnt 0x0
	v_fma_f32 v24, -v25, v27, v24
.LBB1_134:                              ;   in Loop: Header=BB1_3 Depth=1
	s_or_b32 exec_lo, exec_lo, s26
	s_barrier_signal -1
	s_barrier_wait -1
	s_and_saveexec_b32 s26, s43
; %bb.135:                              ;   in Loop: Header=BB1_3 Depth=1
	v_xor_b32_e32 v25, 0x80000000, v24
	ds_store_b32 v39, v25
; %bb.136:                              ;   in Loop: Header=BB1_3 Depth=1
	s_or_b32 exec_lo, exec_lo, s26
	s_wait_dscnt 0x0
	;; [unrolled: 20-line block ×7, first 2 shown]
	s_barrier_signal -1
	s_barrier_wait -1
	s_barrier_signal -1
	s_barrier_wait -1
	s_and_saveexec_b32 s26, s4
; %bb.157:                              ;   in Loop: Header=BB1_3 Depth=1
	ds_store_b32 v41, v24 offset:16320
; %bb.158:                              ;   in Loop: Header=BB1_3 Depth=1
	s_or_b32 exec_lo, exec_lo, s26
	s_wait_dscnt 0x0
	s_barrier_signal -1
	s_barrier_wait -1
	s_barrier_signal -1
	s_barrier_wait -1
	s_and_saveexec_b32 s26, s13
; %bb.159:                              ;   in Loop: Header=BB1_3 Depth=1
	v_add_nc_u32_e64 v24, 0x3400, 0
	ds_store_2addr_b32 v24, v60, v60 offset0:182 offset1:247
; %bb.160:                              ;   in Loop: Header=BB1_3 Depth=1
	s_or_b32 exec_lo, exec_lo, s26
	v_mov_b32_e32 v24, 0
	s_wait_dscnt 0x0
	s_barrier_signal -1
	s_barrier_wait -1
	global_wb scope:SCOPE_DEV
	s_wait_storecnt 0x0
	global_inv scope:SCOPE_DEV
	s_and_saveexec_b32 s26, s2
	s_cbranch_execz .LBB1_164
; %bb.161:                              ;   in Loop: Header=BB1_3 Depth=1
	ds_load_b32 v24, v31 offset:14032
	ds_load_b32 v25, v30 offset:14296
	s_wait_dscnt 0x0
	v_fma_f32 v24, v24, v25, 0
	s_and_saveexec_b32 s28, s14
	s_cbranch_execz .LBB1_163
; %bb.162:                              ;   in Loop: Header=BB1_3 Depth=1
	ds_load_b32 v25, v32 offset:14288
	ds_load_b32 v27, v7 offset:14300
	s_wait_dscnt 0x0
	v_fmac_f32_e32 v24, v25, v27
.LBB1_163:                              ;   in Loop: Header=BB1_3 Depth=1
	s_or_b32 exec_lo, exec_lo, s28
.LBB1_164:                              ;   in Loop: Header=BB1_3 Depth=1
	s_delay_alu instid0(SALU_CYCLE_1)
	s_or_b32 exec_lo, exec_lo, s26
	s_and_saveexec_b32 s26, s103
; %bb.165:                              ;   in Loop: Header=BB1_3 Depth=1
	s_delay_alu instid0(VALU_DEP_1)
	v_xor_b32_e32 v25, 0x80000000, v24
	ds_store_b32 v5, v25
; %bb.166:                              ;   in Loop: Header=BB1_3 Depth=1
	s_or_b32 exec_lo, exec_lo, s26
	s_wait_loadcnt_dscnt 0x0
	s_barrier_signal -1
	s_barrier_wait -1
	s_and_saveexec_b32 s26, s104
	s_cbranch_execz .LBB1_168
; %bb.167:                              ;   in Loop: Header=BB1_3 Depth=1
	ds_load_b32 v25, v7 offset:13776
	ds_load_b32 v27, v5
	s_wait_dscnt 0x0
	v_fma_f32 v24, -v25, v27, v24
.LBB1_168:                              ;   in Loop: Header=BB1_3 Depth=1
	s_or_b32 exec_lo, exec_lo, s26
	s_barrier_signal -1
	s_barrier_wait -1
	s_and_saveexec_b32 s26, s104
; %bb.169:                              ;   in Loop: Header=BB1_3 Depth=1
	v_xor_b32_e32 v25, 0x80000000, v24
	ds_store_b32 v5, v25
; %bb.170:                              ;   in Loop: Header=BB1_3 Depth=1
	s_or_b32 exec_lo, exec_lo, s26
	s_wait_dscnt 0x0
	s_barrier_signal -1
	s_barrier_wait -1
	s_barrier_signal -1
	s_barrier_wait -1
	s_and_saveexec_b32 s26, s2
; %bb.171:                              ;   in Loop: Header=BB1_3 Depth=1
	ds_store_b32 v34, v24 offset:14288
; %bb.172:                              ;   in Loop: Header=BB1_3 Depth=1
	s_or_b32 exec_lo, exec_lo, s26
	s_wait_dscnt 0x0
	s_barrier_signal -1
	s_barrier_wait -1
	s_barrier_signal -1
	s_barrier_wait -1
	s_and_saveexec_b32 s26, s13
; %bb.173:                              ;   in Loop: Header=BB1_3 Depth=1
	v_add_nc_u32_e64 v24, 0x3400, 0
	ds_store_2addr_b32 v24, v60, v60 offset0:52 offset1:117
; %bb.174:                              ;   in Loop: Header=BB1_3 Depth=1
	s_or_b32 exec_lo, exec_lo, s26
	v_mov_b32_e32 v24, 0
	s_wait_dscnt 0x0
	s_barrier_signal -1
	s_barrier_wait -1
	global_wb scope:SCOPE_DEV
	s_wait_storecnt 0x0
	global_inv scope:SCOPE_DEV
	s_and_saveexec_b32 s65, s3
	s_cbranch_execz .LBB1_180
; %bb.175:                              ;   in Loop: Header=BB1_3 Depth=1
	ds_load_b32 v24, v33 offset:13504
	ds_load_b32 v25, v36 offset:14288
	s_wait_dscnt 0x0
	v_fma_f32 v24, v24, v25, 0
	s_and_saveexec_b32 s26, s15
	s_cbranch_execnz .LBB1_1121
; %bb.176:                              ;   in Loop: Header=BB1_3 Depth=1
	s_or_b32 exec_lo, exec_lo, s26
	s_and_saveexec_b32 s26, s16
	s_cbranch_execnz .LBB1_1122
.LBB1_177:                              ;   in Loop: Header=BB1_3 Depth=1
	s_or_b32 exec_lo, exec_lo, s26
	s_and_saveexec_b32 s26, s2
	s_cbranch_execz .LBB1_179
.LBB1_178:                              ;   in Loop: Header=BB1_3 Depth=1
	ds_load_b32 v25, v32 offset:14272
	ds_load_b32 v27, v7 offset:14300
	s_wait_dscnt 0x0
	v_fmac_f32_e32 v24, v25, v27
.LBB1_179:                              ;   in Loop: Header=BB1_3 Depth=1
	s_or_b32 exec_lo, exec_lo, s26
.LBB1_180:                              ;   in Loop: Header=BB1_3 Depth=1
	s_delay_alu instid0(SALU_CYCLE_1)
	s_or_b32 exec_lo, exec_lo, s65
	s_and_saveexec_b32 s26, vcc_hi
; %bb.181:                              ;   in Loop: Header=BB1_3 Depth=1
	s_delay_alu instid0(VALU_DEP_1)
	v_xor_b32_e32 v25, 0x80000000, v24
	ds_store_b32 v35, v25
; %bb.182:                              ;   in Loop: Header=BB1_3 Depth=1
	s_or_b32 exec_lo, exec_lo, s26
	s_wait_loadcnt_dscnt 0x0
	s_barrier_signal -1
	s_barrier_wait -1
	s_and_saveexec_b32 s26, s34
	s_cbranch_execz .LBB1_184
; %bb.183:                              ;   in Loop: Header=BB1_3 Depth=1
	ds_load_b32 v25, v33 offset:13248
	ds_load_b32 v27, v35
	s_wait_dscnt 0x0
	v_fma_f32 v24, -v25, v27, v24
.LBB1_184:                              ;   in Loop: Header=BB1_3 Depth=1
	s_or_b32 exec_lo, exec_lo, s26
	s_barrier_signal -1
	s_barrier_wait -1
	s_and_saveexec_b32 s26, s35
; %bb.185:                              ;   in Loop: Header=BB1_3 Depth=1
	v_xor_b32_e32 v25, 0x80000000, v24
	ds_store_b32 v35, v25
; %bb.186:                              ;   in Loop: Header=BB1_3 Depth=1
	s_or_b32 exec_lo, exec_lo, s26
	s_wait_dscnt 0x0
	s_barrier_signal -1
	s_barrier_wait -1
	s_and_saveexec_b32 s26, s36
	s_cbranch_execz .LBB1_188
; %bb.187:                              ;   in Loop: Header=BB1_3 Depth=1
	ds_load_b32 v25, v33 offset:12992
	ds_load_b32 v27, v35
	s_wait_dscnt 0x0
	v_fma_f32 v24, -v25, v27, v24
.LBB1_188:                              ;   in Loop: Header=BB1_3 Depth=1
	s_or_b32 exec_lo, exec_lo, s26
	s_barrier_signal -1
	s_barrier_wait -1
	s_and_saveexec_b32 s26, s37
; %bb.189:                              ;   in Loop: Header=BB1_3 Depth=1
	v_xor_b32_e32 v25, 0x80000000, v24
	ds_store_b32 v35, v25
; %bb.190:                              ;   in Loop: Header=BB1_3 Depth=1
	s_or_b32 exec_lo, exec_lo, s26
	s_wait_dscnt 0x0
	;; [unrolled: 20-line block ×3, first 2 shown]
	s_barrier_signal -1
	s_barrier_wait -1
	s_barrier_signal -1
	s_barrier_wait -1
	s_and_saveexec_b32 s26, s3
; %bb.195:                              ;   in Loop: Header=BB1_3 Depth=1
	ds_store_b32 v37, v24 offset:14272
; %bb.196:                              ;   in Loop: Header=BB1_3 Depth=1
	s_or_b32 exec_lo, exec_lo, s26
	s_wait_dscnt 0x0
	s_barrier_signal -1
	s_barrier_wait -1
	s_barrier_signal -1
	s_barrier_wait -1
	s_and_saveexec_b32 s26, s13
; %bb.197:                              ;   in Loop: Header=BB1_3 Depth=1
	v_add_nc_u32_e64 v24, 0x3000, 0
	ds_store_2addr_b32 v24, v60, v60 offset0:178 offset1:243
; %bb.198:                              ;   in Loop: Header=BB1_3 Depth=1
	s_or_b32 exec_lo, exec_lo, s26
	v_mov_b32_e32 v24, 0
	s_wait_dscnt 0x0
	s_barrier_signal -1
	s_barrier_wait -1
	global_wb scope:SCOPE_DEV
	s_wait_storecnt 0x0
	global_inv scope:SCOPE_DEV
	s_and_saveexec_b32 s26, s2
	s_cbranch_execz .LBB1_202
; %bb.199:                              ;   in Loop: Header=BB1_3 Depth=1
	ds_load_b32 v24, v31 offset:12992
	ds_load_b32 v25, v30 offset:13256
	s_wait_dscnt 0x0
	v_fma_f32 v24, v24, v25, 0
	s_and_saveexec_b32 s28, s14
	s_cbranch_execz .LBB1_201
; %bb.200:                              ;   in Loop: Header=BB1_3 Depth=1
	ds_load_b32 v25, v32 offset:13248
	ds_load_b32 v27, v7 offset:13260
	s_wait_dscnt 0x0
	v_fmac_f32_e32 v24, v25, v27
.LBB1_201:                              ;   in Loop: Header=BB1_3 Depth=1
	s_or_b32 exec_lo, exec_lo, s28
.LBB1_202:                              ;   in Loop: Header=BB1_3 Depth=1
	s_delay_alu instid0(SALU_CYCLE_1)
	s_or_b32 exec_lo, exec_lo, s26
	s_and_saveexec_b32 s26, s103
; %bb.203:                              ;   in Loop: Header=BB1_3 Depth=1
	s_delay_alu instid0(VALU_DEP_1)
	v_xor_b32_e32 v25, 0x80000000, v24
	ds_store_b32 v5, v25
; %bb.204:                              ;   in Loop: Header=BB1_3 Depth=1
	s_or_b32 exec_lo, exec_lo, s26
	s_wait_loadcnt_dscnt 0x0
	s_barrier_signal -1
	s_barrier_wait -1
	s_and_saveexec_b32 s26, s104
	s_cbranch_execz .LBB1_206
; %bb.205:                              ;   in Loop: Header=BB1_3 Depth=1
	ds_load_b32 v25, v7 offset:12736
	ds_load_b32 v27, v5
	s_wait_dscnt 0x0
	v_fma_f32 v24, -v25, v27, v24
.LBB1_206:                              ;   in Loop: Header=BB1_3 Depth=1
	s_or_b32 exec_lo, exec_lo, s26
	s_barrier_signal -1
	s_barrier_wait -1
	s_and_saveexec_b32 s26, s104
; %bb.207:                              ;   in Loop: Header=BB1_3 Depth=1
	v_xor_b32_e32 v25, 0x80000000, v24
	ds_store_b32 v5, v25
; %bb.208:                              ;   in Loop: Header=BB1_3 Depth=1
	s_or_b32 exec_lo, exec_lo, s26
	s_wait_dscnt 0x0
	s_barrier_signal -1
	s_barrier_wait -1
	s_barrier_signal -1
	s_barrier_wait -1
	s_and_saveexec_b32 s26, s2
; %bb.209:                              ;   in Loop: Header=BB1_3 Depth=1
	ds_store_b32 v34, v24 offset:13248
; %bb.210:                              ;   in Loop: Header=BB1_3 Depth=1
	s_or_b32 exec_lo, exec_lo, s26
	s_wait_dscnt 0x0
	s_barrier_signal -1
	s_barrier_wait -1
	s_barrier_signal -1
	s_barrier_wait -1
	s_and_saveexec_b32 s26, s13
; %bb.211:                              ;   in Loop: Header=BB1_3 Depth=1
	v_add_nc_u32_e64 v24, 0x3000, 0
	ds_store_2addr_b32 v24, v60, v60 offset0:48 offset1:113
; %bb.212:                              ;   in Loop: Header=BB1_3 Depth=1
	s_or_b32 exec_lo, exec_lo, s26
	v_mov_b32_e32 v24, 0
	s_wait_dscnt 0x0
	s_barrier_signal -1
	s_barrier_wait -1
	global_wb scope:SCOPE_DEV
	s_wait_storecnt 0x0
	global_inv scope:SCOPE_DEV
	s_and_saveexec_b32 s65, s5
	s_cbranch_execz .LBB1_240
; %bb.213:                              ;   in Loop: Header=BB1_3 Depth=1
	ds_load_b32 v24, v42 offset:12416
	ds_load_b32 v25, v45 offset:16320
	s_wait_dscnt 0x0
	v_fma_f32 v24, v24, v25, 0
	s_mov_b32 s26, exec_lo
	v_readlane_b32 s28, v74, 25
	s_and_b32 s28, s26, s28
	s_delay_alu instid0(SALU_CYCLE_1)
	s_mov_b32 exec_lo, s28
	s_cbranch_execz .LBB1_215
; %bb.214:                              ;   in Loop: Header=BB1_3 Depth=1
	ds_load_b32 v25, v42 offset:12672
	ds_load_b32 v27, v45 offset:16324
	s_wait_dscnt 0x0
	v_fmac_f32_e32 v24, v25, v27
.LBB1_215:                              ;   in Loop: Header=BB1_3 Depth=1
	s_or_b32 exec_lo, exec_lo, s26
	s_delay_alu instid0(SALU_CYCLE_1) | instskip(SKIP_2) | instid1(SALU_CYCLE_1)
	s_mov_b32 s26, exec_lo
	v_readlane_b32 s28, v74, 26
	s_and_b32 s28, s26, s28
	s_mov_b32 exec_lo, s28
	s_cbranch_execz .LBB1_217
; %bb.216:                              ;   in Loop: Header=BB1_3 Depth=1
	ds_load_b32 v25, v42 offset:12928
	ds_load_b32 v27, v45 offset:16328
	s_wait_dscnt 0x0
	v_fmac_f32_e32 v24, v25, v27
.LBB1_217:                              ;   in Loop: Header=BB1_3 Depth=1
	s_or_b32 exec_lo, exec_lo, s26
	s_delay_alu instid0(SALU_CYCLE_1) | instskip(SKIP_2) | instid1(SALU_CYCLE_1)
	s_mov_b32 s26, exec_lo
	v_readlane_b32 s28, v74, 27
	s_and_b32 s28, s26, s28
	;; [unrolled: 13-line block ×10, first 2 shown]
	s_mov_b32 exec_lo, s28
	s_cbranch_execnz .LBB1_1123
; %bb.234:                              ;   in Loop: Header=BB1_3 Depth=1
	s_or_b32 exec_lo, exec_lo, s26
	s_and_saveexec_b32 s26, s4
	s_cbranch_execnz .LBB1_1124
.LBB1_235:                              ;   in Loop: Header=BB1_3 Depth=1
	s_or_b32 exec_lo, exec_lo, s26
	s_and_saveexec_b32 s26, s18
	s_cbranch_execnz .LBB1_1125
.LBB1_236:                              ;   in Loop: Header=BB1_3 Depth=1
	s_or_b32 exec_lo, exec_lo, s26
	s_and_saveexec_b32 s26, s20
	s_cbranch_execnz .LBB1_1126
.LBB1_237:                              ;   in Loop: Header=BB1_3 Depth=1
	s_or_b32 exec_lo, exec_lo, s26
	s_and_saveexec_b32 s26, s3
	s_cbranch_execz .LBB1_239
.LBB1_238:                              ;   in Loop: Header=BB1_3 Depth=1
	ds_load_b32 v25, v32 offset:16256
	ds_load_b32 v27, v7 offset:16380
	s_wait_dscnt 0x0
	v_fmac_f32_e32 v24, v25, v27
.LBB1_239:                              ;   in Loop: Header=BB1_3 Depth=1
	s_or_b32 exec_lo, exec_lo, s26
.LBB1_240:                              ;   in Loop: Header=BB1_3 Depth=1
	s_delay_alu instid0(SALU_CYCLE_1) | instskip(NEXT) | instid1(SALU_CYCLE_1)
	s_or_b32 exec_lo, exec_lo, s65
	s_mov_b32 s26, exec_lo
	v_readlane_b32 s28, v76, 2
	s_and_b32 s28, s26, s28
	s_delay_alu instid0(SALU_CYCLE_1)
	s_mov_b32 exec_lo, s28
; %bb.241:                              ;   in Loop: Header=BB1_3 Depth=1
	v_xor_b32_e32 v25, 0x80000000, v24
	ds_store_b32 v43, v25
; %bb.242:                              ;   in Loop: Header=BB1_3 Depth=1
	s_or_b32 exec_lo, exec_lo, s26
	s_wait_loadcnt_dscnt 0x0
	s_barrier_signal -1
	s_barrier_wait -1
	s_mov_b32 s26, exec_lo
	v_readlane_b32 s28, v76, 3
	s_and_b32 s28, s26, s28
	s_delay_alu instid0(SALU_CYCLE_1)
	s_mov_b32 exec_lo, s28
	s_cbranch_execz .LBB1_244
; %bb.243:                              ;   in Loop: Header=BB1_3 Depth=1
	ds_load_b32 v25, v42 offset:12160
	ds_load_b32 v27, v43
	s_wait_dscnt 0x0
	v_fma_f32 v24, -v25, v27, v24
.LBB1_244:                              ;   in Loop: Header=BB1_3 Depth=1
	s_or_b32 exec_lo, exec_lo, s26
	s_barrier_signal -1
	s_barrier_wait -1
	s_mov_b32 s26, exec_lo
	v_readlane_b32 s28, v76, 4
	s_and_b32 s28, s26, s28
	s_delay_alu instid0(SALU_CYCLE_1)
	s_mov_b32 exec_lo, s28
; %bb.245:                              ;   in Loop: Header=BB1_3 Depth=1
	v_xor_b32_e32 v25, 0x80000000, v24
	ds_store_b32 v43, v25
; %bb.246:                              ;   in Loop: Header=BB1_3 Depth=1
	s_or_b32 exec_lo, exec_lo, s26
	s_wait_dscnt 0x0
	s_barrier_signal -1
	s_barrier_wait -1
	s_mov_b32 s26, exec_lo
	v_readlane_b32 s28, v76, 5
	s_and_b32 s28, s26, s28
	s_delay_alu instid0(SALU_CYCLE_1)
	s_mov_b32 exec_lo, s28
	s_cbranch_execz .LBB1_248
; %bb.247:                              ;   in Loop: Header=BB1_3 Depth=1
	ds_load_b32 v25, v42 offset:11904
	ds_load_b32 v27, v43
	s_wait_dscnt 0x0
	v_fma_f32 v24, -v25, v27, v24
.LBB1_248:                              ;   in Loop: Header=BB1_3 Depth=1
	s_or_b32 exec_lo, exec_lo, s26
	s_barrier_signal -1
	s_barrier_wait -1
	s_mov_b32 s26, exec_lo
	v_readlane_b32 s28, v76, 6
	s_and_b32 s28, s26, s28
	s_delay_alu instid0(SALU_CYCLE_1)
	s_mov_b32 exec_lo, s28
; %bb.249:                              ;   in Loop: Header=BB1_3 Depth=1
	v_xor_b32_e32 v25, 0x80000000, v24
	ds_store_b32 v43, v25
; %bb.250:                              ;   in Loop: Header=BB1_3 Depth=1
	s_or_b32 exec_lo, exec_lo, s26
	s_wait_dscnt 0x0
	;; [unrolled: 28-line block ×5, first 2 shown]
	s_barrier_signal -1
	s_barrier_wait -1
	s_and_saveexec_b32 s26, s59
	s_cbranch_execz .LBB1_264
; %bb.263:                              ;   in Loop: Header=BB1_3 Depth=1
	ds_load_b32 v25, v42 offset:10880
	ds_load_b32 v27, v43
	s_wait_dscnt 0x0
	v_fma_f32 v24, -v25, v27, v24
.LBB1_264:                              ;   in Loop: Header=BB1_3 Depth=1
	s_or_b32 exec_lo, exec_lo, s26
	s_barrier_signal -1
	s_barrier_wait -1
	s_mov_b32 s26, exec_lo
	v_readlane_b32 s28, v76, 13
	s_and_b32 s28, s26, s28
	s_delay_alu instid0(SALU_CYCLE_1)
	s_mov_b32 exec_lo, s28
; %bb.265:                              ;   in Loop: Header=BB1_3 Depth=1
	v_xor_b32_e32 v25, 0x80000000, v24
	ds_store_b32 v43, v25
; %bb.266:                              ;   in Loop: Header=BB1_3 Depth=1
	s_or_b32 exec_lo, exec_lo, s26
	s_wait_dscnt 0x0
	s_barrier_signal -1
	s_barrier_wait -1
	s_and_saveexec_b32 s26, s62
	s_cbranch_execz .LBB1_268
; %bb.267:                              ;   in Loop: Header=BB1_3 Depth=1
	ds_load_b32 v25, v42 offset:10624
	ds_load_b32 v27, v43
	s_wait_dscnt 0x0
	v_fma_f32 v24, -v25, v27, v24
.LBB1_268:                              ;   in Loop: Header=BB1_3 Depth=1
	s_or_b32 exec_lo, exec_lo, s26
	s_barrier_signal -1
	s_barrier_wait -1
	s_and_saveexec_b32 s26, s63
; %bb.269:                              ;   in Loop: Header=BB1_3 Depth=1
	v_xor_b32_e32 v25, 0x80000000, v24
	ds_store_b32 v43, v25
; %bb.270:                              ;   in Loop: Header=BB1_3 Depth=1
	s_or_b32 exec_lo, exec_lo, s26
	s_wait_dscnt 0x0
	s_barrier_signal -1
	s_barrier_wait -1
	s_and_saveexec_b32 s26, s66
	s_cbranch_execz .LBB1_272
; %bb.271:                              ;   in Loop: Header=BB1_3 Depth=1
	ds_load_b32 v25, v42 offset:10368
	ds_load_b32 v27, v43
	s_wait_dscnt 0x0
	v_fma_f32 v24, -v25, v27, v24
.LBB1_272:                              ;   in Loop: Header=BB1_3 Depth=1
	s_or_b32 exec_lo, exec_lo, s26
	s_barrier_signal -1
	s_barrier_wait -1
	s_and_saveexec_b32 s26, s11
; %bb.273:                              ;   in Loop: Header=BB1_3 Depth=1
	v_xor_b32_e32 v25, 0x80000000, v24
	ds_store_b32 v43, v25
; %bb.274:                              ;   in Loop: Header=BB1_3 Depth=1
	s_or_b32 exec_lo, exec_lo, s26
	s_wait_dscnt 0x0
	s_barrier_signal -1
	s_barrier_wait -1
	s_and_saveexec_b32 s26, s12
	s_cbranch_execz .LBB1_276
; %bb.275:                              ;   in Loop: Header=BB1_3 Depth=1
	ds_load_b32 v25, v42 offset:10112
	ds_load_b32 v27, v43
	s_wait_dscnt 0x0
	v_fma_f32 v24, -v25, v27, v24
.LBB1_276:                              ;   in Loop: Header=BB1_3 Depth=1
	s_or_b32 exec_lo, exec_lo, s26
	s_barrier_signal -1
	s_barrier_wait -1
	s_and_saveexec_b32 s26, s23
; %bb.277:                              ;   in Loop: Header=BB1_3 Depth=1
	v_xor_b32_e32 v25, 0x80000000, v24
	ds_store_b32 v43, v25
; %bb.278:                              ;   in Loop: Header=BB1_3 Depth=1
	s_or_b32 exec_lo, exec_lo, s26
	s_wait_dscnt 0x0
	s_barrier_signal -1
	s_barrier_wait -1
	s_and_saveexec_b32 s26, s25
	s_cbranch_execz .LBB1_280
; %bb.279:                              ;   in Loop: Header=BB1_3 Depth=1
	ds_load_b32 v25, v42 offset:9856
	ds_load_b32 v27, v43
	s_wait_dscnt 0x0
	v_fma_f32 v24, -v25, v27, v24
.LBB1_280:                              ;   in Loop: Header=BB1_3 Depth=1
	s_or_b32 exec_lo, exec_lo, s26
	s_barrier_signal -1
	s_barrier_wait -1
	s_and_saveexec_b32 s26, s27
; %bb.281:                              ;   in Loop: Header=BB1_3 Depth=1
	v_xor_b32_e32 v25, 0x80000000, v24
	ds_store_b32 v43, v25
; %bb.282:                              ;   in Loop: Header=BB1_3 Depth=1
	s_or_b32 exec_lo, exec_lo, s26
	s_wait_dscnt 0x0
	s_barrier_signal -1
	s_barrier_wait -1
	s_and_saveexec_b32 s26, s29
	s_cbranch_execz .LBB1_284
; %bb.283:                              ;   in Loop: Header=BB1_3 Depth=1
	ds_load_b32 v25, v42 offset:9600
	ds_load_b32 v27, v43
	s_wait_dscnt 0x0
	v_fma_f32 v24, -v25, v27, v24
.LBB1_284:                              ;   in Loop: Header=BB1_3 Depth=1
	s_or_b32 exec_lo, exec_lo, s26
	s_barrier_signal -1
	s_barrier_wait -1
	s_and_saveexec_b32 s26, s31
; %bb.285:                              ;   in Loop: Header=BB1_3 Depth=1
	v_xor_b32_e32 v25, 0x80000000, v24
	ds_store_b32 v43, v25
; %bb.286:                              ;   in Loop: Header=BB1_3 Depth=1
	s_or_b32 exec_lo, exec_lo, s26
	s_wait_dscnt 0x0
	s_barrier_signal -1
	s_barrier_wait -1
	s_and_saveexec_b32 s26, s101
	s_cbranch_execz .LBB1_288
; %bb.287:                              ;   in Loop: Header=BB1_3 Depth=1
	ds_load_b32 v25, v42 offset:9344
	ds_load_b32 v27, v43
	s_wait_dscnt 0x0
	v_fma_f32 v24, -v25, v27, v24
.LBB1_288:                              ;   in Loop: Header=BB1_3 Depth=1
	s_or_b32 exec_lo, exec_lo, s26
	s_barrier_signal -1
	s_barrier_wait -1
	s_and_saveexec_b32 s26, s98
; %bb.289:                              ;   in Loop: Header=BB1_3 Depth=1
	v_xor_b32_e32 v25, 0x80000000, v24
	ds_store_b32 v43, v25
; %bb.290:                              ;   in Loop: Header=BB1_3 Depth=1
	s_or_b32 exec_lo, exec_lo, s26
	s_wait_dscnt 0x0
	s_barrier_signal -1
	s_barrier_wait -1
	s_and_saveexec_b32 s26, s53
	s_cbranch_execz .LBB1_292
; %bb.291:                              ;   in Loop: Header=BB1_3 Depth=1
	ds_load_b32 v25, v42 offset:9088
	ds_load_b32 v27, v43
	s_wait_dscnt 0x0
	v_fma_f32 v24, -v25, v27, v24
.LBB1_292:                              ;   in Loop: Header=BB1_3 Depth=1
	s_or_b32 exec_lo, exec_lo, s26
	s_barrier_signal -1
	s_barrier_wait -1
	s_and_saveexec_b32 s26, s54
; %bb.293:                              ;   in Loop: Header=BB1_3 Depth=1
	v_xor_b32_e32 v25, 0x80000000, v24
	ds_store_b32 v43, v25
; %bb.294:                              ;   in Loop: Header=BB1_3 Depth=1
	s_or_b32 exec_lo, exec_lo, s26
	s_wait_dscnt 0x0
	s_barrier_signal -1
	s_barrier_wait -1
	s_and_saveexec_b32 s26, s55
	s_cbranch_execz .LBB1_296
; %bb.295:                              ;   in Loop: Header=BB1_3 Depth=1
	ds_load_b32 v25, v42 offset:8832
	ds_load_b32 v27, v43
	s_wait_dscnt 0x0
	v_fma_f32 v24, -v25, v27, v24
.LBB1_296:                              ;   in Loop: Header=BB1_3 Depth=1
	s_or_b32 exec_lo, exec_lo, s26
	s_barrier_signal -1
	s_barrier_wait -1
	s_and_saveexec_b32 s26, s56
; %bb.297:                              ;   in Loop: Header=BB1_3 Depth=1
	v_xor_b32_e32 v25, 0x80000000, v24
	ds_store_b32 v43, v25
; %bb.298:                              ;   in Loop: Header=BB1_3 Depth=1
	s_or_b32 exec_lo, exec_lo, s26
	s_wait_dscnt 0x0
	s_barrier_signal -1
	s_barrier_wait -1
	s_and_saveexec_b32 s26, s22
	s_cbranch_execz .LBB1_300
; %bb.299:                              ;   in Loop: Header=BB1_3 Depth=1
	ds_load_b32 v25, v7 offset:8576
	ds_load_b32 v27, v43
	s_wait_dscnt 0x0
	v_fma_f32 v24, -v25, v27, v24
.LBB1_300:                              ;   in Loop: Header=BB1_3 Depth=1
	s_or_b32 exec_lo, exec_lo, s26
	s_barrier_signal -1
	s_barrier_wait -1
	s_and_saveexec_b32 s26, s22
; %bb.301:                              ;   in Loop: Header=BB1_3 Depth=1
	v_xor_b32_e32 v25, 0x80000000, v24
	ds_store_b32 v43, v25
; %bb.302:                              ;   in Loop: Header=BB1_3 Depth=1
	s_or_b32 exec_lo, exec_lo, s26
	s_wait_dscnt 0x0
	s_barrier_signal -1
	s_barrier_wait -1
	s_barrier_signal -1
	s_barrier_wait -1
	s_and_saveexec_b32 s26, s5
; %bb.303:                              ;   in Loop: Header=BB1_3 Depth=1
	ds_store_b32 v46, v24 offset:16256
; %bb.304:                              ;   in Loop: Header=BB1_3 Depth=1
	s_or_b32 exec_lo, exec_lo, s26
	s_wait_dscnt 0x0
	s_barrier_signal -1
	s_barrier_wait -1
	s_barrier_signal -1
	s_barrier_wait -1
	s_and_saveexec_b32 s26, s13
; %bb.305:                              ;   in Loop: Header=BB1_3 Depth=1
	v_add_nc_u32_e64 v24, 0x2c00, 0
	ds_store_2addr_b32 v24, v60, v60 offset0:174 offset1:239
; %bb.306:                              ;   in Loop: Header=BB1_3 Depth=1
	s_or_b32 exec_lo, exec_lo, s26
	v_mov_b32_e32 v24, 0
	s_wait_dscnt 0x0
	s_barrier_signal -1
	s_barrier_wait -1
	global_wb scope:SCOPE_DEV
	s_wait_storecnt 0x0
	global_inv scope:SCOPE_DEV
	s_and_saveexec_b32 s26, s2
	s_cbranch_execz .LBB1_310
; %bb.307:                              ;   in Loop: Header=BB1_3 Depth=1
	ds_load_b32 v24, v31 offset:11952
	ds_load_b32 v25, v30 offset:12216
	s_wait_dscnt 0x0
	v_fma_f32 v24, v24, v25, 0
	s_and_saveexec_b32 s28, s14
	s_cbranch_execz .LBB1_309
; %bb.308:                              ;   in Loop: Header=BB1_3 Depth=1
	ds_load_b32 v25, v32 offset:12208
	ds_load_b32 v27, v7 offset:12220
	s_wait_dscnt 0x0
	v_fmac_f32_e32 v24, v25, v27
.LBB1_309:                              ;   in Loop: Header=BB1_3 Depth=1
	s_or_b32 exec_lo, exec_lo, s28
.LBB1_310:                              ;   in Loop: Header=BB1_3 Depth=1
	s_delay_alu instid0(SALU_CYCLE_1)
	s_or_b32 exec_lo, exec_lo, s26
	s_and_saveexec_b32 s26, s103
; %bb.311:                              ;   in Loop: Header=BB1_3 Depth=1
	s_delay_alu instid0(VALU_DEP_1)
	v_xor_b32_e32 v25, 0x80000000, v24
	ds_store_b32 v5, v25
; %bb.312:                              ;   in Loop: Header=BB1_3 Depth=1
	s_or_b32 exec_lo, exec_lo, s26
	s_wait_loadcnt_dscnt 0x0
	s_barrier_signal -1
	s_barrier_wait -1
	s_and_saveexec_b32 s26, s104
	s_cbranch_execz .LBB1_314
; %bb.313:                              ;   in Loop: Header=BB1_3 Depth=1
	ds_load_b32 v25, v7 offset:11696
	ds_load_b32 v27, v5
	s_wait_dscnt 0x0
	v_fma_f32 v24, -v25, v27, v24
.LBB1_314:                              ;   in Loop: Header=BB1_3 Depth=1
	s_or_b32 exec_lo, exec_lo, s26
	s_barrier_signal -1
	s_barrier_wait -1
	s_and_saveexec_b32 s26, s104
; %bb.315:                              ;   in Loop: Header=BB1_3 Depth=1
	v_xor_b32_e32 v25, 0x80000000, v24
	ds_store_b32 v5, v25
; %bb.316:                              ;   in Loop: Header=BB1_3 Depth=1
	s_or_b32 exec_lo, exec_lo, s26
	s_wait_dscnt 0x0
	s_barrier_signal -1
	s_barrier_wait -1
	s_barrier_signal -1
	s_barrier_wait -1
	s_and_saveexec_b32 s26, s2
; %bb.317:                              ;   in Loop: Header=BB1_3 Depth=1
	ds_store_b32 v34, v24 offset:12208
; %bb.318:                              ;   in Loop: Header=BB1_3 Depth=1
	s_or_b32 exec_lo, exec_lo, s26
	s_wait_dscnt 0x0
	s_barrier_signal -1
	s_barrier_wait -1
	s_barrier_signal -1
	s_barrier_wait -1
	s_and_saveexec_b32 s26, s13
; %bb.319:                              ;   in Loop: Header=BB1_3 Depth=1
	v_add_nc_u32_e64 v24, 0x2c00, 0
	ds_store_2addr_b32 v24, v60, v60 offset0:44 offset1:109
; %bb.320:                              ;   in Loop: Header=BB1_3 Depth=1
	s_or_b32 exec_lo, exec_lo, s26
	v_mov_b32_e32 v24, 0
	s_wait_dscnt 0x0
	s_barrier_signal -1
	s_barrier_wait -1
	global_wb scope:SCOPE_DEV
	s_wait_storecnt 0x0
	global_inv scope:SCOPE_DEV
	s_and_saveexec_b32 s65, s3
	s_cbranch_execz .LBB1_326
; %bb.321:                              ;   in Loop: Header=BB1_3 Depth=1
	ds_load_b32 v24, v33 offset:11424
	ds_load_b32 v25, v36 offset:12208
	s_wait_dscnt 0x0
	v_fma_f32 v24, v24, v25, 0
	s_and_saveexec_b32 s26, s15
	s_cbranch_execnz .LBB1_1127
; %bb.322:                              ;   in Loop: Header=BB1_3 Depth=1
	s_or_b32 exec_lo, exec_lo, s26
	s_and_saveexec_b32 s26, s16
	s_cbranch_execnz .LBB1_1128
.LBB1_323:                              ;   in Loop: Header=BB1_3 Depth=1
	s_or_b32 exec_lo, exec_lo, s26
	s_and_saveexec_b32 s26, s2
	s_cbranch_execz .LBB1_325
.LBB1_324:                              ;   in Loop: Header=BB1_3 Depth=1
	ds_load_b32 v25, v32 offset:12192
	ds_load_b32 v27, v7 offset:12220
	s_wait_dscnt 0x0
	v_fmac_f32_e32 v24, v25, v27
.LBB1_325:                              ;   in Loop: Header=BB1_3 Depth=1
	s_or_b32 exec_lo, exec_lo, s26
.LBB1_326:                              ;   in Loop: Header=BB1_3 Depth=1
	s_delay_alu instid0(SALU_CYCLE_1)
	s_or_b32 exec_lo, exec_lo, s65
	s_and_saveexec_b32 s26, vcc_hi
; %bb.327:                              ;   in Loop: Header=BB1_3 Depth=1
	s_delay_alu instid0(VALU_DEP_1)
	v_xor_b32_e32 v25, 0x80000000, v24
	ds_store_b32 v35, v25
; %bb.328:                              ;   in Loop: Header=BB1_3 Depth=1
	s_or_b32 exec_lo, exec_lo, s26
	s_wait_loadcnt_dscnt 0x0
	s_barrier_signal -1
	s_barrier_wait -1
	s_and_saveexec_b32 s26, s34
	s_cbranch_execz .LBB1_330
; %bb.329:                              ;   in Loop: Header=BB1_3 Depth=1
	ds_load_b32 v25, v33 offset:11168
	ds_load_b32 v27, v35
	s_wait_dscnt 0x0
	v_fma_f32 v24, -v25, v27, v24
.LBB1_330:                              ;   in Loop: Header=BB1_3 Depth=1
	s_or_b32 exec_lo, exec_lo, s26
	s_barrier_signal -1
	s_barrier_wait -1
	s_and_saveexec_b32 s26, s35
; %bb.331:                              ;   in Loop: Header=BB1_3 Depth=1
	v_xor_b32_e32 v25, 0x80000000, v24
	ds_store_b32 v35, v25
; %bb.332:                              ;   in Loop: Header=BB1_3 Depth=1
	s_or_b32 exec_lo, exec_lo, s26
	s_wait_dscnt 0x0
	s_barrier_signal -1
	s_barrier_wait -1
	s_and_saveexec_b32 s26, s36
	s_cbranch_execz .LBB1_334
; %bb.333:                              ;   in Loop: Header=BB1_3 Depth=1
	ds_load_b32 v25, v33 offset:10912
	ds_load_b32 v27, v35
	s_wait_dscnt 0x0
	v_fma_f32 v24, -v25, v27, v24
.LBB1_334:                              ;   in Loop: Header=BB1_3 Depth=1
	s_or_b32 exec_lo, exec_lo, s26
	s_barrier_signal -1
	s_barrier_wait -1
	s_and_saveexec_b32 s26, s37
; %bb.335:                              ;   in Loop: Header=BB1_3 Depth=1
	v_xor_b32_e32 v25, 0x80000000, v24
	ds_store_b32 v35, v25
; %bb.336:                              ;   in Loop: Header=BB1_3 Depth=1
	s_or_b32 exec_lo, exec_lo, s26
	s_wait_dscnt 0x0
	;; [unrolled: 20-line block ×3, first 2 shown]
	s_barrier_signal -1
	s_barrier_wait -1
	s_barrier_signal -1
	s_barrier_wait -1
	s_and_saveexec_b32 s26, s3
; %bb.341:                              ;   in Loop: Header=BB1_3 Depth=1
	ds_store_b32 v37, v24 offset:12192
; %bb.342:                              ;   in Loop: Header=BB1_3 Depth=1
	s_or_b32 exec_lo, exec_lo, s26
	s_wait_dscnt 0x0
	s_barrier_signal -1
	s_barrier_wait -1
	s_barrier_signal -1
	s_barrier_wait -1
	s_and_saveexec_b32 s26, s13
; %bb.343:                              ;   in Loop: Header=BB1_3 Depth=1
	v_add_nc_u32_e64 v24, 0x2800, 0
	ds_store_2addr_b32 v24, v60, v60 offset0:170 offset1:235
; %bb.344:                              ;   in Loop: Header=BB1_3 Depth=1
	s_or_b32 exec_lo, exec_lo, s26
	v_mov_b32_e32 v24, 0
	s_wait_dscnt 0x0
	s_barrier_signal -1
	s_barrier_wait -1
	global_wb scope:SCOPE_DEV
	s_wait_storecnt 0x0
	global_inv scope:SCOPE_DEV
	s_and_saveexec_b32 s26, s2
	s_cbranch_execz .LBB1_348
; %bb.345:                              ;   in Loop: Header=BB1_3 Depth=1
	ds_load_b32 v24, v31 offset:10912
	ds_load_b32 v25, v30 offset:11176
	s_wait_dscnt 0x0
	v_fma_f32 v24, v24, v25, 0
	s_and_saveexec_b32 s28, s14
	s_cbranch_execz .LBB1_347
; %bb.346:                              ;   in Loop: Header=BB1_3 Depth=1
	ds_load_b32 v25, v32 offset:11168
	ds_load_b32 v27, v7 offset:11180
	s_wait_dscnt 0x0
	v_fmac_f32_e32 v24, v25, v27
.LBB1_347:                              ;   in Loop: Header=BB1_3 Depth=1
	s_or_b32 exec_lo, exec_lo, s28
.LBB1_348:                              ;   in Loop: Header=BB1_3 Depth=1
	s_delay_alu instid0(SALU_CYCLE_1)
	s_or_b32 exec_lo, exec_lo, s26
	s_and_saveexec_b32 s26, s103
; %bb.349:                              ;   in Loop: Header=BB1_3 Depth=1
	s_delay_alu instid0(VALU_DEP_1)
	v_xor_b32_e32 v25, 0x80000000, v24
	ds_store_b32 v5, v25
; %bb.350:                              ;   in Loop: Header=BB1_3 Depth=1
	s_or_b32 exec_lo, exec_lo, s26
	s_wait_loadcnt_dscnt 0x0
	s_barrier_signal -1
	s_barrier_wait -1
	s_and_saveexec_b32 s26, s104
	s_cbranch_execz .LBB1_352
; %bb.351:                              ;   in Loop: Header=BB1_3 Depth=1
	ds_load_b32 v25, v7 offset:10656
	ds_load_b32 v27, v5
	s_wait_dscnt 0x0
	v_fma_f32 v24, -v25, v27, v24
.LBB1_352:                              ;   in Loop: Header=BB1_3 Depth=1
	s_or_b32 exec_lo, exec_lo, s26
	s_barrier_signal -1
	s_barrier_wait -1
	s_and_saveexec_b32 s26, s104
; %bb.353:                              ;   in Loop: Header=BB1_3 Depth=1
	v_xor_b32_e32 v25, 0x80000000, v24
	ds_store_b32 v5, v25
; %bb.354:                              ;   in Loop: Header=BB1_3 Depth=1
	s_or_b32 exec_lo, exec_lo, s26
	s_wait_dscnt 0x0
	s_barrier_signal -1
	s_barrier_wait -1
	s_barrier_signal -1
	s_barrier_wait -1
	s_and_saveexec_b32 s26, s2
; %bb.355:                              ;   in Loop: Header=BB1_3 Depth=1
	ds_store_b32 v34, v24 offset:11168
; %bb.356:                              ;   in Loop: Header=BB1_3 Depth=1
	s_or_b32 exec_lo, exec_lo, s26
	s_wait_dscnt 0x0
	s_barrier_signal -1
	s_barrier_wait -1
	s_barrier_signal -1
	s_barrier_wait -1
	s_and_saveexec_b32 s26, s13
; %bb.357:                              ;   in Loop: Header=BB1_3 Depth=1
	v_add_nc_u32_e64 v24, 0x2800, 0
	ds_store_2addr_b32 v24, v60, v60 offset0:40 offset1:105
; %bb.358:                              ;   in Loop: Header=BB1_3 Depth=1
	s_or_b32 exec_lo, exec_lo, s26
	v_mov_b32_e32 v24, 0
	s_wait_dscnt 0x0
	s_barrier_signal -1
	s_barrier_wait -1
	global_wb scope:SCOPE_DEV
	s_wait_storecnt 0x0
	global_inv scope:SCOPE_DEV
	s_and_saveexec_b32 s65, s4
	s_cbranch_execz .LBB1_368
; %bb.359:                              ;   in Loop: Header=BB1_3 Depth=1
	ds_load_b32 v24, v38 offset:10368
	ds_load_b32 v25, v40 offset:12192
	s_wait_dscnt 0x0
	v_fma_f32 v24, v24, v25, 0
	s_and_saveexec_b32 s26, s17
	s_cbranch_execnz .LBB1_1129
; %bb.360:                              ;   in Loop: Header=BB1_3 Depth=1
	s_or_b32 exec_lo, exec_lo, s26
	s_and_saveexec_b32 s26, s18
	s_cbranch_execnz .LBB1_1130
.LBB1_361:                              ;   in Loop: Header=BB1_3 Depth=1
	s_or_b32 exec_lo, exec_lo, s26
	s_and_saveexec_b32 s26, s19
	s_cbranch_execnz .LBB1_1131
.LBB1_362:                              ;   in Loop: Header=BB1_3 Depth=1
	s_or_b32 exec_lo, exec_lo, s26
	s_and_saveexec_b32 s26, s20
	s_cbranch_execnz .LBB1_1132
.LBB1_363:                              ;   in Loop: Header=BB1_3 Depth=1
	s_or_b32 exec_lo, exec_lo, s26
	s_and_saveexec_b32 s26, s21
	s_cbranch_execnz .LBB1_1133
.LBB1_364:                              ;   in Loop: Header=BB1_3 Depth=1
	s_or_b32 exec_lo, exec_lo, s26
	s_and_saveexec_b32 s26, s3
	s_cbranch_execnz .LBB1_1134
.LBB1_365:                              ;   in Loop: Header=BB1_3 Depth=1
	s_or_b32 exec_lo, exec_lo, s26
	s_and_saveexec_b32 s26, s16
	s_cbranch_execz .LBB1_367
.LBB1_366:                              ;   in Loop: Header=BB1_3 Depth=1
	ds_load_b32 v25, v32 offset:12160
	ds_load_b32 v27, v7 offset:12220
	s_wait_dscnt 0x0
	v_fmac_f32_e32 v24, v25, v27
.LBB1_367:                              ;   in Loop: Header=BB1_3 Depth=1
	s_or_b32 exec_lo, exec_lo, s26
.LBB1_368:                              ;   in Loop: Header=BB1_3 Depth=1
	s_delay_alu instid0(SALU_CYCLE_1)
	s_or_b32 exec_lo, exec_lo, s65
	s_and_saveexec_b32 s26, s39
; %bb.369:                              ;   in Loop: Header=BB1_3 Depth=1
	s_delay_alu instid0(VALU_DEP_1)
	v_xor_b32_e32 v25, 0x80000000, v24
	ds_store_b32 v39, v25
; %bb.370:                              ;   in Loop: Header=BB1_3 Depth=1
	s_or_b32 exec_lo, exec_lo, s26
	s_wait_loadcnt_dscnt 0x0
	s_barrier_signal -1
	s_barrier_wait -1
	s_and_saveexec_b32 s26, s40
	s_cbranch_execz .LBB1_372
; %bb.371:                              ;   in Loop: Header=BB1_3 Depth=1
	ds_load_b32 v25, v38 offset:10112
	ds_load_b32 v27, v39
	s_wait_dscnt 0x0
	v_fma_f32 v24, -v25, v27, v24
.LBB1_372:                              ;   in Loop: Header=BB1_3 Depth=1
	s_or_b32 exec_lo, exec_lo, s26
	s_barrier_signal -1
	s_barrier_wait -1
	s_and_saveexec_b32 s26, s41
; %bb.373:                              ;   in Loop: Header=BB1_3 Depth=1
	v_xor_b32_e32 v25, 0x80000000, v24
	ds_store_b32 v39, v25
; %bb.374:                              ;   in Loop: Header=BB1_3 Depth=1
	s_or_b32 exec_lo, exec_lo, s26
	s_wait_dscnt 0x0
	s_barrier_signal -1
	s_barrier_wait -1
	s_and_saveexec_b32 s26, s42
	s_cbranch_execz .LBB1_376
; %bb.375:                              ;   in Loop: Header=BB1_3 Depth=1
	ds_load_b32 v25, v38 offset:9856
	ds_load_b32 v27, v39
	s_wait_dscnt 0x0
	v_fma_f32 v24, -v25, v27, v24
.LBB1_376:                              ;   in Loop: Header=BB1_3 Depth=1
	s_or_b32 exec_lo, exec_lo, s26
	s_barrier_signal -1
	s_barrier_wait -1
	s_and_saveexec_b32 s26, s43
; %bb.377:                              ;   in Loop: Header=BB1_3 Depth=1
	v_xor_b32_e32 v25, 0x80000000, v24
	ds_store_b32 v39, v25
; %bb.378:                              ;   in Loop: Header=BB1_3 Depth=1
	s_or_b32 exec_lo, exec_lo, s26
	s_wait_dscnt 0x0
	;; [unrolled: 20-line block ×7, first 2 shown]
	s_barrier_signal -1
	s_barrier_wait -1
	s_barrier_signal -1
	s_barrier_wait -1
	s_and_saveexec_b32 s26, s4
; %bb.399:                              ;   in Loop: Header=BB1_3 Depth=1
	ds_store_b32 v41, v24 offset:12160
; %bb.400:                              ;   in Loop: Header=BB1_3 Depth=1
	s_or_b32 exec_lo, exec_lo, s26
	s_wait_dscnt 0x0
	s_barrier_signal -1
	s_barrier_wait -1
	s_barrier_signal -1
	s_barrier_wait -1
	s_and_saveexec_b32 s26, s13
; %bb.401:                              ;   in Loop: Header=BB1_3 Depth=1
	v_add_nc_u32_e64 v24, 0x2400, 0
	ds_store_2addr_b32 v24, v60, v60 offset0:166 offset1:231
; %bb.402:                              ;   in Loop: Header=BB1_3 Depth=1
	s_or_b32 exec_lo, exec_lo, s26
	v_mov_b32_e32 v24, 0
	s_wait_dscnt 0x0
	s_barrier_signal -1
	s_barrier_wait -1
	global_wb scope:SCOPE_DEV
	s_wait_storecnt 0x0
	global_inv scope:SCOPE_DEV
	s_and_saveexec_b32 s26, s2
	s_cbranch_execz .LBB1_406
; %bb.403:                              ;   in Loop: Header=BB1_3 Depth=1
	ds_load_b32 v24, v31 offset:9872
	ds_load_b32 v25, v30 offset:10136
	s_wait_dscnt 0x0
	v_fma_f32 v24, v24, v25, 0
	s_and_saveexec_b32 s28, s14
	s_cbranch_execz .LBB1_405
; %bb.404:                              ;   in Loop: Header=BB1_3 Depth=1
	ds_load_b32 v25, v32 offset:10128
	ds_load_b32 v27, v7 offset:10140
	s_wait_dscnt 0x0
	v_fmac_f32_e32 v24, v25, v27
.LBB1_405:                              ;   in Loop: Header=BB1_3 Depth=1
	s_or_b32 exec_lo, exec_lo, s28
.LBB1_406:                              ;   in Loop: Header=BB1_3 Depth=1
	s_delay_alu instid0(SALU_CYCLE_1)
	s_or_b32 exec_lo, exec_lo, s26
	s_and_saveexec_b32 s26, s103
; %bb.407:                              ;   in Loop: Header=BB1_3 Depth=1
	s_delay_alu instid0(VALU_DEP_1)
	v_xor_b32_e32 v25, 0x80000000, v24
	ds_store_b32 v5, v25
; %bb.408:                              ;   in Loop: Header=BB1_3 Depth=1
	s_or_b32 exec_lo, exec_lo, s26
	s_wait_loadcnt_dscnt 0x0
	s_barrier_signal -1
	s_barrier_wait -1
	s_and_saveexec_b32 s26, s104
	s_cbranch_execz .LBB1_410
; %bb.409:                              ;   in Loop: Header=BB1_3 Depth=1
	ds_load_b32 v25, v7 offset:9616
	ds_load_b32 v27, v5
	s_wait_dscnt 0x0
	v_fma_f32 v24, -v25, v27, v24
.LBB1_410:                              ;   in Loop: Header=BB1_3 Depth=1
	s_or_b32 exec_lo, exec_lo, s26
	s_barrier_signal -1
	s_barrier_wait -1
	s_and_saveexec_b32 s26, s104
; %bb.411:                              ;   in Loop: Header=BB1_3 Depth=1
	v_xor_b32_e32 v25, 0x80000000, v24
	ds_store_b32 v5, v25
; %bb.412:                              ;   in Loop: Header=BB1_3 Depth=1
	s_or_b32 exec_lo, exec_lo, s26
	s_wait_dscnt 0x0
	s_barrier_signal -1
	s_barrier_wait -1
	s_barrier_signal -1
	s_barrier_wait -1
	s_and_saveexec_b32 s26, s2
; %bb.413:                              ;   in Loop: Header=BB1_3 Depth=1
	ds_store_b32 v34, v24 offset:10128
; %bb.414:                              ;   in Loop: Header=BB1_3 Depth=1
	s_or_b32 exec_lo, exec_lo, s26
	s_wait_dscnt 0x0
	s_barrier_signal -1
	s_barrier_wait -1
	s_barrier_signal -1
	s_barrier_wait -1
	s_and_saveexec_b32 s26, s13
; %bb.415:                              ;   in Loop: Header=BB1_3 Depth=1
	v_add_nc_u32_e64 v24, 0x2400, 0
	ds_store_2addr_b32 v24, v60, v60 offset0:36 offset1:101
; %bb.416:                              ;   in Loop: Header=BB1_3 Depth=1
	s_or_b32 exec_lo, exec_lo, s26
	v_mov_b32_e32 v24, 0
	s_wait_dscnt 0x0
	s_barrier_signal -1
	s_barrier_wait -1
	global_wb scope:SCOPE_DEV
	s_wait_storecnt 0x0
	global_inv scope:SCOPE_DEV
	s_and_saveexec_b32 s65, s3
	s_cbranch_execz .LBB1_422
; %bb.417:                              ;   in Loop: Header=BB1_3 Depth=1
	ds_load_b32 v24, v33 offset:9344
	ds_load_b32 v25, v36 offset:10128
	s_wait_dscnt 0x0
	v_fma_f32 v24, v24, v25, 0
	s_and_saveexec_b32 s26, s15
	s_cbranch_execnz .LBB1_1135
; %bb.418:                              ;   in Loop: Header=BB1_3 Depth=1
	s_or_b32 exec_lo, exec_lo, s26
	s_and_saveexec_b32 s26, s16
	s_cbranch_execnz .LBB1_1136
.LBB1_419:                              ;   in Loop: Header=BB1_3 Depth=1
	s_or_b32 exec_lo, exec_lo, s26
	s_and_saveexec_b32 s26, s2
	s_cbranch_execz .LBB1_421
.LBB1_420:                              ;   in Loop: Header=BB1_3 Depth=1
	ds_load_b32 v25, v32 offset:10112
	ds_load_b32 v27, v7 offset:10140
	s_wait_dscnt 0x0
	v_fmac_f32_e32 v24, v25, v27
.LBB1_421:                              ;   in Loop: Header=BB1_3 Depth=1
	s_or_b32 exec_lo, exec_lo, s26
.LBB1_422:                              ;   in Loop: Header=BB1_3 Depth=1
	s_delay_alu instid0(SALU_CYCLE_1)
	s_or_b32 exec_lo, exec_lo, s65
	s_and_saveexec_b32 s26, vcc_hi
; %bb.423:                              ;   in Loop: Header=BB1_3 Depth=1
	s_delay_alu instid0(VALU_DEP_1)
	v_xor_b32_e32 v25, 0x80000000, v24
	ds_store_b32 v35, v25
; %bb.424:                              ;   in Loop: Header=BB1_3 Depth=1
	s_or_b32 exec_lo, exec_lo, s26
	s_wait_loadcnt_dscnt 0x0
	s_barrier_signal -1
	s_barrier_wait -1
	s_and_saveexec_b32 s26, s34
	s_cbranch_execz .LBB1_426
; %bb.425:                              ;   in Loop: Header=BB1_3 Depth=1
	ds_load_b32 v25, v33 offset:9088
	ds_load_b32 v27, v35
	s_wait_dscnt 0x0
	v_fma_f32 v24, -v25, v27, v24
.LBB1_426:                              ;   in Loop: Header=BB1_3 Depth=1
	s_or_b32 exec_lo, exec_lo, s26
	s_barrier_signal -1
	s_barrier_wait -1
	s_and_saveexec_b32 s26, s35
; %bb.427:                              ;   in Loop: Header=BB1_3 Depth=1
	v_xor_b32_e32 v25, 0x80000000, v24
	ds_store_b32 v35, v25
; %bb.428:                              ;   in Loop: Header=BB1_3 Depth=1
	s_or_b32 exec_lo, exec_lo, s26
	s_wait_dscnt 0x0
	s_barrier_signal -1
	s_barrier_wait -1
	s_and_saveexec_b32 s26, s36
	s_cbranch_execz .LBB1_430
; %bb.429:                              ;   in Loop: Header=BB1_3 Depth=1
	ds_load_b32 v25, v33 offset:8832
	ds_load_b32 v27, v35
	s_wait_dscnt 0x0
	v_fma_f32 v24, -v25, v27, v24
.LBB1_430:                              ;   in Loop: Header=BB1_3 Depth=1
	s_or_b32 exec_lo, exec_lo, s26
	s_barrier_signal -1
	s_barrier_wait -1
	s_and_saveexec_b32 s26, s37
; %bb.431:                              ;   in Loop: Header=BB1_3 Depth=1
	v_xor_b32_e32 v25, 0x80000000, v24
	ds_store_b32 v35, v25
; %bb.432:                              ;   in Loop: Header=BB1_3 Depth=1
	s_or_b32 exec_lo, exec_lo, s26
	s_wait_dscnt 0x0
	s_barrier_signal -1
	s_barrier_wait -1
	s_and_saveexec_b32 s26, s38
	s_cbranch_execz .LBB1_434
; %bb.433:                              ;   in Loop: Header=BB1_3 Depth=1
	ds_load_b32 v25, v7 offset:8576
	ds_load_b32 v27, v35
	s_wait_dscnt 0x0
	v_fma_f32 v24, -v25, v27, v24
.LBB1_434:                              ;   in Loop: Header=BB1_3 Depth=1
	s_or_b32 exec_lo, exec_lo, s26
	s_barrier_signal -1
	s_barrier_wait -1
	s_and_saveexec_b32 s26, s38
; %bb.435:                              ;   in Loop: Header=BB1_3 Depth=1
	v_xor_b32_e32 v25, 0x80000000, v24
	ds_store_b32 v35, v25
; %bb.436:                              ;   in Loop: Header=BB1_3 Depth=1
	s_or_b32 exec_lo, exec_lo, s26
	s_wait_dscnt 0x0
	s_barrier_signal -1
	s_barrier_wait -1
	s_barrier_signal -1
	s_barrier_wait -1
	s_and_saveexec_b32 s26, s3
; %bb.437:                              ;   in Loop: Header=BB1_3 Depth=1
	ds_store_b32 v37, v24 offset:10112
; %bb.438:                              ;   in Loop: Header=BB1_3 Depth=1
	s_or_b32 exec_lo, exec_lo, s26
	s_wait_dscnt 0x0
	s_barrier_signal -1
	s_barrier_wait -1
	s_barrier_signal -1
	s_barrier_wait -1
	s_and_saveexec_b32 s26, s13
; %bb.439:                              ;   in Loop: Header=BB1_3 Depth=1
	v_add_nc_u32_e64 v24, 0x2000, 0
	ds_store_2addr_b32 v24, v60, v60 offset0:162 offset1:227
; %bb.440:                              ;   in Loop: Header=BB1_3 Depth=1
	s_or_b32 exec_lo, exec_lo, s26
	v_mov_b32_e32 v24, 0
	s_wait_dscnt 0x0
	s_barrier_signal -1
	s_barrier_wait -1
	global_wb scope:SCOPE_DEV
	s_wait_storecnt 0x0
	global_inv scope:SCOPE_DEV
	s_and_saveexec_b32 s26, s2
	s_cbranch_execz .LBB1_444
; %bb.441:                              ;   in Loop: Header=BB1_3 Depth=1
	ds_load_b32 v24, v31 offset:8832
	ds_load_b32 v25, v30 offset:9096
	s_wait_dscnt 0x0
	v_fma_f32 v24, v24, v25, 0
	s_and_saveexec_b32 s28, s14
	s_cbranch_execz .LBB1_443
; %bb.442:                              ;   in Loop: Header=BB1_3 Depth=1
	ds_load_b32 v25, v32 offset:9088
	ds_load_b32 v27, v7 offset:9100
	s_wait_dscnt 0x0
	v_fmac_f32_e32 v24, v25, v27
.LBB1_443:                              ;   in Loop: Header=BB1_3 Depth=1
	s_or_b32 exec_lo, exec_lo, s28
.LBB1_444:                              ;   in Loop: Header=BB1_3 Depth=1
	s_delay_alu instid0(SALU_CYCLE_1)
	s_or_b32 exec_lo, exec_lo, s26
	s_and_saveexec_b32 s26, s103
; %bb.445:                              ;   in Loop: Header=BB1_3 Depth=1
	s_delay_alu instid0(VALU_DEP_1)
	v_xor_b32_e32 v25, 0x80000000, v24
	ds_store_b32 v5, v25
; %bb.446:                              ;   in Loop: Header=BB1_3 Depth=1
	s_or_b32 exec_lo, exec_lo, s26
	s_wait_loadcnt_dscnt 0x0
	s_barrier_signal -1
	s_barrier_wait -1
	s_and_saveexec_b32 s26, s104
	s_cbranch_execz .LBB1_448
; %bb.447:                              ;   in Loop: Header=BB1_3 Depth=1
	ds_load_b32 v25, v7 offset:8576
	ds_load_b32 v27, v5
	s_wait_dscnt 0x0
	v_fma_f32 v24, -v25, v27, v24
.LBB1_448:                              ;   in Loop: Header=BB1_3 Depth=1
	s_or_b32 exec_lo, exec_lo, s26
	s_barrier_signal -1
	s_barrier_wait -1
	s_and_saveexec_b32 s26, s104
; %bb.449:                              ;   in Loop: Header=BB1_3 Depth=1
	v_xor_b32_e32 v25, 0x80000000, v24
	ds_store_b32 v5, v25
; %bb.450:                              ;   in Loop: Header=BB1_3 Depth=1
	s_or_b32 exec_lo, exec_lo, s26
	s_wait_dscnt 0x0
	s_barrier_signal -1
	s_barrier_wait -1
	s_barrier_signal -1
	s_barrier_wait -1
	s_and_saveexec_b32 s26, s2
; %bb.451:                              ;   in Loop: Header=BB1_3 Depth=1
	ds_store_b32 v34, v24 offset:9088
; %bb.452:                              ;   in Loop: Header=BB1_3 Depth=1
	s_or_b32 exec_lo, exec_lo, s26
	s_wait_dscnt 0x0
	s_barrier_signal -1
	s_barrier_wait -1
	s_barrier_signal -1
	s_barrier_wait -1
	s_and_saveexec_b32 s26, s13
; %bb.453:                              ;   in Loop: Header=BB1_3 Depth=1
	v_add_nc_u32_e64 v24, 0x2000, 0
	ds_store_2addr_b32 v24, v60, v60 offset0:32 offset1:97
; %bb.454:                              ;   in Loop: Header=BB1_3 Depth=1
	s_or_b32 exec_lo, exec_lo, s26
	v_mov_b32_e32 v24, 0
	s_wait_dscnt 0x0
	s_barrier_signal -1
	s_barrier_wait -1
	global_wb scope:SCOPE_DEV
	s_wait_storecnt 0x0
	global_inv scope:SCOPE_DEV
	s_and_saveexec_b32 s96, s6
	s_cbranch_execz .LBB1_516
; %bb.455:                              ;   in Loop: Header=BB1_3 Depth=1
	ds_load_b32 v24, v44 offset:8192
	ds_load_b32 v25, v48 offset:16256
	s_wait_dscnt 0x0
	v_fma_f32 v24, v24, v25, 0
	s_mov_b32 s26, exec_lo
	v_readlane_b32 s28, v73, 4
	s_and_b32 s28, s26, s28
	s_delay_alu instid0(SALU_CYCLE_1)
	s_mov_b32 exec_lo, s28
	s_cbranch_execz .LBB1_457
; %bb.456:                              ;   in Loop: Header=BB1_3 Depth=1
	ds_load_b32 v25, v44 offset:8448
	ds_load_b32 v27, v48 offset:16260
	s_wait_dscnt 0x0
	v_fmac_f32_e32 v24, v25, v27
.LBB1_457:                              ;   in Loop: Header=BB1_3 Depth=1
	s_or_b32 exec_lo, exec_lo, s26
	s_delay_alu instid0(SALU_CYCLE_1) | instskip(SKIP_2) | instid1(SALU_CYCLE_1)
	s_mov_b32 s26, exec_lo
	v_readlane_b32 s28, v73, 5
	s_and_b32 s28, s26, s28
	s_mov_b32 exec_lo, s28
	s_cbranch_execz .LBB1_459
; %bb.458:                              ;   in Loop: Header=BB1_3 Depth=1
	ds_load_b32 v25, v44 offset:8704
	ds_load_b32 v27, v48 offset:16264
	s_wait_dscnt 0x0
	v_fmac_f32_e32 v24, v25, v27
.LBB1_459:                              ;   in Loop: Header=BB1_3 Depth=1
	s_or_b32 exec_lo, exec_lo, s26
	s_delay_alu instid0(SALU_CYCLE_1) | instskip(SKIP_2) | instid1(SALU_CYCLE_1)
	s_mov_b32 s26, exec_lo
	v_readlane_b32 s28, v73, 6
	s_and_b32 s28, s26, s28
	;; [unrolled: 13-line block ×22, first 2 shown]
	s_mov_b32 exec_lo, s28
	s_cbranch_execz .LBB1_501
; %bb.500:                              ;   in Loop: Header=BB1_3 Depth=1
	ds_load_b32 v25, v44 offset:14080
	ds_load_b32 v27, v48 offset:16348
	s_wait_dscnt 0x0
	v_fmac_f32_e32 v24, v25, v27
.LBB1_501:                              ;   in Loop: Header=BB1_3 Depth=1
	s_or_b32 exec_lo, exec_lo, s26
	s_and_saveexec_b32 s26, s5
	s_cbranch_execz .LBB1_503
; %bb.502:                              ;   in Loop: Header=BB1_3 Depth=1
	ds_load_b32 v25, v44 offset:14336
	ds_load_b32 v27, v48 offset:16352
	s_wait_dscnt 0x0
	v_fmac_f32_e32 v24, v25, v27
.LBB1_503:                              ;   in Loop: Header=BB1_3 Depth=1
	s_or_b32 exec_lo, exec_lo, s26
	s_delay_alu instid0(SALU_CYCLE_1) | instskip(SKIP_2) | instid1(SALU_CYCLE_1)
	s_mov_b32 s26, exec_lo
	v_readlane_b32 s28, v74, 26
	s_and_b32 s28, s26, s28
	s_mov_b32 exec_lo, s28
	s_cbranch_execz .LBB1_505
; %bb.504:                              ;   in Loop: Header=BB1_3 Depth=1
	ds_load_b32 v25, v44 offset:14592
	ds_load_b32 v27, v48 offset:16356
	s_wait_dscnt 0x0
	v_fmac_f32_e32 v24, v25, v27
.LBB1_505:                              ;   in Loop: Header=BB1_3 Depth=1
	s_or_b32 exec_lo, exec_lo, s26
	s_delay_alu instid0(SALU_CYCLE_1) | instskip(SKIP_2) | instid1(SALU_CYCLE_1)
	s_mov_b32 s26, exec_lo
	v_readlane_b32 s28, v74, 28
	s_and_b32 s28, s26, s28
	s_mov_b32 exec_lo, s28
	s_cbranch_execz .LBB1_507
; %bb.506:                              ;   in Loop: Header=BB1_3 Depth=1
	ds_load_b32 v25, v44 offset:14848
	ds_load_b32 v27, v48 offset:16360
	s_wait_dscnt 0x0
	v_fmac_f32_e32 v24, v25, v27
.LBB1_507:                              ;   in Loop: Header=BB1_3 Depth=1
	s_or_b32 exec_lo, exec_lo, s26
	s_delay_alu instid0(SALU_CYCLE_1) | instskip(SKIP_2) | instid1(SALU_CYCLE_1)
	s_mov_b32 s26, exec_lo
	v_readlane_b32 s28, v74, 30
	s_and_b32 s28, s26, s28
	s_mov_b32 exec_lo, s28
	s_cbranch_execz .LBB1_509
; %bb.508:                              ;   in Loop: Header=BB1_3 Depth=1
	ds_load_b32 v25, v44 offset:15104
	ds_load_b32 v27, v48 offset:16364
	s_wait_dscnt 0x0
	v_fmac_f32_e32 v24, v25, v27
.LBB1_509:                              ;   in Loop: Header=BB1_3 Depth=1
	s_or_b32 exec_lo, exec_lo, s26
	s_delay_alu instid0(SALU_CYCLE_1) | instskip(SKIP_2) | instid1(SALU_CYCLE_1)
	s_mov_b32 s26, exec_lo
	v_readlane_b32 s28, v73, 0
	s_and_b32 s28, s26, s28
	s_mov_b32 exec_lo, s28
	s_cbranch_execz .LBB1_511
; %bb.510:                              ;   in Loop: Header=BB1_3 Depth=1
	ds_load_b32 v25, v44 offset:15360
	ds_load_b32 v27, v48 offset:16368
	s_wait_dscnt 0x0
	v_fmac_f32_e32 v24, v25, v27
.LBB1_511:                              ;   in Loop: Header=BB1_3 Depth=1
	s_or_b32 exec_lo, exec_lo, s26
	s_delay_alu instid0(SALU_CYCLE_1) | instskip(SKIP_2) | instid1(SALU_CYCLE_1)
	s_mov_b32 s26, exec_lo
	v_readlane_b32 s28, v73, 2
	s_and_b32 s28, s26, s28
	s_mov_b32 exec_lo, s28
	s_cbranch_execnz .LBB1_1137
; %bb.512:                              ;   in Loop: Header=BB1_3 Depth=1
	s_or_b32 exec_lo, exec_lo, s26
	s_and_saveexec_b32 s26, s4
	s_cbranch_execnz .LBB1_1138
.LBB1_513:                              ;   in Loop: Header=BB1_3 Depth=1
	s_or_b32 exec_lo, exec_lo, s26
	s_and_saveexec_b32 s26, s20
	s_cbranch_execz .LBB1_515
.LBB1_514:                              ;   in Loop: Header=BB1_3 Depth=1
	ds_load_b32 v25, v32 offset:16128
	ds_load_b32 v27, v7 offset:16380
	s_wait_dscnt 0x0
	v_fmac_f32_e32 v24, v25, v27
.LBB1_515:                              ;   in Loop: Header=BB1_3 Depth=1
	s_or_b32 exec_lo, exec_lo, s26
.LBB1_516:                              ;   in Loop: Header=BB1_3 Depth=1
	s_delay_alu instid0(SALU_CYCLE_1) | instskip(NEXT) | instid1(SALU_CYCLE_1)
	s_or_b32 exec_lo, exec_lo, s96
	s_mov_b32 s26, exec_lo
	v_readlane_b32 s28, v76, 14
	s_and_b32 s28, s26, s28
	s_delay_alu instid0(SALU_CYCLE_1)
	s_mov_b32 exec_lo, s28
; %bb.517:                              ;   in Loop: Header=BB1_3 Depth=1
	v_xor_b32_e32 v25, 0x80000000, v24
	ds_store_b32 v47, v25
; %bb.518:                              ;   in Loop: Header=BB1_3 Depth=1
	s_or_b32 exec_lo, exec_lo, s26
	s_wait_loadcnt_dscnt 0x0
	s_barrier_signal -1
	s_barrier_wait -1
	s_mov_b32 s26, exec_lo
	v_readlane_b32 s28, v76, 15
	s_and_b32 s28, s26, s28
	s_delay_alu instid0(SALU_CYCLE_1)
	s_mov_b32 exec_lo, s28
	s_cbranch_execz .LBB1_520
; %bb.519:                              ;   in Loop: Header=BB1_3 Depth=1
	ds_load_b32 v25, v44 offset:7936
	ds_load_b32 v27, v47
	s_wait_dscnt 0x0
	v_fma_f32 v24, -v25, v27, v24
.LBB1_520:                              ;   in Loop: Header=BB1_3 Depth=1
	s_or_b32 exec_lo, exec_lo, s26
	s_barrier_signal -1
	s_barrier_wait -1
	s_mov_b32 s26, exec_lo
	v_readlane_b32 s28, v76, 16
	s_and_b32 s28, s26, s28
	s_delay_alu instid0(SALU_CYCLE_1)
	s_mov_b32 exec_lo, s28
; %bb.521:                              ;   in Loop: Header=BB1_3 Depth=1
	v_xor_b32_e32 v25, 0x80000000, v24
	ds_store_b32 v47, v25
; %bb.522:                              ;   in Loop: Header=BB1_3 Depth=1
	s_or_b32 exec_lo, exec_lo, s26
	s_wait_dscnt 0x0
	s_barrier_signal -1
	s_barrier_wait -1
	s_mov_b32 s26, exec_lo
	v_readlane_b32 s28, v76, 17
	s_and_b32 s28, s26, s28
	s_delay_alu instid0(SALU_CYCLE_1)
	s_mov_b32 exec_lo, s28
	s_cbranch_execz .LBB1_524
; %bb.523:                              ;   in Loop: Header=BB1_3 Depth=1
	ds_load_b32 v25, v44 offset:7680
	ds_load_b32 v27, v47
	s_wait_dscnt 0x0
	v_fma_f32 v24, -v25, v27, v24
.LBB1_524:                              ;   in Loop: Header=BB1_3 Depth=1
	s_or_b32 exec_lo, exec_lo, s26
	s_barrier_signal -1
	s_barrier_wait -1
	s_mov_b32 s26, exec_lo
	v_readlane_b32 s28, v76, 18
	s_and_b32 s28, s26, s28
	s_delay_alu instid0(SALU_CYCLE_1)
	s_mov_b32 exec_lo, s28
; %bb.525:                              ;   in Loop: Header=BB1_3 Depth=1
	v_xor_b32_e32 v25, 0x80000000, v24
	ds_store_b32 v47, v25
; %bb.526:                              ;   in Loop: Header=BB1_3 Depth=1
	s_or_b32 exec_lo, exec_lo, s26
	s_wait_dscnt 0x0
	s_barrier_signal -1
	s_barrier_wait -1
	s_mov_b32 s26, exec_lo
	v_readlane_b32 s28, v76, 19
	s_and_b32 s28, s26, s28
	s_delay_alu instid0(SALU_CYCLE_1)
	s_mov_b32 exec_lo, s28
	s_cbranch_execz .LBB1_528
; %bb.527:                              ;   in Loop: Header=BB1_3 Depth=1
	ds_load_b32 v25, v44 offset:7424
	ds_load_b32 v27, v47
	s_wait_dscnt 0x0
	v_fma_f32 v24, -v25, v27, v24
.LBB1_528:                              ;   in Loop: Header=BB1_3 Depth=1
	s_or_b32 exec_lo, exec_lo, s26
	s_barrier_signal -1
	s_barrier_wait -1
	s_mov_b32 s26, exec_lo
	v_readlane_b32 s28, v76, 20
	s_and_b32 s28, s26, s28
	s_delay_alu instid0(SALU_CYCLE_1)
	s_mov_b32 exec_lo, s28
; %bb.529:                              ;   in Loop: Header=BB1_3 Depth=1
	v_xor_b32_e32 v25, 0x80000000, v24
	ds_store_b32 v47, v25
; %bb.530:                              ;   in Loop: Header=BB1_3 Depth=1
	s_or_b32 exec_lo, exec_lo, s26
	s_wait_dscnt 0x0
	s_barrier_signal -1
	s_barrier_wait -1
	s_mov_b32 s26, exec_lo
	v_readlane_b32 s28, v76, 21
	s_and_b32 s28, s26, s28
	s_delay_alu instid0(SALU_CYCLE_1)
	s_mov_b32 exec_lo, s28
	s_cbranch_execz .LBB1_532
; %bb.531:                              ;   in Loop: Header=BB1_3 Depth=1
	ds_load_b32 v25, v44 offset:7168
	ds_load_b32 v27, v47
	s_wait_dscnt 0x0
	v_fma_f32 v24, -v25, v27, v24
.LBB1_532:                              ;   in Loop: Header=BB1_3 Depth=1
	s_or_b32 exec_lo, exec_lo, s26
	s_barrier_signal -1
	s_barrier_wait -1
	s_mov_b32 s26, exec_lo
	v_readlane_b32 s28, v76, 22
	s_and_b32 s28, s26, s28
	s_delay_alu instid0(SALU_CYCLE_1)
	s_mov_b32 exec_lo, s28
; %bb.533:                              ;   in Loop: Header=BB1_3 Depth=1
	v_xor_b32_e32 v25, 0x80000000, v24
	ds_store_b32 v47, v25
; %bb.534:                              ;   in Loop: Header=BB1_3 Depth=1
	s_or_b32 exec_lo, exec_lo, s26
	s_wait_dscnt 0x0
	s_barrier_signal -1
	s_barrier_wait -1
	s_mov_b32 s26, exec_lo
	v_readlane_b32 s28, v76, 23
	s_and_b32 s28, s26, s28
	s_delay_alu instid0(SALU_CYCLE_1)
	s_mov_b32 exec_lo, s28
	s_cbranch_execz .LBB1_536
; %bb.535:                              ;   in Loop: Header=BB1_3 Depth=1
	ds_load_b32 v25, v44 offset:6912
	ds_load_b32 v27, v47
	s_wait_dscnt 0x0
	v_fma_f32 v24, -v25, v27, v24
.LBB1_536:                              ;   in Loop: Header=BB1_3 Depth=1
	s_or_b32 exec_lo, exec_lo, s26
	s_barrier_signal -1
	s_barrier_wait -1
	s_mov_b32 s26, exec_lo
	v_readlane_b32 s28, v76, 24
	s_and_b32 s28, s26, s28
	s_delay_alu instid0(SALU_CYCLE_1)
	s_mov_b32 exec_lo, s28
; %bb.537:                              ;   in Loop: Header=BB1_3 Depth=1
	v_xor_b32_e32 v25, 0x80000000, v24
	ds_store_b32 v47, v25
; %bb.538:                              ;   in Loop: Header=BB1_3 Depth=1
	s_or_b32 exec_lo, exec_lo, s26
	s_wait_dscnt 0x0
	s_barrier_signal -1
	s_barrier_wait -1
	s_mov_b32 s26, exec_lo
	v_readlane_b32 s28, v76, 25
	s_and_b32 s28, s26, s28
	s_delay_alu instid0(SALU_CYCLE_1)
	s_mov_b32 exec_lo, s28
	s_cbranch_execz .LBB1_540
; %bb.539:                              ;   in Loop: Header=BB1_3 Depth=1
	ds_load_b32 v25, v44 offset:6656
	ds_load_b32 v27, v47
	s_wait_dscnt 0x0
	v_fma_f32 v24, -v25, v27, v24
.LBB1_540:                              ;   in Loop: Header=BB1_3 Depth=1
	s_or_b32 exec_lo, exec_lo, s26
	s_barrier_signal -1
	s_barrier_wait -1
	s_mov_b32 s26, exec_lo
	v_readlane_b32 s28, v76, 26
	s_and_b32 s28, s26, s28
	s_delay_alu instid0(SALU_CYCLE_1)
	s_mov_b32 exec_lo, s28
; %bb.541:                              ;   in Loop: Header=BB1_3 Depth=1
	v_xor_b32_e32 v25, 0x80000000, v24
	ds_store_b32 v47, v25
; %bb.542:                              ;   in Loop: Header=BB1_3 Depth=1
	s_or_b32 exec_lo, exec_lo, s26
	s_wait_dscnt 0x0
	s_barrier_signal -1
	s_barrier_wait -1
	s_mov_b32 s26, exec_lo
	v_readlane_b32 s28, v76, 27
	s_and_b32 s28, s26, s28
	s_delay_alu instid0(SALU_CYCLE_1)
	s_mov_b32 exec_lo, s28
	s_cbranch_execz .LBB1_544
; %bb.543:                              ;   in Loop: Header=BB1_3 Depth=1
	ds_load_b32 v25, v44 offset:6400
	ds_load_b32 v27, v47
	s_wait_dscnt 0x0
	v_fma_f32 v24, -v25, v27, v24
.LBB1_544:                              ;   in Loop: Header=BB1_3 Depth=1
	s_or_b32 exec_lo, exec_lo, s26
	s_barrier_signal -1
	s_barrier_wait -1
	s_mov_b32 s26, exec_lo
	v_readlane_b32 s28, v76, 28
	s_and_b32 s28, s26, s28
	s_delay_alu instid0(SALU_CYCLE_1)
	s_mov_b32 exec_lo, s28
; %bb.545:                              ;   in Loop: Header=BB1_3 Depth=1
	v_xor_b32_e32 v25, 0x80000000, v24
	ds_store_b32 v47, v25
; %bb.546:                              ;   in Loop: Header=BB1_3 Depth=1
	s_or_b32 exec_lo, exec_lo, s26
	s_wait_dscnt 0x0
	s_barrier_signal -1
	s_barrier_wait -1
	s_mov_b32 s26, exec_lo
	v_readlane_b32 s28, v76, 29
	s_and_b32 s28, s26, s28
	s_delay_alu instid0(SALU_CYCLE_1)
	s_mov_b32 exec_lo, s28
	s_cbranch_execz .LBB1_548
; %bb.547:                              ;   in Loop: Header=BB1_3 Depth=1
	ds_load_b32 v25, v44 offset:6144
	ds_load_b32 v27, v47
	s_wait_dscnt 0x0
	v_fma_f32 v24, -v25, v27, v24
.LBB1_548:                              ;   in Loop: Header=BB1_3 Depth=1
	s_or_b32 exec_lo, exec_lo, s26
	s_barrier_signal -1
	s_barrier_wait -1
	s_mov_b32 s26, exec_lo
	v_readlane_b32 s28, v76, 30
	s_and_b32 s28, s26, s28
	s_delay_alu instid0(SALU_CYCLE_1)
	s_mov_b32 exec_lo, s28
; %bb.549:                              ;   in Loop: Header=BB1_3 Depth=1
	v_xor_b32_e32 v25, 0x80000000, v24
	ds_store_b32 v47, v25
; %bb.550:                              ;   in Loop: Header=BB1_3 Depth=1
	s_or_b32 exec_lo, exec_lo, s26
	s_wait_dscnt 0x0
	s_barrier_signal -1
	s_barrier_wait -1
	s_mov_b32 s26, exec_lo
	v_readlane_b32 s28, v76, 31
	s_and_b32 s28, s26, s28
	s_delay_alu instid0(SALU_CYCLE_1)
	s_mov_b32 exec_lo, s28
	s_cbranch_execz .LBB1_552
; %bb.551:                              ;   in Loop: Header=BB1_3 Depth=1
	ds_load_b32 v25, v44 offset:5888
	ds_load_b32 v27, v47
	s_wait_dscnt 0x0
	v_fma_f32 v24, -v25, v27, v24
.LBB1_552:                              ;   in Loop: Header=BB1_3 Depth=1
	s_or_b32 exec_lo, exec_lo, s26
	s_barrier_signal -1
	s_barrier_wait -1
	s_mov_b32 s26, exec_lo
	v_readlane_b32 s28, v75, 0
	s_and_b32 s28, s26, s28
	s_delay_alu instid0(SALU_CYCLE_1)
	s_mov_b32 exec_lo, s28
; %bb.553:                              ;   in Loop: Header=BB1_3 Depth=1
	v_xor_b32_e32 v25, 0x80000000, v24
	ds_store_b32 v47, v25
; %bb.554:                              ;   in Loop: Header=BB1_3 Depth=1
	s_or_b32 exec_lo, exec_lo, s26
	s_wait_dscnt 0x0
	s_barrier_signal -1
	s_barrier_wait -1
	s_mov_b32 s26, exec_lo
	v_readlane_b32 s28, v75, 1
	s_and_b32 s28, s26, s28
	s_delay_alu instid0(SALU_CYCLE_1)
	s_mov_b32 exec_lo, s28
	s_cbranch_execz .LBB1_556
; %bb.555:                              ;   in Loop: Header=BB1_3 Depth=1
	ds_load_b32 v25, v44 offset:5632
	ds_load_b32 v27, v47
	s_wait_dscnt 0x0
	v_fma_f32 v24, -v25, v27, v24
.LBB1_556:                              ;   in Loop: Header=BB1_3 Depth=1
	s_or_b32 exec_lo, exec_lo, s26
	s_barrier_signal -1
	s_barrier_wait -1
	s_mov_b32 s26, exec_lo
	v_readlane_b32 s28, v75, 2
	s_and_b32 s28, s26, s28
	s_delay_alu instid0(SALU_CYCLE_1)
	s_mov_b32 exec_lo, s28
; %bb.557:                              ;   in Loop: Header=BB1_3 Depth=1
	v_xor_b32_e32 v25, 0x80000000, v24
	ds_store_b32 v47, v25
; %bb.558:                              ;   in Loop: Header=BB1_3 Depth=1
	s_or_b32 exec_lo, exec_lo, s26
	s_wait_dscnt 0x0
	s_barrier_signal -1
	s_barrier_wait -1
	s_mov_b32 s26, exec_lo
	v_readlane_b32 s28, v75, 3
	s_and_b32 s28, s26, s28
	s_delay_alu instid0(SALU_CYCLE_1)
	s_mov_b32 exec_lo, s28
	s_cbranch_execz .LBB1_560
; %bb.559:                              ;   in Loop: Header=BB1_3 Depth=1
	ds_load_b32 v25, v44 offset:5376
	ds_load_b32 v27, v47
	s_wait_dscnt 0x0
	v_fma_f32 v24, -v25, v27, v24
.LBB1_560:                              ;   in Loop: Header=BB1_3 Depth=1
	s_or_b32 exec_lo, exec_lo, s26
	s_barrier_signal -1
	s_barrier_wait -1
	s_mov_b32 s26, exec_lo
	v_readlane_b32 s28, v75, 4
	s_and_b32 s28, s26, s28
	s_delay_alu instid0(SALU_CYCLE_1)
	s_mov_b32 exec_lo, s28
; %bb.561:                              ;   in Loop: Header=BB1_3 Depth=1
	v_xor_b32_e32 v25, 0x80000000, v24
	ds_store_b32 v47, v25
; %bb.562:                              ;   in Loop: Header=BB1_3 Depth=1
	s_or_b32 exec_lo, exec_lo, s26
	s_wait_dscnt 0x0
	s_barrier_signal -1
	s_barrier_wait -1
	s_mov_b32 s26, exec_lo
	v_readlane_b32 s28, v75, 5
	s_and_b32 s28, s26, s28
	s_delay_alu instid0(SALU_CYCLE_1)
	s_mov_b32 exec_lo, s28
	s_cbranch_execz .LBB1_564
; %bb.563:                              ;   in Loop: Header=BB1_3 Depth=1
	ds_load_b32 v25, v44 offset:5120
	ds_load_b32 v27, v47
	s_wait_dscnt 0x0
	v_fma_f32 v24, -v25, v27, v24
.LBB1_564:                              ;   in Loop: Header=BB1_3 Depth=1
	s_or_b32 exec_lo, exec_lo, s26
	s_barrier_signal -1
	s_barrier_wait -1
	s_mov_b32 s26, exec_lo
	v_readlane_b32 s28, v75, 6
	s_and_b32 s28, s26, s28
	s_delay_alu instid0(SALU_CYCLE_1)
	s_mov_b32 exec_lo, s28
; %bb.565:                              ;   in Loop: Header=BB1_3 Depth=1
	v_xor_b32_e32 v25, 0x80000000, v24
	ds_store_b32 v47, v25
; %bb.566:                              ;   in Loop: Header=BB1_3 Depth=1
	s_or_b32 exec_lo, exec_lo, s26
	s_wait_dscnt 0x0
	s_barrier_signal -1
	s_barrier_wait -1
	s_mov_b32 s26, exec_lo
	v_readlane_b32 s28, v75, 7
	s_and_b32 s28, s26, s28
	s_delay_alu instid0(SALU_CYCLE_1)
	s_mov_b32 exec_lo, s28
	s_cbranch_execz .LBB1_568
; %bb.567:                              ;   in Loop: Header=BB1_3 Depth=1
	ds_load_b32 v25, v44 offset:4864
	ds_load_b32 v27, v47
	s_wait_dscnt 0x0
	v_fma_f32 v24, -v25, v27, v24
.LBB1_568:                              ;   in Loop: Header=BB1_3 Depth=1
	s_or_b32 exec_lo, exec_lo, s26
	s_barrier_signal -1
	s_barrier_wait -1
	s_mov_b32 s26, exec_lo
	v_readlane_b32 s28, v75, 8
	s_and_b32 s28, s26, s28
	s_delay_alu instid0(SALU_CYCLE_1)
	s_mov_b32 exec_lo, s28
; %bb.569:                              ;   in Loop: Header=BB1_3 Depth=1
	v_xor_b32_e32 v25, 0x80000000, v24
	ds_store_b32 v47, v25
; %bb.570:                              ;   in Loop: Header=BB1_3 Depth=1
	s_or_b32 exec_lo, exec_lo, s26
	s_wait_dscnt 0x0
	s_barrier_signal -1
	s_barrier_wait -1
	s_mov_b32 s26, exec_lo
	v_readlane_b32 s28, v75, 9
	s_and_b32 s28, s26, s28
	s_delay_alu instid0(SALU_CYCLE_1)
	s_mov_b32 exec_lo, s28
	s_cbranch_execz .LBB1_572
; %bb.571:                              ;   in Loop: Header=BB1_3 Depth=1
	ds_load_b32 v25, v44 offset:4608
	ds_load_b32 v27, v47
	s_wait_dscnt 0x0
	v_fma_f32 v24, -v25, v27, v24
.LBB1_572:                              ;   in Loop: Header=BB1_3 Depth=1
	s_or_b32 exec_lo, exec_lo, s26
	s_barrier_signal -1
	s_barrier_wait -1
	s_mov_b32 s26, exec_lo
	v_readlane_b32 s28, v75, 10
	s_and_b32 s28, s26, s28
	s_delay_alu instid0(SALU_CYCLE_1)
	s_mov_b32 exec_lo, s28
; %bb.573:                              ;   in Loop: Header=BB1_3 Depth=1
	v_xor_b32_e32 v25, 0x80000000, v24
	ds_store_b32 v47, v25
; %bb.574:                              ;   in Loop: Header=BB1_3 Depth=1
	s_or_b32 exec_lo, exec_lo, s26
	s_wait_dscnt 0x0
	s_barrier_signal -1
	s_barrier_wait -1
	s_mov_b32 s26, exec_lo
	v_readlane_b32 s28, v75, 11
	s_and_b32 s28, s26, s28
	s_delay_alu instid0(SALU_CYCLE_1)
	s_mov_b32 exec_lo, s28
	s_cbranch_execz .LBB1_576
; %bb.575:                              ;   in Loop: Header=BB1_3 Depth=1
	ds_load_b32 v25, v44 offset:4352
	ds_load_b32 v27, v47
	s_wait_dscnt 0x0
	v_fma_f32 v24, -v25, v27, v24
.LBB1_576:                              ;   in Loop: Header=BB1_3 Depth=1
	s_or_b32 exec_lo, exec_lo, s26
	s_barrier_signal -1
	s_barrier_wait -1
	s_mov_b32 s26, exec_lo
	v_readlane_b32 s28, v75, 12
	s_and_b32 s28, s26, s28
	s_delay_alu instid0(SALU_CYCLE_1)
	s_mov_b32 exec_lo, s28
; %bb.577:                              ;   in Loop: Header=BB1_3 Depth=1
	v_xor_b32_e32 v25, 0x80000000, v24
	ds_store_b32 v47, v25
; %bb.578:                              ;   in Loop: Header=BB1_3 Depth=1
	s_or_b32 exec_lo, exec_lo, s26
	s_wait_dscnt 0x0
	s_barrier_signal -1
	s_barrier_wait -1
	s_mov_b32 s26, exec_lo
	v_readlane_b32 s28, v75, 13
	s_and_b32 s28, s26, s28
	s_delay_alu instid0(SALU_CYCLE_1)
	s_mov_b32 exec_lo, s28
	s_cbranch_execz .LBB1_580
; %bb.579:                              ;   in Loop: Header=BB1_3 Depth=1
	ds_load_b32 v25, v44 offset:4096
	ds_load_b32 v27, v47
	s_wait_dscnt 0x0
	v_fma_f32 v24, -v25, v27, v24
.LBB1_580:                              ;   in Loop: Header=BB1_3 Depth=1
	s_or_b32 exec_lo, exec_lo, s26
	s_barrier_signal -1
	s_barrier_wait -1
	s_mov_b32 s26, exec_lo
	v_readlane_b32 s28, v75, 14
	s_and_b32 s28, s26, s28
	s_delay_alu instid0(SALU_CYCLE_1)
	s_mov_b32 exec_lo, s28
; %bb.581:                              ;   in Loop: Header=BB1_3 Depth=1
	v_xor_b32_e32 v25, 0x80000000, v24
	ds_store_b32 v47, v25
; %bb.582:                              ;   in Loop: Header=BB1_3 Depth=1
	s_or_b32 exec_lo, exec_lo, s26
	s_wait_dscnt 0x0
	s_barrier_signal -1
	s_barrier_wait -1
	s_mov_b32 s26, exec_lo
	v_readlane_b32 s28, v75, 15
	s_and_b32 s28, s26, s28
	s_delay_alu instid0(SALU_CYCLE_1)
	s_mov_b32 exec_lo, s28
	s_cbranch_execz .LBB1_584
; %bb.583:                              ;   in Loop: Header=BB1_3 Depth=1
	ds_load_b32 v25, v44 offset:3840
	ds_load_b32 v27, v47
	s_wait_dscnt 0x0
	v_fma_f32 v24, -v25, v27, v24
.LBB1_584:                              ;   in Loop: Header=BB1_3 Depth=1
	s_or_b32 exec_lo, exec_lo, s26
	s_barrier_signal -1
	s_barrier_wait -1
	s_mov_b32 s26, exec_lo
	v_readlane_b32 s28, v75, 16
	s_and_b32 s28, s26, s28
	s_delay_alu instid0(SALU_CYCLE_1)
	s_mov_b32 exec_lo, s28
; %bb.585:                              ;   in Loop: Header=BB1_3 Depth=1
	v_xor_b32_e32 v25, 0x80000000, v24
	ds_store_b32 v47, v25
; %bb.586:                              ;   in Loop: Header=BB1_3 Depth=1
	s_or_b32 exec_lo, exec_lo, s26
	s_wait_dscnt 0x0
	s_barrier_signal -1
	s_barrier_wait -1
	s_mov_b32 s26, exec_lo
	v_readlane_b32 s28, v75, 17
	s_and_b32 s28, s26, s28
	s_delay_alu instid0(SALU_CYCLE_1)
	s_mov_b32 exec_lo, s28
	s_cbranch_execz .LBB1_588
; %bb.587:                              ;   in Loop: Header=BB1_3 Depth=1
	ds_load_b32 v25, v44 offset:3584
	ds_load_b32 v27, v47
	s_wait_dscnt 0x0
	v_fma_f32 v24, -v25, v27, v24
.LBB1_588:                              ;   in Loop: Header=BB1_3 Depth=1
	s_or_b32 exec_lo, exec_lo, s26
	s_barrier_signal -1
	s_barrier_wait -1
	s_mov_b32 s26, exec_lo
	v_readlane_b32 s28, v75, 18
	s_and_b32 s28, s26, s28
	s_delay_alu instid0(SALU_CYCLE_1)
	s_mov_b32 exec_lo, s28
; %bb.589:                              ;   in Loop: Header=BB1_3 Depth=1
	v_xor_b32_e32 v25, 0x80000000, v24
	ds_store_b32 v47, v25
; %bb.590:                              ;   in Loop: Header=BB1_3 Depth=1
	s_or_b32 exec_lo, exec_lo, s26
	s_wait_dscnt 0x0
	s_barrier_signal -1
	s_barrier_wait -1
	s_mov_b32 s26, exec_lo
	v_readlane_b32 s28, v75, 19
	s_and_b32 s28, s26, s28
	s_delay_alu instid0(SALU_CYCLE_1)
	s_mov_b32 exec_lo, s28
	s_cbranch_execz .LBB1_592
; %bb.591:                              ;   in Loop: Header=BB1_3 Depth=1
	ds_load_b32 v25, v44 offset:3328
	ds_load_b32 v27, v47
	s_wait_dscnt 0x0
	v_fma_f32 v24, -v25, v27, v24
.LBB1_592:                              ;   in Loop: Header=BB1_3 Depth=1
	s_or_b32 exec_lo, exec_lo, s26
	s_barrier_signal -1
	s_barrier_wait -1
	s_mov_b32 s26, exec_lo
	v_readlane_b32 s28, v75, 20
	s_and_b32 s28, s26, s28
	s_delay_alu instid0(SALU_CYCLE_1)
	s_mov_b32 exec_lo, s28
; %bb.593:                              ;   in Loop: Header=BB1_3 Depth=1
	v_xor_b32_e32 v25, 0x80000000, v24
	ds_store_b32 v47, v25
; %bb.594:                              ;   in Loop: Header=BB1_3 Depth=1
	s_or_b32 exec_lo, exec_lo, s26
	s_wait_dscnt 0x0
	s_barrier_signal -1
	s_barrier_wait -1
	s_mov_b32 s26, exec_lo
	v_readlane_b32 s28, v75, 21
	s_and_b32 s28, s26, s28
	s_delay_alu instid0(SALU_CYCLE_1)
	s_mov_b32 exec_lo, s28
	s_cbranch_execz .LBB1_596
; %bb.595:                              ;   in Loop: Header=BB1_3 Depth=1
	ds_load_b32 v25, v44 offset:3072
	ds_load_b32 v27, v47
	s_wait_dscnt 0x0
	v_fma_f32 v24, -v25, v27, v24
.LBB1_596:                              ;   in Loop: Header=BB1_3 Depth=1
	s_or_b32 exec_lo, exec_lo, s26
	s_barrier_signal -1
	s_barrier_wait -1
	s_mov_b32 s26, exec_lo
	v_readlane_b32 s28, v75, 22
	s_and_b32 s28, s26, s28
	s_delay_alu instid0(SALU_CYCLE_1)
	s_mov_b32 exec_lo, s28
; %bb.597:                              ;   in Loop: Header=BB1_3 Depth=1
	v_xor_b32_e32 v25, 0x80000000, v24
	ds_store_b32 v47, v25
; %bb.598:                              ;   in Loop: Header=BB1_3 Depth=1
	s_or_b32 exec_lo, exec_lo, s26
	s_wait_dscnt 0x0
	s_barrier_signal -1
	s_barrier_wait -1
	s_mov_b32 s26, exec_lo
	v_readlane_b32 s28, v75, 23
	s_and_b32 s28, s26, s28
	s_delay_alu instid0(SALU_CYCLE_1)
	s_mov_b32 exec_lo, s28
	s_cbranch_execz .LBB1_600
; %bb.599:                              ;   in Loop: Header=BB1_3 Depth=1
	ds_load_b32 v25, v44 offset:2816
	ds_load_b32 v27, v47
	s_wait_dscnt 0x0
	v_fma_f32 v24, -v25, v27, v24
.LBB1_600:                              ;   in Loop: Header=BB1_3 Depth=1
	s_or_b32 exec_lo, exec_lo, s26
	s_barrier_signal -1
	s_barrier_wait -1
	s_mov_b32 s26, exec_lo
	v_readlane_b32 s28, v75, 24
	s_and_b32 s28, s26, s28
	s_delay_alu instid0(SALU_CYCLE_1)
	s_mov_b32 exec_lo, s28
; %bb.601:                              ;   in Loop: Header=BB1_3 Depth=1
	v_xor_b32_e32 v25, 0x80000000, v24
	ds_store_b32 v47, v25
; %bb.602:                              ;   in Loop: Header=BB1_3 Depth=1
	s_or_b32 exec_lo, exec_lo, s26
	s_wait_dscnt 0x0
	s_barrier_signal -1
	s_barrier_wait -1
	s_mov_b32 s26, exec_lo
	v_readlane_b32 s28, v75, 25
	s_and_b32 s28, s26, s28
	s_delay_alu instid0(SALU_CYCLE_1)
	s_mov_b32 exec_lo, s28
	s_cbranch_execz .LBB1_604
; %bb.603:                              ;   in Loop: Header=BB1_3 Depth=1
	ds_load_b32 v25, v44 offset:2560
	ds_load_b32 v27, v47
	s_wait_dscnt 0x0
	v_fma_f32 v24, -v25, v27, v24
.LBB1_604:                              ;   in Loop: Header=BB1_3 Depth=1
	s_or_b32 exec_lo, exec_lo, s26
	s_barrier_signal -1
	s_barrier_wait -1
	s_mov_b32 s26, exec_lo
	v_readlane_b32 s28, v75, 26
	s_and_b32 s28, s26, s28
	s_delay_alu instid0(SALU_CYCLE_1)
	s_mov_b32 exec_lo, s28
; %bb.605:                              ;   in Loop: Header=BB1_3 Depth=1
	v_xor_b32_e32 v25, 0x80000000, v24
	ds_store_b32 v47, v25
; %bb.606:                              ;   in Loop: Header=BB1_3 Depth=1
	s_or_b32 exec_lo, exec_lo, s26
	s_wait_dscnt 0x0
	s_barrier_signal -1
	s_barrier_wait -1
	s_mov_b32 s26, exec_lo
	v_readlane_b32 s28, v75, 27
	s_and_b32 s28, s26, s28
	s_delay_alu instid0(SALU_CYCLE_1)
	s_mov_b32 exec_lo, s28
	s_cbranch_execz .LBB1_608
; %bb.607:                              ;   in Loop: Header=BB1_3 Depth=1
	ds_load_b32 v25, v44 offset:2304
	ds_load_b32 v27, v47
	s_wait_dscnt 0x0
	v_fma_f32 v24, -v25, v27, v24
.LBB1_608:                              ;   in Loop: Header=BB1_3 Depth=1
	s_or_b32 exec_lo, exec_lo, s26
	s_barrier_signal -1
	s_barrier_wait -1
	s_mov_b32 s26, exec_lo
	v_readlane_b32 s28, v75, 28
	s_and_b32 s28, s26, s28
	s_delay_alu instid0(SALU_CYCLE_1)
	s_mov_b32 exec_lo, s28
; %bb.609:                              ;   in Loop: Header=BB1_3 Depth=1
	v_xor_b32_e32 v25, 0x80000000, v24
	ds_store_b32 v47, v25
; %bb.610:                              ;   in Loop: Header=BB1_3 Depth=1
	s_or_b32 exec_lo, exec_lo, s26
	s_wait_dscnt 0x0
	s_barrier_signal -1
	s_barrier_wait -1
	s_mov_b32 s26, exec_lo
	v_readlane_b32 s28, v75, 29
	s_and_b32 s28, s26, s28
	s_delay_alu instid0(SALU_CYCLE_1)
	s_mov_b32 exec_lo, s28
	s_cbranch_execz .LBB1_612
; %bb.611:                              ;   in Loop: Header=BB1_3 Depth=1
	ds_load_b32 v25, v44 offset:2048
	ds_load_b32 v27, v47
	s_wait_dscnt 0x0
	v_fma_f32 v24, -v25, v27, v24
.LBB1_612:                              ;   in Loop: Header=BB1_3 Depth=1
	s_or_b32 exec_lo, exec_lo, s26
	s_barrier_signal -1
	s_barrier_wait -1
	s_mov_b32 s26, exec_lo
	v_readlane_b32 s28, v75, 30
	s_and_b32 s28, s26, s28
	s_delay_alu instid0(SALU_CYCLE_1)
	s_mov_b32 exec_lo, s28
; %bb.613:                              ;   in Loop: Header=BB1_3 Depth=1
	v_xor_b32_e32 v25, 0x80000000, v24
	ds_store_b32 v47, v25
; %bb.614:                              ;   in Loop: Header=BB1_3 Depth=1
	s_or_b32 exec_lo, exec_lo, s26
	s_wait_dscnt 0x0
	s_barrier_signal -1
	s_barrier_wait -1
	s_mov_b32 s26, exec_lo
	v_readlane_b32 s28, v75, 31
	s_and_b32 s28, s26, s28
	s_delay_alu instid0(SALU_CYCLE_1)
	s_mov_b32 exec_lo, s28
	s_cbranch_execz .LBB1_616
; %bb.615:                              ;   in Loop: Header=BB1_3 Depth=1
	ds_load_b32 v25, v44 offset:1792
	ds_load_b32 v27, v47
	s_wait_dscnt 0x0
	v_fma_f32 v24, -v25, v27, v24
.LBB1_616:                              ;   in Loop: Header=BB1_3 Depth=1
	s_or_b32 exec_lo, exec_lo, s26
	s_barrier_signal -1
	s_barrier_wait -1
	s_mov_b32 s26, exec_lo
	v_readlane_b32 s28, v74, 0
	s_and_b32 s28, s26, s28
	s_delay_alu instid0(SALU_CYCLE_1)
	s_mov_b32 exec_lo, s28
; %bb.617:                              ;   in Loop: Header=BB1_3 Depth=1
	v_xor_b32_e32 v25, 0x80000000, v24
	ds_store_b32 v47, v25
; %bb.618:                              ;   in Loop: Header=BB1_3 Depth=1
	s_or_b32 exec_lo, exec_lo, s26
	s_wait_dscnt 0x0
	s_barrier_signal -1
	s_barrier_wait -1
	s_mov_b32 s26, exec_lo
	v_readlane_b32 s28, v74, 1
	s_and_b32 s28, s26, s28
	s_delay_alu instid0(SALU_CYCLE_1)
	s_mov_b32 exec_lo, s28
	s_cbranch_execz .LBB1_620
; %bb.619:                              ;   in Loop: Header=BB1_3 Depth=1
	ds_load_b32 v25, v44 offset:1536
	ds_load_b32 v27, v47
	s_wait_dscnt 0x0
	v_fma_f32 v24, -v25, v27, v24
.LBB1_620:                              ;   in Loop: Header=BB1_3 Depth=1
	s_or_b32 exec_lo, exec_lo, s26
	s_barrier_signal -1
	s_barrier_wait -1
	s_mov_b32 s26, exec_lo
	v_readlane_b32 s28, v74, 2
	s_and_b32 s28, s26, s28
	s_delay_alu instid0(SALU_CYCLE_1)
	s_mov_b32 exec_lo, s28
; %bb.621:                              ;   in Loop: Header=BB1_3 Depth=1
	v_xor_b32_e32 v25, 0x80000000, v24
	ds_store_b32 v47, v25
; %bb.622:                              ;   in Loop: Header=BB1_3 Depth=1
	s_or_b32 exec_lo, exec_lo, s26
	s_wait_dscnt 0x0
	s_barrier_signal -1
	s_barrier_wait -1
	s_mov_b32 s26, exec_lo
	v_readlane_b32 s28, v74, 3
	s_and_b32 s28, s26, s28
	s_delay_alu instid0(SALU_CYCLE_1)
	s_mov_b32 exec_lo, s28
	s_cbranch_execz .LBB1_624
; %bb.623:                              ;   in Loop: Header=BB1_3 Depth=1
	ds_load_b32 v25, v44 offset:1280
	ds_load_b32 v27, v47
	s_wait_dscnt 0x0
	v_fma_f32 v24, -v25, v27, v24
.LBB1_624:                              ;   in Loop: Header=BB1_3 Depth=1
	s_or_b32 exec_lo, exec_lo, s26
	s_barrier_signal -1
	s_barrier_wait -1
	s_mov_b32 s26, exec_lo
	v_readlane_b32 s28, v74, 4
	s_and_b32 s28, s26, s28
	s_delay_alu instid0(SALU_CYCLE_1)
	s_mov_b32 exec_lo, s28
; %bb.625:                              ;   in Loop: Header=BB1_3 Depth=1
	v_xor_b32_e32 v25, 0x80000000, v24
	ds_store_b32 v47, v25
; %bb.626:                              ;   in Loop: Header=BB1_3 Depth=1
	s_or_b32 exec_lo, exec_lo, s26
	s_wait_dscnt 0x0
	s_barrier_signal -1
	s_barrier_wait -1
	s_mov_b32 s26, exec_lo
	v_readlane_b32 s28, v74, 5
	s_and_b32 s28, s26, s28
	s_delay_alu instid0(SALU_CYCLE_1)
	s_mov_b32 exec_lo, s28
	s_cbranch_execz .LBB1_628
; %bb.627:                              ;   in Loop: Header=BB1_3 Depth=1
	ds_load_b32 v25, v44 offset:1024
	ds_load_b32 v27, v47
	s_wait_dscnt 0x0
	v_fma_f32 v24, -v25, v27, v24
.LBB1_628:                              ;   in Loop: Header=BB1_3 Depth=1
	s_or_b32 exec_lo, exec_lo, s26
	s_barrier_signal -1
	s_barrier_wait -1
	s_mov_b32 s26, exec_lo
	v_readlane_b32 s28, v74, 6
	s_and_b32 s28, s26, s28
	s_delay_alu instid0(SALU_CYCLE_1)
	s_mov_b32 exec_lo, s28
; %bb.629:                              ;   in Loop: Header=BB1_3 Depth=1
	v_xor_b32_e32 v25, 0x80000000, v24
	ds_store_b32 v47, v25
; %bb.630:                              ;   in Loop: Header=BB1_3 Depth=1
	s_or_b32 exec_lo, exec_lo, s26
	s_wait_dscnt 0x0
	s_barrier_signal -1
	s_barrier_wait -1
	s_mov_b32 s26, exec_lo
	v_readlane_b32 s28, v74, 7
	s_and_b32 s28, s26, s28
	s_delay_alu instid0(SALU_CYCLE_1)
	s_mov_b32 exec_lo, s28
	s_cbranch_execz .LBB1_632
; %bb.631:                              ;   in Loop: Header=BB1_3 Depth=1
	ds_load_b32 v25, v44 offset:768
	ds_load_b32 v27, v47
	s_wait_dscnt 0x0
	v_fma_f32 v24, -v25, v27, v24
.LBB1_632:                              ;   in Loop: Header=BB1_3 Depth=1
	s_or_b32 exec_lo, exec_lo, s26
	s_barrier_signal -1
	s_barrier_wait -1
	s_mov_b32 s26, exec_lo
	v_readlane_b32 s28, v74, 8
	s_and_b32 s28, s26, s28
	s_delay_alu instid0(SALU_CYCLE_1)
	s_mov_b32 exec_lo, s28
; %bb.633:                              ;   in Loop: Header=BB1_3 Depth=1
	v_xor_b32_e32 v25, 0x80000000, v24
	ds_store_b32 v47, v25
; %bb.634:                              ;   in Loop: Header=BB1_3 Depth=1
	s_or_b32 exec_lo, exec_lo, s26
	s_wait_dscnt 0x0
	s_barrier_signal -1
	s_barrier_wait -1
	s_mov_b32 s26, exec_lo
	v_readlane_b32 s28, v74, 9
	s_and_b32 s28, s26, s28
	s_delay_alu instid0(SALU_CYCLE_1)
	s_mov_b32 exec_lo, s28
	s_cbranch_execz .LBB1_636
; %bb.635:                              ;   in Loop: Header=BB1_3 Depth=1
	ds_load_b32 v25, v44 offset:512
	ds_load_b32 v27, v47
	s_wait_dscnt 0x0
	v_fma_f32 v24, -v25, v27, v24
.LBB1_636:                              ;   in Loop: Header=BB1_3 Depth=1
	s_or_b32 exec_lo, exec_lo, s26
	s_barrier_signal -1
	s_barrier_wait -1
	s_mov_b32 s26, exec_lo
	v_readlane_b32 s28, v74, 10
	s_and_b32 s28, s26, s28
	s_delay_alu instid0(SALU_CYCLE_1)
	s_mov_b32 exec_lo, s28
; %bb.637:                              ;   in Loop: Header=BB1_3 Depth=1
	v_xor_b32_e32 v25, 0x80000000, v24
	ds_store_b32 v47, v25
; %bb.638:                              ;   in Loop: Header=BB1_3 Depth=1
	s_or_b32 exec_lo, exec_lo, s26
	s_wait_dscnt 0x0
	s_barrier_signal -1
	s_barrier_wait -1
	s_and_saveexec_b32 s26, s10
	s_cbranch_execz .LBB1_640
; %bb.639:                              ;   in Loop: Header=BB1_3 Depth=1
	ds_load_b32 v25, v7 offset:256
	ds_load_b32 v27, v47
	s_wait_dscnt 0x0
	v_fma_f32 v24, -v25, v27, v24
.LBB1_640:                              ;   in Loop: Header=BB1_3 Depth=1
	s_or_b32 exec_lo, exec_lo, s26
	s_barrier_signal -1
	s_barrier_wait -1
	s_and_saveexec_b32 s26, s10
; %bb.641:                              ;   in Loop: Header=BB1_3 Depth=1
	v_xor_b32_e32 v25, 0x80000000, v24
	ds_store_b32 v47, v25
; %bb.642:                              ;   in Loop: Header=BB1_3 Depth=1
	s_or_b32 exec_lo, exec_lo, s26
	s_wait_dscnt 0x0
	s_barrier_signal -1
	s_barrier_wait -1
	s_barrier_signal -1
	s_barrier_wait -1
	s_and_saveexec_b32 s26, s6
; %bb.643:                              ;   in Loop: Header=BB1_3 Depth=1
	ds_store_b32 v49, v24 offset:16128
; %bb.644:                              ;   in Loop: Header=BB1_3 Depth=1
	s_or_b32 exec_lo, exec_lo, s26
	s_wait_dscnt 0x0
	s_barrier_signal -1
	s_barrier_wait -1
	s_barrier_signal -1
	s_barrier_wait -1
	s_and_saveexec_b32 s26, s13
; %bb.645:                              ;   in Loop: Header=BB1_3 Depth=1
	v_add_nc_u32_e64 v24, 0x1c00, 0
	ds_store_2addr_b32 v24, v60, v60 offset0:158 offset1:223
; %bb.646:                              ;   in Loop: Header=BB1_3 Depth=1
	s_or_b32 exec_lo, exec_lo, s26
	v_mov_b32_e32 v24, 0
	s_wait_dscnt 0x0
	s_barrier_signal -1
	s_barrier_wait -1
	global_wb scope:SCOPE_DEV
	s_wait_storecnt 0x0
	global_inv scope:SCOPE_DEV
	s_and_saveexec_b32 s26, s2
	s_cbranch_execz .LBB1_650
; %bb.647:                              ;   in Loop: Header=BB1_3 Depth=1
	ds_load_b32 v24, v31 offset:7792
	ds_load_b32 v25, v30 offset:8056
	s_wait_dscnt 0x0
	v_fma_f32 v24, v24, v25, 0
	s_and_saveexec_b32 s28, s14
	s_cbranch_execz .LBB1_649
; %bb.648:                              ;   in Loop: Header=BB1_3 Depth=1
	ds_load_b32 v25, v32 offset:8048
	ds_load_b32 v27, v7 offset:8060
	s_wait_dscnt 0x0
	v_fmac_f32_e32 v24, v25, v27
.LBB1_649:                              ;   in Loop: Header=BB1_3 Depth=1
	s_or_b32 exec_lo, exec_lo, s28
.LBB1_650:                              ;   in Loop: Header=BB1_3 Depth=1
	s_delay_alu instid0(SALU_CYCLE_1)
	s_or_b32 exec_lo, exec_lo, s26
	s_and_saveexec_b32 s26, s103
; %bb.651:                              ;   in Loop: Header=BB1_3 Depth=1
	s_delay_alu instid0(VALU_DEP_1)
	v_xor_b32_e32 v25, 0x80000000, v24
	ds_store_b32 v5, v25
; %bb.652:                              ;   in Loop: Header=BB1_3 Depth=1
	s_or_b32 exec_lo, exec_lo, s26
	s_wait_loadcnt_dscnt 0x0
	s_barrier_signal -1
	s_barrier_wait -1
	s_and_saveexec_b32 s26, s104
	s_cbranch_execz .LBB1_654
; %bb.653:                              ;   in Loop: Header=BB1_3 Depth=1
	ds_load_b32 v25, v7 offset:7536
	ds_load_b32 v27, v5
	s_wait_dscnt 0x0
	v_fma_f32 v24, -v25, v27, v24
.LBB1_654:                              ;   in Loop: Header=BB1_3 Depth=1
	s_or_b32 exec_lo, exec_lo, s26
	s_barrier_signal -1
	s_barrier_wait -1
	s_and_saveexec_b32 s26, s104
; %bb.655:                              ;   in Loop: Header=BB1_3 Depth=1
	v_xor_b32_e32 v25, 0x80000000, v24
	ds_store_b32 v5, v25
; %bb.656:                              ;   in Loop: Header=BB1_3 Depth=1
	s_or_b32 exec_lo, exec_lo, s26
	s_wait_dscnt 0x0
	s_barrier_signal -1
	s_barrier_wait -1
	s_barrier_signal -1
	s_barrier_wait -1
	s_and_saveexec_b32 s26, s2
; %bb.657:                              ;   in Loop: Header=BB1_3 Depth=1
	ds_store_b32 v34, v24 offset:8048
; %bb.658:                              ;   in Loop: Header=BB1_3 Depth=1
	s_or_b32 exec_lo, exec_lo, s26
	s_wait_dscnt 0x0
	s_barrier_signal -1
	s_barrier_wait -1
	s_barrier_signal -1
	s_barrier_wait -1
	s_and_saveexec_b32 s26, s13
; %bb.659:                              ;   in Loop: Header=BB1_3 Depth=1
	v_add_nc_u32_e64 v24, 0x1c00, 0
	ds_store_2addr_b32 v24, v60, v60 offset0:28 offset1:93
; %bb.660:                              ;   in Loop: Header=BB1_3 Depth=1
	s_or_b32 exec_lo, exec_lo, s26
	v_mov_b32_e32 v24, 0
	s_wait_dscnt 0x0
	s_barrier_signal -1
	s_barrier_wait -1
	global_wb scope:SCOPE_DEV
	s_wait_storecnt 0x0
	global_inv scope:SCOPE_DEV
	s_and_saveexec_b32 s65, s3
	s_cbranch_execz .LBB1_666
; %bb.661:                              ;   in Loop: Header=BB1_3 Depth=1
	ds_load_b32 v24, v33 offset:7264
	ds_load_b32 v25, v36 offset:8048
	s_wait_dscnt 0x0
	v_fma_f32 v24, v24, v25, 0
	s_and_saveexec_b32 s26, s15
	s_cbranch_execnz .LBB1_1139
; %bb.662:                              ;   in Loop: Header=BB1_3 Depth=1
	s_or_b32 exec_lo, exec_lo, s26
	s_and_saveexec_b32 s26, s16
	s_cbranch_execnz .LBB1_1140
.LBB1_663:                              ;   in Loop: Header=BB1_3 Depth=1
	s_or_b32 exec_lo, exec_lo, s26
	s_and_saveexec_b32 s26, s2
	s_cbranch_execz .LBB1_665
.LBB1_664:                              ;   in Loop: Header=BB1_3 Depth=1
	ds_load_b32 v25, v32 offset:8032
	ds_load_b32 v27, v7 offset:8060
	s_wait_dscnt 0x0
	v_fmac_f32_e32 v24, v25, v27
.LBB1_665:                              ;   in Loop: Header=BB1_3 Depth=1
	s_or_b32 exec_lo, exec_lo, s26
.LBB1_666:                              ;   in Loop: Header=BB1_3 Depth=1
	s_delay_alu instid0(SALU_CYCLE_1)
	s_or_b32 exec_lo, exec_lo, s65
	s_and_saveexec_b32 s26, vcc_hi
; %bb.667:                              ;   in Loop: Header=BB1_3 Depth=1
	s_delay_alu instid0(VALU_DEP_1)
	v_xor_b32_e32 v25, 0x80000000, v24
	ds_store_b32 v35, v25
; %bb.668:                              ;   in Loop: Header=BB1_3 Depth=1
	s_or_b32 exec_lo, exec_lo, s26
	s_wait_loadcnt_dscnt 0x0
	s_barrier_signal -1
	s_barrier_wait -1
	s_and_saveexec_b32 s26, s34
	s_cbranch_execz .LBB1_670
; %bb.669:                              ;   in Loop: Header=BB1_3 Depth=1
	ds_load_b32 v25, v33 offset:7008
	ds_load_b32 v27, v35
	s_wait_dscnt 0x0
	v_fma_f32 v24, -v25, v27, v24
.LBB1_670:                              ;   in Loop: Header=BB1_3 Depth=1
	s_or_b32 exec_lo, exec_lo, s26
	s_barrier_signal -1
	s_barrier_wait -1
	s_and_saveexec_b32 s26, s35
; %bb.671:                              ;   in Loop: Header=BB1_3 Depth=1
	v_xor_b32_e32 v25, 0x80000000, v24
	ds_store_b32 v35, v25
; %bb.672:                              ;   in Loop: Header=BB1_3 Depth=1
	s_or_b32 exec_lo, exec_lo, s26
	s_wait_dscnt 0x0
	s_barrier_signal -1
	s_barrier_wait -1
	s_and_saveexec_b32 s26, s36
	s_cbranch_execz .LBB1_674
; %bb.673:                              ;   in Loop: Header=BB1_3 Depth=1
	ds_load_b32 v25, v33 offset:6752
	ds_load_b32 v27, v35
	s_wait_dscnt 0x0
	v_fma_f32 v24, -v25, v27, v24
.LBB1_674:                              ;   in Loop: Header=BB1_3 Depth=1
	s_or_b32 exec_lo, exec_lo, s26
	s_barrier_signal -1
	s_barrier_wait -1
	s_and_saveexec_b32 s26, s37
; %bb.675:                              ;   in Loop: Header=BB1_3 Depth=1
	v_xor_b32_e32 v25, 0x80000000, v24
	ds_store_b32 v35, v25
; %bb.676:                              ;   in Loop: Header=BB1_3 Depth=1
	s_or_b32 exec_lo, exec_lo, s26
	s_wait_dscnt 0x0
	;; [unrolled: 20-line block ×3, first 2 shown]
	s_barrier_signal -1
	s_barrier_wait -1
	s_barrier_signal -1
	s_barrier_wait -1
	s_and_saveexec_b32 s26, s3
; %bb.681:                              ;   in Loop: Header=BB1_3 Depth=1
	ds_store_b32 v37, v24 offset:8032
; %bb.682:                              ;   in Loop: Header=BB1_3 Depth=1
	s_or_b32 exec_lo, exec_lo, s26
	s_wait_dscnt 0x0
	s_barrier_signal -1
	s_barrier_wait -1
	s_barrier_signal -1
	s_barrier_wait -1
	s_and_saveexec_b32 s26, s13
; %bb.683:                              ;   in Loop: Header=BB1_3 Depth=1
	v_add_nc_u32_e64 v24, 0x1800, 0
	ds_store_2addr_b32 v24, v60, v60 offset0:154 offset1:219
; %bb.684:                              ;   in Loop: Header=BB1_3 Depth=1
	s_or_b32 exec_lo, exec_lo, s26
	v_mov_b32_e32 v24, 0
	s_wait_dscnt 0x0
	s_barrier_signal -1
	s_barrier_wait -1
	global_wb scope:SCOPE_DEV
	s_wait_storecnt 0x0
	global_inv scope:SCOPE_DEV
	s_and_saveexec_b32 s26, s2
	s_cbranch_execz .LBB1_688
; %bb.685:                              ;   in Loop: Header=BB1_3 Depth=1
	ds_load_b32 v24, v31 offset:6752
	ds_load_b32 v25, v30 offset:7016
	s_wait_dscnt 0x0
	v_fma_f32 v24, v24, v25, 0
	s_and_saveexec_b32 s28, s14
	s_cbranch_execz .LBB1_687
; %bb.686:                              ;   in Loop: Header=BB1_3 Depth=1
	ds_load_b32 v25, v32 offset:7008
	ds_load_b32 v27, v7 offset:7020
	s_wait_dscnt 0x0
	v_fmac_f32_e32 v24, v25, v27
.LBB1_687:                              ;   in Loop: Header=BB1_3 Depth=1
	s_or_b32 exec_lo, exec_lo, s28
.LBB1_688:                              ;   in Loop: Header=BB1_3 Depth=1
	s_delay_alu instid0(SALU_CYCLE_1)
	s_or_b32 exec_lo, exec_lo, s26
	s_and_saveexec_b32 s26, s103
; %bb.689:                              ;   in Loop: Header=BB1_3 Depth=1
	s_delay_alu instid0(VALU_DEP_1)
	v_xor_b32_e32 v25, 0x80000000, v24
	ds_store_b32 v5, v25
; %bb.690:                              ;   in Loop: Header=BB1_3 Depth=1
	s_or_b32 exec_lo, exec_lo, s26
	s_wait_loadcnt_dscnt 0x0
	s_barrier_signal -1
	s_barrier_wait -1
	s_and_saveexec_b32 s26, s104
	s_cbranch_execz .LBB1_692
; %bb.691:                              ;   in Loop: Header=BB1_3 Depth=1
	ds_load_b32 v25, v7 offset:6496
	ds_load_b32 v27, v5
	s_wait_dscnt 0x0
	v_fma_f32 v24, -v25, v27, v24
.LBB1_692:                              ;   in Loop: Header=BB1_3 Depth=1
	s_or_b32 exec_lo, exec_lo, s26
	s_barrier_signal -1
	s_barrier_wait -1
	s_and_saveexec_b32 s26, s104
; %bb.693:                              ;   in Loop: Header=BB1_3 Depth=1
	v_xor_b32_e32 v25, 0x80000000, v24
	ds_store_b32 v5, v25
; %bb.694:                              ;   in Loop: Header=BB1_3 Depth=1
	s_or_b32 exec_lo, exec_lo, s26
	s_wait_dscnt 0x0
	s_barrier_signal -1
	s_barrier_wait -1
	s_barrier_signal -1
	s_barrier_wait -1
	s_and_saveexec_b32 s26, s2
; %bb.695:                              ;   in Loop: Header=BB1_3 Depth=1
	ds_store_b32 v34, v24 offset:7008
; %bb.696:                              ;   in Loop: Header=BB1_3 Depth=1
	s_or_b32 exec_lo, exec_lo, s26
	s_wait_dscnt 0x0
	s_barrier_signal -1
	s_barrier_wait -1
	s_barrier_signal -1
	s_barrier_wait -1
	s_and_saveexec_b32 s26, s13
; %bb.697:                              ;   in Loop: Header=BB1_3 Depth=1
	v_add_nc_u32_e64 v24, 0x1800, 0
	ds_store_2addr_b32 v24, v60, v60 offset0:24 offset1:89
; %bb.698:                              ;   in Loop: Header=BB1_3 Depth=1
	s_or_b32 exec_lo, exec_lo, s26
	v_mov_b32_e32 v24, 0
	s_wait_dscnt 0x0
	s_barrier_signal -1
	s_barrier_wait -1
	global_wb scope:SCOPE_DEV
	s_wait_storecnt 0x0
	global_inv scope:SCOPE_DEV
	s_and_saveexec_b32 s65, s4
	s_cbranch_execz .LBB1_708
; %bb.699:                              ;   in Loop: Header=BB1_3 Depth=1
	ds_load_b32 v24, v38 offset:6208
	ds_load_b32 v25, v40 offset:8032
	s_wait_dscnt 0x0
	v_fma_f32 v24, v24, v25, 0
	s_and_saveexec_b32 s26, s17
	s_cbranch_execnz .LBB1_1141
; %bb.700:                              ;   in Loop: Header=BB1_3 Depth=1
	s_or_b32 exec_lo, exec_lo, s26
	s_and_saveexec_b32 s26, s18
	s_cbranch_execnz .LBB1_1142
.LBB1_701:                              ;   in Loop: Header=BB1_3 Depth=1
	s_or_b32 exec_lo, exec_lo, s26
	s_and_saveexec_b32 s26, s19
	s_cbranch_execnz .LBB1_1143
.LBB1_702:                              ;   in Loop: Header=BB1_3 Depth=1
	s_or_b32 exec_lo, exec_lo, s26
	s_and_saveexec_b32 s26, s20
	s_cbranch_execnz .LBB1_1144
.LBB1_703:                              ;   in Loop: Header=BB1_3 Depth=1
	s_or_b32 exec_lo, exec_lo, s26
	s_and_saveexec_b32 s26, s21
	s_cbranch_execnz .LBB1_1145
.LBB1_704:                              ;   in Loop: Header=BB1_3 Depth=1
	s_or_b32 exec_lo, exec_lo, s26
	s_and_saveexec_b32 s26, s3
	s_cbranch_execnz .LBB1_1146
.LBB1_705:                              ;   in Loop: Header=BB1_3 Depth=1
	s_or_b32 exec_lo, exec_lo, s26
	s_and_saveexec_b32 s26, s16
	s_cbranch_execz .LBB1_707
.LBB1_706:                              ;   in Loop: Header=BB1_3 Depth=1
	ds_load_b32 v25, v32 offset:8000
	ds_load_b32 v27, v7 offset:8060
	s_wait_dscnt 0x0
	v_fmac_f32_e32 v24, v25, v27
.LBB1_707:                              ;   in Loop: Header=BB1_3 Depth=1
	s_or_b32 exec_lo, exec_lo, s26
.LBB1_708:                              ;   in Loop: Header=BB1_3 Depth=1
	s_delay_alu instid0(SALU_CYCLE_1)
	s_or_b32 exec_lo, exec_lo, s65
	s_and_saveexec_b32 s26, s39
; %bb.709:                              ;   in Loop: Header=BB1_3 Depth=1
	s_delay_alu instid0(VALU_DEP_1)
	v_xor_b32_e32 v25, 0x80000000, v24
	ds_store_b32 v39, v25
; %bb.710:                              ;   in Loop: Header=BB1_3 Depth=1
	s_or_b32 exec_lo, exec_lo, s26
	s_wait_loadcnt_dscnt 0x0
	s_barrier_signal -1
	s_barrier_wait -1
	s_and_saveexec_b32 s26, s40
	s_cbranch_execz .LBB1_712
; %bb.711:                              ;   in Loop: Header=BB1_3 Depth=1
	ds_load_b32 v25, v38 offset:5952
	ds_load_b32 v27, v39
	s_wait_dscnt 0x0
	v_fma_f32 v24, -v25, v27, v24
.LBB1_712:                              ;   in Loop: Header=BB1_3 Depth=1
	s_or_b32 exec_lo, exec_lo, s26
	s_barrier_signal -1
	s_barrier_wait -1
	s_and_saveexec_b32 s26, s41
; %bb.713:                              ;   in Loop: Header=BB1_3 Depth=1
	v_xor_b32_e32 v25, 0x80000000, v24
	ds_store_b32 v39, v25
; %bb.714:                              ;   in Loop: Header=BB1_3 Depth=1
	s_or_b32 exec_lo, exec_lo, s26
	s_wait_dscnt 0x0
	s_barrier_signal -1
	s_barrier_wait -1
	s_and_saveexec_b32 s26, s42
	s_cbranch_execz .LBB1_716
; %bb.715:                              ;   in Loop: Header=BB1_3 Depth=1
	ds_load_b32 v25, v38 offset:5696
	ds_load_b32 v27, v39
	s_wait_dscnt 0x0
	v_fma_f32 v24, -v25, v27, v24
.LBB1_716:                              ;   in Loop: Header=BB1_3 Depth=1
	s_or_b32 exec_lo, exec_lo, s26
	s_barrier_signal -1
	s_barrier_wait -1
	s_and_saveexec_b32 s26, s43
; %bb.717:                              ;   in Loop: Header=BB1_3 Depth=1
	v_xor_b32_e32 v25, 0x80000000, v24
	ds_store_b32 v39, v25
; %bb.718:                              ;   in Loop: Header=BB1_3 Depth=1
	s_or_b32 exec_lo, exec_lo, s26
	s_wait_dscnt 0x0
	;; [unrolled: 20-line block ×7, first 2 shown]
	s_barrier_signal -1
	s_barrier_wait -1
	s_barrier_signal -1
	s_barrier_wait -1
	s_and_saveexec_b32 s26, s4
; %bb.739:                              ;   in Loop: Header=BB1_3 Depth=1
	ds_store_b32 v41, v24 offset:8000
; %bb.740:                              ;   in Loop: Header=BB1_3 Depth=1
	s_or_b32 exec_lo, exec_lo, s26
	s_wait_dscnt 0x0
	s_barrier_signal -1
	s_barrier_wait -1
	s_barrier_signal -1
	s_barrier_wait -1
	s_and_saveexec_b32 s26, s13
; %bb.741:                              ;   in Loop: Header=BB1_3 Depth=1
	v_add_nc_u32_e64 v24, 0x1400, 0
	ds_store_2addr_b32 v24, v60, v60 offset0:150 offset1:215
; %bb.742:                              ;   in Loop: Header=BB1_3 Depth=1
	s_or_b32 exec_lo, exec_lo, s26
	v_mov_b32_e32 v24, 0
	s_wait_dscnt 0x0
	s_barrier_signal -1
	s_barrier_wait -1
	global_wb scope:SCOPE_DEV
	s_wait_storecnt 0x0
	global_inv scope:SCOPE_DEV
	s_and_saveexec_b32 s26, s2
	s_cbranch_execz .LBB1_746
; %bb.743:                              ;   in Loop: Header=BB1_3 Depth=1
	ds_load_b32 v24, v31 offset:5712
	ds_load_b32 v25, v30 offset:5976
	s_wait_dscnt 0x0
	v_fma_f32 v24, v24, v25, 0
	s_and_saveexec_b32 s28, s14
	s_cbranch_execz .LBB1_745
; %bb.744:                              ;   in Loop: Header=BB1_3 Depth=1
	ds_load_b32 v25, v32 offset:5968
	ds_load_b32 v27, v7 offset:5980
	s_wait_dscnt 0x0
	v_fmac_f32_e32 v24, v25, v27
.LBB1_745:                              ;   in Loop: Header=BB1_3 Depth=1
	s_or_b32 exec_lo, exec_lo, s28
.LBB1_746:                              ;   in Loop: Header=BB1_3 Depth=1
	s_delay_alu instid0(SALU_CYCLE_1)
	s_or_b32 exec_lo, exec_lo, s26
	s_and_saveexec_b32 s26, s103
; %bb.747:                              ;   in Loop: Header=BB1_3 Depth=1
	s_delay_alu instid0(VALU_DEP_1)
	v_xor_b32_e32 v25, 0x80000000, v24
	ds_store_b32 v5, v25
; %bb.748:                              ;   in Loop: Header=BB1_3 Depth=1
	s_or_b32 exec_lo, exec_lo, s26
	s_wait_loadcnt_dscnt 0x0
	s_barrier_signal -1
	s_barrier_wait -1
	s_and_saveexec_b32 s26, s104
	s_cbranch_execz .LBB1_750
; %bb.749:                              ;   in Loop: Header=BB1_3 Depth=1
	ds_load_b32 v25, v7 offset:5456
	ds_load_b32 v27, v5
	s_wait_dscnt 0x0
	v_fma_f32 v24, -v25, v27, v24
.LBB1_750:                              ;   in Loop: Header=BB1_3 Depth=1
	s_or_b32 exec_lo, exec_lo, s26
	s_barrier_signal -1
	s_barrier_wait -1
	s_and_saveexec_b32 s26, s104
; %bb.751:                              ;   in Loop: Header=BB1_3 Depth=1
	v_xor_b32_e32 v25, 0x80000000, v24
	ds_store_b32 v5, v25
; %bb.752:                              ;   in Loop: Header=BB1_3 Depth=1
	s_or_b32 exec_lo, exec_lo, s26
	s_wait_dscnt 0x0
	s_barrier_signal -1
	s_barrier_wait -1
	s_barrier_signal -1
	s_barrier_wait -1
	s_and_saveexec_b32 s26, s2
; %bb.753:                              ;   in Loop: Header=BB1_3 Depth=1
	ds_store_b32 v34, v24 offset:5968
; %bb.754:                              ;   in Loop: Header=BB1_3 Depth=1
	s_or_b32 exec_lo, exec_lo, s26
	s_wait_dscnt 0x0
	s_barrier_signal -1
	s_barrier_wait -1
	s_barrier_signal -1
	s_barrier_wait -1
	s_and_saveexec_b32 s26, s13
; %bb.755:                              ;   in Loop: Header=BB1_3 Depth=1
	v_add_nc_u32_e64 v24, 0x1400, 0
	ds_store_2addr_b32 v24, v60, v60 offset0:20 offset1:85
; %bb.756:                              ;   in Loop: Header=BB1_3 Depth=1
	s_or_b32 exec_lo, exec_lo, s26
	v_mov_b32_e32 v24, 0
	s_wait_dscnt 0x0
	s_barrier_signal -1
	s_barrier_wait -1
	global_wb scope:SCOPE_DEV
	s_wait_storecnt 0x0
	global_inv scope:SCOPE_DEV
	s_and_saveexec_b32 s65, s3
	s_cbranch_execz .LBB1_762
; %bb.757:                              ;   in Loop: Header=BB1_3 Depth=1
	ds_load_b32 v24, v33 offset:5184
	ds_load_b32 v25, v36 offset:5968
	s_wait_dscnt 0x0
	v_fma_f32 v24, v24, v25, 0
	s_and_saveexec_b32 s26, s15
	s_cbranch_execnz .LBB1_1147
; %bb.758:                              ;   in Loop: Header=BB1_3 Depth=1
	s_or_b32 exec_lo, exec_lo, s26
	s_and_saveexec_b32 s26, s16
	s_cbranch_execnz .LBB1_1148
.LBB1_759:                              ;   in Loop: Header=BB1_3 Depth=1
	s_or_b32 exec_lo, exec_lo, s26
	s_and_saveexec_b32 s26, s2
	s_cbranch_execz .LBB1_761
.LBB1_760:                              ;   in Loop: Header=BB1_3 Depth=1
	ds_load_b32 v25, v32 offset:5952
	ds_load_b32 v27, v7 offset:5980
	s_wait_dscnt 0x0
	v_fmac_f32_e32 v24, v25, v27
.LBB1_761:                              ;   in Loop: Header=BB1_3 Depth=1
	s_or_b32 exec_lo, exec_lo, s26
.LBB1_762:                              ;   in Loop: Header=BB1_3 Depth=1
	s_delay_alu instid0(SALU_CYCLE_1)
	s_or_b32 exec_lo, exec_lo, s65
	s_and_saveexec_b32 s26, vcc_hi
; %bb.763:                              ;   in Loop: Header=BB1_3 Depth=1
	s_delay_alu instid0(VALU_DEP_1)
	v_xor_b32_e32 v25, 0x80000000, v24
	ds_store_b32 v35, v25
; %bb.764:                              ;   in Loop: Header=BB1_3 Depth=1
	s_or_b32 exec_lo, exec_lo, s26
	s_wait_loadcnt_dscnt 0x0
	s_barrier_signal -1
	s_barrier_wait -1
	s_and_saveexec_b32 s26, s34
	s_cbranch_execz .LBB1_766
; %bb.765:                              ;   in Loop: Header=BB1_3 Depth=1
	ds_load_b32 v25, v33 offset:4928
	ds_load_b32 v27, v35
	s_wait_dscnt 0x0
	v_fma_f32 v24, -v25, v27, v24
.LBB1_766:                              ;   in Loop: Header=BB1_3 Depth=1
	s_or_b32 exec_lo, exec_lo, s26
	s_barrier_signal -1
	s_barrier_wait -1
	s_and_saveexec_b32 s26, s35
; %bb.767:                              ;   in Loop: Header=BB1_3 Depth=1
	v_xor_b32_e32 v25, 0x80000000, v24
	ds_store_b32 v35, v25
; %bb.768:                              ;   in Loop: Header=BB1_3 Depth=1
	s_or_b32 exec_lo, exec_lo, s26
	s_wait_dscnt 0x0
	s_barrier_signal -1
	s_barrier_wait -1
	s_and_saveexec_b32 s26, s36
	s_cbranch_execz .LBB1_770
; %bb.769:                              ;   in Loop: Header=BB1_3 Depth=1
	ds_load_b32 v25, v33 offset:4672
	ds_load_b32 v27, v35
	s_wait_dscnt 0x0
	v_fma_f32 v24, -v25, v27, v24
.LBB1_770:                              ;   in Loop: Header=BB1_3 Depth=1
	s_or_b32 exec_lo, exec_lo, s26
	s_barrier_signal -1
	s_barrier_wait -1
	s_and_saveexec_b32 s26, s37
; %bb.771:                              ;   in Loop: Header=BB1_3 Depth=1
	v_xor_b32_e32 v25, 0x80000000, v24
	ds_store_b32 v35, v25
; %bb.772:                              ;   in Loop: Header=BB1_3 Depth=1
	s_or_b32 exec_lo, exec_lo, s26
	s_wait_dscnt 0x0
	;; [unrolled: 20-line block ×3, first 2 shown]
	s_barrier_signal -1
	s_barrier_wait -1
	s_barrier_signal -1
	s_barrier_wait -1
	s_and_saveexec_b32 s26, s3
; %bb.777:                              ;   in Loop: Header=BB1_3 Depth=1
	ds_store_b32 v37, v24 offset:5952
; %bb.778:                              ;   in Loop: Header=BB1_3 Depth=1
	s_or_b32 exec_lo, exec_lo, s26
	s_wait_dscnt 0x0
	s_barrier_signal -1
	s_barrier_wait -1
	s_barrier_signal -1
	s_barrier_wait -1
	s_and_saveexec_b32 s26, s13
; %bb.779:                              ;   in Loop: Header=BB1_3 Depth=1
	v_add_nc_u32_e64 v24, 0x1000, 0
	ds_store_2addr_b32 v24, v60, v60 offset0:146 offset1:211
; %bb.780:                              ;   in Loop: Header=BB1_3 Depth=1
	s_or_b32 exec_lo, exec_lo, s26
	v_mov_b32_e32 v24, 0
	s_wait_dscnt 0x0
	s_barrier_signal -1
	s_barrier_wait -1
	global_wb scope:SCOPE_DEV
	s_wait_storecnt 0x0
	global_inv scope:SCOPE_DEV
	s_and_saveexec_b32 s26, s2
	s_cbranch_execz .LBB1_784
; %bb.781:                              ;   in Loop: Header=BB1_3 Depth=1
	ds_load_b32 v24, v31 offset:4672
	ds_load_b32 v25, v30 offset:4936
	s_wait_dscnt 0x0
	v_fma_f32 v24, v24, v25, 0
	s_and_saveexec_b32 s28, s14
	s_cbranch_execz .LBB1_783
; %bb.782:                              ;   in Loop: Header=BB1_3 Depth=1
	ds_load_b32 v25, v32 offset:4928
	ds_load_b32 v27, v7 offset:4940
	s_wait_dscnt 0x0
	v_fmac_f32_e32 v24, v25, v27
.LBB1_783:                              ;   in Loop: Header=BB1_3 Depth=1
	s_or_b32 exec_lo, exec_lo, s28
.LBB1_784:                              ;   in Loop: Header=BB1_3 Depth=1
	s_delay_alu instid0(SALU_CYCLE_1)
	s_or_b32 exec_lo, exec_lo, s26
	s_and_saveexec_b32 s26, s103
; %bb.785:                              ;   in Loop: Header=BB1_3 Depth=1
	s_delay_alu instid0(VALU_DEP_1)
	v_xor_b32_e32 v25, 0x80000000, v24
	ds_store_b32 v5, v25
; %bb.786:                              ;   in Loop: Header=BB1_3 Depth=1
	s_or_b32 exec_lo, exec_lo, s26
	s_wait_loadcnt_dscnt 0x0
	s_barrier_signal -1
	s_barrier_wait -1
	s_and_saveexec_b32 s26, s104
	s_cbranch_execz .LBB1_788
; %bb.787:                              ;   in Loop: Header=BB1_3 Depth=1
	ds_load_b32 v25, v7 offset:4416
	ds_load_b32 v27, v5
	s_wait_dscnt 0x0
	v_fma_f32 v24, -v25, v27, v24
.LBB1_788:                              ;   in Loop: Header=BB1_3 Depth=1
	s_or_b32 exec_lo, exec_lo, s26
	s_barrier_signal -1
	s_barrier_wait -1
	s_and_saveexec_b32 s26, s104
; %bb.789:                              ;   in Loop: Header=BB1_3 Depth=1
	v_xor_b32_e32 v25, 0x80000000, v24
	ds_store_b32 v5, v25
; %bb.790:                              ;   in Loop: Header=BB1_3 Depth=1
	s_or_b32 exec_lo, exec_lo, s26
	s_wait_dscnt 0x0
	s_barrier_signal -1
	s_barrier_wait -1
	s_barrier_signal -1
	s_barrier_wait -1
	s_and_saveexec_b32 s26, s2
; %bb.791:                              ;   in Loop: Header=BB1_3 Depth=1
	ds_store_b32 v34, v24 offset:4928
; %bb.792:                              ;   in Loop: Header=BB1_3 Depth=1
	s_or_b32 exec_lo, exec_lo, s26
	s_wait_dscnt 0x0
	s_barrier_signal -1
	s_barrier_wait -1
	s_barrier_signal -1
	s_barrier_wait -1
	s_and_saveexec_b32 s26, s13
; %bb.793:                              ;   in Loop: Header=BB1_3 Depth=1
	v_add_nc_u32_e64 v24, 0x1000, 0
	ds_store_2addr_b32 v24, v60, v60 offset0:16 offset1:81
; %bb.794:                              ;   in Loop: Header=BB1_3 Depth=1
	s_or_b32 exec_lo, exec_lo, s26
	v_mov_b32_e32 v24, 0
	s_wait_dscnt 0x0
	s_barrier_signal -1
	s_barrier_wait -1
	global_wb scope:SCOPE_DEV
	s_wait_storecnt 0x0
	global_inv scope:SCOPE_DEV
	s_and_saveexec_b32 s65, s5
	s_cbranch_execz .LBB1_822
; %bb.795:                              ;   in Loop: Header=BB1_3 Depth=1
	ds_load_b32 v24, v42 offset:4096
	ds_load_b32 v25, v45 offset:8000
	s_wait_dscnt 0x0
	v_fma_f32 v24, v24, v25, 0
	s_mov_b32 s26, exec_lo
	v_readlane_b32 s28, v74, 25
	s_and_b32 s28, s26, s28
	s_delay_alu instid0(SALU_CYCLE_1)
	s_mov_b32 exec_lo, s28
	s_cbranch_execz .LBB1_797
; %bb.796:                              ;   in Loop: Header=BB1_3 Depth=1
	ds_load_b32 v25, v42 offset:4352
	ds_load_b32 v27, v45 offset:8004
	s_wait_dscnt 0x0
	v_fmac_f32_e32 v24, v25, v27
.LBB1_797:                              ;   in Loop: Header=BB1_3 Depth=1
	s_or_b32 exec_lo, exec_lo, s26
	s_delay_alu instid0(SALU_CYCLE_1) | instskip(SKIP_2) | instid1(SALU_CYCLE_1)
	s_mov_b32 s26, exec_lo
	v_readlane_b32 s28, v74, 26
	s_and_b32 s28, s26, s28
	s_mov_b32 exec_lo, s28
	s_cbranch_execz .LBB1_799
; %bb.798:                              ;   in Loop: Header=BB1_3 Depth=1
	ds_load_b32 v25, v42 offset:4608
	ds_load_b32 v27, v45 offset:8008
	s_wait_dscnt 0x0
	v_fmac_f32_e32 v24, v25, v27
.LBB1_799:                              ;   in Loop: Header=BB1_3 Depth=1
	s_or_b32 exec_lo, exec_lo, s26
	s_delay_alu instid0(SALU_CYCLE_1) | instskip(SKIP_2) | instid1(SALU_CYCLE_1)
	s_mov_b32 s26, exec_lo
	v_readlane_b32 s28, v74, 27
	s_and_b32 s28, s26, s28
	;; [unrolled: 13-line block ×10, first 2 shown]
	s_mov_b32 exec_lo, s28
	s_cbranch_execnz .LBB1_1149
; %bb.816:                              ;   in Loop: Header=BB1_3 Depth=1
	s_or_b32 exec_lo, exec_lo, s26
	s_and_saveexec_b32 s26, s4
	s_cbranch_execnz .LBB1_1150
.LBB1_817:                              ;   in Loop: Header=BB1_3 Depth=1
	s_or_b32 exec_lo, exec_lo, s26
	s_and_saveexec_b32 s26, s18
	s_cbranch_execnz .LBB1_1151
.LBB1_818:                              ;   in Loop: Header=BB1_3 Depth=1
	s_or_b32 exec_lo, exec_lo, s26
	s_and_saveexec_b32 s26, s20
	s_cbranch_execnz .LBB1_1152
.LBB1_819:                              ;   in Loop: Header=BB1_3 Depth=1
	s_or_b32 exec_lo, exec_lo, s26
	s_and_saveexec_b32 s26, s3
	s_cbranch_execz .LBB1_821
.LBB1_820:                              ;   in Loop: Header=BB1_3 Depth=1
	ds_load_b32 v25, v32 offset:7936
	ds_load_b32 v27, v7 offset:8060
	s_wait_dscnt 0x0
	v_fmac_f32_e32 v24, v25, v27
.LBB1_821:                              ;   in Loop: Header=BB1_3 Depth=1
	s_or_b32 exec_lo, exec_lo, s26
.LBB1_822:                              ;   in Loop: Header=BB1_3 Depth=1
	s_delay_alu instid0(SALU_CYCLE_1) | instskip(NEXT) | instid1(SALU_CYCLE_1)
	s_or_b32 exec_lo, exec_lo, s65
	s_mov_b32 s26, exec_lo
	v_readlane_b32 s28, v76, 2
	s_and_b32 s28, s26, s28
	s_delay_alu instid0(SALU_CYCLE_1)
	s_mov_b32 exec_lo, s28
; %bb.823:                              ;   in Loop: Header=BB1_3 Depth=1
	v_xor_b32_e32 v25, 0x80000000, v24
	ds_store_b32 v43, v25
; %bb.824:                              ;   in Loop: Header=BB1_3 Depth=1
	s_or_b32 exec_lo, exec_lo, s26
	s_wait_loadcnt_dscnt 0x0
	s_barrier_signal -1
	s_barrier_wait -1
	s_mov_b32 s26, exec_lo
	v_readlane_b32 s28, v76, 3
	s_and_b32 s28, s26, s28
	s_delay_alu instid0(SALU_CYCLE_1)
	s_mov_b32 exec_lo, s28
	s_cbranch_execz .LBB1_826
; %bb.825:                              ;   in Loop: Header=BB1_3 Depth=1
	ds_load_b32 v25, v42 offset:3840
	ds_load_b32 v27, v43
	s_wait_dscnt 0x0
	v_fma_f32 v24, -v25, v27, v24
.LBB1_826:                              ;   in Loop: Header=BB1_3 Depth=1
	s_or_b32 exec_lo, exec_lo, s26
	s_barrier_signal -1
	s_barrier_wait -1
	s_mov_b32 s26, exec_lo
	v_readlane_b32 s28, v76, 4
	s_and_b32 s28, s26, s28
	s_delay_alu instid0(SALU_CYCLE_1)
	s_mov_b32 exec_lo, s28
; %bb.827:                              ;   in Loop: Header=BB1_3 Depth=1
	v_xor_b32_e32 v25, 0x80000000, v24
	ds_store_b32 v43, v25
; %bb.828:                              ;   in Loop: Header=BB1_3 Depth=1
	s_or_b32 exec_lo, exec_lo, s26
	s_wait_dscnt 0x0
	s_barrier_signal -1
	s_barrier_wait -1
	s_mov_b32 s26, exec_lo
	v_readlane_b32 s28, v76, 5
	s_and_b32 s28, s26, s28
	s_delay_alu instid0(SALU_CYCLE_1)
	s_mov_b32 exec_lo, s28
	s_cbranch_execz .LBB1_830
; %bb.829:                              ;   in Loop: Header=BB1_3 Depth=1
	ds_load_b32 v25, v42 offset:3584
	ds_load_b32 v27, v43
	s_wait_dscnt 0x0
	v_fma_f32 v24, -v25, v27, v24
.LBB1_830:                              ;   in Loop: Header=BB1_3 Depth=1
	s_or_b32 exec_lo, exec_lo, s26
	s_barrier_signal -1
	s_barrier_wait -1
	s_mov_b32 s26, exec_lo
	v_readlane_b32 s28, v76, 6
	s_and_b32 s28, s26, s28
	s_delay_alu instid0(SALU_CYCLE_1)
	s_mov_b32 exec_lo, s28
; %bb.831:                              ;   in Loop: Header=BB1_3 Depth=1
	v_xor_b32_e32 v25, 0x80000000, v24
	ds_store_b32 v43, v25
; %bb.832:                              ;   in Loop: Header=BB1_3 Depth=1
	s_or_b32 exec_lo, exec_lo, s26
	s_wait_dscnt 0x0
	;; [unrolled: 28-line block ×5, first 2 shown]
	s_barrier_signal -1
	s_barrier_wait -1
	s_and_saveexec_b32 s26, s59
	s_cbranch_execz .LBB1_846
; %bb.845:                              ;   in Loop: Header=BB1_3 Depth=1
	ds_load_b32 v25, v42 offset:2560
	ds_load_b32 v27, v43
	s_wait_dscnt 0x0
	v_fma_f32 v24, -v25, v27, v24
.LBB1_846:                              ;   in Loop: Header=BB1_3 Depth=1
	s_or_b32 exec_lo, exec_lo, s26
	s_barrier_signal -1
	s_barrier_wait -1
	s_mov_b32 s26, exec_lo
	v_readlane_b32 s28, v76, 13
	s_and_b32 s28, s26, s28
	s_delay_alu instid0(SALU_CYCLE_1)
	s_mov_b32 exec_lo, s28
; %bb.847:                              ;   in Loop: Header=BB1_3 Depth=1
	v_xor_b32_e32 v25, 0x80000000, v24
	ds_store_b32 v43, v25
; %bb.848:                              ;   in Loop: Header=BB1_3 Depth=1
	s_or_b32 exec_lo, exec_lo, s26
	s_wait_dscnt 0x0
	s_barrier_signal -1
	s_barrier_wait -1
	s_and_saveexec_b32 s26, s62
	s_cbranch_execz .LBB1_850
; %bb.849:                              ;   in Loop: Header=BB1_3 Depth=1
	ds_load_b32 v25, v42 offset:2304
	ds_load_b32 v27, v43
	s_wait_dscnt 0x0
	v_fma_f32 v24, -v25, v27, v24
.LBB1_850:                              ;   in Loop: Header=BB1_3 Depth=1
	s_or_b32 exec_lo, exec_lo, s26
	s_barrier_signal -1
	s_barrier_wait -1
	s_and_saveexec_b32 s26, s63
; %bb.851:                              ;   in Loop: Header=BB1_3 Depth=1
	v_xor_b32_e32 v25, 0x80000000, v24
	ds_store_b32 v43, v25
; %bb.852:                              ;   in Loop: Header=BB1_3 Depth=1
	s_or_b32 exec_lo, exec_lo, s26
	s_wait_dscnt 0x0
	s_barrier_signal -1
	s_barrier_wait -1
	s_and_saveexec_b32 s26, s66
	s_cbranch_execz .LBB1_854
; %bb.853:                              ;   in Loop: Header=BB1_3 Depth=1
	ds_load_b32 v25, v42 offset:2048
	ds_load_b32 v27, v43
	s_wait_dscnt 0x0
	v_fma_f32 v24, -v25, v27, v24
.LBB1_854:                              ;   in Loop: Header=BB1_3 Depth=1
	s_or_b32 exec_lo, exec_lo, s26
	s_barrier_signal -1
	s_barrier_wait -1
	s_and_saveexec_b32 s26, s11
	;; [unrolled: 20-line block ×9, first 2 shown]
; %bb.883:                              ;   in Loop: Header=BB1_3 Depth=1
	v_xor_b32_e32 v25, 0x80000000, v24
	ds_store_b32 v43, v25
; %bb.884:                              ;   in Loop: Header=BB1_3 Depth=1
	s_or_b32 exec_lo, exec_lo, s26
	s_wait_dscnt 0x0
	s_barrier_signal -1
	s_barrier_wait -1
	s_barrier_signal -1
	s_barrier_wait -1
	s_and_saveexec_b32 s26, s5
; %bb.885:                              ;   in Loop: Header=BB1_3 Depth=1
	ds_store_b32 v46, v24 offset:7936
; %bb.886:                              ;   in Loop: Header=BB1_3 Depth=1
	s_or_b32 exec_lo, exec_lo, s26
	s_wait_dscnt 0x0
	s_barrier_signal -1
	s_barrier_wait -1
	s_barrier_signal -1
	s_barrier_wait -1
	s_and_saveexec_b32 s26, s13
; %bb.887:                              ;   in Loop: Header=BB1_3 Depth=1
	v_add_nc_u32_e64 v24, 0xc00, 0
	ds_store_2addr_b32 v24, v60, v60 offset0:142 offset1:207
; %bb.888:                              ;   in Loop: Header=BB1_3 Depth=1
	s_or_b32 exec_lo, exec_lo, s26
	v_mov_b32_e32 v24, 0
	s_wait_dscnt 0x0
	s_barrier_signal -1
	s_barrier_wait -1
	global_wb scope:SCOPE_DEV
	s_wait_storecnt 0x0
	global_inv scope:SCOPE_DEV
	s_and_saveexec_b32 s26, s2
	s_cbranch_execz .LBB1_892
; %bb.889:                              ;   in Loop: Header=BB1_3 Depth=1
	ds_load_b32 v24, v31 offset:3632
	ds_load_b32 v25, v30 offset:3896
	s_wait_dscnt 0x0
	v_fma_f32 v24, v24, v25, 0
	s_and_saveexec_b32 s28, s14
	s_cbranch_execz .LBB1_891
; %bb.890:                              ;   in Loop: Header=BB1_3 Depth=1
	ds_load_b32 v25, v32 offset:3888
	ds_load_b32 v27, v7 offset:3900
	s_wait_dscnt 0x0
	v_fmac_f32_e32 v24, v25, v27
.LBB1_891:                              ;   in Loop: Header=BB1_3 Depth=1
	s_or_b32 exec_lo, exec_lo, s28
.LBB1_892:                              ;   in Loop: Header=BB1_3 Depth=1
	s_delay_alu instid0(SALU_CYCLE_1)
	s_or_b32 exec_lo, exec_lo, s26
	s_and_saveexec_b32 s26, s103
; %bb.893:                              ;   in Loop: Header=BB1_3 Depth=1
	s_delay_alu instid0(VALU_DEP_1)
	v_xor_b32_e32 v25, 0x80000000, v24
	ds_store_b32 v5, v25
; %bb.894:                              ;   in Loop: Header=BB1_3 Depth=1
	s_or_b32 exec_lo, exec_lo, s26
	s_wait_loadcnt_dscnt 0x0
	s_barrier_signal -1
	s_barrier_wait -1
	s_and_saveexec_b32 s26, s104
	s_cbranch_execz .LBB1_896
; %bb.895:                              ;   in Loop: Header=BB1_3 Depth=1
	ds_load_b32 v25, v7 offset:3376
	ds_load_b32 v27, v5
	s_wait_dscnt 0x0
	v_fma_f32 v24, -v25, v27, v24
.LBB1_896:                              ;   in Loop: Header=BB1_3 Depth=1
	s_or_b32 exec_lo, exec_lo, s26
	s_barrier_signal -1
	s_barrier_wait -1
	s_and_saveexec_b32 s26, s104
; %bb.897:                              ;   in Loop: Header=BB1_3 Depth=1
	v_xor_b32_e32 v25, 0x80000000, v24
	ds_store_b32 v5, v25
; %bb.898:                              ;   in Loop: Header=BB1_3 Depth=1
	s_or_b32 exec_lo, exec_lo, s26
	s_wait_dscnt 0x0
	s_barrier_signal -1
	s_barrier_wait -1
	s_barrier_signal -1
	s_barrier_wait -1
	s_and_saveexec_b32 s26, s2
; %bb.899:                              ;   in Loop: Header=BB1_3 Depth=1
	ds_store_b32 v34, v24 offset:3888
; %bb.900:                              ;   in Loop: Header=BB1_3 Depth=1
	s_or_b32 exec_lo, exec_lo, s26
	s_wait_dscnt 0x0
	s_barrier_signal -1
	s_barrier_wait -1
	s_barrier_signal -1
	s_barrier_wait -1
	s_and_saveexec_b32 s26, s13
; %bb.901:                              ;   in Loop: Header=BB1_3 Depth=1
	v_add_nc_u32_e64 v24, 0xc00, 0
	ds_store_2addr_b32 v24, v60, v60 offset0:12 offset1:77
; %bb.902:                              ;   in Loop: Header=BB1_3 Depth=1
	s_or_b32 exec_lo, exec_lo, s26
	v_mov_b32_e32 v24, 0
	s_wait_dscnt 0x0
	s_barrier_signal -1
	s_barrier_wait -1
	global_wb scope:SCOPE_DEV
	s_wait_storecnt 0x0
	global_inv scope:SCOPE_DEV
	s_and_saveexec_b32 s65, s3
	s_cbranch_execz .LBB1_908
; %bb.903:                              ;   in Loop: Header=BB1_3 Depth=1
	ds_load_b32 v24, v33 offset:3104
	ds_load_b32 v25, v36 offset:3888
	s_wait_dscnt 0x0
	v_fma_f32 v24, v24, v25, 0
	s_and_saveexec_b32 s26, s15
	s_cbranch_execnz .LBB1_1153
; %bb.904:                              ;   in Loop: Header=BB1_3 Depth=1
	s_or_b32 exec_lo, exec_lo, s26
	s_and_saveexec_b32 s26, s16
	s_cbranch_execnz .LBB1_1154
.LBB1_905:                              ;   in Loop: Header=BB1_3 Depth=1
	s_or_b32 exec_lo, exec_lo, s26
	s_and_saveexec_b32 s26, s2
	s_cbranch_execz .LBB1_907
.LBB1_906:                              ;   in Loop: Header=BB1_3 Depth=1
	ds_load_b32 v25, v32 offset:3872
	ds_load_b32 v27, v7 offset:3900
	s_wait_dscnt 0x0
	v_fmac_f32_e32 v24, v25, v27
.LBB1_907:                              ;   in Loop: Header=BB1_3 Depth=1
	s_or_b32 exec_lo, exec_lo, s26
.LBB1_908:                              ;   in Loop: Header=BB1_3 Depth=1
	s_delay_alu instid0(SALU_CYCLE_1)
	s_or_b32 exec_lo, exec_lo, s65
	s_and_saveexec_b32 s26, vcc_hi
; %bb.909:                              ;   in Loop: Header=BB1_3 Depth=1
	s_delay_alu instid0(VALU_DEP_1)
	v_xor_b32_e32 v25, 0x80000000, v24
	ds_store_b32 v35, v25
; %bb.910:                              ;   in Loop: Header=BB1_3 Depth=1
	s_or_b32 exec_lo, exec_lo, s26
	s_wait_loadcnt_dscnt 0x0
	s_barrier_signal -1
	s_barrier_wait -1
	s_and_saveexec_b32 s26, s34
	s_cbranch_execz .LBB1_912
; %bb.911:                              ;   in Loop: Header=BB1_3 Depth=1
	ds_load_b32 v25, v33 offset:2848
	ds_load_b32 v27, v35
	s_wait_dscnt 0x0
	v_fma_f32 v24, -v25, v27, v24
.LBB1_912:                              ;   in Loop: Header=BB1_3 Depth=1
	s_or_b32 exec_lo, exec_lo, s26
	s_barrier_signal -1
	s_barrier_wait -1
	s_and_saveexec_b32 s26, s35
; %bb.913:                              ;   in Loop: Header=BB1_3 Depth=1
	v_xor_b32_e32 v25, 0x80000000, v24
	ds_store_b32 v35, v25
; %bb.914:                              ;   in Loop: Header=BB1_3 Depth=1
	s_or_b32 exec_lo, exec_lo, s26
	s_wait_dscnt 0x0
	s_barrier_signal -1
	s_barrier_wait -1
	s_and_saveexec_b32 s26, s36
	s_cbranch_execz .LBB1_916
; %bb.915:                              ;   in Loop: Header=BB1_3 Depth=1
	ds_load_b32 v25, v33 offset:2592
	ds_load_b32 v27, v35
	s_wait_dscnt 0x0
	v_fma_f32 v24, -v25, v27, v24
.LBB1_916:                              ;   in Loop: Header=BB1_3 Depth=1
	s_or_b32 exec_lo, exec_lo, s26
	s_barrier_signal -1
	s_barrier_wait -1
	s_and_saveexec_b32 s26, s37
; %bb.917:                              ;   in Loop: Header=BB1_3 Depth=1
	v_xor_b32_e32 v25, 0x80000000, v24
	ds_store_b32 v35, v25
; %bb.918:                              ;   in Loop: Header=BB1_3 Depth=1
	s_or_b32 exec_lo, exec_lo, s26
	s_wait_dscnt 0x0
	;; [unrolled: 20-line block ×3, first 2 shown]
	s_barrier_signal -1
	s_barrier_wait -1
	s_barrier_signal -1
	s_barrier_wait -1
	s_and_saveexec_b32 s26, s3
; %bb.923:                              ;   in Loop: Header=BB1_3 Depth=1
	ds_store_b32 v37, v24 offset:3872
; %bb.924:                              ;   in Loop: Header=BB1_3 Depth=1
	s_or_b32 exec_lo, exec_lo, s26
	s_wait_dscnt 0x0
	s_barrier_signal -1
	s_barrier_wait -1
	s_barrier_signal -1
	s_barrier_wait -1
	s_and_saveexec_b32 s26, s13
; %bb.925:                              ;   in Loop: Header=BB1_3 Depth=1
	v_add_nc_u32_e64 v24, 0x800, 0
	ds_store_2addr_b32 v24, v60, v60 offset0:138 offset1:203
; %bb.926:                              ;   in Loop: Header=BB1_3 Depth=1
	s_or_b32 exec_lo, exec_lo, s26
	v_mov_b32_e32 v24, 0
	s_wait_dscnt 0x0
	s_barrier_signal -1
	s_barrier_wait -1
	global_wb scope:SCOPE_DEV
	s_wait_storecnt 0x0
	global_inv scope:SCOPE_DEV
	s_and_saveexec_b32 s26, s2
	s_cbranch_execz .LBB1_930
; %bb.927:                              ;   in Loop: Header=BB1_3 Depth=1
	ds_load_b32 v24, v31 offset:2592
	ds_load_b32 v25, v30 offset:2856
	s_wait_dscnt 0x0
	v_fma_f32 v24, v24, v25, 0
	s_and_saveexec_b32 s28, s14
	s_cbranch_execz .LBB1_929
; %bb.928:                              ;   in Loop: Header=BB1_3 Depth=1
	ds_load_b32 v25, v32 offset:2848
	ds_load_b32 v27, v7 offset:2860
	s_wait_dscnt 0x0
	v_fmac_f32_e32 v24, v25, v27
.LBB1_929:                              ;   in Loop: Header=BB1_3 Depth=1
	s_or_b32 exec_lo, exec_lo, s28
.LBB1_930:                              ;   in Loop: Header=BB1_3 Depth=1
	s_delay_alu instid0(SALU_CYCLE_1)
	s_or_b32 exec_lo, exec_lo, s26
	s_and_saveexec_b32 s26, s103
; %bb.931:                              ;   in Loop: Header=BB1_3 Depth=1
	s_delay_alu instid0(VALU_DEP_1)
	v_xor_b32_e32 v25, 0x80000000, v24
	ds_store_b32 v5, v25
; %bb.932:                              ;   in Loop: Header=BB1_3 Depth=1
	s_or_b32 exec_lo, exec_lo, s26
	s_wait_loadcnt_dscnt 0x0
	s_barrier_signal -1
	s_barrier_wait -1
	s_and_saveexec_b32 s26, s104
	s_cbranch_execz .LBB1_934
; %bb.933:                              ;   in Loop: Header=BB1_3 Depth=1
	ds_load_b32 v25, v7 offset:2336
	ds_load_b32 v27, v5
	s_wait_dscnt 0x0
	v_fma_f32 v24, -v25, v27, v24
.LBB1_934:                              ;   in Loop: Header=BB1_3 Depth=1
	s_or_b32 exec_lo, exec_lo, s26
	s_barrier_signal -1
	s_barrier_wait -1
	s_and_saveexec_b32 s26, s104
; %bb.935:                              ;   in Loop: Header=BB1_3 Depth=1
	v_xor_b32_e32 v25, 0x80000000, v24
	ds_store_b32 v5, v25
; %bb.936:                              ;   in Loop: Header=BB1_3 Depth=1
	s_or_b32 exec_lo, exec_lo, s26
	s_wait_dscnt 0x0
	s_barrier_signal -1
	s_barrier_wait -1
	s_barrier_signal -1
	s_barrier_wait -1
	s_and_saveexec_b32 s26, s2
; %bb.937:                              ;   in Loop: Header=BB1_3 Depth=1
	ds_store_b32 v34, v24 offset:2848
; %bb.938:                              ;   in Loop: Header=BB1_3 Depth=1
	s_or_b32 exec_lo, exec_lo, s26
	s_wait_dscnt 0x0
	s_barrier_signal -1
	s_barrier_wait -1
	s_barrier_signal -1
	s_barrier_wait -1
	s_and_saveexec_b32 s26, s13
; %bb.939:                              ;   in Loop: Header=BB1_3 Depth=1
	v_add_nc_u32_e64 v24, 0x800, 0
	ds_store_2addr_b32 v24, v60, v60 offset0:8 offset1:73
; %bb.940:                              ;   in Loop: Header=BB1_3 Depth=1
	s_or_b32 exec_lo, exec_lo, s26
	v_mov_b32_e32 v24, 0
	s_wait_dscnt 0x0
	s_barrier_signal -1
	s_barrier_wait -1
	global_wb scope:SCOPE_DEV
	s_wait_storecnt 0x0
	global_inv scope:SCOPE_DEV
	s_and_saveexec_b32 s65, s4
	s_cbranch_execz .LBB1_950
; %bb.941:                              ;   in Loop: Header=BB1_3 Depth=1
	ds_load_b32 v24, v38 offset:2048
	ds_load_b32 v25, v40 offset:3872
	s_wait_dscnt 0x0
	v_fma_f32 v24, v24, v25, 0
	s_and_saveexec_b32 s26, s17
	s_cbranch_execnz .LBB1_1155
; %bb.942:                              ;   in Loop: Header=BB1_3 Depth=1
	s_or_b32 exec_lo, exec_lo, s26
	s_and_saveexec_b32 s26, s18
	s_cbranch_execnz .LBB1_1156
.LBB1_943:                              ;   in Loop: Header=BB1_3 Depth=1
	s_or_b32 exec_lo, exec_lo, s26
	s_and_saveexec_b32 s26, s19
	s_cbranch_execnz .LBB1_1157
.LBB1_944:                              ;   in Loop: Header=BB1_3 Depth=1
	s_or_b32 exec_lo, exec_lo, s26
	s_and_saveexec_b32 s26, s20
	s_cbranch_execnz .LBB1_1158
.LBB1_945:                              ;   in Loop: Header=BB1_3 Depth=1
	s_or_b32 exec_lo, exec_lo, s26
	s_and_saveexec_b32 s26, s21
	s_cbranch_execnz .LBB1_1159
.LBB1_946:                              ;   in Loop: Header=BB1_3 Depth=1
	s_or_b32 exec_lo, exec_lo, s26
	s_and_saveexec_b32 s26, s3
	s_cbranch_execnz .LBB1_1160
.LBB1_947:                              ;   in Loop: Header=BB1_3 Depth=1
	s_or_b32 exec_lo, exec_lo, s26
	s_and_saveexec_b32 s26, s16
	s_cbranch_execz .LBB1_949
.LBB1_948:                              ;   in Loop: Header=BB1_3 Depth=1
	ds_load_b32 v25, v32 offset:3840
	ds_load_b32 v27, v7 offset:3900
	s_wait_dscnt 0x0
	v_fmac_f32_e32 v24, v25, v27
.LBB1_949:                              ;   in Loop: Header=BB1_3 Depth=1
	s_or_b32 exec_lo, exec_lo, s26
.LBB1_950:                              ;   in Loop: Header=BB1_3 Depth=1
	s_delay_alu instid0(SALU_CYCLE_1)
	s_or_b32 exec_lo, exec_lo, s65
	s_and_saveexec_b32 s26, s39
; %bb.951:                              ;   in Loop: Header=BB1_3 Depth=1
	s_delay_alu instid0(VALU_DEP_1)
	v_xor_b32_e32 v25, 0x80000000, v24
	ds_store_b32 v39, v25
; %bb.952:                              ;   in Loop: Header=BB1_3 Depth=1
	s_or_b32 exec_lo, exec_lo, s26
	s_wait_loadcnt_dscnt 0x0
	s_barrier_signal -1
	s_barrier_wait -1
	s_and_saveexec_b32 s26, s40
	s_cbranch_execz .LBB1_954
; %bb.953:                              ;   in Loop: Header=BB1_3 Depth=1
	ds_load_b32 v25, v38 offset:1792
	ds_load_b32 v27, v39
	s_wait_dscnt 0x0
	v_fma_f32 v24, -v25, v27, v24
.LBB1_954:                              ;   in Loop: Header=BB1_3 Depth=1
	s_or_b32 exec_lo, exec_lo, s26
	s_barrier_signal -1
	s_barrier_wait -1
	s_and_saveexec_b32 s26, s41
; %bb.955:                              ;   in Loop: Header=BB1_3 Depth=1
	v_xor_b32_e32 v25, 0x80000000, v24
	ds_store_b32 v39, v25
; %bb.956:                              ;   in Loop: Header=BB1_3 Depth=1
	s_or_b32 exec_lo, exec_lo, s26
	s_wait_dscnt 0x0
	s_barrier_signal -1
	s_barrier_wait -1
	s_and_saveexec_b32 s26, s42
	s_cbranch_execz .LBB1_958
; %bb.957:                              ;   in Loop: Header=BB1_3 Depth=1
	ds_load_b32 v25, v38 offset:1536
	ds_load_b32 v27, v39
	s_wait_dscnt 0x0
	v_fma_f32 v24, -v25, v27, v24
.LBB1_958:                              ;   in Loop: Header=BB1_3 Depth=1
	s_or_b32 exec_lo, exec_lo, s26
	s_barrier_signal -1
	s_barrier_wait -1
	s_and_saveexec_b32 s26, s43
; %bb.959:                              ;   in Loop: Header=BB1_3 Depth=1
	v_xor_b32_e32 v25, 0x80000000, v24
	ds_store_b32 v39, v25
; %bb.960:                              ;   in Loop: Header=BB1_3 Depth=1
	s_or_b32 exec_lo, exec_lo, s26
	s_wait_dscnt 0x0
	;; [unrolled: 20-line block ×7, first 2 shown]
	s_barrier_signal -1
	s_barrier_wait -1
	s_barrier_signal -1
	s_barrier_wait -1
	s_and_saveexec_b32 s26, s4
; %bb.981:                              ;   in Loop: Header=BB1_3 Depth=1
	ds_store_b32 v41, v24 offset:3840
; %bb.982:                              ;   in Loop: Header=BB1_3 Depth=1
	s_or_b32 exec_lo, exec_lo, s26
	s_wait_dscnt 0x0
	s_barrier_signal -1
	s_barrier_wait -1
	s_barrier_signal -1
	s_barrier_wait -1
	s_and_saveexec_b32 s26, s13
; %bb.983:                              ;   in Loop: Header=BB1_3 Depth=1
	v_add_nc_u32_e64 v24, 0x400, 0
	ds_store_2addr_b32 v24, v60, v60 offset0:134 offset1:199
; %bb.984:                              ;   in Loop: Header=BB1_3 Depth=1
	s_or_b32 exec_lo, exec_lo, s26
	v_mov_b32_e32 v24, 0
	s_wait_dscnt 0x0
	s_barrier_signal -1
	s_barrier_wait -1
	global_wb scope:SCOPE_DEV
	s_wait_storecnt 0x0
	global_inv scope:SCOPE_DEV
	s_and_saveexec_b32 s26, s2
	s_cbranch_execz .LBB1_988
; %bb.985:                              ;   in Loop: Header=BB1_3 Depth=1
	ds_load_b32 v24, v31 offset:1552
	ds_load_b32 v25, v30 offset:1816
	s_wait_dscnt 0x0
	v_fma_f32 v24, v24, v25, 0
	s_and_saveexec_b32 s28, s14
	s_cbranch_execz .LBB1_987
; %bb.986:                              ;   in Loop: Header=BB1_3 Depth=1
	ds_load_b32 v25, v32 offset:1808
	ds_load_b32 v27, v7 offset:1820
	s_wait_dscnt 0x0
	v_fmac_f32_e32 v24, v25, v27
.LBB1_987:                              ;   in Loop: Header=BB1_3 Depth=1
	s_or_b32 exec_lo, exec_lo, s28
.LBB1_988:                              ;   in Loop: Header=BB1_3 Depth=1
	s_delay_alu instid0(SALU_CYCLE_1)
	s_or_b32 exec_lo, exec_lo, s26
	s_and_saveexec_b32 s26, s103
; %bb.989:                              ;   in Loop: Header=BB1_3 Depth=1
	s_delay_alu instid0(VALU_DEP_1)
	v_xor_b32_e32 v25, 0x80000000, v24
	ds_store_b32 v5, v25
; %bb.990:                              ;   in Loop: Header=BB1_3 Depth=1
	s_or_b32 exec_lo, exec_lo, s26
	s_wait_loadcnt_dscnt 0x0
	s_barrier_signal -1
	s_barrier_wait -1
	s_and_saveexec_b32 s26, s104
	s_cbranch_execz .LBB1_992
; %bb.991:                              ;   in Loop: Header=BB1_3 Depth=1
	ds_load_b32 v25, v7 offset:1296
	ds_load_b32 v27, v5
	s_wait_dscnt 0x0
	v_fma_f32 v24, -v25, v27, v24
.LBB1_992:                              ;   in Loop: Header=BB1_3 Depth=1
	s_or_b32 exec_lo, exec_lo, s26
	s_barrier_signal -1
	s_barrier_wait -1
	s_and_saveexec_b32 s26, s104
; %bb.993:                              ;   in Loop: Header=BB1_3 Depth=1
	v_xor_b32_e32 v25, 0x80000000, v24
	ds_store_b32 v5, v25
; %bb.994:                              ;   in Loop: Header=BB1_3 Depth=1
	s_or_b32 exec_lo, exec_lo, s26
	s_wait_dscnt 0x0
	s_barrier_signal -1
	s_barrier_wait -1
	s_barrier_signal -1
	s_barrier_wait -1
	s_and_saveexec_b32 s26, s2
; %bb.995:                              ;   in Loop: Header=BB1_3 Depth=1
	ds_store_b32 v34, v24 offset:1808
; %bb.996:                              ;   in Loop: Header=BB1_3 Depth=1
	s_or_b32 exec_lo, exec_lo, s26
	s_wait_dscnt 0x0
	s_barrier_signal -1
	s_barrier_wait -1
	s_barrier_signal -1
	s_barrier_wait -1
	s_and_saveexec_b32 s26, s13
; %bb.997:                              ;   in Loop: Header=BB1_3 Depth=1
	v_add_nc_u32_e64 v24, 0x400, 0
	ds_store_2addr_b32 v24, v60, v60 offset0:4 offset1:69
; %bb.998:                              ;   in Loop: Header=BB1_3 Depth=1
	s_or_b32 exec_lo, exec_lo, s26
	v_mov_b32_e32 v24, 0
	s_wait_dscnt 0x0
	s_barrier_signal -1
	s_barrier_wait -1
	global_wb scope:SCOPE_DEV
	s_wait_storecnt 0x0
	global_inv scope:SCOPE_DEV
	s_and_saveexec_b32 s65, s3
	s_cbranch_execz .LBB1_1004
; %bb.999:                              ;   in Loop: Header=BB1_3 Depth=1
	ds_load_b32 v24, v33 offset:1024
	ds_load_b32 v25, v36 offset:1808
	s_wait_dscnt 0x0
	v_fma_f32 v24, v24, v25, 0
	s_and_saveexec_b32 s26, s15
	s_cbranch_execnz .LBB1_1161
; %bb.1000:                             ;   in Loop: Header=BB1_3 Depth=1
	s_or_b32 exec_lo, exec_lo, s26
	s_and_saveexec_b32 s26, s16
	s_cbranch_execnz .LBB1_1162
.LBB1_1001:                             ;   in Loop: Header=BB1_3 Depth=1
	s_or_b32 exec_lo, exec_lo, s26
	s_and_saveexec_b32 s26, s2
	s_cbranch_execz .LBB1_1003
.LBB1_1002:                             ;   in Loop: Header=BB1_3 Depth=1
	ds_load_b32 v25, v32 offset:1792
	ds_load_b32 v27, v7 offset:1820
	s_wait_dscnt 0x0
	v_fmac_f32_e32 v24, v25, v27
.LBB1_1003:                             ;   in Loop: Header=BB1_3 Depth=1
	s_or_b32 exec_lo, exec_lo, s26
.LBB1_1004:                             ;   in Loop: Header=BB1_3 Depth=1
	s_delay_alu instid0(SALU_CYCLE_1)
	s_or_b32 exec_lo, exec_lo, s65
	s_and_saveexec_b32 s26, vcc_hi
; %bb.1005:                             ;   in Loop: Header=BB1_3 Depth=1
	s_delay_alu instid0(VALU_DEP_1)
	v_xor_b32_e32 v25, 0x80000000, v24
	ds_store_b32 v35, v25
; %bb.1006:                             ;   in Loop: Header=BB1_3 Depth=1
	s_or_b32 exec_lo, exec_lo, s26
	s_wait_loadcnt_dscnt 0x0
	s_barrier_signal -1
	s_barrier_wait -1
	s_and_saveexec_b32 s26, s34
	s_cbranch_execz .LBB1_1008
; %bb.1007:                             ;   in Loop: Header=BB1_3 Depth=1
	ds_load_b32 v25, v33 offset:768
	ds_load_b32 v27, v35
	s_wait_dscnt 0x0
	v_fma_f32 v24, -v25, v27, v24
.LBB1_1008:                             ;   in Loop: Header=BB1_3 Depth=1
	s_or_b32 exec_lo, exec_lo, s26
	s_barrier_signal -1
	s_barrier_wait -1
	s_and_saveexec_b32 s26, s35
; %bb.1009:                             ;   in Loop: Header=BB1_3 Depth=1
	v_xor_b32_e32 v25, 0x80000000, v24
	ds_store_b32 v35, v25
; %bb.1010:                             ;   in Loop: Header=BB1_3 Depth=1
	s_or_b32 exec_lo, exec_lo, s26
	s_wait_dscnt 0x0
	s_barrier_signal -1
	s_barrier_wait -1
	s_and_saveexec_b32 s26, s36
	s_cbranch_execz .LBB1_1012
; %bb.1011:                             ;   in Loop: Header=BB1_3 Depth=1
	ds_load_b32 v25, v33 offset:512
	ds_load_b32 v27, v35
	s_wait_dscnt 0x0
	v_fma_f32 v24, -v25, v27, v24
.LBB1_1012:                             ;   in Loop: Header=BB1_3 Depth=1
	s_or_b32 exec_lo, exec_lo, s26
	s_barrier_signal -1
	s_barrier_wait -1
	s_and_saveexec_b32 s26, s37
; %bb.1013:                             ;   in Loop: Header=BB1_3 Depth=1
	v_xor_b32_e32 v25, 0x80000000, v24
	ds_store_b32 v35, v25
; %bb.1014:                             ;   in Loop: Header=BB1_3 Depth=1
	s_or_b32 exec_lo, exec_lo, s26
	s_wait_dscnt 0x0
	;; [unrolled: 20-line block ×3, first 2 shown]
	s_barrier_signal -1
	s_barrier_wait -1
	s_barrier_signal -1
	s_barrier_wait -1
	s_and_saveexec_b32 s26, s3
; %bb.1019:                             ;   in Loop: Header=BB1_3 Depth=1
	ds_store_b32 v37, v24 offset:1792
; %bb.1020:                             ;   in Loop: Header=BB1_3 Depth=1
	s_or_b32 exec_lo, exec_lo, s26
	s_wait_dscnt 0x0
	s_barrier_signal -1
	s_barrier_wait -1
	s_barrier_signal -1
	s_barrier_wait -1
	s_and_saveexec_b32 s26, s13
; %bb.1021:                             ;   in Loop: Header=BB1_3 Depth=1
	ds_store_2addr_b32 v7, v60, v60 offset0:130 offset1:195
; %bb.1022:                             ;   in Loop: Header=BB1_3 Depth=1
	s_or_b32 exec_lo, exec_lo, s26
	v_mov_b32_e32 v24, 0
	s_wait_dscnt 0x0
	s_barrier_signal -1
	s_barrier_wait -1
	global_wb scope:SCOPE_DEV
	s_wait_storecnt 0x0
	global_inv scope:SCOPE_DEV
	s_and_saveexec_b32 s26, s2
	s_cbranch_execz .LBB1_1026
; %bb.1023:                             ;   in Loop: Header=BB1_3 Depth=1
	ds_load_b32 v24, v31 offset:512
	ds_load_b32 v25, v30 offset:776
	s_wait_dscnt 0x0
	v_fma_f32 v24, v24, v25, 0
	s_and_saveexec_b32 s28, s14
	s_cbranch_execz .LBB1_1025
; %bb.1024:                             ;   in Loop: Header=BB1_3 Depth=1
	ds_load_b32 v25, v32 offset:768
	ds_load_b32 v27, v7 offset:780
	s_wait_dscnt 0x0
	v_fmac_f32_e32 v24, v25, v27
.LBB1_1025:                             ;   in Loop: Header=BB1_3 Depth=1
	s_or_b32 exec_lo, exec_lo, s28
.LBB1_1026:                             ;   in Loop: Header=BB1_3 Depth=1
	s_delay_alu instid0(SALU_CYCLE_1)
	s_or_b32 exec_lo, exec_lo, s26
	s_and_saveexec_b32 s26, s103
; %bb.1027:                             ;   in Loop: Header=BB1_3 Depth=1
	s_delay_alu instid0(VALU_DEP_1)
	v_xor_b32_e32 v25, 0x80000000, v24
	ds_store_b32 v5, v25
; %bb.1028:                             ;   in Loop: Header=BB1_3 Depth=1
	s_or_b32 exec_lo, exec_lo, s26
	s_wait_loadcnt_dscnt 0x0
	s_barrier_signal -1
	s_barrier_wait -1
	s_and_saveexec_b32 s26, s104
	s_cbranch_execz .LBB1_1030
; %bb.1029:                             ;   in Loop: Header=BB1_3 Depth=1
	ds_load_b32 v25, v7 offset:256
	ds_load_b32 v27, v5
	s_wait_dscnt 0x0
	v_fma_f32 v24, -v25, v27, v24
.LBB1_1030:                             ;   in Loop: Header=BB1_3 Depth=1
	s_or_b32 exec_lo, exec_lo, s26
	s_barrier_signal -1
	s_barrier_wait -1
	s_and_saveexec_b32 s26, s104
; %bb.1031:                             ;   in Loop: Header=BB1_3 Depth=1
	v_xor_b32_e32 v25, 0x80000000, v24
	ds_store_b32 v5, v25
; %bb.1032:                             ;   in Loop: Header=BB1_3 Depth=1
	s_or_b32 exec_lo, exec_lo, s26
	s_wait_dscnt 0x0
	s_barrier_signal -1
	s_barrier_wait -1
	s_barrier_signal -1
	s_barrier_wait -1
	s_and_saveexec_b32 s26, s2
; %bb.1033:                             ;   in Loop: Header=BB1_3 Depth=1
	ds_store_b32 v34, v24 offset:768
; %bb.1034:                             ;   in Loop: Header=BB1_3 Depth=1
	s_or_b32 exec_lo, exec_lo, s26
	s_wait_dscnt 0x0
	s_barrier_signal -1
	s_barrier_wait -1
	s_barrier_signal -1
	s_barrier_wait -1
	s_and_saveexec_b32 s26, s13
; %bb.1035:                             ;   in Loop: Header=BB1_3 Depth=1
	ds_store_2addr_b32 v7, v60, v60 offset1:65
; %bb.1036:                             ;   in Loop: Header=BB1_3 Depth=1
	s_or_b32 exec_lo, exec_lo, s26
.LBB1_1037:                             ;   in Loop: Header=BB1_3 Depth=1
	s_wait_kmcnt 0x0
	s_mul_u64 s[96:97], s[80:81], s[84:85]
	v_mov_b32_e32 v66, 0
	s_lshl_b64 s[96:97], s[96:97], 2
	s_wait_dscnt 0x0
	s_add_nc_u64 s[96:97], s[74:75], s[96:97]
	s_barrier_signal -1
	s_barrier_wait -1
	s_and_saveexec_b32 s26, s9
	s_cbranch_execz .LBB1_1039
; %bb.1038:                             ;   in Loop: Header=BB1_3 Depth=1
	v_lshl_add_u64 v[24:25], v[0:1], 2, s[96:97]
	global_load_b32 v24, v[24:25], off
	s_wait_loadcnt 0x0
	v_mul_f32_e64 v66, v24, -v26
.LBB1_1039:                             ;   in Loop: Header=BB1_3 Depth=1
	s_or_b32 exec_lo, exec_lo, s26
	s_delay_alu instid0(SALU_CYCLE_1)
	s_and_not1_b32 vcc_lo, exec_lo, s24
	s_cbranch_vccnz .LBB1_1065
; %bb.1040:                             ;   in Loop: Header=BB1_3 Depth=1
	v_lshl_add_u64 v[24:25], v[8:9], 2, s[94:95]
	v_mov_b32_e32 v67, -1
	s_lshl_b64 s[60:61], s[84:85], 2
	s_mov_b32 s65, 0
	s_add_nc_u64 s[94:95], s[82:83], s[60:61]
	s_branch .LBB1_1043
.LBB1_1041:                             ;   in Loop: Header=BB1_1043 Depth=2
	s_wait_xcnt 0x0
	ds_load_b32 v26, v51 offset:192
	s_wait_loadcnt_dscnt 0x0
	v_fmac_f32_e32 v66, v28, v26
.LBB1_1042:                             ;   in Loop: Header=BB1_1043 Depth=2
	s_or_b32 exec_lo, exec_lo, s26
	s_add_co_i32 s65, s65, 1
	s_delay_alu instid0(SALU_CYCLE_1)
	s_cmp_eq_u32 s65, s67
	s_cbranch_scc1 .LBB1_1065
.LBB1_1043:                             ;   Parent Loop BB1_3 Depth=1
                                        ; =>  This Loop Header: Depth=2
                                        ;       Child Loop BB1_1045 Depth 3
	v_cmp_gt_i32_e32 vcc_lo, s65, v67
	s_and_b32 s28, s57, vcc_lo
	s_delay_alu instid0(SALU_CYCLE_1)
	s_and_saveexec_b32 s26, s28
	s_cbranch_execz .LBB1_1046
; %bb.1044:                             ;   in Loop: Header=BB1_1043 Depth=2
	global_load_b32 v67, v7, s[94:95]
	s_wait_loadcnt 0x0
	v_cmp_le_i32_e32 vcc_lo, s65, v67
	s_cbranch_vccnz .LBB1_1046
.LBB1_1045:                             ;   Parent Loop BB1_3 Depth=1
                                        ;     Parent Loop BB1_1043 Depth=2
                                        ; =>    This Inner Loop Header: Depth=3
	global_wb scope:SCOPE_DEV
	s_wait_storecnt 0x0
	global_inv scope:SCOPE_DEV
	global_load_b32 v67, v7, s[94:95]
	s_wait_loadcnt 0x0
	v_cmp_gt_i32_e32 vcc_lo, s65, v67
	s_cbranch_vccnz .LBB1_1045
.LBB1_1046:                             ;   in Loop: Header=BB1_1043 Depth=2
	s_or_b32 exec_lo, exec_lo, s26
	s_sub_co_i32 s26, s99, s65
	global_wb scope:SCOPE_DEV
	s_wait_storecnt 0x0
	global_inv scope:SCOPE_DEV
	s_lshl_b32 s28, s26, 6
	s_wait_loadcnt 0x0
	s_barrier_signal -1
	s_barrier_wait -1
	s_and_saveexec_b32 s30, s58
	s_cbranch_execz .LBB1_1050
; %bb.1047:                             ;   in Loop: Header=BB1_1043 Depth=2
	s_ashr_i32 s33, s28, 31
	s_delay_alu instid0(SALU_CYCLE_1) | instskip(SKIP_2) | instid1(VALU_DEP_1)
	v_dual_mov_b32 v28, 0 :: v_dual_mov_b32 v27, s33
	v_or_b32_e32 v26, s28, v6
	s_mov_b32 s33, exec_lo
	v_cmpx_gt_i64_e64 s[86:87], v[26:27]
	s_cbranch_execz .LBB1_1049
; %bb.1048:                             ;   in Loop: Header=BB1_1043 Depth=2
	v_mul_u64_e32 v[26:27], s[78:79], v[26:27]
	s_delay_alu instid0(VALU_DEP_1)
	v_lshl_add_u64 v[26:27], v[26:27], 2, s[96:97]
	global_load_b32 v28, v[26:27], off
.LBB1_1049:                             ;   in Loop: Header=BB1_1043 Depth=2
	s_wait_xcnt 0x0
	s_or_b32 exec_lo, exec_lo, s33
	s_wait_loadcnt 0x0
	ds_store_b32 v50, v28
.LBB1_1050:                             ;   in Loop: Header=BB1_1043 Depth=2
	s_or_b32 exec_lo, exec_lo, s30
	v_add_nc_u32_e32 v28, s28, v2
	s_cmp_lg_u32 s26, s64
	s_wait_dscnt 0x0
	s_cselect_b32 s28, -1, 0
	s_barrier_signal -1
	v_ashrrev_i32_e32 v29, 31, v28
	v_cmp_gt_i32_e32 vcc_lo, s86, v28
	s_barrier_wait -1
	s_delay_alu instid0(VALU_DEP_2) | instskip(SKIP_2) | instid1(VALU_DEP_2)
	v_mul_u64_e32 v[26:27], s[68:69], v[28:29]
	v_cndmask_b32_e64 v29, 0, 1, s28
	s_and_b32 s30, s8, vcc_lo
	v_lshl_add_u64 v[26:27], v[26:27], 2, v[24:25]
	s_and_saveexec_b32 s26, s30
	s_cbranch_execz .LBB1_1054
; %bb.1051:                             ;   in Loop: Header=BB1_1043 Depth=2
	v_mov_b32_e32 v68, v63
	s_and_not1_b32 vcc_lo, exec_lo, s28
	s_cbranch_vccnz .LBB1_1053
; %bb.1052:                             ;   in Loop: Header=BB1_1043 Depth=2
	global_load_b32 v68, v[26:27], off
.LBB1_1053:                             ;   in Loop: Header=BB1_1043 Depth=2
	ds_load_b32 v69, v51
	s_wait_loadcnt_dscnt 0x0
	v_fmac_f32_e32 v66, v68, v69
.LBB1_1054:                             ;   in Loop: Header=BB1_1043 Depth=2
	s_or_b32 exec_lo, exec_lo, s26
	v_add_nc_u32_e32 v68, 16, v28
	s_delay_alu instid0(VALU_DEP_1) | instskip(SKIP_1) | instid1(SALU_CYCLE_1)
	v_cmp_gt_i32_e32 vcc_lo, s86, v68
	s_and_b32 s28, s8, vcc_lo
	s_and_saveexec_b32 s26, s28
	s_cbranch_execz .LBB1_1058
; %bb.1055:                             ;   in Loop: Header=BB1_1043 Depth=2
	v_cmp_ne_u32_e32 vcc_lo, 1, v29
	v_mov_b32_e32 v68, v62
	s_cbranch_vccnz .LBB1_1057
; %bb.1056:                             ;   in Loop: Header=BB1_1043 Depth=2
	v_add_nc_u64_e32 v[68:69], s[0:1], v[26:27]
	global_load_b32 v68, v[68:69], off
.LBB1_1057:                             ;   in Loop: Header=BB1_1043 Depth=2
	s_wait_xcnt 0x0
	ds_load_b32 v69, v51 offset:64
	s_wait_loadcnt_dscnt 0x0
	v_fmac_f32_e32 v66, v68, v69
.LBB1_1058:                             ;   in Loop: Header=BB1_1043 Depth=2
	s_or_b32 exec_lo, exec_lo, s26
	v_add_nc_u32_e32 v68, 32, v28
	s_delay_alu instid0(VALU_DEP_1) | instskip(SKIP_1) | instid1(SALU_CYCLE_1)
	v_cmp_gt_i32_e32 vcc_lo, s86, v68
	s_and_b32 s28, s8, vcc_lo
	s_and_saveexec_b32 s26, s28
	s_cbranch_execz .LBB1_1062
; %bb.1059:                             ;   in Loop: Header=BB1_1043 Depth=2
	v_cmp_ne_u32_e32 vcc_lo, 1, v29
	v_mov_b32_e32 v68, v64
	s_cbranch_vccnz .LBB1_1061
; %bb.1060:                             ;   in Loop: Header=BB1_1043 Depth=2
	v_add_nc_u64_e32 v[68:69], s[90:91], v[26:27]
	global_load_b32 v68, v[68:69], off
.LBB1_1061:                             ;   in Loop: Header=BB1_1043 Depth=2
	s_wait_xcnt 0x0
	ds_load_b32 v69, v51 offset:128
	s_wait_loadcnt_dscnt 0x0
	v_fmac_f32_e32 v66, v68, v69
.LBB1_1062:                             ;   in Loop: Header=BB1_1043 Depth=2
	s_or_b32 exec_lo, exec_lo, s26
	v_add_nc_u32_e32 v28, 48, v28
	s_delay_alu instid0(VALU_DEP_1) | instskip(SKIP_1) | instid1(SALU_CYCLE_1)
	v_cmp_gt_i32_e32 vcc_lo, s86, v28
	s_and_b32 s28, s8, vcc_lo
	s_and_saveexec_b32 s26, s28
	s_cbranch_execz .LBB1_1042
; %bb.1063:                             ;   in Loop: Header=BB1_1043 Depth=2
	v_cmp_ne_u32_e32 vcc_lo, 1, v29
	v_mov_b32_e32 v28, v65
	s_cbranch_vccnz .LBB1_1041
; %bb.1064:                             ;   in Loop: Header=BB1_1043 Depth=2
	v_add_nc_u64_e32 v[26:27], s[92:93], v[26:27]
	global_load_b32 v28, v[26:27], off
	s_branch .LBB1_1041
.LBB1_1065:                             ;   in Loop: Header=BB1_3 Depth=1
	ds_store_b32 v52, v66
	s_wait_dscnt 0x0
	s_barrier_signal -1
	s_barrier_wait -1
	s_and_saveexec_b32 s65, s7
	s_cbranch_execz .LBB1_1067
; %bb.1066:                             ;   in Loop: Header=BB1_3 Depth=1
	ds_load_2addr_stride64_b32 v[24:25], v53 offset0:1 offset1:2
	ds_load_2addr_stride64_b32 v[26:27], v53 offset0:3 offset1:4
	;; [unrolled: 1-line block ×4, first 2 shown]
	v_readlane_b32 s26, v74, 11
	s_wait_dscnt 0x3
	v_add_f32_e32 v24, v66, v24
	s_delay_alu instid0(VALU_DEP_1) | instskip(SKIP_1) | instid1(VALU_DEP_1)
	v_add_f32_e32 v24, v24, v25
	s_wait_dscnt 0x2
	v_add_f32_e32 v24, v24, v26
	s_delay_alu instid0(VALU_DEP_1) | instskip(SKIP_1) | instid1(VALU_DEP_1)
	v_add_f32_e32 v24, v24, v27
	s_wait_dscnt 0x1
	v_add_f32_e32 v26, v24, v28
	ds_load_2addr_stride64_b32 v[24:25], v53 offset0:9 offset1:10
	v_add_f32_e32 v26, v26, v29
	s_wait_dscnt 0x1
	s_delay_alu instid0(VALU_DEP_1)
	v_add_f32_e32 v28, v26, v68
	ds_load_2addr_stride64_b32 v[26:27], v53 offset0:11 offset1:12
	v_add_f32_e32 v66, v28, v69
	ds_load_2addr_stride64_b32 v[28:29], v53 offset0:13 offset1:14
	ds_load_b32 v67, v53 offset:3840
	s_wait_dscnt 0x3
	v_add_f32_e32 v24, v66, v24
	s_delay_alu instid0(VALU_DEP_1) | instskip(SKIP_1) | instid1(VALU_DEP_1)
	v_add_f32_e32 v24, v24, v25
	s_wait_dscnt 0x2
	v_add_f32_e32 v24, v24, v26
	s_delay_alu instid0(VALU_DEP_1) | instskip(SKIP_1) | instid1(VALU_DEP_1)
	v_add_f32_e32 v24, v24, v27
	;; [unrolled: 4-line block ×3, first 2 shown]
	s_wait_dscnt 0x0
	v_add_f32_e32 v24, v24, v67
	s_delay_alu instid0(VALU_DEP_1)
	v_cndmask_b32_e64 v66, -v24, 0, s26
.LBB1_1067:                             ;   in Loop: Header=BB1_3 Depth=1
	s_or_b32 exec_lo, exec_lo, s65
	s_delay_alu instid0(SALU_CYCLE_1)
	s_and_not1_b32 vcc_lo, exec_lo, s102
	s_cbranch_vccnz .LBB1_1080
; %bb.1068:                             ;   in Loop: Header=BB1_3 Depth=1
	s_and_saveexec_b32 s26, s7
; %bb.1069:                             ;   in Loop: Header=BB1_3 Depth=1
	ds_store_b32 v55, v66
; %bb.1070:                             ;   in Loop: Header=BB1_3 Depth=1
	s_or_b32 exec_lo, exec_lo, s26
	v_mov_b32_e32 v24, 0
	s_wait_dscnt 0x0
	s_barrier_signal -1
	s_barrier_wait -1
	s_mov_b32 s26, exec_lo
	v_readlane_b32 s28, v73, 27
	s_and_b32 s28, s26, s28
	s_delay_alu instid0(SALU_CYCLE_1)
	s_mov_b32 exec_lo, s28
	s_cbranch_execz .LBB1_1072
; %bb.1071:                             ;   in Loop: Header=BB1_3 Depth=1
	ds_load_b32 v24, v54
	ds_load_b32 v25, v51
	s_wait_dscnt 0x0
	v_fma_f32 v24, v24, v25, 0
.LBB1_1072:                             ;   in Loop: Header=BB1_3 Depth=1
	s_or_b32 exec_lo, exec_lo, s26
	s_delay_alu instid0(SALU_CYCLE_1) | instskip(SKIP_2) | instid1(SALU_CYCLE_1)
	s_mov_b32 s26, exec_lo
	v_readlane_b32 s28, v73, 28
	s_and_b32 s28, s26, s28
	s_mov_b32 exec_lo, s28
	s_cbranch_execz .LBB1_1074
; %bb.1073:                             ;   in Loop: Header=BB1_3 Depth=1
	ds_load_b32 v25, v54 offset:4096
	ds_load_b32 v26, v51 offset:64
	s_wait_dscnt 0x0
	v_fmac_f32_e32 v24, v25, v26
.LBB1_1074:                             ;   in Loop: Header=BB1_3 Depth=1
	s_or_b32 exec_lo, exec_lo, s26
	s_delay_alu instid0(SALU_CYCLE_1) | instskip(SKIP_2) | instid1(SALU_CYCLE_1)
	s_mov_b32 s26, exec_lo
	v_readlane_b32 s28, v73, 29
	s_and_b32 s28, s26, s28
	s_mov_b32 exec_lo, s28
	s_cbranch_execz .LBB1_1076
; %bb.1075:                             ;   in Loop: Header=BB1_3 Depth=1
	ds_load_b32 v25, v54 offset:8192
	ds_load_b32 v26, v51 offset:128
	s_wait_dscnt 0x0
	v_fmac_f32_e32 v24, v25, v26
.LBB1_1076:                             ;   in Loop: Header=BB1_3 Depth=1
	s_or_b32 exec_lo, exec_lo, s26
	s_delay_alu instid0(SALU_CYCLE_1) | instskip(SKIP_2) | instid1(SALU_CYCLE_1)
	s_mov_b32 s26, exec_lo
	v_readlane_b32 s28, v73, 30
	s_and_b32 s28, s26, s28
	s_mov_b32 exec_lo, s28
	s_cbranch_execz .LBB1_1078
; %bb.1077:                             ;   in Loop: Header=BB1_3 Depth=1
	ds_load_b32 v25, v54 offset:12288
	ds_load_b32 v26, v51 offset:192
	s_wait_dscnt 0x0
	v_fmac_f32_e32 v24, v25, v26
.LBB1_1078:                             ;   in Loop: Header=BB1_3 Depth=1
	s_or_b32 exec_lo, exec_lo, s26
	s_mov_b32 s65, 0
	s_mov_b32 s94, 0
	ds_store_b32 v52, v24
	s_wait_dscnt 0x0
	s_barrier_signal -1
	s_barrier_wait -1
                                        ; implicit-def: $vgpr25
	s_and_saveexec_b32 s95, s7
	s_cbranch_execz .LBB1_1109
; %bb.1079:                             ;   in Loop: Header=BB1_3 Depth=1
	ds_load_2addr_stride64_b32 v[26:27], v53 offset0:1 offset1:2
	ds_load_2addr_stride64_b32 v[28:29], v53 offset0:3 offset1:4
	;; [unrolled: 1-line block ×4, first 2 shown]
	s_mov_b32 s94, exec_lo
	s_wait_dscnt 0x3
	v_add_f32_e32 v24, v24, v26
	s_delay_alu instid0(VALU_DEP_1) | instskip(SKIP_1) | instid1(VALU_DEP_1)
	v_add_f32_e32 v24, v27, v24
	s_wait_dscnt 0x2
	v_add_f32_e32 v24, v28, v24
	s_delay_alu instid0(VALU_DEP_1) | instskip(SKIP_1) | instid1(VALU_DEP_1)
	v_add_f32_e32 v24, v29, v24
	s_wait_dscnt 0x1
	v_add_f32_e32 v26, v68, v24
	ds_load_2addr_stride64_b32 v[24:25], v53 offset0:9 offset1:10
	v_add_f32_e32 v26, v69, v26
	s_wait_dscnt 0x1
	s_delay_alu instid0(VALU_DEP_1)
	v_add_f32_e32 v28, v70, v26
	ds_load_2addr_stride64_b32 v[26:27], v53 offset0:11 offset1:12
	v_add_f32_e32 v67, v71, v28
	ds_load_2addr_stride64_b32 v[28:29], v53 offset0:13 offset1:14
	ds_load_b32 v68, v53 offset:3840
	s_wait_dscnt 0x3
	v_add_f32_e32 v24, v24, v67
	s_delay_alu instid0(VALU_DEP_1) | instskip(SKIP_1) | instid1(VALU_DEP_1)
	v_add_f32_e32 v24, v25, v24
	s_wait_dscnt 0x2
	v_add_f32_e32 v24, v26, v24
	s_delay_alu instid0(VALU_DEP_1) | instskip(SKIP_1) | instid1(VALU_DEP_1)
	v_add_f32_e32 v24, v27, v24
	;; [unrolled: 4-line block ×3, first 2 shown]
	s_wait_dscnt 0x0
	v_add_f32_e32 v25, v68, v24
	s_or_b32 exec_lo, exec_lo, s95
	s_delay_alu instid0(SALU_CYCLE_1)
	s_and_b32 vcc_lo, exec_lo, s65
	s_cbranch_vccnz .LBB1_1081
	s_branch .LBB1_1110
.LBB1_1080:                             ;   in Loop: Header=BB1_3 Depth=1
	s_mov_b32 s94, 0
                                        ; implicit-def: $vgpr25
	s_cbranch_execz .LBB1_1110
.LBB1_1081:                             ;   in Loop: Header=BB1_3 Depth=1
	v_dual_mov_b32 v24, v59 :: v_dual_mov_b32 v25, v58
	s_mov_b32 s65, 63
	s_branch .LBB1_1083
.LBB1_1082:                             ;   in Loop: Header=BB1_1083 Depth=2
	s_or_b32 exec_lo, exec_lo, s28
	v_add_nc_u32_e32 v25, 0xfffffc00, v25
	v_add_nc_u32_e32 v24, 4, v24
	s_add_co_i32 s65, s65, -4
	s_cmp_lg_u32 s26, 0
	s_barrier_signal -1
	s_barrier_wait -1
	s_cbranch_scc0 .LBB1_1099
.LBB1_1083:                             ;   Parent Loop BB1_3 Depth=1
                                        ; =>  This Inner Loop Header: Depth=2
	s_delay_alu instid0(VALU_DEP_1) | instskip(SKIP_1) | instid1(SALU_CYCLE_1)
	v_cmp_eq_u32_e32 vcc_lo, 0, v24
	s_and_b32 s28, s7, vcc_lo
	s_and_saveexec_b32 s26, s28
; %bb.1084:                             ;   in Loop: Header=BB1_1083 Depth=2
	ds_store_b32 v7, v66 offset:20736
; %bb.1085:                             ;   in Loop: Header=BB1_1083 Depth=2
	s_or_b32 exec_lo, exec_lo, s26
	v_cmp_gt_u32_e32 vcc_lo, s65, v4
	s_wait_dscnt 0x0
	s_barrier_signal -1
	s_barrier_wait -1
	s_and_b32 s28, s7, vcc_lo
	s_delay_alu instid0(SALU_CYCLE_1)
	s_and_saveexec_b32 s26, s28
	s_cbranch_execz .LBB1_1087
; %bb.1086:                             ;   in Loop: Header=BB1_1083 Depth=2
	ds_load_b32 v26, v25 offset:768
	ds_load_b32 v27, v7 offset:20736
	s_wait_dscnt 0x0
	v_fmac_f32_e32 v66, v26, v27
.LBB1_1087:                             ;   in Loop: Header=BB1_1083 Depth=2
	s_or_b32 exec_lo, exec_lo, s26
	s_add_co_i32 s26, s65, -1
	s_delay_alu instid0(SALU_CYCLE_1) | instskip(SKIP_3) | instid1(SALU_CYCLE_1)
	v_cmp_eq_u32_e32 vcc_lo, s26, v4
	s_barrier_signal -1
	s_barrier_wait -1
	s_and_b32 s30, s7, vcc_lo
	s_and_saveexec_b32 s28, s30
; %bb.1088:                             ;   in Loop: Header=BB1_1083 Depth=2
	ds_store_b32 v7, v66 offset:20736
; %bb.1089:                             ;   in Loop: Header=BB1_1083 Depth=2
	s_or_b32 exec_lo, exec_lo, s28
	v_cmp_gt_u32_e32 vcc_lo, s26, v4
	s_wait_dscnt 0x0
	s_barrier_signal -1
	s_barrier_wait -1
	s_and_b32 s28, s7, vcc_lo
	s_delay_alu instid0(SALU_CYCLE_1)
	s_and_saveexec_b32 s26, s28
	s_cbranch_execz .LBB1_1091
; %bb.1090:                             ;   in Loop: Header=BB1_1083 Depth=2
	ds_load_b32 v26, v25 offset:512
	ds_load_b32 v27, v7 offset:20736
	s_wait_dscnt 0x0
	v_fmac_f32_e32 v66, v26, v27
.LBB1_1091:                             ;   in Loop: Header=BB1_1083 Depth=2
	s_or_b32 exec_lo, exec_lo, s26
	s_add_co_i32 s26, s65, -2
	s_delay_alu instid0(SALU_CYCLE_1) | instskip(SKIP_3) | instid1(SALU_CYCLE_1)
	v_cmp_eq_u32_e32 vcc_lo, s26, v4
	s_barrier_signal -1
	s_barrier_wait -1
	s_and_b32 s30, s7, vcc_lo
	s_and_saveexec_b32 s28, s30
; %bb.1092:                             ;   in Loop: Header=BB1_1083 Depth=2
	ds_store_b32 v7, v66 offset:20736
; %bb.1093:                             ;   in Loop: Header=BB1_1083 Depth=2
	s_or_b32 exec_lo, exec_lo, s28
	v_cmp_gt_u32_e32 vcc_lo, s26, v4
	s_wait_dscnt 0x0
	s_barrier_signal -1
	s_barrier_wait -1
	s_and_b32 s28, s7, vcc_lo
	s_delay_alu instid0(SALU_CYCLE_1)
	s_and_saveexec_b32 s26, s28
	s_cbranch_execz .LBB1_1095
; %bb.1094:                             ;   in Loop: Header=BB1_1083 Depth=2
	ds_load_b32 v26, v25 offset:256
	ds_load_b32 v27, v7 offset:20736
	s_wait_dscnt 0x0
	v_fmac_f32_e32 v66, v26, v27
.LBB1_1095:                             ;   in Loop: Header=BB1_1083 Depth=2
	s_or_b32 exec_lo, exec_lo, s26
	s_add_co_i32 s26, s65, -3
	s_delay_alu instid0(SALU_CYCLE_1) | instskip(SKIP_3) | instid1(SALU_CYCLE_1)
	v_cmp_eq_u32_e32 vcc_lo, s26, v4
	s_barrier_signal -1
	s_barrier_wait -1
	s_and_b32 s30, s7, vcc_lo
	s_and_saveexec_b32 s28, s30
; %bb.1096:                             ;   in Loop: Header=BB1_1083 Depth=2
	ds_store_b32 v7, v66 offset:20736
; %bb.1097:                             ;   in Loop: Header=BB1_1083 Depth=2
	s_or_b32 exec_lo, exec_lo, s28
	v_cmp_gt_u32_e32 vcc_lo, s26, v4
	s_wait_dscnt 0x0
	s_barrier_signal -1
	s_barrier_wait -1
	s_and_b32 s30, s7, vcc_lo
	s_delay_alu instid0(SALU_CYCLE_1)
	s_and_saveexec_b32 s28, s30
	s_cbranch_execz .LBB1_1082
; %bb.1098:                             ;   in Loop: Header=BB1_1083 Depth=2
	ds_load_b32 v26, v25
	ds_load_b32 v27, v7 offset:20736
	s_wait_dscnt 0x0
	v_fmac_f32_e32 v66, v26, v27
	s_branch .LBB1_1082
.LBB1_1099:                             ;   in Loop: Header=BB1_3 Depth=1
	s_and_b32 vcc_lo, exec_lo, s100
	s_mov_b32 s26, -1
	s_cbranch_vccnz .LBB1_1111
; %bb.1100:                             ;   in Loop: Header=BB1_3 Depth=1
	s_and_not1_b32 vcc_lo, exec_lo, s26
	s_cbranch_vccz .LBB1_1112
.LBB1_1101:                             ;   in Loop: Header=BB1_3 Depth=1
	s_and_saveexec_b32 s26, s94
	s_cbranch_execz .LBB1_1103
.LBB1_1102:                             ;   in Loop: Header=BB1_3 Depth=1
	v_lshl_add_u64 v[24:25], v[12:13], 2, s[96:97]
	global_store_b32 v[24:25], v66, off
.LBB1_1103:                             ;   in Loop: Header=BB1_3 Depth=1
	s_wait_xcnt 0x0
	s_or_b32 exec_lo, exec_lo, s26
	global_wb scope:SCOPE_DEV
	s_wait_storecnt 0x0
	global_inv scope:SCOPE_DEV
	s_wait_loadcnt 0x0
	s_barrier_signal -1
	s_barrier_wait -1
	s_and_saveexec_b32 s26, s57
	s_cbranch_execz .LBB1_2
; %bb.1104:                             ;   in Loop: Header=BB1_3 Depth=1
	s_lshl_b64 s[60:61], s[84:85], 2
	s_delay_alu instid0(SALU_CYCLE_1)
	s_add_nc_u64 s[60:61], s[82:83], s[60:61]
	global_load_b32 v24, v7, s[60:61]
	s_wait_loadcnt 0x0
	v_add_nc_u32_e32 v24, 1, v24
	global_store_b32 v7, v24, s[60:61]
	s_branch .LBB1_2
.LBB1_1105:                             ;   in Loop: Header=BB1_3 Depth=1
	v_readlane_b32 s26, v73, 31
	s_and_b32 s26, s26, exec_lo
	s_or_saveexec_b32 s28, s28
	v_mov_b32_e32 v27, 0
	s_xor_b32 exec_lo, exec_lo, s28
	s_cbranch_execz .LBB1_16
.LBB1_1106:                             ;   in Loop: Header=BB1_3 Depth=1
	v_lshl_add_u64 v[28:29], v[14:15], 2, v[24:25]
	s_or_b32 s26, s26, exec_lo
	global_load_b32 v27, v[28:29], off
	s_wait_loadcnt 0x0
	v_xor_b32_e32 v27, 0x80000000, v27
	s_or_b32 exec_lo, exec_lo, s28
	s_and_saveexec_b32 s28, s26
	s_cbranch_execnz .LBB1_17
	s_branch .LBB1_18
.LBB1_1107:                             ;   in Loop: Header=BB1_3 Depth=1
	v_readlane_b32 s26, v73, 31
	s_and_b32 s26, s26, exec_lo
	s_or_saveexec_b32 s28, s28
	v_mov_b32_e32 v27, 0
	s_xor_b32 exec_lo, exec_lo, s28
	s_cbranch_execz .LBB1_40
.LBB1_1108:                             ;   in Loop: Header=BB1_3 Depth=1
	v_lshl_add_u64 v[28:29], v[14:15], 2, v[24:25]
	s_or_b32 s26, s26, exec_lo
	global_load_b32 v27, v[28:29], off
	s_wait_loadcnt 0x0
	v_xor_b32_e32 v27, 0x80000000, v27
	s_or_b32 exec_lo, exec_lo, s28
	s_and_saveexec_b32 s28, s26
	s_cbranch_execnz .LBB1_41
	s_branch .LBB1_42
.LBB1_1109:                             ;   in Loop: Header=BB1_3 Depth=1
	s_or_b32 exec_lo, exec_lo, s95
	s_delay_alu instid0(SALU_CYCLE_1)
	s_and_b32 vcc_lo, exec_lo, s65
	s_cbranch_vccnz .LBB1_1081
.LBB1_1110:                             ;   in Loop: Header=BB1_3 Depth=1
	v_mov_b32_e32 v66, v25
	s_and_saveexec_b32 s26, s94
	s_cbranch_execnz .LBB1_1102
	s_branch .LBB1_1103
.LBB1_1111:                             ;   in Loop: Header=BB1_3 Depth=1
	s_and_not1_b32 s28, s94, exec_lo
	s_and_b32 s30, s7, exec_lo
	s_delay_alu instid0(SALU_CYCLE_1)
	s_or_b32 s94, s28, s30
	s_cbranch_execnz .LBB1_1101
.LBB1_1112:                             ;   in Loop: Header=BB1_3 Depth=1
	v_readlane_b32 s28, v74, 12
	s_and_not1_b32 s26, s94, exec_lo
	s_and_b32 s28, s28, exec_lo
	s_delay_alu instid0(SALU_CYCLE_1) | instskip(NEXT) | instid1(SALU_CYCLE_1)
	s_or_b32 s94, s26, s28
	s_and_saveexec_b32 s26, s94
	s_cbranch_execnz .LBB1_1102
	s_branch .LBB1_1103
.LBB1_1113:                             ;   in Loop: Header=BB1_3 Depth=1
	ds_load_b32 v25, v33 offset:15840
	ds_load_b32 v27, v36 offset:16372
	s_wait_dscnt 0x0
	v_fmac_f32_e32 v24, v25, v27
	s_or_b32 exec_lo, exec_lo, s26
	s_and_saveexec_b32 s26, s16
	s_cbranch_execz .LBB1_81
.LBB1_1114:                             ;   in Loop: Header=BB1_3 Depth=1
	ds_load_b32 v25, v33 offset:16096
	ds_load_b32 v27, v36 offset:16376
	s_wait_dscnt 0x0
	v_fmac_f32_e32 v24, v25, v27
	s_or_b32 exec_lo, exec_lo, s26
	s_and_saveexec_b32 s26, s2
	s_cbranch_execnz .LBB1_82
	s_branch .LBB1_83
.LBB1_1115:                             ;   in Loop: Header=BB1_3 Depth=1
	ds_load_b32 v25, v38 offset:14784
	ds_load_b32 v27, v40 offset:16356
	s_wait_dscnt 0x0
	v_fmac_f32_e32 v24, v25, v27
	s_or_b32 exec_lo, exec_lo, s26
	s_and_saveexec_b32 s26, s18
	s_cbranch_execz .LBB1_119
.LBB1_1116:                             ;   in Loop: Header=BB1_3 Depth=1
	ds_load_b32 v25, v38 offset:15040
	ds_load_b32 v27, v40 offset:16360
	s_wait_dscnt 0x0
	v_fmac_f32_e32 v24, v25, v27
	s_or_b32 exec_lo, exec_lo, s26
	s_and_saveexec_b32 s26, s19
	s_cbranch_execz .LBB1_120
.LBB1_1117:                             ;   in Loop: Header=BB1_3 Depth=1
	ds_load_b32 v25, v38 offset:15296
	ds_load_b32 v27, v40 offset:16364
	s_wait_dscnt 0x0
	v_fmac_f32_e32 v24, v25, v27
	s_or_b32 exec_lo, exec_lo, s26
	s_and_saveexec_b32 s26, s20
	s_cbranch_execz .LBB1_121
.LBB1_1118:                             ;   in Loop: Header=BB1_3 Depth=1
	ds_load_b32 v25, v38 offset:15552
	ds_load_b32 v27, v40 offset:16368
	s_wait_dscnt 0x0
	v_fmac_f32_e32 v24, v25, v27
	s_or_b32 exec_lo, exec_lo, s26
	s_and_saveexec_b32 s26, s21
	s_cbranch_execz .LBB1_122
.LBB1_1119:                             ;   in Loop: Header=BB1_3 Depth=1
	ds_load_b32 v25, v38 offset:15808
	ds_load_b32 v27, v40 offset:16372
	s_wait_dscnt 0x0
	v_fmac_f32_e32 v24, v25, v27
	s_or_b32 exec_lo, exec_lo, s26
	s_and_saveexec_b32 s26, s3
	s_cbranch_execz .LBB1_123
.LBB1_1120:                             ;   in Loop: Header=BB1_3 Depth=1
	ds_load_b32 v25, v38 offset:16064
	ds_load_b32 v27, v40 offset:16376
	s_wait_dscnt 0x0
	v_fmac_f32_e32 v24, v25, v27
	s_or_b32 exec_lo, exec_lo, s26
	s_and_saveexec_b32 s26, s16
	s_cbranch_execnz .LBB1_124
	s_branch .LBB1_125
.LBB1_1121:                             ;   in Loop: Header=BB1_3 Depth=1
	ds_load_b32 v25, v33 offset:13760
	ds_load_b32 v27, v36 offset:14292
	s_wait_dscnt 0x0
	v_fmac_f32_e32 v24, v25, v27
	s_or_b32 exec_lo, exec_lo, s26
	s_and_saveexec_b32 s26, s16
	s_cbranch_execz .LBB1_177
.LBB1_1122:                             ;   in Loop: Header=BB1_3 Depth=1
	ds_load_b32 v25, v33 offset:14016
	ds_load_b32 v27, v36 offset:14296
	s_wait_dscnt 0x0
	v_fmac_f32_e32 v24, v25, v27
	s_or_b32 exec_lo, exec_lo, s26
	s_and_saveexec_b32 s26, s2
	s_cbranch_execnz .LBB1_178
	s_branch .LBB1_179
.LBB1_1123:                             ;   in Loop: Header=BB1_3 Depth=1
	ds_load_b32 v25, v42 offset:15232
	ds_load_b32 v27, v45 offset:16364
	s_wait_dscnt 0x0
	v_fmac_f32_e32 v24, v25, v27
	s_or_b32 exec_lo, exec_lo, s26
	s_and_saveexec_b32 s26, s4
	s_cbranch_execz .LBB1_235
.LBB1_1124:                             ;   in Loop: Header=BB1_3 Depth=1
	ds_load_b32 v25, v42 offset:15488
	ds_load_b32 v27, v45 offset:16368
	s_wait_dscnt 0x0
	v_fmac_f32_e32 v24, v25, v27
	s_or_b32 exec_lo, exec_lo, s26
	s_and_saveexec_b32 s26, s18
	s_cbranch_execz .LBB1_236
.LBB1_1125:                             ;   in Loop: Header=BB1_3 Depth=1
	ds_load_b32 v25, v42 offset:15744
	ds_load_b32 v27, v45 offset:16372
	s_wait_dscnt 0x0
	v_fmac_f32_e32 v24, v25, v27
	s_or_b32 exec_lo, exec_lo, s26
	s_and_saveexec_b32 s26, s20
	s_cbranch_execz .LBB1_237
.LBB1_1126:                             ;   in Loop: Header=BB1_3 Depth=1
	ds_load_b32 v25, v42 offset:16000
	ds_load_b32 v27, v45 offset:16376
	s_wait_dscnt 0x0
	v_fmac_f32_e32 v24, v25, v27
	s_or_b32 exec_lo, exec_lo, s26
	s_and_saveexec_b32 s26, s3
	s_cbranch_execnz .LBB1_238
	s_branch .LBB1_239
.LBB1_1127:                             ;   in Loop: Header=BB1_3 Depth=1
	ds_load_b32 v25, v33 offset:11680
	ds_load_b32 v27, v36 offset:12212
	s_wait_dscnt 0x0
	v_fmac_f32_e32 v24, v25, v27
	s_or_b32 exec_lo, exec_lo, s26
	s_and_saveexec_b32 s26, s16
	s_cbranch_execz .LBB1_323
.LBB1_1128:                             ;   in Loop: Header=BB1_3 Depth=1
	ds_load_b32 v25, v33 offset:11936
	ds_load_b32 v27, v36 offset:12216
	s_wait_dscnt 0x0
	v_fmac_f32_e32 v24, v25, v27
	s_or_b32 exec_lo, exec_lo, s26
	s_and_saveexec_b32 s26, s2
	s_cbranch_execnz .LBB1_324
	s_branch .LBB1_325
.LBB1_1129:                             ;   in Loop: Header=BB1_3 Depth=1
	ds_load_b32 v25, v38 offset:10624
	ds_load_b32 v27, v40 offset:12196
	s_wait_dscnt 0x0
	v_fmac_f32_e32 v24, v25, v27
	s_or_b32 exec_lo, exec_lo, s26
	s_and_saveexec_b32 s26, s18
	s_cbranch_execz .LBB1_361
.LBB1_1130:                             ;   in Loop: Header=BB1_3 Depth=1
	ds_load_b32 v25, v38 offset:10880
	ds_load_b32 v27, v40 offset:12200
	s_wait_dscnt 0x0
	v_fmac_f32_e32 v24, v25, v27
	s_or_b32 exec_lo, exec_lo, s26
	s_and_saveexec_b32 s26, s19
	s_cbranch_execz .LBB1_362
.LBB1_1131:                             ;   in Loop: Header=BB1_3 Depth=1
	ds_load_b32 v25, v38 offset:11136
	ds_load_b32 v27, v40 offset:12204
	s_wait_dscnt 0x0
	v_fmac_f32_e32 v24, v25, v27
	s_or_b32 exec_lo, exec_lo, s26
	s_and_saveexec_b32 s26, s20
	s_cbranch_execz .LBB1_363
.LBB1_1132:                             ;   in Loop: Header=BB1_3 Depth=1
	ds_load_b32 v25, v38 offset:11392
	ds_load_b32 v27, v40 offset:12208
	s_wait_dscnt 0x0
	v_fmac_f32_e32 v24, v25, v27
	s_or_b32 exec_lo, exec_lo, s26
	s_and_saveexec_b32 s26, s21
	s_cbranch_execz .LBB1_364
.LBB1_1133:                             ;   in Loop: Header=BB1_3 Depth=1
	ds_load_b32 v25, v38 offset:11648
	ds_load_b32 v27, v40 offset:12212
	s_wait_dscnt 0x0
	v_fmac_f32_e32 v24, v25, v27
	s_or_b32 exec_lo, exec_lo, s26
	s_and_saveexec_b32 s26, s3
	s_cbranch_execz .LBB1_365
.LBB1_1134:                             ;   in Loop: Header=BB1_3 Depth=1
	ds_load_b32 v25, v38 offset:11904
	ds_load_b32 v27, v40 offset:12216
	s_wait_dscnt 0x0
	v_fmac_f32_e32 v24, v25, v27
	s_or_b32 exec_lo, exec_lo, s26
	s_and_saveexec_b32 s26, s16
	s_cbranch_execnz .LBB1_366
	s_branch .LBB1_367
.LBB1_1135:                             ;   in Loop: Header=BB1_3 Depth=1
	ds_load_b32 v25, v33 offset:9600
	ds_load_b32 v27, v36 offset:10132
	s_wait_dscnt 0x0
	v_fmac_f32_e32 v24, v25, v27
	s_or_b32 exec_lo, exec_lo, s26
	s_and_saveexec_b32 s26, s16
	s_cbranch_execz .LBB1_419
.LBB1_1136:                             ;   in Loop: Header=BB1_3 Depth=1
	ds_load_b32 v25, v33 offset:9856
	ds_load_b32 v27, v36 offset:10136
	s_wait_dscnt 0x0
	v_fmac_f32_e32 v24, v25, v27
	s_or_b32 exec_lo, exec_lo, s26
	s_and_saveexec_b32 s26, s2
	s_cbranch_execnz .LBB1_420
	s_branch .LBB1_421
.LBB1_1137:                             ;   in Loop: Header=BB1_3 Depth=1
	ds_load_b32 v25, v44 offset:15616
	ds_load_b32 v27, v48 offset:16372
	s_wait_dscnt 0x0
	v_fmac_f32_e32 v24, v25, v27
	s_or_b32 exec_lo, exec_lo, s26
	s_and_saveexec_b32 s26, s4
	s_cbranch_execz .LBB1_513
.LBB1_1138:                             ;   in Loop: Header=BB1_3 Depth=1
	ds_load_b32 v25, v44 offset:15872
	ds_load_b32 v27, v48 offset:16376
	s_wait_dscnt 0x0
	v_fmac_f32_e32 v24, v25, v27
	s_or_b32 exec_lo, exec_lo, s26
	s_and_saveexec_b32 s26, s20
	s_cbranch_execnz .LBB1_514
	s_branch .LBB1_515
.LBB1_1139:                             ;   in Loop: Header=BB1_3 Depth=1
	ds_load_b32 v25, v33 offset:7520
	ds_load_b32 v27, v36 offset:8052
	s_wait_dscnt 0x0
	v_fmac_f32_e32 v24, v25, v27
	s_or_b32 exec_lo, exec_lo, s26
	s_and_saveexec_b32 s26, s16
	s_cbranch_execz .LBB1_663
.LBB1_1140:                             ;   in Loop: Header=BB1_3 Depth=1
	ds_load_b32 v25, v33 offset:7776
	ds_load_b32 v27, v36 offset:8056
	s_wait_dscnt 0x0
	v_fmac_f32_e32 v24, v25, v27
	s_or_b32 exec_lo, exec_lo, s26
	s_and_saveexec_b32 s26, s2
	s_cbranch_execnz .LBB1_664
	s_branch .LBB1_665
.LBB1_1141:                             ;   in Loop: Header=BB1_3 Depth=1
	ds_load_b32 v25, v38 offset:6464
	ds_load_b32 v27, v40 offset:8036
	s_wait_dscnt 0x0
	v_fmac_f32_e32 v24, v25, v27
	s_or_b32 exec_lo, exec_lo, s26
	s_and_saveexec_b32 s26, s18
	s_cbranch_execz .LBB1_701
.LBB1_1142:                             ;   in Loop: Header=BB1_3 Depth=1
	ds_load_b32 v25, v38 offset:6720
	ds_load_b32 v27, v40 offset:8040
	s_wait_dscnt 0x0
	v_fmac_f32_e32 v24, v25, v27
	s_or_b32 exec_lo, exec_lo, s26
	s_and_saveexec_b32 s26, s19
	s_cbranch_execz .LBB1_702
.LBB1_1143:                             ;   in Loop: Header=BB1_3 Depth=1
	ds_load_b32 v25, v38 offset:6976
	ds_load_b32 v27, v40 offset:8044
	s_wait_dscnt 0x0
	v_fmac_f32_e32 v24, v25, v27
	s_or_b32 exec_lo, exec_lo, s26
	s_and_saveexec_b32 s26, s20
	s_cbranch_execz .LBB1_703
.LBB1_1144:                             ;   in Loop: Header=BB1_3 Depth=1
	ds_load_b32 v25, v38 offset:7232
	ds_load_b32 v27, v40 offset:8048
	s_wait_dscnt 0x0
	v_fmac_f32_e32 v24, v25, v27
	s_or_b32 exec_lo, exec_lo, s26
	s_and_saveexec_b32 s26, s21
	s_cbranch_execz .LBB1_704
.LBB1_1145:                             ;   in Loop: Header=BB1_3 Depth=1
	ds_load_b32 v25, v38 offset:7488
	ds_load_b32 v27, v40 offset:8052
	s_wait_dscnt 0x0
	v_fmac_f32_e32 v24, v25, v27
	s_or_b32 exec_lo, exec_lo, s26
	s_and_saveexec_b32 s26, s3
	s_cbranch_execz .LBB1_705
.LBB1_1146:                             ;   in Loop: Header=BB1_3 Depth=1
	ds_load_b32 v25, v38 offset:7744
	ds_load_b32 v27, v40 offset:8056
	s_wait_dscnt 0x0
	v_fmac_f32_e32 v24, v25, v27
	s_or_b32 exec_lo, exec_lo, s26
	s_and_saveexec_b32 s26, s16
	s_cbranch_execnz .LBB1_706
	s_branch .LBB1_707
.LBB1_1147:                             ;   in Loop: Header=BB1_3 Depth=1
	ds_load_b32 v25, v33 offset:5440
	ds_load_b32 v27, v36 offset:5972
	s_wait_dscnt 0x0
	v_fmac_f32_e32 v24, v25, v27
	s_or_b32 exec_lo, exec_lo, s26
	s_and_saveexec_b32 s26, s16
	s_cbranch_execz .LBB1_759
.LBB1_1148:                             ;   in Loop: Header=BB1_3 Depth=1
	ds_load_b32 v25, v33 offset:5696
	ds_load_b32 v27, v36 offset:5976
	s_wait_dscnt 0x0
	v_fmac_f32_e32 v24, v25, v27
	s_or_b32 exec_lo, exec_lo, s26
	s_and_saveexec_b32 s26, s2
	s_cbranch_execnz .LBB1_760
	s_branch .LBB1_761
.LBB1_1149:                             ;   in Loop: Header=BB1_3 Depth=1
	ds_load_b32 v25, v42 offset:6912
	ds_load_b32 v27, v45 offset:8044
	s_wait_dscnt 0x0
	v_fmac_f32_e32 v24, v25, v27
	s_or_b32 exec_lo, exec_lo, s26
	s_and_saveexec_b32 s26, s4
	s_cbranch_execz .LBB1_817
.LBB1_1150:                             ;   in Loop: Header=BB1_3 Depth=1
	ds_load_b32 v25, v42 offset:7168
	ds_load_b32 v27, v45 offset:8048
	s_wait_dscnt 0x0
	v_fmac_f32_e32 v24, v25, v27
	s_or_b32 exec_lo, exec_lo, s26
	s_and_saveexec_b32 s26, s18
	s_cbranch_execz .LBB1_818
.LBB1_1151:                             ;   in Loop: Header=BB1_3 Depth=1
	ds_load_b32 v25, v42 offset:7424
	ds_load_b32 v27, v45 offset:8052
	s_wait_dscnt 0x0
	v_fmac_f32_e32 v24, v25, v27
	s_or_b32 exec_lo, exec_lo, s26
	s_and_saveexec_b32 s26, s20
	s_cbranch_execz .LBB1_819
.LBB1_1152:                             ;   in Loop: Header=BB1_3 Depth=1
	ds_load_b32 v25, v42 offset:7680
	ds_load_b32 v27, v45 offset:8056
	s_wait_dscnt 0x0
	v_fmac_f32_e32 v24, v25, v27
	s_or_b32 exec_lo, exec_lo, s26
	s_and_saveexec_b32 s26, s3
	s_cbranch_execnz .LBB1_820
	s_branch .LBB1_821
.LBB1_1153:                             ;   in Loop: Header=BB1_3 Depth=1
	ds_load_b32 v25, v33 offset:3360
	ds_load_b32 v27, v36 offset:3892
	s_wait_dscnt 0x0
	v_fmac_f32_e32 v24, v25, v27
	s_or_b32 exec_lo, exec_lo, s26
	s_and_saveexec_b32 s26, s16
	s_cbranch_execz .LBB1_905
.LBB1_1154:                             ;   in Loop: Header=BB1_3 Depth=1
	ds_load_b32 v25, v33 offset:3616
	ds_load_b32 v27, v36 offset:3896
	s_wait_dscnt 0x0
	v_fmac_f32_e32 v24, v25, v27
	s_or_b32 exec_lo, exec_lo, s26
	s_and_saveexec_b32 s26, s2
	s_cbranch_execnz .LBB1_906
	s_branch .LBB1_907
.LBB1_1155:                             ;   in Loop: Header=BB1_3 Depth=1
	ds_load_b32 v25, v38 offset:2304
	ds_load_b32 v27, v40 offset:3876
	s_wait_dscnt 0x0
	v_fmac_f32_e32 v24, v25, v27
	s_or_b32 exec_lo, exec_lo, s26
	s_and_saveexec_b32 s26, s18
	s_cbranch_execz .LBB1_943
.LBB1_1156:                             ;   in Loop: Header=BB1_3 Depth=1
	ds_load_b32 v25, v38 offset:2560
	ds_load_b32 v27, v40 offset:3880
	s_wait_dscnt 0x0
	v_fmac_f32_e32 v24, v25, v27
	s_or_b32 exec_lo, exec_lo, s26
	s_and_saveexec_b32 s26, s19
	s_cbranch_execz .LBB1_944
.LBB1_1157:                             ;   in Loop: Header=BB1_3 Depth=1
	ds_load_b32 v25, v38 offset:2816
	ds_load_b32 v27, v40 offset:3884
	s_wait_dscnt 0x0
	v_fmac_f32_e32 v24, v25, v27
	s_or_b32 exec_lo, exec_lo, s26
	s_and_saveexec_b32 s26, s20
	s_cbranch_execz .LBB1_945
.LBB1_1158:                             ;   in Loop: Header=BB1_3 Depth=1
	ds_load_b32 v25, v38 offset:3072
	ds_load_b32 v27, v40 offset:3888
	s_wait_dscnt 0x0
	v_fmac_f32_e32 v24, v25, v27
	s_or_b32 exec_lo, exec_lo, s26
	s_and_saveexec_b32 s26, s21
	s_cbranch_execz .LBB1_946
.LBB1_1159:                             ;   in Loop: Header=BB1_3 Depth=1
	ds_load_b32 v25, v38 offset:3328
	ds_load_b32 v27, v40 offset:3892
	s_wait_dscnt 0x0
	v_fmac_f32_e32 v24, v25, v27
	s_or_b32 exec_lo, exec_lo, s26
	s_and_saveexec_b32 s26, s3
	s_cbranch_execz .LBB1_947
.LBB1_1160:                             ;   in Loop: Header=BB1_3 Depth=1
	ds_load_b32 v25, v38 offset:3584
	ds_load_b32 v27, v40 offset:3896
	s_wait_dscnt 0x0
	v_fmac_f32_e32 v24, v25, v27
	s_or_b32 exec_lo, exec_lo, s26
	s_and_saveexec_b32 s26, s16
	s_cbranch_execnz .LBB1_948
	s_branch .LBB1_949
.LBB1_1161:                             ;   in Loop: Header=BB1_3 Depth=1
	ds_load_b32 v25, v33 offset:1280
	ds_load_b32 v27, v36 offset:1812
	s_wait_dscnt 0x0
	v_fmac_f32_e32 v24, v25, v27
	s_or_b32 exec_lo, exec_lo, s26
	s_and_saveexec_b32 s26, s16
	s_cbranch_execz .LBB1_1001
.LBB1_1162:                             ;   in Loop: Header=BB1_3 Depth=1
	ds_load_b32 v25, v33 offset:1536
	ds_load_b32 v27, v36 offset:1816
	s_wait_dscnt 0x0
	v_fmac_f32_e32 v24, v25, v27
	s_or_b32 exec_lo, exec_lo, s26
	s_and_saveexec_b32 s26, s2
	s_cbranch_execnz .LBB1_1002
	s_branch .LBB1_1003
.LBB1_1163:
	s_endpgm
	.section	.rodata,"a",@progbits
	.p2align	6, 0x0
	.amdhsa_kernel _ZL19rocblas_trsv_deviceILi64ELi16ELb0ELb0ELb0ELb1EfPKfS1_PfEviT7_lllT6_T8_lllPii
		.amdhsa_group_segment_fixed_size 20740
		.amdhsa_private_segment_fixed_size 0
		.amdhsa_kernarg_size 352
		.amdhsa_user_sgpr_count 2
		.amdhsa_user_sgpr_dispatch_ptr 0
		.amdhsa_user_sgpr_queue_ptr 0
		.amdhsa_user_sgpr_kernarg_segment_ptr 1
		.amdhsa_user_sgpr_dispatch_id 0
		.amdhsa_user_sgpr_kernarg_preload_length 0
		.amdhsa_user_sgpr_kernarg_preload_offset 0
		.amdhsa_user_sgpr_private_segment_size 0
		.amdhsa_wavefront_size32 1
		.amdhsa_uses_dynamic_stack 0
		.amdhsa_enable_private_segment 0
		.amdhsa_system_sgpr_workgroup_id_x 1
		.amdhsa_system_sgpr_workgroup_id_y 0
		.amdhsa_system_sgpr_workgroup_id_z 1
		.amdhsa_system_sgpr_workgroup_info 0
		.amdhsa_system_vgpr_workitem_id 1
		.amdhsa_next_free_vgpr 77
		.amdhsa_next_free_sgpr 105
		.amdhsa_named_barrier_count 0
		.amdhsa_reserve_vcc 1
		.amdhsa_float_round_mode_32 0
		.amdhsa_float_round_mode_16_64 0
		.amdhsa_float_denorm_mode_32 3
		.amdhsa_float_denorm_mode_16_64 3
		.amdhsa_fp16_overflow 0
		.amdhsa_memory_ordered 1
		.amdhsa_forward_progress 1
		.amdhsa_inst_pref_size 255
		.amdhsa_round_robin_scheduling 0
		.amdhsa_exception_fp_ieee_invalid_op 0
		.amdhsa_exception_fp_denorm_src 0
		.amdhsa_exception_fp_ieee_div_zero 0
		.amdhsa_exception_fp_ieee_overflow 0
		.amdhsa_exception_fp_ieee_underflow 0
		.amdhsa_exception_fp_ieee_inexact 0
		.amdhsa_exception_int_div_zero 0
	.end_amdhsa_kernel
	.section	.text._ZL19rocblas_trsv_deviceILi64ELi16ELb0ELb0ELb0ELb1EfPKfS1_PfEviT7_lllT6_T8_lllPii,"axG",@progbits,_ZL19rocblas_trsv_deviceILi64ELi16ELb0ELb0ELb0ELb1EfPKfS1_PfEviT7_lllT6_T8_lllPii,comdat
.Lfunc_end1:
	.size	_ZL19rocblas_trsv_deviceILi64ELi16ELb0ELb0ELb0ELb1EfPKfS1_PfEviT7_lllT6_T8_lllPii, .Lfunc_end1-_ZL19rocblas_trsv_deviceILi64ELi16ELb0ELb0ELb0ELb1EfPKfS1_PfEviT7_lllT6_T8_lllPii
                                        ; -- End function
	.set _ZL19rocblas_trsv_deviceILi64ELi16ELb0ELb0ELb0ELb1EfPKfS1_PfEviT7_lllT6_T8_lllPii.num_vgpr, 77
	.set _ZL19rocblas_trsv_deviceILi64ELi16ELb0ELb0ELb0ELb1EfPKfS1_PfEviT7_lllT6_T8_lllPii.num_agpr, 0
	.set _ZL19rocblas_trsv_deviceILi64ELi16ELb0ELb0ELb0ELb1EfPKfS1_PfEviT7_lllT6_T8_lllPii.numbered_sgpr, 105
	.set _ZL19rocblas_trsv_deviceILi64ELi16ELb0ELb0ELb0ELb1EfPKfS1_PfEviT7_lllT6_T8_lllPii.num_named_barrier, 0
	.set _ZL19rocblas_trsv_deviceILi64ELi16ELb0ELb0ELb0ELb1EfPKfS1_PfEviT7_lllT6_T8_lllPii.private_seg_size, 0
	.set _ZL19rocblas_trsv_deviceILi64ELi16ELb0ELb0ELb0ELb1EfPKfS1_PfEviT7_lllT6_T8_lllPii.uses_vcc, 1
	.set _ZL19rocblas_trsv_deviceILi64ELi16ELb0ELb0ELb0ELb1EfPKfS1_PfEviT7_lllT6_T8_lllPii.uses_flat_scratch, 0
	.set _ZL19rocblas_trsv_deviceILi64ELi16ELb0ELb0ELb0ELb1EfPKfS1_PfEviT7_lllT6_T8_lllPii.has_dyn_sized_stack, 0
	.set _ZL19rocblas_trsv_deviceILi64ELi16ELb0ELb0ELb0ELb1EfPKfS1_PfEviT7_lllT6_T8_lllPii.has_recursion, 0
	.set _ZL19rocblas_trsv_deviceILi64ELi16ELb0ELb0ELb0ELb1EfPKfS1_PfEviT7_lllT6_T8_lllPii.has_indirect_call, 0
	.section	.AMDGPU.csdata,"",@progbits
; Kernel info:
; codeLenInByte = 32544
; TotalNumSgprs: 107
; NumVgprs: 77
; ScratchSize: 0
; MemoryBound: 0
; FloatMode: 240
; IeeeMode: 1
; LDSByteSize: 20740 bytes/workgroup (compile time only)
; SGPRBlocks: 0
; VGPRBlocks: 4
; NumSGPRsForWavesPerEU: 107
; NumVGPRsForWavesPerEU: 77
; NamedBarCnt: 0
; Occupancy: 12
; WaveLimiterHint : 0
; COMPUTE_PGM_RSRC2:SCRATCH_EN: 0
; COMPUTE_PGM_RSRC2:USER_SGPR: 2
; COMPUTE_PGM_RSRC2:TRAP_HANDLER: 0
; COMPUTE_PGM_RSRC2:TGID_X_EN: 1
; COMPUTE_PGM_RSRC2:TGID_Y_EN: 0
; COMPUTE_PGM_RSRC2:TGID_Z_EN: 1
; COMPUTE_PGM_RSRC2:TIDIG_COMP_CNT: 1
	.section	.text._ZL19rocblas_trsv_deviceILi64ELi16ELb0ELb1ELb0ELb1EfPKfS1_PfEviT7_lllT6_T8_lllPii,"axG",@progbits,_ZL19rocblas_trsv_deviceILi64ELi16ELb0ELb1ELb0ELb1EfPKfS1_PfEviT7_lllT6_T8_lllPii,comdat
	.globl	_ZL19rocblas_trsv_deviceILi64ELi16ELb0ELb1ELb0ELb1EfPKfS1_PfEviT7_lllT6_T8_lllPii ; -- Begin function _ZL19rocblas_trsv_deviceILi64ELi16ELb0ELb1ELb0ELb1EfPKfS1_PfEviT7_lllT6_T8_lllPii
	.p2align	8
	.type	_ZL19rocblas_trsv_deviceILi64ELi16ELb0ELb1ELb0ELb1EfPKfS1_PfEviT7_lllT6_T8_lllPii,@function
_ZL19rocblas_trsv_deviceILi64ELi16ELb0ELb1ELb0ELb1EfPKfS1_PfEviT7_lllT6_T8_lllPii: ; @_ZL19rocblas_trsv_deviceILi64ELi16ELb0ELb1ELb0ELb1EfPKfS1_PfEviT7_lllT6_T8_lllPii
; %bb.0:
	s_load_b32 s6, s[0:1], 0x58
	s_bfe_u32 s2, ttmp6, 0x40014
	s_lshr_b32 s3, ttmp7, 16
	s_add_co_i32 s2, s2, 1
	s_bfe_u32 s5, ttmp6, 0x40008
	s_mul_i32 s2, s3, s2
	s_getreg_b32 s4, hwreg(HW_REG_IB_STS2, 6, 4)
	s_add_co_i32 s5, s5, s2
	s_cmp_eq_u32 s4, 0
	s_mov_b32 s81, 0
	s_cselect_b32 s80, s3, s5
                                        ; implicit-def: $vgpr89 : SGPR spill to VGPR lane
	s_wait_kmcnt 0x0
	s_cmp_ge_u32 s80, s6
	v_writelane_b32 v89, s6, 0
	s_cbranch_scc1 .LBB2_1225
; %bb.1:
	s_clause 0x2
	s_load_b512 s[60:75], s[0:1], 0x8
	s_load_b32 s2, s[0:1], 0x6c
	s_load_b32 s87, s[0:1], 0x0
	s_bfe_u32 s5, ttmp6, 0x4000c
	s_and_b32 s3, ttmp6, 15
	s_add_co_i32 s5, s5, 1
	v_and_b32_e32 v4, 0x3ff, v0
	s_mul_i32 s5, ttmp9, s5
	v_bfe_u32 v6, v0, 10, 10
	s_add_co_i32 s3, s3, s5
	s_delay_alu instid0(VALU_DEP_2) | instskip(NEXT) | instid1(VALU_DEP_2)
	v_dual_mov_b32 v3, 0 :: v_dual_lshlrev_b32 v1, 6, v4
	v_dual_add_nc_u32 v26, 16, v6 :: v_dual_bitop2_b32 v14, 1, v0 bitop3:0x40
	v_lshl_add_u32 v32, v6, 6, v4
	s_delay_alu instid0(VALU_DEP_3) | instskip(SKIP_1) | instid1(VALU_DEP_4)
	v_dual_mov_b32 v9, v3 :: v_dual_add_nc_u32 v2, v6, v1
	v_cmp_gt_u32_e64 s6, 2, v4
	v_lshl_add_u32 v11, v26, 6, v4
	v_dual_add_nc_u32 v30, 32, v6 :: v_dual_bitop2_b32 v22, 7, v0 bitop3:0x40
	s_wait_kmcnt 0x0
	s_lshl_b64 s[14:15], s[62:63], 2
	s_lshl_b64 s[16:17], s[72:73], 2
	s_cmp_eq_u32 s4, 0
	v_cmp_ne_u32_e64 s9, 7, v22
	s_cselect_b32 s63, ttmp9, s3
	s_add_co_i32 s3, s87, -1
	s_ashr_i32 s4, s87, 31
	s_ashr_i32 s5, s3, 31
	s_lshr_b32 s4, s4, 26
	s_lshr_b32 s5, s5, 26
	s_add_co_i32 s4, s87, s4
	s_add_co_i32 s3, s3, s5
	s_and_not1_b32 s4, s4, 63
	s_ashr_i32 s3, s3, 6
	s_and_b32 s2, s2, 0xffff
	s_sub_co_i32 s13, s87, s4
	s_cmp_eq_u32 s3, s63
	v_mad_u32_u24 v8, v6, s2, v4
	s_cselect_b32 s2, -1, 0
	s_cmp_lg_u32 s13, 0
	v_sub_co_u32 v5, s3, s63, 1
	s_cselect_b32 s4, -1, 0
	s_xor_b32 s3, s3, -1
	s_and_b32 s48, s4, s2
	s_lshl_b32 s18, s63, 6
	s_xor_b32 s89, s48, -1
	s_cmp_lt_i32 s63, 5
	v_writelane_b32 v89, s3, 1
	s_cselect_b32 vcc_lo, -1, 0
	v_dual_cndmask_b32 v21, v32, v2 :: v_dual_add_nc_u32 v10, v26, v1
	s_add_nc_u64 s[2:3], s[64:65], 1
	s_ashr_i32 s19, s18, 31
	s_or_b32 vcc_lo, vcc_lo, s48
	s_mul_u64 s[20:21], s[2:3], s[18:19]
	v_dual_cndmask_b32 v20, v11, v10, vcc_lo :: v_dual_bitop2_b32 v15, 3, v0 bitop3:0x40
	v_cmp_gt_u32_e64 s2, 4, v32
	v_cmp_eq_u32_e64 s4, 1, v14
	v_cmp_eq_u32_e64 s5, 0, v14
	;; [unrolled: 1-line block ×4, first 2 shown]
	v_dual_add_nc_u32 v28, 48, v6 :: v_dual_bitop2_b32 v23, 15, v0 bitop3:0x40
	s_and_b32 s91, s4, s2
	s_and_b32 s92, s5, s2
	v_cmp_gt_u32_e64 s4, 16, v32
	v_cmp_eq_u32_e64 s5, 3, v15
	s_and_b32 s93, s3, s6
	v_cmp_ne_u32_e64 s6, 3, v15
	v_cmp_gt_u32_e64 s8, 2, v15
	s_and_b32 s96, s7, s4
	s_and_b32 s94, s5, s4
	v_cmp_eq_u32_e64 s5, 1, v15
	s_and_b32 s95, s6, s4
	v_cmp_eq_u32_e64 s6, 0, v15
	v_cmp_gt_u32_e64 s7, 4, v4
	s_and_b32 s97, s8, s4
	s_and_b32 s98, s5, s4
	v_cmp_gt_u32_e64 s5, 64, v32
	s_and_b32 s99, s6, s4
	v_cmp_eq_u32_e64 s6, 6, v22
	s_and_b32 s100, s3, s7
	v_cmp_gt_u32_e64 s7, 6, v22
	s_and_b32 s102, s9, s5
	v_cmp_eq_u32_e64 s9, 4, v22
	s_and_b32 s103, s6, s5
	v_cmp_eq_u32_e64 s6, 5, v22
	s_and_b32 s104, s7, s5
	v_cmp_gt_u32_e64 s7, 4, v22
	s_and_b32 s35, s9, s5
	v_cmp_gt_u32_e64 s9, 2, v22
	s_and_b32 vcc_hi, s6, s5
	v_cmp_eq_u32_e64 s6, 3, v22
	s_and_b32 s36, s7, s5
	v_cmp_gt_u32_e64 s7, 3, v22
	s_and_b32 s40, s9, s5
	v_cmp_eq_u32_e64 s9, 15, v23
	s_and_b32 s37, s6, s5
	v_cmp_eq_u32_e64 s6, 1, v22
	;; [unrolled: 2-line block ×3, first 2 shown]
	v_cmp_eq_u32_e64 s8, 7, v22
	v_cmp_ne_u32_e64 s10, 15, v23
	s_and_b32 s41, s6, s5
	v_cmp_gt_u32_e64 s6, 0x100, v32
	s_and_b32 s42, s7, s5
	s_and_b32 s101, s8, s5
	v_cmp_gt_u32_e64 s8, 5, v22
	v_cmp_eq_u32_e64 s11, 14, v23
	s_and_b32 s7, s9, s6
	v_cmp_gt_u32_e64 s9, 13, v23
	v_writelane_b32 v89, s7, 2
	s_and_b32 s7, s10, s6
	s_and_b32 s34, s8, s5
	v_cmp_eq_u32_e64 s8, 2, v22
	v_cmp_eq_u32_e64 s10, 12, v23
	v_writelane_b32 v89, s7, 3
	s_and_b32 s7, s11, s6
	v_cmp_gt_u32_e64 s11, 12, v23
	s_and_b32 s39, s8, s5
	v_cmp_gt_u32_e64 s8, 8, v4
	v_writelane_b32 v89, s7, 4
	v_cmp_gt_u32_e64 s7, 14, v23
	s_and_b32 s51, s11, s6
	v_cmp_eq_u32_e64 s11, 9, v23
	s_and_b32 s43, s3, s8
	v_cmp_eq_u32_e64 s8, 13, v23
	s_and_b32 s7, s7, s6
	v_dual_add_nc_u32 v10, v30, v1 :: v_dual_bitop2_b32 v24, 31, v0 bitop3:0x40
	v_writelane_b32 v89, s7, 5
	s_and_b32 s7, s8, s6
	v_cmp_gt_u32_e64 s8, 11, v23
	s_and_b32 s56, s11, s6
	v_cmp_gt_u32_e64 s11, 7, v23
	v_writelane_b32 v89, s7, 6
	s_and_b32 s7, s9, s6
	s_and_b32 s53, s8, s6
	v_cmp_eq_u32_e64 s8, 8, v23
	s_and_b32 s30, s11, s6
	v_writelane_b32 v89, s7, 7
	v_cmp_eq_u32_e64 s7, 11, v23
	v_cmp_eq_u32_e64 s11, 4, v23
	s_and_b32 s24, s8, s6
	v_cmp_gt_u32_e64 s8, 6, v23
	v_cmp_eq_u32_e64 s9, 10, v23
	s_and_b32 s52, s7, s6
	v_cmp_gt_u32_e64 s7, 9, v23
	s_and_b32 s25, s11, s6
	s_and_b32 s59, s8, s6
	v_cmp_eq_u32_e64 s8, 3, v23
	v_cmp_gt_u32_e64 s11, 2, v23
	s_and_b32 s22, s7, s6
	v_cmp_eq_u32_e64 s7, 6, v23
	s_and_b32 s50, s10, s6
	v_cmp_gt_u32_e64 s10, 10, v23
	s_and_b32 s54, s9, s6
	v_cmp_gt_u32_e64 s9, 8, v23
	;; [unrolled: 2-line block ×3, first 2 shown]
	s_and_b32 s29, s8, s6
	s_and_b32 s86, s11, s6
	v_cmp_eq_u32_e64 s8, 1, v23
	v_cmp_eq_u32_e64 s11, 31, v24
	s_and_b32 s27, s7, s6
	v_cmp_gt_u32_e64 s7, 0x400, v32
	s_and_b32 s55, s10, s6
	v_cmp_eq_u32_e64 s10, 7, v23
	s_and_b32 s26, s9, s6
	v_cmp_eq_u32_e64 s9, 5, v23
	v_cmp_ne_u32_e64 s12, 31, v24
	s_and_b32 s44, s8, s6
	s_and_b32 s8, s11, s7
	;; [unrolled: 1-line block ×3, first 2 shown]
	v_cmp_gt_u32_e64 s10, 5, v23
	s_and_b32 s62, s9, s6
	v_cmp_gt_u32_e64 s9, 3, v23
	v_writelane_b32 v89, s8, 8
	s_and_b32 s8, s12, s7
	s_and_b32 s23, s10, s6
	v_cmp_eq_u32_e64 s10, 2, v23
	s_and_b32 s31, s9, s6
	v_cmp_eq_u32_e64 s9, 0, v23
	v_writelane_b32 v89, s8, 9
	v_cmp_eq_u32_e64 s8, 30, v24
	s_and_b32 s88, s10, s6
	v_cmp_gt_u32_e64 s10, 16, v4
	s_and_b32 s45, s9, s6
	v_cmp_gt_u32_e64 s9, 30, v24
	s_and_b32 s8, s8, s7
	v_dual_add_nc_u32 v2, s18, v8 :: v_dual_add_nc_u32 v1, v28, v1
	v_writelane_b32 v89, s8, 10
	s_and_b32 s46, s3, s10
	v_cmp_eq_u32_e64 s10, 29, v24
	s_and_b32 s8, s9, s7
	v_lshl_add_u32 v11, v30, 6, v4
	v_lshl_add_u32 v12, v28, 6, v4
	v_writelane_b32 v89, s8, 11
	v_cmp_gt_u32_e64 s11, 29, v24
	s_and_b32 s8, s10, s7
	s_xor_b32 s90, vcc_lo, -1
	v_dual_cndmask_b32 v25, v11, v10, vcc_lo :: v_dual_cndmask_b32 v33, v12, v1, vcc_lo
	v_cmp_eq_u32_e32 vcc_lo, 28, v24
	v_writelane_b32 v89, s8, 12
	s_and_b32 s8, s11, s7
                                        ; implicit-def: $vgpr88 : SGPR spill to VGPR lane
                                        ; implicit-def: $vgpr87 : SGPR spill to VGPR lane
	v_dual_add_nc_u32 v18, s18, v4 :: v_dual_add_nc_u32 v7, s18, v6
	v_lshrrev_b32_e32 v1, 10, v0
	v_writelane_b32 v89, s8, 13
	s_and_b32 s8, vcc_lo, s7
	v_cmp_gt_u32_e32 vcc_lo, 28, v24
	v_subrev_nc_u32_e32 v10, 64, v7
	v_dual_lshrrev_b32 v27, 1, v32 :: v_dual_lshlrev_b32 v43, 2, v14
	v_writelane_b32 v89, s8, 14
	s_and_b32 s8, vcc_lo, s7
	v_cmp_eq_u32_e32 vcc_lo, 27, v24
	v_ashrrev_i32_e32 v11, 31, v10
	v_bitop3_b32 v82, v0, v1, 0x3ff bitop3:0xa8
	v_writelane_b32 v89, s8, 15
	v_dual_lshlrev_b32 v0, 8, v27 :: v_dual_lshlrev_b32 v1, 6, v32
	s_and_b32 s8, vcc_lo, s7
	v_cmp_gt_u32_e32 vcc_lo, 27, v24
	v_writelane_b32 v89, s8, 16
	v_dual_lshlrev_b32 v48, 2, v15 :: v_dual_bitop2_b32 v14, -4, v32 bitop3:0x40
	v_dual_sub_nc_u32 v44, 0, v0 :: v_dual_sub_nc_u32 v46, v43, v0
	s_and_b32 s8, vcc_lo, s7
	v_cmp_eq_u32_e32 vcc_lo, 26, v24
	v_writelane_b32 v89, s8, 17
	v_and_b32_e32 v0, 0xffffff00, v1
	v_dual_lshrrev_b32 v1, 3, v32 :: v_dual_lshlrev_b32 v53, 2, v22
	s_and_b32 s8, vcc_lo, s7
	v_cmp_gt_u32_e32 vcc_lo, 26, v24
	v_writelane_b32 v89, s8, 18
	v_add_nc_u32_e32 v47, 0x4000, v14
	v_dual_sub_nc_u32 v50, 0, v0 :: v_dual_sub_nc_u32 v51, v48, v0
	s_and_b32 s8, vcc_lo, s7
	v_cmp_eq_u32_e32 vcc_lo, 25, v24
	v_writelane_b32 v89, s8, 19
	v_dual_lshlrev_b32 v0, 8, v1 :: v_dual_lshrrev_b32 v14, 4, v32
	v_lshl_add_u32 v54, v1, 2, 0x4000
	s_and_b32 s8, vcc_lo, s7
	v_cmp_gt_u32_e32 vcc_lo, 25, v24
	v_writelane_b32 v89, s8, 20
	v_dual_sub_nc_u32 v56, 0, v0 :: v_dual_sub_nc_u32 v57, v53, v0
	v_dual_lshlrev_b32 v0, 8, v14 :: v_dual_lshrrev_b32 v1, 5, v32
	s_and_b32 s8, vcc_lo, s7
	v_cmp_eq_u32_e32 vcc_lo, 24, v24
	v_writelane_b32 v89, s8, 21
	v_add_nc_u64_e32 v[16:17], s[18:19], v[8:9]
	v_dual_lshlrev_b32 v59, 2, v23 :: v_dual_sub_nc_u32 v61, 0, v0
	s_and_b32 s8, vcc_lo, s7
	v_cmp_gt_u32_e32 vcc_lo, 24, v24
	v_writelane_b32 v89, s8, 22
	v_lshl_add_u32 v60, v14, 2, 0x4000
	v_dual_lshlrev_b32 v14, 8, v1 :: v_dual_lshlrev_b32 v62, 2, v24
	s_and_b32 s8, vcc_lo, s7
	v_cmp_eq_u32_e32 vcc_lo, 23, v24
	v_writelane_b32 v89, s8, 23
	v_dual_lshlrev_b32 v9, 2, v4 :: v_dual_ashrrev_i32 v19, 31, v18
	v_dual_sub_nc_u32 v63, v59, v0 :: v_dual_lshlrev_b32 v76, 2, v6
	s_and_b32 s8, vcc_lo, s7
	v_cmp_gt_u32_e32 vcc_lo, 23, v24
	v_writelane_b32 v89, s8, 24
	v_dual_sub_nc_u32 v65, 0, v14 :: v_dual_sub_nc_u32 v66, v62, v14
	v_mul_u64_e32 v[14:15], s[74:75], v[2:3]
	s_and_b32 s8, vcc_lo, s7
	v_cmp_eq_u32_e32 vcc_lo, 22, v24
	v_writelane_b32 v89, s8, 25
	v_subrev_nc_u32_e32 v2, 48, v7
	v_mul_u64_e32 v[12:13], s[64:65], v[18:19]
	v_lshl_add_u32 v64, v1, 2, 0x4000
	s_and_b32 s8, vcc_lo, s7
	v_cmp_gt_u32_e32 vcc_lo, 22, v24
	v_writelane_b32 v89, s8, 26
	v_mul_u64_e32 v[0:1], s[74:75], v[18:19]
	v_or_b32_e32 v67, 0x5000, v76
	v_cmp_gt_u32_e64 s57, 0xf0, v32
	s_and_b32 s8, vcc_lo, s7
	v_cmp_eq_u32_e32 vcc_lo, 21, v24
	v_writelane_b32 v89, s8, 27
	v_add_nc_u32_e32 v72, v67, v9
                                        ; implicit-def: $vgpr86 : SGPR spill to VGPR lane
	v_mad_u32_u24 v34, 0xfc, v4, v9
	v_add_nc_u32_e32 v70, 0x4000, v9
	s_and_b32 s8, vcc_lo, s7
	v_cmp_gt_u32_e32 vcc_lo, 21, v24
	v_writelane_b32 v89, s8, 28
	v_mad_i32_i24 v35, 0xffffff04, v4, v34
	v_lshl_add_u32 v41, v27, 2, 0x4000
	v_dual_lshlrev_b32 v73, 2, v21 :: v_dual_mov_b32 v27, v3
	s_and_b32 s8, vcc_lo, s7
	v_cmp_eq_u32_e32 vcc_lo, 20, v24
	v_writelane_b32 v89, s8, 29
	v_mad_u32_u24 v36, 0xfc, v4, v35
	v_mul_u64_e32 v[16:17], s[74:75], v[16:17]
	v_dual_lshlrev_b32 v74, 2, v25 :: v_dual_bitop2_b32 v83, v30, v4 bitop3:0x54
	s_and_b32 s8, vcc_lo, s7
	v_cmp_gt_u32_e32 vcc_lo, 20, v24
	v_writelane_b32 v89, s8, 30
	v_mad_i32_i24 v37, 0xffffff04, v4, v36
	v_mul_i32_i24_e32 v77, 0xffffff04, v4
	s_add_nc_u64 s[72:73], s[60:61], s[14:15]
	s_and_b32 s8, vcc_lo, s7
	v_cmp_eq_u32_e32 vcc_lo, 19, v24
	v_writelane_b32 v89, s8, 31
	v_mad_u32_u24 v38, 0xfc, v4, v37
	v_cmp_gt_u32_e64 s60, 64, v82
	s_load_b128 s[76:79], s[0:1], 0x48
	s_and_b32 s8, vcc_lo, s7
	v_cmp_gt_u32_e32 vcc_lo, 19, v24
	v_writelane_b32 v88, s8, 0
	v_mad_i32_i24 v39, 0xffffff04, v4, v38
	s_add_nc_u64 s[70:71], s[70:71], s[16:17]
	v_lshl_add_u32 v68, v8, 2, 0x5000
	s_and_b32 s8, vcc_lo, s7
	v_cmp_eq_u32_e32 vcc_lo, 18, v24
	v_writelane_b32 v88, s8, 1
	v_mad_u32_u24 v40, 0xfc, v4, v39
	v_lshl_add_u32 v69, v32, 2, 0x4000
	v_cmp_gt_u32_e64 s14, 2, v32
	s_and_b32 s8, vcc_lo, s7
	v_cmp_gt_u32_e32 vcc_lo, 18, v24
	v_writelane_b32 v88, s8, 2
	v_mad_i32_i24 v42, 0xffffff04, v4, v40
	v_cmp_gt_u32_e64 s15, 12, v32
	v_cmp_gt_u32_e64 s16, 8, v32
	s_and_b32 s8, vcc_lo, s7
	v_cmp_eq_u32_e32 vcc_lo, 17, v24
	v_writelane_b32 v88, s8, 3
	v_mad_u32_u24 v45, 0xfc, v4, v42
	v_cmp_gt_u32_e64 s17, 56, v32
	v_cmp_gt_u32_e64 s19, 40, v32
	s_and_b32 s8, vcc_lo, s7
	v_cmp_gt_u32_e32 vcc_lo, 17, v24
	v_writelane_b32 v88, s8, 4
	v_mad_i32_i24 v49, 0xffffff04, v4, v45
	v_cmp_gt_u32_e64 s58, 64, v8
                                        ; implicit-def: $vgpr78
                                        ; implicit-def: $vgpr79
                                        ; implicit-def: $vgpr80
                                        ; implicit-def: $vgpr81
	v_mov_b32_e32 v29, v3
	s_and_b32 s8, vcc_lo, s7
	v_cmp_eq_u32_e32 vcc_lo, 16, v24
	v_writelane_b32 v88, s8, 5
	v_mad_u32_u24 v52, 0xfc, v4, v49
	v_lshl_add_u32 v71, v6, 8, v49
	v_mov_b32_e32 v31, v3
	s_and_b32 s8, vcc_lo, s7
	v_cmp_gt_u32_e32 vcc_lo, 16, v24
	v_writelane_b32 v88, s8, 6
	v_mad_i32_i24 v55, 0xffffff04, v4, v52
	v_mul_u64_e32 v[22:23], s[64:65], v[30:31]
	v_dual_lshlrev_b32 v75, 2, v33 :: v_dual_bitop2_b32 v31, v28, v4 bitop3:0x54
	s_and_b32 s8, vcc_lo, s7
	v_cmp_eq_u32_e32 vcc_lo, 15, v24
	v_writelane_b32 v88, s8, 7
	v_mad_u32_u24 v58, 0xfc, v4, v55
	s_and_b32 s8, vcc_lo, s7
	v_cmp_gt_u32_e32 vcc_lo, 15, v24
	v_writelane_b32 v88, s8, 8
	s_delay_alu instid0(VALU_DEP_3)
	v_add_nc_u32_e32 v76, v58, v76
	s_and_b32 s8, vcc_lo, s7
	v_cmp_eq_u32_e32 vcc_lo, 14, v24
	v_writelane_b32 v88, s8, 9
	s_and_b32 s8, vcc_lo, s7
	v_cmp_gt_u32_e32 vcc_lo, 14, v24
	v_writelane_b32 v88, s8, 10
	s_and_b32 s8, vcc_lo, s7
	v_cmp_eq_u32_e32 vcc_lo, 13, v24
	v_writelane_b32 v88, s8, 11
	s_and_b32 s8, vcc_lo, s7
	v_cmp_gt_u32_e32 vcc_lo, 13, v24
	v_writelane_b32 v88, s8, 12
	;; [unrolled: 6-line block ×13, first 2 shown]
	s_and_b32 s8, vcc_lo, s7
	v_cmp_eq_u32_e32 vcc_lo, 1, v24
	v_writelane_b32 v87, s8, 3
	s_and_b32 s8, vcc_lo, s7
	v_cmp_eq_u32_e32 vcc_lo, 0, v24
	v_writelane_b32 v87, s8, 4
	v_cmp_gt_u32_e64 s8, 32, v4
	v_mul_u64_e32 v[24:25], s[64:65], v[28:29]
	s_and_b32 s47, vcc_lo, s7
	v_cmp_le_i32_e32 vcc_lo, s13, v4
	s_and_b32 s8, s3, s8
	s_delay_alu instid0(SALU_CYCLE_1) | instskip(SKIP_1) | instid1(SALU_CYCLE_1)
	v_writelane_b32 v87, s8, 5
	s_and_b32 s9, vcc_lo, s48
	s_xor_b32 s8, s9, -1
	v_writelane_b32 v87, s9, 6
	s_and_b32 s48, s3, s8
	v_cmp_le_i32_e64 s8, s13, v6
	s_cmp_gt_i32 s63, 0
	s_cselect_b32 s49, -1, 0
	s_or_b32 s10, s8, vcc_lo
	v_cmp_le_i32_e64 s8, s13, v26
	s_or_b32 s11, s8, vcc_lo
	v_cmp_le_i32_e64 s8, s13, v30
	;; [unrolled: 2-line block ×3, first 2 shown]
	s_or_b32 s18, s8, vcc_lo
	v_cmp_gt_i32_e32 vcc_lo, s13, v4
	s_and_b32 s8, s3, vcc_lo
	v_cmp_gt_i32_e32 vcc_lo, s87, v10
	v_writelane_b32 v87, s8, 7
	v_cmp_gt_i32_e64 s8, s87, v18
	v_subrev_nc_u32_e32 v18, 32, v7
	s_and_b32 s9, vcc_lo, s8
	v_cmp_gt_i32_e32 vcc_lo, s87, v2
	v_writelane_b32 v87, s9, 8
	v_dual_mov_b32 v7, v3 :: v_dual_add_nc_u32 v2, -16, v7
	s_and_b32 s9, vcc_lo, s8
	v_cmp_gt_i32_e32 vcc_lo, s87, v18
	v_writelane_b32 v87, s9, 9
	s_delay_alu instid0(VALU_DEP_3)
	v_mul_u64_e32 v[18:19], s[64:65], v[6:7]
	v_lshlrev_b32_e32 v7, 2, v20
	v_mul_u64_e32 v[20:21], s[64:65], v[26:27]
	s_and_b32 s9, vcc_lo, s8
	v_cmp_gt_i32_e32 vcc_lo, s87, v2
	v_writelane_b32 v87, s9, 10
	v_or_b32_e32 v2, v26, v4
	s_lshl_b64 s[64:65], s[20:21], 2
	v_cmp_gt_u32_e64 s20, 32, v32
	s_and_b32 s9, vcc_lo, s8
	v_cmp_gt_u32_e64 s21, 24, v32
	v_writelane_b32 v87, s9, 11
	v_cmp_ge_u32_e64 s9, v4, v6
	s_or_b32 s10, s10, s9
	s_delay_alu instid0(SALU_CYCLE_1) | instskip(SKIP_3) | instid1(VALU_DEP_1)
	v_writelane_b32 v87, s10, 12
	v_cmp_ge_u32_e64 s10, v4, v26
	v_mad_u32_u24 v26, 0xfc, v4, v77
	s_or_b32 s11, s11, s10
	v_mad_u32 v77, v26, 7, v9
	v_writelane_b32 v87, s11, 13
	v_cmp_ge_u32_e64 s11, v4, v30
	v_lshlrev_b32_e32 v26, 2, v4
	s_or_b32 s12, s12, s11
	s_delay_alu instid0(SALU_CYCLE_1)
	v_writelane_b32 v87, s12, 14
	v_cmp_ge_u32_e64 s12, v4, v28
	v_mov_b32_e32 v28, 1.0
	s_or_b32 s13, s18, s12
	v_cmp_gt_u32_e64 s18, 48, v32
	v_writelane_b32 v87, s13, 15
	v_cmp_eq_u32_e64 s13, 0, v82
	v_writelane_b32 v87, s57, 16
	v_cmp_gt_u32_e64 s57, 0xe0, v32
	s_delay_alu instid0(VALU_DEP_1) | instskip(SKIP_1) | instid1(VALU_DEP_1)
	v_writelane_b32 v87, s57, 17
	v_cmp_gt_u32_e64 s57, 0xd0, v32
	v_writelane_b32 v87, s57, 18
	v_cmp_gt_u32_e64 s57, 0xc0, v32
	s_delay_alu instid0(VALU_DEP_1) | instskip(SKIP_1) | instid1(VALU_DEP_1)
	v_writelane_b32 v87, s57, 19
	v_cmp_gt_u32_e64 s57, 0xb0, v32
	;; [unrolled: 5-line block ×16, first 2 shown]
	v_writelane_b32 v86, s57, 16
	v_cmp_gt_u32_e64 s57, 0x120, v32
	s_delay_alu instid0(VALU_DEP_1) | instskip(SKIP_3) | instid1(VALU_DEP_1)
	v_writelane_b32 v86, s57, 17
	v_cmp_eq_u32_e64 s57, 0, v8
	v_writelane_b32 v86, s60, 18
	v_cmp_gt_u32_e64 s60, 64, v2
	v_writelane_b32 v86, s60, 19
	v_cmp_gt_u32_e64 s60, 64, v83
	s_delay_alu instid0(VALU_DEP_1) | instskip(SKIP_1) | instid1(VALU_DEP_1)
	v_writelane_b32 v86, s60, 20
	v_cmp_gt_u32_e64 s60, 64, v31
	v_writelane_b32 v86, s60, 21
	s_branch .LBB2_3
.LBB2_2:                                ;   in Loop: Header=BB2_3 Depth=1
	s_wait_xcnt 0x0
	s_or_b32 exec_lo, exec_lo, s0
	v_readlane_b32 s0, v89, 0
	s_add_co_i32 s80, s80, 0x10000
	global_wb scope:SCOPE_DEV
	s_wait_storecnt 0x0
	global_inv scope:SCOPE_DEV
	s_cmp_lt_u32 s80, s0
	s_cbranch_scc0 .LBB2_1225
.LBB2_3:                                ; =>This Loop Header: Depth=1
                                        ;     Child Loop BB2_1094 Depth 2
                                        ;       Child Loop BB2_1096 Depth 3
                                        ;     Child Loop BB2_1131 Depth 2
	global_load_b32 v2, v3, s[68:69]
	s_mul_u64 s[0:1], s[66:67], s[80:81]
	v_readlane_b32 s60, v89, 1
	s_lshl_b64 s[0:1], s[0:1], 2
	s_delay_alu instid0(SALU_CYCLE_1) | instskip(NEXT) | instid1(SALU_CYCLE_1)
	s_add_nc_u64 s[0:1], s[72:73], s[0:1]
	v_lshl_add_u64 v[30:31], v[12:13], 2, s[0:1]
	s_and_not1_b32 vcc_lo, exec_lo, s60
	s_cbranch_vccnz .LBB2_13
; %bb.4:                                ;   in Loop: Header=BB2_3 Depth=1
	s_delay_alu instid0(VALU_DEP_1)
	v_lshl_add_u64 v[32:33], v[10:11], 2, v[30:31]
	v_dual_mov_b32 v79, 0 :: v_dual_mov_b32 v78, 0
	s_wait_loadcnt 0x0
	s_barrier_signal -1
	s_barrier_wait -1
	s_wait_xcnt 0x0
	s_mov_b32 s60, exec_lo
	v_readlane_b32 s61, v87, 8
	s_and_b32 s61, s60, s61
	s_delay_alu instid0(SALU_CYCLE_1)
	s_mov_b32 exec_lo, s61
	s_cbranch_execz .LBB2_6
; %bb.5:                                ;   in Loop: Header=BB2_3 Depth=1
	global_load_b32 v78, v[32:33], off
.LBB2_6:                                ;   in Loop: Header=BB2_3 Depth=1
	s_wait_xcnt 0x0
	s_or_b32 exec_lo, exec_lo, s60
	s_wait_loadcnt 0x0
	s_barrier_signal -1
	s_barrier_wait -1
	s_mov_b32 s60, exec_lo
	v_readlane_b32 s61, v87, 9
	s_and_b32 s61, s60, s61
	s_delay_alu instid0(SALU_CYCLE_1)
	s_mov_b32 exec_lo, s61
	s_cbranch_execz .LBB2_8
; %bb.7:                                ;   in Loop: Header=BB2_3 Depth=1
	global_load_b32 v79, v[32:33], off offset:64
.LBB2_8:                                ;   in Loop: Header=BB2_3 Depth=1
	s_wait_xcnt 0x0
	s_or_b32 exec_lo, exec_lo, s60
	v_dual_mov_b32 v81, 0 :: v_dual_mov_b32 v80, 0
	s_wait_loadcnt 0x0
	s_barrier_signal -1
	s_barrier_wait -1
	s_mov_b32 s60, exec_lo
	v_readlane_b32 s61, v87, 10
	s_and_b32 s61, s60, s61
	s_delay_alu instid0(SALU_CYCLE_1)
	s_mov_b32 exec_lo, s61
	s_cbranch_execz .LBB2_10
; %bb.9:                                ;   in Loop: Header=BB2_3 Depth=1
	global_load_b32 v80, v[32:33], off offset:128
.LBB2_10:                               ;   in Loop: Header=BB2_3 Depth=1
	s_wait_xcnt 0x0
	s_or_b32 exec_lo, exec_lo, s60
	s_wait_loadcnt 0x0
	s_barrier_signal -1
	s_barrier_wait -1
	s_mov_b32 s60, exec_lo
	v_readlane_b32 s61, v87, 11
	s_and_b32 s61, s60, s61
	s_delay_alu instid0(SALU_CYCLE_1)
	s_mov_b32 exec_lo, s61
	s_cbranch_execz .LBB2_12
; %bb.11:                               ;   in Loop: Header=BB2_3 Depth=1
	global_load_b32 v81, v[32:33], off offset:192
.LBB2_12:                               ;   in Loop: Header=BB2_3 Depth=1
	s_wait_xcnt 0x0
	s_or_b32 exec_lo, exec_lo, s60
.LBB2_13:                               ;   in Loop: Header=BB2_3 Depth=1
	s_add_nc_u64 s[0:1], s[0:1], s[64:65]
	s_and_not1_b32 vcc_lo, exec_lo, s89
	v_add_nc_u64_e32 v[32:33], s[0:1], v[26:27]
	s_mov_b32 s0, -1
	s_cbranch_vccnz .LBB2_24
; %bb.14:                               ;   in Loop: Header=BB2_3 Depth=1
	s_wait_xcnt 0x0
	s_and_saveexec_b32 s0, s9
	s_delay_alu instid0(SALU_CYCLE_1)
	s_xor_b32 s0, exec_lo, s0
	s_cbranch_execnz .LBB2_1152
; %bb.15:                               ;   in Loop: Header=BB2_3 Depth=1
	s_and_not1_saveexec_b32 s0, s0
	s_cbranch_execnz .LBB2_1155
.LBB2_16:                               ;   in Loop: Header=BB2_3 Depth=1
	s_or_b32 exec_lo, exec_lo, s0
	s_and_saveexec_b32 s0, s10
	s_delay_alu instid0(SALU_CYCLE_1)
	s_xor_b32 s0, exec_lo, s0
	s_cbranch_execnz .LBB2_1156
.LBB2_17:                               ;   in Loop: Header=BB2_3 Depth=1
	s_and_not1_saveexec_b32 s0, s0
	s_cbranch_execnz .LBB2_1159
.LBB2_18:                               ;   in Loop: Header=BB2_3 Depth=1
	s_or_b32 exec_lo, exec_lo, s0
	s_and_saveexec_b32 s0, s11
	s_delay_alu instid0(SALU_CYCLE_1)
	s_xor_b32 s0, exec_lo, s0
	s_cbranch_execnz .LBB2_1160
.LBB2_19:                               ;   in Loop: Header=BB2_3 Depth=1
	s_and_not1_saveexec_b32 s0, s0
	s_cbranch_execnz .LBB2_1163
.LBB2_20:                               ;   in Loop: Header=BB2_3 Depth=1
	s_or_b32 exec_lo, exec_lo, s0
	s_and_saveexec_b32 s0, s12
	s_delay_alu instid0(SALU_CYCLE_1)
	s_xor_b32 s0, exec_lo, s0
	s_cbranch_execnz .LBB2_1164
.LBB2_21:                               ;   in Loop: Header=BB2_3 Depth=1
	s_and_not1_saveexec_b32 s0, s0
	s_cbranch_execz .LBB2_23
.LBB2_22:                               ;   in Loop: Header=BB2_3 Depth=1
	v_lshl_add_u64 v[82:83], v[24:25], 2, v[32:33]
	global_load_b32 v29, v[82:83], off
	s_wait_loadcnt 0x0
	v_xor_b32_e32 v29, 0x80000000, v29
	ds_store_b32 v75, v29
.LBB2_23:                               ;   in Loop: Header=BB2_3 Depth=1
	s_or_b32 exec_lo, exec_lo, s0
	s_mov_b32 s0, 0
.LBB2_24:                               ;   in Loop: Header=BB2_3 Depth=1
	s_delay_alu instid0(SALU_CYCLE_1)
	s_and_b32 vcc_lo, exec_lo, s0
	s_cbranch_vccz .LBB2_50
; %bb.25:                               ;   in Loop: Header=BB2_3 Depth=1
	s_wait_xcnt 0x0
	s_mov_b32 s0, exec_lo
	v_readlane_b32 s1, v87, 12
	s_and_b32 s1, s0, s1
	s_delay_alu instid0(SALU_CYCLE_1)
	s_xor_b32 s0, s1, s0
	s_mov_b32 exec_lo, s1
	s_cbranch_execz .LBB2_29
; %bb.26:                               ;   in Loop: Header=BB2_3 Depth=1
	s_mov_b32 s1, exec_lo
	v_readlane_b32 s60, v86, 18
	s_and_b32 s60, s1, s60
	s_delay_alu instid0(SALU_CYCLE_1)
	s_mov_b32 exec_lo, s60
; %bb.27:                               ;   in Loop: Header=BB2_3 Depth=1
	ds_store_b32 v76, v3
; %bb.28:                               ;   in Loop: Header=BB2_3 Depth=1
	s_or_b32 exec_lo, exec_lo, s1
.LBB2_29:                               ;   in Loop: Header=BB2_3 Depth=1
	s_and_not1_saveexec_b32 s0, s0
	s_cbranch_execz .LBB2_31
; %bb.30:                               ;   in Loop: Header=BB2_3 Depth=1
	v_lshl_add_u64 v[82:83], v[18:19], 2, v[32:33]
	global_load_b32 v29, v[82:83], off
	s_wait_loadcnt 0x0
	v_xor_b32_e32 v29, 0x80000000, v29
	ds_store_b32 v76, v29
.LBB2_31:                               ;   in Loop: Header=BB2_3 Depth=1
	s_or_b32 exec_lo, exec_lo, s0
	s_delay_alu instid0(SALU_CYCLE_1) | instskip(SKIP_2) | instid1(SALU_CYCLE_1)
	s_mov_b32 s0, exec_lo
	v_readlane_b32 s1, v87, 13
	s_and_b32 s1, s0, s1
	s_xor_b32 s0, s1, s0
	s_mov_b32 exec_lo, s1
	s_cbranch_execz .LBB2_35
; %bb.32:                               ;   in Loop: Header=BB2_3 Depth=1
	s_mov_b32 s1, exec_lo
	v_readlane_b32 s60, v86, 19
	s_and_b32 s60, s1, s60
	s_delay_alu instid0(SALU_CYCLE_1)
	s_mov_b32 exec_lo, s60
; %bb.33:                               ;   in Loop: Header=BB2_3 Depth=1
	ds_store_b32 v7, v3
; %bb.34:                               ;   in Loop: Header=BB2_3 Depth=1
	s_or_b32 exec_lo, exec_lo, s1
.LBB2_35:                               ;   in Loop: Header=BB2_3 Depth=1
	s_and_not1_saveexec_b32 s0, s0
	s_cbranch_execz .LBB2_37
; %bb.36:                               ;   in Loop: Header=BB2_3 Depth=1
	v_lshl_add_u64 v[82:83], v[20:21], 2, v[32:33]
	global_load_b32 v29, v[82:83], off
	s_wait_loadcnt 0x0
	v_xor_b32_e32 v29, 0x80000000, v29
	ds_store_b32 v7, v29
.LBB2_37:                               ;   in Loop: Header=BB2_3 Depth=1
	s_or_b32 exec_lo, exec_lo, s0
	s_delay_alu instid0(SALU_CYCLE_1) | instskip(SKIP_2) | instid1(SALU_CYCLE_1)
	s_mov_b32 s0, exec_lo
	v_readlane_b32 s1, v87, 14
	s_and_b32 s1, s0, s1
	;; [unrolled: 28-line block ×3, first 2 shown]
	s_xor_b32 s0, s1, s0
	s_mov_b32 exec_lo, s1
	s_cbranch_execz .LBB2_47
; %bb.44:                               ;   in Loop: Header=BB2_3 Depth=1
	s_mov_b32 s1, exec_lo
	v_readlane_b32 s60, v86, 21
	s_and_b32 s60, s1, s60
	s_delay_alu instid0(SALU_CYCLE_1)
	s_mov_b32 exec_lo, s60
; %bb.45:                               ;   in Loop: Header=BB2_3 Depth=1
	ds_store_b32 v75, v3
; %bb.46:                               ;   in Loop: Header=BB2_3 Depth=1
	s_or_b32 exec_lo, exec_lo, s1
                                        ; implicit-def: $vgpr32_vgpr33
.LBB2_47:                               ;   in Loop: Header=BB2_3 Depth=1
	s_and_not1_saveexec_b32 s0, s0
	s_cbranch_execz .LBB2_49
; %bb.48:                               ;   in Loop: Header=BB2_3 Depth=1
	v_lshl_add_u64 v[32:33], v[24:25], 2, v[32:33]
	global_load_b32 v29, v[32:33], off
	s_wait_loadcnt 0x0
	v_xor_b32_e32 v29, 0x80000000, v29
	ds_store_b32 v75, v29
.LBB2_49:                               ;   in Loop: Header=BB2_3 Depth=1
	s_or_b32 exec_lo, exec_lo, s0
.LBB2_50:                               ;   in Loop: Header=BB2_3 Depth=1
	s_delay_alu instid0(SALU_CYCLE_1)
	s_and_not1_b32 vcc_lo, exec_lo, s90
	s_wait_loadcnt_dscnt 0x0
	s_barrier_signal -1
	s_barrier_wait -1
	s_cbranch_vccnz .LBB2_1088
; %bb.51:                               ;   in Loop: Header=BB2_3 Depth=1
	s_and_saveexec_b32 s0, s13
	s_cbranch_execz .LBB2_53
; %bb.52:                               ;   in Loop: Header=BB2_3 Depth=1
	ds_load_b32 v29, v3 offset:16376
	ds_store_b32 v3, v28 offset:16380
	s_wait_dscnt 0x1
	ds_store_b64 v3, v[28:29] offset:16120
.LBB2_53:                               ;   in Loop: Header=BB2_3 Depth=1
	s_or_b32 exec_lo, exec_lo, s0
	v_mov_b32_e32 v29, 0
	s_wait_dscnt 0x0
	s_barrier_signal -1
	s_barrier_wait -1
	global_wb scope:SCOPE_DEV
	s_wait_storecnt 0x0
	global_inv scope:SCOPE_DEV
	s_and_saveexec_b32 s0, s2
	s_cbranch_execz .LBB2_57
; %bb.54:                               ;   in Loop: Header=BB2_3 Depth=1
	ds_load_b32 v29, v43 offset:16112
	ds_load_b32 v32, v44 offset:16376
	s_wait_dscnt 0x0
	v_fma_f32 v29, v29, v32, 0
	s_and_saveexec_b32 s1, s14
	s_cbranch_execz .LBB2_56
; %bb.55:                               ;   in Loop: Header=BB2_3 Depth=1
	ds_load_b32 v32, v9 offset:16368
	ds_load_b32 v33, v3 offset:16380
	s_wait_dscnt 0x0
	v_fmac_f32_e32 v29, v32, v33
.LBB2_56:                               ;   in Loop: Header=BB2_3 Depth=1
	s_or_b32 exec_lo, exec_lo, s1
.LBB2_57:                               ;   in Loop: Header=BB2_3 Depth=1
	s_delay_alu instid0(SALU_CYCLE_1)
	s_or_b32 exec_lo, exec_lo, s0
	s_and_saveexec_b32 s0, s91
; %bb.58:                               ;   in Loop: Header=BB2_3 Depth=1
	s_delay_alu instid0(VALU_DEP_1)
	v_xor_b32_e32 v32, 0x80000000, v29
	ds_store_b32 v41, v32
; %bb.59:                               ;   in Loop: Header=BB2_3 Depth=1
	s_or_b32 exec_lo, exec_lo, s0
	s_wait_loadcnt_dscnt 0x0
	s_barrier_signal -1
	s_barrier_wait -1
	s_and_saveexec_b32 s0, s92
	s_cbranch_execz .LBB2_61
; %bb.60:                               ;   in Loop: Header=BB2_3 Depth=1
	ds_load_b32 v32, v3 offset:15856
	ds_load_b32 v33, v41
	s_wait_dscnt 0x0
	v_fma_f32 v29, -v32, v33, v29
.LBB2_61:                               ;   in Loop: Header=BB2_3 Depth=1
	s_or_b32 exec_lo, exec_lo, s0
	s_barrier_signal -1
	s_barrier_wait -1
	s_and_saveexec_b32 s0, s92
; %bb.62:                               ;   in Loop: Header=BB2_3 Depth=1
	v_xor_b32_e32 v32, 0x80000000, v29
	ds_store_b32 v41, v32
; %bb.63:                               ;   in Loop: Header=BB2_3 Depth=1
	s_or_b32 exec_lo, exec_lo, s0
	s_wait_dscnt 0x0
	s_barrier_signal -1
	s_barrier_wait -1
	s_barrier_signal -1
	s_barrier_wait -1
	s_and_saveexec_b32 s0, s2
; %bb.64:                               ;   in Loop: Header=BB2_3 Depth=1
	ds_store_b32 v46, v29 offset:16368
; %bb.65:                               ;   in Loop: Header=BB2_3 Depth=1
	s_or_b32 exec_lo, exec_lo, s0
	s_wait_dscnt 0x0
	s_barrier_signal -1
	s_barrier_wait -1
	s_barrier_signal -1
	s_barrier_wait -1
	s_and_saveexec_b32 s0, s93
	s_cbranch_execz .LBB2_67
; %bb.66:                               ;   in Loop: Header=BB2_3 Depth=1
	ds_load_b32 v29, v34 offset:16112
	s_wait_dscnt 0x0
	ds_store_b32 v9, v29 offset:15608
	ds_load_b32 v29, v34 offset:16116
	s_wait_dscnt 0x0
	ds_store_b32 v9, v29 offset:15864
.LBB2_67:                               ;   in Loop: Header=BB2_3 Depth=1
	s_or_b32 exec_lo, exec_lo, s0
	s_wait_dscnt 0x0
	s_barrier_signal -1
	s_barrier_wait -1
	s_and_saveexec_b32 s0, s13
	s_cbranch_execz .LBB2_69
; %bb.68:                               ;   in Loop: Header=BB2_3 Depth=1
	ds_load_b32 v29, v3 offset:15856
	ds_store_b32 v3, v28 offset:15860
	s_wait_dscnt 0x1
	ds_store_b64 v3, v[28:29] offset:15600
.LBB2_69:                               ;   in Loop: Header=BB2_3 Depth=1
	s_or_b32 exec_lo, exec_lo, s0
	v_mov_b32_e32 v29, 0
	s_wait_dscnt 0x0
	s_barrier_signal -1
	s_barrier_wait -1
	global_wb scope:SCOPE_DEV
	s_wait_storecnt 0x0
	global_inv scope:SCOPE_DEV
	s_and_saveexec_b32 s0, s4
	s_cbranch_execz .LBB2_75
; %bb.70:                               ;   in Loop: Header=BB2_3 Depth=1
	ds_load_b32 v29, v48 offset:15584
	ds_load_b32 v32, v50 offset:16368
	s_wait_dscnt 0x0
	v_fma_f32 v29, v29, v32, 0
	s_and_saveexec_b32 s1, s15
	s_cbranch_execnz .LBB2_1175
; %bb.71:                               ;   in Loop: Header=BB2_3 Depth=1
	s_or_b32 exec_lo, exec_lo, s1
	s_and_saveexec_b32 s1, s16
	s_cbranch_execnz .LBB2_1176
.LBB2_72:                               ;   in Loop: Header=BB2_3 Depth=1
	s_or_b32 exec_lo, exec_lo, s1
	s_and_saveexec_b32 s1, s2
	s_cbranch_execz .LBB2_74
.LBB2_73:                               ;   in Loop: Header=BB2_3 Depth=1
	ds_load_b32 v32, v35 offset:16352
	ds_load_b32 v33, v3 offset:16380
	s_wait_dscnt 0x0
	v_fmac_f32_e32 v29, v32, v33
.LBB2_74:                               ;   in Loop: Header=BB2_3 Depth=1
	s_or_b32 exec_lo, exec_lo, s1
.LBB2_75:                               ;   in Loop: Header=BB2_3 Depth=1
	s_delay_alu instid0(SALU_CYCLE_1)
	s_or_b32 exec_lo, exec_lo, s0
	s_and_saveexec_b32 s0, s94
; %bb.76:                               ;   in Loop: Header=BB2_3 Depth=1
	s_delay_alu instid0(VALU_DEP_1)
	v_xor_b32_e32 v32, 0x80000000, v29
	ds_store_b32 v47, v32
; %bb.77:                               ;   in Loop: Header=BB2_3 Depth=1
	s_or_b32 exec_lo, exec_lo, s0
	s_wait_loadcnt_dscnt 0x0
	s_barrier_signal -1
	s_barrier_wait -1
	s_and_saveexec_b32 s0, s95
	s_cbranch_execz .LBB2_79
; %bb.78:                               ;   in Loop: Header=BB2_3 Depth=1
	ds_load_b32 v32, v48 offset:15328
	ds_load_b32 v33, v47
	s_wait_dscnt 0x0
	v_fma_f32 v29, -v32, v33, v29
.LBB2_79:                               ;   in Loop: Header=BB2_3 Depth=1
	s_or_b32 exec_lo, exec_lo, s0
	s_barrier_signal -1
	s_barrier_wait -1
	s_and_saveexec_b32 s0, s96
; %bb.80:                               ;   in Loop: Header=BB2_3 Depth=1
	v_xor_b32_e32 v32, 0x80000000, v29
	ds_store_b32 v47, v32
; %bb.81:                               ;   in Loop: Header=BB2_3 Depth=1
	s_or_b32 exec_lo, exec_lo, s0
	s_wait_dscnt 0x0
	s_barrier_signal -1
	s_barrier_wait -1
	s_and_saveexec_b32 s0, s97
	s_cbranch_execz .LBB2_83
; %bb.82:                               ;   in Loop: Header=BB2_3 Depth=1
	ds_load_b32 v32, v48 offset:15072
	ds_load_b32 v33, v47
	s_wait_dscnt 0x0
	v_fma_f32 v29, -v32, v33, v29
.LBB2_83:                               ;   in Loop: Header=BB2_3 Depth=1
	s_or_b32 exec_lo, exec_lo, s0
	s_barrier_signal -1
	s_barrier_wait -1
	s_and_saveexec_b32 s0, s98
; %bb.84:                               ;   in Loop: Header=BB2_3 Depth=1
	v_xor_b32_e32 v32, 0x80000000, v29
	ds_store_b32 v47, v32
; %bb.85:                               ;   in Loop: Header=BB2_3 Depth=1
	s_or_b32 exec_lo, exec_lo, s0
	s_wait_dscnt 0x0
	;; [unrolled: 20-line block ×3, first 2 shown]
	s_barrier_signal -1
	s_barrier_wait -1
	s_barrier_signal -1
	s_barrier_wait -1
	s_and_saveexec_b32 s0, s4
; %bb.90:                               ;   in Loop: Header=BB2_3 Depth=1
	ds_store_b32 v51, v29 offset:16352
; %bb.91:                               ;   in Loop: Header=BB2_3 Depth=1
	s_or_b32 exec_lo, exec_lo, s0
	s_wait_dscnt 0x0
	s_barrier_signal -1
	s_barrier_wait -1
	s_barrier_signal -1
	s_barrier_wait -1
	s_and_saveexec_b32 s0, s100
	s_cbranch_execz .LBB2_93
; %bb.92:                               ;   in Loop: Header=BB2_3 Depth=1
	ds_load_b32 v29, v36 offset:15584
	s_wait_dscnt 0x0
	ds_store_b32 v37, v29 offset:14576
	ds_load_b32 v29, v36 offset:15588
	s_wait_dscnt 0x0
	ds_store_b32 v37, v29 offset:14832
	;; [unrolled: 3-line block ×4, first 2 shown]
.LBB2_93:                               ;   in Loop: Header=BB2_3 Depth=1
	s_or_b32 exec_lo, exec_lo, s0
	s_wait_dscnt 0x0
	s_barrier_signal -1
	s_barrier_wait -1
	s_and_saveexec_b32 s0, s13
	s_cbranch_execz .LBB2_95
; %bb.94:                               ;   in Loop: Header=BB2_3 Depth=1
	ds_load_b32 v29, v3 offset:15336
	ds_store_b32 v3, v28 offset:15340
	s_wait_dscnt 0x1
	ds_store_b64 v3, v[28:29] offset:15080
.LBB2_95:                               ;   in Loop: Header=BB2_3 Depth=1
	s_or_b32 exec_lo, exec_lo, s0
	v_mov_b32_e32 v29, 0
	s_wait_dscnt 0x0
	s_barrier_signal -1
	s_barrier_wait -1
	global_wb scope:SCOPE_DEV
	s_wait_storecnt 0x0
	global_inv scope:SCOPE_DEV
	s_and_saveexec_b32 s0, s2
	s_cbranch_execz .LBB2_99
; %bb.96:                               ;   in Loop: Header=BB2_3 Depth=1
	ds_load_b32 v29, v43 offset:15072
	ds_load_b32 v32, v44 offset:15336
	s_wait_dscnt 0x0
	v_fma_f32 v29, v29, v32, 0
	s_and_saveexec_b32 s1, s14
	s_cbranch_execz .LBB2_98
; %bb.97:                               ;   in Loop: Header=BB2_3 Depth=1
	ds_load_b32 v32, v37 offset:15328
	ds_load_b32 v33, v3 offset:15340
	s_wait_dscnt 0x0
	v_fmac_f32_e32 v29, v32, v33
.LBB2_98:                               ;   in Loop: Header=BB2_3 Depth=1
	s_or_b32 exec_lo, exec_lo, s1
.LBB2_99:                               ;   in Loop: Header=BB2_3 Depth=1
	s_delay_alu instid0(SALU_CYCLE_1)
	s_or_b32 exec_lo, exec_lo, s0
	s_and_saveexec_b32 s0, s91
; %bb.100:                              ;   in Loop: Header=BB2_3 Depth=1
	s_delay_alu instid0(VALU_DEP_1)
	v_xor_b32_e32 v32, 0x80000000, v29
	ds_store_b32 v41, v32
; %bb.101:                              ;   in Loop: Header=BB2_3 Depth=1
	s_or_b32 exec_lo, exec_lo, s0
	s_wait_loadcnt_dscnt 0x0
	s_barrier_signal -1
	s_barrier_wait -1
	s_and_saveexec_b32 s0, s92
	s_cbranch_execz .LBB2_103
; %bb.102:                              ;   in Loop: Header=BB2_3 Depth=1
	ds_load_b32 v32, v3 offset:14816
	ds_load_b32 v33, v41
	s_wait_dscnt 0x0
	v_fma_f32 v29, -v32, v33, v29
.LBB2_103:                              ;   in Loop: Header=BB2_3 Depth=1
	s_or_b32 exec_lo, exec_lo, s0
	s_barrier_signal -1
	s_barrier_wait -1
	s_and_saveexec_b32 s0, s92
; %bb.104:                              ;   in Loop: Header=BB2_3 Depth=1
	v_xor_b32_e32 v32, 0x80000000, v29
	ds_store_b32 v41, v32
; %bb.105:                              ;   in Loop: Header=BB2_3 Depth=1
	s_or_b32 exec_lo, exec_lo, s0
	s_wait_dscnt 0x0
	s_barrier_signal -1
	s_barrier_wait -1
	s_barrier_signal -1
	s_barrier_wait -1
	s_and_saveexec_b32 s0, s2
; %bb.106:                              ;   in Loop: Header=BB2_3 Depth=1
	ds_store_b32 v46, v29 offset:15328
; %bb.107:                              ;   in Loop: Header=BB2_3 Depth=1
	s_or_b32 exec_lo, exec_lo, s0
	s_wait_dscnt 0x0
	s_barrier_signal -1
	s_barrier_wait -1
	s_barrier_signal -1
	s_barrier_wait -1
	s_and_saveexec_b32 s0, s93
	s_cbranch_execz .LBB2_109
; %bb.108:                              ;   in Loop: Header=BB2_3 Depth=1
	ds_load_b32 v29, v38 offset:15072
	s_wait_dscnt 0x0
	ds_store_b32 v37, v29 offset:14568
	ds_load_b32 v29, v38 offset:15076
	s_wait_dscnt 0x0
	ds_store_b32 v37, v29 offset:14824
.LBB2_109:                              ;   in Loop: Header=BB2_3 Depth=1
	s_or_b32 exec_lo, exec_lo, s0
	s_wait_dscnt 0x0
	s_barrier_signal -1
	s_barrier_wait -1
	s_and_saveexec_b32 s0, s13
	s_cbranch_execz .LBB2_111
; %bb.110:                              ;   in Loop: Header=BB2_3 Depth=1
	ds_load_b32 v29, v3 offset:14816
	ds_store_b32 v3, v28 offset:14820
	s_wait_dscnt 0x1
	ds_store_b64 v3, v[28:29] offset:14560
.LBB2_111:                              ;   in Loop: Header=BB2_3 Depth=1
	s_or_b32 exec_lo, exec_lo, s0
	v_mov_b32_e32 v29, 0
	s_wait_dscnt 0x0
	s_barrier_signal -1
	s_barrier_wait -1
	global_wb scope:SCOPE_DEV
	s_wait_storecnt 0x0
	global_inv scope:SCOPE_DEV
	s_and_saveexec_b32 s0, s5
	s_cbranch_execz .LBB2_121
; %bb.112:                              ;   in Loop: Header=BB2_3 Depth=1
	ds_load_b32 v29, v53 offset:14528
	ds_load_b32 v32, v56 offset:16352
	s_wait_dscnt 0x0
	v_fma_f32 v29, v29, v32, 0
	s_and_saveexec_b32 s1, s17
	s_cbranch_execnz .LBB2_1177
; %bb.113:                              ;   in Loop: Header=BB2_3 Depth=1
	s_or_b32 exec_lo, exec_lo, s1
	s_and_saveexec_b32 s1, s18
	s_cbranch_execnz .LBB2_1178
.LBB2_114:                              ;   in Loop: Header=BB2_3 Depth=1
	s_or_b32 exec_lo, exec_lo, s1
	s_and_saveexec_b32 s1, s19
	s_cbranch_execnz .LBB2_1179
.LBB2_115:                              ;   in Loop: Header=BB2_3 Depth=1
	s_or_b32 exec_lo, exec_lo, s1
	s_and_saveexec_b32 s1, s20
	s_cbranch_execnz .LBB2_1180
.LBB2_116:                              ;   in Loop: Header=BB2_3 Depth=1
	s_or_b32 exec_lo, exec_lo, s1
	s_and_saveexec_b32 s1, s21
	s_cbranch_execnz .LBB2_1181
.LBB2_117:                              ;   in Loop: Header=BB2_3 Depth=1
	s_or_b32 exec_lo, exec_lo, s1
	s_and_saveexec_b32 s1, s4
	s_cbranch_execnz .LBB2_1182
.LBB2_118:                              ;   in Loop: Header=BB2_3 Depth=1
	s_or_b32 exec_lo, exec_lo, s1
	s_and_saveexec_b32 s1, s16
	s_cbranch_execz .LBB2_120
.LBB2_119:                              ;   in Loop: Header=BB2_3 Depth=1
	ds_load_b32 v32, v39 offset:16320
	ds_load_b32 v33, v3 offset:16380
	s_wait_dscnt 0x0
	v_fmac_f32_e32 v29, v32, v33
.LBB2_120:                              ;   in Loop: Header=BB2_3 Depth=1
	s_or_b32 exec_lo, exec_lo, s1
.LBB2_121:                              ;   in Loop: Header=BB2_3 Depth=1
	s_delay_alu instid0(SALU_CYCLE_1)
	s_or_b32 exec_lo, exec_lo, s0
	s_and_saveexec_b32 s0, s101
; %bb.122:                              ;   in Loop: Header=BB2_3 Depth=1
	s_delay_alu instid0(VALU_DEP_1)
	v_xor_b32_e32 v32, 0x80000000, v29
	ds_store_b32 v54, v32
; %bb.123:                              ;   in Loop: Header=BB2_3 Depth=1
	s_or_b32 exec_lo, exec_lo, s0
	s_wait_loadcnt_dscnt 0x0
	s_barrier_signal -1
	s_barrier_wait -1
	s_and_saveexec_b32 s0, s102
	s_cbranch_execz .LBB2_125
; %bb.124:                              ;   in Loop: Header=BB2_3 Depth=1
	ds_load_b32 v32, v53 offset:14272
	ds_load_b32 v33, v54
	s_wait_dscnt 0x0
	v_fma_f32 v29, -v32, v33, v29
.LBB2_125:                              ;   in Loop: Header=BB2_3 Depth=1
	s_or_b32 exec_lo, exec_lo, s0
	s_barrier_signal -1
	s_barrier_wait -1
	s_and_saveexec_b32 s0, s103
; %bb.126:                              ;   in Loop: Header=BB2_3 Depth=1
	v_xor_b32_e32 v32, 0x80000000, v29
	ds_store_b32 v54, v32
; %bb.127:                              ;   in Loop: Header=BB2_3 Depth=1
	s_or_b32 exec_lo, exec_lo, s0
	s_wait_dscnt 0x0
	s_barrier_signal -1
	s_barrier_wait -1
	s_and_saveexec_b32 s0, s104
	s_cbranch_execz .LBB2_129
; %bb.128:                              ;   in Loop: Header=BB2_3 Depth=1
	ds_load_b32 v32, v53 offset:14016
	ds_load_b32 v33, v54
	s_wait_dscnt 0x0
	v_fma_f32 v29, -v32, v33, v29
.LBB2_129:                              ;   in Loop: Header=BB2_3 Depth=1
	s_or_b32 exec_lo, exec_lo, s0
	s_barrier_signal -1
	s_barrier_wait -1
	s_and_saveexec_b32 s0, vcc_hi
; %bb.130:                              ;   in Loop: Header=BB2_3 Depth=1
	v_xor_b32_e32 v32, 0x80000000, v29
	ds_store_b32 v54, v32
; %bb.131:                              ;   in Loop: Header=BB2_3 Depth=1
	s_or_b32 exec_lo, exec_lo, s0
	s_wait_dscnt 0x0
	s_barrier_signal -1
	s_barrier_wait -1
	s_and_saveexec_b32 s0, s34
	s_cbranch_execz .LBB2_133
; %bb.132:                              ;   in Loop: Header=BB2_3 Depth=1
	ds_load_b32 v32, v53 offset:13760
	ds_load_b32 v33, v54
	s_wait_dscnt 0x0
	v_fma_f32 v29, -v32, v33, v29
.LBB2_133:                              ;   in Loop: Header=BB2_3 Depth=1
	s_or_b32 exec_lo, exec_lo, s0
	s_barrier_signal -1
	s_barrier_wait -1
	s_and_saveexec_b32 s0, s35
; %bb.134:                              ;   in Loop: Header=BB2_3 Depth=1
	v_xor_b32_e32 v32, 0x80000000, v29
	ds_store_b32 v54, v32
; %bb.135:                              ;   in Loop: Header=BB2_3 Depth=1
	s_or_b32 exec_lo, exec_lo, s0
	s_wait_dscnt 0x0
	s_barrier_signal -1
	s_barrier_wait -1
	s_and_saveexec_b32 s0, s36
	s_cbranch_execz .LBB2_137
; %bb.136:                              ;   in Loop: Header=BB2_3 Depth=1
	ds_load_b32 v32, v53 offset:13504
	ds_load_b32 v33, v54
	s_wait_dscnt 0x0
	v_fma_f32 v29, -v32, v33, v29
.LBB2_137:                              ;   in Loop: Header=BB2_3 Depth=1
	s_or_b32 exec_lo, exec_lo, s0
	s_barrier_signal -1
	s_barrier_wait -1
	s_and_saveexec_b32 s0, s37
	;; [unrolled: 20-line block ×5, first 2 shown]
; %bb.150:                              ;   in Loop: Header=BB2_3 Depth=1
	v_xor_b32_e32 v32, 0x80000000, v29
	ds_store_b32 v54, v32
; %bb.151:                              ;   in Loop: Header=BB2_3 Depth=1
	s_or_b32 exec_lo, exec_lo, s0
	s_wait_dscnt 0x0
	s_barrier_signal -1
	s_barrier_wait -1
	s_barrier_signal -1
	s_barrier_wait -1
	s_and_saveexec_b32 s0, s5
; %bb.152:                              ;   in Loop: Header=BB2_3 Depth=1
	ds_store_b32 v57, v29 offset:16320
; %bb.153:                              ;   in Loop: Header=BB2_3 Depth=1
	s_or_b32 exec_lo, exec_lo, s0
	s_wait_dscnt 0x0
	s_barrier_signal -1
	s_barrier_wait -1
	s_barrier_signal -1
	s_barrier_wait -1
	s_and_saveexec_b32 s0, s43
	s_cbranch_execz .LBB2_155
; %bb.154:                              ;   in Loop: Header=BB2_3 Depth=1
	ds_load_b32 v29, v40 offset:14528
	s_wait_dscnt 0x0
	ds_store_b32 v42, v29 offset:12512
	ds_load_b32 v29, v40 offset:14532
	s_wait_dscnt 0x0
	ds_store_b32 v42, v29 offset:12768
	;; [unrolled: 3-line block ×8, first 2 shown]
.LBB2_155:                              ;   in Loop: Header=BB2_3 Depth=1
	s_or_b32 exec_lo, exec_lo, s0
	s_wait_dscnt 0x0
	s_barrier_signal -1
	s_barrier_wait -1
	s_and_saveexec_b32 s0, s13
	s_cbranch_execz .LBB2_157
; %bb.156:                              ;   in Loop: Header=BB2_3 Depth=1
	ds_load_b32 v29, v3 offset:14296
	ds_store_b32 v3, v28 offset:14300
	s_wait_dscnt 0x1
	ds_store_b64 v3, v[28:29] offset:14040
.LBB2_157:                              ;   in Loop: Header=BB2_3 Depth=1
	s_or_b32 exec_lo, exec_lo, s0
	v_mov_b32_e32 v29, 0
	s_wait_dscnt 0x0
	s_barrier_signal -1
	s_barrier_wait -1
	global_wb scope:SCOPE_DEV
	s_wait_storecnt 0x0
	global_inv scope:SCOPE_DEV
	s_and_saveexec_b32 s0, s2
	s_cbranch_execz .LBB2_161
; %bb.158:                              ;   in Loop: Header=BB2_3 Depth=1
	ds_load_b32 v29, v43 offset:14032
	ds_load_b32 v32, v44 offset:14296
	s_wait_dscnt 0x0
	v_fma_f32 v29, v29, v32, 0
	s_and_saveexec_b32 s1, s14
	s_cbranch_execz .LBB2_160
; %bb.159:                              ;   in Loop: Header=BB2_3 Depth=1
	ds_load_b32 v32, v42 offset:14288
	ds_load_b32 v33, v3 offset:14300
	s_wait_dscnt 0x0
	v_fmac_f32_e32 v29, v32, v33
.LBB2_160:                              ;   in Loop: Header=BB2_3 Depth=1
	s_or_b32 exec_lo, exec_lo, s1
.LBB2_161:                              ;   in Loop: Header=BB2_3 Depth=1
	s_delay_alu instid0(SALU_CYCLE_1)
	s_or_b32 exec_lo, exec_lo, s0
	s_and_saveexec_b32 s0, s91
; %bb.162:                              ;   in Loop: Header=BB2_3 Depth=1
	s_delay_alu instid0(VALU_DEP_1)
	v_xor_b32_e32 v32, 0x80000000, v29
	ds_store_b32 v41, v32
; %bb.163:                              ;   in Loop: Header=BB2_3 Depth=1
	s_or_b32 exec_lo, exec_lo, s0
	s_wait_loadcnt_dscnt 0x0
	s_barrier_signal -1
	s_barrier_wait -1
	s_and_saveexec_b32 s0, s92
	s_cbranch_execz .LBB2_165
; %bb.164:                              ;   in Loop: Header=BB2_3 Depth=1
	ds_load_b32 v32, v3 offset:13776
	ds_load_b32 v33, v41
	s_wait_dscnt 0x0
	v_fma_f32 v29, -v32, v33, v29
.LBB2_165:                              ;   in Loop: Header=BB2_3 Depth=1
	s_or_b32 exec_lo, exec_lo, s0
	s_barrier_signal -1
	s_barrier_wait -1
	s_and_saveexec_b32 s0, s92
; %bb.166:                              ;   in Loop: Header=BB2_3 Depth=1
	v_xor_b32_e32 v32, 0x80000000, v29
	ds_store_b32 v41, v32
; %bb.167:                              ;   in Loop: Header=BB2_3 Depth=1
	s_or_b32 exec_lo, exec_lo, s0
	s_wait_dscnt 0x0
	s_barrier_signal -1
	s_barrier_wait -1
	s_barrier_signal -1
	s_barrier_wait -1
	s_and_saveexec_b32 s0, s2
; %bb.168:                              ;   in Loop: Header=BB2_3 Depth=1
	ds_store_b32 v46, v29 offset:14288
; %bb.169:                              ;   in Loop: Header=BB2_3 Depth=1
	s_or_b32 exec_lo, exec_lo, s0
	s_wait_dscnt 0x0
	s_barrier_signal -1
	s_barrier_wait -1
	s_barrier_signal -1
	s_barrier_wait -1
	s_and_saveexec_b32 s0, s93
	s_cbranch_execz .LBB2_171
; %bb.170:                              ;   in Loop: Header=BB2_3 Depth=1
	ds_load_b32 v29, v45 offset:14032
	s_wait_dscnt 0x0
	ds_store_b32 v42, v29 offset:13528
	ds_load_b32 v29, v45 offset:14036
	s_wait_dscnt 0x0
	ds_store_b32 v42, v29 offset:13784
.LBB2_171:                              ;   in Loop: Header=BB2_3 Depth=1
	s_or_b32 exec_lo, exec_lo, s0
	s_wait_dscnt 0x0
	s_barrier_signal -1
	s_barrier_wait -1
	s_and_saveexec_b32 s0, s13
	s_cbranch_execz .LBB2_173
; %bb.172:                              ;   in Loop: Header=BB2_3 Depth=1
	ds_load_b32 v29, v3 offset:13776
	ds_store_b32 v3, v28 offset:13780
	s_wait_dscnt 0x1
	ds_store_b64 v3, v[28:29] offset:13520
.LBB2_173:                              ;   in Loop: Header=BB2_3 Depth=1
	s_or_b32 exec_lo, exec_lo, s0
	v_mov_b32_e32 v29, 0
	s_wait_dscnt 0x0
	s_barrier_signal -1
	s_barrier_wait -1
	global_wb scope:SCOPE_DEV
	s_wait_storecnt 0x0
	global_inv scope:SCOPE_DEV
	s_and_saveexec_b32 s0, s4
	s_cbranch_execz .LBB2_179
; %bb.174:                              ;   in Loop: Header=BB2_3 Depth=1
	ds_load_b32 v29, v48 offset:13504
	ds_load_b32 v32, v50 offset:14288
	s_wait_dscnt 0x0
	v_fma_f32 v29, v29, v32, 0
	s_and_saveexec_b32 s1, s15
	s_cbranch_execnz .LBB2_1183
; %bb.175:                              ;   in Loop: Header=BB2_3 Depth=1
	s_or_b32 exec_lo, exec_lo, s1
	s_and_saveexec_b32 s1, s16
	s_cbranch_execnz .LBB2_1184
.LBB2_176:                              ;   in Loop: Header=BB2_3 Depth=1
	s_or_b32 exec_lo, exec_lo, s1
	s_and_saveexec_b32 s1, s2
	s_cbranch_execz .LBB2_178
.LBB2_177:                              ;   in Loop: Header=BB2_3 Depth=1
	ds_load_b32 v32, v49 offset:14272
	ds_load_b32 v33, v3 offset:14300
	s_wait_dscnt 0x0
	v_fmac_f32_e32 v29, v32, v33
.LBB2_178:                              ;   in Loop: Header=BB2_3 Depth=1
	s_or_b32 exec_lo, exec_lo, s1
.LBB2_179:                              ;   in Loop: Header=BB2_3 Depth=1
	s_delay_alu instid0(SALU_CYCLE_1)
	s_or_b32 exec_lo, exec_lo, s0
	s_and_saveexec_b32 s0, s94
; %bb.180:                              ;   in Loop: Header=BB2_3 Depth=1
	s_delay_alu instid0(VALU_DEP_1)
	v_xor_b32_e32 v32, 0x80000000, v29
	ds_store_b32 v47, v32
; %bb.181:                              ;   in Loop: Header=BB2_3 Depth=1
	s_or_b32 exec_lo, exec_lo, s0
	s_wait_loadcnt_dscnt 0x0
	s_barrier_signal -1
	s_barrier_wait -1
	s_and_saveexec_b32 s0, s95
	s_cbranch_execz .LBB2_183
; %bb.182:                              ;   in Loop: Header=BB2_3 Depth=1
	ds_load_b32 v32, v48 offset:13248
	ds_load_b32 v33, v47
	s_wait_dscnt 0x0
	v_fma_f32 v29, -v32, v33, v29
.LBB2_183:                              ;   in Loop: Header=BB2_3 Depth=1
	s_or_b32 exec_lo, exec_lo, s0
	s_barrier_signal -1
	s_barrier_wait -1
	s_and_saveexec_b32 s0, s96
; %bb.184:                              ;   in Loop: Header=BB2_3 Depth=1
	v_xor_b32_e32 v32, 0x80000000, v29
	ds_store_b32 v47, v32
; %bb.185:                              ;   in Loop: Header=BB2_3 Depth=1
	s_or_b32 exec_lo, exec_lo, s0
	s_wait_dscnt 0x0
	s_barrier_signal -1
	s_barrier_wait -1
	s_and_saveexec_b32 s0, s97
	s_cbranch_execz .LBB2_187
; %bb.186:                              ;   in Loop: Header=BB2_3 Depth=1
	ds_load_b32 v32, v48 offset:12992
	ds_load_b32 v33, v47
	s_wait_dscnt 0x0
	v_fma_f32 v29, -v32, v33, v29
.LBB2_187:                              ;   in Loop: Header=BB2_3 Depth=1
	s_or_b32 exec_lo, exec_lo, s0
	s_barrier_signal -1
	s_barrier_wait -1
	s_and_saveexec_b32 s0, s98
; %bb.188:                              ;   in Loop: Header=BB2_3 Depth=1
	v_xor_b32_e32 v32, 0x80000000, v29
	ds_store_b32 v47, v32
; %bb.189:                              ;   in Loop: Header=BB2_3 Depth=1
	s_or_b32 exec_lo, exec_lo, s0
	s_wait_dscnt 0x0
	;; [unrolled: 20-line block ×3, first 2 shown]
	s_barrier_signal -1
	s_barrier_wait -1
	s_barrier_signal -1
	s_barrier_wait -1
	s_and_saveexec_b32 s0, s4
; %bb.194:                              ;   in Loop: Header=BB2_3 Depth=1
	ds_store_b32 v51, v29 offset:14272
; %bb.195:                              ;   in Loop: Header=BB2_3 Depth=1
	s_or_b32 exec_lo, exec_lo, s0
	s_wait_dscnt 0x0
	s_barrier_signal -1
	s_barrier_wait -1
	s_barrier_signal -1
	s_barrier_wait -1
	s_and_saveexec_b32 s0, s100
	s_cbranch_execz .LBB2_197
; %bb.196:                              ;   in Loop: Header=BB2_3 Depth=1
	ds_load_b32 v29, v52 offset:13504
	s_wait_dscnt 0x0
	ds_store_b32 v55, v29 offset:12496
	ds_load_b32 v29, v52 offset:13508
	s_wait_dscnt 0x0
	ds_store_b32 v55, v29 offset:12752
	ds_load_b32 v29, v52 offset:13512
	s_wait_dscnt 0x0
	ds_store_b32 v55, v29 offset:13008
	ds_load_b32 v29, v52 offset:13516
	s_wait_dscnt 0x0
	ds_store_b32 v55, v29 offset:13264
.LBB2_197:                              ;   in Loop: Header=BB2_3 Depth=1
	s_or_b32 exec_lo, exec_lo, s0
	s_wait_dscnt 0x0
	s_barrier_signal -1
	s_barrier_wait -1
	s_and_saveexec_b32 s0, s13
	s_cbranch_execz .LBB2_199
; %bb.198:                              ;   in Loop: Header=BB2_3 Depth=1
	ds_load_b32 v29, v3 offset:13256
	ds_store_b32 v3, v28 offset:13260
	s_wait_dscnt 0x1
	ds_store_b64 v3, v[28:29] offset:13000
.LBB2_199:                              ;   in Loop: Header=BB2_3 Depth=1
	s_or_b32 exec_lo, exec_lo, s0
	v_mov_b32_e32 v29, 0
	s_wait_dscnt 0x0
	s_barrier_signal -1
	s_barrier_wait -1
	global_wb scope:SCOPE_DEV
	s_wait_storecnt 0x0
	global_inv scope:SCOPE_DEV
	s_and_saveexec_b32 s0, s2
	s_cbranch_execz .LBB2_203
; %bb.200:                              ;   in Loop: Header=BB2_3 Depth=1
	ds_load_b32 v29, v43 offset:12992
	ds_load_b32 v32, v44 offset:13256
	s_wait_dscnt 0x0
	v_fma_f32 v29, v29, v32, 0
	s_and_saveexec_b32 s1, s14
	s_cbranch_execz .LBB2_202
; %bb.201:                              ;   in Loop: Header=BB2_3 Depth=1
	ds_load_b32 v32, v55 offset:13248
	ds_load_b32 v33, v3 offset:13260
	s_wait_dscnt 0x0
	v_fmac_f32_e32 v29, v32, v33
.LBB2_202:                              ;   in Loop: Header=BB2_3 Depth=1
	s_or_b32 exec_lo, exec_lo, s1
.LBB2_203:                              ;   in Loop: Header=BB2_3 Depth=1
	s_delay_alu instid0(SALU_CYCLE_1)
	s_or_b32 exec_lo, exec_lo, s0
	s_and_saveexec_b32 s0, s91
; %bb.204:                              ;   in Loop: Header=BB2_3 Depth=1
	s_delay_alu instid0(VALU_DEP_1)
	v_xor_b32_e32 v32, 0x80000000, v29
	ds_store_b32 v41, v32
; %bb.205:                              ;   in Loop: Header=BB2_3 Depth=1
	s_or_b32 exec_lo, exec_lo, s0
	s_wait_loadcnt_dscnt 0x0
	s_barrier_signal -1
	s_barrier_wait -1
	s_and_saveexec_b32 s0, s92
	s_cbranch_execz .LBB2_207
; %bb.206:                              ;   in Loop: Header=BB2_3 Depth=1
	ds_load_b32 v32, v3 offset:12736
	ds_load_b32 v33, v41
	s_wait_dscnt 0x0
	v_fma_f32 v29, -v32, v33, v29
.LBB2_207:                              ;   in Loop: Header=BB2_3 Depth=1
	s_or_b32 exec_lo, exec_lo, s0
	s_barrier_signal -1
	s_barrier_wait -1
	s_and_saveexec_b32 s0, s92
; %bb.208:                              ;   in Loop: Header=BB2_3 Depth=1
	v_xor_b32_e32 v32, 0x80000000, v29
	ds_store_b32 v41, v32
; %bb.209:                              ;   in Loop: Header=BB2_3 Depth=1
	s_or_b32 exec_lo, exec_lo, s0
	s_wait_dscnt 0x0
	s_barrier_signal -1
	s_barrier_wait -1
	s_barrier_signal -1
	s_barrier_wait -1
	s_and_saveexec_b32 s0, s2
; %bb.210:                              ;   in Loop: Header=BB2_3 Depth=1
	ds_store_b32 v46, v29 offset:13248
; %bb.211:                              ;   in Loop: Header=BB2_3 Depth=1
	s_or_b32 exec_lo, exec_lo, s0
	s_wait_dscnt 0x0
	s_barrier_signal -1
	s_barrier_wait -1
	s_barrier_signal -1
	s_barrier_wait -1
	s_and_saveexec_b32 s0, s93
	s_cbranch_execz .LBB2_213
; %bb.212:                              ;   in Loop: Header=BB2_3 Depth=1
	ds_load_b32 v29, v58 offset:12992
	s_wait_dscnt 0x0
	ds_store_b32 v55, v29 offset:12488
	ds_load_b32 v29, v58 offset:12996
	s_wait_dscnt 0x0
	ds_store_b32 v55, v29 offset:12744
.LBB2_213:                              ;   in Loop: Header=BB2_3 Depth=1
	s_or_b32 exec_lo, exec_lo, s0
	s_wait_dscnt 0x0
	s_barrier_signal -1
	s_barrier_wait -1
	s_and_saveexec_b32 s0, s13
	s_cbranch_execz .LBB2_215
; %bb.214:                              ;   in Loop: Header=BB2_3 Depth=1
	ds_load_b32 v29, v3 offset:12736
	ds_store_b32 v3, v28 offset:12740
	s_wait_dscnt 0x1
	ds_store_b64 v3, v[28:29] offset:12480
.LBB2_215:                              ;   in Loop: Header=BB2_3 Depth=1
	s_or_b32 exec_lo, exec_lo, s0
	v_mov_b32_e32 v29, 0
	s_wait_dscnt 0x0
	s_barrier_signal -1
	s_barrier_wait -1
	global_wb scope:SCOPE_DEV
	s_wait_storecnt 0x0
	global_inv scope:SCOPE_DEV
	s_and_saveexec_b32 s0, s6
	s_cbranch_execz .LBB2_243
; %bb.216:                              ;   in Loop: Header=BB2_3 Depth=1
	ds_load_b32 v29, v59 offset:12416
	ds_load_b32 v32, v61 offset:16320
	s_wait_dscnt 0x0
	v_fma_f32 v29, v29, v32, 0
	s_mov_b32 s1, exec_lo
	v_readlane_b32 s60, v87, 16
	s_and_b32 s60, s1, s60
	s_delay_alu instid0(SALU_CYCLE_1)
	s_mov_b32 exec_lo, s60
	s_cbranch_execz .LBB2_218
; %bb.217:                              ;   in Loop: Header=BB2_3 Depth=1
	ds_load_b32 v32, v59 offset:12672
	ds_load_b32 v33, v61 offset:16324
	s_wait_dscnt 0x0
	v_fmac_f32_e32 v29, v32, v33
.LBB2_218:                              ;   in Loop: Header=BB2_3 Depth=1
	s_or_b32 exec_lo, exec_lo, s1
	s_delay_alu instid0(SALU_CYCLE_1) | instskip(SKIP_2) | instid1(SALU_CYCLE_1)
	s_mov_b32 s1, exec_lo
	v_readlane_b32 s60, v87, 17
	s_and_b32 s60, s1, s60
	s_mov_b32 exec_lo, s60
	s_cbranch_execz .LBB2_220
; %bb.219:                              ;   in Loop: Header=BB2_3 Depth=1
	ds_load_b32 v32, v59 offset:12928
	ds_load_b32 v33, v61 offset:16328
	s_wait_dscnt 0x0
	v_fmac_f32_e32 v29, v32, v33
.LBB2_220:                              ;   in Loop: Header=BB2_3 Depth=1
	s_or_b32 exec_lo, exec_lo, s1
	s_delay_alu instid0(SALU_CYCLE_1) | instskip(SKIP_2) | instid1(SALU_CYCLE_1)
	s_mov_b32 s1, exec_lo
	v_readlane_b32 s60, v87, 18
	s_and_b32 s60, s1, s60
	;; [unrolled: 13-line block ×10, first 2 shown]
	s_mov_b32 exec_lo, s60
	s_cbranch_execnz .LBB2_1185
; %bb.237:                              ;   in Loop: Header=BB2_3 Depth=1
	s_or_b32 exec_lo, exec_lo, s1
	s_and_saveexec_b32 s1, s5
	s_cbranch_execnz .LBB2_1186
.LBB2_238:                              ;   in Loop: Header=BB2_3 Depth=1
	s_or_b32 exec_lo, exec_lo, s1
	s_and_saveexec_b32 s1, s18
	s_cbranch_execnz .LBB2_1187
.LBB2_239:                              ;   in Loop: Header=BB2_3 Depth=1
	s_or_b32 exec_lo, exec_lo, s1
	s_and_saveexec_b32 s1, s20
	s_cbranch_execnz .LBB2_1188
.LBB2_240:                              ;   in Loop: Header=BB2_3 Depth=1
	s_or_b32 exec_lo, exec_lo, s1
	s_and_saveexec_b32 s1, s4
	s_cbranch_execz .LBB2_242
.LBB2_241:                              ;   in Loop: Header=BB2_3 Depth=1
	ds_load_b32 v32, v9 offset:16256
	ds_load_b32 v33, v3 offset:16380
	s_wait_dscnt 0x0
	v_fmac_f32_e32 v29, v32, v33
.LBB2_242:                              ;   in Loop: Header=BB2_3 Depth=1
	s_or_b32 exec_lo, exec_lo, s1
.LBB2_243:                              ;   in Loop: Header=BB2_3 Depth=1
	s_delay_alu instid0(SALU_CYCLE_1) | instskip(NEXT) | instid1(SALU_CYCLE_1)
	s_or_b32 exec_lo, exec_lo, s0
	s_mov_b32 s0, exec_lo
	v_readlane_b32 s1, v89, 2
	s_and_b32 s1, s0, s1
	s_delay_alu instid0(SALU_CYCLE_1)
	s_mov_b32 exec_lo, s1
; %bb.244:                              ;   in Loop: Header=BB2_3 Depth=1
	v_xor_b32_e32 v32, 0x80000000, v29
	ds_store_b32 v60, v32
; %bb.245:                              ;   in Loop: Header=BB2_3 Depth=1
	s_or_b32 exec_lo, exec_lo, s0
	s_wait_loadcnt_dscnt 0x0
	s_barrier_signal -1
	s_barrier_wait -1
	s_mov_b32 s0, exec_lo
	v_readlane_b32 s1, v89, 3
	s_and_b32 s1, s0, s1
	s_delay_alu instid0(SALU_CYCLE_1)
	s_mov_b32 exec_lo, s1
	s_cbranch_execz .LBB2_247
; %bb.246:                              ;   in Loop: Header=BB2_3 Depth=1
	ds_load_b32 v32, v59 offset:12160
	ds_load_b32 v33, v60
	s_wait_dscnt 0x0
	v_fma_f32 v29, -v32, v33, v29
.LBB2_247:                              ;   in Loop: Header=BB2_3 Depth=1
	s_or_b32 exec_lo, exec_lo, s0
	s_barrier_signal -1
	s_barrier_wait -1
	s_mov_b32 s0, exec_lo
	v_readlane_b32 s1, v89, 4
	s_and_b32 s1, s0, s1
	s_delay_alu instid0(SALU_CYCLE_1)
	s_mov_b32 exec_lo, s1
; %bb.248:                              ;   in Loop: Header=BB2_3 Depth=1
	v_xor_b32_e32 v32, 0x80000000, v29
	ds_store_b32 v60, v32
; %bb.249:                              ;   in Loop: Header=BB2_3 Depth=1
	s_or_b32 exec_lo, exec_lo, s0
	s_wait_dscnt 0x0
	s_barrier_signal -1
	s_barrier_wait -1
	s_mov_b32 s0, exec_lo
	v_readlane_b32 s1, v89, 5
	s_and_b32 s1, s0, s1
	s_delay_alu instid0(SALU_CYCLE_1)
	s_mov_b32 exec_lo, s1
	s_cbranch_execz .LBB2_251
; %bb.250:                              ;   in Loop: Header=BB2_3 Depth=1
	ds_load_b32 v32, v59 offset:11904
	ds_load_b32 v33, v60
	s_wait_dscnt 0x0
	v_fma_f32 v29, -v32, v33, v29
.LBB2_251:                              ;   in Loop: Header=BB2_3 Depth=1
	s_or_b32 exec_lo, exec_lo, s0
	s_barrier_signal -1
	s_barrier_wait -1
	s_mov_b32 s0, exec_lo
	v_readlane_b32 s1, v89, 6
	s_and_b32 s1, s0, s1
	s_delay_alu instid0(SALU_CYCLE_1)
	s_mov_b32 exec_lo, s1
; %bb.252:                              ;   in Loop: Header=BB2_3 Depth=1
	v_xor_b32_e32 v32, 0x80000000, v29
	ds_store_b32 v60, v32
; %bb.253:                              ;   in Loop: Header=BB2_3 Depth=1
	s_or_b32 exec_lo, exec_lo, s0
	s_wait_dscnt 0x0
	s_barrier_signal -1
	s_barrier_wait -1
	s_mov_b32 s0, exec_lo
	v_readlane_b32 s1, v89, 7
	s_and_b32 s1, s0, s1
	s_delay_alu instid0(SALU_CYCLE_1)
	s_mov_b32 exec_lo, s1
	s_cbranch_execz .LBB2_255
; %bb.254:                              ;   in Loop: Header=BB2_3 Depth=1
	ds_load_b32 v32, v59 offset:11648
	ds_load_b32 v33, v60
	s_wait_dscnt 0x0
	v_fma_f32 v29, -v32, v33, v29
.LBB2_255:                              ;   in Loop: Header=BB2_3 Depth=1
	s_or_b32 exec_lo, exec_lo, s0
	s_barrier_signal -1
	s_barrier_wait -1
	s_and_saveexec_b32 s0, s50
; %bb.256:                              ;   in Loop: Header=BB2_3 Depth=1
	v_xor_b32_e32 v32, 0x80000000, v29
	ds_store_b32 v60, v32
; %bb.257:                              ;   in Loop: Header=BB2_3 Depth=1
	s_or_b32 exec_lo, exec_lo, s0
	s_wait_dscnt 0x0
	s_barrier_signal -1
	s_barrier_wait -1
	s_and_saveexec_b32 s0, s51
	s_cbranch_execz .LBB2_259
; %bb.258:                              ;   in Loop: Header=BB2_3 Depth=1
	ds_load_b32 v32, v59 offset:11392
	ds_load_b32 v33, v60
	s_wait_dscnt 0x0
	v_fma_f32 v29, -v32, v33, v29
.LBB2_259:                              ;   in Loop: Header=BB2_3 Depth=1
	s_or_b32 exec_lo, exec_lo, s0
	s_barrier_signal -1
	s_barrier_wait -1
	s_and_saveexec_b32 s0, s52
; %bb.260:                              ;   in Loop: Header=BB2_3 Depth=1
	v_xor_b32_e32 v32, 0x80000000, v29
	ds_store_b32 v60, v32
; %bb.261:                              ;   in Loop: Header=BB2_3 Depth=1
	s_or_b32 exec_lo, exec_lo, s0
	s_wait_dscnt 0x0
	s_barrier_signal -1
	s_barrier_wait -1
	s_and_saveexec_b32 s0, s53
	;; [unrolled: 20-line block ×12, first 2 shown]
	s_cbranch_execz .LBB2_303
; %bb.302:                              ;   in Loop: Header=BB2_3 Depth=1
	ds_load_b32 v32, v3 offset:8576
	ds_load_b32 v33, v60
	s_wait_dscnt 0x0
	v_fma_f32 v29, -v32, v33, v29
.LBB2_303:                              ;   in Loop: Header=BB2_3 Depth=1
	s_or_b32 exec_lo, exec_lo, s0
	s_barrier_signal -1
	s_barrier_wait -1
	s_and_saveexec_b32 s0, s45
; %bb.304:                              ;   in Loop: Header=BB2_3 Depth=1
	v_xor_b32_e32 v32, 0x80000000, v29
	ds_store_b32 v60, v32
; %bb.305:                              ;   in Loop: Header=BB2_3 Depth=1
	s_or_b32 exec_lo, exec_lo, s0
	s_wait_dscnt 0x0
	s_barrier_signal -1
	s_barrier_wait -1
	s_barrier_signal -1
	s_barrier_wait -1
	s_and_saveexec_b32 s0, s6
; %bb.306:                              ;   in Loop: Header=BB2_3 Depth=1
	ds_store_b32 v63, v29 offset:16256
; %bb.307:                              ;   in Loop: Header=BB2_3 Depth=1
	s_or_b32 exec_lo, exec_lo, s0
	s_wait_dscnt 0x0
	s_barrier_signal -1
	s_barrier_wait -1
	s_barrier_signal -1
	s_barrier_wait -1
	s_and_saveexec_b32 s0, s46
	s_cbranch_execz .LBB2_309
; %bb.308:                              ;   in Loop: Header=BB2_3 Depth=1
	ds_load_b32 v29, v34 offset:12416
	s_wait_dscnt 0x0
	ds_store_b32 v35, v29 offset:8384
	ds_load_b32 v29, v34 offset:12420
	s_wait_dscnt 0x0
	ds_store_b32 v35, v29 offset:8640
	;; [unrolled: 3-line block ×16, first 2 shown]
.LBB2_309:                              ;   in Loop: Header=BB2_3 Depth=1
	s_or_b32 exec_lo, exec_lo, s0
	s_wait_dscnt 0x0
	s_barrier_signal -1
	s_barrier_wait -1
	s_and_saveexec_b32 s0, s13
	s_cbranch_execz .LBB2_311
; %bb.310:                              ;   in Loop: Header=BB2_3 Depth=1
	ds_load_b32 v29, v3 offset:12216
	ds_store_b32 v3, v28 offset:12220
	s_wait_dscnt 0x1
	ds_store_b64 v3, v[28:29] offset:11960
.LBB2_311:                              ;   in Loop: Header=BB2_3 Depth=1
	s_or_b32 exec_lo, exec_lo, s0
	v_mov_b32_e32 v29, 0
	s_wait_dscnt 0x0
	s_barrier_signal -1
	s_barrier_wait -1
	global_wb scope:SCOPE_DEV
	s_wait_storecnt 0x0
	global_inv scope:SCOPE_DEV
	s_and_saveexec_b32 s0, s2
	s_cbranch_execz .LBB2_315
; %bb.312:                              ;   in Loop: Header=BB2_3 Depth=1
	ds_load_b32 v29, v43 offset:11952
	ds_load_b32 v32, v44 offset:12216
	s_wait_dscnt 0x0
	v_fma_f32 v29, v29, v32, 0
	s_and_saveexec_b32 s1, s14
	s_cbranch_execz .LBB2_314
; %bb.313:                              ;   in Loop: Header=BB2_3 Depth=1
	ds_load_b32 v32, v9 offset:12208
	ds_load_b32 v33, v3 offset:12220
	s_wait_dscnt 0x0
	v_fmac_f32_e32 v29, v32, v33
.LBB2_314:                              ;   in Loop: Header=BB2_3 Depth=1
	s_or_b32 exec_lo, exec_lo, s1
.LBB2_315:                              ;   in Loop: Header=BB2_3 Depth=1
	s_delay_alu instid0(SALU_CYCLE_1)
	s_or_b32 exec_lo, exec_lo, s0
	s_and_saveexec_b32 s0, s91
; %bb.316:                              ;   in Loop: Header=BB2_3 Depth=1
	s_delay_alu instid0(VALU_DEP_1)
	v_xor_b32_e32 v32, 0x80000000, v29
	ds_store_b32 v41, v32
; %bb.317:                              ;   in Loop: Header=BB2_3 Depth=1
	s_or_b32 exec_lo, exec_lo, s0
	s_wait_loadcnt_dscnt 0x0
	s_barrier_signal -1
	s_barrier_wait -1
	s_and_saveexec_b32 s0, s92
	s_cbranch_execz .LBB2_319
; %bb.318:                              ;   in Loop: Header=BB2_3 Depth=1
	ds_load_b32 v32, v3 offset:11696
	ds_load_b32 v33, v41
	s_wait_dscnt 0x0
	v_fma_f32 v29, -v32, v33, v29
.LBB2_319:                              ;   in Loop: Header=BB2_3 Depth=1
	s_or_b32 exec_lo, exec_lo, s0
	s_barrier_signal -1
	s_barrier_wait -1
	s_and_saveexec_b32 s0, s92
; %bb.320:                              ;   in Loop: Header=BB2_3 Depth=1
	v_xor_b32_e32 v32, 0x80000000, v29
	ds_store_b32 v41, v32
; %bb.321:                              ;   in Loop: Header=BB2_3 Depth=1
	s_or_b32 exec_lo, exec_lo, s0
	s_wait_dscnt 0x0
	s_barrier_signal -1
	s_barrier_wait -1
	s_barrier_signal -1
	s_barrier_wait -1
	s_and_saveexec_b32 s0, s2
; %bb.322:                              ;   in Loop: Header=BB2_3 Depth=1
	ds_store_b32 v46, v29 offset:12208
; %bb.323:                              ;   in Loop: Header=BB2_3 Depth=1
	s_or_b32 exec_lo, exec_lo, s0
	s_wait_dscnt 0x0
	s_barrier_signal -1
	s_barrier_wait -1
	s_barrier_signal -1
	s_barrier_wait -1
	s_and_saveexec_b32 s0, s93
	s_cbranch_execz .LBB2_325
; %bb.324:                              ;   in Loop: Header=BB2_3 Depth=1
	ds_load_b32 v29, v34 offset:11952
	s_wait_dscnt 0x0
	ds_store_b32 v9, v29 offset:11448
	ds_load_b32 v29, v34 offset:11956
	s_wait_dscnt 0x0
	ds_store_b32 v9, v29 offset:11704
.LBB2_325:                              ;   in Loop: Header=BB2_3 Depth=1
	s_or_b32 exec_lo, exec_lo, s0
	s_wait_dscnt 0x0
	s_barrier_signal -1
	s_barrier_wait -1
	s_and_saveexec_b32 s0, s13
	s_cbranch_execz .LBB2_327
; %bb.326:                              ;   in Loop: Header=BB2_3 Depth=1
	ds_load_b32 v29, v3 offset:11696
	ds_store_b32 v3, v28 offset:11700
	s_wait_dscnt 0x1
	ds_store_b64 v3, v[28:29] offset:11440
.LBB2_327:                              ;   in Loop: Header=BB2_3 Depth=1
	s_or_b32 exec_lo, exec_lo, s0
	v_mov_b32_e32 v29, 0
	s_wait_dscnt 0x0
	s_barrier_signal -1
	s_barrier_wait -1
	global_wb scope:SCOPE_DEV
	s_wait_storecnt 0x0
	global_inv scope:SCOPE_DEV
	s_and_saveexec_b32 s0, s4
	s_cbranch_execz .LBB2_333
; %bb.328:                              ;   in Loop: Header=BB2_3 Depth=1
	ds_load_b32 v29, v48 offset:11424
	ds_load_b32 v32, v50 offset:12208
	s_wait_dscnt 0x0
	v_fma_f32 v29, v29, v32, 0
	s_and_saveexec_b32 s1, s15
	s_cbranch_execnz .LBB2_1189
; %bb.329:                              ;   in Loop: Header=BB2_3 Depth=1
	s_or_b32 exec_lo, exec_lo, s1
	s_and_saveexec_b32 s1, s16
	s_cbranch_execnz .LBB2_1190
.LBB2_330:                              ;   in Loop: Header=BB2_3 Depth=1
	s_or_b32 exec_lo, exec_lo, s1
	s_and_saveexec_b32 s1, s2
	s_cbranch_execz .LBB2_332
.LBB2_331:                              ;   in Loop: Header=BB2_3 Depth=1
	ds_load_b32 v32, v35 offset:12192
	ds_load_b32 v33, v3 offset:12220
	s_wait_dscnt 0x0
	v_fmac_f32_e32 v29, v32, v33
.LBB2_332:                              ;   in Loop: Header=BB2_3 Depth=1
	s_or_b32 exec_lo, exec_lo, s1
.LBB2_333:                              ;   in Loop: Header=BB2_3 Depth=1
	s_delay_alu instid0(SALU_CYCLE_1)
	s_or_b32 exec_lo, exec_lo, s0
	s_and_saveexec_b32 s0, s94
; %bb.334:                              ;   in Loop: Header=BB2_3 Depth=1
	s_delay_alu instid0(VALU_DEP_1)
	v_xor_b32_e32 v32, 0x80000000, v29
	ds_store_b32 v47, v32
; %bb.335:                              ;   in Loop: Header=BB2_3 Depth=1
	s_or_b32 exec_lo, exec_lo, s0
	s_wait_loadcnt_dscnt 0x0
	s_barrier_signal -1
	s_barrier_wait -1
	s_and_saveexec_b32 s0, s95
	s_cbranch_execz .LBB2_337
; %bb.336:                              ;   in Loop: Header=BB2_3 Depth=1
	ds_load_b32 v32, v48 offset:11168
	ds_load_b32 v33, v47
	s_wait_dscnt 0x0
	v_fma_f32 v29, -v32, v33, v29
.LBB2_337:                              ;   in Loop: Header=BB2_3 Depth=1
	s_or_b32 exec_lo, exec_lo, s0
	s_barrier_signal -1
	s_barrier_wait -1
	s_and_saveexec_b32 s0, s96
; %bb.338:                              ;   in Loop: Header=BB2_3 Depth=1
	v_xor_b32_e32 v32, 0x80000000, v29
	ds_store_b32 v47, v32
; %bb.339:                              ;   in Loop: Header=BB2_3 Depth=1
	s_or_b32 exec_lo, exec_lo, s0
	s_wait_dscnt 0x0
	s_barrier_signal -1
	s_barrier_wait -1
	s_and_saveexec_b32 s0, s97
	s_cbranch_execz .LBB2_341
; %bb.340:                              ;   in Loop: Header=BB2_3 Depth=1
	ds_load_b32 v32, v48 offset:10912
	ds_load_b32 v33, v47
	s_wait_dscnt 0x0
	v_fma_f32 v29, -v32, v33, v29
.LBB2_341:                              ;   in Loop: Header=BB2_3 Depth=1
	s_or_b32 exec_lo, exec_lo, s0
	s_barrier_signal -1
	s_barrier_wait -1
	s_and_saveexec_b32 s0, s98
; %bb.342:                              ;   in Loop: Header=BB2_3 Depth=1
	v_xor_b32_e32 v32, 0x80000000, v29
	ds_store_b32 v47, v32
; %bb.343:                              ;   in Loop: Header=BB2_3 Depth=1
	s_or_b32 exec_lo, exec_lo, s0
	s_wait_dscnt 0x0
	;; [unrolled: 20-line block ×3, first 2 shown]
	s_barrier_signal -1
	s_barrier_wait -1
	s_barrier_signal -1
	s_barrier_wait -1
	s_and_saveexec_b32 s0, s4
; %bb.348:                              ;   in Loop: Header=BB2_3 Depth=1
	ds_store_b32 v51, v29 offset:12192
; %bb.349:                              ;   in Loop: Header=BB2_3 Depth=1
	s_or_b32 exec_lo, exec_lo, s0
	s_wait_dscnt 0x0
	s_barrier_signal -1
	s_barrier_wait -1
	s_barrier_signal -1
	s_barrier_wait -1
	s_and_saveexec_b32 s0, s100
	s_cbranch_execz .LBB2_351
; %bb.350:                              ;   in Loop: Header=BB2_3 Depth=1
	ds_load_b32 v29, v36 offset:11424
	s_wait_dscnt 0x0
	ds_store_b32 v37, v29 offset:10416
	ds_load_b32 v29, v36 offset:11428
	s_wait_dscnt 0x0
	ds_store_b32 v37, v29 offset:10672
	;; [unrolled: 3-line block ×4, first 2 shown]
.LBB2_351:                              ;   in Loop: Header=BB2_3 Depth=1
	s_or_b32 exec_lo, exec_lo, s0
	s_wait_dscnt 0x0
	s_barrier_signal -1
	s_barrier_wait -1
	s_and_saveexec_b32 s0, s13
	s_cbranch_execz .LBB2_353
; %bb.352:                              ;   in Loop: Header=BB2_3 Depth=1
	ds_load_b32 v29, v3 offset:11176
	ds_store_b32 v3, v28 offset:11180
	s_wait_dscnt 0x1
	ds_store_b64 v3, v[28:29] offset:10920
.LBB2_353:                              ;   in Loop: Header=BB2_3 Depth=1
	s_or_b32 exec_lo, exec_lo, s0
	v_mov_b32_e32 v29, 0
	s_wait_dscnt 0x0
	s_barrier_signal -1
	s_barrier_wait -1
	global_wb scope:SCOPE_DEV
	s_wait_storecnt 0x0
	global_inv scope:SCOPE_DEV
	s_and_saveexec_b32 s0, s2
	s_cbranch_execz .LBB2_357
; %bb.354:                              ;   in Loop: Header=BB2_3 Depth=1
	ds_load_b32 v29, v43 offset:10912
	ds_load_b32 v32, v44 offset:11176
	s_wait_dscnt 0x0
	v_fma_f32 v29, v29, v32, 0
	s_and_saveexec_b32 s1, s14
	s_cbranch_execz .LBB2_356
; %bb.355:                              ;   in Loop: Header=BB2_3 Depth=1
	ds_load_b32 v32, v37 offset:11168
	ds_load_b32 v33, v3 offset:11180
	s_wait_dscnt 0x0
	v_fmac_f32_e32 v29, v32, v33
.LBB2_356:                              ;   in Loop: Header=BB2_3 Depth=1
	s_or_b32 exec_lo, exec_lo, s1
.LBB2_357:                              ;   in Loop: Header=BB2_3 Depth=1
	s_delay_alu instid0(SALU_CYCLE_1)
	s_or_b32 exec_lo, exec_lo, s0
	s_and_saveexec_b32 s0, s91
; %bb.358:                              ;   in Loop: Header=BB2_3 Depth=1
	s_delay_alu instid0(VALU_DEP_1)
	v_xor_b32_e32 v32, 0x80000000, v29
	ds_store_b32 v41, v32
; %bb.359:                              ;   in Loop: Header=BB2_3 Depth=1
	s_or_b32 exec_lo, exec_lo, s0
	s_wait_loadcnt_dscnt 0x0
	s_barrier_signal -1
	s_barrier_wait -1
	s_and_saveexec_b32 s0, s92
	s_cbranch_execz .LBB2_361
; %bb.360:                              ;   in Loop: Header=BB2_3 Depth=1
	ds_load_b32 v32, v3 offset:10656
	ds_load_b32 v33, v41
	s_wait_dscnt 0x0
	v_fma_f32 v29, -v32, v33, v29
.LBB2_361:                              ;   in Loop: Header=BB2_3 Depth=1
	s_or_b32 exec_lo, exec_lo, s0
	s_barrier_signal -1
	s_barrier_wait -1
	s_and_saveexec_b32 s0, s92
; %bb.362:                              ;   in Loop: Header=BB2_3 Depth=1
	v_xor_b32_e32 v32, 0x80000000, v29
	ds_store_b32 v41, v32
; %bb.363:                              ;   in Loop: Header=BB2_3 Depth=1
	s_or_b32 exec_lo, exec_lo, s0
	s_wait_dscnt 0x0
	s_barrier_signal -1
	s_barrier_wait -1
	s_barrier_signal -1
	s_barrier_wait -1
	s_and_saveexec_b32 s0, s2
; %bb.364:                              ;   in Loop: Header=BB2_3 Depth=1
	ds_store_b32 v46, v29 offset:11168
; %bb.365:                              ;   in Loop: Header=BB2_3 Depth=1
	s_or_b32 exec_lo, exec_lo, s0
	s_wait_dscnt 0x0
	s_barrier_signal -1
	s_barrier_wait -1
	s_barrier_signal -1
	s_barrier_wait -1
	s_and_saveexec_b32 s0, s93
	s_cbranch_execz .LBB2_367
; %bb.366:                              ;   in Loop: Header=BB2_3 Depth=1
	ds_load_b32 v29, v38 offset:10912
	s_wait_dscnt 0x0
	ds_store_b32 v37, v29 offset:10408
	ds_load_b32 v29, v38 offset:10916
	s_wait_dscnt 0x0
	ds_store_b32 v37, v29 offset:10664
.LBB2_367:                              ;   in Loop: Header=BB2_3 Depth=1
	s_or_b32 exec_lo, exec_lo, s0
	s_wait_dscnt 0x0
	s_barrier_signal -1
	s_barrier_wait -1
	s_and_saveexec_b32 s0, s13
	s_cbranch_execz .LBB2_369
; %bb.368:                              ;   in Loop: Header=BB2_3 Depth=1
	ds_load_b32 v29, v3 offset:10656
	ds_store_b32 v3, v28 offset:10660
	s_wait_dscnt 0x1
	ds_store_b64 v3, v[28:29] offset:10400
.LBB2_369:                              ;   in Loop: Header=BB2_3 Depth=1
	s_or_b32 exec_lo, exec_lo, s0
	v_mov_b32_e32 v29, 0
	s_wait_dscnt 0x0
	s_barrier_signal -1
	s_barrier_wait -1
	global_wb scope:SCOPE_DEV
	s_wait_storecnt 0x0
	global_inv scope:SCOPE_DEV
	s_and_saveexec_b32 s0, s5
	s_cbranch_execz .LBB2_379
; %bb.370:                              ;   in Loop: Header=BB2_3 Depth=1
	ds_load_b32 v29, v53 offset:10368
	ds_load_b32 v32, v56 offset:12192
	s_wait_dscnt 0x0
	v_fma_f32 v29, v29, v32, 0
	s_and_saveexec_b32 s1, s17
	s_cbranch_execnz .LBB2_1191
; %bb.371:                              ;   in Loop: Header=BB2_3 Depth=1
	s_or_b32 exec_lo, exec_lo, s1
	s_and_saveexec_b32 s1, s18
	s_cbranch_execnz .LBB2_1192
.LBB2_372:                              ;   in Loop: Header=BB2_3 Depth=1
	s_or_b32 exec_lo, exec_lo, s1
	s_and_saveexec_b32 s1, s19
	s_cbranch_execnz .LBB2_1193
.LBB2_373:                              ;   in Loop: Header=BB2_3 Depth=1
	s_or_b32 exec_lo, exec_lo, s1
	s_and_saveexec_b32 s1, s20
	s_cbranch_execnz .LBB2_1194
.LBB2_374:                              ;   in Loop: Header=BB2_3 Depth=1
	s_or_b32 exec_lo, exec_lo, s1
	s_and_saveexec_b32 s1, s21
	s_cbranch_execnz .LBB2_1195
.LBB2_375:                              ;   in Loop: Header=BB2_3 Depth=1
	s_or_b32 exec_lo, exec_lo, s1
	s_and_saveexec_b32 s1, s4
	s_cbranch_execnz .LBB2_1196
.LBB2_376:                              ;   in Loop: Header=BB2_3 Depth=1
	s_or_b32 exec_lo, exec_lo, s1
	s_and_saveexec_b32 s1, s16
	s_cbranch_execz .LBB2_378
.LBB2_377:                              ;   in Loop: Header=BB2_3 Depth=1
	ds_load_b32 v32, v39 offset:12160
	ds_load_b32 v33, v3 offset:12220
	s_wait_dscnt 0x0
	v_fmac_f32_e32 v29, v32, v33
.LBB2_378:                              ;   in Loop: Header=BB2_3 Depth=1
	s_or_b32 exec_lo, exec_lo, s1
.LBB2_379:                              ;   in Loop: Header=BB2_3 Depth=1
	s_delay_alu instid0(SALU_CYCLE_1)
	s_or_b32 exec_lo, exec_lo, s0
	s_and_saveexec_b32 s0, s101
; %bb.380:                              ;   in Loop: Header=BB2_3 Depth=1
	s_delay_alu instid0(VALU_DEP_1)
	v_xor_b32_e32 v32, 0x80000000, v29
	ds_store_b32 v54, v32
; %bb.381:                              ;   in Loop: Header=BB2_3 Depth=1
	s_or_b32 exec_lo, exec_lo, s0
	s_wait_loadcnt_dscnt 0x0
	s_barrier_signal -1
	s_barrier_wait -1
	s_and_saveexec_b32 s0, s102
	s_cbranch_execz .LBB2_383
; %bb.382:                              ;   in Loop: Header=BB2_3 Depth=1
	ds_load_b32 v32, v53 offset:10112
	ds_load_b32 v33, v54
	s_wait_dscnt 0x0
	v_fma_f32 v29, -v32, v33, v29
.LBB2_383:                              ;   in Loop: Header=BB2_3 Depth=1
	s_or_b32 exec_lo, exec_lo, s0
	s_barrier_signal -1
	s_barrier_wait -1
	s_and_saveexec_b32 s0, s103
; %bb.384:                              ;   in Loop: Header=BB2_3 Depth=1
	v_xor_b32_e32 v32, 0x80000000, v29
	ds_store_b32 v54, v32
; %bb.385:                              ;   in Loop: Header=BB2_3 Depth=1
	s_or_b32 exec_lo, exec_lo, s0
	s_wait_dscnt 0x0
	s_barrier_signal -1
	s_barrier_wait -1
	s_and_saveexec_b32 s0, s104
	s_cbranch_execz .LBB2_387
; %bb.386:                              ;   in Loop: Header=BB2_3 Depth=1
	ds_load_b32 v32, v53 offset:9856
	ds_load_b32 v33, v54
	s_wait_dscnt 0x0
	v_fma_f32 v29, -v32, v33, v29
.LBB2_387:                              ;   in Loop: Header=BB2_3 Depth=1
	s_or_b32 exec_lo, exec_lo, s0
	s_barrier_signal -1
	s_barrier_wait -1
	s_and_saveexec_b32 s0, vcc_hi
; %bb.388:                              ;   in Loop: Header=BB2_3 Depth=1
	v_xor_b32_e32 v32, 0x80000000, v29
	ds_store_b32 v54, v32
; %bb.389:                              ;   in Loop: Header=BB2_3 Depth=1
	s_or_b32 exec_lo, exec_lo, s0
	s_wait_dscnt 0x0
	s_barrier_signal -1
	s_barrier_wait -1
	s_and_saveexec_b32 s0, s34
	s_cbranch_execz .LBB2_391
; %bb.390:                              ;   in Loop: Header=BB2_3 Depth=1
	ds_load_b32 v32, v53 offset:9600
	ds_load_b32 v33, v54
	s_wait_dscnt 0x0
	v_fma_f32 v29, -v32, v33, v29
.LBB2_391:                              ;   in Loop: Header=BB2_3 Depth=1
	s_or_b32 exec_lo, exec_lo, s0
	s_barrier_signal -1
	s_barrier_wait -1
	s_and_saveexec_b32 s0, s35
; %bb.392:                              ;   in Loop: Header=BB2_3 Depth=1
	v_xor_b32_e32 v32, 0x80000000, v29
	ds_store_b32 v54, v32
; %bb.393:                              ;   in Loop: Header=BB2_3 Depth=1
	s_or_b32 exec_lo, exec_lo, s0
	s_wait_dscnt 0x0
	s_barrier_signal -1
	s_barrier_wait -1
	s_and_saveexec_b32 s0, s36
	s_cbranch_execz .LBB2_395
; %bb.394:                              ;   in Loop: Header=BB2_3 Depth=1
	ds_load_b32 v32, v53 offset:9344
	ds_load_b32 v33, v54
	s_wait_dscnt 0x0
	v_fma_f32 v29, -v32, v33, v29
.LBB2_395:                              ;   in Loop: Header=BB2_3 Depth=1
	s_or_b32 exec_lo, exec_lo, s0
	s_barrier_signal -1
	s_barrier_wait -1
	s_and_saveexec_b32 s0, s37
	;; [unrolled: 20-line block ×5, first 2 shown]
; %bb.408:                              ;   in Loop: Header=BB2_3 Depth=1
	v_xor_b32_e32 v32, 0x80000000, v29
	ds_store_b32 v54, v32
; %bb.409:                              ;   in Loop: Header=BB2_3 Depth=1
	s_or_b32 exec_lo, exec_lo, s0
	s_wait_dscnt 0x0
	s_barrier_signal -1
	s_barrier_wait -1
	s_barrier_signal -1
	s_barrier_wait -1
	s_and_saveexec_b32 s0, s5
; %bb.410:                              ;   in Loop: Header=BB2_3 Depth=1
	ds_store_b32 v57, v29 offset:12160
; %bb.411:                              ;   in Loop: Header=BB2_3 Depth=1
	s_or_b32 exec_lo, exec_lo, s0
	s_wait_dscnt 0x0
	s_barrier_signal -1
	s_barrier_wait -1
	s_barrier_signal -1
	s_barrier_wait -1
	s_and_saveexec_b32 s0, s43
	s_cbranch_execz .LBB2_413
; %bb.412:                              ;   in Loop: Header=BB2_3 Depth=1
	ds_load_b32 v29, v40 offset:10368
	s_wait_dscnt 0x0
	ds_store_b32 v42, v29 offset:8352
	ds_load_b32 v29, v40 offset:10372
	s_wait_dscnt 0x0
	ds_store_b32 v42, v29 offset:8608
	;; [unrolled: 3-line block ×8, first 2 shown]
.LBB2_413:                              ;   in Loop: Header=BB2_3 Depth=1
	s_or_b32 exec_lo, exec_lo, s0
	s_wait_dscnt 0x0
	s_barrier_signal -1
	s_barrier_wait -1
	s_and_saveexec_b32 s0, s13
	s_cbranch_execz .LBB2_415
; %bb.414:                              ;   in Loop: Header=BB2_3 Depth=1
	ds_load_b32 v29, v3 offset:10136
	ds_store_b32 v3, v28 offset:10140
	s_wait_dscnt 0x1
	ds_store_b64 v3, v[28:29] offset:9880
.LBB2_415:                              ;   in Loop: Header=BB2_3 Depth=1
	s_or_b32 exec_lo, exec_lo, s0
	v_mov_b32_e32 v29, 0
	s_wait_dscnt 0x0
	s_barrier_signal -1
	s_barrier_wait -1
	global_wb scope:SCOPE_DEV
	s_wait_storecnt 0x0
	global_inv scope:SCOPE_DEV
	s_and_saveexec_b32 s0, s2
	s_cbranch_execz .LBB2_419
; %bb.416:                              ;   in Loop: Header=BB2_3 Depth=1
	ds_load_b32 v29, v43 offset:9872
	ds_load_b32 v32, v44 offset:10136
	s_wait_dscnt 0x0
	v_fma_f32 v29, v29, v32, 0
	s_and_saveexec_b32 s1, s14
	s_cbranch_execz .LBB2_418
; %bb.417:                              ;   in Loop: Header=BB2_3 Depth=1
	ds_load_b32 v32, v42 offset:10128
	ds_load_b32 v33, v3 offset:10140
	s_wait_dscnt 0x0
	v_fmac_f32_e32 v29, v32, v33
.LBB2_418:                              ;   in Loop: Header=BB2_3 Depth=1
	s_or_b32 exec_lo, exec_lo, s1
.LBB2_419:                              ;   in Loop: Header=BB2_3 Depth=1
	s_delay_alu instid0(SALU_CYCLE_1)
	s_or_b32 exec_lo, exec_lo, s0
	s_and_saveexec_b32 s0, s91
; %bb.420:                              ;   in Loop: Header=BB2_3 Depth=1
	s_delay_alu instid0(VALU_DEP_1)
	v_xor_b32_e32 v32, 0x80000000, v29
	ds_store_b32 v41, v32
; %bb.421:                              ;   in Loop: Header=BB2_3 Depth=1
	s_or_b32 exec_lo, exec_lo, s0
	s_wait_loadcnt_dscnt 0x0
	s_barrier_signal -1
	s_barrier_wait -1
	s_and_saveexec_b32 s0, s92
	s_cbranch_execz .LBB2_423
; %bb.422:                              ;   in Loop: Header=BB2_3 Depth=1
	ds_load_b32 v32, v3 offset:9616
	ds_load_b32 v33, v41
	s_wait_dscnt 0x0
	v_fma_f32 v29, -v32, v33, v29
.LBB2_423:                              ;   in Loop: Header=BB2_3 Depth=1
	s_or_b32 exec_lo, exec_lo, s0
	s_barrier_signal -1
	s_barrier_wait -1
	s_and_saveexec_b32 s0, s92
; %bb.424:                              ;   in Loop: Header=BB2_3 Depth=1
	v_xor_b32_e32 v32, 0x80000000, v29
	ds_store_b32 v41, v32
; %bb.425:                              ;   in Loop: Header=BB2_3 Depth=1
	s_or_b32 exec_lo, exec_lo, s0
	s_wait_dscnt 0x0
	s_barrier_signal -1
	s_barrier_wait -1
	s_barrier_signal -1
	s_barrier_wait -1
	s_and_saveexec_b32 s0, s2
; %bb.426:                              ;   in Loop: Header=BB2_3 Depth=1
	ds_store_b32 v46, v29 offset:10128
; %bb.427:                              ;   in Loop: Header=BB2_3 Depth=1
	s_or_b32 exec_lo, exec_lo, s0
	s_wait_dscnt 0x0
	s_barrier_signal -1
	s_barrier_wait -1
	s_barrier_signal -1
	s_barrier_wait -1
	s_and_saveexec_b32 s0, s93
	s_cbranch_execz .LBB2_429
; %bb.428:                              ;   in Loop: Header=BB2_3 Depth=1
	ds_load_b32 v29, v45 offset:9872
	s_wait_dscnt 0x0
	ds_store_b32 v42, v29 offset:9368
	ds_load_b32 v29, v45 offset:9876
	s_wait_dscnt 0x0
	ds_store_b32 v42, v29 offset:9624
.LBB2_429:                              ;   in Loop: Header=BB2_3 Depth=1
	s_or_b32 exec_lo, exec_lo, s0
	s_wait_dscnt 0x0
	s_barrier_signal -1
	s_barrier_wait -1
	s_and_saveexec_b32 s0, s13
	s_cbranch_execz .LBB2_431
; %bb.430:                              ;   in Loop: Header=BB2_3 Depth=1
	ds_load_b32 v29, v3 offset:9616
	ds_store_b32 v3, v28 offset:9620
	s_wait_dscnt 0x1
	ds_store_b64 v3, v[28:29] offset:9360
.LBB2_431:                              ;   in Loop: Header=BB2_3 Depth=1
	s_or_b32 exec_lo, exec_lo, s0
	v_mov_b32_e32 v29, 0
	s_wait_dscnt 0x0
	s_barrier_signal -1
	s_barrier_wait -1
	global_wb scope:SCOPE_DEV
	s_wait_storecnt 0x0
	global_inv scope:SCOPE_DEV
	s_and_saveexec_b32 s0, s4
	s_cbranch_execz .LBB2_437
; %bb.432:                              ;   in Loop: Header=BB2_3 Depth=1
	ds_load_b32 v29, v48 offset:9344
	ds_load_b32 v32, v50 offset:10128
	s_wait_dscnt 0x0
	v_fma_f32 v29, v29, v32, 0
	s_and_saveexec_b32 s1, s15
	s_cbranch_execnz .LBB2_1197
; %bb.433:                              ;   in Loop: Header=BB2_3 Depth=1
	s_or_b32 exec_lo, exec_lo, s1
	s_and_saveexec_b32 s1, s16
	s_cbranch_execnz .LBB2_1198
.LBB2_434:                              ;   in Loop: Header=BB2_3 Depth=1
	s_or_b32 exec_lo, exec_lo, s1
	s_and_saveexec_b32 s1, s2
	s_cbranch_execz .LBB2_436
.LBB2_435:                              ;   in Loop: Header=BB2_3 Depth=1
	ds_load_b32 v32, v49 offset:10112
	ds_load_b32 v33, v3 offset:10140
	s_wait_dscnt 0x0
	v_fmac_f32_e32 v29, v32, v33
.LBB2_436:                              ;   in Loop: Header=BB2_3 Depth=1
	s_or_b32 exec_lo, exec_lo, s1
.LBB2_437:                              ;   in Loop: Header=BB2_3 Depth=1
	s_delay_alu instid0(SALU_CYCLE_1)
	s_or_b32 exec_lo, exec_lo, s0
	s_and_saveexec_b32 s0, s94
; %bb.438:                              ;   in Loop: Header=BB2_3 Depth=1
	s_delay_alu instid0(VALU_DEP_1)
	v_xor_b32_e32 v32, 0x80000000, v29
	ds_store_b32 v47, v32
; %bb.439:                              ;   in Loop: Header=BB2_3 Depth=1
	s_or_b32 exec_lo, exec_lo, s0
	s_wait_loadcnt_dscnt 0x0
	s_barrier_signal -1
	s_barrier_wait -1
	s_and_saveexec_b32 s0, s95
	s_cbranch_execz .LBB2_441
; %bb.440:                              ;   in Loop: Header=BB2_3 Depth=1
	ds_load_b32 v32, v48 offset:9088
	ds_load_b32 v33, v47
	s_wait_dscnt 0x0
	v_fma_f32 v29, -v32, v33, v29
.LBB2_441:                              ;   in Loop: Header=BB2_3 Depth=1
	s_or_b32 exec_lo, exec_lo, s0
	s_barrier_signal -1
	s_barrier_wait -1
	s_and_saveexec_b32 s0, s96
; %bb.442:                              ;   in Loop: Header=BB2_3 Depth=1
	v_xor_b32_e32 v32, 0x80000000, v29
	ds_store_b32 v47, v32
; %bb.443:                              ;   in Loop: Header=BB2_3 Depth=1
	s_or_b32 exec_lo, exec_lo, s0
	s_wait_dscnt 0x0
	s_barrier_signal -1
	s_barrier_wait -1
	s_and_saveexec_b32 s0, s97
	s_cbranch_execz .LBB2_445
; %bb.444:                              ;   in Loop: Header=BB2_3 Depth=1
	ds_load_b32 v32, v48 offset:8832
	ds_load_b32 v33, v47
	s_wait_dscnt 0x0
	v_fma_f32 v29, -v32, v33, v29
.LBB2_445:                              ;   in Loop: Header=BB2_3 Depth=1
	s_or_b32 exec_lo, exec_lo, s0
	s_barrier_signal -1
	s_barrier_wait -1
	s_and_saveexec_b32 s0, s98
; %bb.446:                              ;   in Loop: Header=BB2_3 Depth=1
	v_xor_b32_e32 v32, 0x80000000, v29
	ds_store_b32 v47, v32
; %bb.447:                              ;   in Loop: Header=BB2_3 Depth=1
	s_or_b32 exec_lo, exec_lo, s0
	s_wait_dscnt 0x0
	;; [unrolled: 20-line block ×3, first 2 shown]
	s_barrier_signal -1
	s_barrier_wait -1
	s_barrier_signal -1
	s_barrier_wait -1
	s_and_saveexec_b32 s0, s4
; %bb.452:                              ;   in Loop: Header=BB2_3 Depth=1
	ds_store_b32 v51, v29 offset:10112
; %bb.453:                              ;   in Loop: Header=BB2_3 Depth=1
	s_or_b32 exec_lo, exec_lo, s0
	s_wait_dscnt 0x0
	s_barrier_signal -1
	s_barrier_wait -1
	s_barrier_signal -1
	s_barrier_wait -1
	s_and_saveexec_b32 s0, s100
	s_cbranch_execz .LBB2_455
; %bb.454:                              ;   in Loop: Header=BB2_3 Depth=1
	ds_load_b32 v29, v52 offset:9344
	s_wait_dscnt 0x0
	ds_store_b32 v55, v29 offset:8336
	ds_load_b32 v29, v52 offset:9348
	s_wait_dscnt 0x0
	ds_store_b32 v55, v29 offset:8592
	;; [unrolled: 3-line block ×4, first 2 shown]
.LBB2_455:                              ;   in Loop: Header=BB2_3 Depth=1
	s_or_b32 exec_lo, exec_lo, s0
	s_wait_dscnt 0x0
	s_barrier_signal -1
	s_barrier_wait -1
	s_and_saveexec_b32 s0, s13
	s_cbranch_execz .LBB2_457
; %bb.456:                              ;   in Loop: Header=BB2_3 Depth=1
	ds_load_b32 v29, v3 offset:9096
	ds_store_b32 v3, v28 offset:9100
	s_wait_dscnt 0x1
	ds_store_b64 v3, v[28:29] offset:8840
.LBB2_457:                              ;   in Loop: Header=BB2_3 Depth=1
	s_or_b32 exec_lo, exec_lo, s0
	v_mov_b32_e32 v29, 0
	s_wait_dscnt 0x0
	s_barrier_signal -1
	s_barrier_wait -1
	global_wb scope:SCOPE_DEV
	s_wait_storecnt 0x0
	global_inv scope:SCOPE_DEV
	s_and_saveexec_b32 s0, s2
	s_cbranch_execz .LBB2_461
; %bb.458:                              ;   in Loop: Header=BB2_3 Depth=1
	ds_load_b32 v29, v43 offset:8832
	ds_load_b32 v32, v44 offset:9096
	s_wait_dscnt 0x0
	v_fma_f32 v29, v29, v32, 0
	s_and_saveexec_b32 s1, s14
	s_cbranch_execz .LBB2_460
; %bb.459:                              ;   in Loop: Header=BB2_3 Depth=1
	ds_load_b32 v32, v55 offset:9088
	ds_load_b32 v33, v3 offset:9100
	s_wait_dscnt 0x0
	v_fmac_f32_e32 v29, v32, v33
.LBB2_460:                              ;   in Loop: Header=BB2_3 Depth=1
	s_or_b32 exec_lo, exec_lo, s1
.LBB2_461:                              ;   in Loop: Header=BB2_3 Depth=1
	s_delay_alu instid0(SALU_CYCLE_1)
	s_or_b32 exec_lo, exec_lo, s0
	s_and_saveexec_b32 s0, s91
; %bb.462:                              ;   in Loop: Header=BB2_3 Depth=1
	s_delay_alu instid0(VALU_DEP_1)
	v_xor_b32_e32 v32, 0x80000000, v29
	ds_store_b32 v41, v32
; %bb.463:                              ;   in Loop: Header=BB2_3 Depth=1
	s_or_b32 exec_lo, exec_lo, s0
	s_wait_loadcnt_dscnt 0x0
	s_barrier_signal -1
	s_barrier_wait -1
	s_and_saveexec_b32 s0, s92
	s_cbranch_execz .LBB2_465
; %bb.464:                              ;   in Loop: Header=BB2_3 Depth=1
	ds_load_b32 v32, v3 offset:8576
	ds_load_b32 v33, v41
	s_wait_dscnt 0x0
	v_fma_f32 v29, -v32, v33, v29
.LBB2_465:                              ;   in Loop: Header=BB2_3 Depth=1
	s_or_b32 exec_lo, exec_lo, s0
	s_barrier_signal -1
	s_barrier_wait -1
	s_and_saveexec_b32 s0, s92
; %bb.466:                              ;   in Loop: Header=BB2_3 Depth=1
	v_xor_b32_e32 v32, 0x80000000, v29
	ds_store_b32 v41, v32
; %bb.467:                              ;   in Loop: Header=BB2_3 Depth=1
	s_or_b32 exec_lo, exec_lo, s0
	s_wait_dscnt 0x0
	s_barrier_signal -1
	s_barrier_wait -1
	s_barrier_signal -1
	s_barrier_wait -1
	s_and_saveexec_b32 s0, s2
; %bb.468:                              ;   in Loop: Header=BB2_3 Depth=1
	ds_store_b32 v46, v29 offset:9088
; %bb.469:                              ;   in Loop: Header=BB2_3 Depth=1
	s_or_b32 exec_lo, exec_lo, s0
	s_wait_dscnt 0x0
	s_barrier_signal -1
	s_barrier_wait -1
	s_barrier_signal -1
	s_barrier_wait -1
	s_and_saveexec_b32 s0, s93
	s_cbranch_execz .LBB2_471
; %bb.470:                              ;   in Loop: Header=BB2_3 Depth=1
	ds_load_b32 v29, v58 offset:8832
	s_wait_dscnt 0x0
	ds_store_b32 v55, v29 offset:8328
	ds_load_b32 v29, v58 offset:8836
	s_wait_dscnt 0x0
	ds_store_b32 v55, v29 offset:8584
.LBB2_471:                              ;   in Loop: Header=BB2_3 Depth=1
	s_or_b32 exec_lo, exec_lo, s0
	s_wait_dscnt 0x0
	s_barrier_signal -1
	s_barrier_wait -1
	s_and_saveexec_b32 s0, s13
	s_cbranch_execz .LBB2_473
; %bb.472:                              ;   in Loop: Header=BB2_3 Depth=1
	ds_load_b32 v29, v3 offset:8576
	ds_store_b32 v3, v28 offset:8580
	s_wait_dscnt 0x1
	ds_store_b64 v3, v[28:29] offset:8320
.LBB2_473:                              ;   in Loop: Header=BB2_3 Depth=1
	s_or_b32 exec_lo, exec_lo, s0
	v_mov_b32_e32 v29, 0
	s_wait_dscnt 0x0
	s_barrier_signal -1
	s_barrier_wait -1
	global_wb scope:SCOPE_DEV
	s_wait_storecnt 0x0
	global_inv scope:SCOPE_DEV
	s_and_saveexec_b32 s0, s7
	s_cbranch_execz .LBB2_535
; %bb.474:                              ;   in Loop: Header=BB2_3 Depth=1
	ds_load_b32 v29, v62 offset:8192
	ds_load_b32 v32, v65 offset:16256
	s_wait_dscnt 0x0
	v_fma_f32 v29, v29, v32, 0
	s_mov_b32 s1, exec_lo
	v_readlane_b32 s60, v87, 27
	s_and_b32 s60, s1, s60
	s_delay_alu instid0(SALU_CYCLE_1)
	s_mov_b32 exec_lo, s60
	s_cbranch_execz .LBB2_476
; %bb.475:                              ;   in Loop: Header=BB2_3 Depth=1
	ds_load_b32 v32, v62 offset:8448
	ds_load_b32 v33, v65 offset:16260
	s_wait_dscnt 0x0
	v_fmac_f32_e32 v29, v32, v33
.LBB2_476:                              ;   in Loop: Header=BB2_3 Depth=1
	s_or_b32 exec_lo, exec_lo, s1
	s_delay_alu instid0(SALU_CYCLE_1) | instskip(SKIP_2) | instid1(SALU_CYCLE_1)
	s_mov_b32 s1, exec_lo
	v_readlane_b32 s60, v87, 28
	s_and_b32 s60, s1, s60
	s_mov_b32 exec_lo, s60
	s_cbranch_execz .LBB2_478
; %bb.477:                              ;   in Loop: Header=BB2_3 Depth=1
	ds_load_b32 v32, v62 offset:8704
	ds_load_b32 v33, v65 offset:16264
	s_wait_dscnt 0x0
	v_fmac_f32_e32 v29, v32, v33
.LBB2_478:                              ;   in Loop: Header=BB2_3 Depth=1
	s_or_b32 exec_lo, exec_lo, s1
	s_delay_alu instid0(SALU_CYCLE_1) | instskip(SKIP_2) | instid1(SALU_CYCLE_1)
	s_mov_b32 s1, exec_lo
	v_readlane_b32 s60, v87, 29
	s_and_b32 s60, s1, s60
	;; [unrolled: 13-line block ×22, first 2 shown]
	s_mov_b32 exec_lo, s60
	s_cbranch_execz .LBB2_520
; %bb.519:                              ;   in Loop: Header=BB2_3 Depth=1
	ds_load_b32 v32, v62 offset:14080
	ds_load_b32 v33, v65 offset:16348
	s_wait_dscnt 0x0
	v_fmac_f32_e32 v29, v32, v33
.LBB2_520:                              ;   in Loop: Header=BB2_3 Depth=1
	s_or_b32 exec_lo, exec_lo, s1
	s_and_saveexec_b32 s1, s6
	s_cbranch_execz .LBB2_522
; %bb.521:                              ;   in Loop: Header=BB2_3 Depth=1
	ds_load_b32 v32, v62 offset:14336
	ds_load_b32 v33, v65 offset:16352
	s_wait_dscnt 0x0
	v_fmac_f32_e32 v29, v32, v33
.LBB2_522:                              ;   in Loop: Header=BB2_3 Depth=1
	s_or_b32 exec_lo, exec_lo, s1
	s_delay_alu instid0(SALU_CYCLE_1) | instskip(SKIP_2) | instid1(SALU_CYCLE_1)
	s_mov_b32 s1, exec_lo
	v_readlane_b32 s60, v87, 17
	s_and_b32 s60, s1, s60
	s_mov_b32 exec_lo, s60
	s_cbranch_execz .LBB2_524
; %bb.523:                              ;   in Loop: Header=BB2_3 Depth=1
	ds_load_b32 v32, v62 offset:14592
	ds_load_b32 v33, v65 offset:16356
	s_wait_dscnt 0x0
	v_fmac_f32_e32 v29, v32, v33
.LBB2_524:                              ;   in Loop: Header=BB2_3 Depth=1
	s_or_b32 exec_lo, exec_lo, s1
	s_delay_alu instid0(SALU_CYCLE_1) | instskip(SKIP_2) | instid1(SALU_CYCLE_1)
	s_mov_b32 s1, exec_lo
	v_readlane_b32 s60, v87, 19
	s_and_b32 s60, s1, s60
	s_mov_b32 exec_lo, s60
	;; [unrolled: 13-line block ×5, first 2 shown]
	s_cbranch_execnz .LBB2_1199
; %bb.531:                              ;   in Loop: Header=BB2_3 Depth=1
	s_or_b32 exec_lo, exec_lo, s1
	s_and_saveexec_b32 s1, s5
	s_cbranch_execnz .LBB2_1200
.LBB2_532:                              ;   in Loop: Header=BB2_3 Depth=1
	s_or_b32 exec_lo, exec_lo, s1
	s_and_saveexec_b32 s1, s20
	s_cbranch_execz .LBB2_534
.LBB2_533:                              ;   in Loop: Header=BB2_3 Depth=1
	ds_load_b32 v32, v9 offset:16128
	ds_load_b32 v33, v3 offset:16380
	s_wait_dscnt 0x0
	v_fmac_f32_e32 v29, v32, v33
.LBB2_534:                              ;   in Loop: Header=BB2_3 Depth=1
	s_or_b32 exec_lo, exec_lo, s1
.LBB2_535:                              ;   in Loop: Header=BB2_3 Depth=1
	s_delay_alu instid0(SALU_CYCLE_1) | instskip(NEXT) | instid1(SALU_CYCLE_1)
	s_or_b32 exec_lo, exec_lo, s0
	s_mov_b32 s0, exec_lo
	v_readlane_b32 s1, v89, 8
	s_and_b32 s1, s0, s1
	s_delay_alu instid0(SALU_CYCLE_1)
	s_mov_b32 exec_lo, s1
; %bb.536:                              ;   in Loop: Header=BB2_3 Depth=1
	v_xor_b32_e32 v32, 0x80000000, v29
	ds_store_b32 v64, v32
; %bb.537:                              ;   in Loop: Header=BB2_3 Depth=1
	s_or_b32 exec_lo, exec_lo, s0
	s_wait_loadcnt_dscnt 0x0
	s_barrier_signal -1
	s_barrier_wait -1
	s_mov_b32 s0, exec_lo
	v_readlane_b32 s1, v89, 9
	s_and_b32 s1, s0, s1
	s_delay_alu instid0(SALU_CYCLE_1)
	s_mov_b32 exec_lo, s1
	s_cbranch_execz .LBB2_539
; %bb.538:                              ;   in Loop: Header=BB2_3 Depth=1
	ds_load_b32 v32, v62 offset:7936
	ds_load_b32 v33, v64
	s_wait_dscnt 0x0
	v_fma_f32 v29, -v32, v33, v29
.LBB2_539:                              ;   in Loop: Header=BB2_3 Depth=1
	s_or_b32 exec_lo, exec_lo, s0
	s_barrier_signal -1
	s_barrier_wait -1
	s_mov_b32 s0, exec_lo
	v_readlane_b32 s1, v89, 10
	s_and_b32 s1, s0, s1
	s_delay_alu instid0(SALU_CYCLE_1)
	s_mov_b32 exec_lo, s1
; %bb.540:                              ;   in Loop: Header=BB2_3 Depth=1
	v_xor_b32_e32 v32, 0x80000000, v29
	ds_store_b32 v64, v32
; %bb.541:                              ;   in Loop: Header=BB2_3 Depth=1
	s_or_b32 exec_lo, exec_lo, s0
	s_wait_dscnt 0x0
	s_barrier_signal -1
	s_barrier_wait -1
	s_mov_b32 s0, exec_lo
	v_readlane_b32 s1, v89, 11
	s_and_b32 s1, s0, s1
	s_delay_alu instid0(SALU_CYCLE_1)
	s_mov_b32 exec_lo, s1
	s_cbranch_execz .LBB2_543
; %bb.542:                              ;   in Loop: Header=BB2_3 Depth=1
	ds_load_b32 v32, v62 offset:7680
	ds_load_b32 v33, v64
	s_wait_dscnt 0x0
	v_fma_f32 v29, -v32, v33, v29
.LBB2_543:                              ;   in Loop: Header=BB2_3 Depth=1
	s_or_b32 exec_lo, exec_lo, s0
	s_barrier_signal -1
	s_barrier_wait -1
	s_mov_b32 s0, exec_lo
	v_readlane_b32 s1, v89, 12
	s_and_b32 s1, s0, s1
	s_delay_alu instid0(SALU_CYCLE_1)
	s_mov_b32 exec_lo, s1
; %bb.544:                              ;   in Loop: Header=BB2_3 Depth=1
	v_xor_b32_e32 v32, 0x80000000, v29
	ds_store_b32 v64, v32
; %bb.545:                              ;   in Loop: Header=BB2_3 Depth=1
	s_or_b32 exec_lo, exec_lo, s0
	s_wait_dscnt 0x0
	;; [unrolled: 28-line block ×30, first 2 shown]
	s_barrier_signal -1
	s_barrier_wait -1
	s_and_saveexec_b32 s0, s47
	s_cbranch_execz .LBB2_659
; %bb.658:                              ;   in Loop: Header=BB2_3 Depth=1
	ds_load_b32 v32, v3 offset:256
	ds_load_b32 v33, v64
	s_wait_dscnt 0x0
	v_fma_f32 v29, -v32, v33, v29
.LBB2_659:                              ;   in Loop: Header=BB2_3 Depth=1
	s_or_b32 exec_lo, exec_lo, s0
	s_barrier_signal -1
	s_barrier_wait -1
	s_and_saveexec_b32 s0, s47
; %bb.660:                              ;   in Loop: Header=BB2_3 Depth=1
	v_xor_b32_e32 v32, 0x80000000, v29
	ds_store_b32 v64, v32
; %bb.661:                              ;   in Loop: Header=BB2_3 Depth=1
	s_or_b32 exec_lo, exec_lo, s0
	s_wait_dscnt 0x0
	s_barrier_signal -1
	s_barrier_wait -1
	s_barrier_signal -1
	s_barrier_wait -1
	s_and_saveexec_b32 s0, s7
; %bb.662:                              ;   in Loop: Header=BB2_3 Depth=1
	ds_store_b32 v66, v29 offset:16128
; %bb.663:                              ;   in Loop: Header=BB2_3 Depth=1
	s_or_b32 exec_lo, exec_lo, s0
	s_wait_dscnt 0x0
	s_barrier_signal -1
	s_barrier_wait -1
	s_barrier_signal -1
	s_barrier_wait -1
	s_mov_b32 s0, exec_lo
	v_readlane_b32 s1, v87, 5
	s_and_b32 s1, s0, s1
	s_delay_alu instid0(SALU_CYCLE_1)
	s_mov_b32 exec_lo, s1
	s_cbranch_execz .LBB2_665
; %bb.664:                              ;   in Loop: Header=BB2_3 Depth=1
	ds_load_b32 v29, v34 offset:8192
	s_wait_dscnt 0x0
	ds_store_b32 v35, v29 offset:128
	ds_load_b32 v29, v34 offset:8196
	s_wait_dscnt 0x0
	ds_store_b32 v35, v29 offset:384
	ds_load_b32 v29, v34 offset:8200
	s_wait_dscnt 0x0
	ds_store_b32 v35, v29 offset:640
	ds_load_b32 v29, v34 offset:8204
	s_wait_dscnt 0x0
	ds_store_b32 v35, v29 offset:896
	ds_load_b32 v29, v34 offset:8208
	s_wait_dscnt 0x0
	ds_store_b32 v35, v29 offset:1152
	ds_load_b32 v29, v34 offset:8212
	s_wait_dscnt 0x0
	ds_store_b32 v35, v29 offset:1408
	ds_load_b32 v29, v34 offset:8216
	s_wait_dscnt 0x0
	ds_store_b32 v35, v29 offset:1664
	ds_load_b32 v29, v34 offset:8220
	s_wait_dscnt 0x0
	ds_store_b32 v35, v29 offset:1920
	ds_load_b32 v29, v34 offset:8224
	s_wait_dscnt 0x0
	ds_store_b32 v35, v29 offset:2176
	ds_load_b32 v29, v34 offset:8228
	s_wait_dscnt 0x0
	ds_store_b32 v35, v29 offset:2432
	ds_load_b32 v29, v34 offset:8232
	s_wait_dscnt 0x0
	ds_store_b32 v35, v29 offset:2688
	ds_load_b32 v29, v34 offset:8236
	s_wait_dscnt 0x0
	ds_store_b32 v35, v29 offset:2944
	ds_load_b32 v29, v34 offset:8240
	s_wait_dscnt 0x0
	ds_store_b32 v35, v29 offset:3200
	ds_load_b32 v29, v34 offset:8244
	s_wait_dscnt 0x0
	ds_store_b32 v35, v29 offset:3456
	ds_load_b32 v29, v34 offset:8248
	s_wait_dscnt 0x0
	ds_store_b32 v35, v29 offset:3712
	ds_load_b32 v29, v34 offset:8252
	s_wait_dscnt 0x0
	ds_store_b32 v35, v29 offset:3968
	ds_load_b32 v29, v34 offset:8256
	s_wait_dscnt 0x0
	ds_store_b32 v35, v29 offset:4224
	ds_load_b32 v29, v34 offset:8260
	s_wait_dscnt 0x0
	ds_store_b32 v35, v29 offset:4480
	ds_load_b32 v29, v34 offset:8264
	s_wait_dscnt 0x0
	ds_store_b32 v35, v29 offset:4736
	ds_load_b32 v29, v34 offset:8268
	s_wait_dscnt 0x0
	ds_store_b32 v35, v29 offset:4992
	ds_load_b32 v29, v34 offset:8272
	s_wait_dscnt 0x0
	ds_store_b32 v35, v29 offset:5248
	ds_load_b32 v29, v34 offset:8276
	s_wait_dscnt 0x0
	ds_store_b32 v35, v29 offset:5504
	ds_load_b32 v29, v34 offset:8280
	s_wait_dscnt 0x0
	ds_store_b32 v35, v29 offset:5760
	ds_load_b32 v29, v34 offset:8284
	s_wait_dscnt 0x0
	ds_store_b32 v35, v29 offset:6016
	ds_load_b32 v29, v34 offset:8288
	s_wait_dscnt 0x0
	ds_store_b32 v35, v29 offset:6272
	ds_load_b32 v29, v34 offset:8292
	s_wait_dscnt 0x0
	ds_store_b32 v35, v29 offset:6528
	ds_load_b32 v29, v34 offset:8296
	s_wait_dscnt 0x0
	ds_store_b32 v35, v29 offset:6784
	ds_load_b32 v29, v34 offset:8300
	s_wait_dscnt 0x0
	ds_store_b32 v35, v29 offset:7040
	ds_load_b32 v29, v34 offset:8304
	s_wait_dscnt 0x0
	ds_store_b32 v35, v29 offset:7296
	ds_load_b32 v29, v34 offset:8308
	s_wait_dscnt 0x0
	ds_store_b32 v35, v29 offset:7552
	ds_load_b32 v29, v34 offset:8312
	s_wait_dscnt 0x0
	ds_store_b32 v35, v29 offset:7808
	ds_load_b32 v29, v34 offset:8316
	s_wait_dscnt 0x0
	ds_store_b32 v35, v29 offset:8064
.LBB2_665:                              ;   in Loop: Header=BB2_3 Depth=1
	s_or_b32 exec_lo, exec_lo, s0
	s_wait_dscnt 0x0
	s_barrier_signal -1
	s_barrier_wait -1
	s_and_saveexec_b32 s0, s13
	s_cbranch_execz .LBB2_667
; %bb.666:                              ;   in Loop: Header=BB2_3 Depth=1
	ds_load_b32 v29, v3 offset:8056
	ds_store_b32 v3, v28 offset:8060
	s_wait_dscnt 0x1
	ds_store_b64 v3, v[28:29] offset:7800
.LBB2_667:                              ;   in Loop: Header=BB2_3 Depth=1
	s_or_b32 exec_lo, exec_lo, s0
	v_mov_b32_e32 v29, 0
	s_wait_dscnt 0x0
	s_barrier_signal -1
	s_barrier_wait -1
	global_wb scope:SCOPE_DEV
	s_wait_storecnt 0x0
	global_inv scope:SCOPE_DEV
	s_and_saveexec_b32 s0, s2
	s_cbranch_execz .LBB2_671
; %bb.668:                              ;   in Loop: Header=BB2_3 Depth=1
	ds_load_b32 v29, v43 offset:7792
	ds_load_b32 v32, v44 offset:8056
	s_wait_dscnt 0x0
	v_fma_f32 v29, v29, v32, 0
	s_and_saveexec_b32 s1, s14
	s_cbranch_execz .LBB2_670
; %bb.669:                              ;   in Loop: Header=BB2_3 Depth=1
	ds_load_b32 v32, v9 offset:8048
	ds_load_b32 v33, v3 offset:8060
	s_wait_dscnt 0x0
	v_fmac_f32_e32 v29, v32, v33
.LBB2_670:                              ;   in Loop: Header=BB2_3 Depth=1
	s_or_b32 exec_lo, exec_lo, s1
.LBB2_671:                              ;   in Loop: Header=BB2_3 Depth=1
	s_delay_alu instid0(SALU_CYCLE_1)
	s_or_b32 exec_lo, exec_lo, s0
	s_and_saveexec_b32 s0, s91
; %bb.672:                              ;   in Loop: Header=BB2_3 Depth=1
	s_delay_alu instid0(VALU_DEP_1)
	v_xor_b32_e32 v32, 0x80000000, v29
	ds_store_b32 v41, v32
; %bb.673:                              ;   in Loop: Header=BB2_3 Depth=1
	s_or_b32 exec_lo, exec_lo, s0
	s_wait_loadcnt_dscnt 0x0
	s_barrier_signal -1
	s_barrier_wait -1
	s_and_saveexec_b32 s0, s92
	s_cbranch_execz .LBB2_675
; %bb.674:                              ;   in Loop: Header=BB2_3 Depth=1
	ds_load_b32 v32, v3 offset:7536
	ds_load_b32 v33, v41
	s_wait_dscnt 0x0
	v_fma_f32 v29, -v32, v33, v29
.LBB2_675:                              ;   in Loop: Header=BB2_3 Depth=1
	s_or_b32 exec_lo, exec_lo, s0
	s_barrier_signal -1
	s_barrier_wait -1
	s_and_saveexec_b32 s0, s92
; %bb.676:                              ;   in Loop: Header=BB2_3 Depth=1
	v_xor_b32_e32 v32, 0x80000000, v29
	ds_store_b32 v41, v32
; %bb.677:                              ;   in Loop: Header=BB2_3 Depth=1
	s_or_b32 exec_lo, exec_lo, s0
	s_wait_dscnt 0x0
	s_barrier_signal -1
	s_barrier_wait -1
	s_barrier_signal -1
	s_barrier_wait -1
	s_and_saveexec_b32 s0, s2
; %bb.678:                              ;   in Loop: Header=BB2_3 Depth=1
	ds_store_b32 v46, v29 offset:8048
; %bb.679:                              ;   in Loop: Header=BB2_3 Depth=1
	s_or_b32 exec_lo, exec_lo, s0
	s_wait_dscnt 0x0
	s_barrier_signal -1
	s_barrier_wait -1
	s_barrier_signal -1
	s_barrier_wait -1
	s_and_saveexec_b32 s0, s93
	s_cbranch_execz .LBB2_681
; %bb.680:                              ;   in Loop: Header=BB2_3 Depth=1
	ds_load_b32 v29, v34 offset:7792
	s_wait_dscnt 0x0
	ds_store_b32 v9, v29 offset:7288
	ds_load_b32 v29, v34 offset:7796
	s_wait_dscnt 0x0
	ds_store_b32 v9, v29 offset:7544
.LBB2_681:                              ;   in Loop: Header=BB2_3 Depth=1
	s_or_b32 exec_lo, exec_lo, s0
	s_wait_dscnt 0x0
	s_barrier_signal -1
	s_barrier_wait -1
	s_and_saveexec_b32 s0, s13
	s_cbranch_execz .LBB2_683
; %bb.682:                              ;   in Loop: Header=BB2_3 Depth=1
	ds_load_b32 v29, v3 offset:7536
	ds_store_b32 v3, v28 offset:7540
	s_wait_dscnt 0x1
	ds_store_b64 v3, v[28:29] offset:7280
.LBB2_683:                              ;   in Loop: Header=BB2_3 Depth=1
	s_or_b32 exec_lo, exec_lo, s0
	v_mov_b32_e32 v29, 0
	s_wait_dscnt 0x0
	s_barrier_signal -1
	s_barrier_wait -1
	global_wb scope:SCOPE_DEV
	s_wait_storecnt 0x0
	global_inv scope:SCOPE_DEV
	s_and_saveexec_b32 s0, s4
	s_cbranch_execz .LBB2_689
; %bb.684:                              ;   in Loop: Header=BB2_3 Depth=1
	ds_load_b32 v29, v48 offset:7264
	ds_load_b32 v32, v50 offset:8048
	s_wait_dscnt 0x0
	v_fma_f32 v29, v29, v32, 0
	s_and_saveexec_b32 s1, s15
	s_cbranch_execnz .LBB2_1201
; %bb.685:                              ;   in Loop: Header=BB2_3 Depth=1
	s_or_b32 exec_lo, exec_lo, s1
	s_and_saveexec_b32 s1, s16
	s_cbranch_execnz .LBB2_1202
.LBB2_686:                              ;   in Loop: Header=BB2_3 Depth=1
	s_or_b32 exec_lo, exec_lo, s1
	s_and_saveexec_b32 s1, s2
	s_cbranch_execz .LBB2_688
.LBB2_687:                              ;   in Loop: Header=BB2_3 Depth=1
	ds_load_b32 v32, v35 offset:8032
	ds_load_b32 v33, v3 offset:8060
	s_wait_dscnt 0x0
	v_fmac_f32_e32 v29, v32, v33
.LBB2_688:                              ;   in Loop: Header=BB2_3 Depth=1
	s_or_b32 exec_lo, exec_lo, s1
.LBB2_689:                              ;   in Loop: Header=BB2_3 Depth=1
	s_delay_alu instid0(SALU_CYCLE_1)
	s_or_b32 exec_lo, exec_lo, s0
	s_and_saveexec_b32 s0, s94
; %bb.690:                              ;   in Loop: Header=BB2_3 Depth=1
	s_delay_alu instid0(VALU_DEP_1)
	v_xor_b32_e32 v32, 0x80000000, v29
	ds_store_b32 v47, v32
; %bb.691:                              ;   in Loop: Header=BB2_3 Depth=1
	s_or_b32 exec_lo, exec_lo, s0
	s_wait_loadcnt_dscnt 0x0
	s_barrier_signal -1
	s_barrier_wait -1
	s_and_saveexec_b32 s0, s95
	s_cbranch_execz .LBB2_693
; %bb.692:                              ;   in Loop: Header=BB2_3 Depth=1
	ds_load_b32 v32, v48 offset:7008
	ds_load_b32 v33, v47
	s_wait_dscnt 0x0
	v_fma_f32 v29, -v32, v33, v29
.LBB2_693:                              ;   in Loop: Header=BB2_3 Depth=1
	s_or_b32 exec_lo, exec_lo, s0
	s_barrier_signal -1
	s_barrier_wait -1
	s_and_saveexec_b32 s0, s96
; %bb.694:                              ;   in Loop: Header=BB2_3 Depth=1
	v_xor_b32_e32 v32, 0x80000000, v29
	ds_store_b32 v47, v32
; %bb.695:                              ;   in Loop: Header=BB2_3 Depth=1
	s_or_b32 exec_lo, exec_lo, s0
	s_wait_dscnt 0x0
	s_barrier_signal -1
	s_barrier_wait -1
	s_and_saveexec_b32 s0, s97
	s_cbranch_execz .LBB2_697
; %bb.696:                              ;   in Loop: Header=BB2_3 Depth=1
	ds_load_b32 v32, v48 offset:6752
	ds_load_b32 v33, v47
	s_wait_dscnt 0x0
	v_fma_f32 v29, -v32, v33, v29
.LBB2_697:                              ;   in Loop: Header=BB2_3 Depth=1
	s_or_b32 exec_lo, exec_lo, s0
	s_barrier_signal -1
	s_barrier_wait -1
	s_and_saveexec_b32 s0, s98
; %bb.698:                              ;   in Loop: Header=BB2_3 Depth=1
	v_xor_b32_e32 v32, 0x80000000, v29
	ds_store_b32 v47, v32
; %bb.699:                              ;   in Loop: Header=BB2_3 Depth=1
	s_or_b32 exec_lo, exec_lo, s0
	s_wait_dscnt 0x0
	;; [unrolled: 20-line block ×3, first 2 shown]
	s_barrier_signal -1
	s_barrier_wait -1
	s_barrier_signal -1
	s_barrier_wait -1
	s_and_saveexec_b32 s0, s4
; %bb.704:                              ;   in Loop: Header=BB2_3 Depth=1
	ds_store_b32 v51, v29 offset:8032
; %bb.705:                              ;   in Loop: Header=BB2_3 Depth=1
	s_or_b32 exec_lo, exec_lo, s0
	s_wait_dscnt 0x0
	s_barrier_signal -1
	s_barrier_wait -1
	s_barrier_signal -1
	s_barrier_wait -1
	s_and_saveexec_b32 s0, s100
	s_cbranch_execz .LBB2_707
; %bb.706:                              ;   in Loop: Header=BB2_3 Depth=1
	ds_load_b32 v29, v36 offset:7264
	s_wait_dscnt 0x0
	ds_store_b32 v37, v29 offset:6256
	ds_load_b32 v29, v36 offset:7268
	s_wait_dscnt 0x0
	ds_store_b32 v37, v29 offset:6512
	;; [unrolled: 3-line block ×4, first 2 shown]
.LBB2_707:                              ;   in Loop: Header=BB2_3 Depth=1
	s_or_b32 exec_lo, exec_lo, s0
	s_wait_dscnt 0x0
	s_barrier_signal -1
	s_barrier_wait -1
	s_and_saveexec_b32 s0, s13
	s_cbranch_execz .LBB2_709
; %bb.708:                              ;   in Loop: Header=BB2_3 Depth=1
	ds_load_b32 v29, v3 offset:7016
	ds_store_b32 v3, v28 offset:7020
	s_wait_dscnt 0x1
	ds_store_b64 v3, v[28:29] offset:6760
.LBB2_709:                              ;   in Loop: Header=BB2_3 Depth=1
	s_or_b32 exec_lo, exec_lo, s0
	v_mov_b32_e32 v29, 0
	s_wait_dscnt 0x0
	s_barrier_signal -1
	s_barrier_wait -1
	global_wb scope:SCOPE_DEV
	s_wait_storecnt 0x0
	global_inv scope:SCOPE_DEV
	s_and_saveexec_b32 s0, s2
	s_cbranch_execz .LBB2_713
; %bb.710:                              ;   in Loop: Header=BB2_3 Depth=1
	ds_load_b32 v29, v43 offset:6752
	ds_load_b32 v32, v44 offset:7016
	s_wait_dscnt 0x0
	v_fma_f32 v29, v29, v32, 0
	s_and_saveexec_b32 s1, s14
	s_cbranch_execz .LBB2_712
; %bb.711:                              ;   in Loop: Header=BB2_3 Depth=1
	ds_load_b32 v32, v37 offset:7008
	ds_load_b32 v33, v3 offset:7020
	s_wait_dscnt 0x0
	v_fmac_f32_e32 v29, v32, v33
.LBB2_712:                              ;   in Loop: Header=BB2_3 Depth=1
	s_or_b32 exec_lo, exec_lo, s1
.LBB2_713:                              ;   in Loop: Header=BB2_3 Depth=1
	s_delay_alu instid0(SALU_CYCLE_1)
	s_or_b32 exec_lo, exec_lo, s0
	s_and_saveexec_b32 s0, s91
; %bb.714:                              ;   in Loop: Header=BB2_3 Depth=1
	s_delay_alu instid0(VALU_DEP_1)
	v_xor_b32_e32 v32, 0x80000000, v29
	ds_store_b32 v41, v32
; %bb.715:                              ;   in Loop: Header=BB2_3 Depth=1
	s_or_b32 exec_lo, exec_lo, s0
	s_wait_loadcnt_dscnt 0x0
	s_barrier_signal -1
	s_barrier_wait -1
	s_and_saveexec_b32 s0, s92
	s_cbranch_execz .LBB2_717
; %bb.716:                              ;   in Loop: Header=BB2_3 Depth=1
	ds_load_b32 v32, v3 offset:6496
	ds_load_b32 v33, v41
	s_wait_dscnt 0x0
	v_fma_f32 v29, -v32, v33, v29
.LBB2_717:                              ;   in Loop: Header=BB2_3 Depth=1
	s_or_b32 exec_lo, exec_lo, s0
	s_barrier_signal -1
	s_barrier_wait -1
	s_and_saveexec_b32 s0, s92
; %bb.718:                              ;   in Loop: Header=BB2_3 Depth=1
	v_xor_b32_e32 v32, 0x80000000, v29
	ds_store_b32 v41, v32
; %bb.719:                              ;   in Loop: Header=BB2_3 Depth=1
	s_or_b32 exec_lo, exec_lo, s0
	s_wait_dscnt 0x0
	s_barrier_signal -1
	s_barrier_wait -1
	s_barrier_signal -1
	s_barrier_wait -1
	s_and_saveexec_b32 s0, s2
; %bb.720:                              ;   in Loop: Header=BB2_3 Depth=1
	ds_store_b32 v46, v29 offset:7008
; %bb.721:                              ;   in Loop: Header=BB2_3 Depth=1
	s_or_b32 exec_lo, exec_lo, s0
	s_wait_dscnt 0x0
	s_barrier_signal -1
	s_barrier_wait -1
	s_barrier_signal -1
	s_barrier_wait -1
	s_and_saveexec_b32 s0, s93
	s_cbranch_execz .LBB2_723
; %bb.722:                              ;   in Loop: Header=BB2_3 Depth=1
	ds_load_b32 v29, v38 offset:6752
	s_wait_dscnt 0x0
	ds_store_b32 v37, v29 offset:6248
	ds_load_b32 v29, v38 offset:6756
	s_wait_dscnt 0x0
	ds_store_b32 v37, v29 offset:6504
.LBB2_723:                              ;   in Loop: Header=BB2_3 Depth=1
	s_or_b32 exec_lo, exec_lo, s0
	s_wait_dscnt 0x0
	s_barrier_signal -1
	s_barrier_wait -1
	s_and_saveexec_b32 s0, s13
	s_cbranch_execz .LBB2_725
; %bb.724:                              ;   in Loop: Header=BB2_3 Depth=1
	ds_load_b32 v29, v3 offset:6496
	ds_store_b32 v3, v28 offset:6500
	s_wait_dscnt 0x1
	ds_store_b64 v3, v[28:29] offset:6240
.LBB2_725:                              ;   in Loop: Header=BB2_3 Depth=1
	s_or_b32 exec_lo, exec_lo, s0
	v_mov_b32_e32 v29, 0
	s_wait_dscnt 0x0
	s_barrier_signal -1
	s_barrier_wait -1
	global_wb scope:SCOPE_DEV
	s_wait_storecnt 0x0
	global_inv scope:SCOPE_DEV
	s_and_saveexec_b32 s0, s5
	s_cbranch_execz .LBB2_735
; %bb.726:                              ;   in Loop: Header=BB2_3 Depth=1
	ds_load_b32 v29, v53 offset:6208
	ds_load_b32 v32, v56 offset:8032
	s_wait_dscnt 0x0
	v_fma_f32 v29, v29, v32, 0
	s_and_saveexec_b32 s1, s17
	s_cbranch_execnz .LBB2_1203
; %bb.727:                              ;   in Loop: Header=BB2_3 Depth=1
	s_or_b32 exec_lo, exec_lo, s1
	s_and_saveexec_b32 s1, s18
	s_cbranch_execnz .LBB2_1204
.LBB2_728:                              ;   in Loop: Header=BB2_3 Depth=1
	s_or_b32 exec_lo, exec_lo, s1
	s_and_saveexec_b32 s1, s19
	s_cbranch_execnz .LBB2_1205
.LBB2_729:                              ;   in Loop: Header=BB2_3 Depth=1
	s_or_b32 exec_lo, exec_lo, s1
	s_and_saveexec_b32 s1, s20
	s_cbranch_execnz .LBB2_1206
.LBB2_730:                              ;   in Loop: Header=BB2_3 Depth=1
	s_or_b32 exec_lo, exec_lo, s1
	s_and_saveexec_b32 s1, s21
	s_cbranch_execnz .LBB2_1207
.LBB2_731:                              ;   in Loop: Header=BB2_3 Depth=1
	s_or_b32 exec_lo, exec_lo, s1
	s_and_saveexec_b32 s1, s4
	s_cbranch_execnz .LBB2_1208
.LBB2_732:                              ;   in Loop: Header=BB2_3 Depth=1
	s_or_b32 exec_lo, exec_lo, s1
	s_and_saveexec_b32 s1, s16
	s_cbranch_execz .LBB2_734
.LBB2_733:                              ;   in Loop: Header=BB2_3 Depth=1
	ds_load_b32 v32, v39 offset:8000
	ds_load_b32 v33, v3 offset:8060
	s_wait_dscnt 0x0
	v_fmac_f32_e32 v29, v32, v33
.LBB2_734:                              ;   in Loop: Header=BB2_3 Depth=1
	s_or_b32 exec_lo, exec_lo, s1
.LBB2_735:                              ;   in Loop: Header=BB2_3 Depth=1
	s_delay_alu instid0(SALU_CYCLE_1)
	s_or_b32 exec_lo, exec_lo, s0
	s_and_saveexec_b32 s0, s101
; %bb.736:                              ;   in Loop: Header=BB2_3 Depth=1
	s_delay_alu instid0(VALU_DEP_1)
	v_xor_b32_e32 v32, 0x80000000, v29
	ds_store_b32 v54, v32
; %bb.737:                              ;   in Loop: Header=BB2_3 Depth=1
	s_or_b32 exec_lo, exec_lo, s0
	s_wait_loadcnt_dscnt 0x0
	s_barrier_signal -1
	s_barrier_wait -1
	s_and_saveexec_b32 s0, s102
	s_cbranch_execz .LBB2_739
; %bb.738:                              ;   in Loop: Header=BB2_3 Depth=1
	ds_load_b32 v32, v53 offset:5952
	ds_load_b32 v33, v54
	s_wait_dscnt 0x0
	v_fma_f32 v29, -v32, v33, v29
.LBB2_739:                              ;   in Loop: Header=BB2_3 Depth=1
	s_or_b32 exec_lo, exec_lo, s0
	s_barrier_signal -1
	s_barrier_wait -1
	s_and_saveexec_b32 s0, s103
; %bb.740:                              ;   in Loop: Header=BB2_3 Depth=1
	v_xor_b32_e32 v32, 0x80000000, v29
	ds_store_b32 v54, v32
; %bb.741:                              ;   in Loop: Header=BB2_3 Depth=1
	s_or_b32 exec_lo, exec_lo, s0
	s_wait_dscnt 0x0
	s_barrier_signal -1
	s_barrier_wait -1
	s_and_saveexec_b32 s0, s104
	s_cbranch_execz .LBB2_743
; %bb.742:                              ;   in Loop: Header=BB2_3 Depth=1
	ds_load_b32 v32, v53 offset:5696
	ds_load_b32 v33, v54
	s_wait_dscnt 0x0
	v_fma_f32 v29, -v32, v33, v29
.LBB2_743:                              ;   in Loop: Header=BB2_3 Depth=1
	s_or_b32 exec_lo, exec_lo, s0
	s_barrier_signal -1
	s_barrier_wait -1
	s_and_saveexec_b32 s0, vcc_hi
; %bb.744:                              ;   in Loop: Header=BB2_3 Depth=1
	v_xor_b32_e32 v32, 0x80000000, v29
	ds_store_b32 v54, v32
; %bb.745:                              ;   in Loop: Header=BB2_3 Depth=1
	s_or_b32 exec_lo, exec_lo, s0
	s_wait_dscnt 0x0
	s_barrier_signal -1
	s_barrier_wait -1
	s_and_saveexec_b32 s0, s34
	s_cbranch_execz .LBB2_747
; %bb.746:                              ;   in Loop: Header=BB2_3 Depth=1
	ds_load_b32 v32, v53 offset:5440
	ds_load_b32 v33, v54
	s_wait_dscnt 0x0
	v_fma_f32 v29, -v32, v33, v29
.LBB2_747:                              ;   in Loop: Header=BB2_3 Depth=1
	s_or_b32 exec_lo, exec_lo, s0
	s_barrier_signal -1
	s_barrier_wait -1
	s_and_saveexec_b32 s0, s35
; %bb.748:                              ;   in Loop: Header=BB2_3 Depth=1
	v_xor_b32_e32 v32, 0x80000000, v29
	ds_store_b32 v54, v32
; %bb.749:                              ;   in Loop: Header=BB2_3 Depth=1
	s_or_b32 exec_lo, exec_lo, s0
	s_wait_dscnt 0x0
	s_barrier_signal -1
	s_barrier_wait -1
	s_and_saveexec_b32 s0, s36
	s_cbranch_execz .LBB2_751
; %bb.750:                              ;   in Loop: Header=BB2_3 Depth=1
	ds_load_b32 v32, v53 offset:5184
	ds_load_b32 v33, v54
	s_wait_dscnt 0x0
	v_fma_f32 v29, -v32, v33, v29
.LBB2_751:                              ;   in Loop: Header=BB2_3 Depth=1
	s_or_b32 exec_lo, exec_lo, s0
	s_barrier_signal -1
	s_barrier_wait -1
	s_and_saveexec_b32 s0, s37
	;; [unrolled: 20-line block ×5, first 2 shown]
; %bb.764:                              ;   in Loop: Header=BB2_3 Depth=1
	v_xor_b32_e32 v32, 0x80000000, v29
	ds_store_b32 v54, v32
; %bb.765:                              ;   in Loop: Header=BB2_3 Depth=1
	s_or_b32 exec_lo, exec_lo, s0
	s_wait_dscnt 0x0
	s_barrier_signal -1
	s_barrier_wait -1
	s_barrier_signal -1
	s_barrier_wait -1
	s_and_saveexec_b32 s0, s5
; %bb.766:                              ;   in Loop: Header=BB2_3 Depth=1
	ds_store_b32 v57, v29 offset:8000
; %bb.767:                              ;   in Loop: Header=BB2_3 Depth=1
	s_or_b32 exec_lo, exec_lo, s0
	s_wait_dscnt 0x0
	s_barrier_signal -1
	s_barrier_wait -1
	s_barrier_signal -1
	s_barrier_wait -1
	s_and_saveexec_b32 s0, s43
	s_cbranch_execz .LBB2_769
; %bb.768:                              ;   in Loop: Header=BB2_3 Depth=1
	ds_load_b32 v29, v40 offset:6208
	s_wait_dscnt 0x0
	ds_store_b32 v42, v29 offset:4192
	ds_load_b32 v29, v40 offset:6212
	s_wait_dscnt 0x0
	ds_store_b32 v42, v29 offset:4448
	ds_load_b32 v29, v40 offset:6216
	s_wait_dscnt 0x0
	ds_store_b32 v42, v29 offset:4704
	ds_load_b32 v29, v40 offset:6220
	s_wait_dscnt 0x0
	ds_store_b32 v42, v29 offset:4960
	ds_load_b32 v29, v40 offset:6224
	s_wait_dscnt 0x0
	ds_store_b32 v42, v29 offset:5216
	ds_load_b32 v29, v40 offset:6228
	s_wait_dscnt 0x0
	ds_store_b32 v42, v29 offset:5472
	ds_load_b32 v29, v40 offset:6232
	s_wait_dscnt 0x0
	ds_store_b32 v42, v29 offset:5728
	ds_load_b32 v29, v40 offset:6236
	s_wait_dscnt 0x0
	ds_store_b32 v42, v29 offset:5984
.LBB2_769:                              ;   in Loop: Header=BB2_3 Depth=1
	s_or_b32 exec_lo, exec_lo, s0
	s_wait_dscnt 0x0
	s_barrier_signal -1
	s_barrier_wait -1
	s_and_saveexec_b32 s0, s13
	s_cbranch_execz .LBB2_771
; %bb.770:                              ;   in Loop: Header=BB2_3 Depth=1
	ds_load_b32 v29, v3 offset:5976
	ds_store_b32 v3, v28 offset:5980
	s_wait_dscnt 0x1
	ds_store_b64 v3, v[28:29] offset:5720
.LBB2_771:                              ;   in Loop: Header=BB2_3 Depth=1
	s_or_b32 exec_lo, exec_lo, s0
	v_mov_b32_e32 v29, 0
	s_wait_dscnt 0x0
	s_barrier_signal -1
	s_barrier_wait -1
	global_wb scope:SCOPE_DEV
	s_wait_storecnt 0x0
	global_inv scope:SCOPE_DEV
	s_and_saveexec_b32 s0, s2
	s_cbranch_execz .LBB2_775
; %bb.772:                              ;   in Loop: Header=BB2_3 Depth=1
	ds_load_b32 v29, v43 offset:5712
	ds_load_b32 v32, v44 offset:5976
	s_wait_dscnt 0x0
	v_fma_f32 v29, v29, v32, 0
	s_and_saveexec_b32 s1, s14
	s_cbranch_execz .LBB2_774
; %bb.773:                              ;   in Loop: Header=BB2_3 Depth=1
	ds_load_b32 v32, v42 offset:5968
	ds_load_b32 v33, v3 offset:5980
	s_wait_dscnt 0x0
	v_fmac_f32_e32 v29, v32, v33
.LBB2_774:                              ;   in Loop: Header=BB2_3 Depth=1
	s_or_b32 exec_lo, exec_lo, s1
.LBB2_775:                              ;   in Loop: Header=BB2_3 Depth=1
	s_delay_alu instid0(SALU_CYCLE_1)
	s_or_b32 exec_lo, exec_lo, s0
	s_and_saveexec_b32 s0, s91
; %bb.776:                              ;   in Loop: Header=BB2_3 Depth=1
	s_delay_alu instid0(VALU_DEP_1)
	v_xor_b32_e32 v32, 0x80000000, v29
	ds_store_b32 v41, v32
; %bb.777:                              ;   in Loop: Header=BB2_3 Depth=1
	s_or_b32 exec_lo, exec_lo, s0
	s_wait_loadcnt_dscnt 0x0
	s_barrier_signal -1
	s_barrier_wait -1
	s_and_saveexec_b32 s0, s92
	s_cbranch_execz .LBB2_779
; %bb.778:                              ;   in Loop: Header=BB2_3 Depth=1
	ds_load_b32 v32, v3 offset:5456
	ds_load_b32 v33, v41
	s_wait_dscnt 0x0
	v_fma_f32 v29, -v32, v33, v29
.LBB2_779:                              ;   in Loop: Header=BB2_3 Depth=1
	s_or_b32 exec_lo, exec_lo, s0
	s_barrier_signal -1
	s_barrier_wait -1
	s_and_saveexec_b32 s0, s92
; %bb.780:                              ;   in Loop: Header=BB2_3 Depth=1
	v_xor_b32_e32 v32, 0x80000000, v29
	ds_store_b32 v41, v32
; %bb.781:                              ;   in Loop: Header=BB2_3 Depth=1
	s_or_b32 exec_lo, exec_lo, s0
	s_wait_dscnt 0x0
	s_barrier_signal -1
	s_barrier_wait -1
	s_barrier_signal -1
	s_barrier_wait -1
	s_and_saveexec_b32 s0, s2
; %bb.782:                              ;   in Loop: Header=BB2_3 Depth=1
	ds_store_b32 v46, v29 offset:5968
; %bb.783:                              ;   in Loop: Header=BB2_3 Depth=1
	s_or_b32 exec_lo, exec_lo, s0
	s_wait_dscnt 0x0
	s_barrier_signal -1
	s_barrier_wait -1
	s_barrier_signal -1
	s_barrier_wait -1
	s_and_saveexec_b32 s0, s93
	s_cbranch_execz .LBB2_785
; %bb.784:                              ;   in Loop: Header=BB2_3 Depth=1
	ds_load_b32 v29, v45 offset:5712
	s_wait_dscnt 0x0
	ds_store_b32 v42, v29 offset:5208
	ds_load_b32 v29, v45 offset:5716
	s_wait_dscnt 0x0
	ds_store_b32 v42, v29 offset:5464
.LBB2_785:                              ;   in Loop: Header=BB2_3 Depth=1
	s_or_b32 exec_lo, exec_lo, s0
	s_wait_dscnt 0x0
	s_barrier_signal -1
	s_barrier_wait -1
	s_and_saveexec_b32 s0, s13
	s_cbranch_execz .LBB2_787
; %bb.786:                              ;   in Loop: Header=BB2_3 Depth=1
	ds_load_b32 v29, v3 offset:5456
	ds_store_b32 v3, v28 offset:5460
	s_wait_dscnt 0x1
	ds_store_b64 v3, v[28:29] offset:5200
.LBB2_787:                              ;   in Loop: Header=BB2_3 Depth=1
	s_or_b32 exec_lo, exec_lo, s0
	v_mov_b32_e32 v29, 0
	s_wait_dscnt 0x0
	s_barrier_signal -1
	s_barrier_wait -1
	global_wb scope:SCOPE_DEV
	s_wait_storecnt 0x0
	global_inv scope:SCOPE_DEV
	s_and_saveexec_b32 s0, s4
	s_cbranch_execz .LBB2_793
; %bb.788:                              ;   in Loop: Header=BB2_3 Depth=1
	ds_load_b32 v29, v48 offset:5184
	ds_load_b32 v32, v50 offset:5968
	s_wait_dscnt 0x0
	v_fma_f32 v29, v29, v32, 0
	s_and_saveexec_b32 s1, s15
	s_cbranch_execnz .LBB2_1209
; %bb.789:                              ;   in Loop: Header=BB2_3 Depth=1
	s_or_b32 exec_lo, exec_lo, s1
	s_and_saveexec_b32 s1, s16
	s_cbranch_execnz .LBB2_1210
.LBB2_790:                              ;   in Loop: Header=BB2_3 Depth=1
	s_or_b32 exec_lo, exec_lo, s1
	s_and_saveexec_b32 s1, s2
	s_cbranch_execz .LBB2_792
.LBB2_791:                              ;   in Loop: Header=BB2_3 Depth=1
	ds_load_b32 v32, v49 offset:5952
	ds_load_b32 v33, v3 offset:5980
	s_wait_dscnt 0x0
	v_fmac_f32_e32 v29, v32, v33
.LBB2_792:                              ;   in Loop: Header=BB2_3 Depth=1
	s_or_b32 exec_lo, exec_lo, s1
.LBB2_793:                              ;   in Loop: Header=BB2_3 Depth=1
	s_delay_alu instid0(SALU_CYCLE_1)
	s_or_b32 exec_lo, exec_lo, s0
	s_and_saveexec_b32 s0, s94
; %bb.794:                              ;   in Loop: Header=BB2_3 Depth=1
	s_delay_alu instid0(VALU_DEP_1)
	v_xor_b32_e32 v32, 0x80000000, v29
	ds_store_b32 v47, v32
; %bb.795:                              ;   in Loop: Header=BB2_3 Depth=1
	s_or_b32 exec_lo, exec_lo, s0
	s_wait_loadcnt_dscnt 0x0
	s_barrier_signal -1
	s_barrier_wait -1
	s_and_saveexec_b32 s0, s95
	s_cbranch_execz .LBB2_797
; %bb.796:                              ;   in Loop: Header=BB2_3 Depth=1
	ds_load_b32 v32, v48 offset:4928
	ds_load_b32 v33, v47
	s_wait_dscnt 0x0
	v_fma_f32 v29, -v32, v33, v29
.LBB2_797:                              ;   in Loop: Header=BB2_3 Depth=1
	s_or_b32 exec_lo, exec_lo, s0
	s_barrier_signal -1
	s_barrier_wait -1
	s_and_saveexec_b32 s0, s96
; %bb.798:                              ;   in Loop: Header=BB2_3 Depth=1
	v_xor_b32_e32 v32, 0x80000000, v29
	ds_store_b32 v47, v32
; %bb.799:                              ;   in Loop: Header=BB2_3 Depth=1
	s_or_b32 exec_lo, exec_lo, s0
	s_wait_dscnt 0x0
	s_barrier_signal -1
	s_barrier_wait -1
	s_and_saveexec_b32 s0, s97
	s_cbranch_execz .LBB2_801
; %bb.800:                              ;   in Loop: Header=BB2_3 Depth=1
	ds_load_b32 v32, v48 offset:4672
	ds_load_b32 v33, v47
	s_wait_dscnt 0x0
	v_fma_f32 v29, -v32, v33, v29
.LBB2_801:                              ;   in Loop: Header=BB2_3 Depth=1
	s_or_b32 exec_lo, exec_lo, s0
	s_barrier_signal -1
	s_barrier_wait -1
	s_and_saveexec_b32 s0, s98
; %bb.802:                              ;   in Loop: Header=BB2_3 Depth=1
	v_xor_b32_e32 v32, 0x80000000, v29
	ds_store_b32 v47, v32
; %bb.803:                              ;   in Loop: Header=BB2_3 Depth=1
	s_or_b32 exec_lo, exec_lo, s0
	s_wait_dscnt 0x0
	;; [unrolled: 20-line block ×3, first 2 shown]
	s_barrier_signal -1
	s_barrier_wait -1
	s_barrier_signal -1
	s_barrier_wait -1
	s_and_saveexec_b32 s0, s4
; %bb.808:                              ;   in Loop: Header=BB2_3 Depth=1
	ds_store_b32 v51, v29 offset:5952
; %bb.809:                              ;   in Loop: Header=BB2_3 Depth=1
	s_or_b32 exec_lo, exec_lo, s0
	s_wait_dscnt 0x0
	s_barrier_signal -1
	s_barrier_wait -1
	s_barrier_signal -1
	s_barrier_wait -1
	s_and_saveexec_b32 s0, s100
	s_cbranch_execz .LBB2_811
; %bb.810:                              ;   in Loop: Header=BB2_3 Depth=1
	ds_load_b32 v29, v52 offset:5184
	s_wait_dscnt 0x0
	ds_store_b32 v55, v29 offset:4176
	ds_load_b32 v29, v52 offset:5188
	s_wait_dscnt 0x0
	ds_store_b32 v55, v29 offset:4432
	;; [unrolled: 3-line block ×4, first 2 shown]
.LBB2_811:                              ;   in Loop: Header=BB2_3 Depth=1
	s_or_b32 exec_lo, exec_lo, s0
	s_wait_dscnt 0x0
	s_barrier_signal -1
	s_barrier_wait -1
	s_and_saveexec_b32 s0, s13
	s_cbranch_execz .LBB2_813
; %bb.812:                              ;   in Loop: Header=BB2_3 Depth=1
	ds_load_b32 v29, v3 offset:4936
	ds_store_b32 v3, v28 offset:4940
	s_wait_dscnt 0x1
	ds_store_b64 v3, v[28:29] offset:4680
.LBB2_813:                              ;   in Loop: Header=BB2_3 Depth=1
	s_or_b32 exec_lo, exec_lo, s0
	v_mov_b32_e32 v29, 0
	s_wait_dscnt 0x0
	s_barrier_signal -1
	s_barrier_wait -1
	global_wb scope:SCOPE_DEV
	s_wait_storecnt 0x0
	global_inv scope:SCOPE_DEV
	s_and_saveexec_b32 s0, s2
	s_cbranch_execz .LBB2_817
; %bb.814:                              ;   in Loop: Header=BB2_3 Depth=1
	ds_load_b32 v29, v43 offset:4672
	ds_load_b32 v32, v44 offset:4936
	s_wait_dscnt 0x0
	v_fma_f32 v29, v29, v32, 0
	s_and_saveexec_b32 s1, s14
	s_cbranch_execz .LBB2_816
; %bb.815:                              ;   in Loop: Header=BB2_3 Depth=1
	ds_load_b32 v32, v55 offset:4928
	ds_load_b32 v33, v3 offset:4940
	s_wait_dscnt 0x0
	v_fmac_f32_e32 v29, v32, v33
.LBB2_816:                              ;   in Loop: Header=BB2_3 Depth=1
	s_or_b32 exec_lo, exec_lo, s1
.LBB2_817:                              ;   in Loop: Header=BB2_3 Depth=1
	s_delay_alu instid0(SALU_CYCLE_1)
	s_or_b32 exec_lo, exec_lo, s0
	s_and_saveexec_b32 s0, s91
; %bb.818:                              ;   in Loop: Header=BB2_3 Depth=1
	s_delay_alu instid0(VALU_DEP_1)
	v_xor_b32_e32 v32, 0x80000000, v29
	ds_store_b32 v41, v32
; %bb.819:                              ;   in Loop: Header=BB2_3 Depth=1
	s_or_b32 exec_lo, exec_lo, s0
	s_wait_loadcnt_dscnt 0x0
	s_barrier_signal -1
	s_barrier_wait -1
	s_and_saveexec_b32 s0, s92
	s_cbranch_execz .LBB2_821
; %bb.820:                              ;   in Loop: Header=BB2_3 Depth=1
	ds_load_b32 v32, v3 offset:4416
	ds_load_b32 v33, v41
	s_wait_dscnt 0x0
	v_fma_f32 v29, -v32, v33, v29
.LBB2_821:                              ;   in Loop: Header=BB2_3 Depth=1
	s_or_b32 exec_lo, exec_lo, s0
	s_barrier_signal -1
	s_barrier_wait -1
	s_and_saveexec_b32 s0, s92
; %bb.822:                              ;   in Loop: Header=BB2_3 Depth=1
	v_xor_b32_e32 v32, 0x80000000, v29
	ds_store_b32 v41, v32
; %bb.823:                              ;   in Loop: Header=BB2_3 Depth=1
	s_or_b32 exec_lo, exec_lo, s0
	s_wait_dscnt 0x0
	s_barrier_signal -1
	s_barrier_wait -1
	s_barrier_signal -1
	s_barrier_wait -1
	s_and_saveexec_b32 s0, s2
; %bb.824:                              ;   in Loop: Header=BB2_3 Depth=1
	ds_store_b32 v46, v29 offset:4928
; %bb.825:                              ;   in Loop: Header=BB2_3 Depth=1
	s_or_b32 exec_lo, exec_lo, s0
	s_wait_dscnt 0x0
	s_barrier_signal -1
	s_barrier_wait -1
	s_barrier_signal -1
	s_barrier_wait -1
	s_and_saveexec_b32 s0, s93
	s_cbranch_execz .LBB2_827
; %bb.826:                              ;   in Loop: Header=BB2_3 Depth=1
	ds_load_b32 v29, v58 offset:4672
	s_wait_dscnt 0x0
	ds_store_b32 v55, v29 offset:4168
	ds_load_b32 v29, v58 offset:4676
	s_wait_dscnt 0x0
	ds_store_b32 v55, v29 offset:4424
.LBB2_827:                              ;   in Loop: Header=BB2_3 Depth=1
	s_or_b32 exec_lo, exec_lo, s0
	s_wait_dscnt 0x0
	s_barrier_signal -1
	s_barrier_wait -1
	s_and_saveexec_b32 s0, s13
	s_cbranch_execz .LBB2_829
; %bb.828:                              ;   in Loop: Header=BB2_3 Depth=1
	ds_load_b32 v29, v3 offset:4416
	ds_store_b32 v3, v28 offset:4420
	s_wait_dscnt 0x1
	ds_store_b64 v3, v[28:29] offset:4160
.LBB2_829:                              ;   in Loop: Header=BB2_3 Depth=1
	s_or_b32 exec_lo, exec_lo, s0
	v_mov_b32_e32 v29, 0
	s_wait_dscnt 0x0
	s_barrier_signal -1
	s_barrier_wait -1
	global_wb scope:SCOPE_DEV
	s_wait_storecnt 0x0
	global_inv scope:SCOPE_DEV
	s_and_saveexec_b32 s0, s6
	s_cbranch_execz .LBB2_857
; %bb.830:                              ;   in Loop: Header=BB2_3 Depth=1
	ds_load_b32 v29, v59 offset:4096
	ds_load_b32 v32, v61 offset:8000
	s_wait_dscnt 0x0
	v_fma_f32 v29, v29, v32, 0
	s_mov_b32 s1, exec_lo
	v_readlane_b32 s60, v87, 16
	s_and_b32 s60, s1, s60
	s_delay_alu instid0(SALU_CYCLE_1)
	s_mov_b32 exec_lo, s60
	s_cbranch_execz .LBB2_832
; %bb.831:                              ;   in Loop: Header=BB2_3 Depth=1
	ds_load_b32 v32, v59 offset:4352
	ds_load_b32 v33, v61 offset:8004
	s_wait_dscnt 0x0
	v_fmac_f32_e32 v29, v32, v33
.LBB2_832:                              ;   in Loop: Header=BB2_3 Depth=1
	s_or_b32 exec_lo, exec_lo, s1
	s_delay_alu instid0(SALU_CYCLE_1) | instskip(SKIP_2) | instid1(SALU_CYCLE_1)
	s_mov_b32 s1, exec_lo
	v_readlane_b32 s60, v87, 17
	s_and_b32 s60, s1, s60
	s_mov_b32 exec_lo, s60
	s_cbranch_execz .LBB2_834
; %bb.833:                              ;   in Loop: Header=BB2_3 Depth=1
	ds_load_b32 v32, v59 offset:4608
	ds_load_b32 v33, v61 offset:8008
	s_wait_dscnt 0x0
	v_fmac_f32_e32 v29, v32, v33
.LBB2_834:                              ;   in Loop: Header=BB2_3 Depth=1
	s_or_b32 exec_lo, exec_lo, s1
	s_delay_alu instid0(SALU_CYCLE_1) | instskip(SKIP_2) | instid1(SALU_CYCLE_1)
	s_mov_b32 s1, exec_lo
	v_readlane_b32 s60, v87, 18
	s_and_b32 s60, s1, s60
	;; [unrolled: 13-line block ×10, first 2 shown]
	s_mov_b32 exec_lo, s60
	s_cbranch_execnz .LBB2_1211
; %bb.851:                              ;   in Loop: Header=BB2_3 Depth=1
	s_or_b32 exec_lo, exec_lo, s1
	s_and_saveexec_b32 s1, s5
	s_cbranch_execnz .LBB2_1212
.LBB2_852:                              ;   in Loop: Header=BB2_3 Depth=1
	s_or_b32 exec_lo, exec_lo, s1
	s_and_saveexec_b32 s1, s18
	s_cbranch_execnz .LBB2_1213
.LBB2_853:                              ;   in Loop: Header=BB2_3 Depth=1
	s_or_b32 exec_lo, exec_lo, s1
	s_and_saveexec_b32 s1, s20
	s_cbranch_execnz .LBB2_1214
.LBB2_854:                              ;   in Loop: Header=BB2_3 Depth=1
	s_or_b32 exec_lo, exec_lo, s1
	s_and_saveexec_b32 s1, s4
	s_cbranch_execz .LBB2_856
.LBB2_855:                              ;   in Loop: Header=BB2_3 Depth=1
	ds_load_b32 v32, v9 offset:7936
	ds_load_b32 v33, v3 offset:8060
	s_wait_dscnt 0x0
	v_fmac_f32_e32 v29, v32, v33
.LBB2_856:                              ;   in Loop: Header=BB2_3 Depth=1
	s_or_b32 exec_lo, exec_lo, s1
.LBB2_857:                              ;   in Loop: Header=BB2_3 Depth=1
	s_delay_alu instid0(SALU_CYCLE_1) | instskip(NEXT) | instid1(SALU_CYCLE_1)
	s_or_b32 exec_lo, exec_lo, s0
	s_mov_b32 s0, exec_lo
	v_readlane_b32 s1, v89, 2
	s_and_b32 s1, s0, s1
	s_delay_alu instid0(SALU_CYCLE_1)
	s_mov_b32 exec_lo, s1
; %bb.858:                              ;   in Loop: Header=BB2_3 Depth=1
	v_xor_b32_e32 v32, 0x80000000, v29
	ds_store_b32 v60, v32
; %bb.859:                              ;   in Loop: Header=BB2_3 Depth=1
	s_or_b32 exec_lo, exec_lo, s0
	s_wait_loadcnt_dscnt 0x0
	s_barrier_signal -1
	s_barrier_wait -1
	s_mov_b32 s0, exec_lo
	v_readlane_b32 s1, v89, 3
	s_and_b32 s1, s0, s1
	s_delay_alu instid0(SALU_CYCLE_1)
	s_mov_b32 exec_lo, s1
	s_cbranch_execz .LBB2_861
; %bb.860:                              ;   in Loop: Header=BB2_3 Depth=1
	ds_load_b32 v32, v59 offset:3840
	ds_load_b32 v33, v60
	s_wait_dscnt 0x0
	v_fma_f32 v29, -v32, v33, v29
.LBB2_861:                              ;   in Loop: Header=BB2_3 Depth=1
	s_or_b32 exec_lo, exec_lo, s0
	s_barrier_signal -1
	s_barrier_wait -1
	s_mov_b32 s0, exec_lo
	v_readlane_b32 s1, v89, 4
	s_and_b32 s1, s0, s1
	s_delay_alu instid0(SALU_CYCLE_1)
	s_mov_b32 exec_lo, s1
; %bb.862:                              ;   in Loop: Header=BB2_3 Depth=1
	v_xor_b32_e32 v32, 0x80000000, v29
	ds_store_b32 v60, v32
; %bb.863:                              ;   in Loop: Header=BB2_3 Depth=1
	s_or_b32 exec_lo, exec_lo, s0
	s_wait_dscnt 0x0
	s_barrier_signal -1
	s_barrier_wait -1
	s_mov_b32 s0, exec_lo
	v_readlane_b32 s1, v89, 5
	s_and_b32 s1, s0, s1
	s_delay_alu instid0(SALU_CYCLE_1)
	s_mov_b32 exec_lo, s1
	s_cbranch_execz .LBB2_865
; %bb.864:                              ;   in Loop: Header=BB2_3 Depth=1
	ds_load_b32 v32, v59 offset:3584
	ds_load_b32 v33, v60
	s_wait_dscnt 0x0
	v_fma_f32 v29, -v32, v33, v29
.LBB2_865:                              ;   in Loop: Header=BB2_3 Depth=1
	s_or_b32 exec_lo, exec_lo, s0
	s_barrier_signal -1
	s_barrier_wait -1
	s_mov_b32 s0, exec_lo
	v_readlane_b32 s1, v89, 6
	s_and_b32 s1, s0, s1
	s_delay_alu instid0(SALU_CYCLE_1)
	s_mov_b32 exec_lo, s1
; %bb.866:                              ;   in Loop: Header=BB2_3 Depth=1
	v_xor_b32_e32 v32, 0x80000000, v29
	ds_store_b32 v60, v32
; %bb.867:                              ;   in Loop: Header=BB2_3 Depth=1
	s_or_b32 exec_lo, exec_lo, s0
	s_wait_dscnt 0x0
	s_barrier_signal -1
	s_barrier_wait -1
	s_mov_b32 s0, exec_lo
	v_readlane_b32 s1, v89, 7
	s_and_b32 s1, s0, s1
	s_delay_alu instid0(SALU_CYCLE_1)
	s_mov_b32 exec_lo, s1
	s_cbranch_execz .LBB2_869
; %bb.868:                              ;   in Loop: Header=BB2_3 Depth=1
	ds_load_b32 v32, v59 offset:3328
	ds_load_b32 v33, v60
	s_wait_dscnt 0x0
	v_fma_f32 v29, -v32, v33, v29
.LBB2_869:                              ;   in Loop: Header=BB2_3 Depth=1
	s_or_b32 exec_lo, exec_lo, s0
	s_barrier_signal -1
	s_barrier_wait -1
	s_and_saveexec_b32 s0, s50
; %bb.870:                              ;   in Loop: Header=BB2_3 Depth=1
	v_xor_b32_e32 v32, 0x80000000, v29
	ds_store_b32 v60, v32
; %bb.871:                              ;   in Loop: Header=BB2_3 Depth=1
	s_or_b32 exec_lo, exec_lo, s0
	s_wait_dscnt 0x0
	s_barrier_signal -1
	s_barrier_wait -1
	s_and_saveexec_b32 s0, s51
	s_cbranch_execz .LBB2_873
; %bb.872:                              ;   in Loop: Header=BB2_3 Depth=1
	ds_load_b32 v32, v59 offset:3072
	ds_load_b32 v33, v60
	s_wait_dscnt 0x0
	v_fma_f32 v29, -v32, v33, v29
.LBB2_873:                              ;   in Loop: Header=BB2_3 Depth=1
	s_or_b32 exec_lo, exec_lo, s0
	s_barrier_signal -1
	s_barrier_wait -1
	s_and_saveexec_b32 s0, s52
; %bb.874:                              ;   in Loop: Header=BB2_3 Depth=1
	v_xor_b32_e32 v32, 0x80000000, v29
	ds_store_b32 v60, v32
; %bb.875:                              ;   in Loop: Header=BB2_3 Depth=1
	s_or_b32 exec_lo, exec_lo, s0
	s_wait_dscnt 0x0
	s_barrier_signal -1
	s_barrier_wait -1
	s_and_saveexec_b32 s0, s53
	;; [unrolled: 20-line block ×12, first 2 shown]
	s_cbranch_execz .LBB2_917
; %bb.916:                              ;   in Loop: Header=BB2_3 Depth=1
	ds_load_b32 v32, v3 offset:256
	ds_load_b32 v33, v60
	s_wait_dscnt 0x0
	v_fma_f32 v29, -v32, v33, v29
.LBB2_917:                              ;   in Loop: Header=BB2_3 Depth=1
	s_or_b32 exec_lo, exec_lo, s0
	s_barrier_signal -1
	s_barrier_wait -1
	s_and_saveexec_b32 s0, s45
; %bb.918:                              ;   in Loop: Header=BB2_3 Depth=1
	v_xor_b32_e32 v32, 0x80000000, v29
	ds_store_b32 v60, v32
; %bb.919:                              ;   in Loop: Header=BB2_3 Depth=1
	s_or_b32 exec_lo, exec_lo, s0
	s_wait_dscnt 0x0
	s_barrier_signal -1
	s_barrier_wait -1
	s_barrier_signal -1
	s_barrier_wait -1
	s_and_saveexec_b32 s0, s6
; %bb.920:                              ;   in Loop: Header=BB2_3 Depth=1
	ds_store_b32 v63, v29 offset:7936
; %bb.921:                              ;   in Loop: Header=BB2_3 Depth=1
	s_or_b32 exec_lo, exec_lo, s0
	s_wait_dscnt 0x0
	s_barrier_signal -1
	s_barrier_wait -1
	s_barrier_signal -1
	s_barrier_wait -1
	s_and_saveexec_b32 s0, s46
	s_cbranch_execz .LBB2_923
; %bb.922:                              ;   in Loop: Header=BB2_3 Depth=1
	ds_load_b32 v29, v34 offset:4096
	s_wait_dscnt 0x0
	ds_store_b32 v35, v29 offset:64
	ds_load_b32 v29, v34 offset:4100
	s_wait_dscnt 0x0
	ds_store_b32 v35, v29 offset:320
	;; [unrolled: 3-line block ×16, first 2 shown]
.LBB2_923:                              ;   in Loop: Header=BB2_3 Depth=1
	s_or_b32 exec_lo, exec_lo, s0
	s_wait_dscnt 0x0
	s_barrier_signal -1
	s_barrier_wait -1
	s_and_saveexec_b32 s0, s13
	s_cbranch_execz .LBB2_925
; %bb.924:                              ;   in Loop: Header=BB2_3 Depth=1
	ds_load_b32 v29, v3 offset:3896
	ds_store_b32 v3, v28 offset:3900
	s_wait_dscnt 0x1
	ds_store_b64 v3, v[28:29] offset:3640
.LBB2_925:                              ;   in Loop: Header=BB2_3 Depth=1
	s_or_b32 exec_lo, exec_lo, s0
	v_mov_b32_e32 v29, 0
	s_wait_dscnt 0x0
	s_barrier_signal -1
	s_barrier_wait -1
	global_wb scope:SCOPE_DEV
	s_wait_storecnt 0x0
	global_inv scope:SCOPE_DEV
	s_and_saveexec_b32 s0, s2
	s_cbranch_execz .LBB2_929
; %bb.926:                              ;   in Loop: Header=BB2_3 Depth=1
	ds_load_b32 v29, v43 offset:3632
	ds_load_b32 v32, v44 offset:3896
	s_wait_dscnt 0x0
	v_fma_f32 v29, v29, v32, 0
	s_and_saveexec_b32 s1, s14
	s_cbranch_execz .LBB2_928
; %bb.927:                              ;   in Loop: Header=BB2_3 Depth=1
	ds_load_b32 v32, v9 offset:3888
	ds_load_b32 v33, v3 offset:3900
	s_wait_dscnt 0x0
	v_fmac_f32_e32 v29, v32, v33
.LBB2_928:                              ;   in Loop: Header=BB2_3 Depth=1
	s_or_b32 exec_lo, exec_lo, s1
.LBB2_929:                              ;   in Loop: Header=BB2_3 Depth=1
	s_delay_alu instid0(SALU_CYCLE_1)
	s_or_b32 exec_lo, exec_lo, s0
	s_and_saveexec_b32 s0, s91
; %bb.930:                              ;   in Loop: Header=BB2_3 Depth=1
	s_delay_alu instid0(VALU_DEP_1)
	v_xor_b32_e32 v32, 0x80000000, v29
	ds_store_b32 v41, v32
; %bb.931:                              ;   in Loop: Header=BB2_3 Depth=1
	s_or_b32 exec_lo, exec_lo, s0
	s_wait_loadcnt_dscnt 0x0
	s_barrier_signal -1
	s_barrier_wait -1
	s_and_saveexec_b32 s0, s92
	s_cbranch_execz .LBB2_933
; %bb.932:                              ;   in Loop: Header=BB2_3 Depth=1
	ds_load_b32 v32, v3 offset:3376
	ds_load_b32 v33, v41
	s_wait_dscnt 0x0
	v_fma_f32 v29, -v32, v33, v29
.LBB2_933:                              ;   in Loop: Header=BB2_3 Depth=1
	s_or_b32 exec_lo, exec_lo, s0
	s_barrier_signal -1
	s_barrier_wait -1
	s_and_saveexec_b32 s0, s92
; %bb.934:                              ;   in Loop: Header=BB2_3 Depth=1
	v_xor_b32_e32 v32, 0x80000000, v29
	ds_store_b32 v41, v32
; %bb.935:                              ;   in Loop: Header=BB2_3 Depth=1
	s_or_b32 exec_lo, exec_lo, s0
	s_wait_dscnt 0x0
	s_barrier_signal -1
	s_barrier_wait -1
	s_barrier_signal -1
	s_barrier_wait -1
	s_and_saveexec_b32 s0, s2
; %bb.936:                              ;   in Loop: Header=BB2_3 Depth=1
	ds_store_b32 v46, v29 offset:3888
; %bb.937:                              ;   in Loop: Header=BB2_3 Depth=1
	s_or_b32 exec_lo, exec_lo, s0
	s_wait_dscnt 0x0
	s_barrier_signal -1
	s_barrier_wait -1
	s_barrier_signal -1
	s_barrier_wait -1
	s_and_saveexec_b32 s0, s93
	s_cbranch_execz .LBB2_939
; %bb.938:                              ;   in Loop: Header=BB2_3 Depth=1
	ds_load_b32 v29, v34 offset:3632
	s_wait_dscnt 0x0
	ds_store_b32 v9, v29 offset:3128
	ds_load_b32 v29, v34 offset:3636
	s_wait_dscnt 0x0
	ds_store_b32 v9, v29 offset:3384
.LBB2_939:                              ;   in Loop: Header=BB2_3 Depth=1
	s_or_b32 exec_lo, exec_lo, s0
	s_wait_dscnt 0x0
	s_barrier_signal -1
	s_barrier_wait -1
	s_and_saveexec_b32 s0, s13
	s_cbranch_execz .LBB2_941
; %bb.940:                              ;   in Loop: Header=BB2_3 Depth=1
	ds_load_b32 v29, v3 offset:3376
	ds_store_b32 v3, v28 offset:3380
	s_wait_dscnt 0x1
	ds_store_b64 v3, v[28:29] offset:3120
.LBB2_941:                              ;   in Loop: Header=BB2_3 Depth=1
	s_or_b32 exec_lo, exec_lo, s0
	v_mov_b32_e32 v29, 0
	s_wait_dscnt 0x0
	s_barrier_signal -1
	s_barrier_wait -1
	global_wb scope:SCOPE_DEV
	s_wait_storecnt 0x0
	global_inv scope:SCOPE_DEV
	s_and_saveexec_b32 s0, s4
	s_cbranch_execz .LBB2_947
; %bb.942:                              ;   in Loop: Header=BB2_3 Depth=1
	ds_load_b32 v29, v48 offset:3104
	ds_load_b32 v32, v50 offset:3888
	s_wait_dscnt 0x0
	v_fma_f32 v29, v29, v32, 0
	s_and_saveexec_b32 s1, s15
	s_cbranch_execnz .LBB2_1215
; %bb.943:                              ;   in Loop: Header=BB2_3 Depth=1
	s_or_b32 exec_lo, exec_lo, s1
	s_and_saveexec_b32 s1, s16
	s_cbranch_execnz .LBB2_1216
.LBB2_944:                              ;   in Loop: Header=BB2_3 Depth=1
	s_or_b32 exec_lo, exec_lo, s1
	s_and_saveexec_b32 s1, s2
	s_cbranch_execz .LBB2_946
.LBB2_945:                              ;   in Loop: Header=BB2_3 Depth=1
	ds_load_b32 v32, v35 offset:3872
	ds_load_b32 v33, v3 offset:3900
	s_wait_dscnt 0x0
	v_fmac_f32_e32 v29, v32, v33
.LBB2_946:                              ;   in Loop: Header=BB2_3 Depth=1
	s_or_b32 exec_lo, exec_lo, s1
.LBB2_947:                              ;   in Loop: Header=BB2_3 Depth=1
	s_delay_alu instid0(SALU_CYCLE_1)
	s_or_b32 exec_lo, exec_lo, s0
	s_and_saveexec_b32 s0, s94
; %bb.948:                              ;   in Loop: Header=BB2_3 Depth=1
	s_delay_alu instid0(VALU_DEP_1)
	v_xor_b32_e32 v32, 0x80000000, v29
	ds_store_b32 v47, v32
; %bb.949:                              ;   in Loop: Header=BB2_3 Depth=1
	s_or_b32 exec_lo, exec_lo, s0
	s_wait_loadcnt_dscnt 0x0
	s_barrier_signal -1
	s_barrier_wait -1
	s_and_saveexec_b32 s0, s95
	s_cbranch_execz .LBB2_951
; %bb.950:                              ;   in Loop: Header=BB2_3 Depth=1
	ds_load_b32 v32, v48 offset:2848
	ds_load_b32 v33, v47
	s_wait_dscnt 0x0
	v_fma_f32 v29, -v32, v33, v29
.LBB2_951:                              ;   in Loop: Header=BB2_3 Depth=1
	s_or_b32 exec_lo, exec_lo, s0
	s_barrier_signal -1
	s_barrier_wait -1
	s_and_saveexec_b32 s0, s96
; %bb.952:                              ;   in Loop: Header=BB2_3 Depth=1
	v_xor_b32_e32 v32, 0x80000000, v29
	ds_store_b32 v47, v32
; %bb.953:                              ;   in Loop: Header=BB2_3 Depth=1
	s_or_b32 exec_lo, exec_lo, s0
	s_wait_dscnt 0x0
	s_barrier_signal -1
	s_barrier_wait -1
	s_and_saveexec_b32 s0, s97
	s_cbranch_execz .LBB2_955
; %bb.954:                              ;   in Loop: Header=BB2_3 Depth=1
	ds_load_b32 v32, v48 offset:2592
	ds_load_b32 v33, v47
	s_wait_dscnt 0x0
	v_fma_f32 v29, -v32, v33, v29
.LBB2_955:                              ;   in Loop: Header=BB2_3 Depth=1
	s_or_b32 exec_lo, exec_lo, s0
	s_barrier_signal -1
	s_barrier_wait -1
	s_and_saveexec_b32 s0, s98
; %bb.956:                              ;   in Loop: Header=BB2_3 Depth=1
	v_xor_b32_e32 v32, 0x80000000, v29
	ds_store_b32 v47, v32
; %bb.957:                              ;   in Loop: Header=BB2_3 Depth=1
	s_or_b32 exec_lo, exec_lo, s0
	s_wait_dscnt 0x0
	;; [unrolled: 20-line block ×3, first 2 shown]
	s_barrier_signal -1
	s_barrier_wait -1
	s_barrier_signal -1
	s_barrier_wait -1
	s_and_saveexec_b32 s0, s4
; %bb.962:                              ;   in Loop: Header=BB2_3 Depth=1
	ds_store_b32 v51, v29 offset:3872
; %bb.963:                              ;   in Loop: Header=BB2_3 Depth=1
	s_or_b32 exec_lo, exec_lo, s0
	s_wait_dscnt 0x0
	s_barrier_signal -1
	s_barrier_wait -1
	s_barrier_signal -1
	s_barrier_wait -1
	s_and_saveexec_b32 s0, s100
	s_cbranch_execz .LBB2_965
; %bb.964:                              ;   in Loop: Header=BB2_3 Depth=1
	ds_load_b32 v29, v36 offset:3104
	s_wait_dscnt 0x0
	ds_store_b32 v37, v29 offset:2096
	ds_load_b32 v29, v36 offset:3108
	s_wait_dscnt 0x0
	ds_store_b32 v37, v29 offset:2352
	;; [unrolled: 3-line block ×4, first 2 shown]
.LBB2_965:                              ;   in Loop: Header=BB2_3 Depth=1
	s_or_b32 exec_lo, exec_lo, s0
	s_wait_dscnt 0x0
	s_barrier_signal -1
	s_barrier_wait -1
	s_and_saveexec_b32 s0, s13
	s_cbranch_execz .LBB2_967
; %bb.966:                              ;   in Loop: Header=BB2_3 Depth=1
	ds_load_b32 v29, v3 offset:2856
	ds_store_b32 v3, v28 offset:2860
	s_wait_dscnt 0x1
	ds_store_b64 v3, v[28:29] offset:2600
.LBB2_967:                              ;   in Loop: Header=BB2_3 Depth=1
	s_or_b32 exec_lo, exec_lo, s0
	v_mov_b32_e32 v29, 0
	s_wait_dscnt 0x0
	s_barrier_signal -1
	s_barrier_wait -1
	global_wb scope:SCOPE_DEV
	s_wait_storecnt 0x0
	global_inv scope:SCOPE_DEV
	s_and_saveexec_b32 s0, s2
	s_cbranch_execz .LBB2_971
; %bb.968:                              ;   in Loop: Header=BB2_3 Depth=1
	ds_load_b32 v29, v43 offset:2592
	ds_load_b32 v32, v44 offset:2856
	s_wait_dscnt 0x0
	v_fma_f32 v29, v29, v32, 0
	s_and_saveexec_b32 s1, s14
	s_cbranch_execz .LBB2_970
; %bb.969:                              ;   in Loop: Header=BB2_3 Depth=1
	ds_load_b32 v32, v37 offset:2848
	ds_load_b32 v33, v3 offset:2860
	s_wait_dscnt 0x0
	v_fmac_f32_e32 v29, v32, v33
.LBB2_970:                              ;   in Loop: Header=BB2_3 Depth=1
	s_or_b32 exec_lo, exec_lo, s1
.LBB2_971:                              ;   in Loop: Header=BB2_3 Depth=1
	s_delay_alu instid0(SALU_CYCLE_1)
	s_or_b32 exec_lo, exec_lo, s0
	s_and_saveexec_b32 s0, s91
; %bb.972:                              ;   in Loop: Header=BB2_3 Depth=1
	s_delay_alu instid0(VALU_DEP_1)
	v_xor_b32_e32 v32, 0x80000000, v29
	ds_store_b32 v41, v32
; %bb.973:                              ;   in Loop: Header=BB2_3 Depth=1
	s_or_b32 exec_lo, exec_lo, s0
	s_wait_loadcnt_dscnt 0x0
	s_barrier_signal -1
	s_barrier_wait -1
	s_and_saveexec_b32 s0, s92
	s_cbranch_execz .LBB2_975
; %bb.974:                              ;   in Loop: Header=BB2_3 Depth=1
	ds_load_b32 v32, v3 offset:2336
	ds_load_b32 v33, v41
	s_wait_dscnt 0x0
	v_fma_f32 v29, -v32, v33, v29
.LBB2_975:                              ;   in Loop: Header=BB2_3 Depth=1
	s_or_b32 exec_lo, exec_lo, s0
	s_barrier_signal -1
	s_barrier_wait -1
	s_and_saveexec_b32 s0, s92
; %bb.976:                              ;   in Loop: Header=BB2_3 Depth=1
	v_xor_b32_e32 v32, 0x80000000, v29
	ds_store_b32 v41, v32
; %bb.977:                              ;   in Loop: Header=BB2_3 Depth=1
	s_or_b32 exec_lo, exec_lo, s0
	s_wait_dscnt 0x0
	s_barrier_signal -1
	s_barrier_wait -1
	s_barrier_signal -1
	s_barrier_wait -1
	s_and_saveexec_b32 s0, s2
; %bb.978:                              ;   in Loop: Header=BB2_3 Depth=1
	ds_store_b32 v46, v29 offset:2848
; %bb.979:                              ;   in Loop: Header=BB2_3 Depth=1
	s_or_b32 exec_lo, exec_lo, s0
	s_wait_dscnt 0x0
	s_barrier_signal -1
	s_barrier_wait -1
	s_barrier_signal -1
	s_barrier_wait -1
	s_and_saveexec_b32 s0, s93
	s_cbranch_execz .LBB2_981
; %bb.980:                              ;   in Loop: Header=BB2_3 Depth=1
	ds_load_b32 v29, v38 offset:2592
	s_wait_dscnt 0x0
	ds_store_b32 v37, v29 offset:2088
	ds_load_b32 v29, v38 offset:2596
	s_wait_dscnt 0x0
	ds_store_b32 v37, v29 offset:2344
.LBB2_981:                              ;   in Loop: Header=BB2_3 Depth=1
	s_or_b32 exec_lo, exec_lo, s0
	s_wait_dscnt 0x0
	s_barrier_signal -1
	s_barrier_wait -1
	s_and_saveexec_b32 s0, s13
	s_cbranch_execz .LBB2_983
; %bb.982:                              ;   in Loop: Header=BB2_3 Depth=1
	ds_load_b32 v29, v3 offset:2336
	ds_store_b32 v3, v28 offset:2340
	s_wait_dscnt 0x1
	ds_store_b64 v3, v[28:29] offset:2080
.LBB2_983:                              ;   in Loop: Header=BB2_3 Depth=1
	s_or_b32 exec_lo, exec_lo, s0
	v_mov_b32_e32 v29, 0
	s_wait_dscnt 0x0
	s_barrier_signal -1
	s_barrier_wait -1
	global_wb scope:SCOPE_DEV
	s_wait_storecnt 0x0
	global_inv scope:SCOPE_DEV
	s_and_saveexec_b32 s0, s5
	s_cbranch_execz .LBB2_993
; %bb.984:                              ;   in Loop: Header=BB2_3 Depth=1
	ds_load_b32 v29, v53 offset:2048
	ds_load_b32 v32, v56 offset:3872
	s_wait_dscnt 0x0
	v_fma_f32 v29, v29, v32, 0
	s_and_saveexec_b32 s1, s17
	s_cbranch_execnz .LBB2_1217
; %bb.985:                              ;   in Loop: Header=BB2_3 Depth=1
	s_or_b32 exec_lo, exec_lo, s1
	s_and_saveexec_b32 s1, s18
	s_cbranch_execnz .LBB2_1218
.LBB2_986:                              ;   in Loop: Header=BB2_3 Depth=1
	s_or_b32 exec_lo, exec_lo, s1
	s_and_saveexec_b32 s1, s19
	s_cbranch_execnz .LBB2_1219
.LBB2_987:                              ;   in Loop: Header=BB2_3 Depth=1
	s_or_b32 exec_lo, exec_lo, s1
	s_and_saveexec_b32 s1, s20
	s_cbranch_execnz .LBB2_1220
.LBB2_988:                              ;   in Loop: Header=BB2_3 Depth=1
	s_or_b32 exec_lo, exec_lo, s1
	s_and_saveexec_b32 s1, s21
	s_cbranch_execnz .LBB2_1221
.LBB2_989:                              ;   in Loop: Header=BB2_3 Depth=1
	s_or_b32 exec_lo, exec_lo, s1
	s_and_saveexec_b32 s1, s4
	s_cbranch_execnz .LBB2_1222
.LBB2_990:                              ;   in Loop: Header=BB2_3 Depth=1
	s_or_b32 exec_lo, exec_lo, s1
	s_and_saveexec_b32 s1, s16
	s_cbranch_execz .LBB2_992
.LBB2_991:                              ;   in Loop: Header=BB2_3 Depth=1
	ds_load_b32 v32, v39 offset:3840
	ds_load_b32 v33, v3 offset:3900
	s_wait_dscnt 0x0
	v_fmac_f32_e32 v29, v32, v33
.LBB2_992:                              ;   in Loop: Header=BB2_3 Depth=1
	s_or_b32 exec_lo, exec_lo, s1
.LBB2_993:                              ;   in Loop: Header=BB2_3 Depth=1
	s_delay_alu instid0(SALU_CYCLE_1)
	s_or_b32 exec_lo, exec_lo, s0
	s_and_saveexec_b32 s0, s101
; %bb.994:                              ;   in Loop: Header=BB2_3 Depth=1
	s_delay_alu instid0(VALU_DEP_1)
	v_xor_b32_e32 v32, 0x80000000, v29
	ds_store_b32 v54, v32
; %bb.995:                              ;   in Loop: Header=BB2_3 Depth=1
	s_or_b32 exec_lo, exec_lo, s0
	s_wait_loadcnt_dscnt 0x0
	s_barrier_signal -1
	s_barrier_wait -1
	s_and_saveexec_b32 s0, s102
	s_cbranch_execz .LBB2_997
; %bb.996:                              ;   in Loop: Header=BB2_3 Depth=1
	ds_load_b32 v32, v53 offset:1792
	ds_load_b32 v33, v54
	s_wait_dscnt 0x0
	v_fma_f32 v29, -v32, v33, v29
.LBB2_997:                              ;   in Loop: Header=BB2_3 Depth=1
	s_or_b32 exec_lo, exec_lo, s0
	s_barrier_signal -1
	s_barrier_wait -1
	s_and_saveexec_b32 s0, s103
; %bb.998:                              ;   in Loop: Header=BB2_3 Depth=1
	v_xor_b32_e32 v32, 0x80000000, v29
	ds_store_b32 v54, v32
; %bb.999:                              ;   in Loop: Header=BB2_3 Depth=1
	s_or_b32 exec_lo, exec_lo, s0
	s_wait_dscnt 0x0
	s_barrier_signal -1
	s_barrier_wait -1
	s_and_saveexec_b32 s0, s104
	s_cbranch_execz .LBB2_1001
; %bb.1000:                             ;   in Loop: Header=BB2_3 Depth=1
	ds_load_b32 v32, v53 offset:1536
	ds_load_b32 v33, v54
	s_wait_dscnt 0x0
	v_fma_f32 v29, -v32, v33, v29
.LBB2_1001:                             ;   in Loop: Header=BB2_3 Depth=1
	s_or_b32 exec_lo, exec_lo, s0
	s_barrier_signal -1
	s_barrier_wait -1
	s_and_saveexec_b32 s0, vcc_hi
; %bb.1002:                             ;   in Loop: Header=BB2_3 Depth=1
	v_xor_b32_e32 v32, 0x80000000, v29
	ds_store_b32 v54, v32
; %bb.1003:                             ;   in Loop: Header=BB2_3 Depth=1
	s_or_b32 exec_lo, exec_lo, s0
	s_wait_dscnt 0x0
	s_barrier_signal -1
	s_barrier_wait -1
	s_and_saveexec_b32 s0, s34
	s_cbranch_execz .LBB2_1005
; %bb.1004:                             ;   in Loop: Header=BB2_3 Depth=1
	ds_load_b32 v32, v53 offset:1280
	ds_load_b32 v33, v54
	s_wait_dscnt 0x0
	v_fma_f32 v29, -v32, v33, v29
.LBB2_1005:                             ;   in Loop: Header=BB2_3 Depth=1
	s_or_b32 exec_lo, exec_lo, s0
	s_barrier_signal -1
	s_barrier_wait -1
	s_and_saveexec_b32 s0, s35
; %bb.1006:                             ;   in Loop: Header=BB2_3 Depth=1
	v_xor_b32_e32 v32, 0x80000000, v29
	ds_store_b32 v54, v32
; %bb.1007:                             ;   in Loop: Header=BB2_3 Depth=1
	s_or_b32 exec_lo, exec_lo, s0
	s_wait_dscnt 0x0
	s_barrier_signal -1
	s_barrier_wait -1
	s_and_saveexec_b32 s0, s36
	s_cbranch_execz .LBB2_1009
; %bb.1008:                             ;   in Loop: Header=BB2_3 Depth=1
	ds_load_b32 v32, v53 offset:1024
	ds_load_b32 v33, v54
	s_wait_dscnt 0x0
	v_fma_f32 v29, -v32, v33, v29
.LBB2_1009:                             ;   in Loop: Header=BB2_3 Depth=1
	s_or_b32 exec_lo, exec_lo, s0
	s_barrier_signal -1
	s_barrier_wait -1
	s_and_saveexec_b32 s0, s37
	;; [unrolled: 20-line block ×5, first 2 shown]
; %bb.1022:                             ;   in Loop: Header=BB2_3 Depth=1
	v_xor_b32_e32 v32, 0x80000000, v29
	ds_store_b32 v54, v32
; %bb.1023:                             ;   in Loop: Header=BB2_3 Depth=1
	s_or_b32 exec_lo, exec_lo, s0
	s_wait_dscnt 0x0
	s_barrier_signal -1
	s_barrier_wait -1
	s_barrier_signal -1
	s_barrier_wait -1
	s_and_saveexec_b32 s0, s5
; %bb.1024:                             ;   in Loop: Header=BB2_3 Depth=1
	ds_store_b32 v57, v29 offset:3840
; %bb.1025:                             ;   in Loop: Header=BB2_3 Depth=1
	s_or_b32 exec_lo, exec_lo, s0
	s_wait_dscnt 0x0
	s_barrier_signal -1
	s_barrier_wait -1
	s_barrier_signal -1
	s_barrier_wait -1
	s_and_saveexec_b32 s0, s43
	s_cbranch_execz .LBB2_1027
; %bb.1026:                             ;   in Loop: Header=BB2_3 Depth=1
	ds_load_b32 v29, v40 offset:2048
	s_wait_dscnt 0x0
	ds_store_b32 v42, v29 offset:32
	ds_load_b32 v29, v40 offset:2052
	s_wait_dscnt 0x0
	ds_store_b32 v42, v29 offset:288
	;; [unrolled: 3-line block ×8, first 2 shown]
.LBB2_1027:                             ;   in Loop: Header=BB2_3 Depth=1
	s_or_b32 exec_lo, exec_lo, s0
	s_wait_dscnt 0x0
	s_barrier_signal -1
	s_barrier_wait -1
	s_and_saveexec_b32 s0, s13
	s_cbranch_execz .LBB2_1029
; %bb.1028:                             ;   in Loop: Header=BB2_3 Depth=1
	ds_load_b32 v29, v3 offset:1816
	ds_store_b32 v3, v28 offset:1820
	s_wait_dscnt 0x1
	ds_store_b64 v3, v[28:29] offset:1560
.LBB2_1029:                             ;   in Loop: Header=BB2_3 Depth=1
	s_or_b32 exec_lo, exec_lo, s0
	v_mov_b32_e32 v29, 0
	s_wait_dscnt 0x0
	s_barrier_signal -1
	s_barrier_wait -1
	global_wb scope:SCOPE_DEV
	s_wait_storecnt 0x0
	global_inv scope:SCOPE_DEV
	s_and_saveexec_b32 s0, s2
	s_cbranch_execz .LBB2_1033
; %bb.1030:                             ;   in Loop: Header=BB2_3 Depth=1
	ds_load_b32 v29, v43 offset:1552
	ds_load_b32 v32, v44 offset:1816
	s_wait_dscnt 0x0
	v_fma_f32 v29, v29, v32, 0
	s_and_saveexec_b32 s1, s14
	s_cbranch_execz .LBB2_1032
; %bb.1031:                             ;   in Loop: Header=BB2_3 Depth=1
	ds_load_b32 v32, v42 offset:1808
	ds_load_b32 v33, v3 offset:1820
	s_wait_dscnt 0x0
	v_fmac_f32_e32 v29, v32, v33
.LBB2_1032:                             ;   in Loop: Header=BB2_3 Depth=1
	s_or_b32 exec_lo, exec_lo, s1
.LBB2_1033:                             ;   in Loop: Header=BB2_3 Depth=1
	s_delay_alu instid0(SALU_CYCLE_1)
	s_or_b32 exec_lo, exec_lo, s0
	s_and_saveexec_b32 s0, s91
; %bb.1034:                             ;   in Loop: Header=BB2_3 Depth=1
	s_delay_alu instid0(VALU_DEP_1)
	v_xor_b32_e32 v32, 0x80000000, v29
	ds_store_b32 v41, v32
; %bb.1035:                             ;   in Loop: Header=BB2_3 Depth=1
	s_or_b32 exec_lo, exec_lo, s0
	s_wait_loadcnt_dscnt 0x0
	s_barrier_signal -1
	s_barrier_wait -1
	s_and_saveexec_b32 s0, s92
	s_cbranch_execz .LBB2_1037
; %bb.1036:                             ;   in Loop: Header=BB2_3 Depth=1
	ds_load_b32 v32, v3 offset:1296
	ds_load_b32 v33, v41
	s_wait_dscnt 0x0
	v_fma_f32 v29, -v32, v33, v29
.LBB2_1037:                             ;   in Loop: Header=BB2_3 Depth=1
	s_or_b32 exec_lo, exec_lo, s0
	s_barrier_signal -1
	s_barrier_wait -1
	s_and_saveexec_b32 s0, s92
; %bb.1038:                             ;   in Loop: Header=BB2_3 Depth=1
	v_xor_b32_e32 v32, 0x80000000, v29
	ds_store_b32 v41, v32
; %bb.1039:                             ;   in Loop: Header=BB2_3 Depth=1
	s_or_b32 exec_lo, exec_lo, s0
	s_wait_dscnt 0x0
	s_barrier_signal -1
	s_barrier_wait -1
	s_barrier_signal -1
	s_barrier_wait -1
	s_and_saveexec_b32 s0, s2
; %bb.1040:                             ;   in Loop: Header=BB2_3 Depth=1
	ds_store_b32 v46, v29 offset:1808
; %bb.1041:                             ;   in Loop: Header=BB2_3 Depth=1
	s_or_b32 exec_lo, exec_lo, s0
	s_wait_dscnt 0x0
	s_barrier_signal -1
	s_barrier_wait -1
	s_barrier_signal -1
	s_barrier_wait -1
	s_and_saveexec_b32 s0, s93
	s_cbranch_execz .LBB2_1043
; %bb.1042:                             ;   in Loop: Header=BB2_3 Depth=1
	ds_load_b32 v29, v45 offset:1552
	s_wait_dscnt 0x0
	ds_store_b32 v42, v29 offset:1048
	ds_load_b32 v29, v45 offset:1556
	s_wait_dscnt 0x0
	ds_store_b32 v42, v29 offset:1304
.LBB2_1043:                             ;   in Loop: Header=BB2_3 Depth=1
	s_or_b32 exec_lo, exec_lo, s0
	s_wait_dscnt 0x0
	s_barrier_signal -1
	s_barrier_wait -1
	s_and_saveexec_b32 s0, s13
	s_cbranch_execz .LBB2_1045
; %bb.1044:                             ;   in Loop: Header=BB2_3 Depth=1
	ds_load_b32 v29, v3 offset:1296
	ds_store_b32 v3, v28 offset:1300
	s_wait_dscnt 0x1
	ds_store_b64 v3, v[28:29] offset:1040
.LBB2_1045:                             ;   in Loop: Header=BB2_3 Depth=1
	s_or_b32 exec_lo, exec_lo, s0
	v_mov_b32_e32 v29, 0
	s_wait_dscnt 0x0
	s_barrier_signal -1
	s_barrier_wait -1
	global_wb scope:SCOPE_DEV
	s_wait_storecnt 0x0
	global_inv scope:SCOPE_DEV
	s_and_saveexec_b32 s0, s4
	s_cbranch_execz .LBB2_1051
; %bb.1046:                             ;   in Loop: Header=BB2_3 Depth=1
	ds_load_b32 v29, v48 offset:1024
	ds_load_b32 v32, v50 offset:1808
	s_wait_dscnt 0x0
	v_fma_f32 v29, v29, v32, 0
	s_and_saveexec_b32 s1, s15
	s_cbranch_execnz .LBB2_1223
; %bb.1047:                             ;   in Loop: Header=BB2_3 Depth=1
	s_or_b32 exec_lo, exec_lo, s1
	s_and_saveexec_b32 s1, s16
	s_cbranch_execnz .LBB2_1224
.LBB2_1048:                             ;   in Loop: Header=BB2_3 Depth=1
	s_or_b32 exec_lo, exec_lo, s1
	s_and_saveexec_b32 s1, s2
	s_cbranch_execz .LBB2_1050
.LBB2_1049:                             ;   in Loop: Header=BB2_3 Depth=1
	ds_load_b32 v32, v49 offset:1792
	ds_load_b32 v33, v3 offset:1820
	s_wait_dscnt 0x0
	v_fmac_f32_e32 v29, v32, v33
.LBB2_1050:                             ;   in Loop: Header=BB2_3 Depth=1
	s_or_b32 exec_lo, exec_lo, s1
.LBB2_1051:                             ;   in Loop: Header=BB2_3 Depth=1
	s_delay_alu instid0(SALU_CYCLE_1)
	s_or_b32 exec_lo, exec_lo, s0
	s_and_saveexec_b32 s0, s94
; %bb.1052:                             ;   in Loop: Header=BB2_3 Depth=1
	s_delay_alu instid0(VALU_DEP_1)
	v_xor_b32_e32 v32, 0x80000000, v29
	ds_store_b32 v47, v32
; %bb.1053:                             ;   in Loop: Header=BB2_3 Depth=1
	s_or_b32 exec_lo, exec_lo, s0
	s_wait_loadcnt_dscnt 0x0
	s_barrier_signal -1
	s_barrier_wait -1
	s_and_saveexec_b32 s0, s95
	s_cbranch_execz .LBB2_1055
; %bb.1054:                             ;   in Loop: Header=BB2_3 Depth=1
	ds_load_b32 v32, v48 offset:768
	ds_load_b32 v33, v47
	s_wait_dscnt 0x0
	v_fma_f32 v29, -v32, v33, v29
.LBB2_1055:                             ;   in Loop: Header=BB2_3 Depth=1
	s_or_b32 exec_lo, exec_lo, s0
	s_barrier_signal -1
	s_barrier_wait -1
	s_and_saveexec_b32 s0, s96
; %bb.1056:                             ;   in Loop: Header=BB2_3 Depth=1
	v_xor_b32_e32 v32, 0x80000000, v29
	ds_store_b32 v47, v32
; %bb.1057:                             ;   in Loop: Header=BB2_3 Depth=1
	s_or_b32 exec_lo, exec_lo, s0
	s_wait_dscnt 0x0
	s_barrier_signal -1
	s_barrier_wait -1
	s_and_saveexec_b32 s0, s97
	s_cbranch_execz .LBB2_1059
; %bb.1058:                             ;   in Loop: Header=BB2_3 Depth=1
	ds_load_b32 v32, v48 offset:512
	ds_load_b32 v33, v47
	s_wait_dscnt 0x0
	v_fma_f32 v29, -v32, v33, v29
.LBB2_1059:                             ;   in Loop: Header=BB2_3 Depth=1
	s_or_b32 exec_lo, exec_lo, s0
	s_barrier_signal -1
	s_barrier_wait -1
	s_and_saveexec_b32 s0, s98
; %bb.1060:                             ;   in Loop: Header=BB2_3 Depth=1
	v_xor_b32_e32 v32, 0x80000000, v29
	ds_store_b32 v47, v32
; %bb.1061:                             ;   in Loop: Header=BB2_3 Depth=1
	s_or_b32 exec_lo, exec_lo, s0
	s_wait_dscnt 0x0
	;; [unrolled: 20-line block ×3, first 2 shown]
	s_barrier_signal -1
	s_barrier_wait -1
	s_barrier_signal -1
	s_barrier_wait -1
	s_and_saveexec_b32 s0, s4
; %bb.1066:                             ;   in Loop: Header=BB2_3 Depth=1
	ds_store_b32 v51, v29 offset:1792
; %bb.1067:                             ;   in Loop: Header=BB2_3 Depth=1
	s_or_b32 exec_lo, exec_lo, s0
	s_wait_dscnt 0x0
	s_barrier_signal -1
	s_barrier_wait -1
	s_barrier_signal -1
	s_barrier_wait -1
	s_and_saveexec_b32 s0, s100
	s_cbranch_execz .LBB2_1069
; %bb.1068:                             ;   in Loop: Header=BB2_3 Depth=1
	ds_load_b32 v29, v52 offset:1024
	s_wait_dscnt 0x0
	ds_store_b32 v55, v29 offset:16
	ds_load_b32 v29, v52 offset:1028
	s_wait_dscnt 0x0
	ds_store_b32 v55, v29 offset:272
	;; [unrolled: 3-line block ×4, first 2 shown]
.LBB2_1069:                             ;   in Loop: Header=BB2_3 Depth=1
	s_or_b32 exec_lo, exec_lo, s0
	s_wait_dscnt 0x0
	s_barrier_signal -1
	s_barrier_wait -1
	s_and_saveexec_b32 s0, s13
	s_cbranch_execz .LBB2_1071
; %bb.1070:                             ;   in Loop: Header=BB2_3 Depth=1
	ds_load_b32 v29, v3 offset:776
	ds_store_b32 v3, v28 offset:780
	s_wait_dscnt 0x1
	ds_store_b64 v3, v[28:29] offset:520
.LBB2_1071:                             ;   in Loop: Header=BB2_3 Depth=1
	s_or_b32 exec_lo, exec_lo, s0
	v_mov_b32_e32 v29, 0
	s_wait_dscnt 0x0
	s_barrier_signal -1
	s_barrier_wait -1
	global_wb scope:SCOPE_DEV
	s_wait_storecnt 0x0
	global_inv scope:SCOPE_DEV
	s_and_saveexec_b32 s0, s2
	s_cbranch_execz .LBB2_1075
; %bb.1072:                             ;   in Loop: Header=BB2_3 Depth=1
	ds_load_b32 v29, v43 offset:512
	ds_load_b32 v32, v44 offset:776
	s_wait_dscnt 0x0
	v_fma_f32 v29, v29, v32, 0
	s_and_saveexec_b32 s1, s14
	s_cbranch_execz .LBB2_1074
; %bb.1073:                             ;   in Loop: Header=BB2_3 Depth=1
	ds_load_b32 v32, v55 offset:768
	ds_load_b32 v33, v3 offset:780
	s_wait_dscnt 0x0
	v_fmac_f32_e32 v29, v32, v33
.LBB2_1074:                             ;   in Loop: Header=BB2_3 Depth=1
	s_or_b32 exec_lo, exec_lo, s1
.LBB2_1075:                             ;   in Loop: Header=BB2_3 Depth=1
	s_delay_alu instid0(SALU_CYCLE_1)
	s_or_b32 exec_lo, exec_lo, s0
	s_and_saveexec_b32 s0, s91
; %bb.1076:                             ;   in Loop: Header=BB2_3 Depth=1
	s_delay_alu instid0(VALU_DEP_1)
	v_xor_b32_e32 v32, 0x80000000, v29
	ds_store_b32 v41, v32
; %bb.1077:                             ;   in Loop: Header=BB2_3 Depth=1
	s_or_b32 exec_lo, exec_lo, s0
	s_wait_loadcnt_dscnt 0x0
	s_barrier_signal -1
	s_barrier_wait -1
	s_and_saveexec_b32 s0, s92
	s_cbranch_execz .LBB2_1079
; %bb.1078:                             ;   in Loop: Header=BB2_3 Depth=1
	ds_load_b32 v32, v3 offset:256
	ds_load_b32 v33, v41
	s_wait_dscnt 0x0
	v_fma_f32 v29, -v32, v33, v29
.LBB2_1079:                             ;   in Loop: Header=BB2_3 Depth=1
	s_or_b32 exec_lo, exec_lo, s0
	s_barrier_signal -1
	s_barrier_wait -1
	s_and_saveexec_b32 s0, s92
; %bb.1080:                             ;   in Loop: Header=BB2_3 Depth=1
	v_xor_b32_e32 v32, 0x80000000, v29
	ds_store_b32 v41, v32
; %bb.1081:                             ;   in Loop: Header=BB2_3 Depth=1
	s_or_b32 exec_lo, exec_lo, s0
	s_wait_dscnt 0x0
	s_barrier_signal -1
	s_barrier_wait -1
	s_barrier_signal -1
	s_barrier_wait -1
	s_and_saveexec_b32 s0, s2
; %bb.1082:                             ;   in Loop: Header=BB2_3 Depth=1
	ds_store_b32 v46, v29 offset:768
; %bb.1083:                             ;   in Loop: Header=BB2_3 Depth=1
	s_or_b32 exec_lo, exec_lo, s0
	s_wait_dscnt 0x0
	s_barrier_signal -1
	s_barrier_wait -1
	s_barrier_signal -1
	s_barrier_wait -1
	s_and_saveexec_b32 s0, s93
	s_cbranch_execz .LBB2_1085
; %bb.1084:                             ;   in Loop: Header=BB2_3 Depth=1
	ds_load_b32 v29, v58 offset:512
	s_wait_dscnt 0x0
	ds_store_b32 v55, v29 offset:8
	ds_load_b32 v29, v58 offset:516
	s_wait_dscnt 0x0
	ds_store_b32 v55, v29 offset:264
.LBB2_1085:                             ;   in Loop: Header=BB2_3 Depth=1
	s_or_b32 exec_lo, exec_lo, s0
	s_wait_dscnt 0x0
	s_barrier_signal -1
	s_barrier_wait -1
	s_and_saveexec_b32 s0, s13
	s_cbranch_execz .LBB2_1087
; %bb.1086:                             ;   in Loop: Header=BB2_3 Depth=1
	ds_load_b32 v29, v3 offset:256
	ds_store_b32 v3, v28 offset:260
	s_wait_dscnt 0x1
	ds_store_b64 v3, v[28:29]
.LBB2_1087:                             ;   in Loop: Header=BB2_3 Depth=1
	s_or_b32 exec_lo, exec_lo, s0
.LBB2_1088:                             ;   in Loop: Header=BB2_3 Depth=1
	s_wait_kmcnt 0x0
	s_mul_u64 s[0:1], s[76:77], s[80:81]
	v_mov_b32_e32 v29, 0
	s_lshl_b64 s[0:1], s[0:1], 2
	s_wait_dscnt 0x0
	s_add_nc_u64 s[82:83], s[70:71], s[0:1]
	s_barrier_signal -1
	s_barrier_wait -1
	s_and_saveexec_b32 s0, s48
	s_cbranch_execz .LBB2_1090
; %bb.1089:                             ;   in Loop: Header=BB2_3 Depth=1
	v_lshl_add_u64 v[32:33], v[0:1], 2, s[82:83]
	global_load_b32 v29, v[32:33], off
	s_wait_loadcnt 0x0
	v_mul_f32_e64 v29, v29, -v2
.LBB2_1090:                             ;   in Loop: Header=BB2_3 Depth=1
	s_or_b32 exec_lo, exec_lo, s0
	s_delay_alu instid0(SALU_CYCLE_1)
	s_and_not1_b32 vcc_lo, exec_lo, s49
	s_cbranch_vccnz .LBB2_1116
; %bb.1091:                             ;   in Loop: Header=BB2_3 Depth=1
	v_mov_b32_e32 v82, -1
	s_lshl_b64 s[0:1], s[80:81], 2
	s_delay_alu instid0(SALU_CYCLE_1)
	s_add_nc_u64 s[84:85], s[78:79], s[0:1]
	s_mov_b32 s1, 0
	s_branch .LBB2_1094
.LBB2_1092:                             ;   in Loop: Header=BB2_1094 Depth=2
	s_wait_xcnt 0x0
	ds_load_b32 v32, v67 offset:192
	s_wait_loadcnt_dscnt 0x0
	v_fmac_f32_e32 v29, v2, v32
.LBB2_1093:                             ;   in Loop: Header=BB2_1094 Depth=2
	s_or_b32 exec_lo, exec_lo, s0
	s_add_co_i32 s1, s1, 1
	s_delay_alu instid0(SALU_CYCLE_1)
	s_cmp_eq_u32 s1, s63
	s_cbranch_scc1 .LBB2_1116
.LBB2_1094:                             ;   Parent Loop BB2_3 Depth=1
                                        ; =>  This Loop Header: Depth=2
                                        ;       Child Loop BB2_1096 Depth 3
	v_cmp_gt_i32_e32 vcc_lo, s1, v82
	s_and_b32 s60, s57, vcc_lo
	s_delay_alu instid0(SALU_CYCLE_1)
	s_and_saveexec_b32 s0, s60
	s_cbranch_execz .LBB2_1097
; %bb.1095:                             ;   in Loop: Header=BB2_1094 Depth=2
	global_load_b32 v82, v3, s[84:85]
	s_wait_loadcnt 0x0
	v_cmp_le_i32_e32 vcc_lo, s1, v82
	s_cbranch_vccnz .LBB2_1097
.LBB2_1096:                             ;   Parent Loop BB2_3 Depth=1
                                        ;     Parent Loop BB2_1094 Depth=2
                                        ; =>    This Inner Loop Header: Depth=3
	global_wb scope:SCOPE_DEV
	s_wait_storecnt 0x0
	global_inv scope:SCOPE_DEV
	global_load_b32 v82, v3, s[84:85]
	s_wait_loadcnt 0x0
	v_cmp_gt_i32_e32 vcc_lo, s1, v82
	s_cbranch_vccnz .LBB2_1096
.LBB2_1097:                             ;   in Loop: Header=BB2_1094 Depth=2
	s_or_b32 exec_lo, exec_lo, s0
	s_lshl_b32 s0, s1, 6
	global_wb scope:SCOPE_DEV
	s_wait_storecnt 0x0
	global_inv scope:SCOPE_DEV
	s_wait_loadcnt 0x0
	s_barrier_signal -1
	s_barrier_wait -1
	s_and_saveexec_b32 s60, s58
	s_cbranch_execz .LBB2_1101
; %bb.1098:                             ;   in Loop: Header=BB2_1094 Depth=2
	v_dual_mov_b32 v32, 0 :: v_dual_bitop2_b32 v2, s0, v8 bitop3:0x54
	s_mov_b32 s61, exec_lo
	s_delay_alu instid0(VALU_DEP_1)
	v_cmpx_gt_i32_e64 s87, v2
	s_cbranch_execz .LBB2_1100
; %bb.1099:                             ;   in Loop: Header=BB2_1094 Depth=2
	v_mul_u64_e32 v[32:33], s[74:75], v[2:3]
	s_delay_alu instid0(VALU_DEP_1)
	v_lshl_add_u64 v[32:33], v[32:33], 2, s[82:83]
	global_load_b32 v32, v[32:33], off
.LBB2_1100:                             ;   in Loop: Header=BB2_1094 Depth=2
	s_wait_xcnt 0x0
	s_or_b32 exec_lo, exec_lo, s61
	s_wait_loadcnt 0x0
	ds_store_b32 v68, v32
.LBB2_1101:                             ;   in Loop: Header=BB2_1094 Depth=2
	s_or_b32 exec_lo, exec_lo, s60
	v_add_nc_u32_e32 v2, s0, v6
	v_cmp_ne_u32_e32 vcc_lo, s1, v5
	s_wait_dscnt 0x0
	s_barrier_signal -1
	s_barrier_wait -1
	v_cmp_gt_i32_e64 s0, s87, v2
	v_lshl_add_u64 v[32:33], v[2:3], 2, v[30:31]
	v_cndmask_b32_e64 v83, 0, 1, vcc_lo
	s_and_b32 s60, s0, s8
	s_delay_alu instid0(SALU_CYCLE_1)
	s_and_saveexec_b32 s0, s60
	s_cbranch_execz .LBB2_1105
; %bb.1102:                             ;   in Loop: Header=BB2_1094 Depth=2
	v_mov_b32_e32 v84, v78
	s_and_not1_b32 vcc_lo, exec_lo, vcc_lo
	s_cbranch_vccnz .LBB2_1104
; %bb.1103:                             ;   in Loop: Header=BB2_1094 Depth=2
	global_load_b32 v84, v[32:33], off
.LBB2_1104:                             ;   in Loop: Header=BB2_1094 Depth=2
	ds_load_b32 v85, v67
	s_wait_loadcnt_dscnt 0x0
	v_fmac_f32_e32 v29, v84, v85
.LBB2_1105:                             ;   in Loop: Header=BB2_1094 Depth=2
	s_or_b32 exec_lo, exec_lo, s0
	v_add_nc_u32_e32 v84, 16, v2
	s_delay_alu instid0(VALU_DEP_1) | instskip(SKIP_1) | instid1(SALU_CYCLE_1)
	v_cmp_gt_i32_e32 vcc_lo, s87, v84
	s_and_b32 s60, vcc_lo, s8
	s_and_saveexec_b32 s0, s60
	s_cbranch_execz .LBB2_1109
; %bb.1106:                             ;   in Loop: Header=BB2_1094 Depth=2
	v_cmp_ne_u32_e32 vcc_lo, 1, v83
	v_mov_b32_e32 v84, v79
	s_cbranch_vccnz .LBB2_1108
; %bb.1107:                             ;   in Loop: Header=BB2_1094 Depth=2
	global_load_b32 v84, v[32:33], off offset:64
.LBB2_1108:                             ;   in Loop: Header=BB2_1094 Depth=2
	ds_load_b32 v85, v67 offset:64
	s_wait_loadcnt_dscnt 0x0
	v_fmac_f32_e32 v29, v84, v85
.LBB2_1109:                             ;   in Loop: Header=BB2_1094 Depth=2
	s_or_b32 exec_lo, exec_lo, s0
	v_add_nc_u32_e32 v84, 32, v2
	s_delay_alu instid0(VALU_DEP_1) | instskip(SKIP_1) | instid1(SALU_CYCLE_1)
	v_cmp_gt_i32_e32 vcc_lo, s87, v84
	s_and_b32 s60, vcc_lo, s8
	s_and_saveexec_b32 s0, s60
	s_cbranch_execz .LBB2_1113
; %bb.1110:                             ;   in Loop: Header=BB2_1094 Depth=2
	v_cmp_ne_u32_e32 vcc_lo, 1, v83
	v_mov_b32_e32 v84, v80
	s_cbranch_vccnz .LBB2_1112
; %bb.1111:                             ;   in Loop: Header=BB2_1094 Depth=2
	global_load_b32 v84, v[32:33], off offset:128
.LBB2_1112:                             ;   in Loop: Header=BB2_1094 Depth=2
	ds_load_b32 v85, v67 offset:128
	s_wait_loadcnt_dscnt 0x0
	v_fmac_f32_e32 v29, v84, v85
.LBB2_1113:                             ;   in Loop: Header=BB2_1094 Depth=2
	s_or_b32 exec_lo, exec_lo, s0
	v_add_nc_u32_e32 v2, 48, v2
	s_delay_alu instid0(VALU_DEP_1) | instskip(SKIP_1) | instid1(SALU_CYCLE_1)
	v_cmp_gt_i32_e32 vcc_lo, s87, v2
	s_and_b32 s60, vcc_lo, s8
	s_and_saveexec_b32 s0, s60
	s_cbranch_execz .LBB2_1093
; %bb.1114:                             ;   in Loop: Header=BB2_1094 Depth=2
	v_cmp_ne_u32_e32 vcc_lo, 1, v83
	v_mov_b32_e32 v2, v81
	s_cbranch_vccnz .LBB2_1092
; %bb.1115:                             ;   in Loop: Header=BB2_1094 Depth=2
	global_load_b32 v2, v[32:33], off offset:192
	s_branch .LBB2_1092
.LBB2_1116:                             ;   in Loop: Header=BB2_3 Depth=1
	ds_store_b32 v69, v29
	s_wait_dscnt 0x0
	s_barrier_signal -1
	s_barrier_wait -1
	s_and_saveexec_b32 s0, s3
	s_cbranch_execz .LBB2_1118
; %bb.1117:                             ;   in Loop: Header=BB2_3 Depth=1
	ds_load_2addr_stride64_b32 v[30:31], v70 offset0:1 offset1:2
	ds_load_2addr_stride64_b32 v[32:33], v70 offset0:3 offset1:4
	;; [unrolled: 1-line block ×4, first 2 shown]
	v_readlane_b32 s1, v87, 6
	s_wait_dscnt 0x3
	v_add_f32_e32 v2, v29, v30
	s_delay_alu instid0(VALU_DEP_1) | instskip(SKIP_3) | instid1(VALU_DEP_1)
	v_add_f32_e32 v2, v2, v31
	ds_load_2addr_stride64_b32 v[30:31], v70 offset0:9 offset1:10
	s_wait_dscnt 0x3
	v_add_f32_e32 v2, v2, v32
	v_add_f32_e32 v2, v2, v33
	ds_load_2addr_stride64_b32 v[32:33], v70 offset0:11 offset1:12
	s_wait_dscnt 0x3
	v_add_f32_e32 v2, v2, v82
	s_delay_alu instid0(VALU_DEP_1) | instskip(SKIP_4) | instid1(VALU_DEP_1)
	v_add_f32_e32 v2, v2, v83
	ds_load_2addr_stride64_b32 v[82:83], v70 offset0:13 offset1:14
	ds_load_b32 v29, v70 offset:3840
	s_wait_dscnt 0x4
	v_add_f32_e32 v2, v2, v84
	v_add_f32_e32 v2, v2, v85
	s_wait_dscnt 0x3
	s_delay_alu instid0(VALU_DEP_1) | instskip(NEXT) | instid1(VALU_DEP_1)
	v_add_f32_e32 v2, v2, v30
	v_add_f32_e32 v2, v2, v31
	s_wait_dscnt 0x2
	s_delay_alu instid0(VALU_DEP_1) | instskip(NEXT) | instid1(VALU_DEP_1)
	;; [unrolled: 4-line block ×4, first 2 shown]
	v_add_f32_e32 v2, v2, v29
	v_cndmask_b32_e64 v29, -v2, 0, s1
.LBB2_1118:                             ;   in Loop: Header=BB2_3 Depth=1
	s_or_b32 exec_lo, exec_lo, s0
	s_delay_alu instid0(SALU_CYCLE_1)
	s_and_not1_b32 vcc_lo, exec_lo, s90
	s_cbranch_vccnz .LBB2_1128
; %bb.1119:                             ;   in Loop: Header=BB2_3 Depth=1
	s_and_saveexec_b32 s0, s3
; %bb.1120:                             ;   in Loop: Header=BB2_3 Depth=1
	ds_store_b32 v72, v29
; %bb.1121:                             ;   in Loop: Header=BB2_3 Depth=1
	s_or_b32 exec_lo, exec_lo, s0
	v_mov_b32_e32 v2, 0
	s_wait_dscnt 0x0
	s_barrier_signal -1
	s_barrier_wait -1
	s_and_saveexec_b32 s0, s9
	s_cbranch_execnz .LBB2_1167
; %bb.1122:                             ;   in Loop: Header=BB2_3 Depth=1
	s_or_b32 exec_lo, exec_lo, s0
	s_and_saveexec_b32 s0, s10
	s_cbranch_execnz .LBB2_1168
.LBB2_1123:                             ;   in Loop: Header=BB2_3 Depth=1
	s_or_b32 exec_lo, exec_lo, s0
	s_and_saveexec_b32 s0, s11
	s_cbranch_execnz .LBB2_1169
.LBB2_1124:                             ;   in Loop: Header=BB2_3 Depth=1
	s_or_b32 exec_lo, exec_lo, s0
	s_and_saveexec_b32 s0, s12
	s_cbranch_execz .LBB2_1126
.LBB2_1125:                             ;   in Loop: Header=BB2_3 Depth=1
	ds_load_b32 v30, v71 offset:12288
	ds_load_b32 v31, v67 offset:192
	s_wait_dscnt 0x0
	v_fmac_f32_e32 v2, v30, v31
.LBB2_1126:                             ;   in Loop: Header=BB2_3 Depth=1
	s_or_b32 exec_lo, exec_lo, s0
	s_mov_b32 s1, 0
	s_mov_b32 s0, 0
	ds_store_b32 v69, v2
	s_wait_dscnt 0x0
	s_barrier_signal -1
	s_barrier_wait -1
                                        ; implicit-def: $vgpr30
	s_and_saveexec_b32 s84, s3
	s_cbranch_execz .LBB2_1170
; %bb.1127:                             ;   in Loop: Header=BB2_3 Depth=1
	ds_load_2addr_stride64_b32 v[30:31], v70 offset0:1 offset1:2
	ds_load_2addr_stride64_b32 v[32:33], v70 offset0:3 offset1:4
	;; [unrolled: 1-line block ×4, first 2 shown]
	s_mov_b32 s0, exec_lo
	s_wait_dscnt 0x3
	v_add_f32_e32 v2, v2, v30
	s_delay_alu instid0(VALU_DEP_1) | instskip(SKIP_3) | instid1(VALU_DEP_1)
	v_add_f32_e32 v2, v31, v2
	ds_load_2addr_stride64_b32 v[30:31], v70 offset0:9 offset1:10
	s_wait_dscnt 0x3
	v_add_f32_e32 v2, v32, v2
	v_add_f32_e32 v2, v33, v2
	ds_load_2addr_stride64_b32 v[32:33], v70 offset0:11 offset1:12
	s_wait_dscnt 0x3
	v_add_f32_e32 v2, v82, v2
	s_delay_alu instid0(VALU_DEP_1) | instskip(SKIP_1) | instid1(VALU_DEP_1)
	v_add_f32_e32 v2, v83, v2
	s_wait_dscnt 0x2
	v_add_f32_e32 v2, v84, v2
	ds_load_2addr_stride64_b32 v[82:83], v70 offset0:13 offset1:14
	ds_load_b32 v84, v70 offset:3840
	v_add_f32_e32 v2, v85, v2
	s_wait_dscnt 0x3
	s_delay_alu instid0(VALU_DEP_1) | instskip(NEXT) | instid1(VALU_DEP_1)
	v_add_f32_e32 v2, v30, v2
	v_add_f32_e32 v2, v31, v2
	s_wait_dscnt 0x2
	s_delay_alu instid0(VALU_DEP_1) | instskip(NEXT) | instid1(VALU_DEP_1)
	v_add_f32_e32 v2, v32, v2
	;; [unrolled: 4-line block ×3, first 2 shown]
	v_add_f32_e32 v2, v83, v2
	s_wait_dscnt 0x0
	s_delay_alu instid0(VALU_DEP_1) | instskip(SKIP_1) | instid1(SALU_CYCLE_1)
	v_add_f32_e32 v30, v84, v2
	s_or_b32 exec_lo, exec_lo, s84
	s_and_b32 vcc_lo, exec_lo, s1
	s_cbranch_vccnz .LBB2_1129
	s_branch .LBB2_1171
.LBB2_1128:                             ;   in Loop: Header=BB2_3 Depth=1
	s_mov_b32 s0, 0
                                        ; implicit-def: $vgpr30
	s_cbranch_execz .LBB2_1171
.LBB2_1129:                             ;   in Loop: Header=BB2_3 Depth=1
	v_dual_mov_b32 v2, v4 :: v_dual_mov_b32 v30, v77
	s_mov_b32 s1, 0
	s_branch .LBB2_1131
.LBB2_1130:                             ;   in Loop: Header=BB2_1131 Depth=2
	s_or_b32 exec_lo, exec_lo, s60
	v_add_nc_u32_e32 v30, 0x400, v30
	v_add_nc_u32_e32 v2, -4, v2
	s_add_co_i32 s1, s1, 4
	s_delay_alu instid0(SALU_CYCLE_1)
	s_cmp_lg_u32 s1, 64
	s_barrier_signal -1
	s_barrier_wait -1
	s_cbranch_scc0 .LBB2_1147
.LBB2_1131:                             ;   Parent Loop BB2_3 Depth=1
                                        ; =>  This Inner Loop Header: Depth=2
	s_delay_alu instid0(VALU_DEP_1) | instskip(SKIP_1) | instid1(SALU_CYCLE_1)
	v_cmp_eq_u32_e32 vcc_lo, 0, v2
	s_and_b32 s61, s3, vcc_lo
	s_and_saveexec_b32 s60, s61
; %bb.1132:                             ;   in Loop: Header=BB2_1131 Depth=2
	ds_store_b32 v3, v29 offset:20736
; %bb.1133:                             ;   in Loop: Header=BB2_1131 Depth=2
	s_or_b32 exec_lo, exec_lo, s60
	v_cmp_lt_u32_e32 vcc_lo, s1, v4
	s_wait_dscnt 0x0
	s_barrier_signal -1
	s_barrier_wait -1
	s_and_b32 s61, s3, vcc_lo
	s_delay_alu instid0(SALU_CYCLE_1)
	s_and_saveexec_b32 s60, s61
	s_cbranch_execz .LBB2_1135
; %bb.1134:                             ;   in Loop: Header=BB2_1131 Depth=2
	ds_load_b32 v31, v30
	ds_load_b32 v32, v3 offset:20736
	s_wait_dscnt 0x0
	v_fmac_f32_e32 v29, v31, v32
.LBB2_1135:                             ;   in Loop: Header=BB2_1131 Depth=2
	s_or_b32 exec_lo, exec_lo, s60
	s_or_b32 s60, s1, 1
	s_delay_alu instid0(SALU_CYCLE_1) | instskip(SKIP_3) | instid1(SALU_CYCLE_1)
	v_cmp_eq_u32_e32 vcc_lo, s60, v4
	s_barrier_signal -1
	s_barrier_wait -1
	s_and_b32 s84, s3, vcc_lo
	s_and_saveexec_b32 s61, s84
; %bb.1136:                             ;   in Loop: Header=BB2_1131 Depth=2
	ds_store_b32 v3, v29 offset:20736
; %bb.1137:                             ;   in Loop: Header=BB2_1131 Depth=2
	s_or_b32 exec_lo, exec_lo, s61
	v_cmp_lt_u32_e32 vcc_lo, s60, v4
	s_wait_dscnt 0x0
	s_barrier_signal -1
	s_barrier_wait -1
	s_and_b32 s61, s3, vcc_lo
	s_delay_alu instid0(SALU_CYCLE_1)
	s_and_saveexec_b32 s60, s61
	s_cbranch_execz .LBB2_1139
; %bb.1138:                             ;   in Loop: Header=BB2_1131 Depth=2
	ds_load_b32 v31, v30 offset:256
	ds_load_b32 v32, v3 offset:20736
	s_wait_dscnt 0x0
	v_fmac_f32_e32 v29, v31, v32
.LBB2_1139:                             ;   in Loop: Header=BB2_1131 Depth=2
	s_or_b32 exec_lo, exec_lo, s60
	s_or_b32 s60, s1, 2
	s_delay_alu instid0(SALU_CYCLE_1) | instskip(SKIP_3) | instid1(SALU_CYCLE_1)
	v_cmp_eq_u32_e32 vcc_lo, s60, v4
	s_barrier_signal -1
	s_barrier_wait -1
	s_and_b32 s84, s3, vcc_lo
	s_and_saveexec_b32 s61, s84
; %bb.1140:                             ;   in Loop: Header=BB2_1131 Depth=2
	ds_store_b32 v3, v29 offset:20736
; %bb.1141:                             ;   in Loop: Header=BB2_1131 Depth=2
	s_or_b32 exec_lo, exec_lo, s61
	v_cmp_lt_u32_e32 vcc_lo, s60, v4
	s_wait_dscnt 0x0
	s_barrier_signal -1
	s_barrier_wait -1
	s_and_b32 s61, s3, vcc_lo
	s_delay_alu instid0(SALU_CYCLE_1)
	s_and_saveexec_b32 s60, s61
	s_cbranch_execz .LBB2_1143
; %bb.1142:                             ;   in Loop: Header=BB2_1131 Depth=2
	ds_load_b32 v31, v30 offset:512
	ds_load_b32 v32, v3 offset:20736
	s_wait_dscnt 0x0
	v_fmac_f32_e32 v29, v31, v32
.LBB2_1143:                             ;   in Loop: Header=BB2_1131 Depth=2
	s_or_b32 exec_lo, exec_lo, s60
	s_or_b32 s60, s1, 3
	s_delay_alu instid0(SALU_CYCLE_1) | instskip(SKIP_3) | instid1(SALU_CYCLE_1)
	v_cmp_eq_u32_e32 vcc_lo, s60, v4
	s_barrier_signal -1
	s_barrier_wait -1
	s_and_b32 s84, s3, vcc_lo
	s_and_saveexec_b32 s61, s84
; %bb.1144:                             ;   in Loop: Header=BB2_1131 Depth=2
	ds_store_b32 v3, v29 offset:20736
; %bb.1145:                             ;   in Loop: Header=BB2_1131 Depth=2
	s_or_b32 exec_lo, exec_lo, s61
	v_cmp_lt_u32_e32 vcc_lo, s60, v4
	s_wait_dscnt 0x0
	s_barrier_signal -1
	s_barrier_wait -1
	s_and_b32 s61, s3, vcc_lo
	s_delay_alu instid0(SALU_CYCLE_1)
	s_and_saveexec_b32 s60, s61
	s_cbranch_execz .LBB2_1130
; %bb.1146:                             ;   in Loop: Header=BB2_1131 Depth=2
	ds_load_b32 v31, v30 offset:768
	ds_load_b32 v32, v3 offset:20736
	s_wait_dscnt 0x0
	v_fmac_f32_e32 v29, v31, v32
	s_branch .LBB2_1130
.LBB2_1147:                             ;   in Loop: Header=BB2_3 Depth=1
	s_and_b32 vcc_lo, exec_lo, s89
	s_mov_b32 s1, -1
	s_cbranch_vccz .LBB2_1149
; %bb.1148:                             ;   in Loop: Header=BB2_3 Depth=1
	s_and_not1_b32 s0, s0, exec_lo
	s_and_b32 s60, s3, exec_lo
	s_mov_b32 s1, 0
	s_or_b32 s0, s0, s60
.LBB2_1149:                             ;   in Loop: Header=BB2_3 Depth=1
	s_and_not1_b32 vcc_lo, exec_lo, s1
	s_cbranch_vccnz .LBB2_1151
; %bb.1150:                             ;   in Loop: Header=BB2_3 Depth=1
	v_readlane_b32 s1, v87, 7
	s_and_not1_b32 s0, s0, exec_lo
	s_and_b32 s1, s1, exec_lo
	s_delay_alu instid0(SALU_CYCLE_1)
	s_or_b32 s0, s0, s1
.LBB2_1151:                             ;   in Loop: Header=BB2_3 Depth=1
	v_mov_b64_e32 v[30:31], v[16:17]
	s_and_saveexec_b32 s1, s0
	s_cbranch_execnz .LBB2_1172
	s_branch .LBB2_1173
.LBB2_1152:                             ;   in Loop: Header=BB2_3 Depth=1
	s_mov_b32 s1, exec_lo
	v_readlane_b32 s60, v86, 18
	s_and_b32 s60, s1, s60
	s_delay_alu instid0(SALU_CYCLE_1)
	s_mov_b32 exec_lo, s60
; %bb.1153:                             ;   in Loop: Header=BB2_3 Depth=1
	ds_store_b32 v73, v3
; %bb.1154:                             ;   in Loop: Header=BB2_3 Depth=1
	s_or_b32 exec_lo, exec_lo, s1
	s_and_not1_saveexec_b32 s0, s0
	s_cbranch_execz .LBB2_16
.LBB2_1155:                             ;   in Loop: Header=BB2_3 Depth=1
	v_lshl_add_u64 v[82:83], v[18:19], 2, v[32:33]
	global_load_b32 v29, v[82:83], off
	s_wait_loadcnt 0x0
	v_xor_b32_e32 v29, 0x80000000, v29
	ds_store_b32 v73, v29
	s_or_b32 exec_lo, exec_lo, s0
	s_and_saveexec_b32 s0, s10
	s_delay_alu instid0(SALU_CYCLE_1)
	s_xor_b32 s0, exec_lo, s0
	s_cbranch_execz .LBB2_17
.LBB2_1156:                             ;   in Loop: Header=BB2_3 Depth=1
	s_mov_b32 s1, exec_lo
	v_readlane_b32 s60, v86, 19
	s_and_b32 s60, s1, s60
	s_delay_alu instid0(SALU_CYCLE_1)
	s_mov_b32 exec_lo, s60
; %bb.1157:                             ;   in Loop: Header=BB2_3 Depth=1
	ds_store_b32 v7, v3
; %bb.1158:                             ;   in Loop: Header=BB2_3 Depth=1
	s_or_b32 exec_lo, exec_lo, s1
	s_and_not1_saveexec_b32 s0, s0
	s_cbranch_execz .LBB2_18
.LBB2_1159:                             ;   in Loop: Header=BB2_3 Depth=1
	v_lshl_add_u64 v[82:83], v[20:21], 2, v[32:33]
	global_load_b32 v29, v[82:83], off
	s_wait_loadcnt 0x0
	v_xor_b32_e32 v29, 0x80000000, v29
	ds_store_b32 v7, v29
	s_or_b32 exec_lo, exec_lo, s0
	s_and_saveexec_b32 s0, s11
	s_delay_alu instid0(SALU_CYCLE_1)
	s_xor_b32 s0, exec_lo, s0
	s_cbranch_execz .LBB2_19
.LBB2_1160:                             ;   in Loop: Header=BB2_3 Depth=1
	s_mov_b32 s1, exec_lo
	v_readlane_b32 s60, v86, 20
	s_and_b32 s60, s1, s60
	s_delay_alu instid0(SALU_CYCLE_1)
	s_mov_b32 exec_lo, s60
; %bb.1161:                             ;   in Loop: Header=BB2_3 Depth=1
	ds_store_b32 v74, v3
; %bb.1162:                             ;   in Loop: Header=BB2_3 Depth=1
	s_or_b32 exec_lo, exec_lo, s1
	s_and_not1_saveexec_b32 s0, s0
	s_cbranch_execz .LBB2_20
.LBB2_1163:                             ;   in Loop: Header=BB2_3 Depth=1
	v_lshl_add_u64 v[82:83], v[22:23], 2, v[32:33]
	global_load_b32 v29, v[82:83], off
	s_wait_loadcnt 0x0
	v_xor_b32_e32 v29, 0x80000000, v29
	ds_store_b32 v74, v29
	s_or_b32 exec_lo, exec_lo, s0
	s_and_saveexec_b32 s0, s12
	s_delay_alu instid0(SALU_CYCLE_1)
	s_xor_b32 s0, exec_lo, s0
	s_cbranch_execz .LBB2_21
.LBB2_1164:                             ;   in Loop: Header=BB2_3 Depth=1
	s_mov_b32 s1, exec_lo
	v_readlane_b32 s60, v86, 21
	s_and_b32 s60, s1, s60
	s_delay_alu instid0(SALU_CYCLE_1)
	s_mov_b32 exec_lo, s60
; %bb.1165:                             ;   in Loop: Header=BB2_3 Depth=1
	ds_store_b32 v75, v3
; %bb.1166:                             ;   in Loop: Header=BB2_3 Depth=1
	s_or_b32 exec_lo, exec_lo, s1
	s_and_not1_saveexec_b32 s0, s0
	s_cbranch_execnz .LBB2_22
	s_branch .LBB2_23
.LBB2_1167:                             ;   in Loop: Header=BB2_3 Depth=1
	ds_load_b32 v2, v71
	ds_load_b32 v30, v67
	s_wait_dscnt 0x0
	v_fma_f32 v2, v2, v30, 0
	s_or_b32 exec_lo, exec_lo, s0
	s_and_saveexec_b32 s0, s10
	s_cbranch_execz .LBB2_1123
.LBB2_1168:                             ;   in Loop: Header=BB2_3 Depth=1
	ds_load_b32 v30, v71 offset:4096
	ds_load_b32 v31, v67 offset:64
	s_wait_dscnt 0x0
	v_fmac_f32_e32 v2, v30, v31
	s_or_b32 exec_lo, exec_lo, s0
	s_and_saveexec_b32 s0, s11
	s_cbranch_execz .LBB2_1124
.LBB2_1169:                             ;   in Loop: Header=BB2_3 Depth=1
	ds_load_b32 v30, v71 offset:8192
	ds_load_b32 v31, v67 offset:128
	s_wait_dscnt 0x0
	v_fmac_f32_e32 v2, v30, v31
	s_or_b32 exec_lo, exec_lo, s0
	s_and_saveexec_b32 s0, s12
	s_cbranch_execnz .LBB2_1125
	s_branch .LBB2_1126
.LBB2_1170:                             ;   in Loop: Header=BB2_3 Depth=1
	s_or_b32 exec_lo, exec_lo, s84
	s_delay_alu instid0(SALU_CYCLE_1)
	s_and_b32 vcc_lo, exec_lo, s1
	s_cbranch_vccnz .LBB2_1129
.LBB2_1171:                             ;   in Loop: Header=BB2_3 Depth=1
	v_mov_b32_e32 v29, v30
	v_mov_b64_e32 v[30:31], v[14:15]
	s_and_saveexec_b32 s1, s0
	s_cbranch_execz .LBB2_1173
.LBB2_1172:                             ;   in Loop: Header=BB2_3 Depth=1
	s_delay_alu instid0(VALU_DEP_1)
	v_lshl_add_u64 v[30:31], v[30:31], 2, s[82:83]
	global_store_b32 v[30:31], v29, off
.LBB2_1173:                             ;   in Loop: Header=BB2_3 Depth=1
	s_wait_xcnt 0x0
	s_or_b32 exec_lo, exec_lo, s1
	global_wb scope:SCOPE_DEV
	s_wait_storecnt 0x0
	global_inv scope:SCOPE_DEV
	s_wait_loadcnt 0x0
	s_barrier_signal -1
	s_barrier_wait -1
	s_and_saveexec_b32 s0, s57
	s_cbranch_execz .LBB2_2
; %bb.1174:                             ;   in Loop: Header=BB2_3 Depth=1
	s_lshl_b64 s[60:61], s[80:81], 2
	s_delay_alu instid0(SALU_CYCLE_1)
	s_add_nc_u64 s[60:61], s[78:79], s[60:61]
	global_load_b32 v2, v3, s[60:61]
	s_wait_loadcnt 0x0
	v_add_nc_u32_e32 v2, 1, v2
	global_store_b32 v3, v2, s[60:61]
	s_branch .LBB2_2
.LBB2_1175:                             ;   in Loop: Header=BB2_3 Depth=1
	ds_load_b32 v32, v48 offset:15840
	ds_load_b32 v33, v50 offset:16372
	s_wait_dscnt 0x0
	v_fmac_f32_e32 v29, v32, v33
	s_or_b32 exec_lo, exec_lo, s1
	s_and_saveexec_b32 s1, s16
	s_cbranch_execz .LBB2_72
.LBB2_1176:                             ;   in Loop: Header=BB2_3 Depth=1
	ds_load_b32 v32, v48 offset:16096
	ds_load_b32 v33, v50 offset:16376
	s_wait_dscnt 0x0
	v_fmac_f32_e32 v29, v32, v33
	s_or_b32 exec_lo, exec_lo, s1
	s_and_saveexec_b32 s1, s2
	s_cbranch_execnz .LBB2_73
	s_branch .LBB2_74
.LBB2_1177:                             ;   in Loop: Header=BB2_3 Depth=1
	ds_load_b32 v32, v53 offset:14784
	ds_load_b32 v33, v56 offset:16356
	s_wait_dscnt 0x0
	v_fmac_f32_e32 v29, v32, v33
	s_or_b32 exec_lo, exec_lo, s1
	s_and_saveexec_b32 s1, s18
	s_cbranch_execz .LBB2_114
.LBB2_1178:                             ;   in Loop: Header=BB2_3 Depth=1
	ds_load_b32 v32, v53 offset:15040
	ds_load_b32 v33, v56 offset:16360
	s_wait_dscnt 0x0
	v_fmac_f32_e32 v29, v32, v33
	s_or_b32 exec_lo, exec_lo, s1
	s_and_saveexec_b32 s1, s19
	s_cbranch_execz .LBB2_115
.LBB2_1179:                             ;   in Loop: Header=BB2_3 Depth=1
	ds_load_b32 v32, v53 offset:15296
	ds_load_b32 v33, v56 offset:16364
	s_wait_dscnt 0x0
	v_fmac_f32_e32 v29, v32, v33
	s_or_b32 exec_lo, exec_lo, s1
	s_and_saveexec_b32 s1, s20
	s_cbranch_execz .LBB2_116
.LBB2_1180:                             ;   in Loop: Header=BB2_3 Depth=1
	ds_load_b32 v32, v53 offset:15552
	ds_load_b32 v33, v56 offset:16368
	s_wait_dscnt 0x0
	v_fmac_f32_e32 v29, v32, v33
	s_or_b32 exec_lo, exec_lo, s1
	s_and_saveexec_b32 s1, s21
	s_cbranch_execz .LBB2_117
.LBB2_1181:                             ;   in Loop: Header=BB2_3 Depth=1
	ds_load_b32 v32, v53 offset:15808
	ds_load_b32 v33, v56 offset:16372
	s_wait_dscnt 0x0
	v_fmac_f32_e32 v29, v32, v33
	s_or_b32 exec_lo, exec_lo, s1
	s_and_saveexec_b32 s1, s4
	s_cbranch_execz .LBB2_118
.LBB2_1182:                             ;   in Loop: Header=BB2_3 Depth=1
	ds_load_b32 v32, v53 offset:16064
	ds_load_b32 v33, v56 offset:16376
	s_wait_dscnt 0x0
	v_fmac_f32_e32 v29, v32, v33
	s_or_b32 exec_lo, exec_lo, s1
	s_and_saveexec_b32 s1, s16
	s_cbranch_execnz .LBB2_119
	s_branch .LBB2_120
.LBB2_1183:                             ;   in Loop: Header=BB2_3 Depth=1
	ds_load_b32 v32, v48 offset:13760
	ds_load_b32 v33, v50 offset:14292
	s_wait_dscnt 0x0
	v_fmac_f32_e32 v29, v32, v33
	s_or_b32 exec_lo, exec_lo, s1
	s_and_saveexec_b32 s1, s16
	s_cbranch_execz .LBB2_176
.LBB2_1184:                             ;   in Loop: Header=BB2_3 Depth=1
	ds_load_b32 v32, v48 offset:14016
	ds_load_b32 v33, v50 offset:14296
	s_wait_dscnt 0x0
	v_fmac_f32_e32 v29, v32, v33
	s_or_b32 exec_lo, exec_lo, s1
	s_and_saveexec_b32 s1, s2
	s_cbranch_execnz .LBB2_177
	s_branch .LBB2_178
.LBB2_1185:                             ;   in Loop: Header=BB2_3 Depth=1
	ds_load_b32 v32, v59 offset:15232
	ds_load_b32 v33, v61 offset:16364
	s_wait_dscnt 0x0
	v_fmac_f32_e32 v29, v32, v33
	s_or_b32 exec_lo, exec_lo, s1
	s_and_saveexec_b32 s1, s5
	s_cbranch_execz .LBB2_238
.LBB2_1186:                             ;   in Loop: Header=BB2_3 Depth=1
	ds_load_b32 v32, v59 offset:15488
	ds_load_b32 v33, v61 offset:16368
	s_wait_dscnt 0x0
	v_fmac_f32_e32 v29, v32, v33
	s_or_b32 exec_lo, exec_lo, s1
	s_and_saveexec_b32 s1, s18
	s_cbranch_execz .LBB2_239
.LBB2_1187:                             ;   in Loop: Header=BB2_3 Depth=1
	ds_load_b32 v32, v59 offset:15744
	ds_load_b32 v33, v61 offset:16372
	s_wait_dscnt 0x0
	v_fmac_f32_e32 v29, v32, v33
	s_or_b32 exec_lo, exec_lo, s1
	s_and_saveexec_b32 s1, s20
	s_cbranch_execz .LBB2_240
.LBB2_1188:                             ;   in Loop: Header=BB2_3 Depth=1
	ds_load_b32 v32, v59 offset:16000
	ds_load_b32 v33, v61 offset:16376
	s_wait_dscnt 0x0
	v_fmac_f32_e32 v29, v32, v33
	s_or_b32 exec_lo, exec_lo, s1
	s_and_saveexec_b32 s1, s4
	s_cbranch_execnz .LBB2_241
	s_branch .LBB2_242
.LBB2_1189:                             ;   in Loop: Header=BB2_3 Depth=1
	ds_load_b32 v32, v48 offset:11680
	ds_load_b32 v33, v50 offset:12212
	s_wait_dscnt 0x0
	v_fmac_f32_e32 v29, v32, v33
	s_or_b32 exec_lo, exec_lo, s1
	s_and_saveexec_b32 s1, s16
	s_cbranch_execz .LBB2_330
.LBB2_1190:                             ;   in Loop: Header=BB2_3 Depth=1
	ds_load_b32 v32, v48 offset:11936
	ds_load_b32 v33, v50 offset:12216
	s_wait_dscnt 0x0
	v_fmac_f32_e32 v29, v32, v33
	s_or_b32 exec_lo, exec_lo, s1
	s_and_saveexec_b32 s1, s2
	s_cbranch_execnz .LBB2_331
	s_branch .LBB2_332
.LBB2_1191:                             ;   in Loop: Header=BB2_3 Depth=1
	ds_load_b32 v32, v53 offset:10624
	ds_load_b32 v33, v56 offset:12196
	s_wait_dscnt 0x0
	v_fmac_f32_e32 v29, v32, v33
	s_or_b32 exec_lo, exec_lo, s1
	s_and_saveexec_b32 s1, s18
	s_cbranch_execz .LBB2_372
.LBB2_1192:                             ;   in Loop: Header=BB2_3 Depth=1
	ds_load_b32 v32, v53 offset:10880
	ds_load_b32 v33, v56 offset:12200
	s_wait_dscnt 0x0
	v_fmac_f32_e32 v29, v32, v33
	s_or_b32 exec_lo, exec_lo, s1
	s_and_saveexec_b32 s1, s19
	s_cbranch_execz .LBB2_373
.LBB2_1193:                             ;   in Loop: Header=BB2_3 Depth=1
	ds_load_b32 v32, v53 offset:11136
	ds_load_b32 v33, v56 offset:12204
	s_wait_dscnt 0x0
	v_fmac_f32_e32 v29, v32, v33
	s_or_b32 exec_lo, exec_lo, s1
	s_and_saveexec_b32 s1, s20
	s_cbranch_execz .LBB2_374
.LBB2_1194:                             ;   in Loop: Header=BB2_3 Depth=1
	ds_load_b32 v32, v53 offset:11392
	ds_load_b32 v33, v56 offset:12208
	s_wait_dscnt 0x0
	v_fmac_f32_e32 v29, v32, v33
	s_or_b32 exec_lo, exec_lo, s1
	s_and_saveexec_b32 s1, s21
	s_cbranch_execz .LBB2_375
.LBB2_1195:                             ;   in Loop: Header=BB2_3 Depth=1
	ds_load_b32 v32, v53 offset:11648
	ds_load_b32 v33, v56 offset:12212
	s_wait_dscnt 0x0
	v_fmac_f32_e32 v29, v32, v33
	s_or_b32 exec_lo, exec_lo, s1
	s_and_saveexec_b32 s1, s4
	s_cbranch_execz .LBB2_376
.LBB2_1196:                             ;   in Loop: Header=BB2_3 Depth=1
	ds_load_b32 v32, v53 offset:11904
	ds_load_b32 v33, v56 offset:12216
	s_wait_dscnt 0x0
	v_fmac_f32_e32 v29, v32, v33
	s_or_b32 exec_lo, exec_lo, s1
	s_and_saveexec_b32 s1, s16
	s_cbranch_execnz .LBB2_377
	s_branch .LBB2_378
.LBB2_1197:                             ;   in Loop: Header=BB2_3 Depth=1
	ds_load_b32 v32, v48 offset:9600
	ds_load_b32 v33, v50 offset:10132
	s_wait_dscnt 0x0
	v_fmac_f32_e32 v29, v32, v33
	s_or_b32 exec_lo, exec_lo, s1
	s_and_saveexec_b32 s1, s16
	s_cbranch_execz .LBB2_434
.LBB2_1198:                             ;   in Loop: Header=BB2_3 Depth=1
	ds_load_b32 v32, v48 offset:9856
	ds_load_b32 v33, v50 offset:10136
	s_wait_dscnt 0x0
	v_fmac_f32_e32 v29, v32, v33
	s_or_b32 exec_lo, exec_lo, s1
	s_and_saveexec_b32 s1, s2
	s_cbranch_execnz .LBB2_435
	s_branch .LBB2_436
.LBB2_1199:                             ;   in Loop: Header=BB2_3 Depth=1
	ds_load_b32 v32, v62 offset:15616
	ds_load_b32 v33, v65 offset:16372
	s_wait_dscnt 0x0
	v_fmac_f32_e32 v29, v32, v33
	s_or_b32 exec_lo, exec_lo, s1
	s_and_saveexec_b32 s1, s5
	s_cbranch_execz .LBB2_532
.LBB2_1200:                             ;   in Loop: Header=BB2_3 Depth=1
	ds_load_b32 v32, v62 offset:15872
	ds_load_b32 v33, v65 offset:16376
	s_wait_dscnt 0x0
	v_fmac_f32_e32 v29, v32, v33
	s_or_b32 exec_lo, exec_lo, s1
	s_and_saveexec_b32 s1, s20
	s_cbranch_execnz .LBB2_533
	s_branch .LBB2_534
.LBB2_1201:                             ;   in Loop: Header=BB2_3 Depth=1
	ds_load_b32 v32, v48 offset:7520
	ds_load_b32 v33, v50 offset:8052
	s_wait_dscnt 0x0
	v_fmac_f32_e32 v29, v32, v33
	s_or_b32 exec_lo, exec_lo, s1
	s_and_saveexec_b32 s1, s16
	s_cbranch_execz .LBB2_686
.LBB2_1202:                             ;   in Loop: Header=BB2_3 Depth=1
	ds_load_b32 v32, v48 offset:7776
	ds_load_b32 v33, v50 offset:8056
	s_wait_dscnt 0x0
	v_fmac_f32_e32 v29, v32, v33
	s_or_b32 exec_lo, exec_lo, s1
	s_and_saveexec_b32 s1, s2
	s_cbranch_execnz .LBB2_687
	s_branch .LBB2_688
.LBB2_1203:                             ;   in Loop: Header=BB2_3 Depth=1
	ds_load_b32 v32, v53 offset:6464
	ds_load_b32 v33, v56 offset:8036
	s_wait_dscnt 0x0
	v_fmac_f32_e32 v29, v32, v33
	s_or_b32 exec_lo, exec_lo, s1
	s_and_saveexec_b32 s1, s18
	s_cbranch_execz .LBB2_728
.LBB2_1204:                             ;   in Loop: Header=BB2_3 Depth=1
	ds_load_b32 v32, v53 offset:6720
	ds_load_b32 v33, v56 offset:8040
	s_wait_dscnt 0x0
	v_fmac_f32_e32 v29, v32, v33
	s_or_b32 exec_lo, exec_lo, s1
	s_and_saveexec_b32 s1, s19
	s_cbranch_execz .LBB2_729
.LBB2_1205:                             ;   in Loop: Header=BB2_3 Depth=1
	ds_load_b32 v32, v53 offset:6976
	ds_load_b32 v33, v56 offset:8044
	s_wait_dscnt 0x0
	v_fmac_f32_e32 v29, v32, v33
	s_or_b32 exec_lo, exec_lo, s1
	s_and_saveexec_b32 s1, s20
	s_cbranch_execz .LBB2_730
.LBB2_1206:                             ;   in Loop: Header=BB2_3 Depth=1
	ds_load_b32 v32, v53 offset:7232
	ds_load_b32 v33, v56 offset:8048
	s_wait_dscnt 0x0
	v_fmac_f32_e32 v29, v32, v33
	s_or_b32 exec_lo, exec_lo, s1
	s_and_saveexec_b32 s1, s21
	s_cbranch_execz .LBB2_731
.LBB2_1207:                             ;   in Loop: Header=BB2_3 Depth=1
	ds_load_b32 v32, v53 offset:7488
	ds_load_b32 v33, v56 offset:8052
	s_wait_dscnt 0x0
	v_fmac_f32_e32 v29, v32, v33
	s_or_b32 exec_lo, exec_lo, s1
	s_and_saveexec_b32 s1, s4
	s_cbranch_execz .LBB2_732
.LBB2_1208:                             ;   in Loop: Header=BB2_3 Depth=1
	ds_load_b32 v32, v53 offset:7744
	ds_load_b32 v33, v56 offset:8056
	s_wait_dscnt 0x0
	v_fmac_f32_e32 v29, v32, v33
	s_or_b32 exec_lo, exec_lo, s1
	s_and_saveexec_b32 s1, s16
	s_cbranch_execnz .LBB2_733
	s_branch .LBB2_734
.LBB2_1209:                             ;   in Loop: Header=BB2_3 Depth=1
	ds_load_b32 v32, v48 offset:5440
	ds_load_b32 v33, v50 offset:5972
	s_wait_dscnt 0x0
	v_fmac_f32_e32 v29, v32, v33
	s_or_b32 exec_lo, exec_lo, s1
	s_and_saveexec_b32 s1, s16
	s_cbranch_execz .LBB2_790
.LBB2_1210:                             ;   in Loop: Header=BB2_3 Depth=1
	ds_load_b32 v32, v48 offset:5696
	ds_load_b32 v33, v50 offset:5976
	s_wait_dscnt 0x0
	v_fmac_f32_e32 v29, v32, v33
	s_or_b32 exec_lo, exec_lo, s1
	s_and_saveexec_b32 s1, s2
	s_cbranch_execnz .LBB2_791
	s_branch .LBB2_792
.LBB2_1211:                             ;   in Loop: Header=BB2_3 Depth=1
	ds_load_b32 v32, v59 offset:6912
	ds_load_b32 v33, v61 offset:8044
	s_wait_dscnt 0x0
	v_fmac_f32_e32 v29, v32, v33
	s_or_b32 exec_lo, exec_lo, s1
	s_and_saveexec_b32 s1, s5
	s_cbranch_execz .LBB2_852
.LBB2_1212:                             ;   in Loop: Header=BB2_3 Depth=1
	ds_load_b32 v32, v59 offset:7168
	ds_load_b32 v33, v61 offset:8048
	s_wait_dscnt 0x0
	v_fmac_f32_e32 v29, v32, v33
	s_or_b32 exec_lo, exec_lo, s1
	s_and_saveexec_b32 s1, s18
	s_cbranch_execz .LBB2_853
.LBB2_1213:                             ;   in Loop: Header=BB2_3 Depth=1
	ds_load_b32 v32, v59 offset:7424
	ds_load_b32 v33, v61 offset:8052
	s_wait_dscnt 0x0
	v_fmac_f32_e32 v29, v32, v33
	s_or_b32 exec_lo, exec_lo, s1
	s_and_saveexec_b32 s1, s20
	s_cbranch_execz .LBB2_854
.LBB2_1214:                             ;   in Loop: Header=BB2_3 Depth=1
	ds_load_b32 v32, v59 offset:7680
	ds_load_b32 v33, v61 offset:8056
	s_wait_dscnt 0x0
	v_fmac_f32_e32 v29, v32, v33
	s_or_b32 exec_lo, exec_lo, s1
	s_and_saveexec_b32 s1, s4
	s_cbranch_execnz .LBB2_855
	s_branch .LBB2_856
.LBB2_1215:                             ;   in Loop: Header=BB2_3 Depth=1
	ds_load_b32 v32, v48 offset:3360
	ds_load_b32 v33, v50 offset:3892
	s_wait_dscnt 0x0
	v_fmac_f32_e32 v29, v32, v33
	s_or_b32 exec_lo, exec_lo, s1
	s_and_saveexec_b32 s1, s16
	s_cbranch_execz .LBB2_944
.LBB2_1216:                             ;   in Loop: Header=BB2_3 Depth=1
	ds_load_b32 v32, v48 offset:3616
	ds_load_b32 v33, v50 offset:3896
	s_wait_dscnt 0x0
	v_fmac_f32_e32 v29, v32, v33
	s_or_b32 exec_lo, exec_lo, s1
	s_and_saveexec_b32 s1, s2
	s_cbranch_execnz .LBB2_945
	s_branch .LBB2_946
.LBB2_1217:                             ;   in Loop: Header=BB2_3 Depth=1
	ds_load_b32 v32, v53 offset:2304
	ds_load_b32 v33, v56 offset:3876
	s_wait_dscnt 0x0
	v_fmac_f32_e32 v29, v32, v33
	s_or_b32 exec_lo, exec_lo, s1
	s_and_saveexec_b32 s1, s18
	s_cbranch_execz .LBB2_986
.LBB2_1218:                             ;   in Loop: Header=BB2_3 Depth=1
	ds_load_b32 v32, v53 offset:2560
	ds_load_b32 v33, v56 offset:3880
	s_wait_dscnt 0x0
	v_fmac_f32_e32 v29, v32, v33
	s_or_b32 exec_lo, exec_lo, s1
	s_and_saveexec_b32 s1, s19
	s_cbranch_execz .LBB2_987
.LBB2_1219:                             ;   in Loop: Header=BB2_3 Depth=1
	ds_load_b32 v32, v53 offset:2816
	ds_load_b32 v33, v56 offset:3884
	s_wait_dscnt 0x0
	v_fmac_f32_e32 v29, v32, v33
	s_or_b32 exec_lo, exec_lo, s1
	s_and_saveexec_b32 s1, s20
	s_cbranch_execz .LBB2_988
.LBB2_1220:                             ;   in Loop: Header=BB2_3 Depth=1
	ds_load_b32 v32, v53 offset:3072
	ds_load_b32 v33, v56 offset:3888
	s_wait_dscnt 0x0
	v_fmac_f32_e32 v29, v32, v33
	s_or_b32 exec_lo, exec_lo, s1
	s_and_saveexec_b32 s1, s21
	s_cbranch_execz .LBB2_989
.LBB2_1221:                             ;   in Loop: Header=BB2_3 Depth=1
	ds_load_b32 v32, v53 offset:3328
	ds_load_b32 v33, v56 offset:3892
	s_wait_dscnt 0x0
	v_fmac_f32_e32 v29, v32, v33
	s_or_b32 exec_lo, exec_lo, s1
	s_and_saveexec_b32 s1, s4
	s_cbranch_execz .LBB2_990
.LBB2_1222:                             ;   in Loop: Header=BB2_3 Depth=1
	ds_load_b32 v32, v53 offset:3584
	ds_load_b32 v33, v56 offset:3896
	s_wait_dscnt 0x0
	v_fmac_f32_e32 v29, v32, v33
	s_or_b32 exec_lo, exec_lo, s1
	s_and_saveexec_b32 s1, s16
	s_cbranch_execnz .LBB2_991
	s_branch .LBB2_992
.LBB2_1223:                             ;   in Loop: Header=BB2_3 Depth=1
	ds_load_b32 v32, v48 offset:1280
	ds_load_b32 v33, v50 offset:1812
	s_wait_dscnt 0x0
	v_fmac_f32_e32 v29, v32, v33
	s_or_b32 exec_lo, exec_lo, s1
	s_and_saveexec_b32 s1, s16
	s_cbranch_execz .LBB2_1048
.LBB2_1224:                             ;   in Loop: Header=BB2_3 Depth=1
	ds_load_b32 v32, v48 offset:1536
	ds_load_b32 v33, v50 offset:1816
	s_wait_dscnt 0x0
	v_fmac_f32_e32 v29, v32, v33
	s_or_b32 exec_lo, exec_lo, s1
	s_and_saveexec_b32 s1, s2
	s_cbranch_execnz .LBB2_1049
	s_branch .LBB2_1050
.LBB2_1225:
	s_endpgm
	.section	.rodata,"a",@progbits
	.p2align	6, 0x0
	.amdhsa_kernel _ZL19rocblas_trsv_deviceILi64ELi16ELb0ELb1ELb0ELb1EfPKfS1_PfEviT7_lllT6_T8_lllPii
		.amdhsa_group_segment_fixed_size 20740
		.amdhsa_private_segment_fixed_size 0
		.amdhsa_kernarg_size 352
		.amdhsa_user_sgpr_count 2
		.amdhsa_user_sgpr_dispatch_ptr 0
		.amdhsa_user_sgpr_queue_ptr 0
		.amdhsa_user_sgpr_kernarg_segment_ptr 1
		.amdhsa_user_sgpr_dispatch_id 0
		.amdhsa_user_sgpr_kernarg_preload_length 0
		.amdhsa_user_sgpr_kernarg_preload_offset 0
		.amdhsa_user_sgpr_private_segment_size 0
		.amdhsa_wavefront_size32 1
		.amdhsa_uses_dynamic_stack 0
		.amdhsa_enable_private_segment 0
		.amdhsa_system_sgpr_workgroup_id_x 1
		.amdhsa_system_sgpr_workgroup_id_y 0
		.amdhsa_system_sgpr_workgroup_id_z 1
		.amdhsa_system_sgpr_workgroup_info 0
		.amdhsa_system_vgpr_workitem_id 1
		.amdhsa_next_free_vgpr 90
		.amdhsa_next_free_sgpr 105
		.amdhsa_named_barrier_count 0
		.amdhsa_reserve_vcc 1
		.amdhsa_float_round_mode_32 0
		.amdhsa_float_round_mode_16_64 0
		.amdhsa_float_denorm_mode_32 3
		.amdhsa_float_denorm_mode_16_64 3
		.amdhsa_fp16_overflow 0
		.amdhsa_memory_ordered 1
		.amdhsa_forward_progress 1
		.amdhsa_inst_pref_size 255
		.amdhsa_round_robin_scheduling 0
		.amdhsa_exception_fp_ieee_invalid_op 0
		.amdhsa_exception_fp_denorm_src 0
		.amdhsa_exception_fp_ieee_div_zero 0
		.amdhsa_exception_fp_ieee_overflow 0
		.amdhsa_exception_fp_ieee_underflow 0
		.amdhsa_exception_fp_ieee_inexact 0
		.amdhsa_exception_int_div_zero 0
	.end_amdhsa_kernel
	.section	.text._ZL19rocblas_trsv_deviceILi64ELi16ELb0ELb1ELb0ELb1EfPKfS1_PfEviT7_lllT6_T8_lllPii,"axG",@progbits,_ZL19rocblas_trsv_deviceILi64ELi16ELb0ELb1ELb0ELb1EfPKfS1_PfEviT7_lllT6_T8_lllPii,comdat
.Lfunc_end2:
	.size	_ZL19rocblas_trsv_deviceILi64ELi16ELb0ELb1ELb0ELb1EfPKfS1_PfEviT7_lllT6_T8_lllPii, .Lfunc_end2-_ZL19rocblas_trsv_deviceILi64ELi16ELb0ELb1ELb0ELb1EfPKfS1_PfEviT7_lllT6_T8_lllPii
                                        ; -- End function
	.set _ZL19rocblas_trsv_deviceILi64ELi16ELb0ELb1ELb0ELb1EfPKfS1_PfEviT7_lllT6_T8_lllPii.num_vgpr, 90
	.set _ZL19rocblas_trsv_deviceILi64ELi16ELb0ELb1ELb0ELb1EfPKfS1_PfEviT7_lllT6_T8_lllPii.num_agpr, 0
	.set _ZL19rocblas_trsv_deviceILi64ELi16ELb0ELb1ELb0ELb1EfPKfS1_PfEviT7_lllT6_T8_lllPii.numbered_sgpr, 105
	.set _ZL19rocblas_trsv_deviceILi64ELi16ELb0ELb1ELb0ELb1EfPKfS1_PfEviT7_lllT6_T8_lllPii.num_named_barrier, 0
	.set _ZL19rocblas_trsv_deviceILi64ELi16ELb0ELb1ELb0ELb1EfPKfS1_PfEviT7_lllT6_T8_lllPii.private_seg_size, 0
	.set _ZL19rocblas_trsv_deviceILi64ELi16ELb0ELb1ELb0ELb1EfPKfS1_PfEviT7_lllT6_T8_lllPii.uses_vcc, 1
	.set _ZL19rocblas_trsv_deviceILi64ELi16ELb0ELb1ELb0ELb1EfPKfS1_PfEviT7_lllT6_T8_lllPii.uses_flat_scratch, 0
	.set _ZL19rocblas_trsv_deviceILi64ELi16ELb0ELb1ELb0ELb1EfPKfS1_PfEviT7_lllT6_T8_lllPii.has_dyn_sized_stack, 0
	.set _ZL19rocblas_trsv_deviceILi64ELi16ELb0ELb1ELb0ELb1EfPKfS1_PfEviT7_lllT6_T8_lllPii.has_recursion, 0
	.set _ZL19rocblas_trsv_deviceILi64ELi16ELb0ELb1ELb0ELb1EfPKfS1_PfEviT7_lllT6_T8_lllPii.has_indirect_call, 0
	.section	.AMDGPU.csdata,"",@progbits
; Kernel info:
; codeLenInByte = 36748
; TotalNumSgprs: 107
; NumVgprs: 90
; ScratchSize: 0
; MemoryBound: 0
; FloatMode: 240
; IeeeMode: 1
; LDSByteSize: 20740 bytes/workgroup (compile time only)
; SGPRBlocks: 0
; VGPRBlocks: 5
; NumSGPRsForWavesPerEU: 107
; NumVGPRsForWavesPerEU: 90
; NamedBarCnt: 0
; Occupancy: 10
; WaveLimiterHint : 0
; COMPUTE_PGM_RSRC2:SCRATCH_EN: 0
; COMPUTE_PGM_RSRC2:USER_SGPR: 2
; COMPUTE_PGM_RSRC2:TRAP_HANDLER: 0
; COMPUTE_PGM_RSRC2:TGID_X_EN: 1
; COMPUTE_PGM_RSRC2:TGID_Y_EN: 0
; COMPUTE_PGM_RSRC2:TGID_Z_EN: 1
; COMPUTE_PGM_RSRC2:TIDIG_COMP_CNT: 1
	.section	.text._ZL19rocblas_trsv_deviceILi64ELi16ELb0ELb1ELb1ELb1EfPKfS1_PfEviT7_lllT6_T8_lllPii,"axG",@progbits,_ZL19rocblas_trsv_deviceILi64ELi16ELb0ELb1ELb1ELb1EfPKfS1_PfEviT7_lllT6_T8_lllPii,comdat
	.globl	_ZL19rocblas_trsv_deviceILi64ELi16ELb0ELb1ELb1ELb1EfPKfS1_PfEviT7_lllT6_T8_lllPii ; -- Begin function _ZL19rocblas_trsv_deviceILi64ELi16ELb0ELb1ELb1ELb1EfPKfS1_PfEviT7_lllT6_T8_lllPii
	.p2align	8
	.type	_ZL19rocblas_trsv_deviceILi64ELi16ELb0ELb1ELb1ELb1EfPKfS1_PfEviT7_lllT6_T8_lllPii,@function
_ZL19rocblas_trsv_deviceILi64ELi16ELb0ELb1ELb1ELb1EfPKfS1_PfEviT7_lllT6_T8_lllPii: ; @_ZL19rocblas_trsv_deviceILi64ELi16ELb0ELb1ELb1ELb1EfPKfS1_PfEviT7_lllT6_T8_lllPii
; %bb.0:
	s_load_b32 s6, s[0:1], 0x58
	s_bfe_u32 s2, ttmp6, 0x40014
	s_lshr_b32 s3, ttmp7, 16
	s_add_co_i32 s2, s2, 1
	s_bfe_u32 s5, ttmp6, 0x40008
	s_mul_i32 s2, s3, s2
	s_getreg_b32 s4, hwreg(HW_REG_IB_STS2, 6, 4)
	s_add_co_i32 s5, s5, s2
	s_cmp_eq_u32 s4, 0
	s_mov_b32 s81, 0
	s_cselect_b32 s80, s3, s5
                                        ; implicit-def: $vgpr89 : SGPR spill to VGPR lane
	s_wait_kmcnt 0x0
	s_cmp_ge_u32 s80, s6
	v_writelane_b32 v89, s6, 0
	s_cbranch_scc1 .LBB3_1225
; %bb.1:
	s_clause 0x2
	s_load_b512 s[60:75], s[0:1], 0x8
	s_load_b32 s2, s[0:1], 0x6c
	s_load_b32 s87, s[0:1], 0x0
	s_bfe_u32 s5, ttmp6, 0x4000c
	s_and_b32 s3, ttmp6, 15
	s_add_co_i32 s5, s5, 1
	v_and_b32_e32 v4, 0x3ff, v0
	s_mul_i32 s5, ttmp9, s5
	v_bfe_u32 v6, v0, 10, 10
	s_add_co_i32 s3, s3, s5
	s_delay_alu instid0(VALU_DEP_2) | instskip(NEXT) | instid1(VALU_DEP_2)
	v_dual_mov_b32 v3, 0 :: v_dual_lshlrev_b32 v1, 6, v4
	v_dual_add_nc_u32 v26, 16, v6 :: v_dual_bitop2_b32 v14, 1, v0 bitop3:0x40
	v_lshl_add_u32 v32, v6, 6, v4
	s_delay_alu instid0(VALU_DEP_3) | instskip(SKIP_1) | instid1(VALU_DEP_4)
	v_dual_mov_b32 v9, v3 :: v_dual_add_nc_u32 v2, v6, v1
	v_cmp_gt_u32_e64 s6, 2, v4
	v_lshl_add_u32 v11, v26, 6, v4
	v_dual_add_nc_u32 v30, 32, v6 :: v_dual_bitop2_b32 v22, 7, v0 bitop3:0x40
	s_wait_kmcnt 0x0
	s_lshl_b64 s[14:15], s[62:63], 2
	s_lshl_b64 s[16:17], s[72:73], 2
	s_cmp_eq_u32 s4, 0
	v_cmp_ne_u32_e64 s9, 7, v22
	s_cselect_b32 s63, ttmp9, s3
	s_add_co_i32 s3, s87, -1
	s_ashr_i32 s4, s87, 31
	s_ashr_i32 s5, s3, 31
	s_lshr_b32 s4, s4, 26
	s_lshr_b32 s5, s5, 26
	s_add_co_i32 s4, s87, s4
	s_add_co_i32 s3, s3, s5
	s_and_not1_b32 s4, s4, 63
	s_ashr_i32 s3, s3, 6
	s_and_b32 s2, s2, 0xffff
	s_sub_co_i32 s13, s87, s4
	s_cmp_eq_u32 s3, s63
	v_mad_u32_u24 v8, v6, s2, v4
	s_cselect_b32 s2, -1, 0
	s_cmp_lg_u32 s13, 0
	v_sub_co_u32 v5, s3, s63, 1
	s_cselect_b32 s4, -1, 0
	s_xor_b32 s3, s3, -1
	s_and_b32 s48, s4, s2
	s_lshl_b32 s18, s63, 6
	s_xor_b32 s89, s48, -1
	s_cmp_lt_i32 s63, 5
	v_writelane_b32 v89, s3, 1
	s_cselect_b32 vcc_lo, -1, 0
	v_dual_cndmask_b32 v21, v32, v2 :: v_dual_add_nc_u32 v10, v26, v1
	s_add_nc_u64 s[2:3], s[64:65], 1
	s_ashr_i32 s19, s18, 31
	s_or_b32 vcc_lo, vcc_lo, s48
	s_mul_u64 s[20:21], s[2:3], s[18:19]
	v_dual_cndmask_b32 v20, v11, v10, vcc_lo :: v_dual_bitop2_b32 v15, 3, v0 bitop3:0x40
	v_cmp_gt_u32_e64 s2, 4, v32
	v_cmp_eq_u32_e64 s4, 1, v14
	v_cmp_eq_u32_e64 s5, 0, v14
	;; [unrolled: 1-line block ×4, first 2 shown]
	v_dual_add_nc_u32 v28, 48, v6 :: v_dual_bitop2_b32 v23, 15, v0 bitop3:0x40
	s_and_b32 s91, s4, s2
	s_and_b32 s92, s5, s2
	v_cmp_gt_u32_e64 s4, 16, v32
	v_cmp_eq_u32_e64 s5, 3, v15
	s_and_b32 s93, s3, s6
	v_cmp_ne_u32_e64 s6, 3, v15
	v_cmp_gt_u32_e64 s8, 2, v15
	s_and_b32 s96, s7, s4
	s_and_b32 s94, s5, s4
	v_cmp_eq_u32_e64 s5, 1, v15
	s_and_b32 s95, s6, s4
	v_cmp_eq_u32_e64 s6, 0, v15
	v_cmp_gt_u32_e64 s7, 4, v4
	s_and_b32 s97, s8, s4
	s_and_b32 s98, s5, s4
	v_cmp_gt_u32_e64 s5, 64, v32
	s_and_b32 s99, s6, s4
	v_cmp_eq_u32_e64 s6, 6, v22
	s_and_b32 s100, s3, s7
	v_cmp_gt_u32_e64 s7, 6, v22
	s_and_b32 s102, s9, s5
	v_cmp_eq_u32_e64 s9, 4, v22
	s_and_b32 s103, s6, s5
	v_cmp_eq_u32_e64 s6, 5, v22
	s_and_b32 s104, s7, s5
	v_cmp_gt_u32_e64 s7, 4, v22
	s_and_b32 s35, s9, s5
	v_cmp_gt_u32_e64 s9, 2, v22
	s_and_b32 vcc_hi, s6, s5
	v_cmp_eq_u32_e64 s6, 3, v22
	s_and_b32 s36, s7, s5
	v_cmp_gt_u32_e64 s7, 3, v22
	s_and_b32 s40, s9, s5
	v_cmp_eq_u32_e64 s9, 15, v23
	s_and_b32 s37, s6, s5
	v_cmp_eq_u32_e64 s6, 1, v22
	;; [unrolled: 2-line block ×3, first 2 shown]
	v_cmp_eq_u32_e64 s8, 7, v22
	v_cmp_ne_u32_e64 s10, 15, v23
	s_and_b32 s41, s6, s5
	v_cmp_gt_u32_e64 s6, 0x100, v32
	s_and_b32 s42, s7, s5
	s_and_b32 s101, s8, s5
	v_cmp_gt_u32_e64 s8, 5, v22
	v_cmp_eq_u32_e64 s11, 14, v23
	s_and_b32 s7, s9, s6
	v_cmp_gt_u32_e64 s9, 13, v23
	v_writelane_b32 v89, s7, 2
	s_and_b32 s7, s10, s6
	s_and_b32 s34, s8, s5
	v_cmp_eq_u32_e64 s8, 2, v22
	v_cmp_eq_u32_e64 s10, 12, v23
	v_writelane_b32 v89, s7, 3
	s_and_b32 s7, s11, s6
	v_cmp_gt_u32_e64 s11, 12, v23
	s_and_b32 s39, s8, s5
	v_cmp_gt_u32_e64 s8, 8, v4
	v_writelane_b32 v89, s7, 4
	v_cmp_gt_u32_e64 s7, 14, v23
	s_and_b32 s51, s11, s6
	v_cmp_eq_u32_e64 s11, 9, v23
	s_and_b32 s43, s3, s8
	v_cmp_eq_u32_e64 s8, 13, v23
	s_and_b32 s7, s7, s6
	v_dual_add_nc_u32 v10, v30, v1 :: v_dual_bitop2_b32 v24, 31, v0 bitop3:0x40
	v_writelane_b32 v89, s7, 5
	s_and_b32 s7, s8, s6
	v_cmp_gt_u32_e64 s8, 11, v23
	s_and_b32 s56, s11, s6
	v_cmp_gt_u32_e64 s11, 7, v23
	v_writelane_b32 v89, s7, 6
	s_and_b32 s7, s9, s6
	s_and_b32 s53, s8, s6
	v_cmp_eq_u32_e64 s8, 8, v23
	s_and_b32 s30, s11, s6
	v_writelane_b32 v89, s7, 7
	v_cmp_eq_u32_e64 s7, 11, v23
	v_cmp_eq_u32_e64 s11, 4, v23
	s_and_b32 s24, s8, s6
	v_cmp_gt_u32_e64 s8, 6, v23
	v_cmp_eq_u32_e64 s9, 10, v23
	s_and_b32 s52, s7, s6
	v_cmp_gt_u32_e64 s7, 9, v23
	s_and_b32 s25, s11, s6
	s_and_b32 s59, s8, s6
	v_cmp_eq_u32_e64 s8, 3, v23
	v_cmp_gt_u32_e64 s11, 2, v23
	s_and_b32 s22, s7, s6
	v_cmp_eq_u32_e64 s7, 6, v23
	s_and_b32 s50, s10, s6
	v_cmp_gt_u32_e64 s10, 10, v23
	s_and_b32 s54, s9, s6
	v_cmp_gt_u32_e64 s9, 8, v23
	s_and_b32 s33, s7, s6
	v_cmp_gt_u32_e64 s7, 4, v23
	s_and_b32 s29, s8, s6
	s_and_b32 s86, s11, s6
	v_cmp_eq_u32_e64 s8, 1, v23
	v_cmp_eq_u32_e64 s11, 31, v24
	s_and_b32 s27, s7, s6
	v_cmp_gt_u32_e64 s7, 0x400, v32
	s_and_b32 s55, s10, s6
	v_cmp_eq_u32_e64 s10, 7, v23
	s_and_b32 s26, s9, s6
	v_cmp_eq_u32_e64 s9, 5, v23
	v_cmp_ne_u32_e64 s12, 31, v24
	s_and_b32 s44, s8, s6
	s_and_b32 s8, s11, s7
	s_and_b32 s28, s10, s6
	v_cmp_gt_u32_e64 s10, 5, v23
	s_and_b32 s62, s9, s6
	v_cmp_gt_u32_e64 s9, 3, v23
	v_writelane_b32 v89, s8, 8
	s_and_b32 s8, s12, s7
	s_and_b32 s23, s10, s6
	v_cmp_eq_u32_e64 s10, 2, v23
	s_and_b32 s31, s9, s6
	v_cmp_eq_u32_e64 s9, 0, v23
	v_writelane_b32 v89, s8, 9
	v_cmp_eq_u32_e64 s8, 30, v24
	s_and_b32 s88, s10, s6
	v_cmp_gt_u32_e64 s10, 16, v4
	s_and_b32 s45, s9, s6
	v_cmp_gt_u32_e64 s9, 30, v24
	s_and_b32 s8, s8, s7
	v_dual_add_nc_u32 v2, s18, v8 :: v_dual_add_nc_u32 v1, v28, v1
	v_writelane_b32 v89, s8, 10
	s_and_b32 s46, s3, s10
	v_cmp_eq_u32_e64 s10, 29, v24
	s_and_b32 s8, s9, s7
	v_lshl_add_u32 v11, v30, 6, v4
	v_lshl_add_u32 v12, v28, 6, v4
	v_writelane_b32 v89, s8, 11
	v_cmp_gt_u32_e64 s11, 29, v24
	s_and_b32 s8, s10, s7
	s_xor_b32 s90, vcc_lo, -1
	v_dual_cndmask_b32 v25, v11, v10, vcc_lo :: v_dual_cndmask_b32 v33, v12, v1, vcc_lo
	v_cmp_eq_u32_e32 vcc_lo, 28, v24
	v_writelane_b32 v89, s8, 12
	s_and_b32 s8, s11, s7
                                        ; implicit-def: $vgpr88 : SGPR spill to VGPR lane
                                        ; implicit-def: $vgpr87 : SGPR spill to VGPR lane
	v_dual_add_nc_u32 v18, s18, v4 :: v_dual_add_nc_u32 v7, s18, v6
	v_lshrrev_b32_e32 v1, 10, v0
	v_writelane_b32 v89, s8, 13
	s_and_b32 s8, vcc_lo, s7
	v_cmp_gt_u32_e32 vcc_lo, 28, v24
	v_subrev_nc_u32_e32 v10, 64, v7
	v_dual_lshrrev_b32 v27, 1, v32 :: v_dual_lshlrev_b32 v43, 2, v14
	v_writelane_b32 v89, s8, 14
	s_and_b32 s8, vcc_lo, s7
	v_cmp_eq_u32_e32 vcc_lo, 27, v24
	v_ashrrev_i32_e32 v11, 31, v10
	v_bitop3_b32 v82, v0, v1, 0x3ff bitop3:0xa8
	v_writelane_b32 v89, s8, 15
	v_dual_lshlrev_b32 v0, 8, v27 :: v_dual_lshlrev_b32 v1, 6, v32
	s_and_b32 s8, vcc_lo, s7
	v_cmp_gt_u32_e32 vcc_lo, 27, v24
	v_writelane_b32 v89, s8, 16
	v_dual_lshlrev_b32 v48, 2, v15 :: v_dual_bitop2_b32 v14, -4, v32 bitop3:0x40
	v_dual_sub_nc_u32 v44, 0, v0 :: v_dual_sub_nc_u32 v46, v43, v0
	s_and_b32 s8, vcc_lo, s7
	v_cmp_eq_u32_e32 vcc_lo, 26, v24
	v_writelane_b32 v89, s8, 17
	v_and_b32_e32 v0, 0xffffff00, v1
	v_dual_lshrrev_b32 v1, 3, v32 :: v_dual_lshlrev_b32 v53, 2, v22
	s_and_b32 s8, vcc_lo, s7
	v_cmp_gt_u32_e32 vcc_lo, 26, v24
	v_writelane_b32 v89, s8, 18
	v_add_nc_u32_e32 v47, 0x4000, v14
	v_dual_sub_nc_u32 v50, 0, v0 :: v_dual_sub_nc_u32 v51, v48, v0
	s_and_b32 s8, vcc_lo, s7
	v_cmp_eq_u32_e32 vcc_lo, 25, v24
	v_writelane_b32 v89, s8, 19
	v_dual_lshlrev_b32 v0, 8, v1 :: v_dual_lshrrev_b32 v14, 4, v32
	v_lshl_add_u32 v54, v1, 2, 0x4000
	s_and_b32 s8, vcc_lo, s7
	v_cmp_gt_u32_e32 vcc_lo, 25, v24
	v_writelane_b32 v89, s8, 20
	v_dual_sub_nc_u32 v56, 0, v0 :: v_dual_sub_nc_u32 v57, v53, v0
	v_dual_lshlrev_b32 v0, 8, v14 :: v_dual_lshrrev_b32 v1, 5, v32
	s_and_b32 s8, vcc_lo, s7
	v_cmp_eq_u32_e32 vcc_lo, 24, v24
	v_writelane_b32 v89, s8, 21
	v_add_nc_u64_e32 v[16:17], s[18:19], v[8:9]
	v_dual_lshlrev_b32 v59, 2, v23 :: v_dual_sub_nc_u32 v61, 0, v0
	s_and_b32 s8, vcc_lo, s7
	v_cmp_gt_u32_e32 vcc_lo, 24, v24
	v_writelane_b32 v89, s8, 22
	v_lshl_add_u32 v60, v14, 2, 0x4000
	v_dual_lshlrev_b32 v14, 8, v1 :: v_dual_lshlrev_b32 v62, 2, v24
	s_and_b32 s8, vcc_lo, s7
	v_cmp_eq_u32_e32 vcc_lo, 23, v24
	v_writelane_b32 v89, s8, 23
	v_dual_lshlrev_b32 v9, 2, v4 :: v_dual_ashrrev_i32 v19, 31, v18
	v_dual_sub_nc_u32 v63, v59, v0 :: v_dual_lshlrev_b32 v76, 2, v6
	s_and_b32 s8, vcc_lo, s7
	v_cmp_gt_u32_e32 vcc_lo, 23, v24
	v_writelane_b32 v89, s8, 24
	v_dual_sub_nc_u32 v65, 0, v14 :: v_dual_sub_nc_u32 v66, v62, v14
	v_mul_u64_e32 v[14:15], s[74:75], v[2:3]
	s_and_b32 s8, vcc_lo, s7
	v_cmp_eq_u32_e32 vcc_lo, 22, v24
	v_writelane_b32 v89, s8, 25
	v_subrev_nc_u32_e32 v2, 48, v7
	v_mul_u64_e32 v[12:13], s[64:65], v[18:19]
	v_lshl_add_u32 v64, v1, 2, 0x4000
	s_and_b32 s8, vcc_lo, s7
	v_cmp_gt_u32_e32 vcc_lo, 22, v24
	v_writelane_b32 v89, s8, 26
	v_mul_u64_e32 v[0:1], s[74:75], v[18:19]
	v_or_b32_e32 v67, 0x5000, v76
	v_cmp_gt_u32_e64 s57, 0xf0, v32
	s_and_b32 s8, vcc_lo, s7
	v_cmp_eq_u32_e32 vcc_lo, 21, v24
	v_writelane_b32 v89, s8, 27
	v_add_nc_u32_e32 v72, v67, v9
                                        ; implicit-def: $vgpr86 : SGPR spill to VGPR lane
	v_mad_u32_u24 v34, 0xfc, v4, v9
	v_add_nc_u32_e32 v70, 0x4000, v9
	s_and_b32 s8, vcc_lo, s7
	v_cmp_gt_u32_e32 vcc_lo, 21, v24
	v_writelane_b32 v89, s8, 28
	v_mad_i32_i24 v35, 0xffffff04, v4, v34
	v_lshl_add_u32 v41, v27, 2, 0x4000
	v_dual_lshlrev_b32 v73, 2, v21 :: v_dual_mov_b32 v27, v3
	s_and_b32 s8, vcc_lo, s7
	v_cmp_eq_u32_e32 vcc_lo, 20, v24
	v_writelane_b32 v89, s8, 29
	v_mad_u32_u24 v36, 0xfc, v4, v35
	v_mul_u64_e32 v[16:17], s[74:75], v[16:17]
	v_dual_lshlrev_b32 v74, 2, v25 :: v_dual_bitop2_b32 v83, v30, v4 bitop3:0x54
	s_and_b32 s8, vcc_lo, s7
	v_cmp_gt_u32_e32 vcc_lo, 20, v24
	v_writelane_b32 v89, s8, 30
	v_mad_i32_i24 v37, 0xffffff04, v4, v36
	v_mul_i32_i24_e32 v77, 0xffffff04, v4
	s_add_nc_u64 s[72:73], s[60:61], s[14:15]
	s_and_b32 s8, vcc_lo, s7
	v_cmp_eq_u32_e32 vcc_lo, 19, v24
	v_writelane_b32 v89, s8, 31
	v_mad_u32_u24 v38, 0xfc, v4, v37
	v_cmp_gt_u32_e64 s60, 64, v82
	s_load_b128 s[76:79], s[0:1], 0x48
	s_and_b32 s8, vcc_lo, s7
	v_cmp_gt_u32_e32 vcc_lo, 19, v24
	v_writelane_b32 v88, s8, 0
	v_mad_i32_i24 v39, 0xffffff04, v4, v38
	s_add_nc_u64 s[70:71], s[70:71], s[16:17]
	v_lshl_add_u32 v68, v8, 2, 0x5000
	s_and_b32 s8, vcc_lo, s7
	v_cmp_eq_u32_e32 vcc_lo, 18, v24
	v_writelane_b32 v88, s8, 1
	v_mad_u32_u24 v40, 0xfc, v4, v39
	v_lshl_add_u32 v69, v32, 2, 0x4000
	v_cmp_gt_u32_e64 s14, 2, v32
	s_and_b32 s8, vcc_lo, s7
	v_cmp_gt_u32_e32 vcc_lo, 18, v24
	v_writelane_b32 v88, s8, 2
	v_mad_i32_i24 v42, 0xffffff04, v4, v40
	v_cmp_gt_u32_e64 s15, 12, v32
	v_cmp_gt_u32_e64 s16, 8, v32
	s_and_b32 s8, vcc_lo, s7
	v_cmp_eq_u32_e32 vcc_lo, 17, v24
	v_writelane_b32 v88, s8, 3
	v_mad_u32_u24 v45, 0xfc, v4, v42
	v_cmp_gt_u32_e64 s17, 56, v32
	v_cmp_gt_u32_e64 s19, 40, v32
	s_and_b32 s8, vcc_lo, s7
	v_cmp_gt_u32_e32 vcc_lo, 17, v24
	v_writelane_b32 v88, s8, 4
	v_mad_i32_i24 v49, 0xffffff04, v4, v45
	v_cmp_gt_u32_e64 s58, 64, v8
                                        ; implicit-def: $vgpr78
                                        ; implicit-def: $vgpr79
                                        ; implicit-def: $vgpr80
                                        ; implicit-def: $vgpr81
	v_mov_b32_e32 v29, v3
	s_and_b32 s8, vcc_lo, s7
	v_cmp_eq_u32_e32 vcc_lo, 16, v24
	v_writelane_b32 v88, s8, 5
	v_mad_u32_u24 v52, 0xfc, v4, v49
	v_lshl_add_u32 v71, v6, 8, v49
	v_mov_b32_e32 v31, v3
	s_and_b32 s8, vcc_lo, s7
	v_cmp_gt_u32_e32 vcc_lo, 16, v24
	v_writelane_b32 v88, s8, 6
	v_mad_i32_i24 v55, 0xffffff04, v4, v52
	v_mul_u64_e32 v[22:23], s[64:65], v[30:31]
	v_dual_lshlrev_b32 v75, 2, v33 :: v_dual_bitop2_b32 v31, v28, v4 bitop3:0x54
	s_and_b32 s8, vcc_lo, s7
	v_cmp_eq_u32_e32 vcc_lo, 15, v24
	v_writelane_b32 v88, s8, 7
	v_mad_u32_u24 v58, 0xfc, v4, v55
	s_and_b32 s8, vcc_lo, s7
	v_cmp_gt_u32_e32 vcc_lo, 15, v24
	v_writelane_b32 v88, s8, 8
	s_delay_alu instid0(VALU_DEP_3)
	v_add_nc_u32_e32 v76, v58, v76
	s_and_b32 s8, vcc_lo, s7
	v_cmp_eq_u32_e32 vcc_lo, 14, v24
	v_writelane_b32 v88, s8, 9
	s_and_b32 s8, vcc_lo, s7
	v_cmp_gt_u32_e32 vcc_lo, 14, v24
	v_writelane_b32 v88, s8, 10
	s_and_b32 s8, vcc_lo, s7
	v_cmp_eq_u32_e32 vcc_lo, 13, v24
	v_writelane_b32 v88, s8, 11
	s_and_b32 s8, vcc_lo, s7
	v_cmp_gt_u32_e32 vcc_lo, 13, v24
	v_writelane_b32 v88, s8, 12
	;; [unrolled: 6-line block ×13, first 2 shown]
	s_and_b32 s8, vcc_lo, s7
	v_cmp_eq_u32_e32 vcc_lo, 1, v24
	v_writelane_b32 v87, s8, 3
	s_and_b32 s8, vcc_lo, s7
	v_cmp_eq_u32_e32 vcc_lo, 0, v24
	v_writelane_b32 v87, s8, 4
	v_cmp_gt_u32_e64 s8, 32, v4
	v_mul_u64_e32 v[24:25], s[64:65], v[28:29]
	s_and_b32 s47, vcc_lo, s7
	v_cmp_le_i32_e32 vcc_lo, s13, v4
	s_and_b32 s8, s3, s8
	s_delay_alu instid0(SALU_CYCLE_1) | instskip(SKIP_1) | instid1(SALU_CYCLE_1)
	v_writelane_b32 v87, s8, 5
	s_and_b32 s9, vcc_lo, s48
	s_xor_b32 s8, s9, -1
	v_writelane_b32 v87, s9, 6
	s_and_b32 s48, s3, s8
	v_cmp_le_i32_e64 s8, s13, v6
	s_cmp_gt_i32 s63, 0
	s_cselect_b32 s49, -1, 0
	s_or_b32 s10, s8, vcc_lo
	v_cmp_le_i32_e64 s8, s13, v26
	s_or_b32 s11, s8, vcc_lo
	v_cmp_le_i32_e64 s8, s13, v30
	;; [unrolled: 2-line block ×3, first 2 shown]
	s_or_b32 s18, s8, vcc_lo
	v_cmp_gt_i32_e32 vcc_lo, s13, v4
	s_and_b32 s8, s3, vcc_lo
	v_cmp_gt_i32_e32 vcc_lo, s87, v10
	v_writelane_b32 v87, s8, 7
	v_cmp_gt_i32_e64 s8, s87, v18
	v_subrev_nc_u32_e32 v18, 32, v7
	s_and_b32 s9, vcc_lo, s8
	v_cmp_gt_i32_e32 vcc_lo, s87, v2
	v_writelane_b32 v87, s9, 8
	v_dual_mov_b32 v7, v3 :: v_dual_add_nc_u32 v2, -16, v7
	s_and_b32 s9, vcc_lo, s8
	v_cmp_gt_i32_e32 vcc_lo, s87, v18
	v_writelane_b32 v87, s9, 9
	s_delay_alu instid0(VALU_DEP_3)
	v_mul_u64_e32 v[18:19], s[64:65], v[6:7]
	v_lshlrev_b32_e32 v7, 2, v20
	v_mul_u64_e32 v[20:21], s[64:65], v[26:27]
	s_and_b32 s9, vcc_lo, s8
	v_cmp_gt_i32_e32 vcc_lo, s87, v2
	v_writelane_b32 v87, s9, 10
	v_or_b32_e32 v2, v26, v4
	s_lshl_b64 s[64:65], s[20:21], 2
	v_cmp_gt_u32_e64 s20, 32, v32
	s_and_b32 s9, vcc_lo, s8
	v_cmp_gt_u32_e64 s21, 24, v32
	v_writelane_b32 v87, s9, 11
	v_cmp_ge_u32_e64 s9, v4, v6
	s_or_b32 s10, s10, s9
	s_delay_alu instid0(SALU_CYCLE_1) | instskip(SKIP_3) | instid1(VALU_DEP_1)
	v_writelane_b32 v87, s10, 12
	v_cmp_ge_u32_e64 s10, v4, v26
	v_mad_u32_u24 v26, 0xfc, v4, v77
	s_or_b32 s11, s11, s10
	v_mad_u32 v77, v26, 7, v9
	v_writelane_b32 v87, s11, 13
	v_cmp_ge_u32_e64 s11, v4, v30
	v_lshlrev_b32_e32 v26, 2, v4
	s_or_b32 s12, s12, s11
	s_delay_alu instid0(SALU_CYCLE_1)
	v_writelane_b32 v87, s12, 14
	v_cmp_ge_u32_e64 s12, v4, v28
	v_mov_b32_e32 v28, 1.0
	s_or_b32 s13, s18, s12
	v_cmp_gt_u32_e64 s18, 48, v32
	v_writelane_b32 v87, s13, 15
	v_cmp_eq_u32_e64 s13, 0, v82
	v_writelane_b32 v87, s57, 16
	v_cmp_gt_u32_e64 s57, 0xe0, v32
	s_delay_alu instid0(VALU_DEP_1) | instskip(SKIP_1) | instid1(VALU_DEP_1)
	v_writelane_b32 v87, s57, 17
	v_cmp_gt_u32_e64 s57, 0xd0, v32
	v_writelane_b32 v87, s57, 18
	v_cmp_gt_u32_e64 s57, 0xc0, v32
	s_delay_alu instid0(VALU_DEP_1) | instskip(SKIP_1) | instid1(VALU_DEP_1)
	v_writelane_b32 v87, s57, 19
	v_cmp_gt_u32_e64 s57, 0xb0, v32
	;; [unrolled: 5-line block ×16, first 2 shown]
	v_writelane_b32 v86, s57, 16
	v_cmp_gt_u32_e64 s57, 0x120, v32
	s_delay_alu instid0(VALU_DEP_1) | instskip(SKIP_3) | instid1(VALU_DEP_1)
	v_writelane_b32 v86, s57, 17
	v_cmp_eq_u32_e64 s57, 0, v8
	v_writelane_b32 v86, s60, 18
	v_cmp_gt_u32_e64 s60, 64, v2
	v_writelane_b32 v86, s60, 19
	v_cmp_gt_u32_e64 s60, 64, v83
	s_delay_alu instid0(VALU_DEP_1) | instskip(SKIP_1) | instid1(VALU_DEP_1)
	v_writelane_b32 v86, s60, 20
	v_cmp_gt_u32_e64 s60, 64, v31
	v_writelane_b32 v86, s60, 21
	s_branch .LBB3_3
.LBB3_2:                                ;   in Loop: Header=BB3_3 Depth=1
	s_wait_xcnt 0x0
	s_or_b32 exec_lo, exec_lo, s0
	v_readlane_b32 s0, v89, 0
	s_add_co_i32 s80, s80, 0x10000
	global_wb scope:SCOPE_DEV
	s_wait_storecnt 0x0
	global_inv scope:SCOPE_DEV
	s_cmp_lt_u32 s80, s0
	s_cbranch_scc0 .LBB3_1225
.LBB3_3:                                ; =>This Loop Header: Depth=1
                                        ;     Child Loop BB3_1094 Depth 2
                                        ;       Child Loop BB3_1096 Depth 3
                                        ;     Child Loop BB3_1131 Depth 2
	global_load_b32 v2, v3, s[68:69]
	s_mul_u64 s[0:1], s[66:67], s[80:81]
	v_readlane_b32 s60, v89, 1
	s_lshl_b64 s[0:1], s[0:1], 2
	s_delay_alu instid0(SALU_CYCLE_1) | instskip(NEXT) | instid1(SALU_CYCLE_1)
	s_add_nc_u64 s[0:1], s[72:73], s[0:1]
	v_lshl_add_u64 v[30:31], v[12:13], 2, s[0:1]
	s_and_not1_b32 vcc_lo, exec_lo, s60
	s_cbranch_vccnz .LBB3_13
; %bb.4:                                ;   in Loop: Header=BB3_3 Depth=1
	s_delay_alu instid0(VALU_DEP_1)
	v_lshl_add_u64 v[32:33], v[10:11], 2, v[30:31]
	v_dual_mov_b32 v79, 0 :: v_dual_mov_b32 v78, 0
	s_wait_loadcnt 0x0
	s_barrier_signal -1
	s_barrier_wait -1
	s_wait_xcnt 0x0
	s_mov_b32 s60, exec_lo
	v_readlane_b32 s61, v87, 8
	s_and_b32 s61, s60, s61
	s_delay_alu instid0(SALU_CYCLE_1)
	s_mov_b32 exec_lo, s61
	s_cbranch_execz .LBB3_6
; %bb.5:                                ;   in Loop: Header=BB3_3 Depth=1
	global_load_b32 v78, v[32:33], off
.LBB3_6:                                ;   in Loop: Header=BB3_3 Depth=1
	s_wait_xcnt 0x0
	s_or_b32 exec_lo, exec_lo, s60
	s_wait_loadcnt 0x0
	s_barrier_signal -1
	s_barrier_wait -1
	s_mov_b32 s60, exec_lo
	v_readlane_b32 s61, v87, 9
	s_and_b32 s61, s60, s61
	s_delay_alu instid0(SALU_CYCLE_1)
	s_mov_b32 exec_lo, s61
	s_cbranch_execz .LBB3_8
; %bb.7:                                ;   in Loop: Header=BB3_3 Depth=1
	global_load_b32 v79, v[32:33], off offset:64
.LBB3_8:                                ;   in Loop: Header=BB3_3 Depth=1
	s_wait_xcnt 0x0
	s_or_b32 exec_lo, exec_lo, s60
	v_dual_mov_b32 v81, 0 :: v_dual_mov_b32 v80, 0
	s_wait_loadcnt 0x0
	s_barrier_signal -1
	s_barrier_wait -1
	s_mov_b32 s60, exec_lo
	v_readlane_b32 s61, v87, 10
	s_and_b32 s61, s60, s61
	s_delay_alu instid0(SALU_CYCLE_1)
	s_mov_b32 exec_lo, s61
	s_cbranch_execz .LBB3_10
; %bb.9:                                ;   in Loop: Header=BB3_3 Depth=1
	global_load_b32 v80, v[32:33], off offset:128
.LBB3_10:                               ;   in Loop: Header=BB3_3 Depth=1
	s_wait_xcnt 0x0
	s_or_b32 exec_lo, exec_lo, s60
	s_wait_loadcnt 0x0
	s_barrier_signal -1
	s_barrier_wait -1
	s_mov_b32 s60, exec_lo
	v_readlane_b32 s61, v87, 11
	s_and_b32 s61, s60, s61
	s_delay_alu instid0(SALU_CYCLE_1)
	s_mov_b32 exec_lo, s61
	s_cbranch_execz .LBB3_12
; %bb.11:                               ;   in Loop: Header=BB3_3 Depth=1
	global_load_b32 v81, v[32:33], off offset:192
.LBB3_12:                               ;   in Loop: Header=BB3_3 Depth=1
	s_wait_xcnt 0x0
	s_or_b32 exec_lo, exec_lo, s60
.LBB3_13:                               ;   in Loop: Header=BB3_3 Depth=1
	s_add_nc_u64 s[0:1], s[0:1], s[64:65]
	s_and_not1_b32 vcc_lo, exec_lo, s89
	v_add_nc_u64_e32 v[32:33], s[0:1], v[26:27]
	s_mov_b32 s0, -1
	s_cbranch_vccnz .LBB3_24
; %bb.14:                               ;   in Loop: Header=BB3_3 Depth=1
	s_wait_xcnt 0x0
	s_and_saveexec_b32 s0, s9
	s_delay_alu instid0(SALU_CYCLE_1)
	s_xor_b32 s0, exec_lo, s0
	s_cbranch_execnz .LBB3_1152
; %bb.15:                               ;   in Loop: Header=BB3_3 Depth=1
	s_and_not1_saveexec_b32 s0, s0
	s_cbranch_execnz .LBB3_1155
.LBB3_16:                               ;   in Loop: Header=BB3_3 Depth=1
	s_or_b32 exec_lo, exec_lo, s0
	s_and_saveexec_b32 s0, s10
	s_delay_alu instid0(SALU_CYCLE_1)
	s_xor_b32 s0, exec_lo, s0
	s_cbranch_execnz .LBB3_1156
.LBB3_17:                               ;   in Loop: Header=BB3_3 Depth=1
	s_and_not1_saveexec_b32 s0, s0
	s_cbranch_execnz .LBB3_1159
.LBB3_18:                               ;   in Loop: Header=BB3_3 Depth=1
	s_or_b32 exec_lo, exec_lo, s0
	s_and_saveexec_b32 s0, s11
	s_delay_alu instid0(SALU_CYCLE_1)
	s_xor_b32 s0, exec_lo, s0
	s_cbranch_execnz .LBB3_1160
.LBB3_19:                               ;   in Loop: Header=BB3_3 Depth=1
	s_and_not1_saveexec_b32 s0, s0
	s_cbranch_execnz .LBB3_1163
.LBB3_20:                               ;   in Loop: Header=BB3_3 Depth=1
	s_or_b32 exec_lo, exec_lo, s0
	s_and_saveexec_b32 s0, s12
	s_delay_alu instid0(SALU_CYCLE_1)
	s_xor_b32 s0, exec_lo, s0
	s_cbranch_execnz .LBB3_1164
.LBB3_21:                               ;   in Loop: Header=BB3_3 Depth=1
	s_and_not1_saveexec_b32 s0, s0
	s_cbranch_execz .LBB3_23
.LBB3_22:                               ;   in Loop: Header=BB3_3 Depth=1
	v_lshl_add_u64 v[82:83], v[24:25], 2, v[32:33]
	global_load_b32 v29, v[82:83], off
	s_wait_loadcnt 0x0
	v_xor_b32_e32 v29, 0x80000000, v29
	ds_store_b32 v75, v29
.LBB3_23:                               ;   in Loop: Header=BB3_3 Depth=1
	s_or_b32 exec_lo, exec_lo, s0
	s_mov_b32 s0, 0
.LBB3_24:                               ;   in Loop: Header=BB3_3 Depth=1
	s_delay_alu instid0(SALU_CYCLE_1)
	s_and_b32 vcc_lo, exec_lo, s0
	s_cbranch_vccz .LBB3_50
; %bb.25:                               ;   in Loop: Header=BB3_3 Depth=1
	s_wait_xcnt 0x0
	s_mov_b32 s0, exec_lo
	v_readlane_b32 s1, v87, 12
	s_and_b32 s1, s0, s1
	s_delay_alu instid0(SALU_CYCLE_1)
	s_xor_b32 s0, s1, s0
	s_mov_b32 exec_lo, s1
	s_cbranch_execz .LBB3_29
; %bb.26:                               ;   in Loop: Header=BB3_3 Depth=1
	s_mov_b32 s1, exec_lo
	v_readlane_b32 s60, v86, 18
	s_and_b32 s60, s1, s60
	s_delay_alu instid0(SALU_CYCLE_1)
	s_mov_b32 exec_lo, s60
; %bb.27:                               ;   in Loop: Header=BB3_3 Depth=1
	ds_store_b32 v76, v3
; %bb.28:                               ;   in Loop: Header=BB3_3 Depth=1
	s_or_b32 exec_lo, exec_lo, s1
.LBB3_29:                               ;   in Loop: Header=BB3_3 Depth=1
	s_and_not1_saveexec_b32 s0, s0
	s_cbranch_execz .LBB3_31
; %bb.30:                               ;   in Loop: Header=BB3_3 Depth=1
	v_lshl_add_u64 v[82:83], v[18:19], 2, v[32:33]
	global_load_b32 v29, v[82:83], off
	s_wait_loadcnt 0x0
	v_xor_b32_e32 v29, 0x80000000, v29
	ds_store_b32 v76, v29
.LBB3_31:                               ;   in Loop: Header=BB3_3 Depth=1
	s_or_b32 exec_lo, exec_lo, s0
	s_delay_alu instid0(SALU_CYCLE_1) | instskip(SKIP_2) | instid1(SALU_CYCLE_1)
	s_mov_b32 s0, exec_lo
	v_readlane_b32 s1, v87, 13
	s_and_b32 s1, s0, s1
	s_xor_b32 s0, s1, s0
	s_mov_b32 exec_lo, s1
	s_cbranch_execz .LBB3_35
; %bb.32:                               ;   in Loop: Header=BB3_3 Depth=1
	s_mov_b32 s1, exec_lo
	v_readlane_b32 s60, v86, 19
	s_and_b32 s60, s1, s60
	s_delay_alu instid0(SALU_CYCLE_1)
	s_mov_b32 exec_lo, s60
; %bb.33:                               ;   in Loop: Header=BB3_3 Depth=1
	ds_store_b32 v7, v3
; %bb.34:                               ;   in Loop: Header=BB3_3 Depth=1
	s_or_b32 exec_lo, exec_lo, s1
.LBB3_35:                               ;   in Loop: Header=BB3_3 Depth=1
	s_and_not1_saveexec_b32 s0, s0
	s_cbranch_execz .LBB3_37
; %bb.36:                               ;   in Loop: Header=BB3_3 Depth=1
	v_lshl_add_u64 v[82:83], v[20:21], 2, v[32:33]
	global_load_b32 v29, v[82:83], off
	s_wait_loadcnt 0x0
	v_xor_b32_e32 v29, 0x80000000, v29
	ds_store_b32 v7, v29
.LBB3_37:                               ;   in Loop: Header=BB3_3 Depth=1
	s_or_b32 exec_lo, exec_lo, s0
	s_delay_alu instid0(SALU_CYCLE_1) | instskip(SKIP_2) | instid1(SALU_CYCLE_1)
	s_mov_b32 s0, exec_lo
	v_readlane_b32 s1, v87, 14
	s_and_b32 s1, s0, s1
	;; [unrolled: 28-line block ×3, first 2 shown]
	s_xor_b32 s0, s1, s0
	s_mov_b32 exec_lo, s1
	s_cbranch_execz .LBB3_47
; %bb.44:                               ;   in Loop: Header=BB3_3 Depth=1
	s_mov_b32 s1, exec_lo
	v_readlane_b32 s60, v86, 21
	s_and_b32 s60, s1, s60
	s_delay_alu instid0(SALU_CYCLE_1)
	s_mov_b32 exec_lo, s60
; %bb.45:                               ;   in Loop: Header=BB3_3 Depth=1
	ds_store_b32 v75, v3
; %bb.46:                               ;   in Loop: Header=BB3_3 Depth=1
	s_or_b32 exec_lo, exec_lo, s1
                                        ; implicit-def: $vgpr32_vgpr33
.LBB3_47:                               ;   in Loop: Header=BB3_3 Depth=1
	s_and_not1_saveexec_b32 s0, s0
	s_cbranch_execz .LBB3_49
; %bb.48:                               ;   in Loop: Header=BB3_3 Depth=1
	v_lshl_add_u64 v[32:33], v[24:25], 2, v[32:33]
	global_load_b32 v29, v[32:33], off
	s_wait_loadcnt 0x0
	v_xor_b32_e32 v29, 0x80000000, v29
	ds_store_b32 v75, v29
.LBB3_49:                               ;   in Loop: Header=BB3_3 Depth=1
	s_or_b32 exec_lo, exec_lo, s0
.LBB3_50:                               ;   in Loop: Header=BB3_3 Depth=1
	s_delay_alu instid0(SALU_CYCLE_1)
	s_and_not1_b32 vcc_lo, exec_lo, s90
	s_wait_loadcnt_dscnt 0x0
	s_barrier_signal -1
	s_barrier_wait -1
	s_cbranch_vccnz .LBB3_1088
; %bb.51:                               ;   in Loop: Header=BB3_3 Depth=1
	s_and_saveexec_b32 s0, s13
	s_cbranch_execz .LBB3_53
; %bb.52:                               ;   in Loop: Header=BB3_3 Depth=1
	ds_load_b32 v29, v3 offset:16376
	ds_store_b32 v3, v28 offset:16380
	s_wait_dscnt 0x1
	ds_store_b64 v3, v[28:29] offset:16120
.LBB3_53:                               ;   in Loop: Header=BB3_3 Depth=1
	s_or_b32 exec_lo, exec_lo, s0
	v_mov_b32_e32 v29, 0
	s_wait_dscnt 0x0
	s_barrier_signal -1
	s_barrier_wait -1
	global_wb scope:SCOPE_DEV
	s_wait_storecnt 0x0
	global_inv scope:SCOPE_DEV
	s_and_saveexec_b32 s0, s2
	s_cbranch_execz .LBB3_57
; %bb.54:                               ;   in Loop: Header=BB3_3 Depth=1
	ds_load_b32 v29, v43 offset:16112
	ds_load_b32 v32, v44 offset:16376
	s_wait_dscnt 0x0
	v_fma_f32 v29, v29, v32, 0
	s_and_saveexec_b32 s1, s14
	s_cbranch_execz .LBB3_56
; %bb.55:                               ;   in Loop: Header=BB3_3 Depth=1
	ds_load_b32 v32, v9 offset:16368
	ds_load_b32 v33, v3 offset:16380
	s_wait_dscnt 0x0
	v_fmac_f32_e32 v29, v32, v33
.LBB3_56:                               ;   in Loop: Header=BB3_3 Depth=1
	s_or_b32 exec_lo, exec_lo, s1
.LBB3_57:                               ;   in Loop: Header=BB3_3 Depth=1
	s_delay_alu instid0(SALU_CYCLE_1)
	s_or_b32 exec_lo, exec_lo, s0
	s_and_saveexec_b32 s0, s91
; %bb.58:                               ;   in Loop: Header=BB3_3 Depth=1
	s_delay_alu instid0(VALU_DEP_1)
	v_xor_b32_e32 v32, 0x80000000, v29
	ds_store_b32 v41, v32
; %bb.59:                               ;   in Loop: Header=BB3_3 Depth=1
	s_or_b32 exec_lo, exec_lo, s0
	s_wait_loadcnt_dscnt 0x0
	s_barrier_signal -1
	s_barrier_wait -1
	s_and_saveexec_b32 s0, s92
	s_cbranch_execz .LBB3_61
; %bb.60:                               ;   in Loop: Header=BB3_3 Depth=1
	ds_load_b32 v32, v3 offset:15856
	ds_load_b32 v33, v41
	s_wait_dscnt 0x0
	v_fma_f32 v29, -v32, v33, v29
.LBB3_61:                               ;   in Loop: Header=BB3_3 Depth=1
	s_or_b32 exec_lo, exec_lo, s0
	s_barrier_signal -1
	s_barrier_wait -1
	s_and_saveexec_b32 s0, s92
; %bb.62:                               ;   in Loop: Header=BB3_3 Depth=1
	v_xor_b32_e32 v32, 0x80000000, v29
	ds_store_b32 v41, v32
; %bb.63:                               ;   in Loop: Header=BB3_3 Depth=1
	s_or_b32 exec_lo, exec_lo, s0
	s_wait_dscnt 0x0
	s_barrier_signal -1
	s_barrier_wait -1
	s_barrier_signal -1
	s_barrier_wait -1
	s_and_saveexec_b32 s0, s2
; %bb.64:                               ;   in Loop: Header=BB3_3 Depth=1
	ds_store_b32 v46, v29 offset:16368
; %bb.65:                               ;   in Loop: Header=BB3_3 Depth=1
	s_or_b32 exec_lo, exec_lo, s0
	s_wait_dscnt 0x0
	s_barrier_signal -1
	s_barrier_wait -1
	s_barrier_signal -1
	s_barrier_wait -1
	s_and_saveexec_b32 s0, s93
	s_cbranch_execz .LBB3_67
; %bb.66:                               ;   in Loop: Header=BB3_3 Depth=1
	ds_load_b32 v29, v34 offset:16112
	s_wait_dscnt 0x0
	ds_store_b32 v9, v29 offset:15608
	ds_load_b32 v29, v34 offset:16116
	s_wait_dscnt 0x0
	ds_store_b32 v9, v29 offset:15864
.LBB3_67:                               ;   in Loop: Header=BB3_3 Depth=1
	s_or_b32 exec_lo, exec_lo, s0
	s_wait_dscnt 0x0
	s_barrier_signal -1
	s_barrier_wait -1
	s_and_saveexec_b32 s0, s13
	s_cbranch_execz .LBB3_69
; %bb.68:                               ;   in Loop: Header=BB3_3 Depth=1
	ds_load_b32 v29, v3 offset:15856
	ds_store_b32 v3, v28 offset:15860
	s_wait_dscnt 0x1
	ds_store_b64 v3, v[28:29] offset:15600
.LBB3_69:                               ;   in Loop: Header=BB3_3 Depth=1
	s_or_b32 exec_lo, exec_lo, s0
	v_mov_b32_e32 v29, 0
	s_wait_dscnt 0x0
	s_barrier_signal -1
	s_barrier_wait -1
	global_wb scope:SCOPE_DEV
	s_wait_storecnt 0x0
	global_inv scope:SCOPE_DEV
	s_and_saveexec_b32 s0, s4
	s_cbranch_execz .LBB3_75
; %bb.70:                               ;   in Loop: Header=BB3_3 Depth=1
	ds_load_b32 v29, v48 offset:15584
	ds_load_b32 v32, v50 offset:16368
	s_wait_dscnt 0x0
	v_fma_f32 v29, v29, v32, 0
	s_and_saveexec_b32 s1, s15
	s_cbranch_execnz .LBB3_1175
; %bb.71:                               ;   in Loop: Header=BB3_3 Depth=1
	s_or_b32 exec_lo, exec_lo, s1
	s_and_saveexec_b32 s1, s16
	s_cbranch_execnz .LBB3_1176
.LBB3_72:                               ;   in Loop: Header=BB3_3 Depth=1
	s_or_b32 exec_lo, exec_lo, s1
	s_and_saveexec_b32 s1, s2
	s_cbranch_execz .LBB3_74
.LBB3_73:                               ;   in Loop: Header=BB3_3 Depth=1
	ds_load_b32 v32, v35 offset:16352
	ds_load_b32 v33, v3 offset:16380
	s_wait_dscnt 0x0
	v_fmac_f32_e32 v29, v32, v33
.LBB3_74:                               ;   in Loop: Header=BB3_3 Depth=1
	s_or_b32 exec_lo, exec_lo, s1
.LBB3_75:                               ;   in Loop: Header=BB3_3 Depth=1
	s_delay_alu instid0(SALU_CYCLE_1)
	s_or_b32 exec_lo, exec_lo, s0
	s_and_saveexec_b32 s0, s94
; %bb.76:                               ;   in Loop: Header=BB3_3 Depth=1
	s_delay_alu instid0(VALU_DEP_1)
	v_xor_b32_e32 v32, 0x80000000, v29
	ds_store_b32 v47, v32
; %bb.77:                               ;   in Loop: Header=BB3_3 Depth=1
	s_or_b32 exec_lo, exec_lo, s0
	s_wait_loadcnt_dscnt 0x0
	s_barrier_signal -1
	s_barrier_wait -1
	s_and_saveexec_b32 s0, s95
	s_cbranch_execz .LBB3_79
; %bb.78:                               ;   in Loop: Header=BB3_3 Depth=1
	ds_load_b32 v32, v48 offset:15328
	ds_load_b32 v33, v47
	s_wait_dscnt 0x0
	v_fma_f32 v29, -v32, v33, v29
.LBB3_79:                               ;   in Loop: Header=BB3_3 Depth=1
	s_or_b32 exec_lo, exec_lo, s0
	s_barrier_signal -1
	s_barrier_wait -1
	s_and_saveexec_b32 s0, s96
; %bb.80:                               ;   in Loop: Header=BB3_3 Depth=1
	v_xor_b32_e32 v32, 0x80000000, v29
	ds_store_b32 v47, v32
; %bb.81:                               ;   in Loop: Header=BB3_3 Depth=1
	s_or_b32 exec_lo, exec_lo, s0
	s_wait_dscnt 0x0
	s_barrier_signal -1
	s_barrier_wait -1
	s_and_saveexec_b32 s0, s97
	s_cbranch_execz .LBB3_83
; %bb.82:                               ;   in Loop: Header=BB3_3 Depth=1
	ds_load_b32 v32, v48 offset:15072
	ds_load_b32 v33, v47
	s_wait_dscnt 0x0
	v_fma_f32 v29, -v32, v33, v29
.LBB3_83:                               ;   in Loop: Header=BB3_3 Depth=1
	s_or_b32 exec_lo, exec_lo, s0
	s_barrier_signal -1
	s_barrier_wait -1
	s_and_saveexec_b32 s0, s98
; %bb.84:                               ;   in Loop: Header=BB3_3 Depth=1
	v_xor_b32_e32 v32, 0x80000000, v29
	ds_store_b32 v47, v32
; %bb.85:                               ;   in Loop: Header=BB3_3 Depth=1
	s_or_b32 exec_lo, exec_lo, s0
	s_wait_dscnt 0x0
	;; [unrolled: 20-line block ×3, first 2 shown]
	s_barrier_signal -1
	s_barrier_wait -1
	s_barrier_signal -1
	s_barrier_wait -1
	s_and_saveexec_b32 s0, s4
; %bb.90:                               ;   in Loop: Header=BB3_3 Depth=1
	ds_store_b32 v51, v29 offset:16352
; %bb.91:                               ;   in Loop: Header=BB3_3 Depth=1
	s_or_b32 exec_lo, exec_lo, s0
	s_wait_dscnt 0x0
	s_barrier_signal -1
	s_barrier_wait -1
	s_barrier_signal -1
	s_barrier_wait -1
	s_and_saveexec_b32 s0, s100
	s_cbranch_execz .LBB3_93
; %bb.92:                               ;   in Loop: Header=BB3_3 Depth=1
	ds_load_b32 v29, v36 offset:15584
	s_wait_dscnt 0x0
	ds_store_b32 v37, v29 offset:14576
	ds_load_b32 v29, v36 offset:15588
	s_wait_dscnt 0x0
	ds_store_b32 v37, v29 offset:14832
	;; [unrolled: 3-line block ×4, first 2 shown]
.LBB3_93:                               ;   in Loop: Header=BB3_3 Depth=1
	s_or_b32 exec_lo, exec_lo, s0
	s_wait_dscnt 0x0
	s_barrier_signal -1
	s_barrier_wait -1
	s_and_saveexec_b32 s0, s13
	s_cbranch_execz .LBB3_95
; %bb.94:                               ;   in Loop: Header=BB3_3 Depth=1
	ds_load_b32 v29, v3 offset:15336
	ds_store_b32 v3, v28 offset:15340
	s_wait_dscnt 0x1
	ds_store_b64 v3, v[28:29] offset:15080
.LBB3_95:                               ;   in Loop: Header=BB3_3 Depth=1
	s_or_b32 exec_lo, exec_lo, s0
	v_mov_b32_e32 v29, 0
	s_wait_dscnt 0x0
	s_barrier_signal -1
	s_barrier_wait -1
	global_wb scope:SCOPE_DEV
	s_wait_storecnt 0x0
	global_inv scope:SCOPE_DEV
	s_and_saveexec_b32 s0, s2
	s_cbranch_execz .LBB3_99
; %bb.96:                               ;   in Loop: Header=BB3_3 Depth=1
	ds_load_b32 v29, v43 offset:15072
	ds_load_b32 v32, v44 offset:15336
	s_wait_dscnt 0x0
	v_fma_f32 v29, v29, v32, 0
	s_and_saveexec_b32 s1, s14
	s_cbranch_execz .LBB3_98
; %bb.97:                               ;   in Loop: Header=BB3_3 Depth=1
	ds_load_b32 v32, v37 offset:15328
	ds_load_b32 v33, v3 offset:15340
	s_wait_dscnt 0x0
	v_fmac_f32_e32 v29, v32, v33
.LBB3_98:                               ;   in Loop: Header=BB3_3 Depth=1
	s_or_b32 exec_lo, exec_lo, s1
.LBB3_99:                               ;   in Loop: Header=BB3_3 Depth=1
	s_delay_alu instid0(SALU_CYCLE_1)
	s_or_b32 exec_lo, exec_lo, s0
	s_and_saveexec_b32 s0, s91
; %bb.100:                              ;   in Loop: Header=BB3_3 Depth=1
	s_delay_alu instid0(VALU_DEP_1)
	v_xor_b32_e32 v32, 0x80000000, v29
	ds_store_b32 v41, v32
; %bb.101:                              ;   in Loop: Header=BB3_3 Depth=1
	s_or_b32 exec_lo, exec_lo, s0
	s_wait_loadcnt_dscnt 0x0
	s_barrier_signal -1
	s_barrier_wait -1
	s_and_saveexec_b32 s0, s92
	s_cbranch_execz .LBB3_103
; %bb.102:                              ;   in Loop: Header=BB3_3 Depth=1
	ds_load_b32 v32, v3 offset:14816
	ds_load_b32 v33, v41
	s_wait_dscnt 0x0
	v_fma_f32 v29, -v32, v33, v29
.LBB3_103:                              ;   in Loop: Header=BB3_3 Depth=1
	s_or_b32 exec_lo, exec_lo, s0
	s_barrier_signal -1
	s_barrier_wait -1
	s_and_saveexec_b32 s0, s92
; %bb.104:                              ;   in Loop: Header=BB3_3 Depth=1
	v_xor_b32_e32 v32, 0x80000000, v29
	ds_store_b32 v41, v32
; %bb.105:                              ;   in Loop: Header=BB3_3 Depth=1
	s_or_b32 exec_lo, exec_lo, s0
	s_wait_dscnt 0x0
	s_barrier_signal -1
	s_barrier_wait -1
	s_barrier_signal -1
	s_barrier_wait -1
	s_and_saveexec_b32 s0, s2
; %bb.106:                              ;   in Loop: Header=BB3_3 Depth=1
	ds_store_b32 v46, v29 offset:15328
; %bb.107:                              ;   in Loop: Header=BB3_3 Depth=1
	s_or_b32 exec_lo, exec_lo, s0
	s_wait_dscnt 0x0
	s_barrier_signal -1
	s_barrier_wait -1
	s_barrier_signal -1
	s_barrier_wait -1
	s_and_saveexec_b32 s0, s93
	s_cbranch_execz .LBB3_109
; %bb.108:                              ;   in Loop: Header=BB3_3 Depth=1
	ds_load_b32 v29, v38 offset:15072
	s_wait_dscnt 0x0
	ds_store_b32 v37, v29 offset:14568
	ds_load_b32 v29, v38 offset:15076
	s_wait_dscnt 0x0
	ds_store_b32 v37, v29 offset:14824
.LBB3_109:                              ;   in Loop: Header=BB3_3 Depth=1
	s_or_b32 exec_lo, exec_lo, s0
	s_wait_dscnt 0x0
	s_barrier_signal -1
	s_barrier_wait -1
	s_and_saveexec_b32 s0, s13
	s_cbranch_execz .LBB3_111
; %bb.110:                              ;   in Loop: Header=BB3_3 Depth=1
	ds_load_b32 v29, v3 offset:14816
	ds_store_b32 v3, v28 offset:14820
	s_wait_dscnt 0x1
	ds_store_b64 v3, v[28:29] offset:14560
.LBB3_111:                              ;   in Loop: Header=BB3_3 Depth=1
	s_or_b32 exec_lo, exec_lo, s0
	v_mov_b32_e32 v29, 0
	s_wait_dscnt 0x0
	s_barrier_signal -1
	s_barrier_wait -1
	global_wb scope:SCOPE_DEV
	s_wait_storecnt 0x0
	global_inv scope:SCOPE_DEV
	s_and_saveexec_b32 s0, s5
	s_cbranch_execz .LBB3_121
; %bb.112:                              ;   in Loop: Header=BB3_3 Depth=1
	ds_load_b32 v29, v53 offset:14528
	ds_load_b32 v32, v56 offset:16352
	s_wait_dscnt 0x0
	v_fma_f32 v29, v29, v32, 0
	s_and_saveexec_b32 s1, s17
	s_cbranch_execnz .LBB3_1177
; %bb.113:                              ;   in Loop: Header=BB3_3 Depth=1
	s_or_b32 exec_lo, exec_lo, s1
	s_and_saveexec_b32 s1, s18
	s_cbranch_execnz .LBB3_1178
.LBB3_114:                              ;   in Loop: Header=BB3_3 Depth=1
	s_or_b32 exec_lo, exec_lo, s1
	s_and_saveexec_b32 s1, s19
	s_cbranch_execnz .LBB3_1179
.LBB3_115:                              ;   in Loop: Header=BB3_3 Depth=1
	s_or_b32 exec_lo, exec_lo, s1
	s_and_saveexec_b32 s1, s20
	s_cbranch_execnz .LBB3_1180
.LBB3_116:                              ;   in Loop: Header=BB3_3 Depth=1
	s_or_b32 exec_lo, exec_lo, s1
	s_and_saveexec_b32 s1, s21
	s_cbranch_execnz .LBB3_1181
.LBB3_117:                              ;   in Loop: Header=BB3_3 Depth=1
	s_or_b32 exec_lo, exec_lo, s1
	s_and_saveexec_b32 s1, s4
	s_cbranch_execnz .LBB3_1182
.LBB3_118:                              ;   in Loop: Header=BB3_3 Depth=1
	s_or_b32 exec_lo, exec_lo, s1
	s_and_saveexec_b32 s1, s16
	s_cbranch_execz .LBB3_120
.LBB3_119:                              ;   in Loop: Header=BB3_3 Depth=1
	ds_load_b32 v32, v39 offset:16320
	ds_load_b32 v33, v3 offset:16380
	s_wait_dscnt 0x0
	v_fmac_f32_e32 v29, v32, v33
.LBB3_120:                              ;   in Loop: Header=BB3_3 Depth=1
	s_or_b32 exec_lo, exec_lo, s1
.LBB3_121:                              ;   in Loop: Header=BB3_3 Depth=1
	s_delay_alu instid0(SALU_CYCLE_1)
	s_or_b32 exec_lo, exec_lo, s0
	s_and_saveexec_b32 s0, s101
; %bb.122:                              ;   in Loop: Header=BB3_3 Depth=1
	s_delay_alu instid0(VALU_DEP_1)
	v_xor_b32_e32 v32, 0x80000000, v29
	ds_store_b32 v54, v32
; %bb.123:                              ;   in Loop: Header=BB3_3 Depth=1
	s_or_b32 exec_lo, exec_lo, s0
	s_wait_loadcnt_dscnt 0x0
	s_barrier_signal -1
	s_barrier_wait -1
	s_and_saveexec_b32 s0, s102
	s_cbranch_execz .LBB3_125
; %bb.124:                              ;   in Loop: Header=BB3_3 Depth=1
	ds_load_b32 v32, v53 offset:14272
	ds_load_b32 v33, v54
	s_wait_dscnt 0x0
	v_fma_f32 v29, -v32, v33, v29
.LBB3_125:                              ;   in Loop: Header=BB3_3 Depth=1
	s_or_b32 exec_lo, exec_lo, s0
	s_barrier_signal -1
	s_barrier_wait -1
	s_and_saveexec_b32 s0, s103
; %bb.126:                              ;   in Loop: Header=BB3_3 Depth=1
	v_xor_b32_e32 v32, 0x80000000, v29
	ds_store_b32 v54, v32
; %bb.127:                              ;   in Loop: Header=BB3_3 Depth=1
	s_or_b32 exec_lo, exec_lo, s0
	s_wait_dscnt 0x0
	s_barrier_signal -1
	s_barrier_wait -1
	s_and_saveexec_b32 s0, s104
	s_cbranch_execz .LBB3_129
; %bb.128:                              ;   in Loop: Header=BB3_3 Depth=1
	ds_load_b32 v32, v53 offset:14016
	ds_load_b32 v33, v54
	s_wait_dscnt 0x0
	v_fma_f32 v29, -v32, v33, v29
.LBB3_129:                              ;   in Loop: Header=BB3_3 Depth=1
	s_or_b32 exec_lo, exec_lo, s0
	s_barrier_signal -1
	s_barrier_wait -1
	s_and_saveexec_b32 s0, vcc_hi
; %bb.130:                              ;   in Loop: Header=BB3_3 Depth=1
	v_xor_b32_e32 v32, 0x80000000, v29
	ds_store_b32 v54, v32
; %bb.131:                              ;   in Loop: Header=BB3_3 Depth=1
	s_or_b32 exec_lo, exec_lo, s0
	s_wait_dscnt 0x0
	s_barrier_signal -1
	s_barrier_wait -1
	s_and_saveexec_b32 s0, s34
	s_cbranch_execz .LBB3_133
; %bb.132:                              ;   in Loop: Header=BB3_3 Depth=1
	ds_load_b32 v32, v53 offset:13760
	ds_load_b32 v33, v54
	s_wait_dscnt 0x0
	v_fma_f32 v29, -v32, v33, v29
.LBB3_133:                              ;   in Loop: Header=BB3_3 Depth=1
	s_or_b32 exec_lo, exec_lo, s0
	s_barrier_signal -1
	s_barrier_wait -1
	s_and_saveexec_b32 s0, s35
; %bb.134:                              ;   in Loop: Header=BB3_3 Depth=1
	v_xor_b32_e32 v32, 0x80000000, v29
	ds_store_b32 v54, v32
; %bb.135:                              ;   in Loop: Header=BB3_3 Depth=1
	s_or_b32 exec_lo, exec_lo, s0
	s_wait_dscnt 0x0
	s_barrier_signal -1
	s_barrier_wait -1
	s_and_saveexec_b32 s0, s36
	s_cbranch_execz .LBB3_137
; %bb.136:                              ;   in Loop: Header=BB3_3 Depth=1
	ds_load_b32 v32, v53 offset:13504
	ds_load_b32 v33, v54
	s_wait_dscnt 0x0
	v_fma_f32 v29, -v32, v33, v29
.LBB3_137:                              ;   in Loop: Header=BB3_3 Depth=1
	s_or_b32 exec_lo, exec_lo, s0
	s_barrier_signal -1
	s_barrier_wait -1
	s_and_saveexec_b32 s0, s37
	;; [unrolled: 20-line block ×5, first 2 shown]
; %bb.150:                              ;   in Loop: Header=BB3_3 Depth=1
	v_xor_b32_e32 v32, 0x80000000, v29
	ds_store_b32 v54, v32
; %bb.151:                              ;   in Loop: Header=BB3_3 Depth=1
	s_or_b32 exec_lo, exec_lo, s0
	s_wait_dscnt 0x0
	s_barrier_signal -1
	s_barrier_wait -1
	s_barrier_signal -1
	s_barrier_wait -1
	s_and_saveexec_b32 s0, s5
; %bb.152:                              ;   in Loop: Header=BB3_3 Depth=1
	ds_store_b32 v57, v29 offset:16320
; %bb.153:                              ;   in Loop: Header=BB3_3 Depth=1
	s_or_b32 exec_lo, exec_lo, s0
	s_wait_dscnt 0x0
	s_barrier_signal -1
	s_barrier_wait -1
	s_barrier_signal -1
	s_barrier_wait -1
	s_and_saveexec_b32 s0, s43
	s_cbranch_execz .LBB3_155
; %bb.154:                              ;   in Loop: Header=BB3_3 Depth=1
	ds_load_b32 v29, v40 offset:14528
	s_wait_dscnt 0x0
	ds_store_b32 v42, v29 offset:12512
	ds_load_b32 v29, v40 offset:14532
	s_wait_dscnt 0x0
	ds_store_b32 v42, v29 offset:12768
	;; [unrolled: 3-line block ×8, first 2 shown]
.LBB3_155:                              ;   in Loop: Header=BB3_3 Depth=1
	s_or_b32 exec_lo, exec_lo, s0
	s_wait_dscnt 0x0
	s_barrier_signal -1
	s_barrier_wait -1
	s_and_saveexec_b32 s0, s13
	s_cbranch_execz .LBB3_157
; %bb.156:                              ;   in Loop: Header=BB3_3 Depth=1
	ds_load_b32 v29, v3 offset:14296
	ds_store_b32 v3, v28 offset:14300
	s_wait_dscnt 0x1
	ds_store_b64 v3, v[28:29] offset:14040
.LBB3_157:                              ;   in Loop: Header=BB3_3 Depth=1
	s_or_b32 exec_lo, exec_lo, s0
	v_mov_b32_e32 v29, 0
	s_wait_dscnt 0x0
	s_barrier_signal -1
	s_barrier_wait -1
	global_wb scope:SCOPE_DEV
	s_wait_storecnt 0x0
	global_inv scope:SCOPE_DEV
	s_and_saveexec_b32 s0, s2
	s_cbranch_execz .LBB3_161
; %bb.158:                              ;   in Loop: Header=BB3_3 Depth=1
	ds_load_b32 v29, v43 offset:14032
	ds_load_b32 v32, v44 offset:14296
	s_wait_dscnt 0x0
	v_fma_f32 v29, v29, v32, 0
	s_and_saveexec_b32 s1, s14
	s_cbranch_execz .LBB3_160
; %bb.159:                              ;   in Loop: Header=BB3_3 Depth=1
	ds_load_b32 v32, v42 offset:14288
	ds_load_b32 v33, v3 offset:14300
	s_wait_dscnt 0x0
	v_fmac_f32_e32 v29, v32, v33
.LBB3_160:                              ;   in Loop: Header=BB3_3 Depth=1
	s_or_b32 exec_lo, exec_lo, s1
.LBB3_161:                              ;   in Loop: Header=BB3_3 Depth=1
	s_delay_alu instid0(SALU_CYCLE_1)
	s_or_b32 exec_lo, exec_lo, s0
	s_and_saveexec_b32 s0, s91
; %bb.162:                              ;   in Loop: Header=BB3_3 Depth=1
	s_delay_alu instid0(VALU_DEP_1)
	v_xor_b32_e32 v32, 0x80000000, v29
	ds_store_b32 v41, v32
; %bb.163:                              ;   in Loop: Header=BB3_3 Depth=1
	s_or_b32 exec_lo, exec_lo, s0
	s_wait_loadcnt_dscnt 0x0
	s_barrier_signal -1
	s_barrier_wait -1
	s_and_saveexec_b32 s0, s92
	s_cbranch_execz .LBB3_165
; %bb.164:                              ;   in Loop: Header=BB3_3 Depth=1
	ds_load_b32 v32, v3 offset:13776
	ds_load_b32 v33, v41
	s_wait_dscnt 0x0
	v_fma_f32 v29, -v32, v33, v29
.LBB3_165:                              ;   in Loop: Header=BB3_3 Depth=1
	s_or_b32 exec_lo, exec_lo, s0
	s_barrier_signal -1
	s_barrier_wait -1
	s_and_saveexec_b32 s0, s92
; %bb.166:                              ;   in Loop: Header=BB3_3 Depth=1
	v_xor_b32_e32 v32, 0x80000000, v29
	ds_store_b32 v41, v32
; %bb.167:                              ;   in Loop: Header=BB3_3 Depth=1
	s_or_b32 exec_lo, exec_lo, s0
	s_wait_dscnt 0x0
	s_barrier_signal -1
	s_barrier_wait -1
	s_barrier_signal -1
	s_barrier_wait -1
	s_and_saveexec_b32 s0, s2
; %bb.168:                              ;   in Loop: Header=BB3_3 Depth=1
	ds_store_b32 v46, v29 offset:14288
; %bb.169:                              ;   in Loop: Header=BB3_3 Depth=1
	s_or_b32 exec_lo, exec_lo, s0
	s_wait_dscnt 0x0
	s_barrier_signal -1
	s_barrier_wait -1
	s_barrier_signal -1
	s_barrier_wait -1
	s_and_saveexec_b32 s0, s93
	s_cbranch_execz .LBB3_171
; %bb.170:                              ;   in Loop: Header=BB3_3 Depth=1
	ds_load_b32 v29, v45 offset:14032
	s_wait_dscnt 0x0
	ds_store_b32 v42, v29 offset:13528
	ds_load_b32 v29, v45 offset:14036
	s_wait_dscnt 0x0
	ds_store_b32 v42, v29 offset:13784
.LBB3_171:                              ;   in Loop: Header=BB3_3 Depth=1
	s_or_b32 exec_lo, exec_lo, s0
	s_wait_dscnt 0x0
	s_barrier_signal -1
	s_barrier_wait -1
	s_and_saveexec_b32 s0, s13
	s_cbranch_execz .LBB3_173
; %bb.172:                              ;   in Loop: Header=BB3_3 Depth=1
	ds_load_b32 v29, v3 offset:13776
	ds_store_b32 v3, v28 offset:13780
	s_wait_dscnt 0x1
	ds_store_b64 v3, v[28:29] offset:13520
.LBB3_173:                              ;   in Loop: Header=BB3_3 Depth=1
	s_or_b32 exec_lo, exec_lo, s0
	v_mov_b32_e32 v29, 0
	s_wait_dscnt 0x0
	s_barrier_signal -1
	s_barrier_wait -1
	global_wb scope:SCOPE_DEV
	s_wait_storecnt 0x0
	global_inv scope:SCOPE_DEV
	s_and_saveexec_b32 s0, s4
	s_cbranch_execz .LBB3_179
; %bb.174:                              ;   in Loop: Header=BB3_3 Depth=1
	ds_load_b32 v29, v48 offset:13504
	ds_load_b32 v32, v50 offset:14288
	s_wait_dscnt 0x0
	v_fma_f32 v29, v29, v32, 0
	s_and_saveexec_b32 s1, s15
	s_cbranch_execnz .LBB3_1183
; %bb.175:                              ;   in Loop: Header=BB3_3 Depth=1
	s_or_b32 exec_lo, exec_lo, s1
	s_and_saveexec_b32 s1, s16
	s_cbranch_execnz .LBB3_1184
.LBB3_176:                              ;   in Loop: Header=BB3_3 Depth=1
	s_or_b32 exec_lo, exec_lo, s1
	s_and_saveexec_b32 s1, s2
	s_cbranch_execz .LBB3_178
.LBB3_177:                              ;   in Loop: Header=BB3_3 Depth=1
	ds_load_b32 v32, v49 offset:14272
	ds_load_b32 v33, v3 offset:14300
	s_wait_dscnt 0x0
	v_fmac_f32_e32 v29, v32, v33
.LBB3_178:                              ;   in Loop: Header=BB3_3 Depth=1
	s_or_b32 exec_lo, exec_lo, s1
.LBB3_179:                              ;   in Loop: Header=BB3_3 Depth=1
	s_delay_alu instid0(SALU_CYCLE_1)
	s_or_b32 exec_lo, exec_lo, s0
	s_and_saveexec_b32 s0, s94
; %bb.180:                              ;   in Loop: Header=BB3_3 Depth=1
	s_delay_alu instid0(VALU_DEP_1)
	v_xor_b32_e32 v32, 0x80000000, v29
	ds_store_b32 v47, v32
; %bb.181:                              ;   in Loop: Header=BB3_3 Depth=1
	s_or_b32 exec_lo, exec_lo, s0
	s_wait_loadcnt_dscnt 0x0
	s_barrier_signal -1
	s_barrier_wait -1
	s_and_saveexec_b32 s0, s95
	s_cbranch_execz .LBB3_183
; %bb.182:                              ;   in Loop: Header=BB3_3 Depth=1
	ds_load_b32 v32, v48 offset:13248
	ds_load_b32 v33, v47
	s_wait_dscnt 0x0
	v_fma_f32 v29, -v32, v33, v29
.LBB3_183:                              ;   in Loop: Header=BB3_3 Depth=1
	s_or_b32 exec_lo, exec_lo, s0
	s_barrier_signal -1
	s_barrier_wait -1
	s_and_saveexec_b32 s0, s96
; %bb.184:                              ;   in Loop: Header=BB3_3 Depth=1
	v_xor_b32_e32 v32, 0x80000000, v29
	ds_store_b32 v47, v32
; %bb.185:                              ;   in Loop: Header=BB3_3 Depth=1
	s_or_b32 exec_lo, exec_lo, s0
	s_wait_dscnt 0x0
	s_barrier_signal -1
	s_barrier_wait -1
	s_and_saveexec_b32 s0, s97
	s_cbranch_execz .LBB3_187
; %bb.186:                              ;   in Loop: Header=BB3_3 Depth=1
	ds_load_b32 v32, v48 offset:12992
	ds_load_b32 v33, v47
	s_wait_dscnt 0x0
	v_fma_f32 v29, -v32, v33, v29
.LBB3_187:                              ;   in Loop: Header=BB3_3 Depth=1
	s_or_b32 exec_lo, exec_lo, s0
	s_barrier_signal -1
	s_barrier_wait -1
	s_and_saveexec_b32 s0, s98
; %bb.188:                              ;   in Loop: Header=BB3_3 Depth=1
	v_xor_b32_e32 v32, 0x80000000, v29
	ds_store_b32 v47, v32
; %bb.189:                              ;   in Loop: Header=BB3_3 Depth=1
	s_or_b32 exec_lo, exec_lo, s0
	s_wait_dscnt 0x0
	;; [unrolled: 20-line block ×3, first 2 shown]
	s_barrier_signal -1
	s_barrier_wait -1
	s_barrier_signal -1
	s_barrier_wait -1
	s_and_saveexec_b32 s0, s4
; %bb.194:                              ;   in Loop: Header=BB3_3 Depth=1
	ds_store_b32 v51, v29 offset:14272
; %bb.195:                              ;   in Loop: Header=BB3_3 Depth=1
	s_or_b32 exec_lo, exec_lo, s0
	s_wait_dscnt 0x0
	s_barrier_signal -1
	s_barrier_wait -1
	s_barrier_signal -1
	s_barrier_wait -1
	s_and_saveexec_b32 s0, s100
	s_cbranch_execz .LBB3_197
; %bb.196:                              ;   in Loop: Header=BB3_3 Depth=1
	ds_load_b32 v29, v52 offset:13504
	s_wait_dscnt 0x0
	ds_store_b32 v55, v29 offset:12496
	ds_load_b32 v29, v52 offset:13508
	s_wait_dscnt 0x0
	ds_store_b32 v55, v29 offset:12752
	;; [unrolled: 3-line block ×4, first 2 shown]
.LBB3_197:                              ;   in Loop: Header=BB3_3 Depth=1
	s_or_b32 exec_lo, exec_lo, s0
	s_wait_dscnt 0x0
	s_barrier_signal -1
	s_barrier_wait -1
	s_and_saveexec_b32 s0, s13
	s_cbranch_execz .LBB3_199
; %bb.198:                              ;   in Loop: Header=BB3_3 Depth=1
	ds_load_b32 v29, v3 offset:13256
	ds_store_b32 v3, v28 offset:13260
	s_wait_dscnt 0x1
	ds_store_b64 v3, v[28:29] offset:13000
.LBB3_199:                              ;   in Loop: Header=BB3_3 Depth=1
	s_or_b32 exec_lo, exec_lo, s0
	v_mov_b32_e32 v29, 0
	s_wait_dscnt 0x0
	s_barrier_signal -1
	s_barrier_wait -1
	global_wb scope:SCOPE_DEV
	s_wait_storecnt 0x0
	global_inv scope:SCOPE_DEV
	s_and_saveexec_b32 s0, s2
	s_cbranch_execz .LBB3_203
; %bb.200:                              ;   in Loop: Header=BB3_3 Depth=1
	ds_load_b32 v29, v43 offset:12992
	ds_load_b32 v32, v44 offset:13256
	s_wait_dscnt 0x0
	v_fma_f32 v29, v29, v32, 0
	s_and_saveexec_b32 s1, s14
	s_cbranch_execz .LBB3_202
; %bb.201:                              ;   in Loop: Header=BB3_3 Depth=1
	ds_load_b32 v32, v55 offset:13248
	ds_load_b32 v33, v3 offset:13260
	s_wait_dscnt 0x0
	v_fmac_f32_e32 v29, v32, v33
.LBB3_202:                              ;   in Loop: Header=BB3_3 Depth=1
	s_or_b32 exec_lo, exec_lo, s1
.LBB3_203:                              ;   in Loop: Header=BB3_3 Depth=1
	s_delay_alu instid0(SALU_CYCLE_1)
	s_or_b32 exec_lo, exec_lo, s0
	s_and_saveexec_b32 s0, s91
; %bb.204:                              ;   in Loop: Header=BB3_3 Depth=1
	s_delay_alu instid0(VALU_DEP_1)
	v_xor_b32_e32 v32, 0x80000000, v29
	ds_store_b32 v41, v32
; %bb.205:                              ;   in Loop: Header=BB3_3 Depth=1
	s_or_b32 exec_lo, exec_lo, s0
	s_wait_loadcnt_dscnt 0x0
	s_barrier_signal -1
	s_barrier_wait -1
	s_and_saveexec_b32 s0, s92
	s_cbranch_execz .LBB3_207
; %bb.206:                              ;   in Loop: Header=BB3_3 Depth=1
	ds_load_b32 v32, v3 offset:12736
	ds_load_b32 v33, v41
	s_wait_dscnt 0x0
	v_fma_f32 v29, -v32, v33, v29
.LBB3_207:                              ;   in Loop: Header=BB3_3 Depth=1
	s_or_b32 exec_lo, exec_lo, s0
	s_barrier_signal -1
	s_barrier_wait -1
	s_and_saveexec_b32 s0, s92
; %bb.208:                              ;   in Loop: Header=BB3_3 Depth=1
	v_xor_b32_e32 v32, 0x80000000, v29
	ds_store_b32 v41, v32
; %bb.209:                              ;   in Loop: Header=BB3_3 Depth=1
	s_or_b32 exec_lo, exec_lo, s0
	s_wait_dscnt 0x0
	s_barrier_signal -1
	s_barrier_wait -1
	s_barrier_signal -1
	s_barrier_wait -1
	s_and_saveexec_b32 s0, s2
; %bb.210:                              ;   in Loop: Header=BB3_3 Depth=1
	ds_store_b32 v46, v29 offset:13248
; %bb.211:                              ;   in Loop: Header=BB3_3 Depth=1
	s_or_b32 exec_lo, exec_lo, s0
	s_wait_dscnt 0x0
	s_barrier_signal -1
	s_barrier_wait -1
	s_barrier_signal -1
	s_barrier_wait -1
	s_and_saveexec_b32 s0, s93
	s_cbranch_execz .LBB3_213
; %bb.212:                              ;   in Loop: Header=BB3_3 Depth=1
	ds_load_b32 v29, v58 offset:12992
	s_wait_dscnt 0x0
	ds_store_b32 v55, v29 offset:12488
	ds_load_b32 v29, v58 offset:12996
	s_wait_dscnt 0x0
	ds_store_b32 v55, v29 offset:12744
.LBB3_213:                              ;   in Loop: Header=BB3_3 Depth=1
	s_or_b32 exec_lo, exec_lo, s0
	s_wait_dscnt 0x0
	s_barrier_signal -1
	s_barrier_wait -1
	s_and_saveexec_b32 s0, s13
	s_cbranch_execz .LBB3_215
; %bb.214:                              ;   in Loop: Header=BB3_3 Depth=1
	ds_load_b32 v29, v3 offset:12736
	ds_store_b32 v3, v28 offset:12740
	s_wait_dscnt 0x1
	ds_store_b64 v3, v[28:29] offset:12480
.LBB3_215:                              ;   in Loop: Header=BB3_3 Depth=1
	s_or_b32 exec_lo, exec_lo, s0
	v_mov_b32_e32 v29, 0
	s_wait_dscnt 0x0
	s_barrier_signal -1
	s_barrier_wait -1
	global_wb scope:SCOPE_DEV
	s_wait_storecnt 0x0
	global_inv scope:SCOPE_DEV
	s_and_saveexec_b32 s0, s6
	s_cbranch_execz .LBB3_243
; %bb.216:                              ;   in Loop: Header=BB3_3 Depth=1
	ds_load_b32 v29, v59 offset:12416
	ds_load_b32 v32, v61 offset:16320
	s_wait_dscnt 0x0
	v_fma_f32 v29, v29, v32, 0
	s_mov_b32 s1, exec_lo
	v_readlane_b32 s60, v87, 16
	s_and_b32 s60, s1, s60
	s_delay_alu instid0(SALU_CYCLE_1)
	s_mov_b32 exec_lo, s60
	s_cbranch_execz .LBB3_218
; %bb.217:                              ;   in Loop: Header=BB3_3 Depth=1
	ds_load_b32 v32, v59 offset:12672
	ds_load_b32 v33, v61 offset:16324
	s_wait_dscnt 0x0
	v_fmac_f32_e32 v29, v32, v33
.LBB3_218:                              ;   in Loop: Header=BB3_3 Depth=1
	s_or_b32 exec_lo, exec_lo, s1
	s_delay_alu instid0(SALU_CYCLE_1) | instskip(SKIP_2) | instid1(SALU_CYCLE_1)
	s_mov_b32 s1, exec_lo
	v_readlane_b32 s60, v87, 17
	s_and_b32 s60, s1, s60
	s_mov_b32 exec_lo, s60
	s_cbranch_execz .LBB3_220
; %bb.219:                              ;   in Loop: Header=BB3_3 Depth=1
	ds_load_b32 v32, v59 offset:12928
	ds_load_b32 v33, v61 offset:16328
	s_wait_dscnt 0x0
	v_fmac_f32_e32 v29, v32, v33
.LBB3_220:                              ;   in Loop: Header=BB3_3 Depth=1
	s_or_b32 exec_lo, exec_lo, s1
	s_delay_alu instid0(SALU_CYCLE_1) | instskip(SKIP_2) | instid1(SALU_CYCLE_1)
	s_mov_b32 s1, exec_lo
	v_readlane_b32 s60, v87, 18
	s_and_b32 s60, s1, s60
	;; [unrolled: 13-line block ×10, first 2 shown]
	s_mov_b32 exec_lo, s60
	s_cbranch_execnz .LBB3_1185
; %bb.237:                              ;   in Loop: Header=BB3_3 Depth=1
	s_or_b32 exec_lo, exec_lo, s1
	s_and_saveexec_b32 s1, s5
	s_cbranch_execnz .LBB3_1186
.LBB3_238:                              ;   in Loop: Header=BB3_3 Depth=1
	s_or_b32 exec_lo, exec_lo, s1
	s_and_saveexec_b32 s1, s18
	s_cbranch_execnz .LBB3_1187
.LBB3_239:                              ;   in Loop: Header=BB3_3 Depth=1
	s_or_b32 exec_lo, exec_lo, s1
	s_and_saveexec_b32 s1, s20
	s_cbranch_execnz .LBB3_1188
.LBB3_240:                              ;   in Loop: Header=BB3_3 Depth=1
	s_or_b32 exec_lo, exec_lo, s1
	s_and_saveexec_b32 s1, s4
	s_cbranch_execz .LBB3_242
.LBB3_241:                              ;   in Loop: Header=BB3_3 Depth=1
	ds_load_b32 v32, v9 offset:16256
	ds_load_b32 v33, v3 offset:16380
	s_wait_dscnt 0x0
	v_fmac_f32_e32 v29, v32, v33
.LBB3_242:                              ;   in Loop: Header=BB3_3 Depth=1
	s_or_b32 exec_lo, exec_lo, s1
.LBB3_243:                              ;   in Loop: Header=BB3_3 Depth=1
	s_delay_alu instid0(SALU_CYCLE_1) | instskip(NEXT) | instid1(SALU_CYCLE_1)
	s_or_b32 exec_lo, exec_lo, s0
	s_mov_b32 s0, exec_lo
	v_readlane_b32 s1, v89, 2
	s_and_b32 s1, s0, s1
	s_delay_alu instid0(SALU_CYCLE_1)
	s_mov_b32 exec_lo, s1
; %bb.244:                              ;   in Loop: Header=BB3_3 Depth=1
	v_xor_b32_e32 v32, 0x80000000, v29
	ds_store_b32 v60, v32
; %bb.245:                              ;   in Loop: Header=BB3_3 Depth=1
	s_or_b32 exec_lo, exec_lo, s0
	s_wait_loadcnt_dscnt 0x0
	s_barrier_signal -1
	s_barrier_wait -1
	s_mov_b32 s0, exec_lo
	v_readlane_b32 s1, v89, 3
	s_and_b32 s1, s0, s1
	s_delay_alu instid0(SALU_CYCLE_1)
	s_mov_b32 exec_lo, s1
	s_cbranch_execz .LBB3_247
; %bb.246:                              ;   in Loop: Header=BB3_3 Depth=1
	ds_load_b32 v32, v59 offset:12160
	ds_load_b32 v33, v60
	s_wait_dscnt 0x0
	v_fma_f32 v29, -v32, v33, v29
.LBB3_247:                              ;   in Loop: Header=BB3_3 Depth=1
	s_or_b32 exec_lo, exec_lo, s0
	s_barrier_signal -1
	s_barrier_wait -1
	s_mov_b32 s0, exec_lo
	v_readlane_b32 s1, v89, 4
	s_and_b32 s1, s0, s1
	s_delay_alu instid0(SALU_CYCLE_1)
	s_mov_b32 exec_lo, s1
; %bb.248:                              ;   in Loop: Header=BB3_3 Depth=1
	v_xor_b32_e32 v32, 0x80000000, v29
	ds_store_b32 v60, v32
; %bb.249:                              ;   in Loop: Header=BB3_3 Depth=1
	s_or_b32 exec_lo, exec_lo, s0
	s_wait_dscnt 0x0
	s_barrier_signal -1
	s_barrier_wait -1
	s_mov_b32 s0, exec_lo
	v_readlane_b32 s1, v89, 5
	s_and_b32 s1, s0, s1
	s_delay_alu instid0(SALU_CYCLE_1)
	s_mov_b32 exec_lo, s1
	s_cbranch_execz .LBB3_251
; %bb.250:                              ;   in Loop: Header=BB3_3 Depth=1
	ds_load_b32 v32, v59 offset:11904
	ds_load_b32 v33, v60
	s_wait_dscnt 0x0
	v_fma_f32 v29, -v32, v33, v29
.LBB3_251:                              ;   in Loop: Header=BB3_3 Depth=1
	s_or_b32 exec_lo, exec_lo, s0
	s_barrier_signal -1
	s_barrier_wait -1
	s_mov_b32 s0, exec_lo
	v_readlane_b32 s1, v89, 6
	s_and_b32 s1, s0, s1
	s_delay_alu instid0(SALU_CYCLE_1)
	s_mov_b32 exec_lo, s1
; %bb.252:                              ;   in Loop: Header=BB3_3 Depth=1
	v_xor_b32_e32 v32, 0x80000000, v29
	ds_store_b32 v60, v32
; %bb.253:                              ;   in Loop: Header=BB3_3 Depth=1
	s_or_b32 exec_lo, exec_lo, s0
	s_wait_dscnt 0x0
	s_barrier_signal -1
	s_barrier_wait -1
	s_mov_b32 s0, exec_lo
	v_readlane_b32 s1, v89, 7
	s_and_b32 s1, s0, s1
	s_delay_alu instid0(SALU_CYCLE_1)
	s_mov_b32 exec_lo, s1
	s_cbranch_execz .LBB3_255
; %bb.254:                              ;   in Loop: Header=BB3_3 Depth=1
	ds_load_b32 v32, v59 offset:11648
	ds_load_b32 v33, v60
	s_wait_dscnt 0x0
	v_fma_f32 v29, -v32, v33, v29
.LBB3_255:                              ;   in Loop: Header=BB3_3 Depth=1
	s_or_b32 exec_lo, exec_lo, s0
	s_barrier_signal -1
	s_barrier_wait -1
	s_and_saveexec_b32 s0, s50
; %bb.256:                              ;   in Loop: Header=BB3_3 Depth=1
	v_xor_b32_e32 v32, 0x80000000, v29
	ds_store_b32 v60, v32
; %bb.257:                              ;   in Loop: Header=BB3_3 Depth=1
	s_or_b32 exec_lo, exec_lo, s0
	s_wait_dscnt 0x0
	s_barrier_signal -1
	s_barrier_wait -1
	s_and_saveexec_b32 s0, s51
	s_cbranch_execz .LBB3_259
; %bb.258:                              ;   in Loop: Header=BB3_3 Depth=1
	ds_load_b32 v32, v59 offset:11392
	ds_load_b32 v33, v60
	s_wait_dscnt 0x0
	v_fma_f32 v29, -v32, v33, v29
.LBB3_259:                              ;   in Loop: Header=BB3_3 Depth=1
	s_or_b32 exec_lo, exec_lo, s0
	s_barrier_signal -1
	s_barrier_wait -1
	s_and_saveexec_b32 s0, s52
; %bb.260:                              ;   in Loop: Header=BB3_3 Depth=1
	v_xor_b32_e32 v32, 0x80000000, v29
	ds_store_b32 v60, v32
; %bb.261:                              ;   in Loop: Header=BB3_3 Depth=1
	s_or_b32 exec_lo, exec_lo, s0
	s_wait_dscnt 0x0
	s_barrier_signal -1
	s_barrier_wait -1
	s_and_saveexec_b32 s0, s53
	;; [unrolled: 20-line block ×12, first 2 shown]
	s_cbranch_execz .LBB3_303
; %bb.302:                              ;   in Loop: Header=BB3_3 Depth=1
	ds_load_b32 v32, v3 offset:8576
	ds_load_b32 v33, v60
	s_wait_dscnt 0x0
	v_fma_f32 v29, -v32, v33, v29
.LBB3_303:                              ;   in Loop: Header=BB3_3 Depth=1
	s_or_b32 exec_lo, exec_lo, s0
	s_barrier_signal -1
	s_barrier_wait -1
	s_and_saveexec_b32 s0, s45
; %bb.304:                              ;   in Loop: Header=BB3_3 Depth=1
	v_xor_b32_e32 v32, 0x80000000, v29
	ds_store_b32 v60, v32
; %bb.305:                              ;   in Loop: Header=BB3_3 Depth=1
	s_or_b32 exec_lo, exec_lo, s0
	s_wait_dscnt 0x0
	s_barrier_signal -1
	s_barrier_wait -1
	s_barrier_signal -1
	s_barrier_wait -1
	s_and_saveexec_b32 s0, s6
; %bb.306:                              ;   in Loop: Header=BB3_3 Depth=1
	ds_store_b32 v63, v29 offset:16256
; %bb.307:                              ;   in Loop: Header=BB3_3 Depth=1
	s_or_b32 exec_lo, exec_lo, s0
	s_wait_dscnt 0x0
	s_barrier_signal -1
	s_barrier_wait -1
	s_barrier_signal -1
	s_barrier_wait -1
	s_and_saveexec_b32 s0, s46
	s_cbranch_execz .LBB3_309
; %bb.308:                              ;   in Loop: Header=BB3_3 Depth=1
	ds_load_b32 v29, v34 offset:12416
	s_wait_dscnt 0x0
	ds_store_b32 v35, v29 offset:8384
	ds_load_b32 v29, v34 offset:12420
	s_wait_dscnt 0x0
	ds_store_b32 v35, v29 offset:8640
	;; [unrolled: 3-line block ×16, first 2 shown]
.LBB3_309:                              ;   in Loop: Header=BB3_3 Depth=1
	s_or_b32 exec_lo, exec_lo, s0
	s_wait_dscnt 0x0
	s_barrier_signal -1
	s_barrier_wait -1
	s_and_saveexec_b32 s0, s13
	s_cbranch_execz .LBB3_311
; %bb.310:                              ;   in Loop: Header=BB3_3 Depth=1
	ds_load_b32 v29, v3 offset:12216
	ds_store_b32 v3, v28 offset:12220
	s_wait_dscnt 0x1
	ds_store_b64 v3, v[28:29] offset:11960
.LBB3_311:                              ;   in Loop: Header=BB3_3 Depth=1
	s_or_b32 exec_lo, exec_lo, s0
	v_mov_b32_e32 v29, 0
	s_wait_dscnt 0x0
	s_barrier_signal -1
	s_barrier_wait -1
	global_wb scope:SCOPE_DEV
	s_wait_storecnt 0x0
	global_inv scope:SCOPE_DEV
	s_and_saveexec_b32 s0, s2
	s_cbranch_execz .LBB3_315
; %bb.312:                              ;   in Loop: Header=BB3_3 Depth=1
	ds_load_b32 v29, v43 offset:11952
	ds_load_b32 v32, v44 offset:12216
	s_wait_dscnt 0x0
	v_fma_f32 v29, v29, v32, 0
	s_and_saveexec_b32 s1, s14
	s_cbranch_execz .LBB3_314
; %bb.313:                              ;   in Loop: Header=BB3_3 Depth=1
	ds_load_b32 v32, v9 offset:12208
	ds_load_b32 v33, v3 offset:12220
	s_wait_dscnt 0x0
	v_fmac_f32_e32 v29, v32, v33
.LBB3_314:                              ;   in Loop: Header=BB3_3 Depth=1
	s_or_b32 exec_lo, exec_lo, s1
.LBB3_315:                              ;   in Loop: Header=BB3_3 Depth=1
	s_delay_alu instid0(SALU_CYCLE_1)
	s_or_b32 exec_lo, exec_lo, s0
	s_and_saveexec_b32 s0, s91
; %bb.316:                              ;   in Loop: Header=BB3_3 Depth=1
	s_delay_alu instid0(VALU_DEP_1)
	v_xor_b32_e32 v32, 0x80000000, v29
	ds_store_b32 v41, v32
; %bb.317:                              ;   in Loop: Header=BB3_3 Depth=1
	s_or_b32 exec_lo, exec_lo, s0
	s_wait_loadcnt_dscnt 0x0
	s_barrier_signal -1
	s_barrier_wait -1
	s_and_saveexec_b32 s0, s92
	s_cbranch_execz .LBB3_319
; %bb.318:                              ;   in Loop: Header=BB3_3 Depth=1
	ds_load_b32 v32, v3 offset:11696
	ds_load_b32 v33, v41
	s_wait_dscnt 0x0
	v_fma_f32 v29, -v32, v33, v29
.LBB3_319:                              ;   in Loop: Header=BB3_3 Depth=1
	s_or_b32 exec_lo, exec_lo, s0
	s_barrier_signal -1
	s_barrier_wait -1
	s_and_saveexec_b32 s0, s92
; %bb.320:                              ;   in Loop: Header=BB3_3 Depth=1
	v_xor_b32_e32 v32, 0x80000000, v29
	ds_store_b32 v41, v32
; %bb.321:                              ;   in Loop: Header=BB3_3 Depth=1
	s_or_b32 exec_lo, exec_lo, s0
	s_wait_dscnt 0x0
	s_barrier_signal -1
	s_barrier_wait -1
	s_barrier_signal -1
	s_barrier_wait -1
	s_and_saveexec_b32 s0, s2
; %bb.322:                              ;   in Loop: Header=BB3_3 Depth=1
	ds_store_b32 v46, v29 offset:12208
; %bb.323:                              ;   in Loop: Header=BB3_3 Depth=1
	s_or_b32 exec_lo, exec_lo, s0
	s_wait_dscnt 0x0
	s_barrier_signal -1
	s_barrier_wait -1
	s_barrier_signal -1
	s_barrier_wait -1
	s_and_saveexec_b32 s0, s93
	s_cbranch_execz .LBB3_325
; %bb.324:                              ;   in Loop: Header=BB3_3 Depth=1
	ds_load_b32 v29, v34 offset:11952
	s_wait_dscnt 0x0
	ds_store_b32 v9, v29 offset:11448
	ds_load_b32 v29, v34 offset:11956
	s_wait_dscnt 0x0
	ds_store_b32 v9, v29 offset:11704
.LBB3_325:                              ;   in Loop: Header=BB3_3 Depth=1
	s_or_b32 exec_lo, exec_lo, s0
	s_wait_dscnt 0x0
	s_barrier_signal -1
	s_barrier_wait -1
	s_and_saveexec_b32 s0, s13
	s_cbranch_execz .LBB3_327
; %bb.326:                              ;   in Loop: Header=BB3_3 Depth=1
	ds_load_b32 v29, v3 offset:11696
	ds_store_b32 v3, v28 offset:11700
	s_wait_dscnt 0x1
	ds_store_b64 v3, v[28:29] offset:11440
.LBB3_327:                              ;   in Loop: Header=BB3_3 Depth=1
	s_or_b32 exec_lo, exec_lo, s0
	v_mov_b32_e32 v29, 0
	s_wait_dscnt 0x0
	s_barrier_signal -1
	s_barrier_wait -1
	global_wb scope:SCOPE_DEV
	s_wait_storecnt 0x0
	global_inv scope:SCOPE_DEV
	s_and_saveexec_b32 s0, s4
	s_cbranch_execz .LBB3_333
; %bb.328:                              ;   in Loop: Header=BB3_3 Depth=1
	ds_load_b32 v29, v48 offset:11424
	ds_load_b32 v32, v50 offset:12208
	s_wait_dscnt 0x0
	v_fma_f32 v29, v29, v32, 0
	s_and_saveexec_b32 s1, s15
	s_cbranch_execnz .LBB3_1189
; %bb.329:                              ;   in Loop: Header=BB3_3 Depth=1
	s_or_b32 exec_lo, exec_lo, s1
	s_and_saveexec_b32 s1, s16
	s_cbranch_execnz .LBB3_1190
.LBB3_330:                              ;   in Loop: Header=BB3_3 Depth=1
	s_or_b32 exec_lo, exec_lo, s1
	s_and_saveexec_b32 s1, s2
	s_cbranch_execz .LBB3_332
.LBB3_331:                              ;   in Loop: Header=BB3_3 Depth=1
	ds_load_b32 v32, v35 offset:12192
	ds_load_b32 v33, v3 offset:12220
	s_wait_dscnt 0x0
	v_fmac_f32_e32 v29, v32, v33
.LBB3_332:                              ;   in Loop: Header=BB3_3 Depth=1
	s_or_b32 exec_lo, exec_lo, s1
.LBB3_333:                              ;   in Loop: Header=BB3_3 Depth=1
	s_delay_alu instid0(SALU_CYCLE_1)
	s_or_b32 exec_lo, exec_lo, s0
	s_and_saveexec_b32 s0, s94
; %bb.334:                              ;   in Loop: Header=BB3_3 Depth=1
	s_delay_alu instid0(VALU_DEP_1)
	v_xor_b32_e32 v32, 0x80000000, v29
	ds_store_b32 v47, v32
; %bb.335:                              ;   in Loop: Header=BB3_3 Depth=1
	s_or_b32 exec_lo, exec_lo, s0
	s_wait_loadcnt_dscnt 0x0
	s_barrier_signal -1
	s_barrier_wait -1
	s_and_saveexec_b32 s0, s95
	s_cbranch_execz .LBB3_337
; %bb.336:                              ;   in Loop: Header=BB3_3 Depth=1
	ds_load_b32 v32, v48 offset:11168
	ds_load_b32 v33, v47
	s_wait_dscnt 0x0
	v_fma_f32 v29, -v32, v33, v29
.LBB3_337:                              ;   in Loop: Header=BB3_3 Depth=1
	s_or_b32 exec_lo, exec_lo, s0
	s_barrier_signal -1
	s_barrier_wait -1
	s_and_saveexec_b32 s0, s96
; %bb.338:                              ;   in Loop: Header=BB3_3 Depth=1
	v_xor_b32_e32 v32, 0x80000000, v29
	ds_store_b32 v47, v32
; %bb.339:                              ;   in Loop: Header=BB3_3 Depth=1
	s_or_b32 exec_lo, exec_lo, s0
	s_wait_dscnt 0x0
	s_barrier_signal -1
	s_barrier_wait -1
	s_and_saveexec_b32 s0, s97
	s_cbranch_execz .LBB3_341
; %bb.340:                              ;   in Loop: Header=BB3_3 Depth=1
	ds_load_b32 v32, v48 offset:10912
	ds_load_b32 v33, v47
	s_wait_dscnt 0x0
	v_fma_f32 v29, -v32, v33, v29
.LBB3_341:                              ;   in Loop: Header=BB3_3 Depth=1
	s_or_b32 exec_lo, exec_lo, s0
	s_barrier_signal -1
	s_barrier_wait -1
	s_and_saveexec_b32 s0, s98
; %bb.342:                              ;   in Loop: Header=BB3_3 Depth=1
	v_xor_b32_e32 v32, 0x80000000, v29
	ds_store_b32 v47, v32
; %bb.343:                              ;   in Loop: Header=BB3_3 Depth=1
	s_or_b32 exec_lo, exec_lo, s0
	s_wait_dscnt 0x0
	;; [unrolled: 20-line block ×3, first 2 shown]
	s_barrier_signal -1
	s_barrier_wait -1
	s_barrier_signal -1
	s_barrier_wait -1
	s_and_saveexec_b32 s0, s4
; %bb.348:                              ;   in Loop: Header=BB3_3 Depth=1
	ds_store_b32 v51, v29 offset:12192
; %bb.349:                              ;   in Loop: Header=BB3_3 Depth=1
	s_or_b32 exec_lo, exec_lo, s0
	s_wait_dscnt 0x0
	s_barrier_signal -1
	s_barrier_wait -1
	s_barrier_signal -1
	s_barrier_wait -1
	s_and_saveexec_b32 s0, s100
	s_cbranch_execz .LBB3_351
; %bb.350:                              ;   in Loop: Header=BB3_3 Depth=1
	ds_load_b32 v29, v36 offset:11424
	s_wait_dscnt 0x0
	ds_store_b32 v37, v29 offset:10416
	ds_load_b32 v29, v36 offset:11428
	s_wait_dscnt 0x0
	ds_store_b32 v37, v29 offset:10672
	;; [unrolled: 3-line block ×4, first 2 shown]
.LBB3_351:                              ;   in Loop: Header=BB3_3 Depth=1
	s_or_b32 exec_lo, exec_lo, s0
	s_wait_dscnt 0x0
	s_barrier_signal -1
	s_barrier_wait -1
	s_and_saveexec_b32 s0, s13
	s_cbranch_execz .LBB3_353
; %bb.352:                              ;   in Loop: Header=BB3_3 Depth=1
	ds_load_b32 v29, v3 offset:11176
	ds_store_b32 v3, v28 offset:11180
	s_wait_dscnt 0x1
	ds_store_b64 v3, v[28:29] offset:10920
.LBB3_353:                              ;   in Loop: Header=BB3_3 Depth=1
	s_or_b32 exec_lo, exec_lo, s0
	v_mov_b32_e32 v29, 0
	s_wait_dscnt 0x0
	s_barrier_signal -1
	s_barrier_wait -1
	global_wb scope:SCOPE_DEV
	s_wait_storecnt 0x0
	global_inv scope:SCOPE_DEV
	s_and_saveexec_b32 s0, s2
	s_cbranch_execz .LBB3_357
; %bb.354:                              ;   in Loop: Header=BB3_3 Depth=1
	ds_load_b32 v29, v43 offset:10912
	ds_load_b32 v32, v44 offset:11176
	s_wait_dscnt 0x0
	v_fma_f32 v29, v29, v32, 0
	s_and_saveexec_b32 s1, s14
	s_cbranch_execz .LBB3_356
; %bb.355:                              ;   in Loop: Header=BB3_3 Depth=1
	ds_load_b32 v32, v37 offset:11168
	ds_load_b32 v33, v3 offset:11180
	s_wait_dscnt 0x0
	v_fmac_f32_e32 v29, v32, v33
.LBB3_356:                              ;   in Loop: Header=BB3_3 Depth=1
	s_or_b32 exec_lo, exec_lo, s1
.LBB3_357:                              ;   in Loop: Header=BB3_3 Depth=1
	s_delay_alu instid0(SALU_CYCLE_1)
	s_or_b32 exec_lo, exec_lo, s0
	s_and_saveexec_b32 s0, s91
; %bb.358:                              ;   in Loop: Header=BB3_3 Depth=1
	s_delay_alu instid0(VALU_DEP_1)
	v_xor_b32_e32 v32, 0x80000000, v29
	ds_store_b32 v41, v32
; %bb.359:                              ;   in Loop: Header=BB3_3 Depth=1
	s_or_b32 exec_lo, exec_lo, s0
	s_wait_loadcnt_dscnt 0x0
	s_barrier_signal -1
	s_barrier_wait -1
	s_and_saveexec_b32 s0, s92
	s_cbranch_execz .LBB3_361
; %bb.360:                              ;   in Loop: Header=BB3_3 Depth=1
	ds_load_b32 v32, v3 offset:10656
	ds_load_b32 v33, v41
	s_wait_dscnt 0x0
	v_fma_f32 v29, -v32, v33, v29
.LBB3_361:                              ;   in Loop: Header=BB3_3 Depth=1
	s_or_b32 exec_lo, exec_lo, s0
	s_barrier_signal -1
	s_barrier_wait -1
	s_and_saveexec_b32 s0, s92
; %bb.362:                              ;   in Loop: Header=BB3_3 Depth=1
	v_xor_b32_e32 v32, 0x80000000, v29
	ds_store_b32 v41, v32
; %bb.363:                              ;   in Loop: Header=BB3_3 Depth=1
	s_or_b32 exec_lo, exec_lo, s0
	s_wait_dscnt 0x0
	s_barrier_signal -1
	s_barrier_wait -1
	s_barrier_signal -1
	s_barrier_wait -1
	s_and_saveexec_b32 s0, s2
; %bb.364:                              ;   in Loop: Header=BB3_3 Depth=1
	ds_store_b32 v46, v29 offset:11168
; %bb.365:                              ;   in Loop: Header=BB3_3 Depth=1
	s_or_b32 exec_lo, exec_lo, s0
	s_wait_dscnt 0x0
	s_barrier_signal -1
	s_barrier_wait -1
	s_barrier_signal -1
	s_barrier_wait -1
	s_and_saveexec_b32 s0, s93
	s_cbranch_execz .LBB3_367
; %bb.366:                              ;   in Loop: Header=BB3_3 Depth=1
	ds_load_b32 v29, v38 offset:10912
	s_wait_dscnt 0x0
	ds_store_b32 v37, v29 offset:10408
	ds_load_b32 v29, v38 offset:10916
	s_wait_dscnt 0x0
	ds_store_b32 v37, v29 offset:10664
.LBB3_367:                              ;   in Loop: Header=BB3_3 Depth=1
	s_or_b32 exec_lo, exec_lo, s0
	s_wait_dscnt 0x0
	s_barrier_signal -1
	s_barrier_wait -1
	s_and_saveexec_b32 s0, s13
	s_cbranch_execz .LBB3_369
; %bb.368:                              ;   in Loop: Header=BB3_3 Depth=1
	ds_load_b32 v29, v3 offset:10656
	ds_store_b32 v3, v28 offset:10660
	s_wait_dscnt 0x1
	ds_store_b64 v3, v[28:29] offset:10400
.LBB3_369:                              ;   in Loop: Header=BB3_3 Depth=1
	s_or_b32 exec_lo, exec_lo, s0
	v_mov_b32_e32 v29, 0
	s_wait_dscnt 0x0
	s_barrier_signal -1
	s_barrier_wait -1
	global_wb scope:SCOPE_DEV
	s_wait_storecnt 0x0
	global_inv scope:SCOPE_DEV
	s_and_saveexec_b32 s0, s5
	s_cbranch_execz .LBB3_379
; %bb.370:                              ;   in Loop: Header=BB3_3 Depth=1
	ds_load_b32 v29, v53 offset:10368
	ds_load_b32 v32, v56 offset:12192
	s_wait_dscnt 0x0
	v_fma_f32 v29, v29, v32, 0
	s_and_saveexec_b32 s1, s17
	s_cbranch_execnz .LBB3_1191
; %bb.371:                              ;   in Loop: Header=BB3_3 Depth=1
	s_or_b32 exec_lo, exec_lo, s1
	s_and_saveexec_b32 s1, s18
	s_cbranch_execnz .LBB3_1192
.LBB3_372:                              ;   in Loop: Header=BB3_3 Depth=1
	s_or_b32 exec_lo, exec_lo, s1
	s_and_saveexec_b32 s1, s19
	s_cbranch_execnz .LBB3_1193
.LBB3_373:                              ;   in Loop: Header=BB3_3 Depth=1
	s_or_b32 exec_lo, exec_lo, s1
	s_and_saveexec_b32 s1, s20
	s_cbranch_execnz .LBB3_1194
.LBB3_374:                              ;   in Loop: Header=BB3_3 Depth=1
	s_or_b32 exec_lo, exec_lo, s1
	s_and_saveexec_b32 s1, s21
	s_cbranch_execnz .LBB3_1195
.LBB3_375:                              ;   in Loop: Header=BB3_3 Depth=1
	s_or_b32 exec_lo, exec_lo, s1
	s_and_saveexec_b32 s1, s4
	s_cbranch_execnz .LBB3_1196
.LBB3_376:                              ;   in Loop: Header=BB3_3 Depth=1
	s_or_b32 exec_lo, exec_lo, s1
	s_and_saveexec_b32 s1, s16
	s_cbranch_execz .LBB3_378
.LBB3_377:                              ;   in Loop: Header=BB3_3 Depth=1
	ds_load_b32 v32, v39 offset:12160
	ds_load_b32 v33, v3 offset:12220
	s_wait_dscnt 0x0
	v_fmac_f32_e32 v29, v32, v33
.LBB3_378:                              ;   in Loop: Header=BB3_3 Depth=1
	s_or_b32 exec_lo, exec_lo, s1
.LBB3_379:                              ;   in Loop: Header=BB3_3 Depth=1
	s_delay_alu instid0(SALU_CYCLE_1)
	s_or_b32 exec_lo, exec_lo, s0
	s_and_saveexec_b32 s0, s101
; %bb.380:                              ;   in Loop: Header=BB3_3 Depth=1
	s_delay_alu instid0(VALU_DEP_1)
	v_xor_b32_e32 v32, 0x80000000, v29
	ds_store_b32 v54, v32
; %bb.381:                              ;   in Loop: Header=BB3_3 Depth=1
	s_or_b32 exec_lo, exec_lo, s0
	s_wait_loadcnt_dscnt 0x0
	s_barrier_signal -1
	s_barrier_wait -1
	s_and_saveexec_b32 s0, s102
	s_cbranch_execz .LBB3_383
; %bb.382:                              ;   in Loop: Header=BB3_3 Depth=1
	ds_load_b32 v32, v53 offset:10112
	ds_load_b32 v33, v54
	s_wait_dscnt 0x0
	v_fma_f32 v29, -v32, v33, v29
.LBB3_383:                              ;   in Loop: Header=BB3_3 Depth=1
	s_or_b32 exec_lo, exec_lo, s0
	s_barrier_signal -1
	s_barrier_wait -1
	s_and_saveexec_b32 s0, s103
; %bb.384:                              ;   in Loop: Header=BB3_3 Depth=1
	v_xor_b32_e32 v32, 0x80000000, v29
	ds_store_b32 v54, v32
; %bb.385:                              ;   in Loop: Header=BB3_3 Depth=1
	s_or_b32 exec_lo, exec_lo, s0
	s_wait_dscnt 0x0
	s_barrier_signal -1
	s_barrier_wait -1
	s_and_saveexec_b32 s0, s104
	s_cbranch_execz .LBB3_387
; %bb.386:                              ;   in Loop: Header=BB3_3 Depth=1
	ds_load_b32 v32, v53 offset:9856
	ds_load_b32 v33, v54
	s_wait_dscnt 0x0
	v_fma_f32 v29, -v32, v33, v29
.LBB3_387:                              ;   in Loop: Header=BB3_3 Depth=1
	s_or_b32 exec_lo, exec_lo, s0
	s_barrier_signal -1
	s_barrier_wait -1
	s_and_saveexec_b32 s0, vcc_hi
; %bb.388:                              ;   in Loop: Header=BB3_3 Depth=1
	v_xor_b32_e32 v32, 0x80000000, v29
	ds_store_b32 v54, v32
; %bb.389:                              ;   in Loop: Header=BB3_3 Depth=1
	s_or_b32 exec_lo, exec_lo, s0
	s_wait_dscnt 0x0
	s_barrier_signal -1
	s_barrier_wait -1
	s_and_saveexec_b32 s0, s34
	s_cbranch_execz .LBB3_391
; %bb.390:                              ;   in Loop: Header=BB3_3 Depth=1
	ds_load_b32 v32, v53 offset:9600
	ds_load_b32 v33, v54
	s_wait_dscnt 0x0
	v_fma_f32 v29, -v32, v33, v29
.LBB3_391:                              ;   in Loop: Header=BB3_3 Depth=1
	s_or_b32 exec_lo, exec_lo, s0
	s_barrier_signal -1
	s_barrier_wait -1
	s_and_saveexec_b32 s0, s35
; %bb.392:                              ;   in Loop: Header=BB3_3 Depth=1
	v_xor_b32_e32 v32, 0x80000000, v29
	ds_store_b32 v54, v32
; %bb.393:                              ;   in Loop: Header=BB3_3 Depth=1
	s_or_b32 exec_lo, exec_lo, s0
	s_wait_dscnt 0x0
	s_barrier_signal -1
	s_barrier_wait -1
	s_and_saveexec_b32 s0, s36
	s_cbranch_execz .LBB3_395
; %bb.394:                              ;   in Loop: Header=BB3_3 Depth=1
	ds_load_b32 v32, v53 offset:9344
	ds_load_b32 v33, v54
	s_wait_dscnt 0x0
	v_fma_f32 v29, -v32, v33, v29
.LBB3_395:                              ;   in Loop: Header=BB3_3 Depth=1
	s_or_b32 exec_lo, exec_lo, s0
	s_barrier_signal -1
	s_barrier_wait -1
	s_and_saveexec_b32 s0, s37
	;; [unrolled: 20-line block ×5, first 2 shown]
; %bb.408:                              ;   in Loop: Header=BB3_3 Depth=1
	v_xor_b32_e32 v32, 0x80000000, v29
	ds_store_b32 v54, v32
; %bb.409:                              ;   in Loop: Header=BB3_3 Depth=1
	s_or_b32 exec_lo, exec_lo, s0
	s_wait_dscnt 0x0
	s_barrier_signal -1
	s_barrier_wait -1
	s_barrier_signal -1
	s_barrier_wait -1
	s_and_saveexec_b32 s0, s5
; %bb.410:                              ;   in Loop: Header=BB3_3 Depth=1
	ds_store_b32 v57, v29 offset:12160
; %bb.411:                              ;   in Loop: Header=BB3_3 Depth=1
	s_or_b32 exec_lo, exec_lo, s0
	s_wait_dscnt 0x0
	s_barrier_signal -1
	s_barrier_wait -1
	s_barrier_signal -1
	s_barrier_wait -1
	s_and_saveexec_b32 s0, s43
	s_cbranch_execz .LBB3_413
; %bb.412:                              ;   in Loop: Header=BB3_3 Depth=1
	ds_load_b32 v29, v40 offset:10368
	s_wait_dscnt 0x0
	ds_store_b32 v42, v29 offset:8352
	ds_load_b32 v29, v40 offset:10372
	s_wait_dscnt 0x0
	ds_store_b32 v42, v29 offset:8608
	;; [unrolled: 3-line block ×8, first 2 shown]
.LBB3_413:                              ;   in Loop: Header=BB3_3 Depth=1
	s_or_b32 exec_lo, exec_lo, s0
	s_wait_dscnt 0x0
	s_barrier_signal -1
	s_barrier_wait -1
	s_and_saveexec_b32 s0, s13
	s_cbranch_execz .LBB3_415
; %bb.414:                              ;   in Loop: Header=BB3_3 Depth=1
	ds_load_b32 v29, v3 offset:10136
	ds_store_b32 v3, v28 offset:10140
	s_wait_dscnt 0x1
	ds_store_b64 v3, v[28:29] offset:9880
.LBB3_415:                              ;   in Loop: Header=BB3_3 Depth=1
	s_or_b32 exec_lo, exec_lo, s0
	v_mov_b32_e32 v29, 0
	s_wait_dscnt 0x0
	s_barrier_signal -1
	s_barrier_wait -1
	global_wb scope:SCOPE_DEV
	s_wait_storecnt 0x0
	global_inv scope:SCOPE_DEV
	s_and_saveexec_b32 s0, s2
	s_cbranch_execz .LBB3_419
; %bb.416:                              ;   in Loop: Header=BB3_3 Depth=1
	ds_load_b32 v29, v43 offset:9872
	ds_load_b32 v32, v44 offset:10136
	s_wait_dscnt 0x0
	v_fma_f32 v29, v29, v32, 0
	s_and_saveexec_b32 s1, s14
	s_cbranch_execz .LBB3_418
; %bb.417:                              ;   in Loop: Header=BB3_3 Depth=1
	ds_load_b32 v32, v42 offset:10128
	ds_load_b32 v33, v3 offset:10140
	s_wait_dscnt 0x0
	v_fmac_f32_e32 v29, v32, v33
.LBB3_418:                              ;   in Loop: Header=BB3_3 Depth=1
	s_or_b32 exec_lo, exec_lo, s1
.LBB3_419:                              ;   in Loop: Header=BB3_3 Depth=1
	s_delay_alu instid0(SALU_CYCLE_1)
	s_or_b32 exec_lo, exec_lo, s0
	s_and_saveexec_b32 s0, s91
; %bb.420:                              ;   in Loop: Header=BB3_3 Depth=1
	s_delay_alu instid0(VALU_DEP_1)
	v_xor_b32_e32 v32, 0x80000000, v29
	ds_store_b32 v41, v32
; %bb.421:                              ;   in Loop: Header=BB3_3 Depth=1
	s_or_b32 exec_lo, exec_lo, s0
	s_wait_loadcnt_dscnt 0x0
	s_barrier_signal -1
	s_barrier_wait -1
	s_and_saveexec_b32 s0, s92
	s_cbranch_execz .LBB3_423
; %bb.422:                              ;   in Loop: Header=BB3_3 Depth=1
	ds_load_b32 v32, v3 offset:9616
	ds_load_b32 v33, v41
	s_wait_dscnt 0x0
	v_fma_f32 v29, -v32, v33, v29
.LBB3_423:                              ;   in Loop: Header=BB3_3 Depth=1
	s_or_b32 exec_lo, exec_lo, s0
	s_barrier_signal -1
	s_barrier_wait -1
	s_and_saveexec_b32 s0, s92
; %bb.424:                              ;   in Loop: Header=BB3_3 Depth=1
	v_xor_b32_e32 v32, 0x80000000, v29
	ds_store_b32 v41, v32
; %bb.425:                              ;   in Loop: Header=BB3_3 Depth=1
	s_or_b32 exec_lo, exec_lo, s0
	s_wait_dscnt 0x0
	s_barrier_signal -1
	s_barrier_wait -1
	s_barrier_signal -1
	s_barrier_wait -1
	s_and_saveexec_b32 s0, s2
; %bb.426:                              ;   in Loop: Header=BB3_3 Depth=1
	ds_store_b32 v46, v29 offset:10128
; %bb.427:                              ;   in Loop: Header=BB3_3 Depth=1
	s_or_b32 exec_lo, exec_lo, s0
	s_wait_dscnt 0x0
	s_barrier_signal -1
	s_barrier_wait -1
	s_barrier_signal -1
	s_barrier_wait -1
	s_and_saveexec_b32 s0, s93
	s_cbranch_execz .LBB3_429
; %bb.428:                              ;   in Loop: Header=BB3_3 Depth=1
	ds_load_b32 v29, v45 offset:9872
	s_wait_dscnt 0x0
	ds_store_b32 v42, v29 offset:9368
	ds_load_b32 v29, v45 offset:9876
	s_wait_dscnt 0x0
	ds_store_b32 v42, v29 offset:9624
.LBB3_429:                              ;   in Loop: Header=BB3_3 Depth=1
	s_or_b32 exec_lo, exec_lo, s0
	s_wait_dscnt 0x0
	s_barrier_signal -1
	s_barrier_wait -1
	s_and_saveexec_b32 s0, s13
	s_cbranch_execz .LBB3_431
; %bb.430:                              ;   in Loop: Header=BB3_3 Depth=1
	ds_load_b32 v29, v3 offset:9616
	ds_store_b32 v3, v28 offset:9620
	s_wait_dscnt 0x1
	ds_store_b64 v3, v[28:29] offset:9360
.LBB3_431:                              ;   in Loop: Header=BB3_3 Depth=1
	s_or_b32 exec_lo, exec_lo, s0
	v_mov_b32_e32 v29, 0
	s_wait_dscnt 0x0
	s_barrier_signal -1
	s_barrier_wait -1
	global_wb scope:SCOPE_DEV
	s_wait_storecnt 0x0
	global_inv scope:SCOPE_DEV
	s_and_saveexec_b32 s0, s4
	s_cbranch_execz .LBB3_437
; %bb.432:                              ;   in Loop: Header=BB3_3 Depth=1
	ds_load_b32 v29, v48 offset:9344
	ds_load_b32 v32, v50 offset:10128
	s_wait_dscnt 0x0
	v_fma_f32 v29, v29, v32, 0
	s_and_saveexec_b32 s1, s15
	s_cbranch_execnz .LBB3_1197
; %bb.433:                              ;   in Loop: Header=BB3_3 Depth=1
	s_or_b32 exec_lo, exec_lo, s1
	s_and_saveexec_b32 s1, s16
	s_cbranch_execnz .LBB3_1198
.LBB3_434:                              ;   in Loop: Header=BB3_3 Depth=1
	s_or_b32 exec_lo, exec_lo, s1
	s_and_saveexec_b32 s1, s2
	s_cbranch_execz .LBB3_436
.LBB3_435:                              ;   in Loop: Header=BB3_3 Depth=1
	ds_load_b32 v32, v49 offset:10112
	ds_load_b32 v33, v3 offset:10140
	s_wait_dscnt 0x0
	v_fmac_f32_e32 v29, v32, v33
.LBB3_436:                              ;   in Loop: Header=BB3_3 Depth=1
	s_or_b32 exec_lo, exec_lo, s1
.LBB3_437:                              ;   in Loop: Header=BB3_3 Depth=1
	s_delay_alu instid0(SALU_CYCLE_1)
	s_or_b32 exec_lo, exec_lo, s0
	s_and_saveexec_b32 s0, s94
; %bb.438:                              ;   in Loop: Header=BB3_3 Depth=1
	s_delay_alu instid0(VALU_DEP_1)
	v_xor_b32_e32 v32, 0x80000000, v29
	ds_store_b32 v47, v32
; %bb.439:                              ;   in Loop: Header=BB3_3 Depth=1
	s_or_b32 exec_lo, exec_lo, s0
	s_wait_loadcnt_dscnt 0x0
	s_barrier_signal -1
	s_barrier_wait -1
	s_and_saveexec_b32 s0, s95
	s_cbranch_execz .LBB3_441
; %bb.440:                              ;   in Loop: Header=BB3_3 Depth=1
	ds_load_b32 v32, v48 offset:9088
	ds_load_b32 v33, v47
	s_wait_dscnt 0x0
	v_fma_f32 v29, -v32, v33, v29
.LBB3_441:                              ;   in Loop: Header=BB3_3 Depth=1
	s_or_b32 exec_lo, exec_lo, s0
	s_barrier_signal -1
	s_barrier_wait -1
	s_and_saveexec_b32 s0, s96
; %bb.442:                              ;   in Loop: Header=BB3_3 Depth=1
	v_xor_b32_e32 v32, 0x80000000, v29
	ds_store_b32 v47, v32
; %bb.443:                              ;   in Loop: Header=BB3_3 Depth=1
	s_or_b32 exec_lo, exec_lo, s0
	s_wait_dscnt 0x0
	s_barrier_signal -1
	s_barrier_wait -1
	s_and_saveexec_b32 s0, s97
	s_cbranch_execz .LBB3_445
; %bb.444:                              ;   in Loop: Header=BB3_3 Depth=1
	ds_load_b32 v32, v48 offset:8832
	ds_load_b32 v33, v47
	s_wait_dscnt 0x0
	v_fma_f32 v29, -v32, v33, v29
.LBB3_445:                              ;   in Loop: Header=BB3_3 Depth=1
	s_or_b32 exec_lo, exec_lo, s0
	s_barrier_signal -1
	s_barrier_wait -1
	s_and_saveexec_b32 s0, s98
; %bb.446:                              ;   in Loop: Header=BB3_3 Depth=1
	v_xor_b32_e32 v32, 0x80000000, v29
	ds_store_b32 v47, v32
; %bb.447:                              ;   in Loop: Header=BB3_3 Depth=1
	s_or_b32 exec_lo, exec_lo, s0
	s_wait_dscnt 0x0
	;; [unrolled: 20-line block ×3, first 2 shown]
	s_barrier_signal -1
	s_barrier_wait -1
	s_barrier_signal -1
	s_barrier_wait -1
	s_and_saveexec_b32 s0, s4
; %bb.452:                              ;   in Loop: Header=BB3_3 Depth=1
	ds_store_b32 v51, v29 offset:10112
; %bb.453:                              ;   in Loop: Header=BB3_3 Depth=1
	s_or_b32 exec_lo, exec_lo, s0
	s_wait_dscnt 0x0
	s_barrier_signal -1
	s_barrier_wait -1
	s_barrier_signal -1
	s_barrier_wait -1
	s_and_saveexec_b32 s0, s100
	s_cbranch_execz .LBB3_455
; %bb.454:                              ;   in Loop: Header=BB3_3 Depth=1
	ds_load_b32 v29, v52 offset:9344
	s_wait_dscnt 0x0
	ds_store_b32 v55, v29 offset:8336
	ds_load_b32 v29, v52 offset:9348
	s_wait_dscnt 0x0
	ds_store_b32 v55, v29 offset:8592
	;; [unrolled: 3-line block ×4, first 2 shown]
.LBB3_455:                              ;   in Loop: Header=BB3_3 Depth=1
	s_or_b32 exec_lo, exec_lo, s0
	s_wait_dscnt 0x0
	s_barrier_signal -1
	s_barrier_wait -1
	s_and_saveexec_b32 s0, s13
	s_cbranch_execz .LBB3_457
; %bb.456:                              ;   in Loop: Header=BB3_3 Depth=1
	ds_load_b32 v29, v3 offset:9096
	ds_store_b32 v3, v28 offset:9100
	s_wait_dscnt 0x1
	ds_store_b64 v3, v[28:29] offset:8840
.LBB3_457:                              ;   in Loop: Header=BB3_3 Depth=1
	s_or_b32 exec_lo, exec_lo, s0
	v_mov_b32_e32 v29, 0
	s_wait_dscnt 0x0
	s_barrier_signal -1
	s_barrier_wait -1
	global_wb scope:SCOPE_DEV
	s_wait_storecnt 0x0
	global_inv scope:SCOPE_DEV
	s_and_saveexec_b32 s0, s2
	s_cbranch_execz .LBB3_461
; %bb.458:                              ;   in Loop: Header=BB3_3 Depth=1
	ds_load_b32 v29, v43 offset:8832
	ds_load_b32 v32, v44 offset:9096
	s_wait_dscnt 0x0
	v_fma_f32 v29, v29, v32, 0
	s_and_saveexec_b32 s1, s14
	s_cbranch_execz .LBB3_460
; %bb.459:                              ;   in Loop: Header=BB3_3 Depth=1
	ds_load_b32 v32, v55 offset:9088
	ds_load_b32 v33, v3 offset:9100
	s_wait_dscnt 0x0
	v_fmac_f32_e32 v29, v32, v33
.LBB3_460:                              ;   in Loop: Header=BB3_3 Depth=1
	s_or_b32 exec_lo, exec_lo, s1
.LBB3_461:                              ;   in Loop: Header=BB3_3 Depth=1
	s_delay_alu instid0(SALU_CYCLE_1)
	s_or_b32 exec_lo, exec_lo, s0
	s_and_saveexec_b32 s0, s91
; %bb.462:                              ;   in Loop: Header=BB3_3 Depth=1
	s_delay_alu instid0(VALU_DEP_1)
	v_xor_b32_e32 v32, 0x80000000, v29
	ds_store_b32 v41, v32
; %bb.463:                              ;   in Loop: Header=BB3_3 Depth=1
	s_or_b32 exec_lo, exec_lo, s0
	s_wait_loadcnt_dscnt 0x0
	s_barrier_signal -1
	s_barrier_wait -1
	s_and_saveexec_b32 s0, s92
	s_cbranch_execz .LBB3_465
; %bb.464:                              ;   in Loop: Header=BB3_3 Depth=1
	ds_load_b32 v32, v3 offset:8576
	ds_load_b32 v33, v41
	s_wait_dscnt 0x0
	v_fma_f32 v29, -v32, v33, v29
.LBB3_465:                              ;   in Loop: Header=BB3_3 Depth=1
	s_or_b32 exec_lo, exec_lo, s0
	s_barrier_signal -1
	s_barrier_wait -1
	s_and_saveexec_b32 s0, s92
; %bb.466:                              ;   in Loop: Header=BB3_3 Depth=1
	v_xor_b32_e32 v32, 0x80000000, v29
	ds_store_b32 v41, v32
; %bb.467:                              ;   in Loop: Header=BB3_3 Depth=1
	s_or_b32 exec_lo, exec_lo, s0
	s_wait_dscnt 0x0
	s_barrier_signal -1
	s_barrier_wait -1
	s_barrier_signal -1
	s_barrier_wait -1
	s_and_saveexec_b32 s0, s2
; %bb.468:                              ;   in Loop: Header=BB3_3 Depth=1
	ds_store_b32 v46, v29 offset:9088
; %bb.469:                              ;   in Loop: Header=BB3_3 Depth=1
	s_or_b32 exec_lo, exec_lo, s0
	s_wait_dscnt 0x0
	s_barrier_signal -1
	s_barrier_wait -1
	s_barrier_signal -1
	s_barrier_wait -1
	s_and_saveexec_b32 s0, s93
	s_cbranch_execz .LBB3_471
; %bb.470:                              ;   in Loop: Header=BB3_3 Depth=1
	ds_load_b32 v29, v58 offset:8832
	s_wait_dscnt 0x0
	ds_store_b32 v55, v29 offset:8328
	ds_load_b32 v29, v58 offset:8836
	s_wait_dscnt 0x0
	ds_store_b32 v55, v29 offset:8584
.LBB3_471:                              ;   in Loop: Header=BB3_3 Depth=1
	s_or_b32 exec_lo, exec_lo, s0
	s_wait_dscnt 0x0
	s_barrier_signal -1
	s_barrier_wait -1
	s_and_saveexec_b32 s0, s13
	s_cbranch_execz .LBB3_473
; %bb.472:                              ;   in Loop: Header=BB3_3 Depth=1
	ds_load_b32 v29, v3 offset:8576
	ds_store_b32 v3, v28 offset:8580
	s_wait_dscnt 0x1
	ds_store_b64 v3, v[28:29] offset:8320
.LBB3_473:                              ;   in Loop: Header=BB3_3 Depth=1
	s_or_b32 exec_lo, exec_lo, s0
	v_mov_b32_e32 v29, 0
	s_wait_dscnt 0x0
	s_barrier_signal -1
	s_barrier_wait -1
	global_wb scope:SCOPE_DEV
	s_wait_storecnt 0x0
	global_inv scope:SCOPE_DEV
	s_and_saveexec_b32 s0, s7
	s_cbranch_execz .LBB3_535
; %bb.474:                              ;   in Loop: Header=BB3_3 Depth=1
	ds_load_b32 v29, v62 offset:8192
	ds_load_b32 v32, v65 offset:16256
	s_wait_dscnt 0x0
	v_fma_f32 v29, v29, v32, 0
	s_mov_b32 s1, exec_lo
	v_readlane_b32 s60, v87, 27
	s_and_b32 s60, s1, s60
	s_delay_alu instid0(SALU_CYCLE_1)
	s_mov_b32 exec_lo, s60
	s_cbranch_execz .LBB3_476
; %bb.475:                              ;   in Loop: Header=BB3_3 Depth=1
	ds_load_b32 v32, v62 offset:8448
	ds_load_b32 v33, v65 offset:16260
	s_wait_dscnt 0x0
	v_fmac_f32_e32 v29, v32, v33
.LBB3_476:                              ;   in Loop: Header=BB3_3 Depth=1
	s_or_b32 exec_lo, exec_lo, s1
	s_delay_alu instid0(SALU_CYCLE_1) | instskip(SKIP_2) | instid1(SALU_CYCLE_1)
	s_mov_b32 s1, exec_lo
	v_readlane_b32 s60, v87, 28
	s_and_b32 s60, s1, s60
	s_mov_b32 exec_lo, s60
	s_cbranch_execz .LBB3_478
; %bb.477:                              ;   in Loop: Header=BB3_3 Depth=1
	ds_load_b32 v32, v62 offset:8704
	ds_load_b32 v33, v65 offset:16264
	s_wait_dscnt 0x0
	v_fmac_f32_e32 v29, v32, v33
.LBB3_478:                              ;   in Loop: Header=BB3_3 Depth=1
	s_or_b32 exec_lo, exec_lo, s1
	s_delay_alu instid0(SALU_CYCLE_1) | instskip(SKIP_2) | instid1(SALU_CYCLE_1)
	s_mov_b32 s1, exec_lo
	v_readlane_b32 s60, v87, 29
	s_and_b32 s60, s1, s60
	;; [unrolled: 13-line block ×22, first 2 shown]
	s_mov_b32 exec_lo, s60
	s_cbranch_execz .LBB3_520
; %bb.519:                              ;   in Loop: Header=BB3_3 Depth=1
	ds_load_b32 v32, v62 offset:14080
	ds_load_b32 v33, v65 offset:16348
	s_wait_dscnt 0x0
	v_fmac_f32_e32 v29, v32, v33
.LBB3_520:                              ;   in Loop: Header=BB3_3 Depth=1
	s_or_b32 exec_lo, exec_lo, s1
	s_and_saveexec_b32 s1, s6
	s_cbranch_execz .LBB3_522
; %bb.521:                              ;   in Loop: Header=BB3_3 Depth=1
	ds_load_b32 v32, v62 offset:14336
	ds_load_b32 v33, v65 offset:16352
	s_wait_dscnt 0x0
	v_fmac_f32_e32 v29, v32, v33
.LBB3_522:                              ;   in Loop: Header=BB3_3 Depth=1
	s_or_b32 exec_lo, exec_lo, s1
	s_delay_alu instid0(SALU_CYCLE_1) | instskip(SKIP_2) | instid1(SALU_CYCLE_1)
	s_mov_b32 s1, exec_lo
	v_readlane_b32 s60, v87, 17
	s_and_b32 s60, s1, s60
	s_mov_b32 exec_lo, s60
	s_cbranch_execz .LBB3_524
; %bb.523:                              ;   in Loop: Header=BB3_3 Depth=1
	ds_load_b32 v32, v62 offset:14592
	ds_load_b32 v33, v65 offset:16356
	s_wait_dscnt 0x0
	v_fmac_f32_e32 v29, v32, v33
.LBB3_524:                              ;   in Loop: Header=BB3_3 Depth=1
	s_or_b32 exec_lo, exec_lo, s1
	s_delay_alu instid0(SALU_CYCLE_1) | instskip(SKIP_2) | instid1(SALU_CYCLE_1)
	s_mov_b32 s1, exec_lo
	v_readlane_b32 s60, v87, 19
	s_and_b32 s60, s1, s60
	s_mov_b32 exec_lo, s60
	;; [unrolled: 13-line block ×5, first 2 shown]
	s_cbranch_execnz .LBB3_1199
; %bb.531:                              ;   in Loop: Header=BB3_3 Depth=1
	s_or_b32 exec_lo, exec_lo, s1
	s_and_saveexec_b32 s1, s5
	s_cbranch_execnz .LBB3_1200
.LBB3_532:                              ;   in Loop: Header=BB3_3 Depth=1
	s_or_b32 exec_lo, exec_lo, s1
	s_and_saveexec_b32 s1, s20
	s_cbranch_execz .LBB3_534
.LBB3_533:                              ;   in Loop: Header=BB3_3 Depth=1
	ds_load_b32 v32, v9 offset:16128
	ds_load_b32 v33, v3 offset:16380
	s_wait_dscnt 0x0
	v_fmac_f32_e32 v29, v32, v33
.LBB3_534:                              ;   in Loop: Header=BB3_3 Depth=1
	s_or_b32 exec_lo, exec_lo, s1
.LBB3_535:                              ;   in Loop: Header=BB3_3 Depth=1
	s_delay_alu instid0(SALU_CYCLE_1) | instskip(NEXT) | instid1(SALU_CYCLE_1)
	s_or_b32 exec_lo, exec_lo, s0
	s_mov_b32 s0, exec_lo
	v_readlane_b32 s1, v89, 8
	s_and_b32 s1, s0, s1
	s_delay_alu instid0(SALU_CYCLE_1)
	s_mov_b32 exec_lo, s1
; %bb.536:                              ;   in Loop: Header=BB3_3 Depth=1
	v_xor_b32_e32 v32, 0x80000000, v29
	ds_store_b32 v64, v32
; %bb.537:                              ;   in Loop: Header=BB3_3 Depth=1
	s_or_b32 exec_lo, exec_lo, s0
	s_wait_loadcnt_dscnt 0x0
	s_barrier_signal -1
	s_barrier_wait -1
	s_mov_b32 s0, exec_lo
	v_readlane_b32 s1, v89, 9
	s_and_b32 s1, s0, s1
	s_delay_alu instid0(SALU_CYCLE_1)
	s_mov_b32 exec_lo, s1
	s_cbranch_execz .LBB3_539
; %bb.538:                              ;   in Loop: Header=BB3_3 Depth=1
	ds_load_b32 v32, v62 offset:7936
	ds_load_b32 v33, v64
	s_wait_dscnt 0x0
	v_fma_f32 v29, -v32, v33, v29
.LBB3_539:                              ;   in Loop: Header=BB3_3 Depth=1
	s_or_b32 exec_lo, exec_lo, s0
	s_barrier_signal -1
	s_barrier_wait -1
	s_mov_b32 s0, exec_lo
	v_readlane_b32 s1, v89, 10
	s_and_b32 s1, s0, s1
	s_delay_alu instid0(SALU_CYCLE_1)
	s_mov_b32 exec_lo, s1
; %bb.540:                              ;   in Loop: Header=BB3_3 Depth=1
	v_xor_b32_e32 v32, 0x80000000, v29
	ds_store_b32 v64, v32
; %bb.541:                              ;   in Loop: Header=BB3_3 Depth=1
	s_or_b32 exec_lo, exec_lo, s0
	s_wait_dscnt 0x0
	s_barrier_signal -1
	s_barrier_wait -1
	s_mov_b32 s0, exec_lo
	v_readlane_b32 s1, v89, 11
	s_and_b32 s1, s0, s1
	s_delay_alu instid0(SALU_CYCLE_1)
	s_mov_b32 exec_lo, s1
	s_cbranch_execz .LBB3_543
; %bb.542:                              ;   in Loop: Header=BB3_3 Depth=1
	ds_load_b32 v32, v62 offset:7680
	ds_load_b32 v33, v64
	s_wait_dscnt 0x0
	v_fma_f32 v29, -v32, v33, v29
.LBB3_543:                              ;   in Loop: Header=BB3_3 Depth=1
	s_or_b32 exec_lo, exec_lo, s0
	s_barrier_signal -1
	s_barrier_wait -1
	s_mov_b32 s0, exec_lo
	v_readlane_b32 s1, v89, 12
	s_and_b32 s1, s0, s1
	s_delay_alu instid0(SALU_CYCLE_1)
	s_mov_b32 exec_lo, s1
; %bb.544:                              ;   in Loop: Header=BB3_3 Depth=1
	v_xor_b32_e32 v32, 0x80000000, v29
	ds_store_b32 v64, v32
; %bb.545:                              ;   in Loop: Header=BB3_3 Depth=1
	s_or_b32 exec_lo, exec_lo, s0
	s_wait_dscnt 0x0
	;; [unrolled: 28-line block ×30, first 2 shown]
	s_barrier_signal -1
	s_barrier_wait -1
	s_and_saveexec_b32 s0, s47
	s_cbranch_execz .LBB3_659
; %bb.658:                              ;   in Loop: Header=BB3_3 Depth=1
	ds_load_b32 v32, v3 offset:256
	ds_load_b32 v33, v64
	s_wait_dscnt 0x0
	v_fma_f32 v29, -v32, v33, v29
.LBB3_659:                              ;   in Loop: Header=BB3_3 Depth=1
	s_or_b32 exec_lo, exec_lo, s0
	s_barrier_signal -1
	s_barrier_wait -1
	s_and_saveexec_b32 s0, s47
; %bb.660:                              ;   in Loop: Header=BB3_3 Depth=1
	v_xor_b32_e32 v32, 0x80000000, v29
	ds_store_b32 v64, v32
; %bb.661:                              ;   in Loop: Header=BB3_3 Depth=1
	s_or_b32 exec_lo, exec_lo, s0
	s_wait_dscnt 0x0
	s_barrier_signal -1
	s_barrier_wait -1
	s_barrier_signal -1
	s_barrier_wait -1
	s_and_saveexec_b32 s0, s7
; %bb.662:                              ;   in Loop: Header=BB3_3 Depth=1
	ds_store_b32 v66, v29 offset:16128
; %bb.663:                              ;   in Loop: Header=BB3_3 Depth=1
	s_or_b32 exec_lo, exec_lo, s0
	s_wait_dscnt 0x0
	s_barrier_signal -1
	s_barrier_wait -1
	s_barrier_signal -1
	s_barrier_wait -1
	s_mov_b32 s0, exec_lo
	v_readlane_b32 s1, v87, 5
	s_and_b32 s1, s0, s1
	s_delay_alu instid0(SALU_CYCLE_1)
	s_mov_b32 exec_lo, s1
	s_cbranch_execz .LBB3_665
; %bb.664:                              ;   in Loop: Header=BB3_3 Depth=1
	ds_load_b32 v29, v34 offset:8192
	s_wait_dscnt 0x0
	ds_store_b32 v35, v29 offset:128
	ds_load_b32 v29, v34 offset:8196
	s_wait_dscnt 0x0
	ds_store_b32 v35, v29 offset:384
	;; [unrolled: 3-line block ×32, first 2 shown]
.LBB3_665:                              ;   in Loop: Header=BB3_3 Depth=1
	s_or_b32 exec_lo, exec_lo, s0
	s_wait_dscnt 0x0
	s_barrier_signal -1
	s_barrier_wait -1
	s_and_saveexec_b32 s0, s13
	s_cbranch_execz .LBB3_667
; %bb.666:                              ;   in Loop: Header=BB3_3 Depth=1
	ds_load_b32 v29, v3 offset:8056
	ds_store_b32 v3, v28 offset:8060
	s_wait_dscnt 0x1
	ds_store_b64 v3, v[28:29] offset:7800
.LBB3_667:                              ;   in Loop: Header=BB3_3 Depth=1
	s_or_b32 exec_lo, exec_lo, s0
	v_mov_b32_e32 v29, 0
	s_wait_dscnt 0x0
	s_barrier_signal -1
	s_barrier_wait -1
	global_wb scope:SCOPE_DEV
	s_wait_storecnt 0x0
	global_inv scope:SCOPE_DEV
	s_and_saveexec_b32 s0, s2
	s_cbranch_execz .LBB3_671
; %bb.668:                              ;   in Loop: Header=BB3_3 Depth=1
	ds_load_b32 v29, v43 offset:7792
	ds_load_b32 v32, v44 offset:8056
	s_wait_dscnt 0x0
	v_fma_f32 v29, v29, v32, 0
	s_and_saveexec_b32 s1, s14
	s_cbranch_execz .LBB3_670
; %bb.669:                              ;   in Loop: Header=BB3_3 Depth=1
	ds_load_b32 v32, v9 offset:8048
	ds_load_b32 v33, v3 offset:8060
	s_wait_dscnt 0x0
	v_fmac_f32_e32 v29, v32, v33
.LBB3_670:                              ;   in Loop: Header=BB3_3 Depth=1
	s_or_b32 exec_lo, exec_lo, s1
.LBB3_671:                              ;   in Loop: Header=BB3_3 Depth=1
	s_delay_alu instid0(SALU_CYCLE_1)
	s_or_b32 exec_lo, exec_lo, s0
	s_and_saveexec_b32 s0, s91
; %bb.672:                              ;   in Loop: Header=BB3_3 Depth=1
	s_delay_alu instid0(VALU_DEP_1)
	v_xor_b32_e32 v32, 0x80000000, v29
	ds_store_b32 v41, v32
; %bb.673:                              ;   in Loop: Header=BB3_3 Depth=1
	s_or_b32 exec_lo, exec_lo, s0
	s_wait_loadcnt_dscnt 0x0
	s_barrier_signal -1
	s_barrier_wait -1
	s_and_saveexec_b32 s0, s92
	s_cbranch_execz .LBB3_675
; %bb.674:                              ;   in Loop: Header=BB3_3 Depth=1
	ds_load_b32 v32, v3 offset:7536
	ds_load_b32 v33, v41
	s_wait_dscnt 0x0
	v_fma_f32 v29, -v32, v33, v29
.LBB3_675:                              ;   in Loop: Header=BB3_3 Depth=1
	s_or_b32 exec_lo, exec_lo, s0
	s_barrier_signal -1
	s_barrier_wait -1
	s_and_saveexec_b32 s0, s92
; %bb.676:                              ;   in Loop: Header=BB3_3 Depth=1
	v_xor_b32_e32 v32, 0x80000000, v29
	ds_store_b32 v41, v32
; %bb.677:                              ;   in Loop: Header=BB3_3 Depth=1
	s_or_b32 exec_lo, exec_lo, s0
	s_wait_dscnt 0x0
	s_barrier_signal -1
	s_barrier_wait -1
	s_barrier_signal -1
	s_barrier_wait -1
	s_and_saveexec_b32 s0, s2
; %bb.678:                              ;   in Loop: Header=BB3_3 Depth=1
	ds_store_b32 v46, v29 offset:8048
; %bb.679:                              ;   in Loop: Header=BB3_3 Depth=1
	s_or_b32 exec_lo, exec_lo, s0
	s_wait_dscnt 0x0
	s_barrier_signal -1
	s_barrier_wait -1
	s_barrier_signal -1
	s_barrier_wait -1
	s_and_saveexec_b32 s0, s93
	s_cbranch_execz .LBB3_681
; %bb.680:                              ;   in Loop: Header=BB3_3 Depth=1
	ds_load_b32 v29, v34 offset:7792
	s_wait_dscnt 0x0
	ds_store_b32 v9, v29 offset:7288
	ds_load_b32 v29, v34 offset:7796
	s_wait_dscnt 0x0
	ds_store_b32 v9, v29 offset:7544
.LBB3_681:                              ;   in Loop: Header=BB3_3 Depth=1
	s_or_b32 exec_lo, exec_lo, s0
	s_wait_dscnt 0x0
	s_barrier_signal -1
	s_barrier_wait -1
	s_and_saveexec_b32 s0, s13
	s_cbranch_execz .LBB3_683
; %bb.682:                              ;   in Loop: Header=BB3_3 Depth=1
	ds_load_b32 v29, v3 offset:7536
	ds_store_b32 v3, v28 offset:7540
	s_wait_dscnt 0x1
	ds_store_b64 v3, v[28:29] offset:7280
.LBB3_683:                              ;   in Loop: Header=BB3_3 Depth=1
	s_or_b32 exec_lo, exec_lo, s0
	v_mov_b32_e32 v29, 0
	s_wait_dscnt 0x0
	s_barrier_signal -1
	s_barrier_wait -1
	global_wb scope:SCOPE_DEV
	s_wait_storecnt 0x0
	global_inv scope:SCOPE_DEV
	s_and_saveexec_b32 s0, s4
	s_cbranch_execz .LBB3_689
; %bb.684:                              ;   in Loop: Header=BB3_3 Depth=1
	ds_load_b32 v29, v48 offset:7264
	ds_load_b32 v32, v50 offset:8048
	s_wait_dscnt 0x0
	v_fma_f32 v29, v29, v32, 0
	s_and_saveexec_b32 s1, s15
	s_cbranch_execnz .LBB3_1201
; %bb.685:                              ;   in Loop: Header=BB3_3 Depth=1
	s_or_b32 exec_lo, exec_lo, s1
	s_and_saveexec_b32 s1, s16
	s_cbranch_execnz .LBB3_1202
.LBB3_686:                              ;   in Loop: Header=BB3_3 Depth=1
	s_or_b32 exec_lo, exec_lo, s1
	s_and_saveexec_b32 s1, s2
	s_cbranch_execz .LBB3_688
.LBB3_687:                              ;   in Loop: Header=BB3_3 Depth=1
	ds_load_b32 v32, v35 offset:8032
	ds_load_b32 v33, v3 offset:8060
	s_wait_dscnt 0x0
	v_fmac_f32_e32 v29, v32, v33
.LBB3_688:                              ;   in Loop: Header=BB3_3 Depth=1
	s_or_b32 exec_lo, exec_lo, s1
.LBB3_689:                              ;   in Loop: Header=BB3_3 Depth=1
	s_delay_alu instid0(SALU_CYCLE_1)
	s_or_b32 exec_lo, exec_lo, s0
	s_and_saveexec_b32 s0, s94
; %bb.690:                              ;   in Loop: Header=BB3_3 Depth=1
	s_delay_alu instid0(VALU_DEP_1)
	v_xor_b32_e32 v32, 0x80000000, v29
	ds_store_b32 v47, v32
; %bb.691:                              ;   in Loop: Header=BB3_3 Depth=1
	s_or_b32 exec_lo, exec_lo, s0
	s_wait_loadcnt_dscnt 0x0
	s_barrier_signal -1
	s_barrier_wait -1
	s_and_saveexec_b32 s0, s95
	s_cbranch_execz .LBB3_693
; %bb.692:                              ;   in Loop: Header=BB3_3 Depth=1
	ds_load_b32 v32, v48 offset:7008
	ds_load_b32 v33, v47
	s_wait_dscnt 0x0
	v_fma_f32 v29, -v32, v33, v29
.LBB3_693:                              ;   in Loop: Header=BB3_3 Depth=1
	s_or_b32 exec_lo, exec_lo, s0
	s_barrier_signal -1
	s_barrier_wait -1
	s_and_saveexec_b32 s0, s96
; %bb.694:                              ;   in Loop: Header=BB3_3 Depth=1
	v_xor_b32_e32 v32, 0x80000000, v29
	ds_store_b32 v47, v32
; %bb.695:                              ;   in Loop: Header=BB3_3 Depth=1
	s_or_b32 exec_lo, exec_lo, s0
	s_wait_dscnt 0x0
	s_barrier_signal -1
	s_barrier_wait -1
	s_and_saveexec_b32 s0, s97
	s_cbranch_execz .LBB3_697
; %bb.696:                              ;   in Loop: Header=BB3_3 Depth=1
	ds_load_b32 v32, v48 offset:6752
	ds_load_b32 v33, v47
	s_wait_dscnt 0x0
	v_fma_f32 v29, -v32, v33, v29
.LBB3_697:                              ;   in Loop: Header=BB3_3 Depth=1
	s_or_b32 exec_lo, exec_lo, s0
	s_barrier_signal -1
	s_barrier_wait -1
	s_and_saveexec_b32 s0, s98
; %bb.698:                              ;   in Loop: Header=BB3_3 Depth=1
	v_xor_b32_e32 v32, 0x80000000, v29
	ds_store_b32 v47, v32
; %bb.699:                              ;   in Loop: Header=BB3_3 Depth=1
	s_or_b32 exec_lo, exec_lo, s0
	s_wait_dscnt 0x0
	;; [unrolled: 20-line block ×3, first 2 shown]
	s_barrier_signal -1
	s_barrier_wait -1
	s_barrier_signal -1
	s_barrier_wait -1
	s_and_saveexec_b32 s0, s4
; %bb.704:                              ;   in Loop: Header=BB3_3 Depth=1
	ds_store_b32 v51, v29 offset:8032
; %bb.705:                              ;   in Loop: Header=BB3_3 Depth=1
	s_or_b32 exec_lo, exec_lo, s0
	s_wait_dscnt 0x0
	s_barrier_signal -1
	s_barrier_wait -1
	s_barrier_signal -1
	s_barrier_wait -1
	s_and_saveexec_b32 s0, s100
	s_cbranch_execz .LBB3_707
; %bb.706:                              ;   in Loop: Header=BB3_3 Depth=1
	ds_load_b32 v29, v36 offset:7264
	s_wait_dscnt 0x0
	ds_store_b32 v37, v29 offset:6256
	ds_load_b32 v29, v36 offset:7268
	s_wait_dscnt 0x0
	ds_store_b32 v37, v29 offset:6512
	;; [unrolled: 3-line block ×4, first 2 shown]
.LBB3_707:                              ;   in Loop: Header=BB3_3 Depth=1
	s_or_b32 exec_lo, exec_lo, s0
	s_wait_dscnt 0x0
	s_barrier_signal -1
	s_barrier_wait -1
	s_and_saveexec_b32 s0, s13
	s_cbranch_execz .LBB3_709
; %bb.708:                              ;   in Loop: Header=BB3_3 Depth=1
	ds_load_b32 v29, v3 offset:7016
	ds_store_b32 v3, v28 offset:7020
	s_wait_dscnt 0x1
	ds_store_b64 v3, v[28:29] offset:6760
.LBB3_709:                              ;   in Loop: Header=BB3_3 Depth=1
	s_or_b32 exec_lo, exec_lo, s0
	v_mov_b32_e32 v29, 0
	s_wait_dscnt 0x0
	s_barrier_signal -1
	s_barrier_wait -1
	global_wb scope:SCOPE_DEV
	s_wait_storecnt 0x0
	global_inv scope:SCOPE_DEV
	s_and_saveexec_b32 s0, s2
	s_cbranch_execz .LBB3_713
; %bb.710:                              ;   in Loop: Header=BB3_3 Depth=1
	ds_load_b32 v29, v43 offset:6752
	ds_load_b32 v32, v44 offset:7016
	s_wait_dscnt 0x0
	v_fma_f32 v29, v29, v32, 0
	s_and_saveexec_b32 s1, s14
	s_cbranch_execz .LBB3_712
; %bb.711:                              ;   in Loop: Header=BB3_3 Depth=1
	ds_load_b32 v32, v37 offset:7008
	ds_load_b32 v33, v3 offset:7020
	s_wait_dscnt 0x0
	v_fmac_f32_e32 v29, v32, v33
.LBB3_712:                              ;   in Loop: Header=BB3_3 Depth=1
	s_or_b32 exec_lo, exec_lo, s1
.LBB3_713:                              ;   in Loop: Header=BB3_3 Depth=1
	s_delay_alu instid0(SALU_CYCLE_1)
	s_or_b32 exec_lo, exec_lo, s0
	s_and_saveexec_b32 s0, s91
; %bb.714:                              ;   in Loop: Header=BB3_3 Depth=1
	s_delay_alu instid0(VALU_DEP_1)
	v_xor_b32_e32 v32, 0x80000000, v29
	ds_store_b32 v41, v32
; %bb.715:                              ;   in Loop: Header=BB3_3 Depth=1
	s_or_b32 exec_lo, exec_lo, s0
	s_wait_loadcnt_dscnt 0x0
	s_barrier_signal -1
	s_barrier_wait -1
	s_and_saveexec_b32 s0, s92
	s_cbranch_execz .LBB3_717
; %bb.716:                              ;   in Loop: Header=BB3_3 Depth=1
	ds_load_b32 v32, v3 offset:6496
	ds_load_b32 v33, v41
	s_wait_dscnt 0x0
	v_fma_f32 v29, -v32, v33, v29
.LBB3_717:                              ;   in Loop: Header=BB3_3 Depth=1
	s_or_b32 exec_lo, exec_lo, s0
	s_barrier_signal -1
	s_barrier_wait -1
	s_and_saveexec_b32 s0, s92
; %bb.718:                              ;   in Loop: Header=BB3_3 Depth=1
	v_xor_b32_e32 v32, 0x80000000, v29
	ds_store_b32 v41, v32
; %bb.719:                              ;   in Loop: Header=BB3_3 Depth=1
	s_or_b32 exec_lo, exec_lo, s0
	s_wait_dscnt 0x0
	s_barrier_signal -1
	s_barrier_wait -1
	s_barrier_signal -1
	s_barrier_wait -1
	s_and_saveexec_b32 s0, s2
; %bb.720:                              ;   in Loop: Header=BB3_3 Depth=1
	ds_store_b32 v46, v29 offset:7008
; %bb.721:                              ;   in Loop: Header=BB3_3 Depth=1
	s_or_b32 exec_lo, exec_lo, s0
	s_wait_dscnt 0x0
	s_barrier_signal -1
	s_barrier_wait -1
	s_barrier_signal -1
	s_barrier_wait -1
	s_and_saveexec_b32 s0, s93
	s_cbranch_execz .LBB3_723
; %bb.722:                              ;   in Loop: Header=BB3_3 Depth=1
	ds_load_b32 v29, v38 offset:6752
	s_wait_dscnt 0x0
	ds_store_b32 v37, v29 offset:6248
	ds_load_b32 v29, v38 offset:6756
	s_wait_dscnt 0x0
	ds_store_b32 v37, v29 offset:6504
.LBB3_723:                              ;   in Loop: Header=BB3_3 Depth=1
	s_or_b32 exec_lo, exec_lo, s0
	s_wait_dscnt 0x0
	s_barrier_signal -1
	s_barrier_wait -1
	s_and_saveexec_b32 s0, s13
	s_cbranch_execz .LBB3_725
; %bb.724:                              ;   in Loop: Header=BB3_3 Depth=1
	ds_load_b32 v29, v3 offset:6496
	ds_store_b32 v3, v28 offset:6500
	s_wait_dscnt 0x1
	ds_store_b64 v3, v[28:29] offset:6240
.LBB3_725:                              ;   in Loop: Header=BB3_3 Depth=1
	s_or_b32 exec_lo, exec_lo, s0
	v_mov_b32_e32 v29, 0
	s_wait_dscnt 0x0
	s_barrier_signal -1
	s_barrier_wait -1
	global_wb scope:SCOPE_DEV
	s_wait_storecnt 0x0
	global_inv scope:SCOPE_DEV
	s_and_saveexec_b32 s0, s5
	s_cbranch_execz .LBB3_735
; %bb.726:                              ;   in Loop: Header=BB3_3 Depth=1
	ds_load_b32 v29, v53 offset:6208
	ds_load_b32 v32, v56 offset:8032
	s_wait_dscnt 0x0
	v_fma_f32 v29, v29, v32, 0
	s_and_saveexec_b32 s1, s17
	s_cbranch_execnz .LBB3_1203
; %bb.727:                              ;   in Loop: Header=BB3_3 Depth=1
	s_or_b32 exec_lo, exec_lo, s1
	s_and_saveexec_b32 s1, s18
	s_cbranch_execnz .LBB3_1204
.LBB3_728:                              ;   in Loop: Header=BB3_3 Depth=1
	s_or_b32 exec_lo, exec_lo, s1
	s_and_saveexec_b32 s1, s19
	s_cbranch_execnz .LBB3_1205
.LBB3_729:                              ;   in Loop: Header=BB3_3 Depth=1
	s_or_b32 exec_lo, exec_lo, s1
	s_and_saveexec_b32 s1, s20
	s_cbranch_execnz .LBB3_1206
.LBB3_730:                              ;   in Loop: Header=BB3_3 Depth=1
	s_or_b32 exec_lo, exec_lo, s1
	s_and_saveexec_b32 s1, s21
	s_cbranch_execnz .LBB3_1207
.LBB3_731:                              ;   in Loop: Header=BB3_3 Depth=1
	s_or_b32 exec_lo, exec_lo, s1
	s_and_saveexec_b32 s1, s4
	s_cbranch_execnz .LBB3_1208
.LBB3_732:                              ;   in Loop: Header=BB3_3 Depth=1
	s_or_b32 exec_lo, exec_lo, s1
	s_and_saveexec_b32 s1, s16
	s_cbranch_execz .LBB3_734
.LBB3_733:                              ;   in Loop: Header=BB3_3 Depth=1
	ds_load_b32 v32, v39 offset:8000
	ds_load_b32 v33, v3 offset:8060
	s_wait_dscnt 0x0
	v_fmac_f32_e32 v29, v32, v33
.LBB3_734:                              ;   in Loop: Header=BB3_3 Depth=1
	s_or_b32 exec_lo, exec_lo, s1
.LBB3_735:                              ;   in Loop: Header=BB3_3 Depth=1
	s_delay_alu instid0(SALU_CYCLE_1)
	s_or_b32 exec_lo, exec_lo, s0
	s_and_saveexec_b32 s0, s101
; %bb.736:                              ;   in Loop: Header=BB3_3 Depth=1
	s_delay_alu instid0(VALU_DEP_1)
	v_xor_b32_e32 v32, 0x80000000, v29
	ds_store_b32 v54, v32
; %bb.737:                              ;   in Loop: Header=BB3_3 Depth=1
	s_or_b32 exec_lo, exec_lo, s0
	s_wait_loadcnt_dscnt 0x0
	s_barrier_signal -1
	s_barrier_wait -1
	s_and_saveexec_b32 s0, s102
	s_cbranch_execz .LBB3_739
; %bb.738:                              ;   in Loop: Header=BB3_3 Depth=1
	ds_load_b32 v32, v53 offset:5952
	ds_load_b32 v33, v54
	s_wait_dscnt 0x0
	v_fma_f32 v29, -v32, v33, v29
.LBB3_739:                              ;   in Loop: Header=BB3_3 Depth=1
	s_or_b32 exec_lo, exec_lo, s0
	s_barrier_signal -1
	s_barrier_wait -1
	s_and_saveexec_b32 s0, s103
; %bb.740:                              ;   in Loop: Header=BB3_3 Depth=1
	v_xor_b32_e32 v32, 0x80000000, v29
	ds_store_b32 v54, v32
; %bb.741:                              ;   in Loop: Header=BB3_3 Depth=1
	s_or_b32 exec_lo, exec_lo, s0
	s_wait_dscnt 0x0
	s_barrier_signal -1
	s_barrier_wait -1
	s_and_saveexec_b32 s0, s104
	s_cbranch_execz .LBB3_743
; %bb.742:                              ;   in Loop: Header=BB3_3 Depth=1
	ds_load_b32 v32, v53 offset:5696
	ds_load_b32 v33, v54
	s_wait_dscnt 0x0
	v_fma_f32 v29, -v32, v33, v29
.LBB3_743:                              ;   in Loop: Header=BB3_3 Depth=1
	s_or_b32 exec_lo, exec_lo, s0
	s_barrier_signal -1
	s_barrier_wait -1
	s_and_saveexec_b32 s0, vcc_hi
; %bb.744:                              ;   in Loop: Header=BB3_3 Depth=1
	v_xor_b32_e32 v32, 0x80000000, v29
	ds_store_b32 v54, v32
; %bb.745:                              ;   in Loop: Header=BB3_3 Depth=1
	s_or_b32 exec_lo, exec_lo, s0
	s_wait_dscnt 0x0
	s_barrier_signal -1
	s_barrier_wait -1
	s_and_saveexec_b32 s0, s34
	s_cbranch_execz .LBB3_747
; %bb.746:                              ;   in Loop: Header=BB3_3 Depth=1
	ds_load_b32 v32, v53 offset:5440
	ds_load_b32 v33, v54
	s_wait_dscnt 0x0
	v_fma_f32 v29, -v32, v33, v29
.LBB3_747:                              ;   in Loop: Header=BB3_3 Depth=1
	s_or_b32 exec_lo, exec_lo, s0
	s_barrier_signal -1
	s_barrier_wait -1
	s_and_saveexec_b32 s0, s35
; %bb.748:                              ;   in Loop: Header=BB3_3 Depth=1
	v_xor_b32_e32 v32, 0x80000000, v29
	ds_store_b32 v54, v32
; %bb.749:                              ;   in Loop: Header=BB3_3 Depth=1
	s_or_b32 exec_lo, exec_lo, s0
	s_wait_dscnt 0x0
	s_barrier_signal -1
	s_barrier_wait -1
	s_and_saveexec_b32 s0, s36
	s_cbranch_execz .LBB3_751
; %bb.750:                              ;   in Loop: Header=BB3_3 Depth=1
	ds_load_b32 v32, v53 offset:5184
	ds_load_b32 v33, v54
	s_wait_dscnt 0x0
	v_fma_f32 v29, -v32, v33, v29
.LBB3_751:                              ;   in Loop: Header=BB3_3 Depth=1
	s_or_b32 exec_lo, exec_lo, s0
	s_barrier_signal -1
	s_barrier_wait -1
	s_and_saveexec_b32 s0, s37
	;; [unrolled: 20-line block ×5, first 2 shown]
; %bb.764:                              ;   in Loop: Header=BB3_3 Depth=1
	v_xor_b32_e32 v32, 0x80000000, v29
	ds_store_b32 v54, v32
; %bb.765:                              ;   in Loop: Header=BB3_3 Depth=1
	s_or_b32 exec_lo, exec_lo, s0
	s_wait_dscnt 0x0
	s_barrier_signal -1
	s_barrier_wait -1
	s_barrier_signal -1
	s_barrier_wait -1
	s_and_saveexec_b32 s0, s5
; %bb.766:                              ;   in Loop: Header=BB3_3 Depth=1
	ds_store_b32 v57, v29 offset:8000
; %bb.767:                              ;   in Loop: Header=BB3_3 Depth=1
	s_or_b32 exec_lo, exec_lo, s0
	s_wait_dscnt 0x0
	s_barrier_signal -1
	s_barrier_wait -1
	s_barrier_signal -1
	s_barrier_wait -1
	s_and_saveexec_b32 s0, s43
	s_cbranch_execz .LBB3_769
; %bb.768:                              ;   in Loop: Header=BB3_3 Depth=1
	ds_load_b32 v29, v40 offset:6208
	s_wait_dscnt 0x0
	ds_store_b32 v42, v29 offset:4192
	ds_load_b32 v29, v40 offset:6212
	s_wait_dscnt 0x0
	ds_store_b32 v42, v29 offset:4448
	ds_load_b32 v29, v40 offset:6216
	s_wait_dscnt 0x0
	ds_store_b32 v42, v29 offset:4704
	ds_load_b32 v29, v40 offset:6220
	s_wait_dscnt 0x0
	ds_store_b32 v42, v29 offset:4960
	ds_load_b32 v29, v40 offset:6224
	s_wait_dscnt 0x0
	ds_store_b32 v42, v29 offset:5216
	ds_load_b32 v29, v40 offset:6228
	s_wait_dscnt 0x0
	ds_store_b32 v42, v29 offset:5472
	ds_load_b32 v29, v40 offset:6232
	s_wait_dscnt 0x0
	ds_store_b32 v42, v29 offset:5728
	ds_load_b32 v29, v40 offset:6236
	s_wait_dscnt 0x0
	ds_store_b32 v42, v29 offset:5984
.LBB3_769:                              ;   in Loop: Header=BB3_3 Depth=1
	s_or_b32 exec_lo, exec_lo, s0
	s_wait_dscnt 0x0
	s_barrier_signal -1
	s_barrier_wait -1
	s_and_saveexec_b32 s0, s13
	s_cbranch_execz .LBB3_771
; %bb.770:                              ;   in Loop: Header=BB3_3 Depth=1
	ds_load_b32 v29, v3 offset:5976
	ds_store_b32 v3, v28 offset:5980
	s_wait_dscnt 0x1
	ds_store_b64 v3, v[28:29] offset:5720
.LBB3_771:                              ;   in Loop: Header=BB3_3 Depth=1
	s_or_b32 exec_lo, exec_lo, s0
	v_mov_b32_e32 v29, 0
	s_wait_dscnt 0x0
	s_barrier_signal -1
	s_barrier_wait -1
	global_wb scope:SCOPE_DEV
	s_wait_storecnt 0x0
	global_inv scope:SCOPE_DEV
	s_and_saveexec_b32 s0, s2
	s_cbranch_execz .LBB3_775
; %bb.772:                              ;   in Loop: Header=BB3_3 Depth=1
	ds_load_b32 v29, v43 offset:5712
	ds_load_b32 v32, v44 offset:5976
	s_wait_dscnt 0x0
	v_fma_f32 v29, v29, v32, 0
	s_and_saveexec_b32 s1, s14
	s_cbranch_execz .LBB3_774
; %bb.773:                              ;   in Loop: Header=BB3_3 Depth=1
	ds_load_b32 v32, v42 offset:5968
	ds_load_b32 v33, v3 offset:5980
	s_wait_dscnt 0x0
	v_fmac_f32_e32 v29, v32, v33
.LBB3_774:                              ;   in Loop: Header=BB3_3 Depth=1
	s_or_b32 exec_lo, exec_lo, s1
.LBB3_775:                              ;   in Loop: Header=BB3_3 Depth=1
	s_delay_alu instid0(SALU_CYCLE_1)
	s_or_b32 exec_lo, exec_lo, s0
	s_and_saveexec_b32 s0, s91
; %bb.776:                              ;   in Loop: Header=BB3_3 Depth=1
	s_delay_alu instid0(VALU_DEP_1)
	v_xor_b32_e32 v32, 0x80000000, v29
	ds_store_b32 v41, v32
; %bb.777:                              ;   in Loop: Header=BB3_3 Depth=1
	s_or_b32 exec_lo, exec_lo, s0
	s_wait_loadcnt_dscnt 0x0
	s_barrier_signal -1
	s_barrier_wait -1
	s_and_saveexec_b32 s0, s92
	s_cbranch_execz .LBB3_779
; %bb.778:                              ;   in Loop: Header=BB3_3 Depth=1
	ds_load_b32 v32, v3 offset:5456
	ds_load_b32 v33, v41
	s_wait_dscnt 0x0
	v_fma_f32 v29, -v32, v33, v29
.LBB3_779:                              ;   in Loop: Header=BB3_3 Depth=1
	s_or_b32 exec_lo, exec_lo, s0
	s_barrier_signal -1
	s_barrier_wait -1
	s_and_saveexec_b32 s0, s92
; %bb.780:                              ;   in Loop: Header=BB3_3 Depth=1
	v_xor_b32_e32 v32, 0x80000000, v29
	ds_store_b32 v41, v32
; %bb.781:                              ;   in Loop: Header=BB3_3 Depth=1
	s_or_b32 exec_lo, exec_lo, s0
	s_wait_dscnt 0x0
	s_barrier_signal -1
	s_barrier_wait -1
	s_barrier_signal -1
	s_barrier_wait -1
	s_and_saveexec_b32 s0, s2
; %bb.782:                              ;   in Loop: Header=BB3_3 Depth=1
	ds_store_b32 v46, v29 offset:5968
; %bb.783:                              ;   in Loop: Header=BB3_3 Depth=1
	s_or_b32 exec_lo, exec_lo, s0
	s_wait_dscnt 0x0
	s_barrier_signal -1
	s_barrier_wait -1
	s_barrier_signal -1
	s_barrier_wait -1
	s_and_saveexec_b32 s0, s93
	s_cbranch_execz .LBB3_785
; %bb.784:                              ;   in Loop: Header=BB3_3 Depth=1
	ds_load_b32 v29, v45 offset:5712
	s_wait_dscnt 0x0
	ds_store_b32 v42, v29 offset:5208
	ds_load_b32 v29, v45 offset:5716
	s_wait_dscnt 0x0
	ds_store_b32 v42, v29 offset:5464
.LBB3_785:                              ;   in Loop: Header=BB3_3 Depth=1
	s_or_b32 exec_lo, exec_lo, s0
	s_wait_dscnt 0x0
	s_barrier_signal -1
	s_barrier_wait -1
	s_and_saveexec_b32 s0, s13
	s_cbranch_execz .LBB3_787
; %bb.786:                              ;   in Loop: Header=BB3_3 Depth=1
	ds_load_b32 v29, v3 offset:5456
	ds_store_b32 v3, v28 offset:5460
	s_wait_dscnt 0x1
	ds_store_b64 v3, v[28:29] offset:5200
.LBB3_787:                              ;   in Loop: Header=BB3_3 Depth=1
	s_or_b32 exec_lo, exec_lo, s0
	v_mov_b32_e32 v29, 0
	s_wait_dscnt 0x0
	s_barrier_signal -1
	s_barrier_wait -1
	global_wb scope:SCOPE_DEV
	s_wait_storecnt 0x0
	global_inv scope:SCOPE_DEV
	s_and_saveexec_b32 s0, s4
	s_cbranch_execz .LBB3_793
; %bb.788:                              ;   in Loop: Header=BB3_3 Depth=1
	ds_load_b32 v29, v48 offset:5184
	ds_load_b32 v32, v50 offset:5968
	s_wait_dscnt 0x0
	v_fma_f32 v29, v29, v32, 0
	s_and_saveexec_b32 s1, s15
	s_cbranch_execnz .LBB3_1209
; %bb.789:                              ;   in Loop: Header=BB3_3 Depth=1
	s_or_b32 exec_lo, exec_lo, s1
	s_and_saveexec_b32 s1, s16
	s_cbranch_execnz .LBB3_1210
.LBB3_790:                              ;   in Loop: Header=BB3_3 Depth=1
	s_or_b32 exec_lo, exec_lo, s1
	s_and_saveexec_b32 s1, s2
	s_cbranch_execz .LBB3_792
.LBB3_791:                              ;   in Loop: Header=BB3_3 Depth=1
	ds_load_b32 v32, v49 offset:5952
	ds_load_b32 v33, v3 offset:5980
	s_wait_dscnt 0x0
	v_fmac_f32_e32 v29, v32, v33
.LBB3_792:                              ;   in Loop: Header=BB3_3 Depth=1
	s_or_b32 exec_lo, exec_lo, s1
.LBB3_793:                              ;   in Loop: Header=BB3_3 Depth=1
	s_delay_alu instid0(SALU_CYCLE_1)
	s_or_b32 exec_lo, exec_lo, s0
	s_and_saveexec_b32 s0, s94
; %bb.794:                              ;   in Loop: Header=BB3_3 Depth=1
	s_delay_alu instid0(VALU_DEP_1)
	v_xor_b32_e32 v32, 0x80000000, v29
	ds_store_b32 v47, v32
; %bb.795:                              ;   in Loop: Header=BB3_3 Depth=1
	s_or_b32 exec_lo, exec_lo, s0
	s_wait_loadcnt_dscnt 0x0
	s_barrier_signal -1
	s_barrier_wait -1
	s_and_saveexec_b32 s0, s95
	s_cbranch_execz .LBB3_797
; %bb.796:                              ;   in Loop: Header=BB3_3 Depth=1
	ds_load_b32 v32, v48 offset:4928
	ds_load_b32 v33, v47
	s_wait_dscnt 0x0
	v_fma_f32 v29, -v32, v33, v29
.LBB3_797:                              ;   in Loop: Header=BB3_3 Depth=1
	s_or_b32 exec_lo, exec_lo, s0
	s_barrier_signal -1
	s_barrier_wait -1
	s_and_saveexec_b32 s0, s96
; %bb.798:                              ;   in Loop: Header=BB3_3 Depth=1
	v_xor_b32_e32 v32, 0x80000000, v29
	ds_store_b32 v47, v32
; %bb.799:                              ;   in Loop: Header=BB3_3 Depth=1
	s_or_b32 exec_lo, exec_lo, s0
	s_wait_dscnt 0x0
	s_barrier_signal -1
	s_barrier_wait -1
	s_and_saveexec_b32 s0, s97
	s_cbranch_execz .LBB3_801
; %bb.800:                              ;   in Loop: Header=BB3_3 Depth=1
	ds_load_b32 v32, v48 offset:4672
	ds_load_b32 v33, v47
	s_wait_dscnt 0x0
	v_fma_f32 v29, -v32, v33, v29
.LBB3_801:                              ;   in Loop: Header=BB3_3 Depth=1
	s_or_b32 exec_lo, exec_lo, s0
	s_barrier_signal -1
	s_barrier_wait -1
	s_and_saveexec_b32 s0, s98
; %bb.802:                              ;   in Loop: Header=BB3_3 Depth=1
	v_xor_b32_e32 v32, 0x80000000, v29
	ds_store_b32 v47, v32
; %bb.803:                              ;   in Loop: Header=BB3_3 Depth=1
	s_or_b32 exec_lo, exec_lo, s0
	s_wait_dscnt 0x0
	s_barrier_signal -1
	s_barrier_wait -1
	s_and_saveexec_b32 s0, s99
	s_cbranch_execz .LBB3_805
; %bb.804:                              ;   in Loop: Header=BB3_3 Depth=1
	ds_load_b32 v32, v3 offset:4416
	ds_load_b32 v33, v47
	s_wait_dscnt 0x0
	v_fma_f32 v29, -v32, v33, v29
.LBB3_805:                              ;   in Loop: Header=BB3_3 Depth=1
	s_or_b32 exec_lo, exec_lo, s0
	s_barrier_signal -1
	s_barrier_wait -1
	s_and_saveexec_b32 s0, s99
; %bb.806:                              ;   in Loop: Header=BB3_3 Depth=1
	v_xor_b32_e32 v32, 0x80000000, v29
	ds_store_b32 v47, v32
; %bb.807:                              ;   in Loop: Header=BB3_3 Depth=1
	s_or_b32 exec_lo, exec_lo, s0
	s_wait_dscnt 0x0
	s_barrier_signal -1
	s_barrier_wait -1
	s_barrier_signal -1
	s_barrier_wait -1
	s_and_saveexec_b32 s0, s4
; %bb.808:                              ;   in Loop: Header=BB3_3 Depth=1
	ds_store_b32 v51, v29 offset:5952
; %bb.809:                              ;   in Loop: Header=BB3_3 Depth=1
	s_or_b32 exec_lo, exec_lo, s0
	s_wait_dscnt 0x0
	s_barrier_signal -1
	s_barrier_wait -1
	s_barrier_signal -1
	s_barrier_wait -1
	s_and_saveexec_b32 s0, s100
	s_cbranch_execz .LBB3_811
; %bb.810:                              ;   in Loop: Header=BB3_3 Depth=1
	ds_load_b32 v29, v52 offset:5184
	s_wait_dscnt 0x0
	ds_store_b32 v55, v29 offset:4176
	ds_load_b32 v29, v52 offset:5188
	s_wait_dscnt 0x0
	ds_store_b32 v55, v29 offset:4432
	;; [unrolled: 3-line block ×4, first 2 shown]
.LBB3_811:                              ;   in Loop: Header=BB3_3 Depth=1
	s_or_b32 exec_lo, exec_lo, s0
	s_wait_dscnt 0x0
	s_barrier_signal -1
	s_barrier_wait -1
	s_and_saveexec_b32 s0, s13
	s_cbranch_execz .LBB3_813
; %bb.812:                              ;   in Loop: Header=BB3_3 Depth=1
	ds_load_b32 v29, v3 offset:4936
	ds_store_b32 v3, v28 offset:4940
	s_wait_dscnt 0x1
	ds_store_b64 v3, v[28:29] offset:4680
.LBB3_813:                              ;   in Loop: Header=BB3_3 Depth=1
	s_or_b32 exec_lo, exec_lo, s0
	v_mov_b32_e32 v29, 0
	s_wait_dscnt 0x0
	s_barrier_signal -1
	s_barrier_wait -1
	global_wb scope:SCOPE_DEV
	s_wait_storecnt 0x0
	global_inv scope:SCOPE_DEV
	s_and_saveexec_b32 s0, s2
	s_cbranch_execz .LBB3_817
; %bb.814:                              ;   in Loop: Header=BB3_3 Depth=1
	ds_load_b32 v29, v43 offset:4672
	ds_load_b32 v32, v44 offset:4936
	s_wait_dscnt 0x0
	v_fma_f32 v29, v29, v32, 0
	s_and_saveexec_b32 s1, s14
	s_cbranch_execz .LBB3_816
; %bb.815:                              ;   in Loop: Header=BB3_3 Depth=1
	ds_load_b32 v32, v55 offset:4928
	ds_load_b32 v33, v3 offset:4940
	s_wait_dscnt 0x0
	v_fmac_f32_e32 v29, v32, v33
.LBB3_816:                              ;   in Loop: Header=BB3_3 Depth=1
	s_or_b32 exec_lo, exec_lo, s1
.LBB3_817:                              ;   in Loop: Header=BB3_3 Depth=1
	s_delay_alu instid0(SALU_CYCLE_1)
	s_or_b32 exec_lo, exec_lo, s0
	s_and_saveexec_b32 s0, s91
; %bb.818:                              ;   in Loop: Header=BB3_3 Depth=1
	s_delay_alu instid0(VALU_DEP_1)
	v_xor_b32_e32 v32, 0x80000000, v29
	ds_store_b32 v41, v32
; %bb.819:                              ;   in Loop: Header=BB3_3 Depth=1
	s_or_b32 exec_lo, exec_lo, s0
	s_wait_loadcnt_dscnt 0x0
	s_barrier_signal -1
	s_barrier_wait -1
	s_and_saveexec_b32 s0, s92
	s_cbranch_execz .LBB3_821
; %bb.820:                              ;   in Loop: Header=BB3_3 Depth=1
	ds_load_b32 v32, v3 offset:4416
	ds_load_b32 v33, v41
	s_wait_dscnt 0x0
	v_fma_f32 v29, -v32, v33, v29
.LBB3_821:                              ;   in Loop: Header=BB3_3 Depth=1
	s_or_b32 exec_lo, exec_lo, s0
	s_barrier_signal -1
	s_barrier_wait -1
	s_and_saveexec_b32 s0, s92
; %bb.822:                              ;   in Loop: Header=BB3_3 Depth=1
	v_xor_b32_e32 v32, 0x80000000, v29
	ds_store_b32 v41, v32
; %bb.823:                              ;   in Loop: Header=BB3_3 Depth=1
	s_or_b32 exec_lo, exec_lo, s0
	s_wait_dscnt 0x0
	s_barrier_signal -1
	s_barrier_wait -1
	s_barrier_signal -1
	s_barrier_wait -1
	s_and_saveexec_b32 s0, s2
; %bb.824:                              ;   in Loop: Header=BB3_3 Depth=1
	ds_store_b32 v46, v29 offset:4928
; %bb.825:                              ;   in Loop: Header=BB3_3 Depth=1
	s_or_b32 exec_lo, exec_lo, s0
	s_wait_dscnt 0x0
	s_barrier_signal -1
	s_barrier_wait -1
	s_barrier_signal -1
	s_barrier_wait -1
	s_and_saveexec_b32 s0, s93
	s_cbranch_execz .LBB3_827
; %bb.826:                              ;   in Loop: Header=BB3_3 Depth=1
	ds_load_b32 v29, v58 offset:4672
	s_wait_dscnt 0x0
	ds_store_b32 v55, v29 offset:4168
	ds_load_b32 v29, v58 offset:4676
	s_wait_dscnt 0x0
	ds_store_b32 v55, v29 offset:4424
.LBB3_827:                              ;   in Loop: Header=BB3_3 Depth=1
	s_or_b32 exec_lo, exec_lo, s0
	s_wait_dscnt 0x0
	s_barrier_signal -1
	s_barrier_wait -1
	s_and_saveexec_b32 s0, s13
	s_cbranch_execz .LBB3_829
; %bb.828:                              ;   in Loop: Header=BB3_3 Depth=1
	ds_load_b32 v29, v3 offset:4416
	ds_store_b32 v3, v28 offset:4420
	s_wait_dscnt 0x1
	ds_store_b64 v3, v[28:29] offset:4160
.LBB3_829:                              ;   in Loop: Header=BB3_3 Depth=1
	s_or_b32 exec_lo, exec_lo, s0
	v_mov_b32_e32 v29, 0
	s_wait_dscnt 0x0
	s_barrier_signal -1
	s_barrier_wait -1
	global_wb scope:SCOPE_DEV
	s_wait_storecnt 0x0
	global_inv scope:SCOPE_DEV
	s_and_saveexec_b32 s0, s6
	s_cbranch_execz .LBB3_857
; %bb.830:                              ;   in Loop: Header=BB3_3 Depth=1
	ds_load_b32 v29, v59 offset:4096
	ds_load_b32 v32, v61 offset:8000
	s_wait_dscnt 0x0
	v_fma_f32 v29, v29, v32, 0
	s_mov_b32 s1, exec_lo
	v_readlane_b32 s60, v87, 16
	s_and_b32 s60, s1, s60
	s_delay_alu instid0(SALU_CYCLE_1)
	s_mov_b32 exec_lo, s60
	s_cbranch_execz .LBB3_832
; %bb.831:                              ;   in Loop: Header=BB3_3 Depth=1
	ds_load_b32 v32, v59 offset:4352
	ds_load_b32 v33, v61 offset:8004
	s_wait_dscnt 0x0
	v_fmac_f32_e32 v29, v32, v33
.LBB3_832:                              ;   in Loop: Header=BB3_3 Depth=1
	s_or_b32 exec_lo, exec_lo, s1
	s_delay_alu instid0(SALU_CYCLE_1) | instskip(SKIP_2) | instid1(SALU_CYCLE_1)
	s_mov_b32 s1, exec_lo
	v_readlane_b32 s60, v87, 17
	s_and_b32 s60, s1, s60
	s_mov_b32 exec_lo, s60
	s_cbranch_execz .LBB3_834
; %bb.833:                              ;   in Loop: Header=BB3_3 Depth=1
	ds_load_b32 v32, v59 offset:4608
	ds_load_b32 v33, v61 offset:8008
	s_wait_dscnt 0x0
	v_fmac_f32_e32 v29, v32, v33
.LBB3_834:                              ;   in Loop: Header=BB3_3 Depth=1
	s_or_b32 exec_lo, exec_lo, s1
	s_delay_alu instid0(SALU_CYCLE_1) | instskip(SKIP_2) | instid1(SALU_CYCLE_1)
	s_mov_b32 s1, exec_lo
	v_readlane_b32 s60, v87, 18
	s_and_b32 s60, s1, s60
	;; [unrolled: 13-line block ×10, first 2 shown]
	s_mov_b32 exec_lo, s60
	s_cbranch_execnz .LBB3_1211
; %bb.851:                              ;   in Loop: Header=BB3_3 Depth=1
	s_or_b32 exec_lo, exec_lo, s1
	s_and_saveexec_b32 s1, s5
	s_cbranch_execnz .LBB3_1212
.LBB3_852:                              ;   in Loop: Header=BB3_3 Depth=1
	s_or_b32 exec_lo, exec_lo, s1
	s_and_saveexec_b32 s1, s18
	s_cbranch_execnz .LBB3_1213
.LBB3_853:                              ;   in Loop: Header=BB3_3 Depth=1
	s_or_b32 exec_lo, exec_lo, s1
	s_and_saveexec_b32 s1, s20
	s_cbranch_execnz .LBB3_1214
.LBB3_854:                              ;   in Loop: Header=BB3_3 Depth=1
	s_or_b32 exec_lo, exec_lo, s1
	s_and_saveexec_b32 s1, s4
	s_cbranch_execz .LBB3_856
.LBB3_855:                              ;   in Loop: Header=BB3_3 Depth=1
	ds_load_b32 v32, v9 offset:7936
	ds_load_b32 v33, v3 offset:8060
	s_wait_dscnt 0x0
	v_fmac_f32_e32 v29, v32, v33
.LBB3_856:                              ;   in Loop: Header=BB3_3 Depth=1
	s_or_b32 exec_lo, exec_lo, s1
.LBB3_857:                              ;   in Loop: Header=BB3_3 Depth=1
	s_delay_alu instid0(SALU_CYCLE_1) | instskip(NEXT) | instid1(SALU_CYCLE_1)
	s_or_b32 exec_lo, exec_lo, s0
	s_mov_b32 s0, exec_lo
	v_readlane_b32 s1, v89, 2
	s_and_b32 s1, s0, s1
	s_delay_alu instid0(SALU_CYCLE_1)
	s_mov_b32 exec_lo, s1
; %bb.858:                              ;   in Loop: Header=BB3_3 Depth=1
	v_xor_b32_e32 v32, 0x80000000, v29
	ds_store_b32 v60, v32
; %bb.859:                              ;   in Loop: Header=BB3_3 Depth=1
	s_or_b32 exec_lo, exec_lo, s0
	s_wait_loadcnt_dscnt 0x0
	s_barrier_signal -1
	s_barrier_wait -1
	s_mov_b32 s0, exec_lo
	v_readlane_b32 s1, v89, 3
	s_and_b32 s1, s0, s1
	s_delay_alu instid0(SALU_CYCLE_1)
	s_mov_b32 exec_lo, s1
	s_cbranch_execz .LBB3_861
; %bb.860:                              ;   in Loop: Header=BB3_3 Depth=1
	ds_load_b32 v32, v59 offset:3840
	ds_load_b32 v33, v60
	s_wait_dscnt 0x0
	v_fma_f32 v29, -v32, v33, v29
.LBB3_861:                              ;   in Loop: Header=BB3_3 Depth=1
	s_or_b32 exec_lo, exec_lo, s0
	s_barrier_signal -1
	s_barrier_wait -1
	s_mov_b32 s0, exec_lo
	v_readlane_b32 s1, v89, 4
	s_and_b32 s1, s0, s1
	s_delay_alu instid0(SALU_CYCLE_1)
	s_mov_b32 exec_lo, s1
; %bb.862:                              ;   in Loop: Header=BB3_3 Depth=1
	v_xor_b32_e32 v32, 0x80000000, v29
	ds_store_b32 v60, v32
; %bb.863:                              ;   in Loop: Header=BB3_3 Depth=1
	s_or_b32 exec_lo, exec_lo, s0
	s_wait_dscnt 0x0
	s_barrier_signal -1
	s_barrier_wait -1
	s_mov_b32 s0, exec_lo
	v_readlane_b32 s1, v89, 5
	s_and_b32 s1, s0, s1
	s_delay_alu instid0(SALU_CYCLE_1)
	s_mov_b32 exec_lo, s1
	s_cbranch_execz .LBB3_865
; %bb.864:                              ;   in Loop: Header=BB3_3 Depth=1
	ds_load_b32 v32, v59 offset:3584
	ds_load_b32 v33, v60
	s_wait_dscnt 0x0
	v_fma_f32 v29, -v32, v33, v29
.LBB3_865:                              ;   in Loop: Header=BB3_3 Depth=1
	s_or_b32 exec_lo, exec_lo, s0
	s_barrier_signal -1
	s_barrier_wait -1
	s_mov_b32 s0, exec_lo
	v_readlane_b32 s1, v89, 6
	s_and_b32 s1, s0, s1
	s_delay_alu instid0(SALU_CYCLE_1)
	s_mov_b32 exec_lo, s1
; %bb.866:                              ;   in Loop: Header=BB3_3 Depth=1
	v_xor_b32_e32 v32, 0x80000000, v29
	ds_store_b32 v60, v32
; %bb.867:                              ;   in Loop: Header=BB3_3 Depth=1
	s_or_b32 exec_lo, exec_lo, s0
	s_wait_dscnt 0x0
	s_barrier_signal -1
	s_barrier_wait -1
	s_mov_b32 s0, exec_lo
	v_readlane_b32 s1, v89, 7
	s_and_b32 s1, s0, s1
	s_delay_alu instid0(SALU_CYCLE_1)
	s_mov_b32 exec_lo, s1
	s_cbranch_execz .LBB3_869
; %bb.868:                              ;   in Loop: Header=BB3_3 Depth=1
	ds_load_b32 v32, v59 offset:3328
	ds_load_b32 v33, v60
	s_wait_dscnt 0x0
	v_fma_f32 v29, -v32, v33, v29
.LBB3_869:                              ;   in Loop: Header=BB3_3 Depth=1
	s_or_b32 exec_lo, exec_lo, s0
	s_barrier_signal -1
	s_barrier_wait -1
	s_and_saveexec_b32 s0, s50
; %bb.870:                              ;   in Loop: Header=BB3_3 Depth=1
	v_xor_b32_e32 v32, 0x80000000, v29
	ds_store_b32 v60, v32
; %bb.871:                              ;   in Loop: Header=BB3_3 Depth=1
	s_or_b32 exec_lo, exec_lo, s0
	s_wait_dscnt 0x0
	s_barrier_signal -1
	s_barrier_wait -1
	s_and_saveexec_b32 s0, s51
	s_cbranch_execz .LBB3_873
; %bb.872:                              ;   in Loop: Header=BB3_3 Depth=1
	ds_load_b32 v32, v59 offset:3072
	ds_load_b32 v33, v60
	s_wait_dscnt 0x0
	v_fma_f32 v29, -v32, v33, v29
.LBB3_873:                              ;   in Loop: Header=BB3_3 Depth=1
	s_or_b32 exec_lo, exec_lo, s0
	s_barrier_signal -1
	s_barrier_wait -1
	s_and_saveexec_b32 s0, s52
; %bb.874:                              ;   in Loop: Header=BB3_3 Depth=1
	v_xor_b32_e32 v32, 0x80000000, v29
	ds_store_b32 v60, v32
; %bb.875:                              ;   in Loop: Header=BB3_3 Depth=1
	s_or_b32 exec_lo, exec_lo, s0
	s_wait_dscnt 0x0
	s_barrier_signal -1
	s_barrier_wait -1
	s_and_saveexec_b32 s0, s53
	;; [unrolled: 20-line block ×12, first 2 shown]
	s_cbranch_execz .LBB3_917
; %bb.916:                              ;   in Loop: Header=BB3_3 Depth=1
	ds_load_b32 v32, v3 offset:256
	ds_load_b32 v33, v60
	s_wait_dscnt 0x0
	v_fma_f32 v29, -v32, v33, v29
.LBB3_917:                              ;   in Loop: Header=BB3_3 Depth=1
	s_or_b32 exec_lo, exec_lo, s0
	s_barrier_signal -1
	s_barrier_wait -1
	s_and_saveexec_b32 s0, s45
; %bb.918:                              ;   in Loop: Header=BB3_3 Depth=1
	v_xor_b32_e32 v32, 0x80000000, v29
	ds_store_b32 v60, v32
; %bb.919:                              ;   in Loop: Header=BB3_3 Depth=1
	s_or_b32 exec_lo, exec_lo, s0
	s_wait_dscnt 0x0
	s_barrier_signal -1
	s_barrier_wait -1
	s_barrier_signal -1
	s_barrier_wait -1
	s_and_saveexec_b32 s0, s6
; %bb.920:                              ;   in Loop: Header=BB3_3 Depth=1
	ds_store_b32 v63, v29 offset:7936
; %bb.921:                              ;   in Loop: Header=BB3_3 Depth=1
	s_or_b32 exec_lo, exec_lo, s0
	s_wait_dscnt 0x0
	s_barrier_signal -1
	s_barrier_wait -1
	s_barrier_signal -1
	s_barrier_wait -1
	s_and_saveexec_b32 s0, s46
	s_cbranch_execz .LBB3_923
; %bb.922:                              ;   in Loop: Header=BB3_3 Depth=1
	ds_load_b32 v29, v34 offset:4096
	s_wait_dscnt 0x0
	ds_store_b32 v35, v29 offset:64
	ds_load_b32 v29, v34 offset:4100
	s_wait_dscnt 0x0
	ds_store_b32 v35, v29 offset:320
	;; [unrolled: 3-line block ×16, first 2 shown]
.LBB3_923:                              ;   in Loop: Header=BB3_3 Depth=1
	s_or_b32 exec_lo, exec_lo, s0
	s_wait_dscnt 0x0
	s_barrier_signal -1
	s_barrier_wait -1
	s_and_saveexec_b32 s0, s13
	s_cbranch_execz .LBB3_925
; %bb.924:                              ;   in Loop: Header=BB3_3 Depth=1
	ds_load_b32 v29, v3 offset:3896
	ds_store_b32 v3, v28 offset:3900
	s_wait_dscnt 0x1
	ds_store_b64 v3, v[28:29] offset:3640
.LBB3_925:                              ;   in Loop: Header=BB3_3 Depth=1
	s_or_b32 exec_lo, exec_lo, s0
	v_mov_b32_e32 v29, 0
	s_wait_dscnt 0x0
	s_barrier_signal -1
	s_barrier_wait -1
	global_wb scope:SCOPE_DEV
	s_wait_storecnt 0x0
	global_inv scope:SCOPE_DEV
	s_and_saveexec_b32 s0, s2
	s_cbranch_execz .LBB3_929
; %bb.926:                              ;   in Loop: Header=BB3_3 Depth=1
	ds_load_b32 v29, v43 offset:3632
	ds_load_b32 v32, v44 offset:3896
	s_wait_dscnt 0x0
	v_fma_f32 v29, v29, v32, 0
	s_and_saveexec_b32 s1, s14
	s_cbranch_execz .LBB3_928
; %bb.927:                              ;   in Loop: Header=BB3_3 Depth=1
	ds_load_b32 v32, v9 offset:3888
	ds_load_b32 v33, v3 offset:3900
	s_wait_dscnt 0x0
	v_fmac_f32_e32 v29, v32, v33
.LBB3_928:                              ;   in Loop: Header=BB3_3 Depth=1
	s_or_b32 exec_lo, exec_lo, s1
.LBB3_929:                              ;   in Loop: Header=BB3_3 Depth=1
	s_delay_alu instid0(SALU_CYCLE_1)
	s_or_b32 exec_lo, exec_lo, s0
	s_and_saveexec_b32 s0, s91
; %bb.930:                              ;   in Loop: Header=BB3_3 Depth=1
	s_delay_alu instid0(VALU_DEP_1)
	v_xor_b32_e32 v32, 0x80000000, v29
	ds_store_b32 v41, v32
; %bb.931:                              ;   in Loop: Header=BB3_3 Depth=1
	s_or_b32 exec_lo, exec_lo, s0
	s_wait_loadcnt_dscnt 0x0
	s_barrier_signal -1
	s_barrier_wait -1
	s_and_saveexec_b32 s0, s92
	s_cbranch_execz .LBB3_933
; %bb.932:                              ;   in Loop: Header=BB3_3 Depth=1
	ds_load_b32 v32, v3 offset:3376
	ds_load_b32 v33, v41
	s_wait_dscnt 0x0
	v_fma_f32 v29, -v32, v33, v29
.LBB3_933:                              ;   in Loop: Header=BB3_3 Depth=1
	s_or_b32 exec_lo, exec_lo, s0
	s_barrier_signal -1
	s_barrier_wait -1
	s_and_saveexec_b32 s0, s92
; %bb.934:                              ;   in Loop: Header=BB3_3 Depth=1
	v_xor_b32_e32 v32, 0x80000000, v29
	ds_store_b32 v41, v32
; %bb.935:                              ;   in Loop: Header=BB3_3 Depth=1
	s_or_b32 exec_lo, exec_lo, s0
	s_wait_dscnt 0x0
	s_barrier_signal -1
	s_barrier_wait -1
	s_barrier_signal -1
	s_barrier_wait -1
	s_and_saveexec_b32 s0, s2
; %bb.936:                              ;   in Loop: Header=BB3_3 Depth=1
	ds_store_b32 v46, v29 offset:3888
; %bb.937:                              ;   in Loop: Header=BB3_3 Depth=1
	s_or_b32 exec_lo, exec_lo, s0
	s_wait_dscnt 0x0
	s_barrier_signal -1
	s_barrier_wait -1
	s_barrier_signal -1
	s_barrier_wait -1
	s_and_saveexec_b32 s0, s93
	s_cbranch_execz .LBB3_939
; %bb.938:                              ;   in Loop: Header=BB3_3 Depth=1
	ds_load_b32 v29, v34 offset:3632
	s_wait_dscnt 0x0
	ds_store_b32 v9, v29 offset:3128
	ds_load_b32 v29, v34 offset:3636
	s_wait_dscnt 0x0
	ds_store_b32 v9, v29 offset:3384
.LBB3_939:                              ;   in Loop: Header=BB3_3 Depth=1
	s_or_b32 exec_lo, exec_lo, s0
	s_wait_dscnt 0x0
	s_barrier_signal -1
	s_barrier_wait -1
	s_and_saveexec_b32 s0, s13
	s_cbranch_execz .LBB3_941
; %bb.940:                              ;   in Loop: Header=BB3_3 Depth=1
	ds_load_b32 v29, v3 offset:3376
	ds_store_b32 v3, v28 offset:3380
	s_wait_dscnt 0x1
	ds_store_b64 v3, v[28:29] offset:3120
.LBB3_941:                              ;   in Loop: Header=BB3_3 Depth=1
	s_or_b32 exec_lo, exec_lo, s0
	v_mov_b32_e32 v29, 0
	s_wait_dscnt 0x0
	s_barrier_signal -1
	s_barrier_wait -1
	global_wb scope:SCOPE_DEV
	s_wait_storecnt 0x0
	global_inv scope:SCOPE_DEV
	s_and_saveexec_b32 s0, s4
	s_cbranch_execz .LBB3_947
; %bb.942:                              ;   in Loop: Header=BB3_3 Depth=1
	ds_load_b32 v29, v48 offset:3104
	ds_load_b32 v32, v50 offset:3888
	s_wait_dscnt 0x0
	v_fma_f32 v29, v29, v32, 0
	s_and_saveexec_b32 s1, s15
	s_cbranch_execnz .LBB3_1215
; %bb.943:                              ;   in Loop: Header=BB3_3 Depth=1
	s_or_b32 exec_lo, exec_lo, s1
	s_and_saveexec_b32 s1, s16
	s_cbranch_execnz .LBB3_1216
.LBB3_944:                              ;   in Loop: Header=BB3_3 Depth=1
	s_or_b32 exec_lo, exec_lo, s1
	s_and_saveexec_b32 s1, s2
	s_cbranch_execz .LBB3_946
.LBB3_945:                              ;   in Loop: Header=BB3_3 Depth=1
	ds_load_b32 v32, v35 offset:3872
	ds_load_b32 v33, v3 offset:3900
	s_wait_dscnt 0x0
	v_fmac_f32_e32 v29, v32, v33
.LBB3_946:                              ;   in Loop: Header=BB3_3 Depth=1
	s_or_b32 exec_lo, exec_lo, s1
.LBB3_947:                              ;   in Loop: Header=BB3_3 Depth=1
	s_delay_alu instid0(SALU_CYCLE_1)
	s_or_b32 exec_lo, exec_lo, s0
	s_and_saveexec_b32 s0, s94
; %bb.948:                              ;   in Loop: Header=BB3_3 Depth=1
	s_delay_alu instid0(VALU_DEP_1)
	v_xor_b32_e32 v32, 0x80000000, v29
	ds_store_b32 v47, v32
; %bb.949:                              ;   in Loop: Header=BB3_3 Depth=1
	s_or_b32 exec_lo, exec_lo, s0
	s_wait_loadcnt_dscnt 0x0
	s_barrier_signal -1
	s_barrier_wait -1
	s_and_saveexec_b32 s0, s95
	s_cbranch_execz .LBB3_951
; %bb.950:                              ;   in Loop: Header=BB3_3 Depth=1
	ds_load_b32 v32, v48 offset:2848
	ds_load_b32 v33, v47
	s_wait_dscnt 0x0
	v_fma_f32 v29, -v32, v33, v29
.LBB3_951:                              ;   in Loop: Header=BB3_3 Depth=1
	s_or_b32 exec_lo, exec_lo, s0
	s_barrier_signal -1
	s_barrier_wait -1
	s_and_saveexec_b32 s0, s96
; %bb.952:                              ;   in Loop: Header=BB3_3 Depth=1
	v_xor_b32_e32 v32, 0x80000000, v29
	ds_store_b32 v47, v32
; %bb.953:                              ;   in Loop: Header=BB3_3 Depth=1
	s_or_b32 exec_lo, exec_lo, s0
	s_wait_dscnt 0x0
	s_barrier_signal -1
	s_barrier_wait -1
	s_and_saveexec_b32 s0, s97
	s_cbranch_execz .LBB3_955
; %bb.954:                              ;   in Loop: Header=BB3_3 Depth=1
	ds_load_b32 v32, v48 offset:2592
	ds_load_b32 v33, v47
	s_wait_dscnt 0x0
	v_fma_f32 v29, -v32, v33, v29
.LBB3_955:                              ;   in Loop: Header=BB3_3 Depth=1
	s_or_b32 exec_lo, exec_lo, s0
	s_barrier_signal -1
	s_barrier_wait -1
	s_and_saveexec_b32 s0, s98
; %bb.956:                              ;   in Loop: Header=BB3_3 Depth=1
	v_xor_b32_e32 v32, 0x80000000, v29
	ds_store_b32 v47, v32
; %bb.957:                              ;   in Loop: Header=BB3_3 Depth=1
	s_or_b32 exec_lo, exec_lo, s0
	s_wait_dscnt 0x0
	;; [unrolled: 20-line block ×3, first 2 shown]
	s_barrier_signal -1
	s_barrier_wait -1
	s_barrier_signal -1
	s_barrier_wait -1
	s_and_saveexec_b32 s0, s4
; %bb.962:                              ;   in Loop: Header=BB3_3 Depth=1
	ds_store_b32 v51, v29 offset:3872
; %bb.963:                              ;   in Loop: Header=BB3_3 Depth=1
	s_or_b32 exec_lo, exec_lo, s0
	s_wait_dscnt 0x0
	s_barrier_signal -1
	s_barrier_wait -1
	s_barrier_signal -1
	s_barrier_wait -1
	s_and_saveexec_b32 s0, s100
	s_cbranch_execz .LBB3_965
; %bb.964:                              ;   in Loop: Header=BB3_3 Depth=1
	ds_load_b32 v29, v36 offset:3104
	s_wait_dscnt 0x0
	ds_store_b32 v37, v29 offset:2096
	ds_load_b32 v29, v36 offset:3108
	s_wait_dscnt 0x0
	ds_store_b32 v37, v29 offset:2352
	;; [unrolled: 3-line block ×4, first 2 shown]
.LBB3_965:                              ;   in Loop: Header=BB3_3 Depth=1
	s_or_b32 exec_lo, exec_lo, s0
	s_wait_dscnt 0x0
	s_barrier_signal -1
	s_barrier_wait -1
	s_and_saveexec_b32 s0, s13
	s_cbranch_execz .LBB3_967
; %bb.966:                              ;   in Loop: Header=BB3_3 Depth=1
	ds_load_b32 v29, v3 offset:2856
	ds_store_b32 v3, v28 offset:2860
	s_wait_dscnt 0x1
	ds_store_b64 v3, v[28:29] offset:2600
.LBB3_967:                              ;   in Loop: Header=BB3_3 Depth=1
	s_or_b32 exec_lo, exec_lo, s0
	v_mov_b32_e32 v29, 0
	s_wait_dscnt 0x0
	s_barrier_signal -1
	s_barrier_wait -1
	global_wb scope:SCOPE_DEV
	s_wait_storecnt 0x0
	global_inv scope:SCOPE_DEV
	s_and_saveexec_b32 s0, s2
	s_cbranch_execz .LBB3_971
; %bb.968:                              ;   in Loop: Header=BB3_3 Depth=1
	ds_load_b32 v29, v43 offset:2592
	ds_load_b32 v32, v44 offset:2856
	s_wait_dscnt 0x0
	v_fma_f32 v29, v29, v32, 0
	s_and_saveexec_b32 s1, s14
	s_cbranch_execz .LBB3_970
; %bb.969:                              ;   in Loop: Header=BB3_3 Depth=1
	ds_load_b32 v32, v37 offset:2848
	ds_load_b32 v33, v3 offset:2860
	s_wait_dscnt 0x0
	v_fmac_f32_e32 v29, v32, v33
.LBB3_970:                              ;   in Loop: Header=BB3_3 Depth=1
	s_or_b32 exec_lo, exec_lo, s1
.LBB3_971:                              ;   in Loop: Header=BB3_3 Depth=1
	s_delay_alu instid0(SALU_CYCLE_1)
	s_or_b32 exec_lo, exec_lo, s0
	s_and_saveexec_b32 s0, s91
; %bb.972:                              ;   in Loop: Header=BB3_3 Depth=1
	s_delay_alu instid0(VALU_DEP_1)
	v_xor_b32_e32 v32, 0x80000000, v29
	ds_store_b32 v41, v32
; %bb.973:                              ;   in Loop: Header=BB3_3 Depth=1
	s_or_b32 exec_lo, exec_lo, s0
	s_wait_loadcnt_dscnt 0x0
	s_barrier_signal -1
	s_barrier_wait -1
	s_and_saveexec_b32 s0, s92
	s_cbranch_execz .LBB3_975
; %bb.974:                              ;   in Loop: Header=BB3_3 Depth=1
	ds_load_b32 v32, v3 offset:2336
	ds_load_b32 v33, v41
	s_wait_dscnt 0x0
	v_fma_f32 v29, -v32, v33, v29
.LBB3_975:                              ;   in Loop: Header=BB3_3 Depth=1
	s_or_b32 exec_lo, exec_lo, s0
	s_barrier_signal -1
	s_barrier_wait -1
	s_and_saveexec_b32 s0, s92
; %bb.976:                              ;   in Loop: Header=BB3_3 Depth=1
	v_xor_b32_e32 v32, 0x80000000, v29
	ds_store_b32 v41, v32
; %bb.977:                              ;   in Loop: Header=BB3_3 Depth=1
	s_or_b32 exec_lo, exec_lo, s0
	s_wait_dscnt 0x0
	s_barrier_signal -1
	s_barrier_wait -1
	s_barrier_signal -1
	s_barrier_wait -1
	s_and_saveexec_b32 s0, s2
; %bb.978:                              ;   in Loop: Header=BB3_3 Depth=1
	ds_store_b32 v46, v29 offset:2848
; %bb.979:                              ;   in Loop: Header=BB3_3 Depth=1
	s_or_b32 exec_lo, exec_lo, s0
	s_wait_dscnt 0x0
	s_barrier_signal -1
	s_barrier_wait -1
	s_barrier_signal -1
	s_barrier_wait -1
	s_and_saveexec_b32 s0, s93
	s_cbranch_execz .LBB3_981
; %bb.980:                              ;   in Loop: Header=BB3_3 Depth=1
	ds_load_b32 v29, v38 offset:2592
	s_wait_dscnt 0x0
	ds_store_b32 v37, v29 offset:2088
	ds_load_b32 v29, v38 offset:2596
	s_wait_dscnt 0x0
	ds_store_b32 v37, v29 offset:2344
.LBB3_981:                              ;   in Loop: Header=BB3_3 Depth=1
	s_or_b32 exec_lo, exec_lo, s0
	s_wait_dscnt 0x0
	s_barrier_signal -1
	s_barrier_wait -1
	s_and_saveexec_b32 s0, s13
	s_cbranch_execz .LBB3_983
; %bb.982:                              ;   in Loop: Header=BB3_3 Depth=1
	ds_load_b32 v29, v3 offset:2336
	ds_store_b32 v3, v28 offset:2340
	s_wait_dscnt 0x1
	ds_store_b64 v3, v[28:29] offset:2080
.LBB3_983:                              ;   in Loop: Header=BB3_3 Depth=1
	s_or_b32 exec_lo, exec_lo, s0
	v_mov_b32_e32 v29, 0
	s_wait_dscnt 0x0
	s_barrier_signal -1
	s_barrier_wait -1
	global_wb scope:SCOPE_DEV
	s_wait_storecnt 0x0
	global_inv scope:SCOPE_DEV
	s_and_saveexec_b32 s0, s5
	s_cbranch_execz .LBB3_993
; %bb.984:                              ;   in Loop: Header=BB3_3 Depth=1
	ds_load_b32 v29, v53 offset:2048
	ds_load_b32 v32, v56 offset:3872
	s_wait_dscnt 0x0
	v_fma_f32 v29, v29, v32, 0
	s_and_saveexec_b32 s1, s17
	s_cbranch_execnz .LBB3_1217
; %bb.985:                              ;   in Loop: Header=BB3_3 Depth=1
	s_or_b32 exec_lo, exec_lo, s1
	s_and_saveexec_b32 s1, s18
	s_cbranch_execnz .LBB3_1218
.LBB3_986:                              ;   in Loop: Header=BB3_3 Depth=1
	s_or_b32 exec_lo, exec_lo, s1
	s_and_saveexec_b32 s1, s19
	s_cbranch_execnz .LBB3_1219
.LBB3_987:                              ;   in Loop: Header=BB3_3 Depth=1
	s_or_b32 exec_lo, exec_lo, s1
	s_and_saveexec_b32 s1, s20
	s_cbranch_execnz .LBB3_1220
.LBB3_988:                              ;   in Loop: Header=BB3_3 Depth=1
	s_or_b32 exec_lo, exec_lo, s1
	s_and_saveexec_b32 s1, s21
	s_cbranch_execnz .LBB3_1221
.LBB3_989:                              ;   in Loop: Header=BB3_3 Depth=1
	s_or_b32 exec_lo, exec_lo, s1
	s_and_saveexec_b32 s1, s4
	s_cbranch_execnz .LBB3_1222
.LBB3_990:                              ;   in Loop: Header=BB3_3 Depth=1
	s_or_b32 exec_lo, exec_lo, s1
	s_and_saveexec_b32 s1, s16
	s_cbranch_execz .LBB3_992
.LBB3_991:                              ;   in Loop: Header=BB3_3 Depth=1
	ds_load_b32 v32, v39 offset:3840
	ds_load_b32 v33, v3 offset:3900
	s_wait_dscnt 0x0
	v_fmac_f32_e32 v29, v32, v33
.LBB3_992:                              ;   in Loop: Header=BB3_3 Depth=1
	s_or_b32 exec_lo, exec_lo, s1
.LBB3_993:                              ;   in Loop: Header=BB3_3 Depth=1
	s_delay_alu instid0(SALU_CYCLE_1)
	s_or_b32 exec_lo, exec_lo, s0
	s_and_saveexec_b32 s0, s101
; %bb.994:                              ;   in Loop: Header=BB3_3 Depth=1
	s_delay_alu instid0(VALU_DEP_1)
	v_xor_b32_e32 v32, 0x80000000, v29
	ds_store_b32 v54, v32
; %bb.995:                              ;   in Loop: Header=BB3_3 Depth=1
	s_or_b32 exec_lo, exec_lo, s0
	s_wait_loadcnt_dscnt 0x0
	s_barrier_signal -1
	s_barrier_wait -1
	s_and_saveexec_b32 s0, s102
	s_cbranch_execz .LBB3_997
; %bb.996:                              ;   in Loop: Header=BB3_3 Depth=1
	ds_load_b32 v32, v53 offset:1792
	ds_load_b32 v33, v54
	s_wait_dscnt 0x0
	v_fma_f32 v29, -v32, v33, v29
.LBB3_997:                              ;   in Loop: Header=BB3_3 Depth=1
	s_or_b32 exec_lo, exec_lo, s0
	s_barrier_signal -1
	s_barrier_wait -1
	s_and_saveexec_b32 s0, s103
; %bb.998:                              ;   in Loop: Header=BB3_3 Depth=1
	v_xor_b32_e32 v32, 0x80000000, v29
	ds_store_b32 v54, v32
; %bb.999:                              ;   in Loop: Header=BB3_3 Depth=1
	s_or_b32 exec_lo, exec_lo, s0
	s_wait_dscnt 0x0
	s_barrier_signal -1
	s_barrier_wait -1
	s_and_saveexec_b32 s0, s104
	s_cbranch_execz .LBB3_1001
; %bb.1000:                             ;   in Loop: Header=BB3_3 Depth=1
	ds_load_b32 v32, v53 offset:1536
	ds_load_b32 v33, v54
	s_wait_dscnt 0x0
	v_fma_f32 v29, -v32, v33, v29
.LBB3_1001:                             ;   in Loop: Header=BB3_3 Depth=1
	s_or_b32 exec_lo, exec_lo, s0
	s_barrier_signal -1
	s_barrier_wait -1
	s_and_saveexec_b32 s0, vcc_hi
; %bb.1002:                             ;   in Loop: Header=BB3_3 Depth=1
	v_xor_b32_e32 v32, 0x80000000, v29
	ds_store_b32 v54, v32
; %bb.1003:                             ;   in Loop: Header=BB3_3 Depth=1
	s_or_b32 exec_lo, exec_lo, s0
	s_wait_dscnt 0x0
	s_barrier_signal -1
	s_barrier_wait -1
	s_and_saveexec_b32 s0, s34
	s_cbranch_execz .LBB3_1005
; %bb.1004:                             ;   in Loop: Header=BB3_3 Depth=1
	ds_load_b32 v32, v53 offset:1280
	ds_load_b32 v33, v54
	s_wait_dscnt 0x0
	v_fma_f32 v29, -v32, v33, v29
.LBB3_1005:                             ;   in Loop: Header=BB3_3 Depth=1
	s_or_b32 exec_lo, exec_lo, s0
	s_barrier_signal -1
	s_barrier_wait -1
	s_and_saveexec_b32 s0, s35
; %bb.1006:                             ;   in Loop: Header=BB3_3 Depth=1
	v_xor_b32_e32 v32, 0x80000000, v29
	ds_store_b32 v54, v32
; %bb.1007:                             ;   in Loop: Header=BB3_3 Depth=1
	s_or_b32 exec_lo, exec_lo, s0
	s_wait_dscnt 0x0
	s_barrier_signal -1
	s_barrier_wait -1
	s_and_saveexec_b32 s0, s36
	s_cbranch_execz .LBB3_1009
; %bb.1008:                             ;   in Loop: Header=BB3_3 Depth=1
	ds_load_b32 v32, v53 offset:1024
	ds_load_b32 v33, v54
	s_wait_dscnt 0x0
	v_fma_f32 v29, -v32, v33, v29
.LBB3_1009:                             ;   in Loop: Header=BB3_3 Depth=1
	s_or_b32 exec_lo, exec_lo, s0
	s_barrier_signal -1
	s_barrier_wait -1
	s_and_saveexec_b32 s0, s37
	;; [unrolled: 20-line block ×5, first 2 shown]
; %bb.1022:                             ;   in Loop: Header=BB3_3 Depth=1
	v_xor_b32_e32 v32, 0x80000000, v29
	ds_store_b32 v54, v32
; %bb.1023:                             ;   in Loop: Header=BB3_3 Depth=1
	s_or_b32 exec_lo, exec_lo, s0
	s_wait_dscnt 0x0
	s_barrier_signal -1
	s_barrier_wait -1
	s_barrier_signal -1
	s_barrier_wait -1
	s_and_saveexec_b32 s0, s5
; %bb.1024:                             ;   in Loop: Header=BB3_3 Depth=1
	ds_store_b32 v57, v29 offset:3840
; %bb.1025:                             ;   in Loop: Header=BB3_3 Depth=1
	s_or_b32 exec_lo, exec_lo, s0
	s_wait_dscnt 0x0
	s_barrier_signal -1
	s_barrier_wait -1
	s_barrier_signal -1
	s_barrier_wait -1
	s_and_saveexec_b32 s0, s43
	s_cbranch_execz .LBB3_1027
; %bb.1026:                             ;   in Loop: Header=BB3_3 Depth=1
	ds_load_b32 v29, v40 offset:2048
	s_wait_dscnt 0x0
	ds_store_b32 v42, v29 offset:32
	ds_load_b32 v29, v40 offset:2052
	s_wait_dscnt 0x0
	ds_store_b32 v42, v29 offset:288
	;; [unrolled: 3-line block ×8, first 2 shown]
.LBB3_1027:                             ;   in Loop: Header=BB3_3 Depth=1
	s_or_b32 exec_lo, exec_lo, s0
	s_wait_dscnt 0x0
	s_barrier_signal -1
	s_barrier_wait -1
	s_and_saveexec_b32 s0, s13
	s_cbranch_execz .LBB3_1029
; %bb.1028:                             ;   in Loop: Header=BB3_3 Depth=1
	ds_load_b32 v29, v3 offset:1816
	ds_store_b32 v3, v28 offset:1820
	s_wait_dscnt 0x1
	ds_store_b64 v3, v[28:29] offset:1560
.LBB3_1029:                             ;   in Loop: Header=BB3_3 Depth=1
	s_or_b32 exec_lo, exec_lo, s0
	v_mov_b32_e32 v29, 0
	s_wait_dscnt 0x0
	s_barrier_signal -1
	s_barrier_wait -1
	global_wb scope:SCOPE_DEV
	s_wait_storecnt 0x0
	global_inv scope:SCOPE_DEV
	s_and_saveexec_b32 s0, s2
	s_cbranch_execz .LBB3_1033
; %bb.1030:                             ;   in Loop: Header=BB3_3 Depth=1
	ds_load_b32 v29, v43 offset:1552
	ds_load_b32 v32, v44 offset:1816
	s_wait_dscnt 0x0
	v_fma_f32 v29, v29, v32, 0
	s_and_saveexec_b32 s1, s14
	s_cbranch_execz .LBB3_1032
; %bb.1031:                             ;   in Loop: Header=BB3_3 Depth=1
	ds_load_b32 v32, v42 offset:1808
	ds_load_b32 v33, v3 offset:1820
	s_wait_dscnt 0x0
	v_fmac_f32_e32 v29, v32, v33
.LBB3_1032:                             ;   in Loop: Header=BB3_3 Depth=1
	s_or_b32 exec_lo, exec_lo, s1
.LBB3_1033:                             ;   in Loop: Header=BB3_3 Depth=1
	s_delay_alu instid0(SALU_CYCLE_1)
	s_or_b32 exec_lo, exec_lo, s0
	s_and_saveexec_b32 s0, s91
; %bb.1034:                             ;   in Loop: Header=BB3_3 Depth=1
	s_delay_alu instid0(VALU_DEP_1)
	v_xor_b32_e32 v32, 0x80000000, v29
	ds_store_b32 v41, v32
; %bb.1035:                             ;   in Loop: Header=BB3_3 Depth=1
	s_or_b32 exec_lo, exec_lo, s0
	s_wait_loadcnt_dscnt 0x0
	s_barrier_signal -1
	s_barrier_wait -1
	s_and_saveexec_b32 s0, s92
	s_cbranch_execz .LBB3_1037
; %bb.1036:                             ;   in Loop: Header=BB3_3 Depth=1
	ds_load_b32 v32, v3 offset:1296
	ds_load_b32 v33, v41
	s_wait_dscnt 0x0
	v_fma_f32 v29, -v32, v33, v29
.LBB3_1037:                             ;   in Loop: Header=BB3_3 Depth=1
	s_or_b32 exec_lo, exec_lo, s0
	s_barrier_signal -1
	s_barrier_wait -1
	s_and_saveexec_b32 s0, s92
; %bb.1038:                             ;   in Loop: Header=BB3_3 Depth=1
	v_xor_b32_e32 v32, 0x80000000, v29
	ds_store_b32 v41, v32
; %bb.1039:                             ;   in Loop: Header=BB3_3 Depth=1
	s_or_b32 exec_lo, exec_lo, s0
	s_wait_dscnt 0x0
	s_barrier_signal -1
	s_barrier_wait -1
	s_barrier_signal -1
	s_barrier_wait -1
	s_and_saveexec_b32 s0, s2
; %bb.1040:                             ;   in Loop: Header=BB3_3 Depth=1
	ds_store_b32 v46, v29 offset:1808
; %bb.1041:                             ;   in Loop: Header=BB3_3 Depth=1
	s_or_b32 exec_lo, exec_lo, s0
	s_wait_dscnt 0x0
	s_barrier_signal -1
	s_barrier_wait -1
	s_barrier_signal -1
	s_barrier_wait -1
	s_and_saveexec_b32 s0, s93
	s_cbranch_execz .LBB3_1043
; %bb.1042:                             ;   in Loop: Header=BB3_3 Depth=1
	ds_load_b32 v29, v45 offset:1552
	s_wait_dscnt 0x0
	ds_store_b32 v42, v29 offset:1048
	ds_load_b32 v29, v45 offset:1556
	s_wait_dscnt 0x0
	ds_store_b32 v42, v29 offset:1304
.LBB3_1043:                             ;   in Loop: Header=BB3_3 Depth=1
	s_or_b32 exec_lo, exec_lo, s0
	s_wait_dscnt 0x0
	s_barrier_signal -1
	s_barrier_wait -1
	s_and_saveexec_b32 s0, s13
	s_cbranch_execz .LBB3_1045
; %bb.1044:                             ;   in Loop: Header=BB3_3 Depth=1
	ds_load_b32 v29, v3 offset:1296
	ds_store_b32 v3, v28 offset:1300
	s_wait_dscnt 0x1
	ds_store_b64 v3, v[28:29] offset:1040
.LBB3_1045:                             ;   in Loop: Header=BB3_3 Depth=1
	s_or_b32 exec_lo, exec_lo, s0
	v_mov_b32_e32 v29, 0
	s_wait_dscnt 0x0
	s_barrier_signal -1
	s_barrier_wait -1
	global_wb scope:SCOPE_DEV
	s_wait_storecnt 0x0
	global_inv scope:SCOPE_DEV
	s_and_saveexec_b32 s0, s4
	s_cbranch_execz .LBB3_1051
; %bb.1046:                             ;   in Loop: Header=BB3_3 Depth=1
	ds_load_b32 v29, v48 offset:1024
	ds_load_b32 v32, v50 offset:1808
	s_wait_dscnt 0x0
	v_fma_f32 v29, v29, v32, 0
	s_and_saveexec_b32 s1, s15
	s_cbranch_execnz .LBB3_1223
; %bb.1047:                             ;   in Loop: Header=BB3_3 Depth=1
	s_or_b32 exec_lo, exec_lo, s1
	s_and_saveexec_b32 s1, s16
	s_cbranch_execnz .LBB3_1224
.LBB3_1048:                             ;   in Loop: Header=BB3_3 Depth=1
	s_or_b32 exec_lo, exec_lo, s1
	s_and_saveexec_b32 s1, s2
	s_cbranch_execz .LBB3_1050
.LBB3_1049:                             ;   in Loop: Header=BB3_3 Depth=1
	ds_load_b32 v32, v49 offset:1792
	ds_load_b32 v33, v3 offset:1820
	s_wait_dscnt 0x0
	v_fmac_f32_e32 v29, v32, v33
.LBB3_1050:                             ;   in Loop: Header=BB3_3 Depth=1
	s_or_b32 exec_lo, exec_lo, s1
.LBB3_1051:                             ;   in Loop: Header=BB3_3 Depth=1
	s_delay_alu instid0(SALU_CYCLE_1)
	s_or_b32 exec_lo, exec_lo, s0
	s_and_saveexec_b32 s0, s94
; %bb.1052:                             ;   in Loop: Header=BB3_3 Depth=1
	s_delay_alu instid0(VALU_DEP_1)
	v_xor_b32_e32 v32, 0x80000000, v29
	ds_store_b32 v47, v32
; %bb.1053:                             ;   in Loop: Header=BB3_3 Depth=1
	s_or_b32 exec_lo, exec_lo, s0
	s_wait_loadcnt_dscnt 0x0
	s_barrier_signal -1
	s_barrier_wait -1
	s_and_saveexec_b32 s0, s95
	s_cbranch_execz .LBB3_1055
; %bb.1054:                             ;   in Loop: Header=BB3_3 Depth=1
	ds_load_b32 v32, v48 offset:768
	ds_load_b32 v33, v47
	s_wait_dscnt 0x0
	v_fma_f32 v29, -v32, v33, v29
.LBB3_1055:                             ;   in Loop: Header=BB3_3 Depth=1
	s_or_b32 exec_lo, exec_lo, s0
	s_barrier_signal -1
	s_barrier_wait -1
	s_and_saveexec_b32 s0, s96
; %bb.1056:                             ;   in Loop: Header=BB3_3 Depth=1
	v_xor_b32_e32 v32, 0x80000000, v29
	ds_store_b32 v47, v32
; %bb.1057:                             ;   in Loop: Header=BB3_3 Depth=1
	s_or_b32 exec_lo, exec_lo, s0
	s_wait_dscnt 0x0
	s_barrier_signal -1
	s_barrier_wait -1
	s_and_saveexec_b32 s0, s97
	s_cbranch_execz .LBB3_1059
; %bb.1058:                             ;   in Loop: Header=BB3_3 Depth=1
	ds_load_b32 v32, v48 offset:512
	ds_load_b32 v33, v47
	s_wait_dscnt 0x0
	v_fma_f32 v29, -v32, v33, v29
.LBB3_1059:                             ;   in Loop: Header=BB3_3 Depth=1
	s_or_b32 exec_lo, exec_lo, s0
	s_barrier_signal -1
	s_barrier_wait -1
	s_and_saveexec_b32 s0, s98
; %bb.1060:                             ;   in Loop: Header=BB3_3 Depth=1
	v_xor_b32_e32 v32, 0x80000000, v29
	ds_store_b32 v47, v32
; %bb.1061:                             ;   in Loop: Header=BB3_3 Depth=1
	s_or_b32 exec_lo, exec_lo, s0
	s_wait_dscnt 0x0
	;; [unrolled: 20-line block ×3, first 2 shown]
	s_barrier_signal -1
	s_barrier_wait -1
	s_barrier_signal -1
	s_barrier_wait -1
	s_and_saveexec_b32 s0, s4
; %bb.1066:                             ;   in Loop: Header=BB3_3 Depth=1
	ds_store_b32 v51, v29 offset:1792
; %bb.1067:                             ;   in Loop: Header=BB3_3 Depth=1
	s_or_b32 exec_lo, exec_lo, s0
	s_wait_dscnt 0x0
	s_barrier_signal -1
	s_barrier_wait -1
	s_barrier_signal -1
	s_barrier_wait -1
	s_and_saveexec_b32 s0, s100
	s_cbranch_execz .LBB3_1069
; %bb.1068:                             ;   in Loop: Header=BB3_3 Depth=1
	ds_load_b32 v29, v52 offset:1024
	s_wait_dscnt 0x0
	ds_store_b32 v55, v29 offset:16
	ds_load_b32 v29, v52 offset:1028
	s_wait_dscnt 0x0
	ds_store_b32 v55, v29 offset:272
	;; [unrolled: 3-line block ×4, first 2 shown]
.LBB3_1069:                             ;   in Loop: Header=BB3_3 Depth=1
	s_or_b32 exec_lo, exec_lo, s0
	s_wait_dscnt 0x0
	s_barrier_signal -1
	s_barrier_wait -1
	s_and_saveexec_b32 s0, s13
	s_cbranch_execz .LBB3_1071
; %bb.1070:                             ;   in Loop: Header=BB3_3 Depth=1
	ds_load_b32 v29, v3 offset:776
	ds_store_b32 v3, v28 offset:780
	s_wait_dscnt 0x1
	ds_store_b64 v3, v[28:29] offset:520
.LBB3_1071:                             ;   in Loop: Header=BB3_3 Depth=1
	s_or_b32 exec_lo, exec_lo, s0
	v_mov_b32_e32 v29, 0
	s_wait_dscnt 0x0
	s_barrier_signal -1
	s_barrier_wait -1
	global_wb scope:SCOPE_DEV
	s_wait_storecnt 0x0
	global_inv scope:SCOPE_DEV
	s_and_saveexec_b32 s0, s2
	s_cbranch_execz .LBB3_1075
; %bb.1072:                             ;   in Loop: Header=BB3_3 Depth=1
	ds_load_b32 v29, v43 offset:512
	ds_load_b32 v32, v44 offset:776
	s_wait_dscnt 0x0
	v_fma_f32 v29, v29, v32, 0
	s_and_saveexec_b32 s1, s14
	s_cbranch_execz .LBB3_1074
; %bb.1073:                             ;   in Loop: Header=BB3_3 Depth=1
	ds_load_b32 v32, v55 offset:768
	ds_load_b32 v33, v3 offset:780
	s_wait_dscnt 0x0
	v_fmac_f32_e32 v29, v32, v33
.LBB3_1074:                             ;   in Loop: Header=BB3_3 Depth=1
	s_or_b32 exec_lo, exec_lo, s1
.LBB3_1075:                             ;   in Loop: Header=BB3_3 Depth=1
	s_delay_alu instid0(SALU_CYCLE_1)
	s_or_b32 exec_lo, exec_lo, s0
	s_and_saveexec_b32 s0, s91
; %bb.1076:                             ;   in Loop: Header=BB3_3 Depth=1
	s_delay_alu instid0(VALU_DEP_1)
	v_xor_b32_e32 v32, 0x80000000, v29
	ds_store_b32 v41, v32
; %bb.1077:                             ;   in Loop: Header=BB3_3 Depth=1
	s_or_b32 exec_lo, exec_lo, s0
	s_wait_loadcnt_dscnt 0x0
	s_barrier_signal -1
	s_barrier_wait -1
	s_and_saveexec_b32 s0, s92
	s_cbranch_execz .LBB3_1079
; %bb.1078:                             ;   in Loop: Header=BB3_3 Depth=1
	ds_load_b32 v32, v3 offset:256
	ds_load_b32 v33, v41
	s_wait_dscnt 0x0
	v_fma_f32 v29, -v32, v33, v29
.LBB3_1079:                             ;   in Loop: Header=BB3_3 Depth=1
	s_or_b32 exec_lo, exec_lo, s0
	s_barrier_signal -1
	s_barrier_wait -1
	s_and_saveexec_b32 s0, s92
; %bb.1080:                             ;   in Loop: Header=BB3_3 Depth=1
	v_xor_b32_e32 v32, 0x80000000, v29
	ds_store_b32 v41, v32
; %bb.1081:                             ;   in Loop: Header=BB3_3 Depth=1
	s_or_b32 exec_lo, exec_lo, s0
	s_wait_dscnt 0x0
	s_barrier_signal -1
	s_barrier_wait -1
	s_barrier_signal -1
	s_barrier_wait -1
	s_and_saveexec_b32 s0, s2
; %bb.1082:                             ;   in Loop: Header=BB3_3 Depth=1
	ds_store_b32 v46, v29 offset:768
; %bb.1083:                             ;   in Loop: Header=BB3_3 Depth=1
	s_or_b32 exec_lo, exec_lo, s0
	s_wait_dscnt 0x0
	s_barrier_signal -1
	s_barrier_wait -1
	s_barrier_signal -1
	s_barrier_wait -1
	s_and_saveexec_b32 s0, s93
	s_cbranch_execz .LBB3_1085
; %bb.1084:                             ;   in Loop: Header=BB3_3 Depth=1
	ds_load_b32 v29, v58 offset:512
	s_wait_dscnt 0x0
	ds_store_b32 v55, v29 offset:8
	ds_load_b32 v29, v58 offset:516
	s_wait_dscnt 0x0
	ds_store_b32 v55, v29 offset:264
.LBB3_1085:                             ;   in Loop: Header=BB3_3 Depth=1
	s_or_b32 exec_lo, exec_lo, s0
	s_wait_dscnt 0x0
	s_barrier_signal -1
	s_barrier_wait -1
	s_and_saveexec_b32 s0, s13
	s_cbranch_execz .LBB3_1087
; %bb.1086:                             ;   in Loop: Header=BB3_3 Depth=1
	ds_load_b32 v29, v3 offset:256
	ds_store_b32 v3, v28 offset:260
	s_wait_dscnt 0x1
	ds_store_b64 v3, v[28:29]
.LBB3_1087:                             ;   in Loop: Header=BB3_3 Depth=1
	s_or_b32 exec_lo, exec_lo, s0
.LBB3_1088:                             ;   in Loop: Header=BB3_3 Depth=1
	s_wait_kmcnt 0x0
	s_mul_u64 s[0:1], s[76:77], s[80:81]
	v_mov_b32_e32 v29, 0
	s_lshl_b64 s[0:1], s[0:1], 2
	s_wait_dscnt 0x0
	s_add_nc_u64 s[82:83], s[70:71], s[0:1]
	s_barrier_signal -1
	s_barrier_wait -1
	s_and_saveexec_b32 s0, s48
	s_cbranch_execz .LBB3_1090
; %bb.1089:                             ;   in Loop: Header=BB3_3 Depth=1
	v_lshl_add_u64 v[32:33], v[0:1], 2, s[82:83]
	global_load_b32 v29, v[32:33], off
	s_wait_loadcnt 0x0
	v_mul_f32_e64 v29, v29, -v2
.LBB3_1090:                             ;   in Loop: Header=BB3_3 Depth=1
	s_or_b32 exec_lo, exec_lo, s0
	s_delay_alu instid0(SALU_CYCLE_1)
	s_and_not1_b32 vcc_lo, exec_lo, s49
	s_cbranch_vccnz .LBB3_1116
; %bb.1091:                             ;   in Loop: Header=BB3_3 Depth=1
	v_mov_b32_e32 v82, -1
	s_lshl_b64 s[0:1], s[80:81], 2
	s_delay_alu instid0(SALU_CYCLE_1)
	s_add_nc_u64 s[84:85], s[78:79], s[0:1]
	s_mov_b32 s1, 0
	s_branch .LBB3_1094
.LBB3_1092:                             ;   in Loop: Header=BB3_1094 Depth=2
	s_wait_xcnt 0x0
	ds_load_b32 v32, v67 offset:192
	s_wait_loadcnt_dscnt 0x0
	v_fmac_f32_e32 v29, v2, v32
.LBB3_1093:                             ;   in Loop: Header=BB3_1094 Depth=2
	s_or_b32 exec_lo, exec_lo, s0
	s_add_co_i32 s1, s1, 1
	s_delay_alu instid0(SALU_CYCLE_1)
	s_cmp_eq_u32 s1, s63
	s_cbranch_scc1 .LBB3_1116
.LBB3_1094:                             ;   Parent Loop BB3_3 Depth=1
                                        ; =>  This Loop Header: Depth=2
                                        ;       Child Loop BB3_1096 Depth 3
	v_cmp_gt_i32_e32 vcc_lo, s1, v82
	s_and_b32 s60, s57, vcc_lo
	s_delay_alu instid0(SALU_CYCLE_1)
	s_and_saveexec_b32 s0, s60
	s_cbranch_execz .LBB3_1097
; %bb.1095:                             ;   in Loop: Header=BB3_1094 Depth=2
	global_load_b32 v82, v3, s[84:85]
	s_wait_loadcnt 0x0
	v_cmp_le_i32_e32 vcc_lo, s1, v82
	s_cbranch_vccnz .LBB3_1097
.LBB3_1096:                             ;   Parent Loop BB3_3 Depth=1
                                        ;     Parent Loop BB3_1094 Depth=2
                                        ; =>    This Inner Loop Header: Depth=3
	global_wb scope:SCOPE_DEV
	s_wait_storecnt 0x0
	global_inv scope:SCOPE_DEV
	global_load_b32 v82, v3, s[84:85]
	s_wait_loadcnt 0x0
	v_cmp_gt_i32_e32 vcc_lo, s1, v82
	s_cbranch_vccnz .LBB3_1096
.LBB3_1097:                             ;   in Loop: Header=BB3_1094 Depth=2
	s_or_b32 exec_lo, exec_lo, s0
	s_lshl_b32 s0, s1, 6
	global_wb scope:SCOPE_DEV
	s_wait_storecnt 0x0
	global_inv scope:SCOPE_DEV
	s_wait_loadcnt 0x0
	s_barrier_signal -1
	s_barrier_wait -1
	s_and_saveexec_b32 s60, s58
	s_cbranch_execz .LBB3_1101
; %bb.1098:                             ;   in Loop: Header=BB3_1094 Depth=2
	v_dual_mov_b32 v32, 0 :: v_dual_bitop2_b32 v2, s0, v8 bitop3:0x54
	s_mov_b32 s61, exec_lo
	s_delay_alu instid0(VALU_DEP_1)
	v_cmpx_gt_i32_e64 s87, v2
	s_cbranch_execz .LBB3_1100
; %bb.1099:                             ;   in Loop: Header=BB3_1094 Depth=2
	v_mul_u64_e32 v[32:33], s[74:75], v[2:3]
	s_delay_alu instid0(VALU_DEP_1)
	v_lshl_add_u64 v[32:33], v[32:33], 2, s[82:83]
	global_load_b32 v32, v[32:33], off
.LBB3_1100:                             ;   in Loop: Header=BB3_1094 Depth=2
	s_wait_xcnt 0x0
	s_or_b32 exec_lo, exec_lo, s61
	s_wait_loadcnt 0x0
	ds_store_b32 v68, v32
.LBB3_1101:                             ;   in Loop: Header=BB3_1094 Depth=2
	s_or_b32 exec_lo, exec_lo, s60
	v_add_nc_u32_e32 v2, s0, v6
	v_cmp_ne_u32_e32 vcc_lo, s1, v5
	s_wait_dscnt 0x0
	s_barrier_signal -1
	s_barrier_wait -1
	v_cmp_gt_i32_e64 s0, s87, v2
	v_lshl_add_u64 v[32:33], v[2:3], 2, v[30:31]
	v_cndmask_b32_e64 v83, 0, 1, vcc_lo
	s_and_b32 s60, s0, s8
	s_delay_alu instid0(SALU_CYCLE_1)
	s_and_saveexec_b32 s0, s60
	s_cbranch_execz .LBB3_1105
; %bb.1102:                             ;   in Loop: Header=BB3_1094 Depth=2
	v_mov_b32_e32 v84, v78
	s_and_not1_b32 vcc_lo, exec_lo, vcc_lo
	s_cbranch_vccnz .LBB3_1104
; %bb.1103:                             ;   in Loop: Header=BB3_1094 Depth=2
	global_load_b32 v84, v[32:33], off
.LBB3_1104:                             ;   in Loop: Header=BB3_1094 Depth=2
	ds_load_b32 v85, v67
	s_wait_loadcnt_dscnt 0x0
	v_fmac_f32_e32 v29, v84, v85
.LBB3_1105:                             ;   in Loop: Header=BB3_1094 Depth=2
	s_or_b32 exec_lo, exec_lo, s0
	v_add_nc_u32_e32 v84, 16, v2
	s_delay_alu instid0(VALU_DEP_1) | instskip(SKIP_1) | instid1(SALU_CYCLE_1)
	v_cmp_gt_i32_e32 vcc_lo, s87, v84
	s_and_b32 s60, vcc_lo, s8
	s_and_saveexec_b32 s0, s60
	s_cbranch_execz .LBB3_1109
; %bb.1106:                             ;   in Loop: Header=BB3_1094 Depth=2
	v_cmp_ne_u32_e32 vcc_lo, 1, v83
	v_mov_b32_e32 v84, v79
	s_cbranch_vccnz .LBB3_1108
; %bb.1107:                             ;   in Loop: Header=BB3_1094 Depth=2
	global_load_b32 v84, v[32:33], off offset:64
.LBB3_1108:                             ;   in Loop: Header=BB3_1094 Depth=2
	ds_load_b32 v85, v67 offset:64
	s_wait_loadcnt_dscnt 0x0
	v_fmac_f32_e32 v29, v84, v85
.LBB3_1109:                             ;   in Loop: Header=BB3_1094 Depth=2
	s_or_b32 exec_lo, exec_lo, s0
	v_add_nc_u32_e32 v84, 32, v2
	s_delay_alu instid0(VALU_DEP_1) | instskip(SKIP_1) | instid1(SALU_CYCLE_1)
	v_cmp_gt_i32_e32 vcc_lo, s87, v84
	s_and_b32 s60, vcc_lo, s8
	s_and_saveexec_b32 s0, s60
	s_cbranch_execz .LBB3_1113
; %bb.1110:                             ;   in Loop: Header=BB3_1094 Depth=2
	v_cmp_ne_u32_e32 vcc_lo, 1, v83
	v_mov_b32_e32 v84, v80
	s_cbranch_vccnz .LBB3_1112
; %bb.1111:                             ;   in Loop: Header=BB3_1094 Depth=2
	global_load_b32 v84, v[32:33], off offset:128
.LBB3_1112:                             ;   in Loop: Header=BB3_1094 Depth=2
	ds_load_b32 v85, v67 offset:128
	s_wait_loadcnt_dscnt 0x0
	v_fmac_f32_e32 v29, v84, v85
.LBB3_1113:                             ;   in Loop: Header=BB3_1094 Depth=2
	s_or_b32 exec_lo, exec_lo, s0
	v_add_nc_u32_e32 v2, 48, v2
	s_delay_alu instid0(VALU_DEP_1) | instskip(SKIP_1) | instid1(SALU_CYCLE_1)
	v_cmp_gt_i32_e32 vcc_lo, s87, v2
	s_and_b32 s60, vcc_lo, s8
	s_and_saveexec_b32 s0, s60
	s_cbranch_execz .LBB3_1093
; %bb.1114:                             ;   in Loop: Header=BB3_1094 Depth=2
	v_cmp_ne_u32_e32 vcc_lo, 1, v83
	v_mov_b32_e32 v2, v81
	s_cbranch_vccnz .LBB3_1092
; %bb.1115:                             ;   in Loop: Header=BB3_1094 Depth=2
	global_load_b32 v2, v[32:33], off offset:192
	s_branch .LBB3_1092
.LBB3_1116:                             ;   in Loop: Header=BB3_3 Depth=1
	ds_store_b32 v69, v29
	s_wait_dscnt 0x0
	s_barrier_signal -1
	s_barrier_wait -1
	s_and_saveexec_b32 s0, s3
	s_cbranch_execz .LBB3_1118
; %bb.1117:                             ;   in Loop: Header=BB3_3 Depth=1
	ds_load_2addr_stride64_b32 v[30:31], v70 offset0:1 offset1:2
	ds_load_2addr_stride64_b32 v[32:33], v70 offset0:3 offset1:4
	;; [unrolled: 1-line block ×4, first 2 shown]
	v_readlane_b32 s1, v87, 6
	s_wait_dscnt 0x3
	v_add_f32_e32 v2, v29, v30
	s_delay_alu instid0(VALU_DEP_1) | instskip(SKIP_3) | instid1(VALU_DEP_1)
	v_add_f32_e32 v2, v2, v31
	ds_load_2addr_stride64_b32 v[30:31], v70 offset0:9 offset1:10
	s_wait_dscnt 0x3
	v_add_f32_e32 v2, v2, v32
	v_add_f32_e32 v2, v2, v33
	ds_load_2addr_stride64_b32 v[32:33], v70 offset0:11 offset1:12
	s_wait_dscnt 0x3
	v_add_f32_e32 v2, v2, v82
	s_delay_alu instid0(VALU_DEP_1) | instskip(SKIP_4) | instid1(VALU_DEP_1)
	v_add_f32_e32 v2, v2, v83
	ds_load_2addr_stride64_b32 v[82:83], v70 offset0:13 offset1:14
	ds_load_b32 v29, v70 offset:3840
	s_wait_dscnt 0x4
	v_add_f32_e32 v2, v2, v84
	v_add_f32_e32 v2, v2, v85
	s_wait_dscnt 0x3
	s_delay_alu instid0(VALU_DEP_1) | instskip(NEXT) | instid1(VALU_DEP_1)
	v_add_f32_e32 v2, v2, v30
	v_add_f32_e32 v2, v2, v31
	s_wait_dscnt 0x2
	s_delay_alu instid0(VALU_DEP_1) | instskip(NEXT) | instid1(VALU_DEP_1)
	;; [unrolled: 4-line block ×4, first 2 shown]
	v_add_f32_e32 v2, v2, v29
	v_cndmask_b32_e64 v29, -v2, 0, s1
.LBB3_1118:                             ;   in Loop: Header=BB3_3 Depth=1
	s_or_b32 exec_lo, exec_lo, s0
	s_delay_alu instid0(SALU_CYCLE_1)
	s_and_not1_b32 vcc_lo, exec_lo, s90
	s_cbranch_vccnz .LBB3_1128
; %bb.1119:                             ;   in Loop: Header=BB3_3 Depth=1
	s_and_saveexec_b32 s0, s3
; %bb.1120:                             ;   in Loop: Header=BB3_3 Depth=1
	ds_store_b32 v72, v29
; %bb.1121:                             ;   in Loop: Header=BB3_3 Depth=1
	s_or_b32 exec_lo, exec_lo, s0
	v_mov_b32_e32 v2, 0
	s_wait_dscnt 0x0
	s_barrier_signal -1
	s_barrier_wait -1
	s_and_saveexec_b32 s0, s9
	s_cbranch_execnz .LBB3_1167
; %bb.1122:                             ;   in Loop: Header=BB3_3 Depth=1
	s_or_b32 exec_lo, exec_lo, s0
	s_and_saveexec_b32 s0, s10
	s_cbranch_execnz .LBB3_1168
.LBB3_1123:                             ;   in Loop: Header=BB3_3 Depth=1
	s_or_b32 exec_lo, exec_lo, s0
	s_and_saveexec_b32 s0, s11
	s_cbranch_execnz .LBB3_1169
.LBB3_1124:                             ;   in Loop: Header=BB3_3 Depth=1
	s_or_b32 exec_lo, exec_lo, s0
	s_and_saveexec_b32 s0, s12
	s_cbranch_execz .LBB3_1126
.LBB3_1125:                             ;   in Loop: Header=BB3_3 Depth=1
	ds_load_b32 v30, v71 offset:12288
	ds_load_b32 v31, v67 offset:192
	s_wait_dscnt 0x0
	v_fmac_f32_e32 v2, v30, v31
.LBB3_1126:                             ;   in Loop: Header=BB3_3 Depth=1
	s_or_b32 exec_lo, exec_lo, s0
	s_mov_b32 s1, 0
	s_mov_b32 s0, 0
	ds_store_b32 v69, v2
	s_wait_dscnt 0x0
	s_barrier_signal -1
	s_barrier_wait -1
                                        ; implicit-def: $vgpr30
	s_and_saveexec_b32 s84, s3
	s_cbranch_execz .LBB3_1170
; %bb.1127:                             ;   in Loop: Header=BB3_3 Depth=1
	ds_load_2addr_stride64_b32 v[30:31], v70 offset0:1 offset1:2
	ds_load_2addr_stride64_b32 v[32:33], v70 offset0:3 offset1:4
	;; [unrolled: 1-line block ×4, first 2 shown]
	s_mov_b32 s0, exec_lo
	s_wait_dscnt 0x3
	v_add_f32_e32 v2, v2, v30
	s_delay_alu instid0(VALU_DEP_1) | instskip(SKIP_3) | instid1(VALU_DEP_1)
	v_add_f32_e32 v2, v31, v2
	ds_load_2addr_stride64_b32 v[30:31], v70 offset0:9 offset1:10
	s_wait_dscnt 0x3
	v_add_f32_e32 v2, v32, v2
	v_add_f32_e32 v2, v33, v2
	ds_load_2addr_stride64_b32 v[32:33], v70 offset0:11 offset1:12
	s_wait_dscnt 0x3
	v_add_f32_e32 v2, v82, v2
	s_delay_alu instid0(VALU_DEP_1) | instskip(SKIP_1) | instid1(VALU_DEP_1)
	v_add_f32_e32 v2, v83, v2
	s_wait_dscnt 0x2
	v_add_f32_e32 v2, v84, v2
	ds_load_2addr_stride64_b32 v[82:83], v70 offset0:13 offset1:14
	ds_load_b32 v84, v70 offset:3840
	v_add_f32_e32 v2, v85, v2
	s_wait_dscnt 0x3
	s_delay_alu instid0(VALU_DEP_1) | instskip(NEXT) | instid1(VALU_DEP_1)
	v_add_f32_e32 v2, v30, v2
	v_add_f32_e32 v2, v31, v2
	s_wait_dscnt 0x2
	s_delay_alu instid0(VALU_DEP_1) | instskip(NEXT) | instid1(VALU_DEP_1)
	v_add_f32_e32 v2, v32, v2
	;; [unrolled: 4-line block ×3, first 2 shown]
	v_add_f32_e32 v2, v83, v2
	s_wait_dscnt 0x0
	s_delay_alu instid0(VALU_DEP_1) | instskip(SKIP_1) | instid1(SALU_CYCLE_1)
	v_add_f32_e32 v30, v84, v2
	s_or_b32 exec_lo, exec_lo, s84
	s_and_b32 vcc_lo, exec_lo, s1
	s_cbranch_vccnz .LBB3_1129
	s_branch .LBB3_1171
.LBB3_1128:                             ;   in Loop: Header=BB3_3 Depth=1
	s_mov_b32 s0, 0
                                        ; implicit-def: $vgpr30
	s_cbranch_execz .LBB3_1171
.LBB3_1129:                             ;   in Loop: Header=BB3_3 Depth=1
	v_dual_mov_b32 v2, v4 :: v_dual_mov_b32 v30, v77
	s_mov_b32 s1, 0
	s_branch .LBB3_1131
.LBB3_1130:                             ;   in Loop: Header=BB3_1131 Depth=2
	s_or_b32 exec_lo, exec_lo, s60
	v_add_nc_u32_e32 v30, 0x400, v30
	v_add_nc_u32_e32 v2, -4, v2
	s_add_co_i32 s1, s1, 4
	s_delay_alu instid0(SALU_CYCLE_1)
	s_cmp_lg_u32 s1, 64
	s_barrier_signal -1
	s_barrier_wait -1
	s_cbranch_scc0 .LBB3_1147
.LBB3_1131:                             ;   Parent Loop BB3_3 Depth=1
                                        ; =>  This Inner Loop Header: Depth=2
	s_delay_alu instid0(VALU_DEP_1) | instskip(SKIP_1) | instid1(SALU_CYCLE_1)
	v_cmp_eq_u32_e32 vcc_lo, 0, v2
	s_and_b32 s61, s3, vcc_lo
	s_and_saveexec_b32 s60, s61
; %bb.1132:                             ;   in Loop: Header=BB3_1131 Depth=2
	ds_store_b32 v3, v29 offset:20736
; %bb.1133:                             ;   in Loop: Header=BB3_1131 Depth=2
	s_or_b32 exec_lo, exec_lo, s60
	v_cmp_lt_u32_e32 vcc_lo, s1, v4
	s_wait_dscnt 0x0
	s_barrier_signal -1
	s_barrier_wait -1
	s_and_b32 s61, s3, vcc_lo
	s_delay_alu instid0(SALU_CYCLE_1)
	s_and_saveexec_b32 s60, s61
	s_cbranch_execz .LBB3_1135
; %bb.1134:                             ;   in Loop: Header=BB3_1131 Depth=2
	ds_load_b32 v31, v30
	ds_load_b32 v32, v3 offset:20736
	s_wait_dscnt 0x0
	v_fmac_f32_e32 v29, v31, v32
.LBB3_1135:                             ;   in Loop: Header=BB3_1131 Depth=2
	s_or_b32 exec_lo, exec_lo, s60
	s_or_b32 s60, s1, 1
	s_delay_alu instid0(SALU_CYCLE_1) | instskip(SKIP_3) | instid1(SALU_CYCLE_1)
	v_cmp_eq_u32_e32 vcc_lo, s60, v4
	s_barrier_signal -1
	s_barrier_wait -1
	s_and_b32 s84, s3, vcc_lo
	s_and_saveexec_b32 s61, s84
; %bb.1136:                             ;   in Loop: Header=BB3_1131 Depth=2
	ds_store_b32 v3, v29 offset:20736
; %bb.1137:                             ;   in Loop: Header=BB3_1131 Depth=2
	s_or_b32 exec_lo, exec_lo, s61
	v_cmp_lt_u32_e32 vcc_lo, s60, v4
	s_wait_dscnt 0x0
	s_barrier_signal -1
	s_barrier_wait -1
	s_and_b32 s61, s3, vcc_lo
	s_delay_alu instid0(SALU_CYCLE_1)
	s_and_saveexec_b32 s60, s61
	s_cbranch_execz .LBB3_1139
; %bb.1138:                             ;   in Loop: Header=BB3_1131 Depth=2
	ds_load_b32 v31, v30 offset:256
	ds_load_b32 v32, v3 offset:20736
	s_wait_dscnt 0x0
	v_fmac_f32_e32 v29, v31, v32
.LBB3_1139:                             ;   in Loop: Header=BB3_1131 Depth=2
	s_or_b32 exec_lo, exec_lo, s60
	s_or_b32 s60, s1, 2
	s_delay_alu instid0(SALU_CYCLE_1) | instskip(SKIP_3) | instid1(SALU_CYCLE_1)
	v_cmp_eq_u32_e32 vcc_lo, s60, v4
	s_barrier_signal -1
	s_barrier_wait -1
	s_and_b32 s84, s3, vcc_lo
	s_and_saveexec_b32 s61, s84
; %bb.1140:                             ;   in Loop: Header=BB3_1131 Depth=2
	ds_store_b32 v3, v29 offset:20736
; %bb.1141:                             ;   in Loop: Header=BB3_1131 Depth=2
	s_or_b32 exec_lo, exec_lo, s61
	v_cmp_lt_u32_e32 vcc_lo, s60, v4
	s_wait_dscnt 0x0
	s_barrier_signal -1
	s_barrier_wait -1
	s_and_b32 s61, s3, vcc_lo
	s_delay_alu instid0(SALU_CYCLE_1)
	s_and_saveexec_b32 s60, s61
	s_cbranch_execz .LBB3_1143
; %bb.1142:                             ;   in Loop: Header=BB3_1131 Depth=2
	ds_load_b32 v31, v30 offset:512
	ds_load_b32 v32, v3 offset:20736
	s_wait_dscnt 0x0
	v_fmac_f32_e32 v29, v31, v32
.LBB3_1143:                             ;   in Loop: Header=BB3_1131 Depth=2
	s_or_b32 exec_lo, exec_lo, s60
	s_or_b32 s60, s1, 3
	s_delay_alu instid0(SALU_CYCLE_1) | instskip(SKIP_3) | instid1(SALU_CYCLE_1)
	v_cmp_eq_u32_e32 vcc_lo, s60, v4
	s_barrier_signal -1
	s_barrier_wait -1
	s_and_b32 s84, s3, vcc_lo
	s_and_saveexec_b32 s61, s84
; %bb.1144:                             ;   in Loop: Header=BB3_1131 Depth=2
	ds_store_b32 v3, v29 offset:20736
; %bb.1145:                             ;   in Loop: Header=BB3_1131 Depth=2
	s_or_b32 exec_lo, exec_lo, s61
	v_cmp_lt_u32_e32 vcc_lo, s60, v4
	s_wait_dscnt 0x0
	s_barrier_signal -1
	s_barrier_wait -1
	s_and_b32 s61, s3, vcc_lo
	s_delay_alu instid0(SALU_CYCLE_1)
	s_and_saveexec_b32 s60, s61
	s_cbranch_execz .LBB3_1130
; %bb.1146:                             ;   in Loop: Header=BB3_1131 Depth=2
	ds_load_b32 v31, v30 offset:768
	ds_load_b32 v32, v3 offset:20736
	s_wait_dscnt 0x0
	v_fmac_f32_e32 v29, v31, v32
	s_branch .LBB3_1130
.LBB3_1147:                             ;   in Loop: Header=BB3_3 Depth=1
	s_and_b32 vcc_lo, exec_lo, s89
	s_mov_b32 s1, -1
	s_cbranch_vccz .LBB3_1149
; %bb.1148:                             ;   in Loop: Header=BB3_3 Depth=1
	s_and_not1_b32 s0, s0, exec_lo
	s_and_b32 s60, s3, exec_lo
	s_mov_b32 s1, 0
	s_or_b32 s0, s0, s60
.LBB3_1149:                             ;   in Loop: Header=BB3_3 Depth=1
	s_and_not1_b32 vcc_lo, exec_lo, s1
	s_cbranch_vccnz .LBB3_1151
; %bb.1150:                             ;   in Loop: Header=BB3_3 Depth=1
	v_readlane_b32 s1, v87, 7
	s_and_not1_b32 s0, s0, exec_lo
	s_and_b32 s1, s1, exec_lo
	s_delay_alu instid0(SALU_CYCLE_1)
	s_or_b32 s0, s0, s1
.LBB3_1151:                             ;   in Loop: Header=BB3_3 Depth=1
	v_mov_b64_e32 v[30:31], v[16:17]
	s_and_saveexec_b32 s1, s0
	s_cbranch_execnz .LBB3_1172
	s_branch .LBB3_1173
.LBB3_1152:                             ;   in Loop: Header=BB3_3 Depth=1
	s_mov_b32 s1, exec_lo
	v_readlane_b32 s60, v86, 18
	s_and_b32 s60, s1, s60
	s_delay_alu instid0(SALU_CYCLE_1)
	s_mov_b32 exec_lo, s60
; %bb.1153:                             ;   in Loop: Header=BB3_3 Depth=1
	ds_store_b32 v73, v3
; %bb.1154:                             ;   in Loop: Header=BB3_3 Depth=1
	s_or_b32 exec_lo, exec_lo, s1
	s_and_not1_saveexec_b32 s0, s0
	s_cbranch_execz .LBB3_16
.LBB3_1155:                             ;   in Loop: Header=BB3_3 Depth=1
	v_lshl_add_u64 v[82:83], v[18:19], 2, v[32:33]
	global_load_b32 v29, v[82:83], off
	s_wait_loadcnt 0x0
	v_xor_b32_e32 v29, 0x80000000, v29
	ds_store_b32 v73, v29
	s_or_b32 exec_lo, exec_lo, s0
	s_and_saveexec_b32 s0, s10
	s_delay_alu instid0(SALU_CYCLE_1)
	s_xor_b32 s0, exec_lo, s0
	s_cbranch_execz .LBB3_17
.LBB3_1156:                             ;   in Loop: Header=BB3_3 Depth=1
	s_mov_b32 s1, exec_lo
	v_readlane_b32 s60, v86, 19
	s_and_b32 s60, s1, s60
	s_delay_alu instid0(SALU_CYCLE_1)
	s_mov_b32 exec_lo, s60
; %bb.1157:                             ;   in Loop: Header=BB3_3 Depth=1
	ds_store_b32 v7, v3
; %bb.1158:                             ;   in Loop: Header=BB3_3 Depth=1
	s_or_b32 exec_lo, exec_lo, s1
	s_and_not1_saveexec_b32 s0, s0
	s_cbranch_execz .LBB3_18
.LBB3_1159:                             ;   in Loop: Header=BB3_3 Depth=1
	v_lshl_add_u64 v[82:83], v[20:21], 2, v[32:33]
	global_load_b32 v29, v[82:83], off
	s_wait_loadcnt 0x0
	v_xor_b32_e32 v29, 0x80000000, v29
	ds_store_b32 v7, v29
	s_or_b32 exec_lo, exec_lo, s0
	s_and_saveexec_b32 s0, s11
	s_delay_alu instid0(SALU_CYCLE_1)
	s_xor_b32 s0, exec_lo, s0
	s_cbranch_execz .LBB3_19
.LBB3_1160:                             ;   in Loop: Header=BB3_3 Depth=1
	s_mov_b32 s1, exec_lo
	v_readlane_b32 s60, v86, 20
	s_and_b32 s60, s1, s60
	s_delay_alu instid0(SALU_CYCLE_1)
	s_mov_b32 exec_lo, s60
; %bb.1161:                             ;   in Loop: Header=BB3_3 Depth=1
	ds_store_b32 v74, v3
; %bb.1162:                             ;   in Loop: Header=BB3_3 Depth=1
	s_or_b32 exec_lo, exec_lo, s1
	s_and_not1_saveexec_b32 s0, s0
	s_cbranch_execz .LBB3_20
.LBB3_1163:                             ;   in Loop: Header=BB3_3 Depth=1
	v_lshl_add_u64 v[82:83], v[22:23], 2, v[32:33]
	global_load_b32 v29, v[82:83], off
	s_wait_loadcnt 0x0
	v_xor_b32_e32 v29, 0x80000000, v29
	ds_store_b32 v74, v29
	s_or_b32 exec_lo, exec_lo, s0
	s_and_saveexec_b32 s0, s12
	s_delay_alu instid0(SALU_CYCLE_1)
	s_xor_b32 s0, exec_lo, s0
	s_cbranch_execz .LBB3_21
.LBB3_1164:                             ;   in Loop: Header=BB3_3 Depth=1
	s_mov_b32 s1, exec_lo
	v_readlane_b32 s60, v86, 21
	s_and_b32 s60, s1, s60
	s_delay_alu instid0(SALU_CYCLE_1)
	s_mov_b32 exec_lo, s60
; %bb.1165:                             ;   in Loop: Header=BB3_3 Depth=1
	ds_store_b32 v75, v3
; %bb.1166:                             ;   in Loop: Header=BB3_3 Depth=1
	s_or_b32 exec_lo, exec_lo, s1
	s_and_not1_saveexec_b32 s0, s0
	s_cbranch_execnz .LBB3_22
	s_branch .LBB3_23
.LBB3_1167:                             ;   in Loop: Header=BB3_3 Depth=1
	ds_load_b32 v2, v71
	ds_load_b32 v30, v67
	s_wait_dscnt 0x0
	v_fma_f32 v2, v2, v30, 0
	s_or_b32 exec_lo, exec_lo, s0
	s_and_saveexec_b32 s0, s10
	s_cbranch_execz .LBB3_1123
.LBB3_1168:                             ;   in Loop: Header=BB3_3 Depth=1
	ds_load_b32 v30, v71 offset:4096
	ds_load_b32 v31, v67 offset:64
	s_wait_dscnt 0x0
	v_fmac_f32_e32 v2, v30, v31
	s_or_b32 exec_lo, exec_lo, s0
	s_and_saveexec_b32 s0, s11
	s_cbranch_execz .LBB3_1124
.LBB3_1169:                             ;   in Loop: Header=BB3_3 Depth=1
	ds_load_b32 v30, v71 offset:8192
	ds_load_b32 v31, v67 offset:128
	s_wait_dscnt 0x0
	v_fmac_f32_e32 v2, v30, v31
	s_or_b32 exec_lo, exec_lo, s0
	s_and_saveexec_b32 s0, s12
	s_cbranch_execnz .LBB3_1125
	s_branch .LBB3_1126
.LBB3_1170:                             ;   in Loop: Header=BB3_3 Depth=1
	s_or_b32 exec_lo, exec_lo, s84
	s_delay_alu instid0(SALU_CYCLE_1)
	s_and_b32 vcc_lo, exec_lo, s1
	s_cbranch_vccnz .LBB3_1129
.LBB3_1171:                             ;   in Loop: Header=BB3_3 Depth=1
	v_mov_b32_e32 v29, v30
	v_mov_b64_e32 v[30:31], v[14:15]
	s_and_saveexec_b32 s1, s0
	s_cbranch_execz .LBB3_1173
.LBB3_1172:                             ;   in Loop: Header=BB3_3 Depth=1
	s_delay_alu instid0(VALU_DEP_1)
	v_lshl_add_u64 v[30:31], v[30:31], 2, s[82:83]
	global_store_b32 v[30:31], v29, off
.LBB3_1173:                             ;   in Loop: Header=BB3_3 Depth=1
	s_wait_xcnt 0x0
	s_or_b32 exec_lo, exec_lo, s1
	global_wb scope:SCOPE_DEV
	s_wait_storecnt 0x0
	global_inv scope:SCOPE_DEV
	s_wait_loadcnt 0x0
	s_barrier_signal -1
	s_barrier_wait -1
	s_and_saveexec_b32 s0, s57
	s_cbranch_execz .LBB3_2
; %bb.1174:                             ;   in Loop: Header=BB3_3 Depth=1
	s_lshl_b64 s[60:61], s[80:81], 2
	s_delay_alu instid0(SALU_CYCLE_1)
	s_add_nc_u64 s[60:61], s[78:79], s[60:61]
	global_load_b32 v2, v3, s[60:61]
	s_wait_loadcnt 0x0
	v_add_nc_u32_e32 v2, 1, v2
	global_store_b32 v3, v2, s[60:61]
	s_branch .LBB3_2
.LBB3_1175:                             ;   in Loop: Header=BB3_3 Depth=1
	ds_load_b32 v32, v48 offset:15840
	ds_load_b32 v33, v50 offset:16372
	s_wait_dscnt 0x0
	v_fmac_f32_e32 v29, v32, v33
	s_or_b32 exec_lo, exec_lo, s1
	s_and_saveexec_b32 s1, s16
	s_cbranch_execz .LBB3_72
.LBB3_1176:                             ;   in Loop: Header=BB3_3 Depth=1
	ds_load_b32 v32, v48 offset:16096
	ds_load_b32 v33, v50 offset:16376
	s_wait_dscnt 0x0
	v_fmac_f32_e32 v29, v32, v33
	s_or_b32 exec_lo, exec_lo, s1
	s_and_saveexec_b32 s1, s2
	s_cbranch_execnz .LBB3_73
	s_branch .LBB3_74
.LBB3_1177:                             ;   in Loop: Header=BB3_3 Depth=1
	ds_load_b32 v32, v53 offset:14784
	ds_load_b32 v33, v56 offset:16356
	s_wait_dscnt 0x0
	v_fmac_f32_e32 v29, v32, v33
	s_or_b32 exec_lo, exec_lo, s1
	s_and_saveexec_b32 s1, s18
	s_cbranch_execz .LBB3_114
.LBB3_1178:                             ;   in Loop: Header=BB3_3 Depth=1
	ds_load_b32 v32, v53 offset:15040
	ds_load_b32 v33, v56 offset:16360
	s_wait_dscnt 0x0
	v_fmac_f32_e32 v29, v32, v33
	s_or_b32 exec_lo, exec_lo, s1
	s_and_saveexec_b32 s1, s19
	s_cbranch_execz .LBB3_115
.LBB3_1179:                             ;   in Loop: Header=BB3_3 Depth=1
	ds_load_b32 v32, v53 offset:15296
	ds_load_b32 v33, v56 offset:16364
	s_wait_dscnt 0x0
	v_fmac_f32_e32 v29, v32, v33
	s_or_b32 exec_lo, exec_lo, s1
	s_and_saveexec_b32 s1, s20
	s_cbranch_execz .LBB3_116
.LBB3_1180:                             ;   in Loop: Header=BB3_3 Depth=1
	ds_load_b32 v32, v53 offset:15552
	ds_load_b32 v33, v56 offset:16368
	s_wait_dscnt 0x0
	v_fmac_f32_e32 v29, v32, v33
	s_or_b32 exec_lo, exec_lo, s1
	s_and_saveexec_b32 s1, s21
	s_cbranch_execz .LBB3_117
.LBB3_1181:                             ;   in Loop: Header=BB3_3 Depth=1
	ds_load_b32 v32, v53 offset:15808
	ds_load_b32 v33, v56 offset:16372
	s_wait_dscnt 0x0
	v_fmac_f32_e32 v29, v32, v33
	s_or_b32 exec_lo, exec_lo, s1
	s_and_saveexec_b32 s1, s4
	s_cbranch_execz .LBB3_118
.LBB3_1182:                             ;   in Loop: Header=BB3_3 Depth=1
	ds_load_b32 v32, v53 offset:16064
	ds_load_b32 v33, v56 offset:16376
	s_wait_dscnt 0x0
	v_fmac_f32_e32 v29, v32, v33
	s_or_b32 exec_lo, exec_lo, s1
	s_and_saveexec_b32 s1, s16
	s_cbranch_execnz .LBB3_119
	s_branch .LBB3_120
.LBB3_1183:                             ;   in Loop: Header=BB3_3 Depth=1
	ds_load_b32 v32, v48 offset:13760
	ds_load_b32 v33, v50 offset:14292
	s_wait_dscnt 0x0
	v_fmac_f32_e32 v29, v32, v33
	s_or_b32 exec_lo, exec_lo, s1
	s_and_saveexec_b32 s1, s16
	s_cbranch_execz .LBB3_176
.LBB3_1184:                             ;   in Loop: Header=BB3_3 Depth=1
	ds_load_b32 v32, v48 offset:14016
	ds_load_b32 v33, v50 offset:14296
	s_wait_dscnt 0x0
	v_fmac_f32_e32 v29, v32, v33
	s_or_b32 exec_lo, exec_lo, s1
	s_and_saveexec_b32 s1, s2
	s_cbranch_execnz .LBB3_177
	s_branch .LBB3_178
.LBB3_1185:                             ;   in Loop: Header=BB3_3 Depth=1
	ds_load_b32 v32, v59 offset:15232
	ds_load_b32 v33, v61 offset:16364
	s_wait_dscnt 0x0
	v_fmac_f32_e32 v29, v32, v33
	s_or_b32 exec_lo, exec_lo, s1
	s_and_saveexec_b32 s1, s5
	s_cbranch_execz .LBB3_238
.LBB3_1186:                             ;   in Loop: Header=BB3_3 Depth=1
	ds_load_b32 v32, v59 offset:15488
	ds_load_b32 v33, v61 offset:16368
	s_wait_dscnt 0x0
	v_fmac_f32_e32 v29, v32, v33
	s_or_b32 exec_lo, exec_lo, s1
	s_and_saveexec_b32 s1, s18
	s_cbranch_execz .LBB3_239
.LBB3_1187:                             ;   in Loop: Header=BB3_3 Depth=1
	ds_load_b32 v32, v59 offset:15744
	ds_load_b32 v33, v61 offset:16372
	s_wait_dscnt 0x0
	v_fmac_f32_e32 v29, v32, v33
	s_or_b32 exec_lo, exec_lo, s1
	s_and_saveexec_b32 s1, s20
	s_cbranch_execz .LBB3_240
.LBB3_1188:                             ;   in Loop: Header=BB3_3 Depth=1
	ds_load_b32 v32, v59 offset:16000
	ds_load_b32 v33, v61 offset:16376
	s_wait_dscnt 0x0
	v_fmac_f32_e32 v29, v32, v33
	s_or_b32 exec_lo, exec_lo, s1
	s_and_saveexec_b32 s1, s4
	s_cbranch_execnz .LBB3_241
	s_branch .LBB3_242
.LBB3_1189:                             ;   in Loop: Header=BB3_3 Depth=1
	ds_load_b32 v32, v48 offset:11680
	ds_load_b32 v33, v50 offset:12212
	s_wait_dscnt 0x0
	v_fmac_f32_e32 v29, v32, v33
	s_or_b32 exec_lo, exec_lo, s1
	s_and_saveexec_b32 s1, s16
	s_cbranch_execz .LBB3_330
.LBB3_1190:                             ;   in Loop: Header=BB3_3 Depth=1
	ds_load_b32 v32, v48 offset:11936
	ds_load_b32 v33, v50 offset:12216
	s_wait_dscnt 0x0
	v_fmac_f32_e32 v29, v32, v33
	s_or_b32 exec_lo, exec_lo, s1
	s_and_saveexec_b32 s1, s2
	s_cbranch_execnz .LBB3_331
	s_branch .LBB3_332
.LBB3_1191:                             ;   in Loop: Header=BB3_3 Depth=1
	ds_load_b32 v32, v53 offset:10624
	ds_load_b32 v33, v56 offset:12196
	s_wait_dscnt 0x0
	v_fmac_f32_e32 v29, v32, v33
	s_or_b32 exec_lo, exec_lo, s1
	s_and_saveexec_b32 s1, s18
	s_cbranch_execz .LBB3_372
.LBB3_1192:                             ;   in Loop: Header=BB3_3 Depth=1
	ds_load_b32 v32, v53 offset:10880
	ds_load_b32 v33, v56 offset:12200
	s_wait_dscnt 0x0
	v_fmac_f32_e32 v29, v32, v33
	s_or_b32 exec_lo, exec_lo, s1
	s_and_saveexec_b32 s1, s19
	s_cbranch_execz .LBB3_373
.LBB3_1193:                             ;   in Loop: Header=BB3_3 Depth=1
	ds_load_b32 v32, v53 offset:11136
	ds_load_b32 v33, v56 offset:12204
	s_wait_dscnt 0x0
	v_fmac_f32_e32 v29, v32, v33
	s_or_b32 exec_lo, exec_lo, s1
	s_and_saveexec_b32 s1, s20
	s_cbranch_execz .LBB3_374
.LBB3_1194:                             ;   in Loop: Header=BB3_3 Depth=1
	ds_load_b32 v32, v53 offset:11392
	ds_load_b32 v33, v56 offset:12208
	s_wait_dscnt 0x0
	v_fmac_f32_e32 v29, v32, v33
	s_or_b32 exec_lo, exec_lo, s1
	s_and_saveexec_b32 s1, s21
	s_cbranch_execz .LBB3_375
.LBB3_1195:                             ;   in Loop: Header=BB3_3 Depth=1
	ds_load_b32 v32, v53 offset:11648
	ds_load_b32 v33, v56 offset:12212
	s_wait_dscnt 0x0
	v_fmac_f32_e32 v29, v32, v33
	s_or_b32 exec_lo, exec_lo, s1
	s_and_saveexec_b32 s1, s4
	s_cbranch_execz .LBB3_376
.LBB3_1196:                             ;   in Loop: Header=BB3_3 Depth=1
	ds_load_b32 v32, v53 offset:11904
	ds_load_b32 v33, v56 offset:12216
	s_wait_dscnt 0x0
	v_fmac_f32_e32 v29, v32, v33
	s_or_b32 exec_lo, exec_lo, s1
	s_and_saveexec_b32 s1, s16
	s_cbranch_execnz .LBB3_377
	s_branch .LBB3_378
.LBB3_1197:                             ;   in Loop: Header=BB3_3 Depth=1
	ds_load_b32 v32, v48 offset:9600
	ds_load_b32 v33, v50 offset:10132
	s_wait_dscnt 0x0
	v_fmac_f32_e32 v29, v32, v33
	s_or_b32 exec_lo, exec_lo, s1
	s_and_saveexec_b32 s1, s16
	s_cbranch_execz .LBB3_434
.LBB3_1198:                             ;   in Loop: Header=BB3_3 Depth=1
	ds_load_b32 v32, v48 offset:9856
	ds_load_b32 v33, v50 offset:10136
	s_wait_dscnt 0x0
	v_fmac_f32_e32 v29, v32, v33
	s_or_b32 exec_lo, exec_lo, s1
	s_and_saveexec_b32 s1, s2
	s_cbranch_execnz .LBB3_435
	s_branch .LBB3_436
.LBB3_1199:                             ;   in Loop: Header=BB3_3 Depth=1
	ds_load_b32 v32, v62 offset:15616
	ds_load_b32 v33, v65 offset:16372
	s_wait_dscnt 0x0
	v_fmac_f32_e32 v29, v32, v33
	s_or_b32 exec_lo, exec_lo, s1
	s_and_saveexec_b32 s1, s5
	s_cbranch_execz .LBB3_532
.LBB3_1200:                             ;   in Loop: Header=BB3_3 Depth=1
	ds_load_b32 v32, v62 offset:15872
	ds_load_b32 v33, v65 offset:16376
	s_wait_dscnt 0x0
	v_fmac_f32_e32 v29, v32, v33
	s_or_b32 exec_lo, exec_lo, s1
	s_and_saveexec_b32 s1, s20
	s_cbranch_execnz .LBB3_533
	s_branch .LBB3_534
.LBB3_1201:                             ;   in Loop: Header=BB3_3 Depth=1
	ds_load_b32 v32, v48 offset:7520
	ds_load_b32 v33, v50 offset:8052
	s_wait_dscnt 0x0
	v_fmac_f32_e32 v29, v32, v33
	s_or_b32 exec_lo, exec_lo, s1
	s_and_saveexec_b32 s1, s16
	s_cbranch_execz .LBB3_686
.LBB3_1202:                             ;   in Loop: Header=BB3_3 Depth=1
	ds_load_b32 v32, v48 offset:7776
	ds_load_b32 v33, v50 offset:8056
	s_wait_dscnt 0x0
	v_fmac_f32_e32 v29, v32, v33
	s_or_b32 exec_lo, exec_lo, s1
	s_and_saveexec_b32 s1, s2
	s_cbranch_execnz .LBB3_687
	s_branch .LBB3_688
.LBB3_1203:                             ;   in Loop: Header=BB3_3 Depth=1
	ds_load_b32 v32, v53 offset:6464
	ds_load_b32 v33, v56 offset:8036
	s_wait_dscnt 0x0
	v_fmac_f32_e32 v29, v32, v33
	s_or_b32 exec_lo, exec_lo, s1
	s_and_saveexec_b32 s1, s18
	s_cbranch_execz .LBB3_728
.LBB3_1204:                             ;   in Loop: Header=BB3_3 Depth=1
	ds_load_b32 v32, v53 offset:6720
	ds_load_b32 v33, v56 offset:8040
	s_wait_dscnt 0x0
	v_fmac_f32_e32 v29, v32, v33
	s_or_b32 exec_lo, exec_lo, s1
	s_and_saveexec_b32 s1, s19
	s_cbranch_execz .LBB3_729
.LBB3_1205:                             ;   in Loop: Header=BB3_3 Depth=1
	ds_load_b32 v32, v53 offset:6976
	ds_load_b32 v33, v56 offset:8044
	s_wait_dscnt 0x0
	v_fmac_f32_e32 v29, v32, v33
	s_or_b32 exec_lo, exec_lo, s1
	s_and_saveexec_b32 s1, s20
	s_cbranch_execz .LBB3_730
.LBB3_1206:                             ;   in Loop: Header=BB3_3 Depth=1
	ds_load_b32 v32, v53 offset:7232
	ds_load_b32 v33, v56 offset:8048
	s_wait_dscnt 0x0
	v_fmac_f32_e32 v29, v32, v33
	s_or_b32 exec_lo, exec_lo, s1
	s_and_saveexec_b32 s1, s21
	s_cbranch_execz .LBB3_731
.LBB3_1207:                             ;   in Loop: Header=BB3_3 Depth=1
	ds_load_b32 v32, v53 offset:7488
	ds_load_b32 v33, v56 offset:8052
	s_wait_dscnt 0x0
	v_fmac_f32_e32 v29, v32, v33
	s_or_b32 exec_lo, exec_lo, s1
	s_and_saveexec_b32 s1, s4
	s_cbranch_execz .LBB3_732
.LBB3_1208:                             ;   in Loop: Header=BB3_3 Depth=1
	ds_load_b32 v32, v53 offset:7744
	ds_load_b32 v33, v56 offset:8056
	s_wait_dscnt 0x0
	v_fmac_f32_e32 v29, v32, v33
	s_or_b32 exec_lo, exec_lo, s1
	s_and_saveexec_b32 s1, s16
	s_cbranch_execnz .LBB3_733
	s_branch .LBB3_734
.LBB3_1209:                             ;   in Loop: Header=BB3_3 Depth=1
	ds_load_b32 v32, v48 offset:5440
	ds_load_b32 v33, v50 offset:5972
	s_wait_dscnt 0x0
	v_fmac_f32_e32 v29, v32, v33
	s_or_b32 exec_lo, exec_lo, s1
	s_and_saveexec_b32 s1, s16
	s_cbranch_execz .LBB3_790
.LBB3_1210:                             ;   in Loop: Header=BB3_3 Depth=1
	ds_load_b32 v32, v48 offset:5696
	ds_load_b32 v33, v50 offset:5976
	s_wait_dscnt 0x0
	v_fmac_f32_e32 v29, v32, v33
	s_or_b32 exec_lo, exec_lo, s1
	s_and_saveexec_b32 s1, s2
	s_cbranch_execnz .LBB3_791
	s_branch .LBB3_792
.LBB3_1211:                             ;   in Loop: Header=BB3_3 Depth=1
	ds_load_b32 v32, v59 offset:6912
	ds_load_b32 v33, v61 offset:8044
	s_wait_dscnt 0x0
	v_fmac_f32_e32 v29, v32, v33
	s_or_b32 exec_lo, exec_lo, s1
	s_and_saveexec_b32 s1, s5
	s_cbranch_execz .LBB3_852
.LBB3_1212:                             ;   in Loop: Header=BB3_3 Depth=1
	ds_load_b32 v32, v59 offset:7168
	ds_load_b32 v33, v61 offset:8048
	s_wait_dscnt 0x0
	v_fmac_f32_e32 v29, v32, v33
	s_or_b32 exec_lo, exec_lo, s1
	s_and_saveexec_b32 s1, s18
	s_cbranch_execz .LBB3_853
.LBB3_1213:                             ;   in Loop: Header=BB3_3 Depth=1
	ds_load_b32 v32, v59 offset:7424
	ds_load_b32 v33, v61 offset:8052
	s_wait_dscnt 0x0
	v_fmac_f32_e32 v29, v32, v33
	s_or_b32 exec_lo, exec_lo, s1
	s_and_saveexec_b32 s1, s20
	s_cbranch_execz .LBB3_854
.LBB3_1214:                             ;   in Loop: Header=BB3_3 Depth=1
	ds_load_b32 v32, v59 offset:7680
	ds_load_b32 v33, v61 offset:8056
	s_wait_dscnt 0x0
	v_fmac_f32_e32 v29, v32, v33
	s_or_b32 exec_lo, exec_lo, s1
	s_and_saveexec_b32 s1, s4
	s_cbranch_execnz .LBB3_855
	s_branch .LBB3_856
.LBB3_1215:                             ;   in Loop: Header=BB3_3 Depth=1
	ds_load_b32 v32, v48 offset:3360
	ds_load_b32 v33, v50 offset:3892
	s_wait_dscnt 0x0
	v_fmac_f32_e32 v29, v32, v33
	s_or_b32 exec_lo, exec_lo, s1
	s_and_saveexec_b32 s1, s16
	s_cbranch_execz .LBB3_944
.LBB3_1216:                             ;   in Loop: Header=BB3_3 Depth=1
	ds_load_b32 v32, v48 offset:3616
	ds_load_b32 v33, v50 offset:3896
	s_wait_dscnt 0x0
	v_fmac_f32_e32 v29, v32, v33
	s_or_b32 exec_lo, exec_lo, s1
	s_and_saveexec_b32 s1, s2
	s_cbranch_execnz .LBB3_945
	s_branch .LBB3_946
.LBB3_1217:                             ;   in Loop: Header=BB3_3 Depth=1
	ds_load_b32 v32, v53 offset:2304
	ds_load_b32 v33, v56 offset:3876
	s_wait_dscnt 0x0
	v_fmac_f32_e32 v29, v32, v33
	s_or_b32 exec_lo, exec_lo, s1
	s_and_saveexec_b32 s1, s18
	s_cbranch_execz .LBB3_986
.LBB3_1218:                             ;   in Loop: Header=BB3_3 Depth=1
	ds_load_b32 v32, v53 offset:2560
	ds_load_b32 v33, v56 offset:3880
	s_wait_dscnt 0x0
	v_fmac_f32_e32 v29, v32, v33
	s_or_b32 exec_lo, exec_lo, s1
	s_and_saveexec_b32 s1, s19
	s_cbranch_execz .LBB3_987
.LBB3_1219:                             ;   in Loop: Header=BB3_3 Depth=1
	ds_load_b32 v32, v53 offset:2816
	ds_load_b32 v33, v56 offset:3884
	s_wait_dscnt 0x0
	v_fmac_f32_e32 v29, v32, v33
	s_or_b32 exec_lo, exec_lo, s1
	s_and_saveexec_b32 s1, s20
	s_cbranch_execz .LBB3_988
.LBB3_1220:                             ;   in Loop: Header=BB3_3 Depth=1
	ds_load_b32 v32, v53 offset:3072
	ds_load_b32 v33, v56 offset:3888
	s_wait_dscnt 0x0
	v_fmac_f32_e32 v29, v32, v33
	s_or_b32 exec_lo, exec_lo, s1
	s_and_saveexec_b32 s1, s21
	s_cbranch_execz .LBB3_989
.LBB3_1221:                             ;   in Loop: Header=BB3_3 Depth=1
	ds_load_b32 v32, v53 offset:3328
	ds_load_b32 v33, v56 offset:3892
	s_wait_dscnt 0x0
	v_fmac_f32_e32 v29, v32, v33
	s_or_b32 exec_lo, exec_lo, s1
	s_and_saveexec_b32 s1, s4
	s_cbranch_execz .LBB3_990
.LBB3_1222:                             ;   in Loop: Header=BB3_3 Depth=1
	ds_load_b32 v32, v53 offset:3584
	ds_load_b32 v33, v56 offset:3896
	s_wait_dscnt 0x0
	v_fmac_f32_e32 v29, v32, v33
	s_or_b32 exec_lo, exec_lo, s1
	s_and_saveexec_b32 s1, s16
	s_cbranch_execnz .LBB3_991
	s_branch .LBB3_992
.LBB3_1223:                             ;   in Loop: Header=BB3_3 Depth=1
	ds_load_b32 v32, v48 offset:1280
	ds_load_b32 v33, v50 offset:1812
	s_wait_dscnt 0x0
	v_fmac_f32_e32 v29, v32, v33
	s_or_b32 exec_lo, exec_lo, s1
	s_and_saveexec_b32 s1, s16
	s_cbranch_execz .LBB3_1048
.LBB3_1224:                             ;   in Loop: Header=BB3_3 Depth=1
	ds_load_b32 v32, v48 offset:1536
	ds_load_b32 v33, v50 offset:1816
	s_wait_dscnt 0x0
	v_fmac_f32_e32 v29, v32, v33
	s_or_b32 exec_lo, exec_lo, s1
	s_and_saveexec_b32 s1, s2
	s_cbranch_execnz .LBB3_1049
	s_branch .LBB3_1050
.LBB3_1225:
	s_endpgm
	.section	.rodata,"a",@progbits
	.p2align	6, 0x0
	.amdhsa_kernel _ZL19rocblas_trsv_deviceILi64ELi16ELb0ELb1ELb1ELb1EfPKfS1_PfEviT7_lllT6_T8_lllPii
		.amdhsa_group_segment_fixed_size 20740
		.amdhsa_private_segment_fixed_size 0
		.amdhsa_kernarg_size 352
		.amdhsa_user_sgpr_count 2
		.amdhsa_user_sgpr_dispatch_ptr 0
		.amdhsa_user_sgpr_queue_ptr 0
		.amdhsa_user_sgpr_kernarg_segment_ptr 1
		.amdhsa_user_sgpr_dispatch_id 0
		.amdhsa_user_sgpr_kernarg_preload_length 0
		.amdhsa_user_sgpr_kernarg_preload_offset 0
		.amdhsa_user_sgpr_private_segment_size 0
		.amdhsa_wavefront_size32 1
		.amdhsa_uses_dynamic_stack 0
		.amdhsa_enable_private_segment 0
		.amdhsa_system_sgpr_workgroup_id_x 1
		.amdhsa_system_sgpr_workgroup_id_y 0
		.amdhsa_system_sgpr_workgroup_id_z 1
		.amdhsa_system_sgpr_workgroup_info 0
		.amdhsa_system_vgpr_workitem_id 1
		.amdhsa_next_free_vgpr 90
		.amdhsa_next_free_sgpr 105
		.amdhsa_named_barrier_count 0
		.amdhsa_reserve_vcc 1
		.amdhsa_float_round_mode_32 0
		.amdhsa_float_round_mode_16_64 0
		.amdhsa_float_denorm_mode_32 3
		.amdhsa_float_denorm_mode_16_64 3
		.amdhsa_fp16_overflow 0
		.amdhsa_memory_ordered 1
		.amdhsa_forward_progress 1
		.amdhsa_inst_pref_size 255
		.amdhsa_round_robin_scheduling 0
		.amdhsa_exception_fp_ieee_invalid_op 0
		.amdhsa_exception_fp_denorm_src 0
		.amdhsa_exception_fp_ieee_div_zero 0
		.amdhsa_exception_fp_ieee_overflow 0
		.amdhsa_exception_fp_ieee_underflow 0
		.amdhsa_exception_fp_ieee_inexact 0
		.amdhsa_exception_int_div_zero 0
	.end_amdhsa_kernel
	.section	.text._ZL19rocblas_trsv_deviceILi64ELi16ELb0ELb1ELb1ELb1EfPKfS1_PfEviT7_lllT6_T8_lllPii,"axG",@progbits,_ZL19rocblas_trsv_deviceILi64ELi16ELb0ELb1ELb1ELb1EfPKfS1_PfEviT7_lllT6_T8_lllPii,comdat
.Lfunc_end3:
	.size	_ZL19rocblas_trsv_deviceILi64ELi16ELb0ELb1ELb1ELb1EfPKfS1_PfEviT7_lllT6_T8_lllPii, .Lfunc_end3-_ZL19rocblas_trsv_deviceILi64ELi16ELb0ELb1ELb1ELb1EfPKfS1_PfEviT7_lllT6_T8_lllPii
                                        ; -- End function
	.set _ZL19rocblas_trsv_deviceILi64ELi16ELb0ELb1ELb1ELb1EfPKfS1_PfEviT7_lllT6_T8_lllPii.num_vgpr, 90
	.set _ZL19rocblas_trsv_deviceILi64ELi16ELb0ELb1ELb1ELb1EfPKfS1_PfEviT7_lllT6_T8_lllPii.num_agpr, 0
	.set _ZL19rocblas_trsv_deviceILi64ELi16ELb0ELb1ELb1ELb1EfPKfS1_PfEviT7_lllT6_T8_lllPii.numbered_sgpr, 105
	.set _ZL19rocblas_trsv_deviceILi64ELi16ELb0ELb1ELb1ELb1EfPKfS1_PfEviT7_lllT6_T8_lllPii.num_named_barrier, 0
	.set _ZL19rocblas_trsv_deviceILi64ELi16ELb0ELb1ELb1ELb1EfPKfS1_PfEviT7_lllT6_T8_lllPii.private_seg_size, 0
	.set _ZL19rocblas_trsv_deviceILi64ELi16ELb0ELb1ELb1ELb1EfPKfS1_PfEviT7_lllT6_T8_lllPii.uses_vcc, 1
	.set _ZL19rocblas_trsv_deviceILi64ELi16ELb0ELb1ELb1ELb1EfPKfS1_PfEviT7_lllT6_T8_lllPii.uses_flat_scratch, 0
	.set _ZL19rocblas_trsv_deviceILi64ELi16ELb0ELb1ELb1ELb1EfPKfS1_PfEviT7_lllT6_T8_lllPii.has_dyn_sized_stack, 0
	.set _ZL19rocblas_trsv_deviceILi64ELi16ELb0ELb1ELb1ELb1EfPKfS1_PfEviT7_lllT6_T8_lllPii.has_recursion, 0
	.set _ZL19rocblas_trsv_deviceILi64ELi16ELb0ELb1ELb1ELb1EfPKfS1_PfEviT7_lllT6_T8_lllPii.has_indirect_call, 0
	.section	.AMDGPU.csdata,"",@progbits
; Kernel info:
; codeLenInByte = 36748
; TotalNumSgprs: 107
; NumVgprs: 90
; ScratchSize: 0
; MemoryBound: 0
; FloatMode: 240
; IeeeMode: 1
; LDSByteSize: 20740 bytes/workgroup (compile time only)
; SGPRBlocks: 0
; VGPRBlocks: 5
; NumSGPRsForWavesPerEU: 107
; NumVGPRsForWavesPerEU: 90
; NamedBarCnt: 0
; Occupancy: 10
; WaveLimiterHint : 0
; COMPUTE_PGM_RSRC2:SCRATCH_EN: 0
; COMPUTE_PGM_RSRC2:USER_SGPR: 2
; COMPUTE_PGM_RSRC2:TRAP_HANDLER: 0
; COMPUTE_PGM_RSRC2:TGID_X_EN: 1
; COMPUTE_PGM_RSRC2:TGID_Y_EN: 0
; COMPUTE_PGM_RSRC2:TGID_Z_EN: 1
; COMPUTE_PGM_RSRC2:TIDIG_COMP_CNT: 1
	.section	.text._ZL19rocblas_trsv_deviceILi64ELi16ELb0ELb0ELb0ELb0EfPKfS1_PfEviT7_lllT6_T8_lllPii,"axG",@progbits,_ZL19rocblas_trsv_deviceILi64ELi16ELb0ELb0ELb0ELb0EfPKfS1_PfEviT7_lllT6_T8_lllPii,comdat
	.globl	_ZL19rocblas_trsv_deviceILi64ELi16ELb0ELb0ELb0ELb0EfPKfS1_PfEviT7_lllT6_T8_lllPii ; -- Begin function _ZL19rocblas_trsv_deviceILi64ELi16ELb0ELb0ELb0ELb0EfPKfS1_PfEviT7_lllT6_T8_lllPii
	.p2align	8
	.type	_ZL19rocblas_trsv_deviceILi64ELi16ELb0ELb0ELb0ELb0EfPKfS1_PfEviT7_lllT6_T8_lllPii,@function
_ZL19rocblas_trsv_deviceILi64ELi16ELb0ELb0ELb0ELb0EfPKfS1_PfEviT7_lllT6_T8_lllPii: ; @_ZL19rocblas_trsv_deviceILi64ELi16ELb0ELb0ELb0ELb0EfPKfS1_PfEviT7_lllT6_T8_lllPii
; %bb.0:
	s_load_b32 s6, s[0:1], 0x58
	s_bfe_u32 s2, ttmp6, 0x40014
	s_lshr_b32 s3, ttmp7, 16
	s_add_co_i32 s2, s2, 1
	s_bfe_u32 s5, ttmp6, 0x40008
	s_mul_i32 s4, s3, s2
	s_getreg_b32 s2, hwreg(HW_REG_IB_STS2, 6, 4)
	s_add_co_i32 s5, s5, s4
	s_cmp_eq_u32 s2, 0
	s_mov_b32 s89, 0
	s_cselect_b32 s88, s3, s5
                                        ; implicit-def: $vgpr72 : SGPR spill to VGPR lane
	s_wait_kmcnt 0x0
	s_cmp_ge_u32 s88, s6
	v_writelane_b32 v72, s6, 0
	s_cbranch_scc1 .LBB4_1195
; %bb.1:
	s_clause 0x3
	s_load_b512 s[68:83], s[0:1], 0x8
	s_load_b32 s3, s[0:1], 0x6c
	s_load_b32 s101, s[0:1], 0x60
	;; [unrolled: 1-line block ×3, first 2 shown]
	s_bfe_u32 s5, ttmp6, 0x4000c
	s_and_b32 s4, ttmp6, 15
	s_add_co_i32 s5, s5, 1
	v_dual_mov_b32 v5, 0 :: v_dual_lshrrev_b32 v1, 10, v0
	s_mul_i32 s5, ttmp9, s5
	v_bfe_u32 v26, v0, 10, 10
	s_add_co_i32 s8, s4, s5
	v_and_b32_e32 v2, 0x3ff, v0
	v_dual_mov_b32 v3, v5 :: v_dual_bitop2_b32 v10, 1, v0 bitop3:0x40
	v_bitop3_b32 v21, v0, v1, 0x3ff bitop3:0xa8
                                        ; implicit-def: $vgpr71 : SGPR spill to VGPR lane
                                        ; implicit-def: $vgpr70 : SGPR spill to VGPR lane
	v_lshl_add_u32 v48, v26, 2, 0x5000
	s_delay_alu instid0(VALU_DEP_4) | instskip(NEXT) | instid1(VALU_DEP_4)
	v_lshl_add_u32 v20, v26, 6, v2
	v_cmp_eq_u32_e32 vcc_lo, 1, v10
	v_lshlrev_b32_e32 v28, 2, v10
	s_wait_kmcnt 0x0
	s_lshl_b64 s[4:5], s[70:71], 2
	s_lshl_b64 s[6:7], s[80:81], 2
	s_cmp_eq_u32 s2, 0
	s_add_nc_u64 s[4:5], s[68:69], s[4:5]
	s_cselect_b32 s71, ttmp9, s8
	s_add_co_i32 s2, s90, -1
	s_ashr_i32 s91, s90, 31
	s_and_b32 s8, s3, 0xffff
	s_ashr_i32 s3, s2, 31
	s_lshr_b32 s9, s91, 26
	s_lshr_b32 s3, s3, 26
	s_add_co_i32 s9, s90, s9
	s_add_co_i32 s101, s101, -1
	s_add_co_i32 s2, s2, s3
	s_and_not1_b32 s9, s9, 63
	s_sub_co_i32 s67, s101, s71
	s_ashr_i32 s2, s2, 6
	s_sub_co_i32 s17, s90, s9
	s_cmp_eq_u32 s2, s67
	v_writelane_b32 v72, s4, 1
	s_cselect_b32 s2, -1, 0
	s_cmp_lg_u32 s17, 0
	v_lshlrev_b32_e32 v29, 2, v2
	s_cselect_b32 s3, -1, 0
	v_writelane_b32 v72, s5, 2
	s_and_b32 s11, s3, s2
	s_add_nc_u64 s[2:3], s[72:73], 1
	s_xor_b32 s102, s11, -1
	s_cmp_lg_u32 s71, 0
	v_lshlrev_b32_e32 v1, 6, v20
	s_cselect_b32 s4, -1, 0
	s_lshl_b32 s12, s67, 6
	s_delay_alu instid0(SALU_CYCLE_1)
	v_dual_lshrrev_b32 v11, 1, v20 :: v_dual_add_nc_u32 v14, s12, v26
	v_mad_nc_u64_u32 v[18:19], s2, s12, v[2:3]
	v_writelane_b32 v72, s4, 3
	s_add_nc_u64 s[4:5], s[78:79], s[6:7]
	s_ashr_i32 s13, s12, 31
	v_add_nc_u32_e32 v12, 64, v14
	s_mul_i32 s3, s3, s12
	v_writelane_b32 v72, s4, 4
	s_mul_i32 s2, s2, s13
	s_delay_alu instid0(VALU_DEP_2)
	v_dual_add_nc_u32 v6, s12, v2 :: v_dual_ashrrev_i32 v13, 31, v12
	s_cmp_gt_i32 s71, 4
	v_add3_u32 v19, s2, s3, v19
	v_cmp_gt_u32_e64 s2, 4, v20
	v_cmp_eq_u32_e64 s3, 0, v10
	v_and_b32_e32 v10, 3, v0
	v_writelane_b32 v72, s5, 5
	s_cselect_b32 s4, -1, 0
	v_mul_u64_e32 v[8:9], s[72:73], v[12:13]
	s_and_b32 s104, s4, s102
	v_lshlrev_b32_e32 v13, 8, v11
	s_and_b32 vcc_hi, vcc_lo, s2
	s_and_b32 s38, s3, s2
	v_and_b32_e32 v1, 0xffffff00, v1
	v_cmp_gt_u32_e64 s3, 16, v20
	v_cmp_eq_u32_e32 vcc_lo, 3, v10
	v_cmp_ne_u32_e64 s4, 3, v10
	v_lshl_add_u32 v3, v11, 2, 0x4000
	v_dual_sub_nc_u32 v30, v28, v13 :: v_dual_lshlrev_b32 v33, 2, v10
	v_and_b32_e32 v11, 0x1fffc, v20
	v_sub_nc_u32_e32 v32, 0, v1
	s_and_b32 s39, vcc_lo, s3
	s_and_b32 s40, s4, s3
	v_cmp_eq_u32_e32 vcc_lo, 2, v10
	v_cmp_gt_u32_e64 s4, 2, v10
	v_cmp_eq_u32_e64 s5, 1, v10
	v_cmp_eq_u32_e64 s6, 0, v10
	v_dual_lshrrev_b32 v10, 3, v20 :: v_dual_ashrrev_i32 v7, 31, v6
	v_sub_nc_u32_e32 v27, 0, v13
	v_add_nc_u32_e32 v31, 0x4000, v11
	s_delay_alu instid0(VALU_DEP_3)
	v_dual_lshlrev_b32 v11, 8, v10 :: v_dual_bitop2_b32 v13, 7, v0 bitop3:0x40
	s_and_b32 s41, vcc_lo, s3
	s_and_b32 s42, s4, s3
	s_and_b32 s43, s5, s3
	v_cmp_gt_u32_e64 s4, 64, v20
	v_cmp_eq_u32_e32 vcc_lo, 7, v13
	v_cmp_ne_u32_e64 s5, 7, v13
	s_and_b32 s44, s6, s3
	v_cmp_eq_u32_e64 s6, 6, v13
	v_cmp_gt_u32_e64 s7, 6, v13
	s_and_b32 s45, vcc_lo, s4
	v_cmp_eq_u32_e32 vcc_lo, 5, v13
	s_and_b32 s46, s5, s4
	v_cmp_gt_u32_e64 s5, 5, v13
	v_dual_sub_nc_u32 v34, v33, v1 :: v_dual_sub_nc_u32 v36, 0, v11
	s_and_b32 s49, vcc_lo, s4
	v_cmp_eq_u32_e32 vcc_lo, 4, v13
	s_and_b32 s50, s5, s4
	v_cmp_gt_u32_e64 s5, 3, v13
	v_lshl_add_u32 v35, v10, 2, 0x4000
	v_dual_lshlrev_b32 v37, 2, v13 :: v_dual_lshrrev_b32 v1, 4, v20
	s_and_b32 s47, s6, s4
	s_and_b32 s48, s7, s4
	v_cmp_gt_u32_e64 s6, 4, v13
	v_cmp_eq_u32_e64 s7, 3, v13
	s_and_b32 s51, vcc_lo, s4
	v_cmp_eq_u32_e32 vcc_lo, 2, v13
	s_and_b32 s54, s5, s4
	v_cmp_gt_u32_e64 s5, 2, v13
	v_and_b32_e32 v10, 15, v0
	s_and_b32 s52, s6, s4
	s_and_b32 s53, s7, s4
	v_cmp_eq_u32_e64 s6, 1, v13
	v_cmp_eq_u32_e64 s7, 0, v13
	s_and_b32 s55, vcc_lo, s4
	s_and_b32 s56, s5, s4
	v_lshlrev_b32_e32 v13, 8, v1
	v_cmp_gt_u32_e64 s5, 0x100, v20
	v_cmp_eq_u32_e32 vcc_lo, 15, v10
	v_mad_u32_u24 v4, v26, s8, v2
	s_and_b32 s57, s6, s4
	v_cmp_ne_u32_e64 s6, 15, v10
	s_and_b32 s58, s7, s4
	s_and_b32 s8, vcc_lo, s5
	v_cmp_eq_u32_e64 s7, 14, v10
	v_writelane_b32 v72, s8, 6
	s_and_b32 s6, s6, s5
	v_cmp_gt_u32_e32 vcc_lo, 14, v10
	v_lshl_add_u32 v39, v1, 2, 0x4000
	s_and_b32 s7, s7, s5
	v_writelane_b32 v72, s6, 7
	v_cmp_eq_u32_e64 s6, 13, v10
	s_and_b32 s8, vcc_lo, s5
	v_cmp_eq_u32_e32 vcc_lo, 12, v10
	v_dual_lshlrev_b32 v41, 2, v10 :: v_dual_lshrrev_b32 v1, 5, v20
	v_writelane_b32 v72, s7, 8
	v_cmp_gt_u32_e64 s7, 13, v10
	s_and_b32 s69, s6, s5
	v_cmp_gt_u32_e64 s6, 12, v10
	s_and_b32 s14, vcc_lo, s5
	v_cmp_gt_u32_e32 vcc_lo, 11, v10
	s_and_b32 s70, s7, s5
	v_cmp_eq_u32_e64 s7, 11, v10
	s_and_b32 s15, s6, s5
	v_cmp_eq_u32_e64 s6, 10, v10
	s_and_b32 s26, vcc_lo, s5
	v_cmp_eq_u32_e32 vcc_lo, 9, v10
	s_and_b32 s16, s7, s5
	v_cmp_gt_u32_e64 s7, 10, v10
	s_and_b32 s28, s6, s5
	v_cmp_gt_u32_e64 s6, 9, v10
	s_and_b32 s33, vcc_lo, s5
	v_cmp_gt_u32_e32 vcc_lo, 8, v10
	s_and_b32 s30, s7, s5
	v_cmp_eq_u32_e64 s7, 8, v10
	s_and_b32 s35, s6, s5
	v_cmp_eq_u32_e64 s6, 7, v10
	s_and_b32 s63, vcc_lo, s5
	v_cmp_eq_u32_e32 vcc_lo, 6, v10
	s_and_b32 s37, s7, s5
	;; [unrolled: 12-line block ×3, first 2 shown]
	v_cmp_gt_u32_e64 s7, 4, v10
	s_and_b32 s34, s6, s5
	v_cmp_gt_u32_e64 s6, 3, v10
	s_and_b32 s80, vcc_lo, s5
	v_cmp_gt_u32_e32 vcc_lo, 2, v10
	s_and_b32 s36, s7, s5
	v_cmp_eq_u32_e64 s7, 2, v10
	s_and_b32 s81, s6, s5
	v_cmp_eq_u32_e64 s6, 1, v10
	v_dual_sub_nc_u32 v42, v41, v13 :: v_dual_bitop2_b32 v0, 31, v0 bitop3:0x40
	s_and_b32 s103, s7, s5
	v_cmp_eq_u32_e64 s7, 0, v10
	s_and_b32 s78, vcc_lo, s5
	s_and_b32 s79, s6, s5
	v_cmp_gt_u32_e64 s6, 0x400, v20
	v_cmp_eq_u32_e32 vcc_lo, 31, v0
	v_writelane_b32 v72, s8, 9
	s_and_b32 s100, s7, s5
	v_cmp_ne_u32_e64 s7, 31, v0
	v_cmp_gt_u32_e64 s9, 29, v0
	s_and_b32 s8, vcc_lo, s6
	v_cmp_eq_u32_e32 vcc_lo, 30, v0
	v_writelane_b32 v72, s8, 10
	s_and_b32 s7, s7, s6
	v_cmp_eq_u32_e64 s8, 29, v0
	v_cmp_eq_u32_e64 s10, 28, v0
	s_and_b32 s18, vcc_lo, s6
	v_writelane_b32 v72, s7, 11
	v_cmp_gt_u32_e64 s7, 30, v0
	v_cmp_gt_u32_e32 vcc_lo, 28, v0
	v_dual_sub_nc_u32 v38, v37, v11 :: v_dual_sub_nc_u32 v40, 0, v13
	v_writelane_b32 v72, s18, 12
	s_and_b32 s7, s7, s6
	v_add_nc_u64_e32 v[10:11], s[12:13], v[4:5]
	s_and_b32 s12, vcc_lo, s6
	v_cmp_eq_u32_e32 vcc_lo, 25, v0
	v_writelane_b32 v72, s7, 13
	s_and_b32 s7, s8, s6
	v_cmp_gt_u32_e64 s8, 27, v0
	v_dual_lshlrev_b32 v13, 8, v1 :: v_dual_lshlrev_b32 v45, 2, v0
	v_writelane_b32 v72, s7, 14
	s_and_b32 s7, s9, s6
	v_cmp_eq_u32_e64 s9, 26, v0
	s_delay_alu instid0(VALU_DEP_3)
	v_dual_sub_nc_u32 v44, 0, v13 :: v_dual_sub_nc_u32 v46, v45, v13
	v_writelane_b32 v72, s7, 15
	s_and_b32 s7, s10, s6
	v_cmp_gt_u32_e64 s10, 26, v0
	v_add_nc_u32_e32 v13, 0x50, v14
	v_add_nc_u32_e32 v16, 0x60, v14
	v_writelane_b32 v72, s7, 16
	v_cmp_eq_u32_e64 s7, 27, v0
	v_add_nc_u32_e32 v25, 0x70, v14
	v_dual_add_nc_u32 v52, v48, v29 :: v_dual_add_nc_u32 v24, 16, v26
	v_writelane_b32 v72, s12, 17
	s_and_b32 s7, s7, s6
	v_dual_add_nc_u32 v23, 32, v26 :: v_dual_add_nc_u32 v22, 48, v26
                                        ; implicit-def: $vgpr69 : SGPR spill to VGPR lane
	v_lshl_add_u32 v43, v1, 2, 0x4000
	v_writelane_b32 v72, s7, 18
	s_and_b32 s7, s8, s6
	v_mul_u64_e32 v[10:11], s[82:83], v[10:11]
	v_cmp_le_i32_e64 s12, s17, v22
                                        ; implicit-def: $vgpr68 : SGPR spill to VGPR lane
	v_mad_nc_u64_u32 v[14:15], s72, v24, v[18:19]
	v_writelane_b32 v72, s7, 19
	s_and_b32 s7, s9, s6
	v_cmp_gt_i32_e64 s9, s90, v12
	s_load_b128 s[84:87], s[0:1], 0x48
	v_or_b32_e32 v63, v23, v2
	v_writelane_b32 v72, s7, 20
	s_and_b32 s7, s10, s6
	v_cmp_le_u32_e64 s10, v26, v2
	v_or_b32_e32 v64, v22, v2
	v_lshl_add_u32 v47, v4, 2, 0x5000
	v_writelane_b32 v72, s7, 21
	s_and_b32 s7, vcc_lo, s6
	v_cmp_gt_u32_e32 vcc_lo, 25, v0
	v_mad_u32 v15, s73, v24, v15
	v_lshl_add_u32 v49, v20, 2, 0x4000
	v_writelane_b32 v72, s7, 22
	v_add_nc_u32_e32 v50, 0x4000, v29
	s_and_b32 s7, vcc_lo, s6
	v_cmp_eq_u32_e32 vcc_lo, 24, v0
	v_lshl_add_u32 v51, v26, 8, v29
	v_writelane_b32 v72, s7, 23
	v_lshl_add_u32 v53, v2, 8, v29
	v_lshl_add_u32 v54, v24, 8, v29
	s_and_b32 s7, vcc_lo, s6
	v_cmp_gt_u32_e32 vcc_lo, 24, v0
	v_writelane_b32 v72, s7, 24
	v_lshl_add_u32 v55, v23, 8, v29
	v_lshl_add_u32 v56, v22, 8, v29
	v_add_nc_u32_e32 v57, 0x3c00, v29
	s_and_b32 s7, vcc_lo, s6
	v_cmp_eq_u32_e32 vcc_lo, 23, v0
	v_writelane_b32 v72, s7, 25
	v_subrev_nc_u32_e32 v58, 63, v2
	v_cmp_gt_u32_e64 s18, 2, v20
	v_cmp_gt_u32_e64 s19, 12, v20
	s_and_b32 s7, vcc_lo, s6
	v_cmp_gt_u32_e32 vcc_lo, 23, v0
	v_writelane_b32 v72, s7, 26
	v_cmp_gt_u32_e64 s20, 8, v20
	v_cmp_gt_u32_e64 s21, 56, v20
	;; [unrolled: 1-line block ×3, first 2 shown]
	s_and_b32 s7, vcc_lo, s6
	v_cmp_eq_u32_e32 vcc_lo, 22, v0
	v_writelane_b32 v72, s7, 27
	v_cmp_gt_u32_e64 s23, 40, v20
	v_cmp_gt_u32_e64 s24, 32, v20
	;; [unrolled: 1-line block ×3, first 2 shown]
	s_and_b32 s7, vcc_lo, s6
	v_cmp_gt_u32_e32 vcc_lo, 22, v0
	v_writelane_b32 v72, s7, 28
	v_cmp_eq_u32_e64 s61, 0, v4
	v_cmp_gt_u32_e64 s62, 64, v4
	s_mul_u64 s[94:95], s[72:73], 0xc0
	s_and_b32 s7, vcc_lo, s6
	v_cmp_eq_u32_e32 vcc_lo, 21, v0
	v_writelane_b32 v72, s7, 29
                                        ; implicit-def: $vgpr59
                                        ; implicit-def: $vgpr60
                                        ; implicit-def: $vgpr61
                                        ; implicit-def: $vgpr62
	s_and_b32 s7, vcc_lo, s6
	v_cmp_gt_u32_e32 vcc_lo, 21, v0
	v_writelane_b32 v72, s7, 30
	s_and_b32 s7, vcc_lo, s6
	v_cmp_eq_u32_e32 vcc_lo, 20, v0
	v_writelane_b32 v72, s7, 31
	s_and_b32 s7, vcc_lo, s6
	v_cmp_gt_u32_e32 vcc_lo, 20, v0
	v_writelane_b32 v71, s7, 0
	s_and_b32 s7, vcc_lo, s6
	v_cmp_eq_u32_e32 vcc_lo, 19, v0
	v_writelane_b32 v71, s7, 1
	;; [unrolled: 6-line block ×20, first 2 shown]
	s_and_b32 s7, vcc_lo, s6
	v_cmp_eq_u32_e32 vcc_lo, 0, v0
	v_writelane_b32 v70, s7, 6
	v_cmp_eq_u32_e64 s7, 0, v26
	v_mul_u64_e32 v[0:1], s[82:83], v[6:7]
	s_and_b32 s13, vcc_lo, s6
	v_cmp_le_i32_e32 vcc_lo, s17, v2
	s_and_b32 s8, vcc_lo, s11
	v_cmp_le_i32_e64 s11, s17, v23
	v_writelane_b32 v70, s8, 7
	s_xor_b32 s8, s8, -1
	s_delay_alu instid0(SALU_CYCLE_1)
	s_and_b32 s59, s7, s8
	v_cmp_gt_i32_e64 s8, s17, v2
	s_cmp_gt_i32 s71, 0
	s_cselect_b32 s60, -1, 0
	s_add_co_i32 s67, s67, 1
	s_and_b32 s8, s7, s8
	s_wait_xcnt 0x0
	s_lshl_b64 s[0:1], s[72:73], 6
	v_writelane_b32 v70, s8, 8
	v_cmp_gt_i32_e64 s8, s90, v6
	s_lshl_b64 s[92:93], s[72:73], 7
	s_and_b32 s9, s8, s9
	s_delay_alu instid0(SALU_CYCLE_1) | instskip(SKIP_3) | instid1(SALU_CYCLE_1)
	v_writelane_b32 v70, s9, 9
	v_cmp_gt_i32_e64 s9, s90, v13
	v_mad_nc_u64_u32 v[12:13], s72, v26, v[18:19]
	s_and_b32 s9, s8, s9
	v_writelane_b32 v70, s9, 10
	v_cmp_gt_i32_e64 s9, s90, v16
	v_mad_nc_u64_u32 v[16:17], s72, v23, v[18:19]
	v_mad_nc_u64_u32 v[18:19], s72, v22, v[18:19]
	v_mad_u32 v13, s73, v26, v13
	s_and_b32 s9, s8, s9
	s_delay_alu instid0(SALU_CYCLE_1)
	v_writelane_b32 v70, s9, 11
	v_cmp_gt_i32_e64 s9, s90, v25
	v_or_b32_e32 v25, v24, v2
	v_mad_u32 v17, s73, v23, v17
	s_and_b32 s9, s8, s9
	v_mad_u32 v19, s73, v22, v19
	v_writelane_b32 v70, s9, 12
	v_cmp_le_i32_e64 s9, s17, v26
	v_writelane_b32 v70, s10, 13
	s_or_b32 s9, s9, vcc_lo
	s_delay_alu instid0(SALU_CYCLE_1)
	s_or_b32 s9, s9, s10
	v_cmp_le_i32_e64 s10, s17, v24
	v_writelane_b32 v70, s9, 14
	v_cmp_eq_u32_e64 s17, 0, v21
	s_or_b32 s9, s10, vcc_lo
	v_cmp_le_u32_e64 s10, v24, v2
	s_delay_alu instid0(VALU_DEP_1)
	v_writelane_b32 v70, s10, 15
	s_or_b32 s9, s9, s10
	v_cmp_le_u32_e64 s10, v23, v2
	v_writelane_b32 v70, s9, 16
	s_or_b32 s9, s11, vcc_lo
	v_cmp_ne_u32_e64 s11, v2, v23
	s_or_b32 s9, s9, s10
	v_writelane_b32 v70, s10, 17
	v_cmp_le_u32_e64 s10, v22, v2
	v_writelane_b32 v70, s9, 18
	s_or_b32 s9, s12, vcc_lo
	v_cmp_ne_u32_e64 s12, v2, v22
	s_or_b32 s9, s9, s10
	v_writelane_b32 v70, s10, 19
	v_cmp_ne_u32_e64 s10, v2, v24
	v_writelane_b32 v70, s9, 20
	v_cmp_ne_u32_e64 s9, v2, v26
	s_delay_alu instid0(VALU_DEP_1) | instskip(SKIP_1) | instid1(SALU_CYCLE_1)
	v_writelane_b32 v70, s9, 21
	s_or_b32 s9, vcc_lo, s9
	v_writelane_b32 v70, s9, 22
	s_or_b32 s9, vcc_lo, s10
	v_writelane_b32 v70, s10, 23
	v_writelane_b32 v70, s9, 24
	s_or_b32 s9, vcc_lo, s11
	v_writelane_b32 v70, s11, 25
	;; [unrolled: 3-line block ×3, first 2 shown]
	v_writelane_b32 v70, s9, 28
	v_cmp_gt_u32_e64 s9, 0xf0, v20
	s_delay_alu instid0(VALU_DEP_1) | instskip(SKIP_1) | instid1(VALU_DEP_1)
	v_writelane_b32 v70, s9, 29
	v_cmp_gt_u32_e64 s9, 0xe0, v20
	v_writelane_b32 v70, s9, 30
	v_cmp_gt_u32_e64 s9, 0xd0, v20
	s_delay_alu instid0(VALU_DEP_1) | instskip(SKIP_1) | instid1(VALU_DEP_1)
	v_writelane_b32 v70, s9, 31
	v_cmp_gt_u32_e64 s9, 0xc0, v20
	v_writelane_b32 v69, s9, 0
	v_cmp_gt_u32_e64 s9, 0xb0, v20
	s_delay_alu instid0(VALU_DEP_1) | instskip(SKIP_1) | instid1(VALU_DEP_1)
	v_writelane_b32 v69, s9, 1
	v_cmp_gt_u32_e64 s9, 0xa0, v20
	v_writelane_b32 v69, s9, 2
	v_cmp_gt_u32_e64 s9, 0x90, v20
	s_delay_alu instid0(VALU_DEP_1) | instskip(SKIP_1) | instid1(VALU_DEP_1)
	v_writelane_b32 v69, s9, 3
	v_cmp_gt_u32_e64 s9, 0x80, v20
	v_writelane_b32 v69, s9, 4
	v_cmp_gt_u32_e64 s9, 0x70, v20
	s_delay_alu instid0(VALU_DEP_1) | instskip(SKIP_1) | instid1(VALU_DEP_1)
	v_writelane_b32 v69, s9, 5
	v_cmp_gt_u32_e64 s9, 0x60, v20
	v_writelane_b32 v69, s9, 6
	v_cmp_gt_u32_e64 s9, 0x50, v20
	s_delay_alu instid0(VALU_DEP_1) | instskip(SKIP_1) | instid1(VALU_DEP_1)
	v_writelane_b32 v69, s9, 7
	v_cmp_gt_u32_e64 s9, 0x3e0, v20
	v_writelane_b32 v69, s9, 8
	v_cmp_gt_u32_e64 s9, 0x3c0, v20
	s_delay_alu instid0(VALU_DEP_1) | instskip(SKIP_1) | instid1(VALU_DEP_1)
	v_writelane_b32 v69, s9, 9
	v_cmp_gt_u32_e64 s9, 0x3a0, v20
	v_writelane_b32 v69, s9, 10
	v_cmp_gt_u32_e64 s9, 0x380, v20
	s_delay_alu instid0(VALU_DEP_1) | instskip(SKIP_1) | instid1(VALU_DEP_1)
	v_writelane_b32 v69, s9, 11
	v_cmp_gt_u32_e64 s9, 0x360, v20
	v_writelane_b32 v69, s9, 12
	v_cmp_gt_u32_e64 s9, 0x340, v20
	s_delay_alu instid0(VALU_DEP_1) | instskip(SKIP_1) | instid1(VALU_DEP_1)
	v_writelane_b32 v69, s9, 13
	v_cmp_gt_u32_e64 s9, 0x320, v20
	v_writelane_b32 v69, s9, 14
	v_cmp_gt_u32_e64 s9, 0x300, v20
	s_delay_alu instid0(VALU_DEP_1) | instskip(SKIP_1) | instid1(VALU_DEP_1)
	v_writelane_b32 v69, s9, 15
	v_cmp_gt_u32_e64 s9, 0x2e0, v20
	v_writelane_b32 v69, s9, 16
	v_cmp_gt_u32_e64 s9, 0x2c0, v20
	s_delay_alu instid0(VALU_DEP_1) | instskip(SKIP_1) | instid1(VALU_DEP_1)
	v_writelane_b32 v69, s9, 17
	v_cmp_gt_u32_e64 s9, 0x2a0, v20
	v_writelane_b32 v69, s9, 18
	v_cmp_gt_u32_e64 s9, 0x280, v20
	s_delay_alu instid0(VALU_DEP_1) | instskip(SKIP_1) | instid1(VALU_DEP_1)
	v_writelane_b32 v69, s9, 19
	v_cmp_gt_u32_e64 s9, 0x260, v20
	v_writelane_b32 v69, s9, 20
	v_cmp_gt_u32_e64 s9, 0x240, v20
	s_delay_alu instid0(VALU_DEP_1) | instskip(SKIP_1) | instid1(VALU_DEP_1)
	v_writelane_b32 v69, s9, 21
	v_cmp_gt_u32_e64 s9, 0x220, v20
	v_writelane_b32 v69, s9, 22
	v_cmp_gt_u32_e64 s9, 0x200, v20
	s_delay_alu instid0(VALU_DEP_1) | instskip(SKIP_1) | instid1(VALU_DEP_1)
	v_writelane_b32 v69, s9, 23
	v_cmp_gt_u32_e64 s9, 0x1e0, v20
	v_writelane_b32 v69, s9, 24
	v_cmp_gt_u32_e64 s9, 0x1c0, v20
	s_delay_alu instid0(VALU_DEP_1) | instskip(SKIP_1) | instid1(VALU_DEP_1)
	v_writelane_b32 v69, s9, 25
	v_cmp_gt_u32_e64 s9, 0x1a0, v20
	v_writelane_b32 v69, s9, 26
	v_cmp_gt_u32_e64 s9, 0x180, v20
	s_delay_alu instid0(VALU_DEP_1) | instskip(SKIP_1) | instid1(VALU_DEP_1)
	v_writelane_b32 v69, s9, 27
	v_cmp_gt_u32_e64 s9, 0x160, v20
	v_writelane_b32 v69, s9, 28
	v_cmp_gt_u32_e64 s9, 0x140, v20
	s_delay_alu instid0(VALU_DEP_1) | instskip(SKIP_1) | instid1(VALU_DEP_1)
	v_writelane_b32 v69, s9, 29
	v_cmp_gt_u32_e64 s9, 0x120, v20
	v_writelane_b32 v69, s9, 30
	v_cmp_le_u32_e64 s9, v2, v26
	s_delay_alu instid0(VALU_DEP_1) | instskip(SKIP_1) | instid1(VALU_DEP_1)
	v_writelane_b32 v69, s9, 31
	v_cmp_le_u32_e64 s9, v2, v24
	v_writelane_b32 v68, s9, 0
	v_cmp_le_u32_e64 s9, v2, v23
	s_delay_alu instid0(VALU_DEP_1) | instskip(SKIP_1) | instid1(VALU_DEP_1)
	v_writelane_b32 v68, s9, 1
	v_cmp_le_u32_e64 s9, v2, v22
	v_writelane_b32 v68, s9, 2
	v_cmp_gt_u32_e64 s9, 64, v21
	s_delay_alu instid0(VALU_DEP_1) | instskip(SKIP_1) | instid1(VALU_DEP_1)
	v_writelane_b32 v68, s9, 3
	v_cmp_gt_u32_e64 s9, 64, v25
	v_writelane_b32 v68, s9, 4
	v_cmp_gt_u32_e64 s9, 64, v63
	s_delay_alu instid0(VALU_DEP_1) | instskip(SKIP_1) | instid1(VALU_DEP_1)
	v_writelane_b32 v68, s9, 5
	v_cmp_gt_u32_e64 s9, 64, v64
	v_writelane_b32 v68, s9, 6
	s_branch .LBB4_3
.LBB4_2:                                ;   in Loop: Header=BB4_3 Depth=1
	s_wait_xcnt 0x0
	s_or_b32 exec_lo, exec_lo, s9
	v_readlane_b32 s9, v72, 0
	s_add_co_i32 s88, s88, 0x10000
	global_wb scope:SCOPE_DEV
	s_wait_storecnt 0x0
	global_inv scope:SCOPE_DEV
	s_cmp_lt_u32 s88, s9
	s_cbranch_scc0 .LBB4_1195
.LBB4_3:                                ; =>This Loop Header: Depth=1
                                        ;     Child Loop BB4_1067 Depth 2
                                        ;       Child Loop BB4_1069 Depth 3
                                        ;     Child Loop BB4_1107 Depth 2
	global_load_b32 v22, v5, s[76:77]
	v_readlane_b32 s96, v72, 1
	v_readlane_b32 s9, v72, 3
	;; [unrolled: 1-line block ×3, first 2 shown]
	s_mul_u64 s[10:11], s[74:75], s[88:89]
	s_delay_alu instid0(SALU_CYCLE_1)
	s_lshl_b64 s[10:11], s[10:11], 2
	s_and_not1_b32 vcc_lo, exec_lo, s9
	s_add_nc_u64 s[96:97], s[96:97], s[10:11]
	s_cbranch_vccnz .LBB4_13
; %bb.4:                                ;   in Loop: Header=BB4_3 Depth=1
	v_lshl_add_u64 v[20:21], v[8:9], 2, s[96:97]
	v_dual_mov_b32 v60, 0 :: v_dual_mov_b32 v59, 0
	s_wait_loadcnt 0x0
	s_barrier_signal -1
	s_delay_alu instid0(VALU_DEP_2)
	v_lshl_add_u64 v[20:21], v[6:7], 2, v[20:21]
	s_barrier_wait -1
	s_wait_xcnt 0x0
	s_mov_b32 s9, exec_lo
	v_readlane_b32 s10, v70, 9
	s_and_b32 s10, s9, s10
	s_delay_alu instid0(SALU_CYCLE_1)
	s_mov_b32 exec_lo, s10
	s_cbranch_execz .LBB4_6
; %bb.5:                                ;   in Loop: Header=BB4_3 Depth=1
	global_load_b32 v59, v[20:21], off
.LBB4_6:                                ;   in Loop: Header=BB4_3 Depth=1
	s_wait_xcnt 0x0
	s_or_b32 exec_lo, exec_lo, s9
	s_wait_loadcnt 0x0
	s_barrier_signal -1
	s_barrier_wait -1
	s_mov_b32 s9, exec_lo
	v_readlane_b32 s10, v70, 10
	s_and_b32 s10, s9, s10
	s_delay_alu instid0(SALU_CYCLE_1)
	s_mov_b32 exec_lo, s10
	s_cbranch_execz .LBB4_8
; %bb.7:                                ;   in Loop: Header=BB4_3 Depth=1
	v_add_nc_u64_e32 v[24:25], s[0:1], v[20:21]
	global_load_b32 v60, v[24:25], off
.LBB4_8:                                ;   in Loop: Header=BB4_3 Depth=1
	s_wait_xcnt 0x0
	s_or_b32 exec_lo, exec_lo, s9
	v_dual_mov_b32 v62, 0 :: v_dual_mov_b32 v61, 0
	s_wait_loadcnt 0x0
	s_barrier_signal -1
	s_barrier_wait -1
	s_mov_b32 s9, exec_lo
	v_readlane_b32 s10, v70, 11
	s_and_b32 s10, s9, s10
	s_delay_alu instid0(SALU_CYCLE_1)
	s_mov_b32 exec_lo, s10
	s_cbranch_execz .LBB4_10
; %bb.9:                                ;   in Loop: Header=BB4_3 Depth=1
	v_add_nc_u64_e32 v[24:25], s[92:93], v[20:21]
	global_load_b32 v61, v[24:25], off
.LBB4_10:                               ;   in Loop: Header=BB4_3 Depth=1
	s_wait_xcnt 0x0
	s_or_b32 exec_lo, exec_lo, s9
	s_wait_loadcnt 0x0
	s_barrier_signal -1
	s_barrier_wait -1
	s_mov_b32 s9, exec_lo
	v_readlane_b32 s10, v70, 12
	s_and_b32 s10, s9, s10
	s_delay_alu instid0(SALU_CYCLE_1)
	s_mov_b32 exec_lo, s10
	s_cbranch_execz .LBB4_12
; %bb.11:                               ;   in Loop: Header=BB4_3 Depth=1
	v_add_nc_u64_e32 v[20:21], s[94:95], v[20:21]
	global_load_b32 v62, v[20:21], off
.LBB4_12:                               ;   in Loop: Header=BB4_3 Depth=1
	s_wait_xcnt 0x0
	s_or_b32 exec_lo, exec_lo, s9
.LBB4_13:                               ;   in Loop: Header=BB4_3 Depth=1
	s_delay_alu instid0(SALU_CYCLE_1)
	s_and_not1_b32 vcc_lo, exec_lo, s102
	s_mov_b32 s9, -1
	s_cbranch_vccnz .LBB4_49
; %bb.14:                               ;   in Loop: Header=BB4_3 Depth=1
	s_mov_b32 s10, 0
                                        ; implicit-def: $vgpr20
	s_wait_xcnt 0x0
	s_mov_b32 s9, exec_lo
	v_readlane_b32 s11, v70, 13
	s_and_b32 s11, s9, s11
	s_delay_alu instid0(SALU_CYCLE_1)
	s_xor_b32 s9, s11, s9
	s_mov_b32 exec_lo, s11
	s_cbranch_execnz .LBB4_1129
; %bb.15:                               ;   in Loop: Header=BB4_3 Depth=1
	s_and_not1_saveexec_b32 s9, s9
	s_cbranch_execnz .LBB4_1134
.LBB4_16:                               ;   in Loop: Header=BB4_3 Depth=1
	s_or_b32 exec_lo, exec_lo, s9
	s_and_saveexec_b32 s9, s10
.LBB4_17:                               ;   in Loop: Header=BB4_3 Depth=1
	ds_store_b32 v51, v20
.LBB4_18:                               ;   in Loop: Header=BB4_3 Depth=1
	s_or_b32 exec_lo, exec_lo, s9
	s_delay_alu instid0(SALU_CYCLE_1) | instskip(SKIP_2) | instid1(SALU_CYCLE_1)
	s_mov_b32 s9, exec_lo
	v_readlane_b32 s10, v70, 15
	s_and_b32 s10, s9, s10
	s_xor_b32 s9, s10, s9
	s_mov_b32 exec_lo, s10
	s_cbranch_execz .LBB4_26
; %bb.19:                               ;   in Loop: Header=BB4_3 Depth=1
	s_mov_b32 s10, exec_lo
	v_readlane_b32 s11, v70, 23
	s_and_b32 s11, s10, s11
	s_delay_alu instid0(SALU_CYCLE_1)
	s_xor_b32 s10, s11, s10
	s_mov_b32 exec_lo, s11
	s_cbranch_execz .LBB4_23
; %bb.20:                               ;   in Loop: Header=BB4_3 Depth=1
	s_mov_b32 s11, exec_lo
	v_readlane_b32 s12, v68, 4
	s_and_b32 s12, s11, s12
	s_delay_alu instid0(SALU_CYCLE_1)
	s_mov_b32 exec_lo, s12
; %bb.21:                               ;   in Loop: Header=BB4_3 Depth=1
	ds_store_b32 v54, v5
; %bb.22:                               ;   in Loop: Header=BB4_3 Depth=1
	s_or_b32 exec_lo, exec_lo, s11
.LBB4_23:                               ;   in Loop: Header=BB4_3 Depth=1
	s_and_not1_saveexec_b32 s10, s10
	s_cbranch_execz .LBB4_25
; %bb.24:                               ;   in Loop: Header=BB4_3 Depth=1
	v_lshl_add_u64 v[20:21], v[14:15], 2, s[96:97]
	global_load_b32 v20, v[20:21], off
	s_wait_loadcnt 0x0
	v_div_scale_f32 v21, null, v20, v20, 1.0
	s_delay_alu instid0(VALU_DEP_1) | instskip(SKIP_1) | instid1(TRANS32_DEP_1)
	v_rcp_f32_e32 v23, v21
	v_nop
	v_fma_f32 v24, -v21, v23, 1.0
	s_delay_alu instid0(VALU_DEP_1) | instskip(SKIP_1) | instid1(VALU_DEP_1)
	v_fmac_f32_e32 v23, v24, v23
	v_div_scale_f32 v24, vcc_lo, 1.0, v20, 1.0
	v_mul_f32_e32 v25, v24, v23
	s_delay_alu instid0(VALU_DEP_1) | instskip(NEXT) | instid1(VALU_DEP_1)
	v_fma_f32 v63, -v21, v25, v24
	v_fmac_f32_e32 v25, v63, v23
	s_delay_alu instid0(VALU_DEP_1) | instskip(NEXT) | instid1(VALU_DEP_1)
	v_fma_f32 v21, -v21, v25, v24
	v_div_fmas_f32 v21, v21, v23, v25
	s_delay_alu instid0(VALU_DEP_1)
	v_div_fixup_f32 v20, v21, v20, 1.0
	ds_store_b32 v54, v20
.LBB4_25:                               ;   in Loop: Header=BB4_3 Depth=1
	s_or_b32 exec_lo, exec_lo, s10
.LBB4_26:                               ;   in Loop: Header=BB4_3 Depth=1
	s_and_not1_saveexec_b32 s9, s9
	s_cbranch_execz .LBB4_28
; %bb.27:                               ;   in Loop: Header=BB4_3 Depth=1
	v_lshl_add_u64 v[20:21], v[14:15], 2, s[96:97]
	global_load_b32 v20, v[20:21], off
	s_wait_loadcnt 0x0
	v_xor_b32_e32 v20, 0x80000000, v20
	ds_store_b32 v54, v20
.LBB4_28:                               ;   in Loop: Header=BB4_3 Depth=1
	s_or_b32 exec_lo, exec_lo, s9
	s_delay_alu instid0(SALU_CYCLE_1) | instskip(SKIP_2) | instid1(SALU_CYCLE_1)
	s_mov_b32 s9, exec_lo
	v_readlane_b32 s10, v70, 17
	s_and_b32 s10, s9, s10
	s_xor_b32 s9, s10, s9
	s_mov_b32 exec_lo, s10
	s_cbranch_execz .LBB4_36
; %bb.29:                               ;   in Loop: Header=BB4_3 Depth=1
	s_mov_b32 s10, exec_lo
	v_readlane_b32 s11, v70, 25
	s_and_b32 s11, s10, s11
	s_delay_alu instid0(SALU_CYCLE_1)
	s_xor_b32 s10, s11, s10
	s_mov_b32 exec_lo, s11
	s_cbranch_execz .LBB4_33
; %bb.30:                               ;   in Loop: Header=BB4_3 Depth=1
	s_mov_b32 s11, exec_lo
	v_readlane_b32 s12, v68, 5
	s_and_b32 s12, s11, s12
	s_delay_alu instid0(SALU_CYCLE_1)
	s_mov_b32 exec_lo, s12
; %bb.31:                               ;   in Loop: Header=BB4_3 Depth=1
	ds_store_b32 v55, v5
; %bb.32:                               ;   in Loop: Header=BB4_3 Depth=1
	s_or_b32 exec_lo, exec_lo, s11
.LBB4_33:                               ;   in Loop: Header=BB4_3 Depth=1
	s_and_not1_saveexec_b32 s10, s10
	s_cbranch_execz .LBB4_35
; %bb.34:                               ;   in Loop: Header=BB4_3 Depth=1
	v_lshl_add_u64 v[20:21], v[16:17], 2, s[96:97]
	global_load_b32 v20, v[20:21], off
	s_wait_loadcnt 0x0
	v_div_scale_f32 v21, null, v20, v20, 1.0
	s_delay_alu instid0(VALU_DEP_1) | instskip(SKIP_1) | instid1(TRANS32_DEP_1)
	v_rcp_f32_e32 v23, v21
	v_nop
	v_fma_f32 v24, -v21, v23, 1.0
	s_delay_alu instid0(VALU_DEP_1) | instskip(SKIP_1) | instid1(VALU_DEP_1)
	v_fmac_f32_e32 v23, v24, v23
	v_div_scale_f32 v24, vcc_lo, 1.0, v20, 1.0
	v_mul_f32_e32 v25, v24, v23
	s_delay_alu instid0(VALU_DEP_1) | instskip(NEXT) | instid1(VALU_DEP_1)
	v_fma_f32 v63, -v21, v25, v24
	v_fmac_f32_e32 v25, v63, v23
	s_delay_alu instid0(VALU_DEP_1) | instskip(NEXT) | instid1(VALU_DEP_1)
	v_fma_f32 v21, -v21, v25, v24
	v_div_fmas_f32 v21, v21, v23, v25
	s_delay_alu instid0(VALU_DEP_1)
	v_div_fixup_f32 v20, v21, v20, 1.0
	ds_store_b32 v55, v20
.LBB4_35:                               ;   in Loop: Header=BB4_3 Depth=1
	s_or_b32 exec_lo, exec_lo, s10
.LBB4_36:                               ;   in Loop: Header=BB4_3 Depth=1
	s_and_not1_saveexec_b32 s9, s9
	s_cbranch_execz .LBB4_38
; %bb.37:                               ;   in Loop: Header=BB4_3 Depth=1
	v_lshl_add_u64 v[20:21], v[16:17], 2, s[96:97]
	global_load_b32 v20, v[20:21], off
	s_wait_loadcnt 0x0
	v_xor_b32_e32 v20, 0x80000000, v20
	ds_store_b32 v55, v20
.LBB4_38:                               ;   in Loop: Header=BB4_3 Depth=1
	;; [unrolled: 63-line block ×3, first 2 shown]
	s_or_b32 exec_lo, exec_lo, s9
	s_mov_b32 s9, 0
.LBB4_49:                               ;   in Loop: Header=BB4_3 Depth=1
	s_delay_alu instid0(SALU_CYCLE_1)
	s_and_b32 vcc_lo, exec_lo, s9
	s_cbranch_vccz .LBB4_85
; %bb.50:                               ;   in Loop: Header=BB4_3 Depth=1
	s_mov_b32 s10, 0
                                        ; implicit-def: $vgpr20
	s_wait_xcnt 0x0
	s_mov_b32 s9, exec_lo
	v_readlane_b32 s11, v70, 14
	s_and_b32 s11, s9, s11
	s_delay_alu instid0(SALU_CYCLE_1)
	s_xor_b32 s9, s11, s9
	s_mov_b32 exec_lo, s11
	s_cbranch_execnz .LBB4_1135
; %bb.51:                               ;   in Loop: Header=BB4_3 Depth=1
	s_and_not1_saveexec_b32 s9, s9
	s_cbranch_execnz .LBB4_1140
.LBB4_52:                               ;   in Loop: Header=BB4_3 Depth=1
	s_or_b32 exec_lo, exec_lo, s9
	s_and_saveexec_b32 s9, s10
.LBB4_53:                               ;   in Loop: Header=BB4_3 Depth=1
	ds_store_b32 v51, v20
.LBB4_54:                               ;   in Loop: Header=BB4_3 Depth=1
	s_or_b32 exec_lo, exec_lo, s9
	s_delay_alu instid0(SALU_CYCLE_1) | instskip(SKIP_2) | instid1(SALU_CYCLE_1)
	s_mov_b32 s9, exec_lo
	v_readlane_b32 s10, v70, 16
	s_and_b32 s10, s9, s10
	s_xor_b32 s9, s10, s9
	s_mov_b32 exec_lo, s10
	s_cbranch_execz .LBB4_62
; %bb.55:                               ;   in Loop: Header=BB4_3 Depth=1
	s_mov_b32 s10, exec_lo
	v_readlane_b32 s11, v70, 24
	s_and_b32 s11, s10, s11
	s_delay_alu instid0(SALU_CYCLE_1)
	s_xor_b32 s10, s11, s10
	s_mov_b32 exec_lo, s11
	s_cbranch_execz .LBB4_59
; %bb.56:                               ;   in Loop: Header=BB4_3 Depth=1
	s_mov_b32 s11, exec_lo
	v_readlane_b32 s12, v68, 4
	s_and_b32 s12, s11, s12
	s_delay_alu instid0(SALU_CYCLE_1)
	s_mov_b32 exec_lo, s12
; %bb.57:                               ;   in Loop: Header=BB4_3 Depth=1
	ds_store_b32 v54, v5
; %bb.58:                               ;   in Loop: Header=BB4_3 Depth=1
	s_or_b32 exec_lo, exec_lo, s11
.LBB4_59:                               ;   in Loop: Header=BB4_3 Depth=1
	s_and_not1_saveexec_b32 s10, s10
	s_cbranch_execz .LBB4_61
; %bb.60:                               ;   in Loop: Header=BB4_3 Depth=1
	v_lshl_add_u64 v[20:21], v[14:15], 2, s[96:97]
	global_load_b32 v20, v[20:21], off
	s_wait_loadcnt 0x0
	v_div_scale_f32 v21, null, v20, v20, 1.0
	s_delay_alu instid0(VALU_DEP_1) | instskip(SKIP_1) | instid1(TRANS32_DEP_1)
	v_rcp_f32_e32 v23, v21
	v_nop
	v_fma_f32 v24, -v21, v23, 1.0
	s_delay_alu instid0(VALU_DEP_1) | instskip(SKIP_1) | instid1(VALU_DEP_1)
	v_fmac_f32_e32 v23, v24, v23
	v_div_scale_f32 v24, vcc_lo, 1.0, v20, 1.0
	v_mul_f32_e32 v25, v24, v23
	s_delay_alu instid0(VALU_DEP_1) | instskip(NEXT) | instid1(VALU_DEP_1)
	v_fma_f32 v63, -v21, v25, v24
	v_fmac_f32_e32 v25, v63, v23
	s_delay_alu instid0(VALU_DEP_1) | instskip(NEXT) | instid1(VALU_DEP_1)
	v_fma_f32 v21, -v21, v25, v24
	v_div_fmas_f32 v21, v21, v23, v25
	s_delay_alu instid0(VALU_DEP_1)
	v_div_fixup_f32 v20, v21, v20, 1.0
	ds_store_b32 v54, v20
.LBB4_61:                               ;   in Loop: Header=BB4_3 Depth=1
	s_or_b32 exec_lo, exec_lo, s10
.LBB4_62:                               ;   in Loop: Header=BB4_3 Depth=1
	s_and_not1_saveexec_b32 s9, s9
	s_cbranch_execz .LBB4_64
; %bb.63:                               ;   in Loop: Header=BB4_3 Depth=1
	v_lshl_add_u64 v[20:21], v[14:15], 2, s[96:97]
	global_load_b32 v20, v[20:21], off
	s_wait_loadcnt 0x0
	v_xor_b32_e32 v20, 0x80000000, v20
	ds_store_b32 v54, v20
.LBB4_64:                               ;   in Loop: Header=BB4_3 Depth=1
	s_or_b32 exec_lo, exec_lo, s9
	s_delay_alu instid0(SALU_CYCLE_1) | instskip(SKIP_2) | instid1(SALU_CYCLE_1)
	s_mov_b32 s9, exec_lo
	v_readlane_b32 s10, v70, 18
	s_and_b32 s10, s9, s10
	s_xor_b32 s9, s10, s9
	s_mov_b32 exec_lo, s10
	s_cbranch_execz .LBB4_72
; %bb.65:                               ;   in Loop: Header=BB4_3 Depth=1
	s_mov_b32 s10, exec_lo
	v_readlane_b32 s11, v70, 26
	s_and_b32 s11, s10, s11
	s_delay_alu instid0(SALU_CYCLE_1)
	s_xor_b32 s10, s11, s10
	s_mov_b32 exec_lo, s11
	s_cbranch_execz .LBB4_69
; %bb.66:                               ;   in Loop: Header=BB4_3 Depth=1
	s_mov_b32 s11, exec_lo
	v_readlane_b32 s12, v68, 5
	s_and_b32 s12, s11, s12
	s_delay_alu instid0(SALU_CYCLE_1)
	s_mov_b32 exec_lo, s12
; %bb.67:                               ;   in Loop: Header=BB4_3 Depth=1
	ds_store_b32 v55, v5
; %bb.68:                               ;   in Loop: Header=BB4_3 Depth=1
	s_or_b32 exec_lo, exec_lo, s11
.LBB4_69:                               ;   in Loop: Header=BB4_3 Depth=1
	s_and_not1_saveexec_b32 s10, s10
	s_cbranch_execz .LBB4_71
; %bb.70:                               ;   in Loop: Header=BB4_3 Depth=1
	v_lshl_add_u64 v[20:21], v[16:17], 2, s[96:97]
	global_load_b32 v20, v[20:21], off
	s_wait_loadcnt 0x0
	v_div_scale_f32 v21, null, v20, v20, 1.0
	s_delay_alu instid0(VALU_DEP_1) | instskip(SKIP_1) | instid1(TRANS32_DEP_1)
	v_rcp_f32_e32 v23, v21
	v_nop
	v_fma_f32 v24, -v21, v23, 1.0
	s_delay_alu instid0(VALU_DEP_1) | instskip(SKIP_1) | instid1(VALU_DEP_1)
	v_fmac_f32_e32 v23, v24, v23
	v_div_scale_f32 v24, vcc_lo, 1.0, v20, 1.0
	v_mul_f32_e32 v25, v24, v23
	s_delay_alu instid0(VALU_DEP_1) | instskip(NEXT) | instid1(VALU_DEP_1)
	v_fma_f32 v63, -v21, v25, v24
	v_fmac_f32_e32 v25, v63, v23
	s_delay_alu instid0(VALU_DEP_1) | instskip(NEXT) | instid1(VALU_DEP_1)
	v_fma_f32 v21, -v21, v25, v24
	v_div_fmas_f32 v21, v21, v23, v25
	s_delay_alu instid0(VALU_DEP_1)
	v_div_fixup_f32 v20, v21, v20, 1.0
	ds_store_b32 v55, v20
.LBB4_71:                               ;   in Loop: Header=BB4_3 Depth=1
	s_or_b32 exec_lo, exec_lo, s10
.LBB4_72:                               ;   in Loop: Header=BB4_3 Depth=1
	s_and_not1_saveexec_b32 s9, s9
	s_cbranch_execz .LBB4_74
; %bb.73:                               ;   in Loop: Header=BB4_3 Depth=1
	v_lshl_add_u64 v[20:21], v[16:17], 2, s[96:97]
	global_load_b32 v20, v[20:21], off
	s_wait_loadcnt 0x0
	v_xor_b32_e32 v20, 0x80000000, v20
	ds_store_b32 v55, v20
.LBB4_74:                               ;   in Loop: Header=BB4_3 Depth=1
	;; [unrolled: 63-line block ×3, first 2 shown]
	s_or_b32 exec_lo, exec_lo, s9
.LBB4_85:                               ;   in Loop: Header=BB4_3 Depth=1
	s_delay_alu instid0(SALU_CYCLE_1)
	s_and_not1_b32 vcc_lo, exec_lo, s104
	s_wait_loadcnt_dscnt 0x0
	s_barrier_signal -1
	s_barrier_wait -1
	s_cbranch_vccnz .LBB4_1061
; %bb.86:                               ;   in Loop: Header=BB4_3 Depth=1
	s_and_saveexec_b32 s9, s17
	s_cbranch_execz .LBB4_88
; %bb.87:                               ;   in Loop: Header=BB4_3 Depth=1
	ds_load_b64 v[20:21], v5 offset:16376
	ds_load_b32 v23, v5 offset:16120
	s_wait_dscnt 0x0
	v_mul_f32_e32 v21, v23, v21
	s_delay_alu instid0(VALU_DEP_1)
	v_mul_f32_e32 v20, v20, v21
	ds_store_b32 v5, v20 offset:16376
.LBB4_88:                               ;   in Loop: Header=BB4_3 Depth=1
	s_or_b32 exec_lo, exec_lo, s9
	v_mov_b32_e32 v20, 0
	s_wait_dscnt 0x0
	s_barrier_signal -1
	s_barrier_wait -1
	global_wb scope:SCOPE_DEV
	s_wait_storecnt 0x0
	global_inv scope:SCOPE_DEV
	s_and_saveexec_b32 s9, s2
	s_cbranch_execz .LBB4_92
; %bb.89:                               ;   in Loop: Header=BB4_3 Depth=1
	ds_load_b32 v20, v28 offset:16112
	ds_load_b32 v21, v27 offset:16376
	s_wait_dscnt 0x0
	v_fma_f32 v20, v20, v21, 0
	s_and_saveexec_b32 s10, s18
	s_cbranch_execz .LBB4_91
; %bb.90:                               ;   in Loop: Header=BB4_3 Depth=1
	ds_load_b32 v21, v29 offset:16368
	ds_load_b32 v23, v5 offset:16380
	s_wait_dscnt 0x0
	v_fmac_f32_e32 v20, v21, v23
.LBB4_91:                               ;   in Loop: Header=BB4_3 Depth=1
	s_or_b32 exec_lo, exec_lo, s10
.LBB4_92:                               ;   in Loop: Header=BB4_3 Depth=1
	s_delay_alu instid0(SALU_CYCLE_1)
	s_or_b32 exec_lo, exec_lo, s9
	s_and_saveexec_b32 s9, vcc_hi
	s_cbranch_execz .LBB4_94
; %bb.93:                               ;   in Loop: Header=BB4_3 Depth=1
	ds_load_b32 v21, v5 offset:15860
	s_wait_dscnt 0x0
	v_mul_f32_e32 v20, v20, v21
	s_delay_alu instid0(VALU_DEP_1)
	v_xor_b32_e32 v21, 0x80000000, v20
	ds_store_b32 v3, v21
.LBB4_94:                               ;   in Loop: Header=BB4_3 Depth=1
	s_or_b32 exec_lo, exec_lo, s9
	s_wait_loadcnt_dscnt 0x0
	s_barrier_signal -1
	s_barrier_wait -1
	s_and_saveexec_b32 s9, s38
	s_cbranch_execz .LBB4_96
; %bb.95:                               ;   in Loop: Header=BB4_3 Depth=1
	ds_load_b32 v21, v5 offset:15856
	ds_load_b32 v23, v3
	s_wait_dscnt 0x0
	v_fma_f32 v20, -v21, v23, v20
.LBB4_96:                               ;   in Loop: Header=BB4_3 Depth=1
	s_or_b32 exec_lo, exec_lo, s9
	s_barrier_signal -1
	s_barrier_wait -1
	s_and_saveexec_b32 s9, s38
	s_cbranch_execz .LBB4_98
; %bb.97:                               ;   in Loop: Header=BB4_3 Depth=1
	ds_load_b32 v21, v5 offset:15600
	s_wait_dscnt 0x0
	v_mul_f32_e32 v20, v20, v21
	s_delay_alu instid0(VALU_DEP_1)
	v_xor_b32_e32 v21, 0x80000000, v20
	ds_store_b32 v3, v21
.LBB4_98:                               ;   in Loop: Header=BB4_3 Depth=1
	s_or_b32 exec_lo, exec_lo, s9
	s_wait_dscnt 0x0
	s_barrier_signal -1
	s_barrier_wait -1
	s_barrier_signal -1
	s_barrier_wait -1
	s_and_saveexec_b32 s9, s2
; %bb.99:                               ;   in Loop: Header=BB4_3 Depth=1
	ds_store_b32 v30, v20 offset:16368
; %bb.100:                              ;   in Loop: Header=BB4_3 Depth=1
	s_or_b32 exec_lo, exec_lo, s9
	s_wait_dscnt 0x0
	s_barrier_signal -1
	s_barrier_wait -1
	s_barrier_signal -1
	s_barrier_wait -1
	s_and_saveexec_b32 s9, s17
	s_cbranch_execz .LBB4_102
; %bb.101:                              ;   in Loop: Header=BB4_3 Depth=1
	ds_load_b64 v[20:21], v5 offset:15856
	ds_load_b32 v23, v5 offset:15600
	s_wait_dscnt 0x0
	v_mul_f32_e32 v21, v23, v21
	s_delay_alu instid0(VALU_DEP_1)
	v_mul_f32_e32 v20, v20, v21
	ds_store_b32 v5, v20 offset:15856
.LBB4_102:                              ;   in Loop: Header=BB4_3 Depth=1
	s_or_b32 exec_lo, exec_lo, s9
	v_mov_b32_e32 v20, 0
	s_wait_dscnt 0x0
	s_barrier_signal -1
	s_barrier_wait -1
	global_wb scope:SCOPE_DEV
	s_wait_storecnt 0x0
	global_inv scope:SCOPE_DEV
	s_and_saveexec_b32 s9, s3
	s_cbranch_execz .LBB4_108
; %bb.103:                              ;   in Loop: Header=BB4_3 Depth=1
	ds_load_b32 v20, v33 offset:15584
	ds_load_b32 v21, v32 offset:16368
	s_wait_dscnt 0x0
	v_fma_f32 v20, v20, v21, 0
	s_and_saveexec_b32 s10, s19
	s_cbranch_execnz .LBB4_1145
; %bb.104:                              ;   in Loop: Header=BB4_3 Depth=1
	s_or_b32 exec_lo, exec_lo, s10
	s_and_saveexec_b32 s10, s20
	s_cbranch_execnz .LBB4_1146
.LBB4_105:                              ;   in Loop: Header=BB4_3 Depth=1
	s_or_b32 exec_lo, exec_lo, s10
	s_and_saveexec_b32 s10, s2
	s_cbranch_execz .LBB4_107
.LBB4_106:                              ;   in Loop: Header=BB4_3 Depth=1
	ds_load_b32 v21, v29 offset:16352
	ds_load_b32 v23, v5 offset:16380
	s_wait_dscnt 0x0
	v_fmac_f32_e32 v20, v21, v23
.LBB4_107:                              ;   in Loop: Header=BB4_3 Depth=1
	s_or_b32 exec_lo, exec_lo, s10
.LBB4_108:                              ;   in Loop: Header=BB4_3 Depth=1
	s_delay_alu instid0(SALU_CYCLE_1)
	s_or_b32 exec_lo, exec_lo, s9
	s_and_saveexec_b32 s9, s39
	s_cbranch_execz .LBB4_110
; %bb.109:                              ;   in Loop: Header=BB4_3 Depth=1
	ds_load_b32 v21, v5 offset:15340
	s_wait_dscnt 0x0
	v_mul_f32_e32 v20, v20, v21
	s_delay_alu instid0(VALU_DEP_1)
	v_xor_b32_e32 v21, 0x80000000, v20
	ds_store_b32 v31, v21
.LBB4_110:                              ;   in Loop: Header=BB4_3 Depth=1
	s_or_b32 exec_lo, exec_lo, s9
	s_wait_loadcnt_dscnt 0x0
	s_barrier_signal -1
	s_barrier_wait -1
	s_and_saveexec_b32 s9, s40
	s_cbranch_execz .LBB4_112
; %bb.111:                              ;   in Loop: Header=BB4_3 Depth=1
	ds_load_b32 v21, v33 offset:15328
	ds_load_b32 v23, v31
	s_wait_dscnt 0x0
	v_fma_f32 v20, -v21, v23, v20
.LBB4_112:                              ;   in Loop: Header=BB4_3 Depth=1
	s_or_b32 exec_lo, exec_lo, s9
	s_barrier_signal -1
	s_barrier_wait -1
	s_and_saveexec_b32 s9, s41
	s_cbranch_execz .LBB4_114
; %bb.113:                              ;   in Loop: Header=BB4_3 Depth=1
	ds_load_b32 v21, v5 offset:15080
	s_wait_dscnt 0x0
	v_mul_f32_e32 v20, v20, v21
	s_delay_alu instid0(VALU_DEP_1)
	v_xor_b32_e32 v21, 0x80000000, v20
	ds_store_b32 v31, v21
.LBB4_114:                              ;   in Loop: Header=BB4_3 Depth=1
	s_or_b32 exec_lo, exec_lo, s9
	s_wait_dscnt 0x0
	s_barrier_signal -1
	s_barrier_wait -1
	s_and_saveexec_b32 s9, s42
	s_cbranch_execz .LBB4_116
; %bb.115:                              ;   in Loop: Header=BB4_3 Depth=1
	ds_load_b32 v21, v33 offset:15072
	ds_load_b32 v23, v31
	s_wait_dscnt 0x0
	v_fma_f32 v20, -v21, v23, v20
.LBB4_116:                              ;   in Loop: Header=BB4_3 Depth=1
	s_or_b32 exec_lo, exec_lo, s9
	s_barrier_signal -1
	s_barrier_wait -1
	s_and_saveexec_b32 s9, s43
	s_cbranch_execz .LBB4_118
; %bb.117:                              ;   in Loop: Header=BB4_3 Depth=1
	ds_load_b32 v21, v5 offset:14820
	s_wait_dscnt 0x0
	v_mul_f32_e32 v20, v20, v21
	s_delay_alu instid0(VALU_DEP_1)
	v_xor_b32_e32 v21, 0x80000000, v20
	ds_store_b32 v31, v21
.LBB4_118:                              ;   in Loop: Header=BB4_3 Depth=1
	s_or_b32 exec_lo, exec_lo, s9
	s_wait_dscnt 0x0
	;; [unrolled: 25-line block ×3, first 2 shown]
	s_barrier_signal -1
	s_barrier_wait -1
	s_barrier_signal -1
	s_barrier_wait -1
	s_and_saveexec_b32 s9, s3
; %bb.123:                              ;   in Loop: Header=BB4_3 Depth=1
	ds_store_b32 v34, v20 offset:16352
; %bb.124:                              ;   in Loop: Header=BB4_3 Depth=1
	s_or_b32 exec_lo, exec_lo, s9
	s_wait_dscnt 0x0
	s_barrier_signal -1
	s_barrier_wait -1
	s_barrier_signal -1
	s_barrier_wait -1
	s_and_saveexec_b32 s9, s17
	s_cbranch_execz .LBB4_126
; %bb.125:                              ;   in Loop: Header=BB4_3 Depth=1
	ds_load_b64 v[20:21], v5 offset:15336
	ds_load_b32 v23, v5 offset:15080
	s_wait_dscnt 0x0
	v_mul_f32_e32 v21, v23, v21
	s_delay_alu instid0(VALU_DEP_1)
	v_mul_f32_e32 v20, v20, v21
	ds_store_b32 v5, v20 offset:15336
.LBB4_126:                              ;   in Loop: Header=BB4_3 Depth=1
	s_or_b32 exec_lo, exec_lo, s9
	v_mov_b32_e32 v20, 0
	s_wait_dscnt 0x0
	s_barrier_signal -1
	s_barrier_wait -1
	global_wb scope:SCOPE_DEV
	s_wait_storecnt 0x0
	global_inv scope:SCOPE_DEV
	s_and_saveexec_b32 s9, s2
	s_cbranch_execz .LBB4_130
; %bb.127:                              ;   in Loop: Header=BB4_3 Depth=1
	ds_load_b32 v20, v28 offset:15072
	ds_load_b32 v21, v27 offset:15336
	s_wait_dscnt 0x0
	v_fma_f32 v20, v20, v21, 0
	s_and_saveexec_b32 s10, s18
	s_cbranch_execz .LBB4_129
; %bb.128:                              ;   in Loop: Header=BB4_3 Depth=1
	ds_load_b32 v21, v29 offset:15328
	ds_load_b32 v23, v5 offset:15340
	s_wait_dscnt 0x0
	v_fmac_f32_e32 v20, v21, v23
.LBB4_129:                              ;   in Loop: Header=BB4_3 Depth=1
	s_or_b32 exec_lo, exec_lo, s10
.LBB4_130:                              ;   in Loop: Header=BB4_3 Depth=1
	s_delay_alu instid0(SALU_CYCLE_1)
	s_or_b32 exec_lo, exec_lo, s9
	s_and_saveexec_b32 s9, vcc_hi
	s_cbranch_execz .LBB4_132
; %bb.131:                              ;   in Loop: Header=BB4_3 Depth=1
	ds_load_b32 v21, v5 offset:14820
	s_wait_dscnt 0x0
	v_mul_f32_e32 v20, v20, v21
	s_delay_alu instid0(VALU_DEP_1)
	v_xor_b32_e32 v21, 0x80000000, v20
	ds_store_b32 v3, v21
.LBB4_132:                              ;   in Loop: Header=BB4_3 Depth=1
	s_or_b32 exec_lo, exec_lo, s9
	s_wait_loadcnt_dscnt 0x0
	s_barrier_signal -1
	s_barrier_wait -1
	s_and_saveexec_b32 s9, s38
	s_cbranch_execz .LBB4_134
; %bb.133:                              ;   in Loop: Header=BB4_3 Depth=1
	ds_load_b32 v21, v5 offset:14816
	ds_load_b32 v23, v3
	s_wait_dscnt 0x0
	v_fma_f32 v20, -v21, v23, v20
.LBB4_134:                              ;   in Loop: Header=BB4_3 Depth=1
	s_or_b32 exec_lo, exec_lo, s9
	s_barrier_signal -1
	s_barrier_wait -1
	s_and_saveexec_b32 s9, s38
	s_cbranch_execz .LBB4_136
; %bb.135:                              ;   in Loop: Header=BB4_3 Depth=1
	ds_load_b32 v21, v5 offset:14560
	s_wait_dscnt 0x0
	v_mul_f32_e32 v20, v20, v21
	s_delay_alu instid0(VALU_DEP_1)
	v_xor_b32_e32 v21, 0x80000000, v20
	ds_store_b32 v3, v21
.LBB4_136:                              ;   in Loop: Header=BB4_3 Depth=1
	s_or_b32 exec_lo, exec_lo, s9
	s_wait_dscnt 0x0
	s_barrier_signal -1
	s_barrier_wait -1
	s_barrier_signal -1
	s_barrier_wait -1
	s_and_saveexec_b32 s9, s2
; %bb.137:                              ;   in Loop: Header=BB4_3 Depth=1
	ds_store_b32 v30, v20 offset:15328
; %bb.138:                              ;   in Loop: Header=BB4_3 Depth=1
	s_or_b32 exec_lo, exec_lo, s9
	s_wait_dscnt 0x0
	s_barrier_signal -1
	s_barrier_wait -1
	s_barrier_signal -1
	s_barrier_wait -1
	s_and_saveexec_b32 s9, s17
	s_cbranch_execz .LBB4_140
; %bb.139:                              ;   in Loop: Header=BB4_3 Depth=1
	ds_load_b64 v[20:21], v5 offset:14816
	ds_load_b32 v23, v5 offset:14560
	s_wait_dscnt 0x0
	v_mul_f32_e32 v21, v23, v21
	s_delay_alu instid0(VALU_DEP_1)
	v_mul_f32_e32 v20, v20, v21
	ds_store_b32 v5, v20 offset:14816
.LBB4_140:                              ;   in Loop: Header=BB4_3 Depth=1
	s_or_b32 exec_lo, exec_lo, s9
	v_mov_b32_e32 v20, 0
	s_wait_dscnt 0x0
	s_barrier_signal -1
	s_barrier_wait -1
	global_wb scope:SCOPE_DEV
	s_wait_storecnt 0x0
	global_inv scope:SCOPE_DEV
	s_and_saveexec_b32 s9, s4
	s_cbranch_execz .LBB4_150
; %bb.141:                              ;   in Loop: Header=BB4_3 Depth=1
	ds_load_b32 v20, v37 offset:14528
	ds_load_b32 v21, v36 offset:16352
	s_wait_dscnt 0x0
	v_fma_f32 v20, v20, v21, 0
	s_and_saveexec_b32 s10, s21
	s_cbranch_execnz .LBB4_1147
; %bb.142:                              ;   in Loop: Header=BB4_3 Depth=1
	s_or_b32 exec_lo, exec_lo, s10
	s_and_saveexec_b32 s10, s22
	s_cbranch_execnz .LBB4_1148
.LBB4_143:                              ;   in Loop: Header=BB4_3 Depth=1
	s_or_b32 exec_lo, exec_lo, s10
	s_and_saveexec_b32 s10, s23
	s_cbranch_execnz .LBB4_1149
.LBB4_144:                              ;   in Loop: Header=BB4_3 Depth=1
	s_or_b32 exec_lo, exec_lo, s10
	s_and_saveexec_b32 s10, s24
	s_cbranch_execnz .LBB4_1150
.LBB4_145:                              ;   in Loop: Header=BB4_3 Depth=1
	s_or_b32 exec_lo, exec_lo, s10
	s_and_saveexec_b32 s10, s25
	s_cbranch_execnz .LBB4_1151
.LBB4_146:                              ;   in Loop: Header=BB4_3 Depth=1
	s_or_b32 exec_lo, exec_lo, s10
	s_and_saveexec_b32 s10, s3
	s_cbranch_execnz .LBB4_1152
.LBB4_147:                              ;   in Loop: Header=BB4_3 Depth=1
	s_or_b32 exec_lo, exec_lo, s10
	s_and_saveexec_b32 s10, s20
	s_cbranch_execz .LBB4_149
.LBB4_148:                              ;   in Loop: Header=BB4_3 Depth=1
	ds_load_b32 v21, v29 offset:16320
	ds_load_b32 v23, v5 offset:16380
	s_wait_dscnt 0x0
	v_fmac_f32_e32 v20, v21, v23
.LBB4_149:                              ;   in Loop: Header=BB4_3 Depth=1
	s_or_b32 exec_lo, exec_lo, s10
.LBB4_150:                              ;   in Loop: Header=BB4_3 Depth=1
	s_delay_alu instid0(SALU_CYCLE_1)
	s_or_b32 exec_lo, exec_lo, s9
	s_and_saveexec_b32 s9, s45
	s_cbranch_execz .LBB4_152
; %bb.151:                              ;   in Loop: Header=BB4_3 Depth=1
	ds_load_b32 v21, v5 offset:14300
	s_wait_dscnt 0x0
	v_mul_f32_e32 v20, v20, v21
	s_delay_alu instid0(VALU_DEP_1)
	v_xor_b32_e32 v21, 0x80000000, v20
	ds_store_b32 v35, v21
.LBB4_152:                              ;   in Loop: Header=BB4_3 Depth=1
	s_or_b32 exec_lo, exec_lo, s9
	s_wait_loadcnt_dscnt 0x0
	s_barrier_signal -1
	s_barrier_wait -1
	s_and_saveexec_b32 s9, s46
	s_cbranch_execz .LBB4_154
; %bb.153:                              ;   in Loop: Header=BB4_3 Depth=1
	ds_load_b32 v21, v37 offset:14272
	ds_load_b32 v23, v35
	s_wait_dscnt 0x0
	v_fma_f32 v20, -v21, v23, v20
.LBB4_154:                              ;   in Loop: Header=BB4_3 Depth=1
	s_or_b32 exec_lo, exec_lo, s9
	s_barrier_signal -1
	s_barrier_wait -1
	s_and_saveexec_b32 s9, s47
	s_cbranch_execz .LBB4_156
; %bb.155:                              ;   in Loop: Header=BB4_3 Depth=1
	ds_load_b32 v21, v5 offset:14040
	s_wait_dscnt 0x0
	v_mul_f32_e32 v20, v20, v21
	s_delay_alu instid0(VALU_DEP_1)
	v_xor_b32_e32 v21, 0x80000000, v20
	ds_store_b32 v35, v21
.LBB4_156:                              ;   in Loop: Header=BB4_3 Depth=1
	s_or_b32 exec_lo, exec_lo, s9
	s_wait_dscnt 0x0
	s_barrier_signal -1
	s_barrier_wait -1
	s_and_saveexec_b32 s9, s48
	s_cbranch_execz .LBB4_158
; %bb.157:                              ;   in Loop: Header=BB4_3 Depth=1
	ds_load_b32 v21, v37 offset:14016
	ds_load_b32 v23, v35
	s_wait_dscnt 0x0
	v_fma_f32 v20, -v21, v23, v20
.LBB4_158:                              ;   in Loop: Header=BB4_3 Depth=1
	s_or_b32 exec_lo, exec_lo, s9
	s_barrier_signal -1
	s_barrier_wait -1
	s_and_saveexec_b32 s9, s49
	s_cbranch_execz .LBB4_160
; %bb.159:                              ;   in Loop: Header=BB4_3 Depth=1
	ds_load_b32 v21, v5 offset:13780
	s_wait_dscnt 0x0
	v_mul_f32_e32 v20, v20, v21
	s_delay_alu instid0(VALU_DEP_1)
	v_xor_b32_e32 v21, 0x80000000, v20
	ds_store_b32 v35, v21
.LBB4_160:                              ;   in Loop: Header=BB4_3 Depth=1
	s_or_b32 exec_lo, exec_lo, s9
	s_wait_dscnt 0x0
	;; [unrolled: 25-line block ×7, first 2 shown]
	s_barrier_signal -1
	s_barrier_wait -1
	s_barrier_signal -1
	s_barrier_wait -1
	s_and_saveexec_b32 s9, s4
; %bb.181:                              ;   in Loop: Header=BB4_3 Depth=1
	ds_store_b32 v38, v20 offset:16320
; %bb.182:                              ;   in Loop: Header=BB4_3 Depth=1
	s_or_b32 exec_lo, exec_lo, s9
	s_wait_dscnt 0x0
	s_barrier_signal -1
	s_barrier_wait -1
	s_barrier_signal -1
	s_barrier_wait -1
	s_and_saveexec_b32 s9, s17
	s_cbranch_execz .LBB4_184
; %bb.183:                              ;   in Loop: Header=BB4_3 Depth=1
	ds_load_b64 v[20:21], v5 offset:14296
	ds_load_b32 v23, v5 offset:14040
	s_wait_dscnt 0x0
	v_mul_f32_e32 v21, v23, v21
	s_delay_alu instid0(VALU_DEP_1)
	v_mul_f32_e32 v20, v20, v21
	ds_store_b32 v5, v20 offset:14296
.LBB4_184:                              ;   in Loop: Header=BB4_3 Depth=1
	s_or_b32 exec_lo, exec_lo, s9
	v_mov_b32_e32 v20, 0
	s_wait_dscnt 0x0
	s_barrier_signal -1
	s_barrier_wait -1
	global_wb scope:SCOPE_DEV
	s_wait_storecnt 0x0
	global_inv scope:SCOPE_DEV
	s_and_saveexec_b32 s9, s2
	s_cbranch_execz .LBB4_188
; %bb.185:                              ;   in Loop: Header=BB4_3 Depth=1
	ds_load_b32 v20, v28 offset:14032
	ds_load_b32 v21, v27 offset:14296
	s_wait_dscnt 0x0
	v_fma_f32 v20, v20, v21, 0
	s_and_saveexec_b32 s10, s18
	s_cbranch_execz .LBB4_187
; %bb.186:                              ;   in Loop: Header=BB4_3 Depth=1
	ds_load_b32 v21, v29 offset:14288
	ds_load_b32 v23, v5 offset:14300
	s_wait_dscnt 0x0
	v_fmac_f32_e32 v20, v21, v23
.LBB4_187:                              ;   in Loop: Header=BB4_3 Depth=1
	s_or_b32 exec_lo, exec_lo, s10
.LBB4_188:                              ;   in Loop: Header=BB4_3 Depth=1
	s_delay_alu instid0(SALU_CYCLE_1)
	s_or_b32 exec_lo, exec_lo, s9
	s_and_saveexec_b32 s9, vcc_hi
	s_cbranch_execz .LBB4_190
; %bb.189:                              ;   in Loop: Header=BB4_3 Depth=1
	ds_load_b32 v21, v5 offset:13780
	s_wait_dscnt 0x0
	v_mul_f32_e32 v20, v20, v21
	s_delay_alu instid0(VALU_DEP_1)
	v_xor_b32_e32 v21, 0x80000000, v20
	ds_store_b32 v3, v21
.LBB4_190:                              ;   in Loop: Header=BB4_3 Depth=1
	s_or_b32 exec_lo, exec_lo, s9
	s_wait_loadcnt_dscnt 0x0
	s_barrier_signal -1
	s_barrier_wait -1
	s_and_saveexec_b32 s9, s38
	s_cbranch_execz .LBB4_192
; %bb.191:                              ;   in Loop: Header=BB4_3 Depth=1
	ds_load_b32 v21, v5 offset:13776
	ds_load_b32 v23, v3
	s_wait_dscnt 0x0
	v_fma_f32 v20, -v21, v23, v20
.LBB4_192:                              ;   in Loop: Header=BB4_3 Depth=1
	s_or_b32 exec_lo, exec_lo, s9
	s_barrier_signal -1
	s_barrier_wait -1
	s_and_saveexec_b32 s9, s38
	s_cbranch_execz .LBB4_194
; %bb.193:                              ;   in Loop: Header=BB4_3 Depth=1
	ds_load_b32 v21, v5 offset:13520
	s_wait_dscnt 0x0
	v_mul_f32_e32 v20, v20, v21
	s_delay_alu instid0(VALU_DEP_1)
	v_xor_b32_e32 v21, 0x80000000, v20
	ds_store_b32 v3, v21
.LBB4_194:                              ;   in Loop: Header=BB4_3 Depth=1
	s_or_b32 exec_lo, exec_lo, s9
	s_wait_dscnt 0x0
	s_barrier_signal -1
	s_barrier_wait -1
	s_barrier_signal -1
	s_barrier_wait -1
	s_and_saveexec_b32 s9, s2
; %bb.195:                              ;   in Loop: Header=BB4_3 Depth=1
	ds_store_b32 v30, v20 offset:14288
; %bb.196:                              ;   in Loop: Header=BB4_3 Depth=1
	s_or_b32 exec_lo, exec_lo, s9
	s_wait_dscnt 0x0
	s_barrier_signal -1
	s_barrier_wait -1
	s_barrier_signal -1
	s_barrier_wait -1
	s_and_saveexec_b32 s9, s17
	s_cbranch_execz .LBB4_198
; %bb.197:                              ;   in Loop: Header=BB4_3 Depth=1
	ds_load_b64 v[20:21], v5 offset:13776
	ds_load_b32 v23, v5 offset:13520
	s_wait_dscnt 0x0
	v_mul_f32_e32 v21, v23, v21
	s_delay_alu instid0(VALU_DEP_1)
	v_mul_f32_e32 v20, v20, v21
	ds_store_b32 v5, v20 offset:13776
.LBB4_198:                              ;   in Loop: Header=BB4_3 Depth=1
	s_or_b32 exec_lo, exec_lo, s9
	v_mov_b32_e32 v20, 0
	s_wait_dscnt 0x0
	s_barrier_signal -1
	s_barrier_wait -1
	global_wb scope:SCOPE_DEV
	s_wait_storecnt 0x0
	global_inv scope:SCOPE_DEV
	s_and_saveexec_b32 s9, s3
	s_cbranch_execz .LBB4_204
; %bb.199:                              ;   in Loop: Header=BB4_3 Depth=1
	ds_load_b32 v20, v33 offset:13504
	ds_load_b32 v21, v32 offset:14288
	s_wait_dscnt 0x0
	v_fma_f32 v20, v20, v21, 0
	s_and_saveexec_b32 s10, s19
	s_cbranch_execnz .LBB4_1153
; %bb.200:                              ;   in Loop: Header=BB4_3 Depth=1
	s_or_b32 exec_lo, exec_lo, s10
	s_and_saveexec_b32 s10, s20
	s_cbranch_execnz .LBB4_1154
.LBB4_201:                              ;   in Loop: Header=BB4_3 Depth=1
	s_or_b32 exec_lo, exec_lo, s10
	s_and_saveexec_b32 s10, s2
	s_cbranch_execz .LBB4_203
.LBB4_202:                              ;   in Loop: Header=BB4_3 Depth=1
	ds_load_b32 v21, v29 offset:14272
	ds_load_b32 v23, v5 offset:14300
	s_wait_dscnt 0x0
	v_fmac_f32_e32 v20, v21, v23
.LBB4_203:                              ;   in Loop: Header=BB4_3 Depth=1
	s_or_b32 exec_lo, exec_lo, s10
.LBB4_204:                              ;   in Loop: Header=BB4_3 Depth=1
	s_delay_alu instid0(SALU_CYCLE_1)
	s_or_b32 exec_lo, exec_lo, s9
	s_and_saveexec_b32 s9, s39
	s_cbranch_execz .LBB4_206
; %bb.205:                              ;   in Loop: Header=BB4_3 Depth=1
	ds_load_b32 v21, v5 offset:13260
	s_wait_dscnt 0x0
	v_mul_f32_e32 v20, v20, v21
	s_delay_alu instid0(VALU_DEP_1)
	v_xor_b32_e32 v21, 0x80000000, v20
	ds_store_b32 v31, v21
.LBB4_206:                              ;   in Loop: Header=BB4_3 Depth=1
	s_or_b32 exec_lo, exec_lo, s9
	s_wait_loadcnt_dscnt 0x0
	s_barrier_signal -1
	s_barrier_wait -1
	s_and_saveexec_b32 s9, s40
	s_cbranch_execz .LBB4_208
; %bb.207:                              ;   in Loop: Header=BB4_3 Depth=1
	ds_load_b32 v21, v33 offset:13248
	ds_load_b32 v23, v31
	s_wait_dscnt 0x0
	v_fma_f32 v20, -v21, v23, v20
.LBB4_208:                              ;   in Loop: Header=BB4_3 Depth=1
	s_or_b32 exec_lo, exec_lo, s9
	s_barrier_signal -1
	s_barrier_wait -1
	s_and_saveexec_b32 s9, s41
	s_cbranch_execz .LBB4_210
; %bb.209:                              ;   in Loop: Header=BB4_3 Depth=1
	ds_load_b32 v21, v5 offset:13000
	s_wait_dscnt 0x0
	v_mul_f32_e32 v20, v20, v21
	s_delay_alu instid0(VALU_DEP_1)
	v_xor_b32_e32 v21, 0x80000000, v20
	ds_store_b32 v31, v21
.LBB4_210:                              ;   in Loop: Header=BB4_3 Depth=1
	s_or_b32 exec_lo, exec_lo, s9
	s_wait_dscnt 0x0
	s_barrier_signal -1
	s_barrier_wait -1
	s_and_saveexec_b32 s9, s42
	s_cbranch_execz .LBB4_212
; %bb.211:                              ;   in Loop: Header=BB4_3 Depth=1
	ds_load_b32 v21, v33 offset:12992
	ds_load_b32 v23, v31
	s_wait_dscnt 0x0
	v_fma_f32 v20, -v21, v23, v20
.LBB4_212:                              ;   in Loop: Header=BB4_3 Depth=1
	s_or_b32 exec_lo, exec_lo, s9
	s_barrier_signal -1
	s_barrier_wait -1
	s_and_saveexec_b32 s9, s43
	s_cbranch_execz .LBB4_214
; %bb.213:                              ;   in Loop: Header=BB4_3 Depth=1
	ds_load_b32 v21, v5 offset:12740
	s_wait_dscnt 0x0
	v_mul_f32_e32 v20, v20, v21
	s_delay_alu instid0(VALU_DEP_1)
	v_xor_b32_e32 v21, 0x80000000, v20
	ds_store_b32 v31, v21
.LBB4_214:                              ;   in Loop: Header=BB4_3 Depth=1
	s_or_b32 exec_lo, exec_lo, s9
	s_wait_dscnt 0x0
	;; [unrolled: 25-line block ×3, first 2 shown]
	s_barrier_signal -1
	s_barrier_wait -1
	s_barrier_signal -1
	s_barrier_wait -1
	s_and_saveexec_b32 s9, s3
; %bb.219:                              ;   in Loop: Header=BB4_3 Depth=1
	ds_store_b32 v34, v20 offset:14272
; %bb.220:                              ;   in Loop: Header=BB4_3 Depth=1
	s_or_b32 exec_lo, exec_lo, s9
	s_wait_dscnt 0x0
	s_barrier_signal -1
	s_barrier_wait -1
	s_barrier_signal -1
	s_barrier_wait -1
	s_and_saveexec_b32 s9, s17
	s_cbranch_execz .LBB4_222
; %bb.221:                              ;   in Loop: Header=BB4_3 Depth=1
	ds_load_b64 v[20:21], v5 offset:13256
	ds_load_b32 v23, v5 offset:13000
	s_wait_dscnt 0x0
	v_mul_f32_e32 v21, v23, v21
	s_delay_alu instid0(VALU_DEP_1)
	v_mul_f32_e32 v20, v20, v21
	ds_store_b32 v5, v20 offset:13256
.LBB4_222:                              ;   in Loop: Header=BB4_3 Depth=1
	s_or_b32 exec_lo, exec_lo, s9
	v_mov_b32_e32 v20, 0
	s_wait_dscnt 0x0
	s_barrier_signal -1
	s_barrier_wait -1
	global_wb scope:SCOPE_DEV
	s_wait_storecnt 0x0
	global_inv scope:SCOPE_DEV
	s_and_saveexec_b32 s9, s2
	s_cbranch_execz .LBB4_226
; %bb.223:                              ;   in Loop: Header=BB4_3 Depth=1
	ds_load_b32 v20, v28 offset:12992
	ds_load_b32 v21, v27 offset:13256
	s_wait_dscnt 0x0
	v_fma_f32 v20, v20, v21, 0
	s_and_saveexec_b32 s10, s18
	s_cbranch_execz .LBB4_225
; %bb.224:                              ;   in Loop: Header=BB4_3 Depth=1
	ds_load_b32 v21, v29 offset:13248
	ds_load_b32 v23, v5 offset:13260
	s_wait_dscnt 0x0
	v_fmac_f32_e32 v20, v21, v23
.LBB4_225:                              ;   in Loop: Header=BB4_3 Depth=1
	s_or_b32 exec_lo, exec_lo, s10
.LBB4_226:                              ;   in Loop: Header=BB4_3 Depth=1
	s_delay_alu instid0(SALU_CYCLE_1)
	s_or_b32 exec_lo, exec_lo, s9
	s_and_saveexec_b32 s9, vcc_hi
	s_cbranch_execz .LBB4_228
; %bb.227:                              ;   in Loop: Header=BB4_3 Depth=1
	ds_load_b32 v21, v5 offset:12740
	s_wait_dscnt 0x0
	v_mul_f32_e32 v20, v20, v21
	s_delay_alu instid0(VALU_DEP_1)
	v_xor_b32_e32 v21, 0x80000000, v20
	ds_store_b32 v3, v21
.LBB4_228:                              ;   in Loop: Header=BB4_3 Depth=1
	s_or_b32 exec_lo, exec_lo, s9
	s_wait_loadcnt_dscnt 0x0
	s_barrier_signal -1
	s_barrier_wait -1
	s_and_saveexec_b32 s9, s38
	s_cbranch_execz .LBB4_230
; %bb.229:                              ;   in Loop: Header=BB4_3 Depth=1
	ds_load_b32 v21, v5 offset:12736
	ds_load_b32 v23, v3
	s_wait_dscnt 0x0
	v_fma_f32 v20, -v21, v23, v20
.LBB4_230:                              ;   in Loop: Header=BB4_3 Depth=1
	s_or_b32 exec_lo, exec_lo, s9
	s_barrier_signal -1
	s_barrier_wait -1
	s_and_saveexec_b32 s9, s38
	s_cbranch_execz .LBB4_232
; %bb.231:                              ;   in Loop: Header=BB4_3 Depth=1
	ds_load_b32 v21, v5 offset:12480
	s_wait_dscnt 0x0
	v_mul_f32_e32 v20, v20, v21
	s_delay_alu instid0(VALU_DEP_1)
	v_xor_b32_e32 v21, 0x80000000, v20
	ds_store_b32 v3, v21
.LBB4_232:                              ;   in Loop: Header=BB4_3 Depth=1
	s_or_b32 exec_lo, exec_lo, s9
	s_wait_dscnt 0x0
	s_barrier_signal -1
	s_barrier_wait -1
	s_barrier_signal -1
	s_barrier_wait -1
	s_and_saveexec_b32 s9, s2
; %bb.233:                              ;   in Loop: Header=BB4_3 Depth=1
	ds_store_b32 v30, v20 offset:13248
; %bb.234:                              ;   in Loop: Header=BB4_3 Depth=1
	s_or_b32 exec_lo, exec_lo, s9
	s_wait_dscnt 0x0
	s_barrier_signal -1
	s_barrier_wait -1
	s_barrier_signal -1
	s_barrier_wait -1
	s_and_saveexec_b32 s9, s17
	s_cbranch_execz .LBB4_236
; %bb.235:                              ;   in Loop: Header=BB4_3 Depth=1
	ds_load_b64 v[20:21], v5 offset:12736
	ds_load_b32 v23, v5 offset:12480
	s_wait_dscnt 0x0
	v_mul_f32_e32 v21, v23, v21
	s_delay_alu instid0(VALU_DEP_1)
	v_mul_f32_e32 v20, v20, v21
	ds_store_b32 v5, v20 offset:12736
.LBB4_236:                              ;   in Loop: Header=BB4_3 Depth=1
	s_or_b32 exec_lo, exec_lo, s9
	v_mov_b32_e32 v20, 0
	s_wait_dscnt 0x0
	s_barrier_signal -1
	s_barrier_wait -1
	global_wb scope:SCOPE_DEV
	s_wait_storecnt 0x0
	global_inv scope:SCOPE_DEV
	s_and_saveexec_b32 s9, s5
	s_cbranch_execz .LBB4_264
; %bb.237:                              ;   in Loop: Header=BB4_3 Depth=1
	ds_load_b32 v20, v41 offset:12416
	ds_load_b32 v21, v40 offset:16320
	s_wait_dscnt 0x0
	v_fma_f32 v20, v20, v21, 0
	s_mov_b32 s10, exec_lo
	v_readlane_b32 s11, v70, 29
	s_and_b32 s11, s10, s11
	s_delay_alu instid0(SALU_CYCLE_1)
	s_mov_b32 exec_lo, s11
	s_cbranch_execz .LBB4_239
; %bb.238:                              ;   in Loop: Header=BB4_3 Depth=1
	ds_load_b32 v21, v41 offset:12672
	ds_load_b32 v23, v40 offset:16324
	s_wait_dscnt 0x0
	v_fmac_f32_e32 v20, v21, v23
.LBB4_239:                              ;   in Loop: Header=BB4_3 Depth=1
	s_or_b32 exec_lo, exec_lo, s10
	s_delay_alu instid0(SALU_CYCLE_1) | instskip(SKIP_2) | instid1(SALU_CYCLE_1)
	s_mov_b32 s10, exec_lo
	v_readlane_b32 s11, v70, 30
	s_and_b32 s11, s10, s11
	s_mov_b32 exec_lo, s11
	s_cbranch_execz .LBB4_241
; %bb.240:                              ;   in Loop: Header=BB4_3 Depth=1
	ds_load_b32 v21, v41 offset:12928
	ds_load_b32 v23, v40 offset:16328
	s_wait_dscnt 0x0
	v_fmac_f32_e32 v20, v21, v23
.LBB4_241:                              ;   in Loop: Header=BB4_3 Depth=1
	s_or_b32 exec_lo, exec_lo, s10
	s_delay_alu instid0(SALU_CYCLE_1) | instskip(SKIP_2) | instid1(SALU_CYCLE_1)
	s_mov_b32 s10, exec_lo
	v_readlane_b32 s11, v70, 31
	s_and_b32 s11, s10, s11
	;; [unrolled: 13-line block ×10, first 2 shown]
	s_mov_b32 exec_lo, s11
	s_cbranch_execnz .LBB4_1155
; %bb.258:                              ;   in Loop: Header=BB4_3 Depth=1
	s_or_b32 exec_lo, exec_lo, s10
	s_and_saveexec_b32 s10, s4
	s_cbranch_execnz .LBB4_1156
.LBB4_259:                              ;   in Loop: Header=BB4_3 Depth=1
	s_or_b32 exec_lo, exec_lo, s10
	s_and_saveexec_b32 s10, s22
	s_cbranch_execnz .LBB4_1157
.LBB4_260:                              ;   in Loop: Header=BB4_3 Depth=1
	s_or_b32 exec_lo, exec_lo, s10
	s_and_saveexec_b32 s10, s24
	s_cbranch_execnz .LBB4_1158
.LBB4_261:                              ;   in Loop: Header=BB4_3 Depth=1
	s_or_b32 exec_lo, exec_lo, s10
	s_and_saveexec_b32 s10, s3
	s_cbranch_execz .LBB4_263
.LBB4_262:                              ;   in Loop: Header=BB4_3 Depth=1
	ds_load_b32 v21, v29 offset:16256
	ds_load_b32 v23, v5 offset:16380
	s_wait_dscnt 0x0
	v_fmac_f32_e32 v20, v21, v23
.LBB4_263:                              ;   in Loop: Header=BB4_3 Depth=1
	s_or_b32 exec_lo, exec_lo, s10
.LBB4_264:                              ;   in Loop: Header=BB4_3 Depth=1
	s_delay_alu instid0(SALU_CYCLE_1) | instskip(NEXT) | instid1(SALU_CYCLE_1)
	s_or_b32 exec_lo, exec_lo, s9
	s_mov_b32 s9, exec_lo
	v_readlane_b32 s10, v72, 6
	s_and_b32 s10, s9, s10
	s_delay_alu instid0(SALU_CYCLE_1)
	s_mov_b32 exec_lo, s10
	s_cbranch_execz .LBB4_266
; %bb.265:                              ;   in Loop: Header=BB4_3 Depth=1
	ds_load_b32 v21, v5 offset:12220
	s_wait_dscnt 0x0
	v_mul_f32_e32 v20, v20, v21
	s_delay_alu instid0(VALU_DEP_1)
	v_xor_b32_e32 v21, 0x80000000, v20
	ds_store_b32 v39, v21
.LBB4_266:                              ;   in Loop: Header=BB4_3 Depth=1
	s_or_b32 exec_lo, exec_lo, s9
	s_wait_loadcnt_dscnt 0x0
	s_barrier_signal -1
	s_barrier_wait -1
	s_mov_b32 s9, exec_lo
	v_readlane_b32 s10, v72, 7
	s_and_b32 s10, s9, s10
	s_delay_alu instid0(SALU_CYCLE_1)
	s_mov_b32 exec_lo, s10
	s_cbranch_execz .LBB4_268
; %bb.267:                              ;   in Loop: Header=BB4_3 Depth=1
	ds_load_b32 v21, v41 offset:12160
	ds_load_b32 v23, v39
	s_wait_dscnt 0x0
	v_fma_f32 v20, -v21, v23, v20
.LBB4_268:                              ;   in Loop: Header=BB4_3 Depth=1
	s_or_b32 exec_lo, exec_lo, s9
	s_barrier_signal -1
	s_barrier_wait -1
	s_mov_b32 s9, exec_lo
	v_readlane_b32 s10, v72, 8
	s_and_b32 s10, s9, s10
	s_delay_alu instid0(SALU_CYCLE_1)
	s_mov_b32 exec_lo, s10
	s_cbranch_execz .LBB4_270
; %bb.269:                              ;   in Loop: Header=BB4_3 Depth=1
	ds_load_b32 v21, v5 offset:11960
	s_wait_dscnt 0x0
	v_mul_f32_e32 v20, v20, v21
	s_delay_alu instid0(VALU_DEP_1)
	v_xor_b32_e32 v21, 0x80000000, v20
	ds_store_b32 v39, v21
.LBB4_270:                              ;   in Loop: Header=BB4_3 Depth=1
	s_or_b32 exec_lo, exec_lo, s9
	s_wait_dscnt 0x0
	s_barrier_signal -1
	s_barrier_wait -1
	s_mov_b32 s9, exec_lo
	v_readlane_b32 s10, v72, 9
	s_and_b32 s10, s9, s10
	s_delay_alu instid0(SALU_CYCLE_1)
	s_mov_b32 exec_lo, s10
	s_cbranch_execz .LBB4_272
; %bb.271:                              ;   in Loop: Header=BB4_3 Depth=1
	ds_load_b32 v21, v41 offset:11904
	ds_load_b32 v23, v39
	s_wait_dscnt 0x0
	v_fma_f32 v20, -v21, v23, v20
.LBB4_272:                              ;   in Loop: Header=BB4_3 Depth=1
	s_or_b32 exec_lo, exec_lo, s9
	s_barrier_signal -1
	s_barrier_wait -1
	s_and_saveexec_b32 s9, s69
	s_cbranch_execz .LBB4_274
; %bb.273:                              ;   in Loop: Header=BB4_3 Depth=1
	ds_load_b32 v21, v5 offset:11700
	s_wait_dscnt 0x0
	v_mul_f32_e32 v20, v20, v21
	s_delay_alu instid0(VALU_DEP_1)
	v_xor_b32_e32 v21, 0x80000000, v20
	ds_store_b32 v39, v21
.LBB4_274:                              ;   in Loop: Header=BB4_3 Depth=1
	s_or_b32 exec_lo, exec_lo, s9
	s_wait_dscnt 0x0
	s_barrier_signal -1
	s_barrier_wait -1
	s_and_saveexec_b32 s9, s70
	s_cbranch_execz .LBB4_276
; %bb.275:                              ;   in Loop: Header=BB4_3 Depth=1
	ds_load_b32 v21, v41 offset:11648
	ds_load_b32 v23, v39
	s_wait_dscnt 0x0
	v_fma_f32 v20, -v21, v23, v20
.LBB4_276:                              ;   in Loop: Header=BB4_3 Depth=1
	s_or_b32 exec_lo, exec_lo, s9
	s_barrier_signal -1
	s_barrier_wait -1
	s_and_saveexec_b32 s9, s14
	s_cbranch_execz .LBB4_278
; %bb.277:                              ;   in Loop: Header=BB4_3 Depth=1
	ds_load_b32 v21, v5 offset:11440
	s_wait_dscnt 0x0
	v_mul_f32_e32 v20, v20, v21
	s_delay_alu instid0(VALU_DEP_1)
	v_xor_b32_e32 v21, 0x80000000, v20
	ds_store_b32 v39, v21
.LBB4_278:                              ;   in Loop: Header=BB4_3 Depth=1
	s_or_b32 exec_lo, exec_lo, s9
	s_wait_dscnt 0x0
	s_barrier_signal -1
	s_barrier_wait -1
	s_and_saveexec_b32 s9, s15
	;; [unrolled: 25-line block ×13, first 2 shown]
	s_cbranch_execz .LBB4_324
; %bb.323:                              ;   in Loop: Header=BB4_3 Depth=1
	ds_load_b32 v21, v5 offset:8576
	ds_load_b32 v23, v39
	s_wait_dscnt 0x0
	v_fma_f32 v20, -v21, v23, v20
.LBB4_324:                              ;   in Loop: Header=BB4_3 Depth=1
	s_or_b32 exec_lo, exec_lo, s9
	s_barrier_signal -1
	s_barrier_wait -1
	s_and_saveexec_b32 s9, s100
	s_cbranch_execz .LBB4_326
; %bb.325:                              ;   in Loop: Header=BB4_3 Depth=1
	ds_load_b32 v21, v5 offset:8320
	s_wait_dscnt 0x0
	v_mul_f32_e32 v20, v20, v21
	s_delay_alu instid0(VALU_DEP_1)
	v_xor_b32_e32 v21, 0x80000000, v20
	ds_store_b32 v39, v21
.LBB4_326:                              ;   in Loop: Header=BB4_3 Depth=1
	s_or_b32 exec_lo, exec_lo, s9
	s_wait_dscnt 0x0
	s_barrier_signal -1
	s_barrier_wait -1
	s_barrier_signal -1
	s_barrier_wait -1
	s_and_saveexec_b32 s9, s5
; %bb.327:                              ;   in Loop: Header=BB4_3 Depth=1
	ds_store_b32 v42, v20 offset:16256
; %bb.328:                              ;   in Loop: Header=BB4_3 Depth=1
	s_or_b32 exec_lo, exec_lo, s9
	s_wait_dscnt 0x0
	s_barrier_signal -1
	s_barrier_wait -1
	s_barrier_signal -1
	s_barrier_wait -1
	s_and_saveexec_b32 s9, s17
	s_cbranch_execz .LBB4_330
; %bb.329:                              ;   in Loop: Header=BB4_3 Depth=1
	ds_load_b64 v[20:21], v5 offset:12216
	ds_load_b32 v23, v5 offset:11960
	s_wait_dscnt 0x0
	v_mul_f32_e32 v21, v23, v21
	s_delay_alu instid0(VALU_DEP_1)
	v_mul_f32_e32 v20, v20, v21
	ds_store_b32 v5, v20 offset:12216
.LBB4_330:                              ;   in Loop: Header=BB4_3 Depth=1
	s_or_b32 exec_lo, exec_lo, s9
	v_mov_b32_e32 v20, 0
	s_wait_dscnt 0x0
	s_barrier_signal -1
	s_barrier_wait -1
	global_wb scope:SCOPE_DEV
	s_wait_storecnt 0x0
	global_inv scope:SCOPE_DEV
	s_and_saveexec_b32 s9, s2
	s_cbranch_execz .LBB4_334
; %bb.331:                              ;   in Loop: Header=BB4_3 Depth=1
	ds_load_b32 v20, v28 offset:11952
	ds_load_b32 v21, v27 offset:12216
	s_wait_dscnt 0x0
	v_fma_f32 v20, v20, v21, 0
	s_and_saveexec_b32 s10, s18
	s_cbranch_execz .LBB4_333
; %bb.332:                              ;   in Loop: Header=BB4_3 Depth=1
	ds_load_b32 v21, v29 offset:12208
	ds_load_b32 v23, v5 offset:12220
	s_wait_dscnt 0x0
	v_fmac_f32_e32 v20, v21, v23
.LBB4_333:                              ;   in Loop: Header=BB4_3 Depth=1
	s_or_b32 exec_lo, exec_lo, s10
.LBB4_334:                              ;   in Loop: Header=BB4_3 Depth=1
	s_delay_alu instid0(SALU_CYCLE_1)
	s_or_b32 exec_lo, exec_lo, s9
	s_and_saveexec_b32 s9, vcc_hi
	s_cbranch_execz .LBB4_336
; %bb.335:                              ;   in Loop: Header=BB4_3 Depth=1
	ds_load_b32 v21, v5 offset:11700
	s_wait_dscnt 0x0
	v_mul_f32_e32 v20, v20, v21
	s_delay_alu instid0(VALU_DEP_1)
	v_xor_b32_e32 v21, 0x80000000, v20
	ds_store_b32 v3, v21
.LBB4_336:                              ;   in Loop: Header=BB4_3 Depth=1
	s_or_b32 exec_lo, exec_lo, s9
	s_wait_loadcnt_dscnt 0x0
	s_barrier_signal -1
	s_barrier_wait -1
	s_and_saveexec_b32 s9, s38
	s_cbranch_execz .LBB4_338
; %bb.337:                              ;   in Loop: Header=BB4_3 Depth=1
	ds_load_b32 v21, v5 offset:11696
	ds_load_b32 v23, v3
	s_wait_dscnt 0x0
	v_fma_f32 v20, -v21, v23, v20
.LBB4_338:                              ;   in Loop: Header=BB4_3 Depth=1
	s_or_b32 exec_lo, exec_lo, s9
	s_barrier_signal -1
	s_barrier_wait -1
	s_and_saveexec_b32 s9, s38
	s_cbranch_execz .LBB4_340
; %bb.339:                              ;   in Loop: Header=BB4_3 Depth=1
	ds_load_b32 v21, v5 offset:11440
	s_wait_dscnt 0x0
	v_mul_f32_e32 v20, v20, v21
	s_delay_alu instid0(VALU_DEP_1)
	v_xor_b32_e32 v21, 0x80000000, v20
	ds_store_b32 v3, v21
.LBB4_340:                              ;   in Loop: Header=BB4_3 Depth=1
	s_or_b32 exec_lo, exec_lo, s9
	s_wait_dscnt 0x0
	s_barrier_signal -1
	s_barrier_wait -1
	s_barrier_signal -1
	s_barrier_wait -1
	s_and_saveexec_b32 s9, s2
; %bb.341:                              ;   in Loop: Header=BB4_3 Depth=1
	ds_store_b32 v30, v20 offset:12208
; %bb.342:                              ;   in Loop: Header=BB4_3 Depth=1
	s_or_b32 exec_lo, exec_lo, s9
	s_wait_dscnt 0x0
	s_barrier_signal -1
	s_barrier_wait -1
	s_barrier_signal -1
	s_barrier_wait -1
	s_and_saveexec_b32 s9, s17
	s_cbranch_execz .LBB4_344
; %bb.343:                              ;   in Loop: Header=BB4_3 Depth=1
	ds_load_b64 v[20:21], v5 offset:11696
	ds_load_b32 v23, v5 offset:11440
	s_wait_dscnt 0x0
	v_mul_f32_e32 v21, v23, v21
	s_delay_alu instid0(VALU_DEP_1)
	v_mul_f32_e32 v20, v20, v21
	ds_store_b32 v5, v20 offset:11696
.LBB4_344:                              ;   in Loop: Header=BB4_3 Depth=1
	s_or_b32 exec_lo, exec_lo, s9
	v_mov_b32_e32 v20, 0
	s_wait_dscnt 0x0
	s_barrier_signal -1
	s_barrier_wait -1
	global_wb scope:SCOPE_DEV
	s_wait_storecnt 0x0
	global_inv scope:SCOPE_DEV
	s_and_saveexec_b32 s9, s3
	s_cbranch_execz .LBB4_350
; %bb.345:                              ;   in Loop: Header=BB4_3 Depth=1
	ds_load_b32 v20, v33 offset:11424
	ds_load_b32 v21, v32 offset:12208
	s_wait_dscnt 0x0
	v_fma_f32 v20, v20, v21, 0
	s_and_saveexec_b32 s10, s19
	s_cbranch_execnz .LBB4_1159
; %bb.346:                              ;   in Loop: Header=BB4_3 Depth=1
	s_or_b32 exec_lo, exec_lo, s10
	s_and_saveexec_b32 s10, s20
	s_cbranch_execnz .LBB4_1160
.LBB4_347:                              ;   in Loop: Header=BB4_3 Depth=1
	s_or_b32 exec_lo, exec_lo, s10
	s_and_saveexec_b32 s10, s2
	s_cbranch_execz .LBB4_349
.LBB4_348:                              ;   in Loop: Header=BB4_3 Depth=1
	ds_load_b32 v21, v29 offset:12192
	ds_load_b32 v23, v5 offset:12220
	s_wait_dscnt 0x0
	v_fmac_f32_e32 v20, v21, v23
.LBB4_349:                              ;   in Loop: Header=BB4_3 Depth=1
	s_or_b32 exec_lo, exec_lo, s10
.LBB4_350:                              ;   in Loop: Header=BB4_3 Depth=1
	s_delay_alu instid0(SALU_CYCLE_1)
	s_or_b32 exec_lo, exec_lo, s9
	s_and_saveexec_b32 s9, s39
	s_cbranch_execz .LBB4_352
; %bb.351:                              ;   in Loop: Header=BB4_3 Depth=1
	ds_load_b32 v21, v5 offset:11180
	s_wait_dscnt 0x0
	v_mul_f32_e32 v20, v20, v21
	s_delay_alu instid0(VALU_DEP_1)
	v_xor_b32_e32 v21, 0x80000000, v20
	ds_store_b32 v31, v21
.LBB4_352:                              ;   in Loop: Header=BB4_3 Depth=1
	s_or_b32 exec_lo, exec_lo, s9
	s_wait_loadcnt_dscnt 0x0
	s_barrier_signal -1
	s_barrier_wait -1
	s_and_saveexec_b32 s9, s40
	s_cbranch_execz .LBB4_354
; %bb.353:                              ;   in Loop: Header=BB4_3 Depth=1
	ds_load_b32 v21, v33 offset:11168
	ds_load_b32 v23, v31
	s_wait_dscnt 0x0
	v_fma_f32 v20, -v21, v23, v20
.LBB4_354:                              ;   in Loop: Header=BB4_3 Depth=1
	s_or_b32 exec_lo, exec_lo, s9
	s_barrier_signal -1
	s_barrier_wait -1
	s_and_saveexec_b32 s9, s41
	s_cbranch_execz .LBB4_356
; %bb.355:                              ;   in Loop: Header=BB4_3 Depth=1
	ds_load_b32 v21, v5 offset:10920
	s_wait_dscnt 0x0
	v_mul_f32_e32 v20, v20, v21
	s_delay_alu instid0(VALU_DEP_1)
	v_xor_b32_e32 v21, 0x80000000, v20
	ds_store_b32 v31, v21
.LBB4_356:                              ;   in Loop: Header=BB4_3 Depth=1
	s_or_b32 exec_lo, exec_lo, s9
	s_wait_dscnt 0x0
	s_barrier_signal -1
	s_barrier_wait -1
	s_and_saveexec_b32 s9, s42
	s_cbranch_execz .LBB4_358
; %bb.357:                              ;   in Loop: Header=BB4_3 Depth=1
	ds_load_b32 v21, v33 offset:10912
	ds_load_b32 v23, v31
	s_wait_dscnt 0x0
	v_fma_f32 v20, -v21, v23, v20
.LBB4_358:                              ;   in Loop: Header=BB4_3 Depth=1
	s_or_b32 exec_lo, exec_lo, s9
	s_barrier_signal -1
	s_barrier_wait -1
	s_and_saveexec_b32 s9, s43
	s_cbranch_execz .LBB4_360
; %bb.359:                              ;   in Loop: Header=BB4_3 Depth=1
	ds_load_b32 v21, v5 offset:10660
	s_wait_dscnt 0x0
	v_mul_f32_e32 v20, v20, v21
	s_delay_alu instid0(VALU_DEP_1)
	v_xor_b32_e32 v21, 0x80000000, v20
	ds_store_b32 v31, v21
.LBB4_360:                              ;   in Loop: Header=BB4_3 Depth=1
	s_or_b32 exec_lo, exec_lo, s9
	s_wait_dscnt 0x0
	;; [unrolled: 25-line block ×3, first 2 shown]
	s_barrier_signal -1
	s_barrier_wait -1
	s_barrier_signal -1
	s_barrier_wait -1
	s_and_saveexec_b32 s9, s3
; %bb.365:                              ;   in Loop: Header=BB4_3 Depth=1
	ds_store_b32 v34, v20 offset:12192
; %bb.366:                              ;   in Loop: Header=BB4_3 Depth=1
	s_or_b32 exec_lo, exec_lo, s9
	s_wait_dscnt 0x0
	s_barrier_signal -1
	s_barrier_wait -1
	s_barrier_signal -1
	s_barrier_wait -1
	s_and_saveexec_b32 s9, s17
	s_cbranch_execz .LBB4_368
; %bb.367:                              ;   in Loop: Header=BB4_3 Depth=1
	ds_load_b64 v[20:21], v5 offset:11176
	ds_load_b32 v23, v5 offset:10920
	s_wait_dscnt 0x0
	v_mul_f32_e32 v21, v23, v21
	s_delay_alu instid0(VALU_DEP_1)
	v_mul_f32_e32 v20, v20, v21
	ds_store_b32 v5, v20 offset:11176
.LBB4_368:                              ;   in Loop: Header=BB4_3 Depth=1
	s_or_b32 exec_lo, exec_lo, s9
	v_mov_b32_e32 v20, 0
	s_wait_dscnt 0x0
	s_barrier_signal -1
	s_barrier_wait -1
	global_wb scope:SCOPE_DEV
	s_wait_storecnt 0x0
	global_inv scope:SCOPE_DEV
	s_and_saveexec_b32 s9, s2
	s_cbranch_execz .LBB4_372
; %bb.369:                              ;   in Loop: Header=BB4_3 Depth=1
	ds_load_b32 v20, v28 offset:10912
	ds_load_b32 v21, v27 offset:11176
	s_wait_dscnt 0x0
	v_fma_f32 v20, v20, v21, 0
	s_and_saveexec_b32 s10, s18
	s_cbranch_execz .LBB4_371
; %bb.370:                              ;   in Loop: Header=BB4_3 Depth=1
	ds_load_b32 v21, v29 offset:11168
	ds_load_b32 v23, v5 offset:11180
	s_wait_dscnt 0x0
	v_fmac_f32_e32 v20, v21, v23
.LBB4_371:                              ;   in Loop: Header=BB4_3 Depth=1
	s_or_b32 exec_lo, exec_lo, s10
.LBB4_372:                              ;   in Loop: Header=BB4_3 Depth=1
	s_delay_alu instid0(SALU_CYCLE_1)
	s_or_b32 exec_lo, exec_lo, s9
	s_and_saveexec_b32 s9, vcc_hi
	s_cbranch_execz .LBB4_374
; %bb.373:                              ;   in Loop: Header=BB4_3 Depth=1
	ds_load_b32 v21, v5 offset:10660
	s_wait_dscnt 0x0
	v_mul_f32_e32 v20, v20, v21
	s_delay_alu instid0(VALU_DEP_1)
	v_xor_b32_e32 v21, 0x80000000, v20
	ds_store_b32 v3, v21
.LBB4_374:                              ;   in Loop: Header=BB4_3 Depth=1
	s_or_b32 exec_lo, exec_lo, s9
	s_wait_loadcnt_dscnt 0x0
	s_barrier_signal -1
	s_barrier_wait -1
	s_and_saveexec_b32 s9, s38
	s_cbranch_execz .LBB4_376
; %bb.375:                              ;   in Loop: Header=BB4_3 Depth=1
	ds_load_b32 v21, v5 offset:10656
	ds_load_b32 v23, v3
	s_wait_dscnt 0x0
	v_fma_f32 v20, -v21, v23, v20
.LBB4_376:                              ;   in Loop: Header=BB4_3 Depth=1
	s_or_b32 exec_lo, exec_lo, s9
	s_barrier_signal -1
	s_barrier_wait -1
	s_and_saveexec_b32 s9, s38
	s_cbranch_execz .LBB4_378
; %bb.377:                              ;   in Loop: Header=BB4_3 Depth=1
	ds_load_b32 v21, v5 offset:10400
	s_wait_dscnt 0x0
	v_mul_f32_e32 v20, v20, v21
	s_delay_alu instid0(VALU_DEP_1)
	v_xor_b32_e32 v21, 0x80000000, v20
	ds_store_b32 v3, v21
.LBB4_378:                              ;   in Loop: Header=BB4_3 Depth=1
	s_or_b32 exec_lo, exec_lo, s9
	s_wait_dscnt 0x0
	s_barrier_signal -1
	s_barrier_wait -1
	s_barrier_signal -1
	s_barrier_wait -1
	s_and_saveexec_b32 s9, s2
; %bb.379:                              ;   in Loop: Header=BB4_3 Depth=1
	ds_store_b32 v30, v20 offset:11168
; %bb.380:                              ;   in Loop: Header=BB4_3 Depth=1
	s_or_b32 exec_lo, exec_lo, s9
	s_wait_dscnt 0x0
	s_barrier_signal -1
	s_barrier_wait -1
	s_barrier_signal -1
	s_barrier_wait -1
	s_and_saveexec_b32 s9, s17
	s_cbranch_execz .LBB4_382
; %bb.381:                              ;   in Loop: Header=BB4_3 Depth=1
	ds_load_b64 v[20:21], v5 offset:10656
	ds_load_b32 v23, v5 offset:10400
	s_wait_dscnt 0x0
	v_mul_f32_e32 v21, v23, v21
	s_delay_alu instid0(VALU_DEP_1)
	v_mul_f32_e32 v20, v20, v21
	ds_store_b32 v5, v20 offset:10656
.LBB4_382:                              ;   in Loop: Header=BB4_3 Depth=1
	s_or_b32 exec_lo, exec_lo, s9
	v_mov_b32_e32 v20, 0
	s_wait_dscnt 0x0
	s_barrier_signal -1
	s_barrier_wait -1
	global_wb scope:SCOPE_DEV
	s_wait_storecnt 0x0
	global_inv scope:SCOPE_DEV
	s_and_saveexec_b32 s9, s4
	s_cbranch_execz .LBB4_392
; %bb.383:                              ;   in Loop: Header=BB4_3 Depth=1
	ds_load_b32 v20, v37 offset:10368
	ds_load_b32 v21, v36 offset:12192
	s_wait_dscnt 0x0
	v_fma_f32 v20, v20, v21, 0
	s_and_saveexec_b32 s10, s21
	s_cbranch_execnz .LBB4_1161
; %bb.384:                              ;   in Loop: Header=BB4_3 Depth=1
	s_or_b32 exec_lo, exec_lo, s10
	s_and_saveexec_b32 s10, s22
	s_cbranch_execnz .LBB4_1162
.LBB4_385:                              ;   in Loop: Header=BB4_3 Depth=1
	s_or_b32 exec_lo, exec_lo, s10
	s_and_saveexec_b32 s10, s23
	s_cbranch_execnz .LBB4_1163
.LBB4_386:                              ;   in Loop: Header=BB4_3 Depth=1
	s_or_b32 exec_lo, exec_lo, s10
	s_and_saveexec_b32 s10, s24
	s_cbranch_execnz .LBB4_1164
.LBB4_387:                              ;   in Loop: Header=BB4_3 Depth=1
	s_or_b32 exec_lo, exec_lo, s10
	s_and_saveexec_b32 s10, s25
	s_cbranch_execnz .LBB4_1165
.LBB4_388:                              ;   in Loop: Header=BB4_3 Depth=1
	s_or_b32 exec_lo, exec_lo, s10
	s_and_saveexec_b32 s10, s3
	s_cbranch_execnz .LBB4_1166
.LBB4_389:                              ;   in Loop: Header=BB4_3 Depth=1
	s_or_b32 exec_lo, exec_lo, s10
	s_and_saveexec_b32 s10, s20
	s_cbranch_execz .LBB4_391
.LBB4_390:                              ;   in Loop: Header=BB4_3 Depth=1
	ds_load_b32 v21, v29 offset:12160
	ds_load_b32 v23, v5 offset:12220
	s_wait_dscnt 0x0
	v_fmac_f32_e32 v20, v21, v23
.LBB4_391:                              ;   in Loop: Header=BB4_3 Depth=1
	s_or_b32 exec_lo, exec_lo, s10
.LBB4_392:                              ;   in Loop: Header=BB4_3 Depth=1
	s_delay_alu instid0(SALU_CYCLE_1)
	s_or_b32 exec_lo, exec_lo, s9
	s_and_saveexec_b32 s9, s45
	s_cbranch_execz .LBB4_394
; %bb.393:                              ;   in Loop: Header=BB4_3 Depth=1
	ds_load_b32 v21, v5 offset:10140
	s_wait_dscnt 0x0
	v_mul_f32_e32 v20, v20, v21
	s_delay_alu instid0(VALU_DEP_1)
	v_xor_b32_e32 v21, 0x80000000, v20
	ds_store_b32 v35, v21
.LBB4_394:                              ;   in Loop: Header=BB4_3 Depth=1
	s_or_b32 exec_lo, exec_lo, s9
	s_wait_loadcnt_dscnt 0x0
	s_barrier_signal -1
	s_barrier_wait -1
	s_and_saveexec_b32 s9, s46
	s_cbranch_execz .LBB4_396
; %bb.395:                              ;   in Loop: Header=BB4_3 Depth=1
	ds_load_b32 v21, v37 offset:10112
	ds_load_b32 v23, v35
	s_wait_dscnt 0x0
	v_fma_f32 v20, -v21, v23, v20
.LBB4_396:                              ;   in Loop: Header=BB4_3 Depth=1
	s_or_b32 exec_lo, exec_lo, s9
	s_barrier_signal -1
	s_barrier_wait -1
	s_and_saveexec_b32 s9, s47
	s_cbranch_execz .LBB4_398
; %bb.397:                              ;   in Loop: Header=BB4_3 Depth=1
	ds_load_b32 v21, v5 offset:9880
	s_wait_dscnt 0x0
	v_mul_f32_e32 v20, v20, v21
	s_delay_alu instid0(VALU_DEP_1)
	v_xor_b32_e32 v21, 0x80000000, v20
	ds_store_b32 v35, v21
.LBB4_398:                              ;   in Loop: Header=BB4_3 Depth=1
	s_or_b32 exec_lo, exec_lo, s9
	s_wait_dscnt 0x0
	s_barrier_signal -1
	s_barrier_wait -1
	s_and_saveexec_b32 s9, s48
	s_cbranch_execz .LBB4_400
; %bb.399:                              ;   in Loop: Header=BB4_3 Depth=1
	ds_load_b32 v21, v37 offset:9856
	ds_load_b32 v23, v35
	s_wait_dscnt 0x0
	v_fma_f32 v20, -v21, v23, v20
.LBB4_400:                              ;   in Loop: Header=BB4_3 Depth=1
	s_or_b32 exec_lo, exec_lo, s9
	s_barrier_signal -1
	s_barrier_wait -1
	s_and_saveexec_b32 s9, s49
	s_cbranch_execz .LBB4_402
; %bb.401:                              ;   in Loop: Header=BB4_3 Depth=1
	ds_load_b32 v21, v5 offset:9620
	s_wait_dscnt 0x0
	v_mul_f32_e32 v20, v20, v21
	s_delay_alu instid0(VALU_DEP_1)
	v_xor_b32_e32 v21, 0x80000000, v20
	ds_store_b32 v35, v21
.LBB4_402:                              ;   in Loop: Header=BB4_3 Depth=1
	s_or_b32 exec_lo, exec_lo, s9
	s_wait_dscnt 0x0
	s_barrier_signal -1
	s_barrier_wait -1
	s_and_saveexec_b32 s9, s50
	s_cbranch_execz .LBB4_404
; %bb.403:                              ;   in Loop: Header=BB4_3 Depth=1
	ds_load_b32 v21, v37 offset:9600
	ds_load_b32 v23, v35
	s_wait_dscnt 0x0
	v_fma_f32 v20, -v21, v23, v20
.LBB4_404:                              ;   in Loop: Header=BB4_3 Depth=1
	s_or_b32 exec_lo, exec_lo, s9
	s_barrier_signal -1
	s_barrier_wait -1
	s_and_saveexec_b32 s9, s51
	s_cbranch_execz .LBB4_406
; %bb.405:                              ;   in Loop: Header=BB4_3 Depth=1
	ds_load_b32 v21, v5 offset:9360
	s_wait_dscnt 0x0
	v_mul_f32_e32 v20, v20, v21
	s_delay_alu instid0(VALU_DEP_1)
	v_xor_b32_e32 v21, 0x80000000, v20
	ds_store_b32 v35, v21
.LBB4_406:                              ;   in Loop: Header=BB4_3 Depth=1
	s_or_b32 exec_lo, exec_lo, s9
	s_wait_dscnt 0x0
	s_barrier_signal -1
	s_barrier_wait -1
	s_and_saveexec_b32 s9, s52
	s_cbranch_execz .LBB4_408
; %bb.407:                              ;   in Loop: Header=BB4_3 Depth=1
	ds_load_b32 v21, v37 offset:9344
	ds_load_b32 v23, v35
	s_wait_dscnt 0x0
	v_fma_f32 v20, -v21, v23, v20
.LBB4_408:                              ;   in Loop: Header=BB4_3 Depth=1
	s_or_b32 exec_lo, exec_lo, s9
	s_barrier_signal -1
	s_barrier_wait -1
	s_and_saveexec_b32 s9, s53
	s_cbranch_execz .LBB4_410
; %bb.409:                              ;   in Loop: Header=BB4_3 Depth=1
	ds_load_b32 v21, v5 offset:9100
	s_wait_dscnt 0x0
	v_mul_f32_e32 v20, v20, v21
	s_delay_alu instid0(VALU_DEP_1)
	v_xor_b32_e32 v21, 0x80000000, v20
	ds_store_b32 v35, v21
.LBB4_410:                              ;   in Loop: Header=BB4_3 Depth=1
	s_or_b32 exec_lo, exec_lo, s9
	s_wait_dscnt 0x0
	s_barrier_signal -1
	s_barrier_wait -1
	s_and_saveexec_b32 s9, s54
	s_cbranch_execz .LBB4_412
; %bb.411:                              ;   in Loop: Header=BB4_3 Depth=1
	ds_load_b32 v21, v37 offset:9088
	ds_load_b32 v23, v35
	s_wait_dscnt 0x0
	v_fma_f32 v20, -v21, v23, v20
.LBB4_412:                              ;   in Loop: Header=BB4_3 Depth=1
	s_or_b32 exec_lo, exec_lo, s9
	s_barrier_signal -1
	s_barrier_wait -1
	s_and_saveexec_b32 s9, s55
	s_cbranch_execz .LBB4_414
; %bb.413:                              ;   in Loop: Header=BB4_3 Depth=1
	ds_load_b32 v21, v5 offset:8840
	s_wait_dscnt 0x0
	v_mul_f32_e32 v20, v20, v21
	s_delay_alu instid0(VALU_DEP_1)
	v_xor_b32_e32 v21, 0x80000000, v20
	ds_store_b32 v35, v21
.LBB4_414:                              ;   in Loop: Header=BB4_3 Depth=1
	s_or_b32 exec_lo, exec_lo, s9
	s_wait_dscnt 0x0
	s_barrier_signal -1
	s_barrier_wait -1
	s_and_saveexec_b32 s9, s56
	s_cbranch_execz .LBB4_416
; %bb.415:                              ;   in Loop: Header=BB4_3 Depth=1
	ds_load_b32 v21, v37 offset:8832
	ds_load_b32 v23, v35
	s_wait_dscnt 0x0
	v_fma_f32 v20, -v21, v23, v20
.LBB4_416:                              ;   in Loop: Header=BB4_3 Depth=1
	s_or_b32 exec_lo, exec_lo, s9
	s_barrier_signal -1
	s_barrier_wait -1
	s_and_saveexec_b32 s9, s57
	s_cbranch_execz .LBB4_418
; %bb.417:                              ;   in Loop: Header=BB4_3 Depth=1
	ds_load_b32 v21, v5 offset:8580
	s_wait_dscnt 0x0
	v_mul_f32_e32 v20, v20, v21
	s_delay_alu instid0(VALU_DEP_1)
	v_xor_b32_e32 v21, 0x80000000, v20
	ds_store_b32 v35, v21
.LBB4_418:                              ;   in Loop: Header=BB4_3 Depth=1
	s_or_b32 exec_lo, exec_lo, s9
	s_wait_dscnt 0x0
	s_barrier_signal -1
	s_barrier_wait -1
	s_and_saveexec_b32 s9, s58
	s_cbranch_execz .LBB4_420
; %bb.419:                              ;   in Loop: Header=BB4_3 Depth=1
	ds_load_b32 v21, v5 offset:8576
	ds_load_b32 v23, v35
	s_wait_dscnt 0x0
	v_fma_f32 v20, -v21, v23, v20
.LBB4_420:                              ;   in Loop: Header=BB4_3 Depth=1
	s_or_b32 exec_lo, exec_lo, s9
	s_barrier_signal -1
	s_barrier_wait -1
	s_and_saveexec_b32 s9, s58
	s_cbranch_execz .LBB4_422
; %bb.421:                              ;   in Loop: Header=BB4_3 Depth=1
	ds_load_b32 v21, v5 offset:8320
	s_wait_dscnt 0x0
	v_mul_f32_e32 v20, v20, v21
	s_delay_alu instid0(VALU_DEP_1)
	v_xor_b32_e32 v21, 0x80000000, v20
	ds_store_b32 v35, v21
.LBB4_422:                              ;   in Loop: Header=BB4_3 Depth=1
	s_or_b32 exec_lo, exec_lo, s9
	s_wait_dscnt 0x0
	s_barrier_signal -1
	s_barrier_wait -1
	s_barrier_signal -1
	s_barrier_wait -1
	s_and_saveexec_b32 s9, s4
; %bb.423:                              ;   in Loop: Header=BB4_3 Depth=1
	ds_store_b32 v38, v20 offset:12160
; %bb.424:                              ;   in Loop: Header=BB4_3 Depth=1
	s_or_b32 exec_lo, exec_lo, s9
	s_wait_dscnt 0x0
	s_barrier_signal -1
	s_barrier_wait -1
	s_barrier_signal -1
	s_barrier_wait -1
	s_and_saveexec_b32 s9, s17
	s_cbranch_execz .LBB4_426
; %bb.425:                              ;   in Loop: Header=BB4_3 Depth=1
	ds_load_b64 v[20:21], v5 offset:10136
	ds_load_b32 v23, v5 offset:9880
	s_wait_dscnt 0x0
	v_mul_f32_e32 v21, v23, v21
	s_delay_alu instid0(VALU_DEP_1)
	v_mul_f32_e32 v20, v20, v21
	ds_store_b32 v5, v20 offset:10136
.LBB4_426:                              ;   in Loop: Header=BB4_3 Depth=1
	s_or_b32 exec_lo, exec_lo, s9
	v_mov_b32_e32 v20, 0
	s_wait_dscnt 0x0
	s_barrier_signal -1
	s_barrier_wait -1
	global_wb scope:SCOPE_DEV
	s_wait_storecnt 0x0
	global_inv scope:SCOPE_DEV
	s_and_saveexec_b32 s9, s2
	s_cbranch_execz .LBB4_430
; %bb.427:                              ;   in Loop: Header=BB4_3 Depth=1
	ds_load_b32 v20, v28 offset:9872
	ds_load_b32 v21, v27 offset:10136
	s_wait_dscnt 0x0
	v_fma_f32 v20, v20, v21, 0
	s_and_saveexec_b32 s10, s18
	s_cbranch_execz .LBB4_429
; %bb.428:                              ;   in Loop: Header=BB4_3 Depth=1
	ds_load_b32 v21, v29 offset:10128
	ds_load_b32 v23, v5 offset:10140
	s_wait_dscnt 0x0
	v_fmac_f32_e32 v20, v21, v23
.LBB4_429:                              ;   in Loop: Header=BB4_3 Depth=1
	s_or_b32 exec_lo, exec_lo, s10
.LBB4_430:                              ;   in Loop: Header=BB4_3 Depth=1
	s_delay_alu instid0(SALU_CYCLE_1)
	s_or_b32 exec_lo, exec_lo, s9
	s_and_saveexec_b32 s9, vcc_hi
	s_cbranch_execz .LBB4_432
; %bb.431:                              ;   in Loop: Header=BB4_3 Depth=1
	ds_load_b32 v21, v5 offset:9620
	s_wait_dscnt 0x0
	v_mul_f32_e32 v20, v20, v21
	s_delay_alu instid0(VALU_DEP_1)
	v_xor_b32_e32 v21, 0x80000000, v20
	ds_store_b32 v3, v21
.LBB4_432:                              ;   in Loop: Header=BB4_3 Depth=1
	s_or_b32 exec_lo, exec_lo, s9
	s_wait_loadcnt_dscnt 0x0
	s_barrier_signal -1
	s_barrier_wait -1
	s_and_saveexec_b32 s9, s38
	s_cbranch_execz .LBB4_434
; %bb.433:                              ;   in Loop: Header=BB4_3 Depth=1
	ds_load_b32 v21, v5 offset:9616
	ds_load_b32 v23, v3
	s_wait_dscnt 0x0
	v_fma_f32 v20, -v21, v23, v20
.LBB4_434:                              ;   in Loop: Header=BB4_3 Depth=1
	s_or_b32 exec_lo, exec_lo, s9
	s_barrier_signal -1
	s_barrier_wait -1
	s_and_saveexec_b32 s9, s38
	s_cbranch_execz .LBB4_436
; %bb.435:                              ;   in Loop: Header=BB4_3 Depth=1
	ds_load_b32 v21, v5 offset:9360
	s_wait_dscnt 0x0
	v_mul_f32_e32 v20, v20, v21
	s_delay_alu instid0(VALU_DEP_1)
	v_xor_b32_e32 v21, 0x80000000, v20
	ds_store_b32 v3, v21
.LBB4_436:                              ;   in Loop: Header=BB4_3 Depth=1
	s_or_b32 exec_lo, exec_lo, s9
	s_wait_dscnt 0x0
	s_barrier_signal -1
	s_barrier_wait -1
	s_barrier_signal -1
	s_barrier_wait -1
	s_and_saveexec_b32 s9, s2
; %bb.437:                              ;   in Loop: Header=BB4_3 Depth=1
	ds_store_b32 v30, v20 offset:10128
; %bb.438:                              ;   in Loop: Header=BB4_3 Depth=1
	s_or_b32 exec_lo, exec_lo, s9
	s_wait_dscnt 0x0
	s_barrier_signal -1
	s_barrier_wait -1
	s_barrier_signal -1
	s_barrier_wait -1
	s_and_saveexec_b32 s9, s17
	s_cbranch_execz .LBB4_440
; %bb.439:                              ;   in Loop: Header=BB4_3 Depth=1
	ds_load_b64 v[20:21], v5 offset:9616
	ds_load_b32 v23, v5 offset:9360
	s_wait_dscnt 0x0
	v_mul_f32_e32 v21, v23, v21
	s_delay_alu instid0(VALU_DEP_1)
	v_mul_f32_e32 v20, v20, v21
	ds_store_b32 v5, v20 offset:9616
.LBB4_440:                              ;   in Loop: Header=BB4_3 Depth=1
	s_or_b32 exec_lo, exec_lo, s9
	v_mov_b32_e32 v20, 0
	s_wait_dscnt 0x0
	s_barrier_signal -1
	s_barrier_wait -1
	global_wb scope:SCOPE_DEV
	s_wait_storecnt 0x0
	global_inv scope:SCOPE_DEV
	s_and_saveexec_b32 s9, s3
	s_cbranch_execz .LBB4_446
; %bb.441:                              ;   in Loop: Header=BB4_3 Depth=1
	ds_load_b32 v20, v33 offset:9344
	ds_load_b32 v21, v32 offset:10128
	s_wait_dscnt 0x0
	v_fma_f32 v20, v20, v21, 0
	s_and_saveexec_b32 s10, s19
	s_cbranch_execnz .LBB4_1167
; %bb.442:                              ;   in Loop: Header=BB4_3 Depth=1
	s_or_b32 exec_lo, exec_lo, s10
	s_and_saveexec_b32 s10, s20
	s_cbranch_execnz .LBB4_1168
.LBB4_443:                              ;   in Loop: Header=BB4_3 Depth=1
	s_or_b32 exec_lo, exec_lo, s10
	s_and_saveexec_b32 s10, s2
	s_cbranch_execz .LBB4_445
.LBB4_444:                              ;   in Loop: Header=BB4_3 Depth=1
	ds_load_b32 v21, v29 offset:10112
	ds_load_b32 v23, v5 offset:10140
	s_wait_dscnt 0x0
	v_fmac_f32_e32 v20, v21, v23
.LBB4_445:                              ;   in Loop: Header=BB4_3 Depth=1
	s_or_b32 exec_lo, exec_lo, s10
.LBB4_446:                              ;   in Loop: Header=BB4_3 Depth=1
	s_delay_alu instid0(SALU_CYCLE_1)
	s_or_b32 exec_lo, exec_lo, s9
	s_and_saveexec_b32 s9, s39
	s_cbranch_execz .LBB4_448
; %bb.447:                              ;   in Loop: Header=BB4_3 Depth=1
	ds_load_b32 v21, v5 offset:9100
	s_wait_dscnt 0x0
	v_mul_f32_e32 v20, v20, v21
	s_delay_alu instid0(VALU_DEP_1)
	v_xor_b32_e32 v21, 0x80000000, v20
	ds_store_b32 v31, v21
.LBB4_448:                              ;   in Loop: Header=BB4_3 Depth=1
	s_or_b32 exec_lo, exec_lo, s9
	s_wait_loadcnt_dscnt 0x0
	s_barrier_signal -1
	s_barrier_wait -1
	s_and_saveexec_b32 s9, s40
	s_cbranch_execz .LBB4_450
; %bb.449:                              ;   in Loop: Header=BB4_3 Depth=1
	ds_load_b32 v21, v33 offset:9088
	ds_load_b32 v23, v31
	s_wait_dscnt 0x0
	v_fma_f32 v20, -v21, v23, v20
.LBB4_450:                              ;   in Loop: Header=BB4_3 Depth=1
	s_or_b32 exec_lo, exec_lo, s9
	s_barrier_signal -1
	s_barrier_wait -1
	s_and_saveexec_b32 s9, s41
	s_cbranch_execz .LBB4_452
; %bb.451:                              ;   in Loop: Header=BB4_3 Depth=1
	ds_load_b32 v21, v5 offset:8840
	s_wait_dscnt 0x0
	v_mul_f32_e32 v20, v20, v21
	s_delay_alu instid0(VALU_DEP_1)
	v_xor_b32_e32 v21, 0x80000000, v20
	ds_store_b32 v31, v21
.LBB4_452:                              ;   in Loop: Header=BB4_3 Depth=1
	s_or_b32 exec_lo, exec_lo, s9
	s_wait_dscnt 0x0
	s_barrier_signal -1
	s_barrier_wait -1
	s_and_saveexec_b32 s9, s42
	s_cbranch_execz .LBB4_454
; %bb.453:                              ;   in Loop: Header=BB4_3 Depth=1
	ds_load_b32 v21, v33 offset:8832
	ds_load_b32 v23, v31
	s_wait_dscnt 0x0
	v_fma_f32 v20, -v21, v23, v20
.LBB4_454:                              ;   in Loop: Header=BB4_3 Depth=1
	s_or_b32 exec_lo, exec_lo, s9
	s_barrier_signal -1
	s_barrier_wait -1
	s_and_saveexec_b32 s9, s43
	s_cbranch_execz .LBB4_456
; %bb.455:                              ;   in Loop: Header=BB4_3 Depth=1
	ds_load_b32 v21, v5 offset:8580
	s_wait_dscnt 0x0
	v_mul_f32_e32 v20, v20, v21
	s_delay_alu instid0(VALU_DEP_1)
	v_xor_b32_e32 v21, 0x80000000, v20
	ds_store_b32 v31, v21
.LBB4_456:                              ;   in Loop: Header=BB4_3 Depth=1
	s_or_b32 exec_lo, exec_lo, s9
	s_wait_dscnt 0x0
	;; [unrolled: 25-line block ×3, first 2 shown]
	s_barrier_signal -1
	s_barrier_wait -1
	s_barrier_signal -1
	s_barrier_wait -1
	s_and_saveexec_b32 s9, s3
; %bb.461:                              ;   in Loop: Header=BB4_3 Depth=1
	ds_store_b32 v34, v20 offset:10112
; %bb.462:                              ;   in Loop: Header=BB4_3 Depth=1
	s_or_b32 exec_lo, exec_lo, s9
	s_wait_dscnt 0x0
	s_barrier_signal -1
	s_barrier_wait -1
	s_barrier_signal -1
	s_barrier_wait -1
	s_and_saveexec_b32 s9, s17
	s_cbranch_execz .LBB4_464
; %bb.463:                              ;   in Loop: Header=BB4_3 Depth=1
	ds_load_b64 v[20:21], v5 offset:9096
	ds_load_b32 v23, v5 offset:8840
	s_wait_dscnt 0x0
	v_mul_f32_e32 v21, v23, v21
	s_delay_alu instid0(VALU_DEP_1)
	v_mul_f32_e32 v20, v20, v21
	ds_store_b32 v5, v20 offset:9096
.LBB4_464:                              ;   in Loop: Header=BB4_3 Depth=1
	s_or_b32 exec_lo, exec_lo, s9
	v_mov_b32_e32 v20, 0
	s_wait_dscnt 0x0
	s_barrier_signal -1
	s_barrier_wait -1
	global_wb scope:SCOPE_DEV
	s_wait_storecnt 0x0
	global_inv scope:SCOPE_DEV
	s_and_saveexec_b32 s9, s2
	s_cbranch_execz .LBB4_468
; %bb.465:                              ;   in Loop: Header=BB4_3 Depth=1
	ds_load_b32 v20, v28 offset:8832
	ds_load_b32 v21, v27 offset:9096
	s_wait_dscnt 0x0
	v_fma_f32 v20, v20, v21, 0
	s_and_saveexec_b32 s10, s18
	s_cbranch_execz .LBB4_467
; %bb.466:                              ;   in Loop: Header=BB4_3 Depth=1
	ds_load_b32 v21, v29 offset:9088
	ds_load_b32 v23, v5 offset:9100
	s_wait_dscnt 0x0
	v_fmac_f32_e32 v20, v21, v23
.LBB4_467:                              ;   in Loop: Header=BB4_3 Depth=1
	s_or_b32 exec_lo, exec_lo, s10
.LBB4_468:                              ;   in Loop: Header=BB4_3 Depth=1
	s_delay_alu instid0(SALU_CYCLE_1)
	s_or_b32 exec_lo, exec_lo, s9
	s_and_saveexec_b32 s9, vcc_hi
	s_cbranch_execz .LBB4_470
; %bb.469:                              ;   in Loop: Header=BB4_3 Depth=1
	ds_load_b32 v21, v5 offset:8580
	s_wait_dscnt 0x0
	v_mul_f32_e32 v20, v20, v21
	s_delay_alu instid0(VALU_DEP_1)
	v_xor_b32_e32 v21, 0x80000000, v20
	ds_store_b32 v3, v21
.LBB4_470:                              ;   in Loop: Header=BB4_3 Depth=1
	s_or_b32 exec_lo, exec_lo, s9
	s_wait_loadcnt_dscnt 0x0
	s_barrier_signal -1
	s_barrier_wait -1
	s_and_saveexec_b32 s9, s38
	s_cbranch_execz .LBB4_472
; %bb.471:                              ;   in Loop: Header=BB4_3 Depth=1
	ds_load_b32 v21, v5 offset:8576
	ds_load_b32 v23, v3
	s_wait_dscnt 0x0
	v_fma_f32 v20, -v21, v23, v20
.LBB4_472:                              ;   in Loop: Header=BB4_3 Depth=1
	s_or_b32 exec_lo, exec_lo, s9
	s_barrier_signal -1
	s_barrier_wait -1
	s_and_saveexec_b32 s9, s38
	s_cbranch_execz .LBB4_474
; %bb.473:                              ;   in Loop: Header=BB4_3 Depth=1
	ds_load_b32 v21, v5 offset:8320
	s_wait_dscnt 0x0
	v_mul_f32_e32 v20, v20, v21
	s_delay_alu instid0(VALU_DEP_1)
	v_xor_b32_e32 v21, 0x80000000, v20
	ds_store_b32 v3, v21
.LBB4_474:                              ;   in Loop: Header=BB4_3 Depth=1
	s_or_b32 exec_lo, exec_lo, s9
	s_wait_dscnt 0x0
	s_barrier_signal -1
	s_barrier_wait -1
	s_barrier_signal -1
	s_barrier_wait -1
	s_and_saveexec_b32 s9, s2
; %bb.475:                              ;   in Loop: Header=BB4_3 Depth=1
	ds_store_b32 v30, v20 offset:9088
; %bb.476:                              ;   in Loop: Header=BB4_3 Depth=1
	s_or_b32 exec_lo, exec_lo, s9
	s_wait_dscnt 0x0
	s_barrier_signal -1
	s_barrier_wait -1
	s_barrier_signal -1
	s_barrier_wait -1
	s_and_saveexec_b32 s9, s17
	s_cbranch_execz .LBB4_478
; %bb.477:                              ;   in Loop: Header=BB4_3 Depth=1
	ds_load_b64 v[20:21], v5 offset:8576
	ds_load_b32 v23, v5 offset:8320
	s_wait_dscnt 0x0
	v_mul_f32_e32 v21, v23, v21
	s_delay_alu instid0(VALU_DEP_1)
	v_mul_f32_e32 v20, v20, v21
	ds_store_b32 v5, v20 offset:8576
.LBB4_478:                              ;   in Loop: Header=BB4_3 Depth=1
	s_or_b32 exec_lo, exec_lo, s9
	v_mov_b32_e32 v20, 0
	s_wait_dscnt 0x0
	s_barrier_signal -1
	s_barrier_wait -1
	global_wb scope:SCOPE_DEV
	s_wait_storecnt 0x0
	global_inv scope:SCOPE_DEV
	s_and_saveexec_b32 s98, s6
	s_cbranch_execz .LBB4_540
; %bb.479:                              ;   in Loop: Header=BB4_3 Depth=1
	ds_load_b32 v20, v45 offset:8192
	ds_load_b32 v21, v44 offset:16256
	s_wait_dscnt 0x0
	v_fma_f32 v20, v20, v21, 0
	s_mov_b32 s9, exec_lo
	v_readlane_b32 s10, v69, 8
	s_and_b32 s10, s9, s10
	s_delay_alu instid0(SALU_CYCLE_1)
	s_mov_b32 exec_lo, s10
	s_cbranch_execz .LBB4_481
; %bb.480:                              ;   in Loop: Header=BB4_3 Depth=1
	ds_load_b32 v21, v45 offset:8448
	ds_load_b32 v23, v44 offset:16260
	s_wait_dscnt 0x0
	v_fmac_f32_e32 v20, v21, v23
.LBB4_481:                              ;   in Loop: Header=BB4_3 Depth=1
	s_or_b32 exec_lo, exec_lo, s9
	s_delay_alu instid0(SALU_CYCLE_1) | instskip(SKIP_2) | instid1(SALU_CYCLE_1)
	s_mov_b32 s9, exec_lo
	v_readlane_b32 s10, v69, 9
	s_and_b32 s10, s9, s10
	s_mov_b32 exec_lo, s10
	s_cbranch_execz .LBB4_483
; %bb.482:                              ;   in Loop: Header=BB4_3 Depth=1
	ds_load_b32 v21, v45 offset:8704
	ds_load_b32 v23, v44 offset:16264
	s_wait_dscnt 0x0
	v_fmac_f32_e32 v20, v21, v23
.LBB4_483:                              ;   in Loop: Header=BB4_3 Depth=1
	s_or_b32 exec_lo, exec_lo, s9
	s_delay_alu instid0(SALU_CYCLE_1) | instskip(SKIP_2) | instid1(SALU_CYCLE_1)
	s_mov_b32 s9, exec_lo
	v_readlane_b32 s10, v69, 10
	s_and_b32 s10, s9, s10
	;; [unrolled: 13-line block ×22, first 2 shown]
	s_mov_b32 exec_lo, s10
	s_cbranch_execz .LBB4_525
; %bb.524:                              ;   in Loop: Header=BB4_3 Depth=1
	ds_load_b32 v21, v45 offset:14080
	ds_load_b32 v23, v44 offset:16348
	s_wait_dscnt 0x0
	v_fmac_f32_e32 v20, v21, v23
.LBB4_525:                              ;   in Loop: Header=BB4_3 Depth=1
	s_or_b32 exec_lo, exec_lo, s9
	s_and_saveexec_b32 s9, s5
	s_cbranch_execz .LBB4_527
; %bb.526:                              ;   in Loop: Header=BB4_3 Depth=1
	ds_load_b32 v21, v45 offset:14336
	ds_load_b32 v23, v44 offset:16352
	s_wait_dscnt 0x0
	v_fmac_f32_e32 v20, v21, v23
.LBB4_527:                              ;   in Loop: Header=BB4_3 Depth=1
	s_or_b32 exec_lo, exec_lo, s9
	s_delay_alu instid0(SALU_CYCLE_1) | instskip(SKIP_2) | instid1(SALU_CYCLE_1)
	s_mov_b32 s9, exec_lo
	v_readlane_b32 s10, v70, 30
	s_and_b32 s10, s9, s10
	s_mov_b32 exec_lo, s10
	s_cbranch_execz .LBB4_529
; %bb.528:                              ;   in Loop: Header=BB4_3 Depth=1
	ds_load_b32 v21, v45 offset:14592
	ds_load_b32 v23, v44 offset:16356
	s_wait_dscnt 0x0
	v_fmac_f32_e32 v20, v21, v23
.LBB4_529:                              ;   in Loop: Header=BB4_3 Depth=1
	s_or_b32 exec_lo, exec_lo, s9
	s_delay_alu instid0(SALU_CYCLE_1) | instskip(SKIP_2) | instid1(SALU_CYCLE_1)
	s_mov_b32 s9, exec_lo
	v_readlane_b32 s10, v69, 0
	s_and_b32 s10, s9, s10
	s_mov_b32 exec_lo, s10
	;; [unrolled: 13-line block ×5, first 2 shown]
	s_cbranch_execnz .LBB4_1169
; %bb.536:                              ;   in Loop: Header=BB4_3 Depth=1
	s_or_b32 exec_lo, exec_lo, s9
	s_and_saveexec_b32 s9, s4
	s_cbranch_execnz .LBB4_1170
.LBB4_537:                              ;   in Loop: Header=BB4_3 Depth=1
	s_or_b32 exec_lo, exec_lo, s9
	s_and_saveexec_b32 s9, s24
	s_cbranch_execz .LBB4_539
.LBB4_538:                              ;   in Loop: Header=BB4_3 Depth=1
	ds_load_b32 v21, v29 offset:16128
	ds_load_b32 v23, v5 offset:16380
	s_wait_dscnt 0x0
	v_fmac_f32_e32 v20, v21, v23
.LBB4_539:                              ;   in Loop: Header=BB4_3 Depth=1
	s_or_b32 exec_lo, exec_lo, s9
.LBB4_540:                              ;   in Loop: Header=BB4_3 Depth=1
	s_delay_alu instid0(SALU_CYCLE_1) | instskip(NEXT) | instid1(SALU_CYCLE_1)
	s_or_b32 exec_lo, exec_lo, s98
	s_mov_b32 s9, exec_lo
	v_readlane_b32 s10, v72, 10
	s_and_b32 s10, s9, s10
	s_delay_alu instid0(SALU_CYCLE_1)
	s_mov_b32 exec_lo, s10
	s_cbranch_execz .LBB4_542
; %bb.541:                              ;   in Loop: Header=BB4_3 Depth=1
	ds_load_b32 v21, v5 offset:8060
	s_wait_dscnt 0x0
	v_mul_f32_e32 v20, v20, v21
	s_delay_alu instid0(VALU_DEP_1)
	v_xor_b32_e32 v21, 0x80000000, v20
	ds_store_b32 v43, v21
.LBB4_542:                              ;   in Loop: Header=BB4_3 Depth=1
	s_or_b32 exec_lo, exec_lo, s9
	s_wait_loadcnt_dscnt 0x0
	s_barrier_signal -1
	s_barrier_wait -1
	s_mov_b32 s9, exec_lo
	v_readlane_b32 s10, v72, 11
	s_and_b32 s10, s9, s10
	s_delay_alu instid0(SALU_CYCLE_1)
	s_mov_b32 exec_lo, s10
	s_cbranch_execz .LBB4_544
; %bb.543:                              ;   in Loop: Header=BB4_3 Depth=1
	ds_load_b32 v21, v45 offset:7936
	ds_load_b32 v23, v43
	s_wait_dscnt 0x0
	v_fma_f32 v20, -v21, v23, v20
.LBB4_544:                              ;   in Loop: Header=BB4_3 Depth=1
	s_or_b32 exec_lo, exec_lo, s9
	s_barrier_signal -1
	s_barrier_wait -1
	s_mov_b32 s9, exec_lo
	v_readlane_b32 s10, v72, 12
	s_and_b32 s10, s9, s10
	s_delay_alu instid0(SALU_CYCLE_1)
	s_mov_b32 exec_lo, s10
	s_cbranch_execz .LBB4_546
; %bb.545:                              ;   in Loop: Header=BB4_3 Depth=1
	ds_load_b32 v21, v5 offset:7800
	s_wait_dscnt 0x0
	v_mul_f32_e32 v20, v20, v21
	s_delay_alu instid0(VALU_DEP_1)
	v_xor_b32_e32 v21, 0x80000000, v20
	ds_store_b32 v43, v21
.LBB4_546:                              ;   in Loop: Header=BB4_3 Depth=1
	s_or_b32 exec_lo, exec_lo, s9
	s_wait_dscnt 0x0
	s_barrier_signal -1
	s_barrier_wait -1
	s_mov_b32 s9, exec_lo
	v_readlane_b32 s10, v72, 13
	s_and_b32 s10, s9, s10
	s_delay_alu instid0(SALU_CYCLE_1)
	s_mov_b32 exec_lo, s10
	s_cbranch_execz .LBB4_548
; %bb.547:                              ;   in Loop: Header=BB4_3 Depth=1
	ds_load_b32 v21, v45 offset:7680
	ds_load_b32 v23, v43
	s_wait_dscnt 0x0
	v_fma_f32 v20, -v21, v23, v20
.LBB4_548:                              ;   in Loop: Header=BB4_3 Depth=1
	s_or_b32 exec_lo, exec_lo, s9
	s_barrier_signal -1
	s_barrier_wait -1
	s_mov_b32 s9, exec_lo
	v_readlane_b32 s10, v72, 14
	s_and_b32 s10, s9, s10
	s_delay_alu instid0(SALU_CYCLE_1)
	s_mov_b32 exec_lo, s10
	s_cbranch_execz .LBB4_550
; %bb.549:                              ;   in Loop: Header=BB4_3 Depth=1
	ds_load_b32 v21, v5 offset:7540
	s_wait_dscnt 0x0
	v_mul_f32_e32 v20, v20, v21
	s_delay_alu instid0(VALU_DEP_1)
	v_xor_b32_e32 v21, 0x80000000, v20
	ds_store_b32 v43, v21
.LBB4_550:                              ;   in Loop: Header=BB4_3 Depth=1
	s_or_b32 exec_lo, exec_lo, s9
	s_wait_dscnt 0x0
	;; [unrolled: 33-line block ×30, first 2 shown]
	s_barrier_signal -1
	s_barrier_wait -1
	s_and_saveexec_b32 s9, s13
	s_cbranch_execz .LBB4_664
; %bb.663:                              ;   in Loop: Header=BB4_3 Depth=1
	ds_load_b32 v21, v5 offset:256
	ds_load_b32 v23, v43
	s_wait_dscnt 0x0
	v_fma_f32 v20, -v21, v23, v20
.LBB4_664:                              ;   in Loop: Header=BB4_3 Depth=1
	s_or_b32 exec_lo, exec_lo, s9
	s_barrier_signal -1
	s_barrier_wait -1
	s_and_saveexec_b32 s9, s13
	s_cbranch_execz .LBB4_666
; %bb.665:                              ;   in Loop: Header=BB4_3 Depth=1
	ds_load_b32 v21, v5
	s_wait_dscnt 0x0
	v_mul_f32_e32 v20, v20, v21
	s_delay_alu instid0(VALU_DEP_1)
	v_xor_b32_e32 v21, 0x80000000, v20
	ds_store_b32 v43, v21
.LBB4_666:                              ;   in Loop: Header=BB4_3 Depth=1
	s_or_b32 exec_lo, exec_lo, s9
	s_wait_dscnt 0x0
	s_barrier_signal -1
	s_barrier_wait -1
	s_barrier_signal -1
	s_barrier_wait -1
	s_and_saveexec_b32 s9, s6
; %bb.667:                              ;   in Loop: Header=BB4_3 Depth=1
	ds_store_b32 v46, v20 offset:16128
; %bb.668:                              ;   in Loop: Header=BB4_3 Depth=1
	s_or_b32 exec_lo, exec_lo, s9
	s_wait_dscnt 0x0
	s_barrier_signal -1
	s_barrier_wait -1
	s_barrier_signal -1
	s_barrier_wait -1
	s_and_saveexec_b32 s9, s17
	s_cbranch_execz .LBB4_670
; %bb.669:                              ;   in Loop: Header=BB4_3 Depth=1
	ds_load_b64 v[20:21], v5 offset:8056
	ds_load_b32 v23, v5 offset:7800
	s_wait_dscnt 0x0
	v_mul_f32_e32 v21, v23, v21
	s_delay_alu instid0(VALU_DEP_1)
	v_mul_f32_e32 v20, v20, v21
	ds_store_b32 v5, v20 offset:8056
.LBB4_670:                              ;   in Loop: Header=BB4_3 Depth=1
	s_or_b32 exec_lo, exec_lo, s9
	v_mov_b32_e32 v20, 0
	s_wait_dscnt 0x0
	s_barrier_signal -1
	s_barrier_wait -1
	global_wb scope:SCOPE_DEV
	s_wait_storecnt 0x0
	global_inv scope:SCOPE_DEV
	s_and_saveexec_b32 s9, s2
	s_cbranch_execz .LBB4_674
; %bb.671:                              ;   in Loop: Header=BB4_3 Depth=1
	ds_load_b32 v20, v28 offset:7792
	ds_load_b32 v21, v27 offset:8056
	s_wait_dscnt 0x0
	v_fma_f32 v20, v20, v21, 0
	s_and_saveexec_b32 s10, s18
	s_cbranch_execz .LBB4_673
; %bb.672:                              ;   in Loop: Header=BB4_3 Depth=1
	ds_load_b32 v21, v29 offset:8048
	ds_load_b32 v23, v5 offset:8060
	s_wait_dscnt 0x0
	v_fmac_f32_e32 v20, v21, v23
.LBB4_673:                              ;   in Loop: Header=BB4_3 Depth=1
	s_or_b32 exec_lo, exec_lo, s10
.LBB4_674:                              ;   in Loop: Header=BB4_3 Depth=1
	s_delay_alu instid0(SALU_CYCLE_1)
	s_or_b32 exec_lo, exec_lo, s9
	s_and_saveexec_b32 s9, vcc_hi
	s_cbranch_execz .LBB4_676
; %bb.675:                              ;   in Loop: Header=BB4_3 Depth=1
	ds_load_b32 v21, v5 offset:7540
	s_wait_dscnt 0x0
	v_mul_f32_e32 v20, v20, v21
	s_delay_alu instid0(VALU_DEP_1)
	v_xor_b32_e32 v21, 0x80000000, v20
	ds_store_b32 v3, v21
.LBB4_676:                              ;   in Loop: Header=BB4_3 Depth=1
	s_or_b32 exec_lo, exec_lo, s9
	s_wait_loadcnt_dscnt 0x0
	s_barrier_signal -1
	s_barrier_wait -1
	s_and_saveexec_b32 s9, s38
	s_cbranch_execz .LBB4_678
; %bb.677:                              ;   in Loop: Header=BB4_3 Depth=1
	ds_load_b32 v21, v5 offset:7536
	ds_load_b32 v23, v3
	s_wait_dscnt 0x0
	v_fma_f32 v20, -v21, v23, v20
.LBB4_678:                              ;   in Loop: Header=BB4_3 Depth=1
	s_or_b32 exec_lo, exec_lo, s9
	s_barrier_signal -1
	s_barrier_wait -1
	s_and_saveexec_b32 s9, s38
	s_cbranch_execz .LBB4_680
; %bb.679:                              ;   in Loop: Header=BB4_3 Depth=1
	ds_load_b32 v21, v5 offset:7280
	s_wait_dscnt 0x0
	v_mul_f32_e32 v20, v20, v21
	s_delay_alu instid0(VALU_DEP_1)
	v_xor_b32_e32 v21, 0x80000000, v20
	ds_store_b32 v3, v21
.LBB4_680:                              ;   in Loop: Header=BB4_3 Depth=1
	s_or_b32 exec_lo, exec_lo, s9
	s_wait_dscnt 0x0
	s_barrier_signal -1
	s_barrier_wait -1
	s_barrier_signal -1
	s_barrier_wait -1
	s_and_saveexec_b32 s9, s2
; %bb.681:                              ;   in Loop: Header=BB4_3 Depth=1
	ds_store_b32 v30, v20 offset:8048
; %bb.682:                              ;   in Loop: Header=BB4_3 Depth=1
	s_or_b32 exec_lo, exec_lo, s9
	s_wait_dscnt 0x0
	s_barrier_signal -1
	s_barrier_wait -1
	s_barrier_signal -1
	s_barrier_wait -1
	s_and_saveexec_b32 s9, s17
	s_cbranch_execz .LBB4_684
; %bb.683:                              ;   in Loop: Header=BB4_3 Depth=1
	ds_load_b64 v[20:21], v5 offset:7536
	ds_load_b32 v23, v5 offset:7280
	s_wait_dscnt 0x0
	v_mul_f32_e32 v21, v23, v21
	s_delay_alu instid0(VALU_DEP_1)
	v_mul_f32_e32 v20, v20, v21
	ds_store_b32 v5, v20 offset:7536
.LBB4_684:                              ;   in Loop: Header=BB4_3 Depth=1
	s_or_b32 exec_lo, exec_lo, s9
	v_mov_b32_e32 v20, 0
	s_wait_dscnt 0x0
	s_barrier_signal -1
	s_barrier_wait -1
	global_wb scope:SCOPE_DEV
	s_wait_storecnt 0x0
	global_inv scope:SCOPE_DEV
	s_and_saveexec_b32 s9, s3
	s_cbranch_execz .LBB4_690
; %bb.685:                              ;   in Loop: Header=BB4_3 Depth=1
	ds_load_b32 v20, v33 offset:7264
	ds_load_b32 v21, v32 offset:8048
	s_wait_dscnt 0x0
	v_fma_f32 v20, v20, v21, 0
	s_and_saveexec_b32 s10, s19
	s_cbranch_execnz .LBB4_1171
; %bb.686:                              ;   in Loop: Header=BB4_3 Depth=1
	s_or_b32 exec_lo, exec_lo, s10
	s_and_saveexec_b32 s10, s20
	s_cbranch_execnz .LBB4_1172
.LBB4_687:                              ;   in Loop: Header=BB4_3 Depth=1
	s_or_b32 exec_lo, exec_lo, s10
	s_and_saveexec_b32 s10, s2
	s_cbranch_execz .LBB4_689
.LBB4_688:                              ;   in Loop: Header=BB4_3 Depth=1
	ds_load_b32 v21, v29 offset:8032
	ds_load_b32 v23, v5 offset:8060
	s_wait_dscnt 0x0
	v_fmac_f32_e32 v20, v21, v23
.LBB4_689:                              ;   in Loop: Header=BB4_3 Depth=1
	s_or_b32 exec_lo, exec_lo, s10
.LBB4_690:                              ;   in Loop: Header=BB4_3 Depth=1
	s_delay_alu instid0(SALU_CYCLE_1)
	s_or_b32 exec_lo, exec_lo, s9
	s_and_saveexec_b32 s9, s39
	s_cbranch_execz .LBB4_692
; %bb.691:                              ;   in Loop: Header=BB4_3 Depth=1
	ds_load_b32 v21, v5 offset:7020
	s_wait_dscnt 0x0
	v_mul_f32_e32 v20, v20, v21
	s_delay_alu instid0(VALU_DEP_1)
	v_xor_b32_e32 v21, 0x80000000, v20
	ds_store_b32 v31, v21
.LBB4_692:                              ;   in Loop: Header=BB4_3 Depth=1
	s_or_b32 exec_lo, exec_lo, s9
	s_wait_loadcnt_dscnt 0x0
	s_barrier_signal -1
	s_barrier_wait -1
	s_and_saveexec_b32 s9, s40
	s_cbranch_execz .LBB4_694
; %bb.693:                              ;   in Loop: Header=BB4_3 Depth=1
	ds_load_b32 v21, v33 offset:7008
	ds_load_b32 v23, v31
	s_wait_dscnt 0x0
	v_fma_f32 v20, -v21, v23, v20
.LBB4_694:                              ;   in Loop: Header=BB4_3 Depth=1
	s_or_b32 exec_lo, exec_lo, s9
	s_barrier_signal -1
	s_barrier_wait -1
	s_and_saveexec_b32 s9, s41
	s_cbranch_execz .LBB4_696
; %bb.695:                              ;   in Loop: Header=BB4_3 Depth=1
	ds_load_b32 v21, v5 offset:6760
	s_wait_dscnt 0x0
	v_mul_f32_e32 v20, v20, v21
	s_delay_alu instid0(VALU_DEP_1)
	v_xor_b32_e32 v21, 0x80000000, v20
	ds_store_b32 v31, v21
.LBB4_696:                              ;   in Loop: Header=BB4_3 Depth=1
	s_or_b32 exec_lo, exec_lo, s9
	s_wait_dscnt 0x0
	s_barrier_signal -1
	s_barrier_wait -1
	s_and_saveexec_b32 s9, s42
	s_cbranch_execz .LBB4_698
; %bb.697:                              ;   in Loop: Header=BB4_3 Depth=1
	ds_load_b32 v21, v33 offset:6752
	ds_load_b32 v23, v31
	s_wait_dscnt 0x0
	v_fma_f32 v20, -v21, v23, v20
.LBB4_698:                              ;   in Loop: Header=BB4_3 Depth=1
	s_or_b32 exec_lo, exec_lo, s9
	s_barrier_signal -1
	s_barrier_wait -1
	s_and_saveexec_b32 s9, s43
	s_cbranch_execz .LBB4_700
; %bb.699:                              ;   in Loop: Header=BB4_3 Depth=1
	ds_load_b32 v21, v5 offset:6500
	s_wait_dscnt 0x0
	v_mul_f32_e32 v20, v20, v21
	s_delay_alu instid0(VALU_DEP_1)
	v_xor_b32_e32 v21, 0x80000000, v20
	ds_store_b32 v31, v21
.LBB4_700:                              ;   in Loop: Header=BB4_3 Depth=1
	s_or_b32 exec_lo, exec_lo, s9
	s_wait_dscnt 0x0
	;; [unrolled: 25-line block ×3, first 2 shown]
	s_barrier_signal -1
	s_barrier_wait -1
	s_barrier_signal -1
	s_barrier_wait -1
	s_and_saveexec_b32 s9, s3
; %bb.705:                              ;   in Loop: Header=BB4_3 Depth=1
	ds_store_b32 v34, v20 offset:8032
; %bb.706:                              ;   in Loop: Header=BB4_3 Depth=1
	s_or_b32 exec_lo, exec_lo, s9
	s_wait_dscnt 0x0
	s_barrier_signal -1
	s_barrier_wait -1
	s_barrier_signal -1
	s_barrier_wait -1
	s_and_saveexec_b32 s9, s17
	s_cbranch_execz .LBB4_708
; %bb.707:                              ;   in Loop: Header=BB4_3 Depth=1
	ds_load_b64 v[20:21], v5 offset:7016
	ds_load_b32 v23, v5 offset:6760
	s_wait_dscnt 0x0
	v_mul_f32_e32 v21, v23, v21
	s_delay_alu instid0(VALU_DEP_1)
	v_mul_f32_e32 v20, v20, v21
	ds_store_b32 v5, v20 offset:7016
.LBB4_708:                              ;   in Loop: Header=BB4_3 Depth=1
	s_or_b32 exec_lo, exec_lo, s9
	v_mov_b32_e32 v20, 0
	s_wait_dscnt 0x0
	s_barrier_signal -1
	s_barrier_wait -1
	global_wb scope:SCOPE_DEV
	s_wait_storecnt 0x0
	global_inv scope:SCOPE_DEV
	s_and_saveexec_b32 s9, s2
	s_cbranch_execz .LBB4_712
; %bb.709:                              ;   in Loop: Header=BB4_3 Depth=1
	ds_load_b32 v20, v28 offset:6752
	ds_load_b32 v21, v27 offset:7016
	s_wait_dscnt 0x0
	v_fma_f32 v20, v20, v21, 0
	s_and_saveexec_b32 s10, s18
	s_cbranch_execz .LBB4_711
; %bb.710:                              ;   in Loop: Header=BB4_3 Depth=1
	ds_load_b32 v21, v29 offset:7008
	ds_load_b32 v23, v5 offset:7020
	s_wait_dscnt 0x0
	v_fmac_f32_e32 v20, v21, v23
.LBB4_711:                              ;   in Loop: Header=BB4_3 Depth=1
	s_or_b32 exec_lo, exec_lo, s10
.LBB4_712:                              ;   in Loop: Header=BB4_3 Depth=1
	s_delay_alu instid0(SALU_CYCLE_1)
	s_or_b32 exec_lo, exec_lo, s9
	s_and_saveexec_b32 s9, vcc_hi
	s_cbranch_execz .LBB4_714
; %bb.713:                              ;   in Loop: Header=BB4_3 Depth=1
	ds_load_b32 v21, v5 offset:6500
	s_wait_dscnt 0x0
	v_mul_f32_e32 v20, v20, v21
	s_delay_alu instid0(VALU_DEP_1)
	v_xor_b32_e32 v21, 0x80000000, v20
	ds_store_b32 v3, v21
.LBB4_714:                              ;   in Loop: Header=BB4_3 Depth=1
	s_or_b32 exec_lo, exec_lo, s9
	s_wait_loadcnt_dscnt 0x0
	s_barrier_signal -1
	s_barrier_wait -1
	s_and_saveexec_b32 s9, s38
	s_cbranch_execz .LBB4_716
; %bb.715:                              ;   in Loop: Header=BB4_3 Depth=1
	ds_load_b32 v21, v5 offset:6496
	ds_load_b32 v23, v3
	s_wait_dscnt 0x0
	v_fma_f32 v20, -v21, v23, v20
.LBB4_716:                              ;   in Loop: Header=BB4_3 Depth=1
	s_or_b32 exec_lo, exec_lo, s9
	s_barrier_signal -1
	s_barrier_wait -1
	s_and_saveexec_b32 s9, s38
	s_cbranch_execz .LBB4_718
; %bb.717:                              ;   in Loop: Header=BB4_3 Depth=1
	ds_load_b32 v21, v5 offset:6240
	s_wait_dscnt 0x0
	v_mul_f32_e32 v20, v20, v21
	s_delay_alu instid0(VALU_DEP_1)
	v_xor_b32_e32 v21, 0x80000000, v20
	ds_store_b32 v3, v21
.LBB4_718:                              ;   in Loop: Header=BB4_3 Depth=1
	s_or_b32 exec_lo, exec_lo, s9
	s_wait_dscnt 0x0
	s_barrier_signal -1
	s_barrier_wait -1
	s_barrier_signal -1
	s_barrier_wait -1
	s_and_saveexec_b32 s9, s2
; %bb.719:                              ;   in Loop: Header=BB4_3 Depth=1
	ds_store_b32 v30, v20 offset:7008
; %bb.720:                              ;   in Loop: Header=BB4_3 Depth=1
	s_or_b32 exec_lo, exec_lo, s9
	s_wait_dscnt 0x0
	s_barrier_signal -1
	s_barrier_wait -1
	s_barrier_signal -1
	s_barrier_wait -1
	s_and_saveexec_b32 s9, s17
	s_cbranch_execz .LBB4_722
; %bb.721:                              ;   in Loop: Header=BB4_3 Depth=1
	ds_load_b64 v[20:21], v5 offset:6496
	ds_load_b32 v23, v5 offset:6240
	s_wait_dscnt 0x0
	v_mul_f32_e32 v21, v23, v21
	s_delay_alu instid0(VALU_DEP_1)
	v_mul_f32_e32 v20, v20, v21
	ds_store_b32 v5, v20 offset:6496
.LBB4_722:                              ;   in Loop: Header=BB4_3 Depth=1
	s_or_b32 exec_lo, exec_lo, s9
	v_mov_b32_e32 v20, 0
	s_wait_dscnt 0x0
	s_barrier_signal -1
	s_barrier_wait -1
	global_wb scope:SCOPE_DEV
	s_wait_storecnt 0x0
	global_inv scope:SCOPE_DEV
	s_and_saveexec_b32 s9, s4
	s_cbranch_execz .LBB4_732
; %bb.723:                              ;   in Loop: Header=BB4_3 Depth=1
	ds_load_b32 v20, v37 offset:6208
	ds_load_b32 v21, v36 offset:8032
	s_wait_dscnt 0x0
	v_fma_f32 v20, v20, v21, 0
	s_and_saveexec_b32 s10, s21
	s_cbranch_execnz .LBB4_1173
; %bb.724:                              ;   in Loop: Header=BB4_3 Depth=1
	s_or_b32 exec_lo, exec_lo, s10
	s_and_saveexec_b32 s10, s22
	s_cbranch_execnz .LBB4_1174
.LBB4_725:                              ;   in Loop: Header=BB4_3 Depth=1
	s_or_b32 exec_lo, exec_lo, s10
	s_and_saveexec_b32 s10, s23
	s_cbranch_execnz .LBB4_1175
.LBB4_726:                              ;   in Loop: Header=BB4_3 Depth=1
	s_or_b32 exec_lo, exec_lo, s10
	s_and_saveexec_b32 s10, s24
	s_cbranch_execnz .LBB4_1176
.LBB4_727:                              ;   in Loop: Header=BB4_3 Depth=1
	s_or_b32 exec_lo, exec_lo, s10
	s_and_saveexec_b32 s10, s25
	s_cbranch_execnz .LBB4_1177
.LBB4_728:                              ;   in Loop: Header=BB4_3 Depth=1
	s_or_b32 exec_lo, exec_lo, s10
	s_and_saveexec_b32 s10, s3
	s_cbranch_execnz .LBB4_1178
.LBB4_729:                              ;   in Loop: Header=BB4_3 Depth=1
	s_or_b32 exec_lo, exec_lo, s10
	s_and_saveexec_b32 s10, s20
	s_cbranch_execz .LBB4_731
.LBB4_730:                              ;   in Loop: Header=BB4_3 Depth=1
	ds_load_b32 v21, v29 offset:8000
	ds_load_b32 v23, v5 offset:8060
	s_wait_dscnt 0x0
	v_fmac_f32_e32 v20, v21, v23
.LBB4_731:                              ;   in Loop: Header=BB4_3 Depth=1
	s_or_b32 exec_lo, exec_lo, s10
.LBB4_732:                              ;   in Loop: Header=BB4_3 Depth=1
	s_delay_alu instid0(SALU_CYCLE_1)
	s_or_b32 exec_lo, exec_lo, s9
	s_and_saveexec_b32 s9, s45
	s_cbranch_execz .LBB4_734
; %bb.733:                              ;   in Loop: Header=BB4_3 Depth=1
	ds_load_b32 v21, v5 offset:5980
	s_wait_dscnt 0x0
	v_mul_f32_e32 v20, v20, v21
	s_delay_alu instid0(VALU_DEP_1)
	v_xor_b32_e32 v21, 0x80000000, v20
	ds_store_b32 v35, v21
.LBB4_734:                              ;   in Loop: Header=BB4_3 Depth=1
	s_or_b32 exec_lo, exec_lo, s9
	s_wait_loadcnt_dscnt 0x0
	s_barrier_signal -1
	s_barrier_wait -1
	s_and_saveexec_b32 s9, s46
	s_cbranch_execz .LBB4_736
; %bb.735:                              ;   in Loop: Header=BB4_3 Depth=1
	ds_load_b32 v21, v37 offset:5952
	ds_load_b32 v23, v35
	s_wait_dscnt 0x0
	v_fma_f32 v20, -v21, v23, v20
.LBB4_736:                              ;   in Loop: Header=BB4_3 Depth=1
	s_or_b32 exec_lo, exec_lo, s9
	s_barrier_signal -1
	s_barrier_wait -1
	s_and_saveexec_b32 s9, s47
	s_cbranch_execz .LBB4_738
; %bb.737:                              ;   in Loop: Header=BB4_3 Depth=1
	ds_load_b32 v21, v5 offset:5720
	s_wait_dscnt 0x0
	v_mul_f32_e32 v20, v20, v21
	s_delay_alu instid0(VALU_DEP_1)
	v_xor_b32_e32 v21, 0x80000000, v20
	ds_store_b32 v35, v21
.LBB4_738:                              ;   in Loop: Header=BB4_3 Depth=1
	s_or_b32 exec_lo, exec_lo, s9
	s_wait_dscnt 0x0
	s_barrier_signal -1
	s_barrier_wait -1
	s_and_saveexec_b32 s9, s48
	s_cbranch_execz .LBB4_740
; %bb.739:                              ;   in Loop: Header=BB4_3 Depth=1
	ds_load_b32 v21, v37 offset:5696
	ds_load_b32 v23, v35
	s_wait_dscnt 0x0
	v_fma_f32 v20, -v21, v23, v20
.LBB4_740:                              ;   in Loop: Header=BB4_3 Depth=1
	s_or_b32 exec_lo, exec_lo, s9
	s_barrier_signal -1
	s_barrier_wait -1
	s_and_saveexec_b32 s9, s49
	s_cbranch_execz .LBB4_742
; %bb.741:                              ;   in Loop: Header=BB4_3 Depth=1
	ds_load_b32 v21, v5 offset:5460
	s_wait_dscnt 0x0
	v_mul_f32_e32 v20, v20, v21
	s_delay_alu instid0(VALU_DEP_1)
	v_xor_b32_e32 v21, 0x80000000, v20
	ds_store_b32 v35, v21
.LBB4_742:                              ;   in Loop: Header=BB4_3 Depth=1
	s_or_b32 exec_lo, exec_lo, s9
	s_wait_dscnt 0x0
	;; [unrolled: 25-line block ×7, first 2 shown]
	s_barrier_signal -1
	s_barrier_wait -1
	s_barrier_signal -1
	s_barrier_wait -1
	s_and_saveexec_b32 s9, s4
; %bb.763:                              ;   in Loop: Header=BB4_3 Depth=1
	ds_store_b32 v38, v20 offset:8000
; %bb.764:                              ;   in Loop: Header=BB4_3 Depth=1
	s_or_b32 exec_lo, exec_lo, s9
	s_wait_dscnt 0x0
	s_barrier_signal -1
	s_barrier_wait -1
	s_barrier_signal -1
	s_barrier_wait -1
	s_and_saveexec_b32 s9, s17
	s_cbranch_execz .LBB4_766
; %bb.765:                              ;   in Loop: Header=BB4_3 Depth=1
	ds_load_b64 v[20:21], v5 offset:5976
	ds_load_b32 v23, v5 offset:5720
	s_wait_dscnt 0x0
	v_mul_f32_e32 v21, v23, v21
	s_delay_alu instid0(VALU_DEP_1)
	v_mul_f32_e32 v20, v20, v21
	ds_store_b32 v5, v20 offset:5976
.LBB4_766:                              ;   in Loop: Header=BB4_3 Depth=1
	s_or_b32 exec_lo, exec_lo, s9
	v_mov_b32_e32 v20, 0
	s_wait_dscnt 0x0
	s_barrier_signal -1
	s_barrier_wait -1
	global_wb scope:SCOPE_DEV
	s_wait_storecnt 0x0
	global_inv scope:SCOPE_DEV
	s_and_saveexec_b32 s9, s2
	s_cbranch_execz .LBB4_770
; %bb.767:                              ;   in Loop: Header=BB4_3 Depth=1
	ds_load_b32 v20, v28 offset:5712
	ds_load_b32 v21, v27 offset:5976
	s_wait_dscnt 0x0
	v_fma_f32 v20, v20, v21, 0
	s_and_saveexec_b32 s10, s18
	s_cbranch_execz .LBB4_769
; %bb.768:                              ;   in Loop: Header=BB4_3 Depth=1
	ds_load_b32 v21, v29 offset:5968
	ds_load_b32 v23, v5 offset:5980
	s_wait_dscnt 0x0
	v_fmac_f32_e32 v20, v21, v23
.LBB4_769:                              ;   in Loop: Header=BB4_3 Depth=1
	s_or_b32 exec_lo, exec_lo, s10
.LBB4_770:                              ;   in Loop: Header=BB4_3 Depth=1
	s_delay_alu instid0(SALU_CYCLE_1)
	s_or_b32 exec_lo, exec_lo, s9
	s_and_saveexec_b32 s9, vcc_hi
	s_cbranch_execz .LBB4_772
; %bb.771:                              ;   in Loop: Header=BB4_3 Depth=1
	ds_load_b32 v21, v5 offset:5460
	s_wait_dscnt 0x0
	v_mul_f32_e32 v20, v20, v21
	s_delay_alu instid0(VALU_DEP_1)
	v_xor_b32_e32 v21, 0x80000000, v20
	ds_store_b32 v3, v21
.LBB4_772:                              ;   in Loop: Header=BB4_3 Depth=1
	s_or_b32 exec_lo, exec_lo, s9
	s_wait_loadcnt_dscnt 0x0
	s_barrier_signal -1
	s_barrier_wait -1
	s_and_saveexec_b32 s9, s38
	s_cbranch_execz .LBB4_774
; %bb.773:                              ;   in Loop: Header=BB4_3 Depth=1
	ds_load_b32 v21, v5 offset:5456
	ds_load_b32 v23, v3
	s_wait_dscnt 0x0
	v_fma_f32 v20, -v21, v23, v20
.LBB4_774:                              ;   in Loop: Header=BB4_3 Depth=1
	s_or_b32 exec_lo, exec_lo, s9
	s_barrier_signal -1
	s_barrier_wait -1
	s_and_saveexec_b32 s9, s38
	s_cbranch_execz .LBB4_776
; %bb.775:                              ;   in Loop: Header=BB4_3 Depth=1
	ds_load_b32 v21, v5 offset:5200
	s_wait_dscnt 0x0
	v_mul_f32_e32 v20, v20, v21
	s_delay_alu instid0(VALU_DEP_1)
	v_xor_b32_e32 v21, 0x80000000, v20
	ds_store_b32 v3, v21
.LBB4_776:                              ;   in Loop: Header=BB4_3 Depth=1
	s_or_b32 exec_lo, exec_lo, s9
	s_wait_dscnt 0x0
	s_barrier_signal -1
	s_barrier_wait -1
	s_barrier_signal -1
	s_barrier_wait -1
	s_and_saveexec_b32 s9, s2
; %bb.777:                              ;   in Loop: Header=BB4_3 Depth=1
	ds_store_b32 v30, v20 offset:5968
; %bb.778:                              ;   in Loop: Header=BB4_3 Depth=1
	s_or_b32 exec_lo, exec_lo, s9
	s_wait_dscnt 0x0
	s_barrier_signal -1
	s_barrier_wait -1
	s_barrier_signal -1
	s_barrier_wait -1
	s_and_saveexec_b32 s9, s17
	s_cbranch_execz .LBB4_780
; %bb.779:                              ;   in Loop: Header=BB4_3 Depth=1
	ds_load_b64 v[20:21], v5 offset:5456
	ds_load_b32 v23, v5 offset:5200
	s_wait_dscnt 0x0
	v_mul_f32_e32 v21, v23, v21
	s_delay_alu instid0(VALU_DEP_1)
	v_mul_f32_e32 v20, v20, v21
	ds_store_b32 v5, v20 offset:5456
.LBB4_780:                              ;   in Loop: Header=BB4_3 Depth=1
	s_or_b32 exec_lo, exec_lo, s9
	v_mov_b32_e32 v20, 0
	s_wait_dscnt 0x0
	s_barrier_signal -1
	s_barrier_wait -1
	global_wb scope:SCOPE_DEV
	s_wait_storecnt 0x0
	global_inv scope:SCOPE_DEV
	s_and_saveexec_b32 s9, s3
	s_cbranch_execz .LBB4_786
; %bb.781:                              ;   in Loop: Header=BB4_3 Depth=1
	ds_load_b32 v20, v33 offset:5184
	ds_load_b32 v21, v32 offset:5968
	s_wait_dscnt 0x0
	v_fma_f32 v20, v20, v21, 0
	s_and_saveexec_b32 s10, s19
	s_cbranch_execnz .LBB4_1179
; %bb.782:                              ;   in Loop: Header=BB4_3 Depth=1
	s_or_b32 exec_lo, exec_lo, s10
	s_and_saveexec_b32 s10, s20
	s_cbranch_execnz .LBB4_1180
.LBB4_783:                              ;   in Loop: Header=BB4_3 Depth=1
	s_or_b32 exec_lo, exec_lo, s10
	s_and_saveexec_b32 s10, s2
	s_cbranch_execz .LBB4_785
.LBB4_784:                              ;   in Loop: Header=BB4_3 Depth=1
	ds_load_b32 v21, v29 offset:5952
	ds_load_b32 v23, v5 offset:5980
	s_wait_dscnt 0x0
	v_fmac_f32_e32 v20, v21, v23
.LBB4_785:                              ;   in Loop: Header=BB4_3 Depth=1
	s_or_b32 exec_lo, exec_lo, s10
.LBB4_786:                              ;   in Loop: Header=BB4_3 Depth=1
	s_delay_alu instid0(SALU_CYCLE_1)
	s_or_b32 exec_lo, exec_lo, s9
	s_and_saveexec_b32 s9, s39
	s_cbranch_execz .LBB4_788
; %bb.787:                              ;   in Loop: Header=BB4_3 Depth=1
	ds_load_b32 v21, v5 offset:4940
	s_wait_dscnt 0x0
	v_mul_f32_e32 v20, v20, v21
	s_delay_alu instid0(VALU_DEP_1)
	v_xor_b32_e32 v21, 0x80000000, v20
	ds_store_b32 v31, v21
.LBB4_788:                              ;   in Loop: Header=BB4_3 Depth=1
	s_or_b32 exec_lo, exec_lo, s9
	s_wait_loadcnt_dscnt 0x0
	s_barrier_signal -1
	s_barrier_wait -1
	s_and_saveexec_b32 s9, s40
	s_cbranch_execz .LBB4_790
; %bb.789:                              ;   in Loop: Header=BB4_3 Depth=1
	ds_load_b32 v21, v33 offset:4928
	ds_load_b32 v23, v31
	s_wait_dscnt 0x0
	v_fma_f32 v20, -v21, v23, v20
.LBB4_790:                              ;   in Loop: Header=BB4_3 Depth=1
	s_or_b32 exec_lo, exec_lo, s9
	s_barrier_signal -1
	s_barrier_wait -1
	s_and_saveexec_b32 s9, s41
	s_cbranch_execz .LBB4_792
; %bb.791:                              ;   in Loop: Header=BB4_3 Depth=1
	ds_load_b32 v21, v5 offset:4680
	s_wait_dscnt 0x0
	v_mul_f32_e32 v20, v20, v21
	s_delay_alu instid0(VALU_DEP_1)
	v_xor_b32_e32 v21, 0x80000000, v20
	ds_store_b32 v31, v21
.LBB4_792:                              ;   in Loop: Header=BB4_3 Depth=1
	s_or_b32 exec_lo, exec_lo, s9
	s_wait_dscnt 0x0
	s_barrier_signal -1
	s_barrier_wait -1
	s_and_saveexec_b32 s9, s42
	s_cbranch_execz .LBB4_794
; %bb.793:                              ;   in Loop: Header=BB4_3 Depth=1
	ds_load_b32 v21, v33 offset:4672
	ds_load_b32 v23, v31
	s_wait_dscnt 0x0
	v_fma_f32 v20, -v21, v23, v20
.LBB4_794:                              ;   in Loop: Header=BB4_3 Depth=1
	s_or_b32 exec_lo, exec_lo, s9
	s_barrier_signal -1
	s_barrier_wait -1
	s_and_saveexec_b32 s9, s43
	s_cbranch_execz .LBB4_796
; %bb.795:                              ;   in Loop: Header=BB4_3 Depth=1
	ds_load_b32 v21, v5 offset:4420
	s_wait_dscnt 0x0
	v_mul_f32_e32 v20, v20, v21
	s_delay_alu instid0(VALU_DEP_1)
	v_xor_b32_e32 v21, 0x80000000, v20
	ds_store_b32 v31, v21
.LBB4_796:                              ;   in Loop: Header=BB4_3 Depth=1
	s_or_b32 exec_lo, exec_lo, s9
	s_wait_dscnt 0x0
	;; [unrolled: 25-line block ×3, first 2 shown]
	s_barrier_signal -1
	s_barrier_wait -1
	s_barrier_signal -1
	s_barrier_wait -1
	s_and_saveexec_b32 s9, s3
; %bb.801:                              ;   in Loop: Header=BB4_3 Depth=1
	ds_store_b32 v34, v20 offset:5952
; %bb.802:                              ;   in Loop: Header=BB4_3 Depth=1
	s_or_b32 exec_lo, exec_lo, s9
	s_wait_dscnt 0x0
	s_barrier_signal -1
	s_barrier_wait -1
	s_barrier_signal -1
	s_barrier_wait -1
	s_and_saveexec_b32 s9, s17
	s_cbranch_execz .LBB4_804
; %bb.803:                              ;   in Loop: Header=BB4_3 Depth=1
	ds_load_b64 v[20:21], v5 offset:4936
	ds_load_b32 v23, v5 offset:4680
	s_wait_dscnt 0x0
	v_mul_f32_e32 v21, v23, v21
	s_delay_alu instid0(VALU_DEP_1)
	v_mul_f32_e32 v20, v20, v21
	ds_store_b32 v5, v20 offset:4936
.LBB4_804:                              ;   in Loop: Header=BB4_3 Depth=1
	s_or_b32 exec_lo, exec_lo, s9
	v_mov_b32_e32 v20, 0
	s_wait_dscnt 0x0
	s_barrier_signal -1
	s_barrier_wait -1
	global_wb scope:SCOPE_DEV
	s_wait_storecnt 0x0
	global_inv scope:SCOPE_DEV
	s_and_saveexec_b32 s9, s2
	s_cbranch_execz .LBB4_808
; %bb.805:                              ;   in Loop: Header=BB4_3 Depth=1
	ds_load_b32 v20, v28 offset:4672
	ds_load_b32 v21, v27 offset:4936
	s_wait_dscnt 0x0
	v_fma_f32 v20, v20, v21, 0
	s_and_saveexec_b32 s10, s18
	s_cbranch_execz .LBB4_807
; %bb.806:                              ;   in Loop: Header=BB4_3 Depth=1
	ds_load_b32 v21, v29 offset:4928
	ds_load_b32 v23, v5 offset:4940
	s_wait_dscnt 0x0
	v_fmac_f32_e32 v20, v21, v23
.LBB4_807:                              ;   in Loop: Header=BB4_3 Depth=1
	s_or_b32 exec_lo, exec_lo, s10
.LBB4_808:                              ;   in Loop: Header=BB4_3 Depth=1
	s_delay_alu instid0(SALU_CYCLE_1)
	s_or_b32 exec_lo, exec_lo, s9
	s_and_saveexec_b32 s9, vcc_hi
	s_cbranch_execz .LBB4_810
; %bb.809:                              ;   in Loop: Header=BB4_3 Depth=1
	ds_load_b32 v21, v5 offset:4420
	s_wait_dscnt 0x0
	v_mul_f32_e32 v20, v20, v21
	s_delay_alu instid0(VALU_DEP_1)
	v_xor_b32_e32 v21, 0x80000000, v20
	ds_store_b32 v3, v21
.LBB4_810:                              ;   in Loop: Header=BB4_3 Depth=1
	s_or_b32 exec_lo, exec_lo, s9
	s_wait_loadcnt_dscnt 0x0
	s_barrier_signal -1
	s_barrier_wait -1
	s_and_saveexec_b32 s9, s38
	s_cbranch_execz .LBB4_812
; %bb.811:                              ;   in Loop: Header=BB4_3 Depth=1
	ds_load_b32 v21, v5 offset:4416
	ds_load_b32 v23, v3
	s_wait_dscnt 0x0
	v_fma_f32 v20, -v21, v23, v20
.LBB4_812:                              ;   in Loop: Header=BB4_3 Depth=1
	s_or_b32 exec_lo, exec_lo, s9
	s_barrier_signal -1
	s_barrier_wait -1
	s_and_saveexec_b32 s9, s38
	s_cbranch_execz .LBB4_814
; %bb.813:                              ;   in Loop: Header=BB4_3 Depth=1
	ds_load_b32 v21, v5 offset:4160
	s_wait_dscnt 0x0
	v_mul_f32_e32 v20, v20, v21
	s_delay_alu instid0(VALU_DEP_1)
	v_xor_b32_e32 v21, 0x80000000, v20
	ds_store_b32 v3, v21
.LBB4_814:                              ;   in Loop: Header=BB4_3 Depth=1
	s_or_b32 exec_lo, exec_lo, s9
	s_wait_dscnt 0x0
	s_barrier_signal -1
	s_barrier_wait -1
	s_barrier_signal -1
	s_barrier_wait -1
	s_and_saveexec_b32 s9, s2
; %bb.815:                              ;   in Loop: Header=BB4_3 Depth=1
	ds_store_b32 v30, v20 offset:4928
; %bb.816:                              ;   in Loop: Header=BB4_3 Depth=1
	s_or_b32 exec_lo, exec_lo, s9
	s_wait_dscnt 0x0
	s_barrier_signal -1
	s_barrier_wait -1
	s_barrier_signal -1
	s_barrier_wait -1
	s_and_saveexec_b32 s9, s17
	s_cbranch_execz .LBB4_818
; %bb.817:                              ;   in Loop: Header=BB4_3 Depth=1
	ds_load_b64 v[20:21], v5 offset:4416
	ds_load_b32 v23, v5 offset:4160
	s_wait_dscnt 0x0
	v_mul_f32_e32 v21, v23, v21
	s_delay_alu instid0(VALU_DEP_1)
	v_mul_f32_e32 v20, v20, v21
	ds_store_b32 v5, v20 offset:4416
.LBB4_818:                              ;   in Loop: Header=BB4_3 Depth=1
	s_or_b32 exec_lo, exec_lo, s9
	v_mov_b32_e32 v20, 0
	s_wait_dscnt 0x0
	s_barrier_signal -1
	s_barrier_wait -1
	global_wb scope:SCOPE_DEV
	s_wait_storecnt 0x0
	global_inv scope:SCOPE_DEV
	s_and_saveexec_b32 s9, s5
	s_cbranch_execz .LBB4_846
; %bb.819:                              ;   in Loop: Header=BB4_3 Depth=1
	ds_load_b32 v20, v41 offset:4096
	ds_load_b32 v21, v40 offset:8000
	s_wait_dscnt 0x0
	v_fma_f32 v20, v20, v21, 0
	s_mov_b32 s10, exec_lo
	v_readlane_b32 s11, v70, 29
	s_and_b32 s11, s10, s11
	s_delay_alu instid0(SALU_CYCLE_1)
	s_mov_b32 exec_lo, s11
	s_cbranch_execz .LBB4_821
; %bb.820:                              ;   in Loop: Header=BB4_3 Depth=1
	ds_load_b32 v21, v41 offset:4352
	ds_load_b32 v23, v40 offset:8004
	s_wait_dscnt 0x0
	v_fmac_f32_e32 v20, v21, v23
.LBB4_821:                              ;   in Loop: Header=BB4_3 Depth=1
	s_or_b32 exec_lo, exec_lo, s10
	s_delay_alu instid0(SALU_CYCLE_1) | instskip(SKIP_2) | instid1(SALU_CYCLE_1)
	s_mov_b32 s10, exec_lo
	v_readlane_b32 s11, v70, 30
	s_and_b32 s11, s10, s11
	s_mov_b32 exec_lo, s11
	s_cbranch_execz .LBB4_823
; %bb.822:                              ;   in Loop: Header=BB4_3 Depth=1
	ds_load_b32 v21, v41 offset:4608
	ds_load_b32 v23, v40 offset:8008
	s_wait_dscnt 0x0
	v_fmac_f32_e32 v20, v21, v23
.LBB4_823:                              ;   in Loop: Header=BB4_3 Depth=1
	s_or_b32 exec_lo, exec_lo, s10
	s_delay_alu instid0(SALU_CYCLE_1) | instskip(SKIP_2) | instid1(SALU_CYCLE_1)
	s_mov_b32 s10, exec_lo
	v_readlane_b32 s11, v70, 31
	s_and_b32 s11, s10, s11
	;; [unrolled: 13-line block ×10, first 2 shown]
	s_mov_b32 exec_lo, s11
	s_cbranch_execnz .LBB4_1181
; %bb.840:                              ;   in Loop: Header=BB4_3 Depth=1
	s_or_b32 exec_lo, exec_lo, s10
	s_and_saveexec_b32 s10, s4
	s_cbranch_execnz .LBB4_1182
.LBB4_841:                              ;   in Loop: Header=BB4_3 Depth=1
	s_or_b32 exec_lo, exec_lo, s10
	s_and_saveexec_b32 s10, s22
	s_cbranch_execnz .LBB4_1183
.LBB4_842:                              ;   in Loop: Header=BB4_3 Depth=1
	s_or_b32 exec_lo, exec_lo, s10
	s_and_saveexec_b32 s10, s24
	s_cbranch_execnz .LBB4_1184
.LBB4_843:                              ;   in Loop: Header=BB4_3 Depth=1
	s_or_b32 exec_lo, exec_lo, s10
	s_and_saveexec_b32 s10, s3
	s_cbranch_execz .LBB4_845
.LBB4_844:                              ;   in Loop: Header=BB4_3 Depth=1
	ds_load_b32 v21, v29 offset:7936
	ds_load_b32 v23, v5 offset:8060
	s_wait_dscnt 0x0
	v_fmac_f32_e32 v20, v21, v23
.LBB4_845:                              ;   in Loop: Header=BB4_3 Depth=1
	s_or_b32 exec_lo, exec_lo, s10
.LBB4_846:                              ;   in Loop: Header=BB4_3 Depth=1
	s_delay_alu instid0(SALU_CYCLE_1) | instskip(NEXT) | instid1(SALU_CYCLE_1)
	s_or_b32 exec_lo, exec_lo, s9
	s_mov_b32 s9, exec_lo
	v_readlane_b32 s10, v72, 6
	s_and_b32 s10, s9, s10
	s_delay_alu instid0(SALU_CYCLE_1)
	s_mov_b32 exec_lo, s10
	s_cbranch_execz .LBB4_848
; %bb.847:                              ;   in Loop: Header=BB4_3 Depth=1
	ds_load_b32 v21, v5 offset:3900
	s_wait_dscnt 0x0
	v_mul_f32_e32 v20, v20, v21
	s_delay_alu instid0(VALU_DEP_1)
	v_xor_b32_e32 v21, 0x80000000, v20
	ds_store_b32 v39, v21
.LBB4_848:                              ;   in Loop: Header=BB4_3 Depth=1
	s_or_b32 exec_lo, exec_lo, s9
	s_wait_loadcnt_dscnt 0x0
	s_barrier_signal -1
	s_barrier_wait -1
	s_mov_b32 s9, exec_lo
	v_readlane_b32 s10, v72, 7
	s_and_b32 s10, s9, s10
	s_delay_alu instid0(SALU_CYCLE_1)
	s_mov_b32 exec_lo, s10
	s_cbranch_execz .LBB4_850
; %bb.849:                              ;   in Loop: Header=BB4_3 Depth=1
	ds_load_b32 v21, v41 offset:3840
	ds_load_b32 v23, v39
	s_wait_dscnt 0x0
	v_fma_f32 v20, -v21, v23, v20
.LBB4_850:                              ;   in Loop: Header=BB4_3 Depth=1
	s_or_b32 exec_lo, exec_lo, s9
	s_barrier_signal -1
	s_barrier_wait -1
	s_mov_b32 s9, exec_lo
	v_readlane_b32 s10, v72, 8
	s_and_b32 s10, s9, s10
	s_delay_alu instid0(SALU_CYCLE_1)
	s_mov_b32 exec_lo, s10
	s_cbranch_execz .LBB4_852
; %bb.851:                              ;   in Loop: Header=BB4_3 Depth=1
	ds_load_b32 v21, v5 offset:3640
	s_wait_dscnt 0x0
	v_mul_f32_e32 v20, v20, v21
	s_delay_alu instid0(VALU_DEP_1)
	v_xor_b32_e32 v21, 0x80000000, v20
	ds_store_b32 v39, v21
.LBB4_852:                              ;   in Loop: Header=BB4_3 Depth=1
	s_or_b32 exec_lo, exec_lo, s9
	s_wait_dscnt 0x0
	s_barrier_signal -1
	s_barrier_wait -1
	s_mov_b32 s9, exec_lo
	v_readlane_b32 s10, v72, 9
	s_and_b32 s10, s9, s10
	s_delay_alu instid0(SALU_CYCLE_1)
	s_mov_b32 exec_lo, s10
	s_cbranch_execz .LBB4_854
; %bb.853:                              ;   in Loop: Header=BB4_3 Depth=1
	ds_load_b32 v21, v41 offset:3584
	ds_load_b32 v23, v39
	s_wait_dscnt 0x0
	v_fma_f32 v20, -v21, v23, v20
.LBB4_854:                              ;   in Loop: Header=BB4_3 Depth=1
	s_or_b32 exec_lo, exec_lo, s9
	s_barrier_signal -1
	s_barrier_wait -1
	s_and_saveexec_b32 s9, s69
	s_cbranch_execz .LBB4_856
; %bb.855:                              ;   in Loop: Header=BB4_3 Depth=1
	ds_load_b32 v21, v5 offset:3380
	s_wait_dscnt 0x0
	v_mul_f32_e32 v20, v20, v21
	s_delay_alu instid0(VALU_DEP_1)
	v_xor_b32_e32 v21, 0x80000000, v20
	ds_store_b32 v39, v21
.LBB4_856:                              ;   in Loop: Header=BB4_3 Depth=1
	s_or_b32 exec_lo, exec_lo, s9
	s_wait_dscnt 0x0
	s_barrier_signal -1
	s_barrier_wait -1
	s_and_saveexec_b32 s9, s70
	s_cbranch_execz .LBB4_858
; %bb.857:                              ;   in Loop: Header=BB4_3 Depth=1
	ds_load_b32 v21, v41 offset:3328
	ds_load_b32 v23, v39
	s_wait_dscnt 0x0
	v_fma_f32 v20, -v21, v23, v20
.LBB4_858:                              ;   in Loop: Header=BB4_3 Depth=1
	s_or_b32 exec_lo, exec_lo, s9
	s_barrier_signal -1
	s_barrier_wait -1
	s_and_saveexec_b32 s9, s14
	s_cbranch_execz .LBB4_860
; %bb.859:                              ;   in Loop: Header=BB4_3 Depth=1
	ds_load_b32 v21, v5 offset:3120
	s_wait_dscnt 0x0
	v_mul_f32_e32 v20, v20, v21
	s_delay_alu instid0(VALU_DEP_1)
	v_xor_b32_e32 v21, 0x80000000, v20
	ds_store_b32 v39, v21
.LBB4_860:                              ;   in Loop: Header=BB4_3 Depth=1
	s_or_b32 exec_lo, exec_lo, s9
	s_wait_dscnt 0x0
	s_barrier_signal -1
	s_barrier_wait -1
	s_and_saveexec_b32 s9, s15
	;; [unrolled: 25-line block ×13, first 2 shown]
	s_cbranch_execz .LBB4_906
; %bb.905:                              ;   in Loop: Header=BB4_3 Depth=1
	ds_load_b32 v21, v5 offset:256
	ds_load_b32 v23, v39
	s_wait_dscnt 0x0
	v_fma_f32 v20, -v21, v23, v20
.LBB4_906:                              ;   in Loop: Header=BB4_3 Depth=1
	s_or_b32 exec_lo, exec_lo, s9
	s_barrier_signal -1
	s_barrier_wait -1
	s_and_saveexec_b32 s9, s100
	s_cbranch_execz .LBB4_908
; %bb.907:                              ;   in Loop: Header=BB4_3 Depth=1
	ds_load_b32 v21, v5
	s_wait_dscnt 0x0
	v_mul_f32_e32 v20, v20, v21
	s_delay_alu instid0(VALU_DEP_1)
	v_xor_b32_e32 v21, 0x80000000, v20
	ds_store_b32 v39, v21
.LBB4_908:                              ;   in Loop: Header=BB4_3 Depth=1
	s_or_b32 exec_lo, exec_lo, s9
	s_wait_dscnt 0x0
	s_barrier_signal -1
	s_barrier_wait -1
	s_barrier_signal -1
	s_barrier_wait -1
	s_and_saveexec_b32 s9, s5
; %bb.909:                              ;   in Loop: Header=BB4_3 Depth=1
	ds_store_b32 v42, v20 offset:7936
; %bb.910:                              ;   in Loop: Header=BB4_3 Depth=1
	s_or_b32 exec_lo, exec_lo, s9
	s_wait_dscnt 0x0
	s_barrier_signal -1
	s_barrier_wait -1
	s_barrier_signal -1
	s_barrier_wait -1
	s_and_saveexec_b32 s9, s17
	s_cbranch_execz .LBB4_912
; %bb.911:                              ;   in Loop: Header=BB4_3 Depth=1
	ds_load_b64 v[20:21], v5 offset:3896
	ds_load_b32 v23, v5 offset:3640
	s_wait_dscnt 0x0
	v_mul_f32_e32 v21, v23, v21
	s_delay_alu instid0(VALU_DEP_1)
	v_mul_f32_e32 v20, v20, v21
	ds_store_b32 v5, v20 offset:3896
.LBB4_912:                              ;   in Loop: Header=BB4_3 Depth=1
	s_or_b32 exec_lo, exec_lo, s9
	v_mov_b32_e32 v20, 0
	s_wait_dscnt 0x0
	s_barrier_signal -1
	s_barrier_wait -1
	global_wb scope:SCOPE_DEV
	s_wait_storecnt 0x0
	global_inv scope:SCOPE_DEV
	s_and_saveexec_b32 s9, s2
	s_cbranch_execz .LBB4_916
; %bb.913:                              ;   in Loop: Header=BB4_3 Depth=1
	ds_load_b32 v20, v28 offset:3632
	ds_load_b32 v21, v27 offset:3896
	s_wait_dscnt 0x0
	v_fma_f32 v20, v20, v21, 0
	s_and_saveexec_b32 s10, s18
	s_cbranch_execz .LBB4_915
; %bb.914:                              ;   in Loop: Header=BB4_3 Depth=1
	ds_load_b32 v21, v29 offset:3888
	ds_load_b32 v23, v5 offset:3900
	s_wait_dscnt 0x0
	v_fmac_f32_e32 v20, v21, v23
.LBB4_915:                              ;   in Loop: Header=BB4_3 Depth=1
	s_or_b32 exec_lo, exec_lo, s10
.LBB4_916:                              ;   in Loop: Header=BB4_3 Depth=1
	s_delay_alu instid0(SALU_CYCLE_1)
	s_or_b32 exec_lo, exec_lo, s9
	s_and_saveexec_b32 s9, vcc_hi
	s_cbranch_execz .LBB4_918
; %bb.917:                              ;   in Loop: Header=BB4_3 Depth=1
	ds_load_b32 v21, v5 offset:3380
	s_wait_dscnt 0x0
	v_mul_f32_e32 v20, v20, v21
	s_delay_alu instid0(VALU_DEP_1)
	v_xor_b32_e32 v21, 0x80000000, v20
	ds_store_b32 v3, v21
.LBB4_918:                              ;   in Loop: Header=BB4_3 Depth=1
	s_or_b32 exec_lo, exec_lo, s9
	s_wait_loadcnt_dscnt 0x0
	s_barrier_signal -1
	s_barrier_wait -1
	s_and_saveexec_b32 s9, s38
	s_cbranch_execz .LBB4_920
; %bb.919:                              ;   in Loop: Header=BB4_3 Depth=1
	ds_load_b32 v21, v5 offset:3376
	ds_load_b32 v23, v3
	s_wait_dscnt 0x0
	v_fma_f32 v20, -v21, v23, v20
.LBB4_920:                              ;   in Loop: Header=BB4_3 Depth=1
	s_or_b32 exec_lo, exec_lo, s9
	s_barrier_signal -1
	s_barrier_wait -1
	s_and_saveexec_b32 s9, s38
	s_cbranch_execz .LBB4_922
; %bb.921:                              ;   in Loop: Header=BB4_3 Depth=1
	ds_load_b32 v21, v5 offset:3120
	s_wait_dscnt 0x0
	v_mul_f32_e32 v20, v20, v21
	s_delay_alu instid0(VALU_DEP_1)
	v_xor_b32_e32 v21, 0x80000000, v20
	ds_store_b32 v3, v21
.LBB4_922:                              ;   in Loop: Header=BB4_3 Depth=1
	s_or_b32 exec_lo, exec_lo, s9
	s_wait_dscnt 0x0
	s_barrier_signal -1
	s_barrier_wait -1
	s_barrier_signal -1
	s_barrier_wait -1
	s_and_saveexec_b32 s9, s2
; %bb.923:                              ;   in Loop: Header=BB4_3 Depth=1
	ds_store_b32 v30, v20 offset:3888
; %bb.924:                              ;   in Loop: Header=BB4_3 Depth=1
	s_or_b32 exec_lo, exec_lo, s9
	s_wait_dscnt 0x0
	s_barrier_signal -1
	s_barrier_wait -1
	s_barrier_signal -1
	s_barrier_wait -1
	s_and_saveexec_b32 s9, s17
	s_cbranch_execz .LBB4_926
; %bb.925:                              ;   in Loop: Header=BB4_3 Depth=1
	ds_load_b64 v[20:21], v5 offset:3376
	ds_load_b32 v23, v5 offset:3120
	s_wait_dscnt 0x0
	v_mul_f32_e32 v21, v23, v21
	s_delay_alu instid0(VALU_DEP_1)
	v_mul_f32_e32 v20, v20, v21
	ds_store_b32 v5, v20 offset:3376
.LBB4_926:                              ;   in Loop: Header=BB4_3 Depth=1
	s_or_b32 exec_lo, exec_lo, s9
	v_mov_b32_e32 v20, 0
	s_wait_dscnt 0x0
	s_barrier_signal -1
	s_barrier_wait -1
	global_wb scope:SCOPE_DEV
	s_wait_storecnt 0x0
	global_inv scope:SCOPE_DEV
	s_and_saveexec_b32 s9, s3
	s_cbranch_execz .LBB4_932
; %bb.927:                              ;   in Loop: Header=BB4_3 Depth=1
	ds_load_b32 v20, v33 offset:3104
	ds_load_b32 v21, v32 offset:3888
	s_wait_dscnt 0x0
	v_fma_f32 v20, v20, v21, 0
	s_and_saveexec_b32 s10, s19
	s_cbranch_execnz .LBB4_1185
; %bb.928:                              ;   in Loop: Header=BB4_3 Depth=1
	s_or_b32 exec_lo, exec_lo, s10
	s_and_saveexec_b32 s10, s20
	s_cbranch_execnz .LBB4_1186
.LBB4_929:                              ;   in Loop: Header=BB4_3 Depth=1
	s_or_b32 exec_lo, exec_lo, s10
	s_and_saveexec_b32 s10, s2
	s_cbranch_execz .LBB4_931
.LBB4_930:                              ;   in Loop: Header=BB4_3 Depth=1
	ds_load_b32 v21, v29 offset:3872
	ds_load_b32 v23, v5 offset:3900
	s_wait_dscnt 0x0
	v_fmac_f32_e32 v20, v21, v23
.LBB4_931:                              ;   in Loop: Header=BB4_3 Depth=1
	s_or_b32 exec_lo, exec_lo, s10
.LBB4_932:                              ;   in Loop: Header=BB4_3 Depth=1
	s_delay_alu instid0(SALU_CYCLE_1)
	s_or_b32 exec_lo, exec_lo, s9
	s_and_saveexec_b32 s9, s39
	s_cbranch_execz .LBB4_934
; %bb.933:                              ;   in Loop: Header=BB4_3 Depth=1
	ds_load_b32 v21, v5 offset:2860
	s_wait_dscnt 0x0
	v_mul_f32_e32 v20, v20, v21
	s_delay_alu instid0(VALU_DEP_1)
	v_xor_b32_e32 v21, 0x80000000, v20
	ds_store_b32 v31, v21
.LBB4_934:                              ;   in Loop: Header=BB4_3 Depth=1
	s_or_b32 exec_lo, exec_lo, s9
	s_wait_loadcnt_dscnt 0x0
	s_barrier_signal -1
	s_barrier_wait -1
	s_and_saveexec_b32 s9, s40
	s_cbranch_execz .LBB4_936
; %bb.935:                              ;   in Loop: Header=BB4_3 Depth=1
	ds_load_b32 v21, v33 offset:2848
	ds_load_b32 v23, v31
	s_wait_dscnt 0x0
	v_fma_f32 v20, -v21, v23, v20
.LBB4_936:                              ;   in Loop: Header=BB4_3 Depth=1
	s_or_b32 exec_lo, exec_lo, s9
	s_barrier_signal -1
	s_barrier_wait -1
	s_and_saveexec_b32 s9, s41
	s_cbranch_execz .LBB4_938
; %bb.937:                              ;   in Loop: Header=BB4_3 Depth=1
	ds_load_b32 v21, v5 offset:2600
	s_wait_dscnt 0x0
	v_mul_f32_e32 v20, v20, v21
	s_delay_alu instid0(VALU_DEP_1)
	v_xor_b32_e32 v21, 0x80000000, v20
	ds_store_b32 v31, v21
.LBB4_938:                              ;   in Loop: Header=BB4_3 Depth=1
	s_or_b32 exec_lo, exec_lo, s9
	s_wait_dscnt 0x0
	s_barrier_signal -1
	s_barrier_wait -1
	s_and_saveexec_b32 s9, s42
	s_cbranch_execz .LBB4_940
; %bb.939:                              ;   in Loop: Header=BB4_3 Depth=1
	ds_load_b32 v21, v33 offset:2592
	ds_load_b32 v23, v31
	s_wait_dscnt 0x0
	v_fma_f32 v20, -v21, v23, v20
.LBB4_940:                              ;   in Loop: Header=BB4_3 Depth=1
	s_or_b32 exec_lo, exec_lo, s9
	s_barrier_signal -1
	s_barrier_wait -1
	s_and_saveexec_b32 s9, s43
	s_cbranch_execz .LBB4_942
; %bb.941:                              ;   in Loop: Header=BB4_3 Depth=1
	ds_load_b32 v21, v5 offset:2340
	s_wait_dscnt 0x0
	v_mul_f32_e32 v20, v20, v21
	s_delay_alu instid0(VALU_DEP_1)
	v_xor_b32_e32 v21, 0x80000000, v20
	ds_store_b32 v31, v21
.LBB4_942:                              ;   in Loop: Header=BB4_3 Depth=1
	s_or_b32 exec_lo, exec_lo, s9
	s_wait_dscnt 0x0
	;; [unrolled: 25-line block ×3, first 2 shown]
	s_barrier_signal -1
	s_barrier_wait -1
	s_barrier_signal -1
	s_barrier_wait -1
	s_and_saveexec_b32 s9, s3
; %bb.947:                              ;   in Loop: Header=BB4_3 Depth=1
	ds_store_b32 v34, v20 offset:3872
; %bb.948:                              ;   in Loop: Header=BB4_3 Depth=1
	s_or_b32 exec_lo, exec_lo, s9
	s_wait_dscnt 0x0
	s_barrier_signal -1
	s_barrier_wait -1
	s_barrier_signal -1
	s_barrier_wait -1
	s_and_saveexec_b32 s9, s17
	s_cbranch_execz .LBB4_950
; %bb.949:                              ;   in Loop: Header=BB4_3 Depth=1
	ds_load_b64 v[20:21], v5 offset:2856
	ds_load_b32 v23, v5 offset:2600
	s_wait_dscnt 0x0
	v_mul_f32_e32 v21, v23, v21
	s_delay_alu instid0(VALU_DEP_1)
	v_mul_f32_e32 v20, v20, v21
	ds_store_b32 v5, v20 offset:2856
.LBB4_950:                              ;   in Loop: Header=BB4_3 Depth=1
	s_or_b32 exec_lo, exec_lo, s9
	v_mov_b32_e32 v20, 0
	s_wait_dscnt 0x0
	s_barrier_signal -1
	s_barrier_wait -1
	global_wb scope:SCOPE_DEV
	s_wait_storecnt 0x0
	global_inv scope:SCOPE_DEV
	s_and_saveexec_b32 s9, s2
	s_cbranch_execz .LBB4_954
; %bb.951:                              ;   in Loop: Header=BB4_3 Depth=1
	ds_load_b32 v20, v28 offset:2592
	ds_load_b32 v21, v27 offset:2856
	s_wait_dscnt 0x0
	v_fma_f32 v20, v20, v21, 0
	s_and_saveexec_b32 s10, s18
	s_cbranch_execz .LBB4_953
; %bb.952:                              ;   in Loop: Header=BB4_3 Depth=1
	ds_load_b32 v21, v29 offset:2848
	ds_load_b32 v23, v5 offset:2860
	s_wait_dscnt 0x0
	v_fmac_f32_e32 v20, v21, v23
.LBB4_953:                              ;   in Loop: Header=BB4_3 Depth=1
	s_or_b32 exec_lo, exec_lo, s10
.LBB4_954:                              ;   in Loop: Header=BB4_3 Depth=1
	s_delay_alu instid0(SALU_CYCLE_1)
	s_or_b32 exec_lo, exec_lo, s9
	s_and_saveexec_b32 s9, vcc_hi
	s_cbranch_execz .LBB4_956
; %bb.955:                              ;   in Loop: Header=BB4_3 Depth=1
	ds_load_b32 v21, v5 offset:2340
	s_wait_dscnt 0x0
	v_mul_f32_e32 v20, v20, v21
	s_delay_alu instid0(VALU_DEP_1)
	v_xor_b32_e32 v21, 0x80000000, v20
	ds_store_b32 v3, v21
.LBB4_956:                              ;   in Loop: Header=BB4_3 Depth=1
	s_or_b32 exec_lo, exec_lo, s9
	s_wait_loadcnt_dscnt 0x0
	s_barrier_signal -1
	s_barrier_wait -1
	s_and_saveexec_b32 s9, s38
	s_cbranch_execz .LBB4_958
; %bb.957:                              ;   in Loop: Header=BB4_3 Depth=1
	ds_load_b32 v21, v5 offset:2336
	ds_load_b32 v23, v3
	s_wait_dscnt 0x0
	v_fma_f32 v20, -v21, v23, v20
.LBB4_958:                              ;   in Loop: Header=BB4_3 Depth=1
	s_or_b32 exec_lo, exec_lo, s9
	s_barrier_signal -1
	s_barrier_wait -1
	s_and_saveexec_b32 s9, s38
	s_cbranch_execz .LBB4_960
; %bb.959:                              ;   in Loop: Header=BB4_3 Depth=1
	ds_load_b32 v21, v5 offset:2080
	s_wait_dscnt 0x0
	v_mul_f32_e32 v20, v20, v21
	s_delay_alu instid0(VALU_DEP_1)
	v_xor_b32_e32 v21, 0x80000000, v20
	ds_store_b32 v3, v21
.LBB4_960:                              ;   in Loop: Header=BB4_3 Depth=1
	s_or_b32 exec_lo, exec_lo, s9
	s_wait_dscnt 0x0
	s_barrier_signal -1
	s_barrier_wait -1
	s_barrier_signal -1
	s_barrier_wait -1
	s_and_saveexec_b32 s9, s2
; %bb.961:                              ;   in Loop: Header=BB4_3 Depth=1
	ds_store_b32 v30, v20 offset:2848
; %bb.962:                              ;   in Loop: Header=BB4_3 Depth=1
	s_or_b32 exec_lo, exec_lo, s9
	s_wait_dscnt 0x0
	s_barrier_signal -1
	s_barrier_wait -1
	s_barrier_signal -1
	s_barrier_wait -1
	s_and_saveexec_b32 s9, s17
	s_cbranch_execz .LBB4_964
; %bb.963:                              ;   in Loop: Header=BB4_3 Depth=1
	ds_load_b64 v[20:21], v5 offset:2336
	ds_load_b32 v23, v5 offset:2080
	s_wait_dscnt 0x0
	v_mul_f32_e32 v21, v23, v21
	s_delay_alu instid0(VALU_DEP_1)
	v_mul_f32_e32 v20, v20, v21
	ds_store_b32 v5, v20 offset:2336
.LBB4_964:                              ;   in Loop: Header=BB4_3 Depth=1
	s_or_b32 exec_lo, exec_lo, s9
	v_mov_b32_e32 v20, 0
	s_wait_dscnt 0x0
	s_barrier_signal -1
	s_barrier_wait -1
	global_wb scope:SCOPE_DEV
	s_wait_storecnt 0x0
	global_inv scope:SCOPE_DEV
	s_and_saveexec_b32 s9, s4
	s_cbranch_execz .LBB4_974
; %bb.965:                              ;   in Loop: Header=BB4_3 Depth=1
	ds_load_b32 v20, v37 offset:2048
	ds_load_b32 v21, v36 offset:3872
	s_wait_dscnt 0x0
	v_fma_f32 v20, v20, v21, 0
	s_and_saveexec_b32 s10, s21
	s_cbranch_execnz .LBB4_1187
; %bb.966:                              ;   in Loop: Header=BB4_3 Depth=1
	s_or_b32 exec_lo, exec_lo, s10
	s_and_saveexec_b32 s10, s22
	s_cbranch_execnz .LBB4_1188
.LBB4_967:                              ;   in Loop: Header=BB4_3 Depth=1
	s_or_b32 exec_lo, exec_lo, s10
	s_and_saveexec_b32 s10, s23
	s_cbranch_execnz .LBB4_1189
.LBB4_968:                              ;   in Loop: Header=BB4_3 Depth=1
	s_or_b32 exec_lo, exec_lo, s10
	s_and_saveexec_b32 s10, s24
	s_cbranch_execnz .LBB4_1190
.LBB4_969:                              ;   in Loop: Header=BB4_3 Depth=1
	s_or_b32 exec_lo, exec_lo, s10
	s_and_saveexec_b32 s10, s25
	s_cbranch_execnz .LBB4_1191
.LBB4_970:                              ;   in Loop: Header=BB4_3 Depth=1
	s_or_b32 exec_lo, exec_lo, s10
	s_and_saveexec_b32 s10, s3
	s_cbranch_execnz .LBB4_1192
.LBB4_971:                              ;   in Loop: Header=BB4_3 Depth=1
	s_or_b32 exec_lo, exec_lo, s10
	s_and_saveexec_b32 s10, s20
	s_cbranch_execz .LBB4_973
.LBB4_972:                              ;   in Loop: Header=BB4_3 Depth=1
	ds_load_b32 v21, v29 offset:3840
	ds_load_b32 v23, v5 offset:3900
	s_wait_dscnt 0x0
	v_fmac_f32_e32 v20, v21, v23
.LBB4_973:                              ;   in Loop: Header=BB4_3 Depth=1
	s_or_b32 exec_lo, exec_lo, s10
.LBB4_974:                              ;   in Loop: Header=BB4_3 Depth=1
	s_delay_alu instid0(SALU_CYCLE_1)
	s_or_b32 exec_lo, exec_lo, s9
	s_and_saveexec_b32 s9, s45
	s_cbranch_execz .LBB4_976
; %bb.975:                              ;   in Loop: Header=BB4_3 Depth=1
	ds_load_b32 v21, v5 offset:1820
	s_wait_dscnt 0x0
	v_mul_f32_e32 v20, v20, v21
	s_delay_alu instid0(VALU_DEP_1)
	v_xor_b32_e32 v21, 0x80000000, v20
	ds_store_b32 v35, v21
.LBB4_976:                              ;   in Loop: Header=BB4_3 Depth=1
	s_or_b32 exec_lo, exec_lo, s9
	s_wait_loadcnt_dscnt 0x0
	s_barrier_signal -1
	s_barrier_wait -1
	s_and_saveexec_b32 s9, s46
	s_cbranch_execz .LBB4_978
; %bb.977:                              ;   in Loop: Header=BB4_3 Depth=1
	ds_load_b32 v21, v37 offset:1792
	ds_load_b32 v23, v35
	s_wait_dscnt 0x0
	v_fma_f32 v20, -v21, v23, v20
.LBB4_978:                              ;   in Loop: Header=BB4_3 Depth=1
	s_or_b32 exec_lo, exec_lo, s9
	s_barrier_signal -1
	s_barrier_wait -1
	s_and_saveexec_b32 s9, s47
	s_cbranch_execz .LBB4_980
; %bb.979:                              ;   in Loop: Header=BB4_3 Depth=1
	ds_load_b32 v21, v5 offset:1560
	s_wait_dscnt 0x0
	v_mul_f32_e32 v20, v20, v21
	s_delay_alu instid0(VALU_DEP_1)
	v_xor_b32_e32 v21, 0x80000000, v20
	ds_store_b32 v35, v21
.LBB4_980:                              ;   in Loop: Header=BB4_3 Depth=1
	s_or_b32 exec_lo, exec_lo, s9
	s_wait_dscnt 0x0
	s_barrier_signal -1
	s_barrier_wait -1
	s_and_saveexec_b32 s9, s48
	s_cbranch_execz .LBB4_982
; %bb.981:                              ;   in Loop: Header=BB4_3 Depth=1
	ds_load_b32 v21, v37 offset:1536
	ds_load_b32 v23, v35
	s_wait_dscnt 0x0
	v_fma_f32 v20, -v21, v23, v20
.LBB4_982:                              ;   in Loop: Header=BB4_3 Depth=1
	s_or_b32 exec_lo, exec_lo, s9
	s_barrier_signal -1
	s_barrier_wait -1
	s_and_saveexec_b32 s9, s49
	s_cbranch_execz .LBB4_984
; %bb.983:                              ;   in Loop: Header=BB4_3 Depth=1
	ds_load_b32 v21, v5 offset:1300
	s_wait_dscnt 0x0
	v_mul_f32_e32 v20, v20, v21
	s_delay_alu instid0(VALU_DEP_1)
	v_xor_b32_e32 v21, 0x80000000, v20
	ds_store_b32 v35, v21
.LBB4_984:                              ;   in Loop: Header=BB4_3 Depth=1
	s_or_b32 exec_lo, exec_lo, s9
	s_wait_dscnt 0x0
	s_barrier_signal -1
	s_barrier_wait -1
	s_and_saveexec_b32 s9, s50
	s_cbranch_execz .LBB4_986
; %bb.985:                              ;   in Loop: Header=BB4_3 Depth=1
	ds_load_b32 v21, v37 offset:1280
	ds_load_b32 v23, v35
	s_wait_dscnt 0x0
	v_fma_f32 v20, -v21, v23, v20
.LBB4_986:                              ;   in Loop: Header=BB4_3 Depth=1
	s_or_b32 exec_lo, exec_lo, s9
	s_barrier_signal -1
	s_barrier_wait -1
	s_and_saveexec_b32 s9, s51
	s_cbranch_execz .LBB4_988
; %bb.987:                              ;   in Loop: Header=BB4_3 Depth=1
	ds_load_b32 v21, v5 offset:1040
	s_wait_dscnt 0x0
	v_mul_f32_e32 v20, v20, v21
	s_delay_alu instid0(VALU_DEP_1)
	v_xor_b32_e32 v21, 0x80000000, v20
	ds_store_b32 v35, v21
.LBB4_988:                              ;   in Loop: Header=BB4_3 Depth=1
	s_or_b32 exec_lo, exec_lo, s9
	s_wait_dscnt 0x0
	s_barrier_signal -1
	s_barrier_wait -1
	s_and_saveexec_b32 s9, s52
	s_cbranch_execz .LBB4_990
; %bb.989:                              ;   in Loop: Header=BB4_3 Depth=1
	ds_load_b32 v21, v37 offset:1024
	ds_load_b32 v23, v35
	s_wait_dscnt 0x0
	v_fma_f32 v20, -v21, v23, v20
.LBB4_990:                              ;   in Loop: Header=BB4_3 Depth=1
	s_or_b32 exec_lo, exec_lo, s9
	s_barrier_signal -1
	s_barrier_wait -1
	s_and_saveexec_b32 s9, s53
	s_cbranch_execz .LBB4_992
; %bb.991:                              ;   in Loop: Header=BB4_3 Depth=1
	ds_load_b32 v21, v5 offset:780
	s_wait_dscnt 0x0
	v_mul_f32_e32 v20, v20, v21
	s_delay_alu instid0(VALU_DEP_1)
	v_xor_b32_e32 v21, 0x80000000, v20
	ds_store_b32 v35, v21
.LBB4_992:                              ;   in Loop: Header=BB4_3 Depth=1
	s_or_b32 exec_lo, exec_lo, s9
	s_wait_dscnt 0x0
	s_barrier_signal -1
	s_barrier_wait -1
	s_and_saveexec_b32 s9, s54
	s_cbranch_execz .LBB4_994
; %bb.993:                              ;   in Loop: Header=BB4_3 Depth=1
	ds_load_b32 v21, v37 offset:768
	ds_load_b32 v23, v35
	s_wait_dscnt 0x0
	v_fma_f32 v20, -v21, v23, v20
.LBB4_994:                              ;   in Loop: Header=BB4_3 Depth=1
	s_or_b32 exec_lo, exec_lo, s9
	s_barrier_signal -1
	s_barrier_wait -1
	s_and_saveexec_b32 s9, s55
	s_cbranch_execz .LBB4_996
; %bb.995:                              ;   in Loop: Header=BB4_3 Depth=1
	ds_load_b32 v21, v5 offset:520
	s_wait_dscnt 0x0
	v_mul_f32_e32 v20, v20, v21
	s_delay_alu instid0(VALU_DEP_1)
	v_xor_b32_e32 v21, 0x80000000, v20
	ds_store_b32 v35, v21
.LBB4_996:                              ;   in Loop: Header=BB4_3 Depth=1
	s_or_b32 exec_lo, exec_lo, s9
	s_wait_dscnt 0x0
	s_barrier_signal -1
	s_barrier_wait -1
	s_and_saveexec_b32 s9, s56
	s_cbranch_execz .LBB4_998
; %bb.997:                              ;   in Loop: Header=BB4_3 Depth=1
	ds_load_b32 v21, v37 offset:512
	ds_load_b32 v23, v35
	s_wait_dscnt 0x0
	v_fma_f32 v20, -v21, v23, v20
.LBB4_998:                              ;   in Loop: Header=BB4_3 Depth=1
	s_or_b32 exec_lo, exec_lo, s9
	s_barrier_signal -1
	s_barrier_wait -1
	s_and_saveexec_b32 s9, s57
	s_cbranch_execz .LBB4_1000
; %bb.999:                              ;   in Loop: Header=BB4_3 Depth=1
	ds_load_b32 v21, v5 offset:260
	s_wait_dscnt 0x0
	v_mul_f32_e32 v20, v20, v21
	s_delay_alu instid0(VALU_DEP_1)
	v_xor_b32_e32 v21, 0x80000000, v20
	ds_store_b32 v35, v21
.LBB4_1000:                             ;   in Loop: Header=BB4_3 Depth=1
	s_or_b32 exec_lo, exec_lo, s9
	s_wait_dscnt 0x0
	s_barrier_signal -1
	s_barrier_wait -1
	s_and_saveexec_b32 s9, s58
	s_cbranch_execz .LBB4_1002
; %bb.1001:                             ;   in Loop: Header=BB4_3 Depth=1
	ds_load_b32 v21, v5 offset:256
	ds_load_b32 v23, v35
	s_wait_dscnt 0x0
	v_fma_f32 v20, -v21, v23, v20
.LBB4_1002:                             ;   in Loop: Header=BB4_3 Depth=1
	s_or_b32 exec_lo, exec_lo, s9
	s_barrier_signal -1
	s_barrier_wait -1
	s_and_saveexec_b32 s9, s58
	s_cbranch_execz .LBB4_1004
; %bb.1003:                             ;   in Loop: Header=BB4_3 Depth=1
	ds_load_b32 v21, v5
	s_wait_dscnt 0x0
	v_mul_f32_e32 v20, v20, v21
	s_delay_alu instid0(VALU_DEP_1)
	v_xor_b32_e32 v21, 0x80000000, v20
	ds_store_b32 v35, v21
.LBB4_1004:                             ;   in Loop: Header=BB4_3 Depth=1
	s_or_b32 exec_lo, exec_lo, s9
	s_wait_dscnt 0x0
	s_barrier_signal -1
	s_barrier_wait -1
	s_barrier_signal -1
	s_barrier_wait -1
	s_and_saveexec_b32 s9, s4
; %bb.1005:                             ;   in Loop: Header=BB4_3 Depth=1
	ds_store_b32 v38, v20 offset:3840
; %bb.1006:                             ;   in Loop: Header=BB4_3 Depth=1
	s_or_b32 exec_lo, exec_lo, s9
	s_wait_dscnt 0x0
	s_barrier_signal -1
	s_barrier_wait -1
	s_barrier_signal -1
	s_barrier_wait -1
	s_and_saveexec_b32 s9, s17
	s_cbranch_execz .LBB4_1008
; %bb.1007:                             ;   in Loop: Header=BB4_3 Depth=1
	ds_load_b64 v[20:21], v5 offset:1816
	ds_load_b32 v23, v5 offset:1560
	s_wait_dscnt 0x0
	v_mul_f32_e32 v21, v23, v21
	s_delay_alu instid0(VALU_DEP_1)
	v_mul_f32_e32 v20, v20, v21
	ds_store_b32 v5, v20 offset:1816
.LBB4_1008:                             ;   in Loop: Header=BB4_3 Depth=1
	s_or_b32 exec_lo, exec_lo, s9
	v_mov_b32_e32 v20, 0
	s_wait_dscnt 0x0
	s_barrier_signal -1
	s_barrier_wait -1
	global_wb scope:SCOPE_DEV
	s_wait_storecnt 0x0
	global_inv scope:SCOPE_DEV
	s_and_saveexec_b32 s9, s2
	s_cbranch_execz .LBB4_1012
; %bb.1009:                             ;   in Loop: Header=BB4_3 Depth=1
	ds_load_b32 v20, v28 offset:1552
	ds_load_b32 v21, v27 offset:1816
	s_wait_dscnt 0x0
	v_fma_f32 v20, v20, v21, 0
	s_and_saveexec_b32 s10, s18
	s_cbranch_execz .LBB4_1011
; %bb.1010:                             ;   in Loop: Header=BB4_3 Depth=1
	ds_load_b32 v21, v29 offset:1808
	ds_load_b32 v23, v5 offset:1820
	s_wait_dscnt 0x0
	v_fmac_f32_e32 v20, v21, v23
.LBB4_1011:                             ;   in Loop: Header=BB4_3 Depth=1
	s_or_b32 exec_lo, exec_lo, s10
.LBB4_1012:                             ;   in Loop: Header=BB4_3 Depth=1
	s_delay_alu instid0(SALU_CYCLE_1)
	s_or_b32 exec_lo, exec_lo, s9
	s_and_saveexec_b32 s9, vcc_hi
	s_cbranch_execz .LBB4_1014
; %bb.1013:                             ;   in Loop: Header=BB4_3 Depth=1
	ds_load_b32 v21, v5 offset:1300
	s_wait_dscnt 0x0
	v_mul_f32_e32 v20, v20, v21
	s_delay_alu instid0(VALU_DEP_1)
	v_xor_b32_e32 v21, 0x80000000, v20
	ds_store_b32 v3, v21
.LBB4_1014:                             ;   in Loop: Header=BB4_3 Depth=1
	s_or_b32 exec_lo, exec_lo, s9
	s_wait_loadcnt_dscnt 0x0
	s_barrier_signal -1
	s_barrier_wait -1
	s_and_saveexec_b32 s9, s38
	s_cbranch_execz .LBB4_1016
; %bb.1015:                             ;   in Loop: Header=BB4_3 Depth=1
	ds_load_b32 v21, v5 offset:1296
	ds_load_b32 v23, v3
	s_wait_dscnt 0x0
	v_fma_f32 v20, -v21, v23, v20
.LBB4_1016:                             ;   in Loop: Header=BB4_3 Depth=1
	s_or_b32 exec_lo, exec_lo, s9
	s_barrier_signal -1
	s_barrier_wait -1
	s_and_saveexec_b32 s9, s38
	s_cbranch_execz .LBB4_1018
; %bb.1017:                             ;   in Loop: Header=BB4_3 Depth=1
	ds_load_b32 v21, v5 offset:1040
	s_wait_dscnt 0x0
	v_mul_f32_e32 v20, v20, v21
	s_delay_alu instid0(VALU_DEP_1)
	v_xor_b32_e32 v21, 0x80000000, v20
	ds_store_b32 v3, v21
.LBB4_1018:                             ;   in Loop: Header=BB4_3 Depth=1
	s_or_b32 exec_lo, exec_lo, s9
	s_wait_dscnt 0x0
	s_barrier_signal -1
	s_barrier_wait -1
	s_barrier_signal -1
	s_barrier_wait -1
	s_and_saveexec_b32 s9, s2
; %bb.1019:                             ;   in Loop: Header=BB4_3 Depth=1
	ds_store_b32 v30, v20 offset:1808
; %bb.1020:                             ;   in Loop: Header=BB4_3 Depth=1
	s_or_b32 exec_lo, exec_lo, s9
	s_wait_dscnt 0x0
	s_barrier_signal -1
	s_barrier_wait -1
	s_barrier_signal -1
	s_barrier_wait -1
	s_and_saveexec_b32 s9, s17
	s_cbranch_execz .LBB4_1022
; %bb.1021:                             ;   in Loop: Header=BB4_3 Depth=1
	ds_load_b64 v[20:21], v5 offset:1296
	ds_load_b32 v23, v5 offset:1040
	s_wait_dscnt 0x0
	v_mul_f32_e32 v21, v23, v21
	s_delay_alu instid0(VALU_DEP_1)
	v_mul_f32_e32 v20, v20, v21
	ds_store_b32 v5, v20 offset:1296
.LBB4_1022:                             ;   in Loop: Header=BB4_3 Depth=1
	s_or_b32 exec_lo, exec_lo, s9
	v_mov_b32_e32 v20, 0
	s_wait_dscnt 0x0
	s_barrier_signal -1
	s_barrier_wait -1
	global_wb scope:SCOPE_DEV
	s_wait_storecnt 0x0
	global_inv scope:SCOPE_DEV
	s_and_saveexec_b32 s9, s3
	s_cbranch_execz .LBB4_1028
; %bb.1023:                             ;   in Loop: Header=BB4_3 Depth=1
	ds_load_b32 v20, v33 offset:1024
	ds_load_b32 v21, v32 offset:1808
	s_wait_dscnt 0x0
	v_fma_f32 v20, v20, v21, 0
	s_and_saveexec_b32 s10, s19
	s_cbranch_execnz .LBB4_1193
; %bb.1024:                             ;   in Loop: Header=BB4_3 Depth=1
	s_or_b32 exec_lo, exec_lo, s10
	s_and_saveexec_b32 s10, s20
	s_cbranch_execnz .LBB4_1194
.LBB4_1025:                             ;   in Loop: Header=BB4_3 Depth=1
	s_or_b32 exec_lo, exec_lo, s10
	s_and_saveexec_b32 s10, s2
	s_cbranch_execz .LBB4_1027
.LBB4_1026:                             ;   in Loop: Header=BB4_3 Depth=1
	ds_load_b32 v21, v29 offset:1792
	ds_load_b32 v23, v5 offset:1820
	s_wait_dscnt 0x0
	v_fmac_f32_e32 v20, v21, v23
.LBB4_1027:                             ;   in Loop: Header=BB4_3 Depth=1
	s_or_b32 exec_lo, exec_lo, s10
.LBB4_1028:                             ;   in Loop: Header=BB4_3 Depth=1
	s_delay_alu instid0(SALU_CYCLE_1)
	s_or_b32 exec_lo, exec_lo, s9
	s_and_saveexec_b32 s9, s39
	s_cbranch_execz .LBB4_1030
; %bb.1029:                             ;   in Loop: Header=BB4_3 Depth=1
	ds_load_b32 v21, v5 offset:780
	s_wait_dscnt 0x0
	v_mul_f32_e32 v20, v20, v21
	s_delay_alu instid0(VALU_DEP_1)
	v_xor_b32_e32 v21, 0x80000000, v20
	ds_store_b32 v31, v21
.LBB4_1030:                             ;   in Loop: Header=BB4_3 Depth=1
	s_or_b32 exec_lo, exec_lo, s9
	s_wait_loadcnt_dscnt 0x0
	s_barrier_signal -1
	s_barrier_wait -1
	s_and_saveexec_b32 s9, s40
	s_cbranch_execz .LBB4_1032
; %bb.1031:                             ;   in Loop: Header=BB4_3 Depth=1
	ds_load_b32 v21, v33 offset:768
	ds_load_b32 v23, v31
	s_wait_dscnt 0x0
	v_fma_f32 v20, -v21, v23, v20
.LBB4_1032:                             ;   in Loop: Header=BB4_3 Depth=1
	s_or_b32 exec_lo, exec_lo, s9
	s_barrier_signal -1
	s_barrier_wait -1
	s_and_saveexec_b32 s9, s41
	s_cbranch_execz .LBB4_1034
; %bb.1033:                             ;   in Loop: Header=BB4_3 Depth=1
	ds_load_b32 v21, v5 offset:520
	s_wait_dscnt 0x0
	v_mul_f32_e32 v20, v20, v21
	s_delay_alu instid0(VALU_DEP_1)
	v_xor_b32_e32 v21, 0x80000000, v20
	ds_store_b32 v31, v21
.LBB4_1034:                             ;   in Loop: Header=BB4_3 Depth=1
	s_or_b32 exec_lo, exec_lo, s9
	s_wait_dscnt 0x0
	s_barrier_signal -1
	s_barrier_wait -1
	s_and_saveexec_b32 s9, s42
	s_cbranch_execz .LBB4_1036
; %bb.1035:                             ;   in Loop: Header=BB4_3 Depth=1
	ds_load_b32 v21, v33 offset:512
	ds_load_b32 v23, v31
	s_wait_dscnt 0x0
	v_fma_f32 v20, -v21, v23, v20
.LBB4_1036:                             ;   in Loop: Header=BB4_3 Depth=1
	s_or_b32 exec_lo, exec_lo, s9
	s_barrier_signal -1
	s_barrier_wait -1
	s_and_saveexec_b32 s9, s43
	s_cbranch_execz .LBB4_1038
; %bb.1037:                             ;   in Loop: Header=BB4_3 Depth=1
	ds_load_b32 v21, v5 offset:260
	s_wait_dscnt 0x0
	v_mul_f32_e32 v20, v20, v21
	s_delay_alu instid0(VALU_DEP_1)
	v_xor_b32_e32 v21, 0x80000000, v20
	ds_store_b32 v31, v21
.LBB4_1038:                             ;   in Loop: Header=BB4_3 Depth=1
	s_or_b32 exec_lo, exec_lo, s9
	s_wait_dscnt 0x0
	s_barrier_signal -1
	s_barrier_wait -1
	s_and_saveexec_b32 s9, s44
	s_cbranch_execz .LBB4_1040
; %bb.1039:                             ;   in Loop: Header=BB4_3 Depth=1
	ds_load_b32 v21, v5 offset:256
	ds_load_b32 v23, v31
	s_wait_dscnt 0x0
	v_fma_f32 v20, -v21, v23, v20
.LBB4_1040:                             ;   in Loop: Header=BB4_3 Depth=1
	s_or_b32 exec_lo, exec_lo, s9
	s_barrier_signal -1
	s_barrier_wait -1
	s_and_saveexec_b32 s9, s44
	s_cbranch_execz .LBB4_1042
; %bb.1041:                             ;   in Loop: Header=BB4_3 Depth=1
	ds_load_b32 v21, v5
	s_wait_dscnt 0x0
	v_mul_f32_e32 v20, v20, v21
	s_delay_alu instid0(VALU_DEP_1)
	v_xor_b32_e32 v21, 0x80000000, v20
	ds_store_b32 v31, v21
.LBB4_1042:                             ;   in Loop: Header=BB4_3 Depth=1
	s_or_b32 exec_lo, exec_lo, s9
	s_wait_dscnt 0x0
	s_barrier_signal -1
	s_barrier_wait -1
	s_barrier_signal -1
	s_barrier_wait -1
	s_and_saveexec_b32 s9, s3
; %bb.1043:                             ;   in Loop: Header=BB4_3 Depth=1
	ds_store_b32 v34, v20 offset:1792
; %bb.1044:                             ;   in Loop: Header=BB4_3 Depth=1
	s_or_b32 exec_lo, exec_lo, s9
	s_wait_dscnt 0x0
	s_barrier_signal -1
	s_barrier_wait -1
	s_barrier_signal -1
	s_barrier_wait -1
	s_and_saveexec_b32 s9, s17
	s_cbranch_execz .LBB4_1046
; %bb.1045:                             ;   in Loop: Header=BB4_3 Depth=1
	ds_load_b64 v[20:21], v5 offset:776
	ds_load_b32 v23, v5 offset:520
	s_wait_dscnt 0x0
	v_mul_f32_e32 v21, v23, v21
	s_delay_alu instid0(VALU_DEP_1)
	v_mul_f32_e32 v20, v20, v21
	ds_store_b32 v5, v20 offset:776
.LBB4_1046:                             ;   in Loop: Header=BB4_3 Depth=1
	s_or_b32 exec_lo, exec_lo, s9
	v_mov_b32_e32 v20, 0
	s_wait_dscnt 0x0
	s_barrier_signal -1
	s_barrier_wait -1
	global_wb scope:SCOPE_DEV
	s_wait_storecnt 0x0
	global_inv scope:SCOPE_DEV
	s_and_saveexec_b32 s9, s2
	s_cbranch_execz .LBB4_1050
; %bb.1047:                             ;   in Loop: Header=BB4_3 Depth=1
	ds_load_b32 v20, v28 offset:512
	ds_load_b32 v21, v27 offset:776
	s_wait_dscnt 0x0
	v_fma_f32 v20, v20, v21, 0
	s_and_saveexec_b32 s10, s18
	s_cbranch_execz .LBB4_1049
; %bb.1048:                             ;   in Loop: Header=BB4_3 Depth=1
	ds_load_b32 v21, v29 offset:768
	ds_load_b32 v23, v5 offset:780
	s_wait_dscnt 0x0
	v_fmac_f32_e32 v20, v21, v23
.LBB4_1049:                             ;   in Loop: Header=BB4_3 Depth=1
	s_or_b32 exec_lo, exec_lo, s10
.LBB4_1050:                             ;   in Loop: Header=BB4_3 Depth=1
	s_delay_alu instid0(SALU_CYCLE_1)
	s_or_b32 exec_lo, exec_lo, s9
	s_and_saveexec_b32 s9, vcc_hi
	s_cbranch_execz .LBB4_1052
; %bb.1051:                             ;   in Loop: Header=BB4_3 Depth=1
	ds_load_b32 v21, v5 offset:260
	s_wait_dscnt 0x0
	v_mul_f32_e32 v20, v20, v21
	s_delay_alu instid0(VALU_DEP_1)
	v_xor_b32_e32 v21, 0x80000000, v20
	ds_store_b32 v3, v21
.LBB4_1052:                             ;   in Loop: Header=BB4_3 Depth=1
	s_or_b32 exec_lo, exec_lo, s9
	s_wait_loadcnt_dscnt 0x0
	s_barrier_signal -1
	s_barrier_wait -1
	s_and_saveexec_b32 s9, s38
	s_cbranch_execz .LBB4_1054
; %bb.1053:                             ;   in Loop: Header=BB4_3 Depth=1
	ds_load_b32 v21, v5 offset:256
	ds_load_b32 v23, v3
	s_wait_dscnt 0x0
	v_fma_f32 v20, -v21, v23, v20
.LBB4_1054:                             ;   in Loop: Header=BB4_3 Depth=1
	s_or_b32 exec_lo, exec_lo, s9
	s_barrier_signal -1
	s_barrier_wait -1
	s_and_saveexec_b32 s9, s38
	s_cbranch_execz .LBB4_1056
; %bb.1055:                             ;   in Loop: Header=BB4_3 Depth=1
	ds_load_b32 v21, v5
	s_wait_dscnt 0x0
	v_mul_f32_e32 v20, v20, v21
	s_delay_alu instid0(VALU_DEP_1)
	v_xor_b32_e32 v21, 0x80000000, v20
	ds_store_b32 v3, v21
.LBB4_1056:                             ;   in Loop: Header=BB4_3 Depth=1
	s_or_b32 exec_lo, exec_lo, s9
	s_wait_dscnt 0x0
	s_barrier_signal -1
	s_barrier_wait -1
	s_barrier_signal -1
	s_barrier_wait -1
	s_and_saveexec_b32 s9, s2
; %bb.1057:                             ;   in Loop: Header=BB4_3 Depth=1
	ds_store_b32 v30, v20 offset:768
; %bb.1058:                             ;   in Loop: Header=BB4_3 Depth=1
	s_or_b32 exec_lo, exec_lo, s9
	s_wait_dscnt 0x0
	s_barrier_signal -1
	s_barrier_wait -1
	s_barrier_signal -1
	s_barrier_wait -1
	s_and_saveexec_b32 s9, s17
	s_cbranch_execz .LBB4_1060
; %bb.1059:                             ;   in Loop: Header=BB4_3 Depth=1
	ds_load_b64 v[20:21], v5 offset:256
	ds_load_b32 v23, v5
	s_wait_dscnt 0x0
	v_mul_f32_e32 v21, v23, v21
	s_delay_alu instid0(VALU_DEP_1)
	v_mul_f32_e32 v20, v20, v21
	ds_store_b32 v5, v20 offset:256
.LBB4_1060:                             ;   in Loop: Header=BB4_3 Depth=1
	s_or_b32 exec_lo, exec_lo, s9
.LBB4_1061:                             ;   in Loop: Header=BB4_3 Depth=1
	v_readlane_b32 s98, v72, 4
	v_readlane_b32 s99, v72, 5
	s_wait_kmcnt 0x0
	s_mul_u64 s[10:11], s[84:85], s[88:89]
	v_mov_b32_e32 v63, 0
	s_lshl_b64 s[10:11], s[10:11], 2
	s_wait_dscnt 0x0
	s_add_nc_u64 s[98:99], s[98:99], s[10:11]
	s_barrier_signal -1
	s_barrier_wait -1
	s_and_saveexec_b32 s9, s59
	s_cbranch_execz .LBB4_1063
; %bb.1062:                             ;   in Loop: Header=BB4_3 Depth=1
	v_lshl_add_u64 v[20:21], v[0:1], 2, s[98:99]
	global_load_b32 v20, v[20:21], off
	s_wait_loadcnt 0x0
	v_mul_f32_e64 v63, v20, -v22
.LBB4_1063:                             ;   in Loop: Header=BB4_3 Depth=1
	s_or_b32 exec_lo, exec_lo, s9
	s_delay_alu instid0(SALU_CYCLE_1)
	s_and_not1_b32 vcc_lo, exec_lo, s60
	s_cbranch_vccnz .LBB4_1089
; %bb.1064:                             ;   in Loop: Header=BB4_3 Depth=1
	v_lshl_add_u64 v[20:21], v[6:7], 2, s[96:97]
	v_mov_b32_e32 v64, -1
	s_lshl_b64 s[10:11], s[88:89], 2
	s_mov_b32 s9, 0
	s_add_nc_u64 s[96:97], s[86:87], s[10:11]
	s_branch .LBB4_1067
.LBB4_1065:                             ;   in Loop: Header=BB4_1067 Depth=2
	s_wait_xcnt 0x0
	ds_load_b32 v22, v48 offset:192
	s_wait_loadcnt_dscnt 0x0
	v_fmac_f32_e32 v63, v24, v22
.LBB4_1066:                             ;   in Loop: Header=BB4_1067 Depth=2
	s_or_b32 exec_lo, exec_lo, s10
	s_add_co_i32 s9, s9, 1
	s_delay_alu instid0(SALU_CYCLE_1)
	s_cmp_eq_u32 s9, s71
	s_cbranch_scc1 .LBB4_1089
.LBB4_1067:                             ;   Parent Loop BB4_3 Depth=1
                                        ; =>  This Loop Header: Depth=2
                                        ;       Child Loop BB4_1069 Depth 3
	v_cmp_gt_i32_e32 vcc_lo, s9, v64
	s_and_b32 s11, s61, vcc_lo
	s_delay_alu instid0(SALU_CYCLE_1)
	s_and_saveexec_b32 s10, s11
	s_cbranch_execz .LBB4_1070
; %bb.1068:                             ;   in Loop: Header=BB4_1067 Depth=2
	global_load_b32 v64, v5, s[96:97]
	s_wait_loadcnt 0x0
	v_cmp_le_i32_e32 vcc_lo, s9, v64
	s_cbranch_vccnz .LBB4_1070
.LBB4_1069:                             ;   Parent Loop BB4_3 Depth=1
                                        ;     Parent Loop BB4_1067 Depth=2
                                        ; =>    This Inner Loop Header: Depth=3
	global_wb scope:SCOPE_DEV
	s_wait_storecnt 0x0
	global_inv scope:SCOPE_DEV
	global_load_b32 v64, v5, s[96:97]
	s_wait_loadcnt 0x0
	v_cmp_gt_i32_e32 vcc_lo, s9, v64
	s_cbranch_vccnz .LBB4_1069
.LBB4_1070:                             ;   in Loop: Header=BB4_1067 Depth=2
	s_or_b32 exec_lo, exec_lo, s10
	s_sub_co_i32 s10, s101, s9
	global_wb scope:SCOPE_DEV
	s_wait_storecnt 0x0
	global_inv scope:SCOPE_DEV
	s_lshl_b32 s11, s10, 6
	s_wait_loadcnt 0x0
	s_barrier_signal -1
	s_barrier_wait -1
	s_and_saveexec_b32 s12, s62
	s_cbranch_execz .LBB4_1074
; %bb.1071:                             ;   in Loop: Header=BB4_1067 Depth=2
	s_ashr_i32 s68, s11, 31
	s_delay_alu instid0(SALU_CYCLE_1) | instskip(SKIP_2) | instid1(VALU_DEP_1)
	v_dual_mov_b32 v24, 0 :: v_dual_mov_b32 v23, s68
	v_or_b32_e32 v22, s11, v4
	s_mov_b32 s68, exec_lo
	v_cmpx_gt_i64_e64 s[90:91], v[22:23]
	s_cbranch_execz .LBB4_1073
; %bb.1072:                             ;   in Loop: Header=BB4_1067 Depth=2
	v_mul_u64_e32 v[22:23], s[82:83], v[22:23]
	s_delay_alu instid0(VALU_DEP_1)
	v_lshl_add_u64 v[22:23], v[22:23], 2, s[98:99]
	global_load_b32 v24, v[22:23], off
.LBB4_1073:                             ;   in Loop: Header=BB4_1067 Depth=2
	s_wait_xcnt 0x0
	s_or_b32 exec_lo, exec_lo, s68
	s_wait_loadcnt 0x0
	ds_store_b32 v47, v24
.LBB4_1074:                             ;   in Loop: Header=BB4_1067 Depth=2
	s_or_b32 exec_lo, exec_lo, s12
	v_add_nc_u32_e32 v24, s11, v26
	s_cmp_lg_u32 s10, s67
	s_wait_dscnt 0x0
	s_cselect_b32 s11, -1, 0
	s_barrier_signal -1
	v_ashrrev_i32_e32 v25, 31, v24
	v_cmp_gt_i32_e32 vcc_lo, s90, v24
	s_barrier_wait -1
	s_delay_alu instid0(VALU_DEP_2) | instskip(SKIP_2) | instid1(VALU_DEP_2)
	v_mul_u64_e32 v[22:23], s[72:73], v[24:25]
	v_cndmask_b32_e64 v25, 0, 1, s11
	s_and_b32 s12, s8, vcc_lo
	v_lshl_add_u64 v[22:23], v[22:23], 2, v[20:21]
	s_and_saveexec_b32 s10, s12
	s_cbranch_execz .LBB4_1078
; %bb.1075:                             ;   in Loop: Header=BB4_1067 Depth=2
	v_mov_b32_e32 v65, v59
	s_and_not1_b32 vcc_lo, exec_lo, s11
	s_cbranch_vccnz .LBB4_1077
; %bb.1076:                             ;   in Loop: Header=BB4_1067 Depth=2
	global_load_b32 v65, v[22:23], off
.LBB4_1077:                             ;   in Loop: Header=BB4_1067 Depth=2
	ds_load_b32 v66, v48
	s_wait_loadcnt_dscnt 0x0
	v_fmac_f32_e32 v63, v65, v66
.LBB4_1078:                             ;   in Loop: Header=BB4_1067 Depth=2
	s_or_b32 exec_lo, exec_lo, s10
	v_add_nc_u32_e32 v65, 16, v24
	s_delay_alu instid0(VALU_DEP_1) | instskip(SKIP_1) | instid1(SALU_CYCLE_1)
	v_cmp_gt_i32_e32 vcc_lo, s90, v65
	s_and_b32 s11, s8, vcc_lo
	s_and_saveexec_b32 s10, s11
	s_cbranch_execz .LBB4_1082
; %bb.1079:                             ;   in Loop: Header=BB4_1067 Depth=2
	v_cmp_ne_u32_e32 vcc_lo, 1, v25
	v_mov_b32_e32 v65, v60
	s_cbranch_vccnz .LBB4_1081
; %bb.1080:                             ;   in Loop: Header=BB4_1067 Depth=2
	v_add_nc_u64_e32 v[66:67], s[0:1], v[22:23]
	global_load_b32 v65, v[66:67], off
.LBB4_1081:                             ;   in Loop: Header=BB4_1067 Depth=2
	s_wait_xcnt 0x0
	ds_load_b32 v66, v48 offset:64
	s_wait_loadcnt_dscnt 0x0
	v_fmac_f32_e32 v63, v65, v66
.LBB4_1082:                             ;   in Loop: Header=BB4_1067 Depth=2
	s_or_b32 exec_lo, exec_lo, s10
	v_add_nc_u32_e32 v65, 32, v24
	s_delay_alu instid0(VALU_DEP_1) | instskip(SKIP_1) | instid1(SALU_CYCLE_1)
	v_cmp_gt_i32_e32 vcc_lo, s90, v65
	s_and_b32 s11, s8, vcc_lo
	s_and_saveexec_b32 s10, s11
	s_cbranch_execz .LBB4_1086
; %bb.1083:                             ;   in Loop: Header=BB4_1067 Depth=2
	v_cmp_ne_u32_e32 vcc_lo, 1, v25
	v_mov_b32_e32 v65, v61
	s_cbranch_vccnz .LBB4_1085
; %bb.1084:                             ;   in Loop: Header=BB4_1067 Depth=2
	v_add_nc_u64_e32 v[66:67], s[92:93], v[22:23]
	global_load_b32 v65, v[66:67], off
.LBB4_1085:                             ;   in Loop: Header=BB4_1067 Depth=2
	s_wait_xcnt 0x0
	ds_load_b32 v66, v48 offset:128
	s_wait_loadcnt_dscnt 0x0
	v_fmac_f32_e32 v63, v65, v66
.LBB4_1086:                             ;   in Loop: Header=BB4_1067 Depth=2
	s_or_b32 exec_lo, exec_lo, s10
	v_add_nc_u32_e32 v24, 48, v24
	s_delay_alu instid0(VALU_DEP_1) | instskip(SKIP_1) | instid1(SALU_CYCLE_1)
	v_cmp_gt_i32_e32 vcc_lo, s90, v24
	s_and_b32 s11, s8, vcc_lo
	s_and_saveexec_b32 s10, s11
	s_cbranch_execz .LBB4_1066
; %bb.1087:                             ;   in Loop: Header=BB4_1067 Depth=2
	v_cmp_ne_u32_e32 vcc_lo, 1, v25
	v_mov_b32_e32 v24, v62
	s_cbranch_vccnz .LBB4_1065
; %bb.1088:                             ;   in Loop: Header=BB4_1067 Depth=2
	v_add_nc_u64_e32 v[22:23], s[94:95], v[22:23]
	global_load_b32 v24, v[22:23], off
	s_branch .LBB4_1065
.LBB4_1089:                             ;   in Loop: Header=BB4_3 Depth=1
	ds_store_b32 v49, v63
	s_wait_dscnt 0x0
	s_barrier_signal -1
	s_barrier_wait -1
	s_and_saveexec_b32 s9, s7
	s_cbranch_execz .LBB4_1091
; %bb.1090:                             ;   in Loop: Header=BB4_3 Depth=1
	ds_load_2addr_stride64_b32 v[20:21], v50 offset0:1 offset1:2
	ds_load_2addr_stride64_b32 v[22:23], v50 offset0:3 offset1:4
	;; [unrolled: 1-line block ×4, first 2 shown]
	v_readlane_b32 s10, v70, 7
	s_wait_dscnt 0x3
	v_add_f32_e32 v20, v63, v20
	s_delay_alu instid0(VALU_DEP_1) | instskip(SKIP_1) | instid1(VALU_DEP_1)
	v_add_f32_e32 v20, v20, v21
	s_wait_dscnt 0x2
	v_add_f32_e32 v20, v20, v22
	s_delay_alu instid0(VALU_DEP_1) | instskip(SKIP_1) | instid1(VALU_DEP_1)
	v_add_f32_e32 v20, v20, v23
	s_wait_dscnt 0x1
	v_add_f32_e32 v22, v20, v24
	ds_load_2addr_stride64_b32 v[20:21], v50 offset0:9 offset1:10
	v_add_f32_e32 v22, v22, v25
	s_wait_dscnt 0x1
	s_delay_alu instid0(VALU_DEP_1)
	v_add_f32_e32 v24, v22, v64
	ds_load_2addr_stride64_b32 v[22:23], v50 offset0:11 offset1:12
	v_add_f32_e32 v63, v24, v65
	ds_load_2addr_stride64_b32 v[24:25], v50 offset0:13 offset1:14
	ds_load_b32 v64, v50 offset:3840
	s_wait_dscnt 0x3
	v_add_f32_e32 v20, v63, v20
	s_delay_alu instid0(VALU_DEP_1) | instskip(SKIP_1) | instid1(VALU_DEP_1)
	v_add_f32_e32 v20, v20, v21
	s_wait_dscnt 0x2
	v_add_f32_e32 v20, v20, v22
	s_delay_alu instid0(VALU_DEP_1) | instskip(SKIP_1) | instid1(VALU_DEP_1)
	v_add_f32_e32 v20, v20, v23
	;; [unrolled: 4-line block ×3, first 2 shown]
	s_wait_dscnt 0x0
	v_add_f32_e32 v20, v20, v64
	s_delay_alu instid0(VALU_DEP_1)
	v_cndmask_b32_e64 v63, -v20, 0, s10
.LBB4_1091:                             ;   in Loop: Header=BB4_3 Depth=1
	s_or_b32 exec_lo, exec_lo, s9
	s_delay_alu instid0(SALU_CYCLE_1)
	s_and_not1_b32 vcc_lo, exec_lo, s104
	s_cbranch_vccnz .LBB4_1104
; %bb.1092:                             ;   in Loop: Header=BB4_3 Depth=1
	s_and_saveexec_b32 s9, s7
; %bb.1093:                             ;   in Loop: Header=BB4_3 Depth=1
	ds_store_b32 v52, v63
; %bb.1094:                             ;   in Loop: Header=BB4_3 Depth=1
	s_or_b32 exec_lo, exec_lo, s9
	v_mov_b32_e32 v20, 0
	s_wait_dscnt 0x0
	s_barrier_signal -1
	s_barrier_wait -1
	s_mov_b32 s9, exec_lo
	v_readlane_b32 s10, v69, 31
	s_and_b32 s10, s9, s10
	s_delay_alu instid0(SALU_CYCLE_1)
	s_mov_b32 exec_lo, s10
	s_cbranch_execz .LBB4_1096
; %bb.1095:                             ;   in Loop: Header=BB4_3 Depth=1
	ds_load_b32 v20, v51
	ds_load_b32 v21, v48
	s_wait_dscnt 0x0
	v_fma_f32 v20, v20, v21, 0
.LBB4_1096:                             ;   in Loop: Header=BB4_3 Depth=1
	s_or_b32 exec_lo, exec_lo, s9
	s_delay_alu instid0(SALU_CYCLE_1) | instskip(SKIP_2) | instid1(SALU_CYCLE_1)
	s_mov_b32 s9, exec_lo
	v_readlane_b32 s10, v68, 0
	s_and_b32 s10, s9, s10
	s_mov_b32 exec_lo, s10
	s_cbranch_execz .LBB4_1098
; %bb.1097:                             ;   in Loop: Header=BB4_3 Depth=1
	ds_load_b32 v21, v51 offset:4096
	ds_load_b32 v22, v48 offset:64
	s_wait_dscnt 0x0
	v_fmac_f32_e32 v20, v21, v22
.LBB4_1098:                             ;   in Loop: Header=BB4_3 Depth=1
	s_or_b32 exec_lo, exec_lo, s9
	s_delay_alu instid0(SALU_CYCLE_1) | instskip(SKIP_2) | instid1(SALU_CYCLE_1)
	s_mov_b32 s9, exec_lo
	v_readlane_b32 s10, v68, 1
	s_and_b32 s10, s9, s10
	s_mov_b32 exec_lo, s10
	s_cbranch_execz .LBB4_1100
; %bb.1099:                             ;   in Loop: Header=BB4_3 Depth=1
	ds_load_b32 v21, v51 offset:8192
	ds_load_b32 v22, v48 offset:128
	s_wait_dscnt 0x0
	v_fmac_f32_e32 v20, v21, v22
.LBB4_1100:                             ;   in Loop: Header=BB4_3 Depth=1
	;; [unrolled: 13-line block ×3, first 2 shown]
	s_or_b32 exec_lo, exec_lo, s9
	s_mov_b32 s9, 0
	s_mov_b32 s96, 0
	ds_store_b32 v49, v20
	s_wait_dscnt 0x0
	s_barrier_signal -1
	s_barrier_wait -1
                                        ; implicit-def: $vgpr21
	s_and_saveexec_b32 s97, s7
	s_cbranch_execz .LBB4_1141
; %bb.1103:                             ;   in Loop: Header=BB4_3 Depth=1
	ds_load_2addr_stride64_b32 v[22:23], v50 offset0:1 offset1:2
	ds_load_2addr_stride64_b32 v[24:25], v50 offset0:3 offset1:4
	;; [unrolled: 1-line block ×4, first 2 shown]
	s_mov_b32 s96, exec_lo
	s_wait_dscnt 0x3
	v_add_f32_e32 v20, v20, v22
	s_delay_alu instid0(VALU_DEP_1) | instskip(SKIP_1) | instid1(VALU_DEP_1)
	v_add_f32_e32 v20, v23, v20
	s_wait_dscnt 0x2
	v_add_f32_e32 v20, v24, v20
	s_delay_alu instid0(VALU_DEP_1) | instskip(SKIP_1) | instid1(VALU_DEP_1)
	v_add_f32_e32 v20, v25, v20
	s_wait_dscnt 0x1
	v_add_f32_e32 v22, v64, v20
	ds_load_2addr_stride64_b32 v[20:21], v50 offset0:9 offset1:10
	v_add_f32_e32 v22, v65, v22
	s_wait_dscnt 0x1
	s_delay_alu instid0(VALU_DEP_1)
	v_add_f32_e32 v24, v66, v22
	ds_load_2addr_stride64_b32 v[22:23], v50 offset0:11 offset1:12
	v_add_f32_e32 v64, v67, v24
	ds_load_2addr_stride64_b32 v[24:25], v50 offset0:13 offset1:14
	ds_load_b32 v65, v50 offset:3840
	s_wait_dscnt 0x3
	v_add_f32_e32 v20, v20, v64
	s_delay_alu instid0(VALU_DEP_1) | instskip(SKIP_1) | instid1(VALU_DEP_1)
	v_add_f32_e32 v20, v21, v20
	s_wait_dscnt 0x2
	v_add_f32_e32 v20, v22, v20
	s_delay_alu instid0(VALU_DEP_1) | instskip(SKIP_1) | instid1(VALU_DEP_1)
	v_add_f32_e32 v20, v23, v20
	;; [unrolled: 4-line block ×3, first 2 shown]
	s_wait_dscnt 0x0
	v_add_f32_e32 v21, v65, v20
	s_or_b32 exec_lo, exec_lo, s97
	s_delay_alu instid0(SALU_CYCLE_1)
	s_and_b32 vcc_lo, exec_lo, s9
	s_cbranch_vccnz .LBB4_1105
	s_branch .LBB4_1142
.LBB4_1104:                             ;   in Loop: Header=BB4_3 Depth=1
	s_mov_b32 s96, 0
                                        ; implicit-def: $vgpr21
	s_cbranch_execz .LBB4_1142
.LBB4_1105:                             ;   in Loop: Header=BB4_3 Depth=1
	v_dual_mov_b32 v20, v58 :: v_dual_mov_b32 v21, v57
	s_mov_b32 s9, 63
	s_branch .LBB4_1107
.LBB4_1106:                             ;   in Loop: Header=BB4_1107 Depth=2
	s_or_b32 exec_lo, exec_lo, s10
	v_add_nc_u32_e32 v21, 0xfffffc00, v21
	v_add_nc_u32_e32 v20, 4, v20
	s_add_co_i32 s9, s9, -4
	s_cmp_lg_u32 s97, 0
	s_barrier_signal -1
	s_barrier_wait -1
	s_cbranch_scc0 .LBB4_1123
.LBB4_1107:                             ;   Parent Loop BB4_3 Depth=1
                                        ; =>  This Inner Loop Header: Depth=2
	s_delay_alu instid0(VALU_DEP_1) | instskip(SKIP_1) | instid1(SALU_CYCLE_1)
	v_cmp_eq_u32_e32 vcc_lo, 0, v20
	s_and_b32 s11, s7, vcc_lo
	s_and_saveexec_b32 s10, s11
	s_cbranch_execz .LBB4_1109
; %bb.1108:                             ;   in Loop: Header=BB4_1107 Depth=2
	ds_load_b32 v22, v53
	s_wait_dscnt 0x0
	v_mul_f32_e32 v63, v63, v22
	ds_store_b32 v5, v63 offset:20736
.LBB4_1109:                             ;   in Loop: Header=BB4_1107 Depth=2
	s_or_b32 exec_lo, exec_lo, s10
	v_cmp_gt_u32_e32 vcc_lo, s9, v2
	s_wait_dscnt 0x0
	s_barrier_signal -1
	s_barrier_wait -1
	s_and_b32 s11, s7, vcc_lo
	s_delay_alu instid0(SALU_CYCLE_1)
	s_and_saveexec_b32 s10, s11
	s_cbranch_execz .LBB4_1111
; %bb.1110:                             ;   in Loop: Header=BB4_1107 Depth=2
	ds_load_b32 v22, v21 offset:768
	ds_load_b32 v23, v5 offset:20736
	s_wait_dscnt 0x0
	v_fmac_f32_e32 v63, v22, v23
.LBB4_1111:                             ;   in Loop: Header=BB4_1107 Depth=2
	s_or_b32 exec_lo, exec_lo, s10
	s_add_co_i32 s10, s9, -1
	s_delay_alu instid0(SALU_CYCLE_1) | instskip(SKIP_3) | instid1(SALU_CYCLE_1)
	v_cmp_eq_u32_e32 vcc_lo, s10, v2
	s_barrier_signal -1
	s_barrier_wait -1
	s_and_b32 s12, s7, vcc_lo
	s_and_saveexec_b32 s11, s12
	s_cbranch_execz .LBB4_1113
; %bb.1112:                             ;   in Loop: Header=BB4_1107 Depth=2
	ds_load_b32 v22, v53
	s_wait_dscnt 0x0
	v_mul_f32_e32 v63, v63, v22
	ds_store_b32 v5, v63 offset:20736
.LBB4_1113:                             ;   in Loop: Header=BB4_1107 Depth=2
	s_or_b32 exec_lo, exec_lo, s11
	v_cmp_gt_u32_e32 vcc_lo, s10, v2
	s_wait_dscnt 0x0
	s_barrier_signal -1
	s_barrier_wait -1
	s_and_b32 s11, s7, vcc_lo
	s_delay_alu instid0(SALU_CYCLE_1)
	s_and_saveexec_b32 s10, s11
	s_cbranch_execz .LBB4_1115
; %bb.1114:                             ;   in Loop: Header=BB4_1107 Depth=2
	ds_load_b32 v22, v21 offset:512
	ds_load_b32 v23, v5 offset:20736
	s_wait_dscnt 0x0
	v_fmac_f32_e32 v63, v22, v23
.LBB4_1115:                             ;   in Loop: Header=BB4_1107 Depth=2
	s_or_b32 exec_lo, exec_lo, s10
	s_add_co_i32 s10, s9, -2
	s_delay_alu instid0(SALU_CYCLE_1) | instskip(SKIP_3) | instid1(SALU_CYCLE_1)
	v_cmp_eq_u32_e32 vcc_lo, s10, v2
	s_barrier_signal -1
	s_barrier_wait -1
	;; [unrolled: 30-line block ×3, first 2 shown]
	s_and_b32 s11, s7, vcc_lo
	s_and_saveexec_b32 s10, s11
	s_cbranch_execz .LBB4_1121
; %bb.1120:                             ;   in Loop: Header=BB4_1107 Depth=2
	ds_load_b32 v22, v53
	s_wait_dscnt 0x0
	v_mul_f32_e32 v63, v63, v22
	ds_store_b32 v5, v63 offset:20736
.LBB4_1121:                             ;   in Loop: Header=BB4_1107 Depth=2
	s_or_b32 exec_lo, exec_lo, s10
	v_cmp_gt_u32_e32 vcc_lo, s97, v2
	s_wait_dscnt 0x0
	s_barrier_signal -1
	s_barrier_wait -1
	s_and_b32 s11, s7, vcc_lo
	s_delay_alu instid0(SALU_CYCLE_1)
	s_and_saveexec_b32 s10, s11
	s_cbranch_execz .LBB4_1106
; %bb.1122:                             ;   in Loop: Header=BB4_1107 Depth=2
	ds_load_b32 v22, v21
	ds_load_b32 v23, v5 offset:20736
	s_wait_dscnt 0x0
	v_fmac_f32_e32 v63, v22, v23
	s_branch .LBB4_1106
.LBB4_1123:                             ;   in Loop: Header=BB4_3 Depth=1
	s_and_b32 vcc_lo, exec_lo, s102
	s_mov_b32 s9, -1
	s_cbranch_vccnz .LBB4_1143
; %bb.1124:                             ;   in Loop: Header=BB4_3 Depth=1
	s_and_not1_b32 vcc_lo, exec_lo, s9
	s_cbranch_vccz .LBB4_1144
.LBB4_1125:                             ;   in Loop: Header=BB4_3 Depth=1
	s_and_saveexec_b32 s9, s96
	s_cbranch_execz .LBB4_1127
.LBB4_1126:                             ;   in Loop: Header=BB4_3 Depth=1
	v_lshl_add_u64 v[20:21], v[10:11], 2, s[98:99]
	global_store_b32 v[20:21], v63, off
.LBB4_1127:                             ;   in Loop: Header=BB4_3 Depth=1
	s_wait_xcnt 0x0
	s_or_b32 exec_lo, exec_lo, s9
	global_wb scope:SCOPE_DEV
	s_wait_storecnt 0x0
	global_inv scope:SCOPE_DEV
	s_wait_loadcnt 0x0
	s_barrier_signal -1
	s_barrier_wait -1
	s_and_saveexec_b32 s9, s61
	s_cbranch_execz .LBB4_2
; %bb.1128:                             ;   in Loop: Header=BB4_3 Depth=1
	s_lshl_b64 s[10:11], s[88:89], 2
	s_delay_alu instid0(SALU_CYCLE_1)
	s_add_nc_u64 s[10:11], s[86:87], s[10:11]
	global_load_b32 v20, v5, s[10:11]
	s_wait_loadcnt 0x0
	v_add_nc_u32_e32 v20, 1, v20
	global_store_b32 v5, v20, s[10:11]
	s_branch .LBB4_2
.LBB4_1129:                             ;   in Loop: Header=BB4_3 Depth=1
	s_mov_b32 s11, exec_lo
	v_readlane_b32 s12, v70, 21
	s_and_b32 s12, s11, s12
	s_delay_alu instid0(SALU_CYCLE_1)
	s_xor_b32 s11, s12, s11
	s_mov_b32 exec_lo, s12
	s_cbranch_execz .LBB4_1131
; %bb.1130:                             ;   in Loop: Header=BB4_3 Depth=1
	v_readlane_b32 s10, v68, 3
	s_and_b32 s10, s10, exec_lo
.LBB4_1131:                             ;   in Loop: Header=BB4_3 Depth=1
	s_or_saveexec_b32 s11, s11
	v_mov_b32_e32 v20, 0
	s_xor_b32 exec_lo, exec_lo, s11
	s_cbranch_execz .LBB4_1133
; %bb.1132:                             ;   in Loop: Header=BB4_3 Depth=1
	v_lshl_add_u64 v[20:21], v[12:13], 2, s[96:97]
	s_or_b32 s10, s10, exec_lo
	global_load_b32 v20, v[20:21], off
	s_wait_loadcnt 0x0
	v_div_scale_f32 v21, null, v20, v20, 1.0
	s_delay_alu instid0(VALU_DEP_1) | instskip(SKIP_1) | instid1(TRANS32_DEP_1)
	v_rcp_f32_e32 v23, v21
	v_nop
	v_fma_f32 v24, -v21, v23, 1.0
	s_delay_alu instid0(VALU_DEP_1) | instskip(SKIP_1) | instid1(VALU_DEP_1)
	v_fmac_f32_e32 v23, v24, v23
	v_div_scale_f32 v24, vcc_lo, 1.0, v20, 1.0
	v_mul_f32_e32 v25, v24, v23
	s_delay_alu instid0(VALU_DEP_1) | instskip(NEXT) | instid1(VALU_DEP_1)
	v_fma_f32 v63, -v21, v25, v24
	v_fmac_f32_e32 v25, v63, v23
	s_delay_alu instid0(VALU_DEP_1) | instskip(NEXT) | instid1(VALU_DEP_1)
	v_fma_f32 v21, -v21, v25, v24
	v_div_fmas_f32 v21, v21, v23, v25
	s_delay_alu instid0(VALU_DEP_1)
	v_div_fixup_f32 v20, v21, v20, 1.0
.LBB4_1133:                             ;   in Loop: Header=BB4_3 Depth=1
	s_or_b32 exec_lo, exec_lo, s11
	s_delay_alu instid0(SALU_CYCLE_1)
	s_and_b32 s10, s10, exec_lo
	s_and_not1_saveexec_b32 s9, s9
	s_cbranch_execz .LBB4_16
.LBB4_1134:                             ;   in Loop: Header=BB4_3 Depth=1
	v_lshl_add_u64 v[20:21], v[12:13], 2, s[96:97]
	s_or_b32 s10, s10, exec_lo
	global_load_b32 v20, v[20:21], off
	s_wait_loadcnt 0x0
	v_xor_b32_e32 v20, 0x80000000, v20
	s_or_b32 exec_lo, exec_lo, s9
	s_and_saveexec_b32 s9, s10
	s_cbranch_execnz .LBB4_17
	s_branch .LBB4_18
.LBB4_1135:                             ;   in Loop: Header=BB4_3 Depth=1
	s_mov_b32 s11, exec_lo
	v_readlane_b32 s12, v70, 22
	s_and_b32 s12, s11, s12
	s_delay_alu instid0(SALU_CYCLE_1)
	s_xor_b32 s11, s12, s11
	s_mov_b32 exec_lo, s12
	s_cbranch_execz .LBB4_1137
; %bb.1136:                             ;   in Loop: Header=BB4_3 Depth=1
	v_readlane_b32 s10, v68, 3
	s_and_b32 s10, s10, exec_lo
.LBB4_1137:                             ;   in Loop: Header=BB4_3 Depth=1
	s_or_saveexec_b32 s11, s11
	v_mov_b32_e32 v20, 0
	s_xor_b32 exec_lo, exec_lo, s11
	s_cbranch_execz .LBB4_1139
; %bb.1138:                             ;   in Loop: Header=BB4_3 Depth=1
	v_lshl_add_u64 v[20:21], v[12:13], 2, s[96:97]
	s_or_b32 s10, s10, exec_lo
	global_load_b32 v20, v[20:21], off
	s_wait_loadcnt 0x0
	v_div_scale_f32 v21, null, v20, v20, 1.0
	s_delay_alu instid0(VALU_DEP_1) | instskip(SKIP_1) | instid1(TRANS32_DEP_1)
	v_rcp_f32_e32 v23, v21
	v_nop
	v_fma_f32 v24, -v21, v23, 1.0
	s_delay_alu instid0(VALU_DEP_1) | instskip(SKIP_1) | instid1(VALU_DEP_1)
	v_fmac_f32_e32 v23, v24, v23
	v_div_scale_f32 v24, vcc_lo, 1.0, v20, 1.0
	v_mul_f32_e32 v25, v24, v23
	s_delay_alu instid0(VALU_DEP_1) | instskip(NEXT) | instid1(VALU_DEP_1)
	v_fma_f32 v63, -v21, v25, v24
	v_fmac_f32_e32 v25, v63, v23
	s_delay_alu instid0(VALU_DEP_1) | instskip(NEXT) | instid1(VALU_DEP_1)
	v_fma_f32 v21, -v21, v25, v24
	v_div_fmas_f32 v21, v21, v23, v25
	s_delay_alu instid0(VALU_DEP_1)
	v_div_fixup_f32 v20, v21, v20, 1.0
.LBB4_1139:                             ;   in Loop: Header=BB4_3 Depth=1
	s_or_b32 exec_lo, exec_lo, s11
	s_delay_alu instid0(SALU_CYCLE_1)
	s_and_b32 s10, s10, exec_lo
	s_and_not1_saveexec_b32 s9, s9
	s_cbranch_execz .LBB4_52
.LBB4_1140:                             ;   in Loop: Header=BB4_3 Depth=1
	v_lshl_add_u64 v[20:21], v[12:13], 2, s[96:97]
	s_or_b32 s10, s10, exec_lo
	global_load_b32 v20, v[20:21], off
	s_wait_loadcnt 0x0
	v_xor_b32_e32 v20, 0x80000000, v20
	s_or_b32 exec_lo, exec_lo, s9
	s_and_saveexec_b32 s9, s10
	s_cbranch_execnz .LBB4_53
	s_branch .LBB4_54
.LBB4_1141:                             ;   in Loop: Header=BB4_3 Depth=1
	s_or_b32 exec_lo, exec_lo, s97
	s_delay_alu instid0(SALU_CYCLE_1)
	s_and_b32 vcc_lo, exec_lo, s9
	s_cbranch_vccnz .LBB4_1105
.LBB4_1142:                             ;   in Loop: Header=BB4_3 Depth=1
	v_mov_b32_e32 v63, v21
	s_and_saveexec_b32 s9, s96
	s_cbranch_execnz .LBB4_1126
	s_branch .LBB4_1127
.LBB4_1143:                             ;   in Loop: Header=BB4_3 Depth=1
	s_and_not1_b32 s10, s96, exec_lo
	s_and_b32 s11, s7, exec_lo
	s_delay_alu instid0(SALU_CYCLE_1)
	s_or_b32 s96, s10, s11
	s_cbranch_execnz .LBB4_1125
.LBB4_1144:                             ;   in Loop: Header=BB4_3 Depth=1
	v_readlane_b32 s10, v70, 8
	s_and_not1_b32 s9, s96, exec_lo
	s_and_b32 s10, s10, exec_lo
	s_delay_alu instid0(SALU_CYCLE_1) | instskip(NEXT) | instid1(SALU_CYCLE_1)
	s_or_b32 s96, s9, s10
	s_and_saveexec_b32 s9, s96
	s_cbranch_execnz .LBB4_1126
	s_branch .LBB4_1127
.LBB4_1145:                             ;   in Loop: Header=BB4_3 Depth=1
	ds_load_b32 v21, v33 offset:15840
	ds_load_b32 v23, v32 offset:16372
	s_wait_dscnt 0x0
	v_fmac_f32_e32 v20, v21, v23
	s_or_b32 exec_lo, exec_lo, s10
	s_and_saveexec_b32 s10, s20
	s_cbranch_execz .LBB4_105
.LBB4_1146:                             ;   in Loop: Header=BB4_3 Depth=1
	ds_load_b32 v21, v33 offset:16096
	ds_load_b32 v23, v32 offset:16376
	s_wait_dscnt 0x0
	v_fmac_f32_e32 v20, v21, v23
	s_or_b32 exec_lo, exec_lo, s10
	s_and_saveexec_b32 s10, s2
	s_cbranch_execnz .LBB4_106
	s_branch .LBB4_107
.LBB4_1147:                             ;   in Loop: Header=BB4_3 Depth=1
	ds_load_b32 v21, v37 offset:14784
	ds_load_b32 v23, v36 offset:16356
	s_wait_dscnt 0x0
	v_fmac_f32_e32 v20, v21, v23
	s_or_b32 exec_lo, exec_lo, s10
	s_and_saveexec_b32 s10, s22
	s_cbranch_execz .LBB4_143
.LBB4_1148:                             ;   in Loop: Header=BB4_3 Depth=1
	ds_load_b32 v21, v37 offset:15040
	ds_load_b32 v23, v36 offset:16360
	s_wait_dscnt 0x0
	v_fmac_f32_e32 v20, v21, v23
	s_or_b32 exec_lo, exec_lo, s10
	s_and_saveexec_b32 s10, s23
	s_cbranch_execz .LBB4_144
.LBB4_1149:                             ;   in Loop: Header=BB4_3 Depth=1
	ds_load_b32 v21, v37 offset:15296
	ds_load_b32 v23, v36 offset:16364
	s_wait_dscnt 0x0
	v_fmac_f32_e32 v20, v21, v23
	s_or_b32 exec_lo, exec_lo, s10
	s_and_saveexec_b32 s10, s24
	s_cbranch_execz .LBB4_145
.LBB4_1150:                             ;   in Loop: Header=BB4_3 Depth=1
	ds_load_b32 v21, v37 offset:15552
	ds_load_b32 v23, v36 offset:16368
	s_wait_dscnt 0x0
	v_fmac_f32_e32 v20, v21, v23
	s_or_b32 exec_lo, exec_lo, s10
	s_and_saveexec_b32 s10, s25
	s_cbranch_execz .LBB4_146
.LBB4_1151:                             ;   in Loop: Header=BB4_3 Depth=1
	ds_load_b32 v21, v37 offset:15808
	ds_load_b32 v23, v36 offset:16372
	s_wait_dscnt 0x0
	v_fmac_f32_e32 v20, v21, v23
	s_or_b32 exec_lo, exec_lo, s10
	s_and_saveexec_b32 s10, s3
	s_cbranch_execz .LBB4_147
.LBB4_1152:                             ;   in Loop: Header=BB4_3 Depth=1
	ds_load_b32 v21, v37 offset:16064
	ds_load_b32 v23, v36 offset:16376
	s_wait_dscnt 0x0
	v_fmac_f32_e32 v20, v21, v23
	s_or_b32 exec_lo, exec_lo, s10
	s_and_saveexec_b32 s10, s20
	s_cbranch_execnz .LBB4_148
	s_branch .LBB4_149
.LBB4_1153:                             ;   in Loop: Header=BB4_3 Depth=1
	ds_load_b32 v21, v33 offset:13760
	ds_load_b32 v23, v32 offset:14292
	s_wait_dscnt 0x0
	v_fmac_f32_e32 v20, v21, v23
	s_or_b32 exec_lo, exec_lo, s10
	s_and_saveexec_b32 s10, s20
	s_cbranch_execz .LBB4_201
.LBB4_1154:                             ;   in Loop: Header=BB4_3 Depth=1
	ds_load_b32 v21, v33 offset:14016
	ds_load_b32 v23, v32 offset:14296
	s_wait_dscnt 0x0
	v_fmac_f32_e32 v20, v21, v23
	s_or_b32 exec_lo, exec_lo, s10
	s_and_saveexec_b32 s10, s2
	s_cbranch_execnz .LBB4_202
	s_branch .LBB4_203
.LBB4_1155:                             ;   in Loop: Header=BB4_3 Depth=1
	ds_load_b32 v21, v41 offset:15232
	ds_load_b32 v23, v40 offset:16364
	s_wait_dscnt 0x0
	v_fmac_f32_e32 v20, v21, v23
	s_or_b32 exec_lo, exec_lo, s10
	s_and_saveexec_b32 s10, s4
	s_cbranch_execz .LBB4_259
.LBB4_1156:                             ;   in Loop: Header=BB4_3 Depth=1
	ds_load_b32 v21, v41 offset:15488
	ds_load_b32 v23, v40 offset:16368
	s_wait_dscnt 0x0
	v_fmac_f32_e32 v20, v21, v23
	s_or_b32 exec_lo, exec_lo, s10
	s_and_saveexec_b32 s10, s22
	s_cbranch_execz .LBB4_260
.LBB4_1157:                             ;   in Loop: Header=BB4_3 Depth=1
	ds_load_b32 v21, v41 offset:15744
	ds_load_b32 v23, v40 offset:16372
	s_wait_dscnt 0x0
	v_fmac_f32_e32 v20, v21, v23
	s_or_b32 exec_lo, exec_lo, s10
	s_and_saveexec_b32 s10, s24
	s_cbranch_execz .LBB4_261
.LBB4_1158:                             ;   in Loop: Header=BB4_3 Depth=1
	ds_load_b32 v21, v41 offset:16000
	ds_load_b32 v23, v40 offset:16376
	s_wait_dscnt 0x0
	v_fmac_f32_e32 v20, v21, v23
	s_or_b32 exec_lo, exec_lo, s10
	s_and_saveexec_b32 s10, s3
	s_cbranch_execnz .LBB4_262
	s_branch .LBB4_263
.LBB4_1159:                             ;   in Loop: Header=BB4_3 Depth=1
	ds_load_b32 v21, v33 offset:11680
	ds_load_b32 v23, v32 offset:12212
	s_wait_dscnt 0x0
	v_fmac_f32_e32 v20, v21, v23
	s_or_b32 exec_lo, exec_lo, s10
	s_and_saveexec_b32 s10, s20
	s_cbranch_execz .LBB4_347
.LBB4_1160:                             ;   in Loop: Header=BB4_3 Depth=1
	ds_load_b32 v21, v33 offset:11936
	ds_load_b32 v23, v32 offset:12216
	s_wait_dscnt 0x0
	v_fmac_f32_e32 v20, v21, v23
	s_or_b32 exec_lo, exec_lo, s10
	s_and_saveexec_b32 s10, s2
	s_cbranch_execnz .LBB4_348
	s_branch .LBB4_349
.LBB4_1161:                             ;   in Loop: Header=BB4_3 Depth=1
	ds_load_b32 v21, v37 offset:10624
	ds_load_b32 v23, v36 offset:12196
	s_wait_dscnt 0x0
	v_fmac_f32_e32 v20, v21, v23
	s_or_b32 exec_lo, exec_lo, s10
	s_and_saveexec_b32 s10, s22
	s_cbranch_execz .LBB4_385
.LBB4_1162:                             ;   in Loop: Header=BB4_3 Depth=1
	ds_load_b32 v21, v37 offset:10880
	ds_load_b32 v23, v36 offset:12200
	s_wait_dscnt 0x0
	v_fmac_f32_e32 v20, v21, v23
	s_or_b32 exec_lo, exec_lo, s10
	s_and_saveexec_b32 s10, s23
	s_cbranch_execz .LBB4_386
.LBB4_1163:                             ;   in Loop: Header=BB4_3 Depth=1
	ds_load_b32 v21, v37 offset:11136
	ds_load_b32 v23, v36 offset:12204
	s_wait_dscnt 0x0
	v_fmac_f32_e32 v20, v21, v23
	s_or_b32 exec_lo, exec_lo, s10
	s_and_saveexec_b32 s10, s24
	s_cbranch_execz .LBB4_387
.LBB4_1164:                             ;   in Loop: Header=BB4_3 Depth=1
	ds_load_b32 v21, v37 offset:11392
	ds_load_b32 v23, v36 offset:12208
	s_wait_dscnt 0x0
	v_fmac_f32_e32 v20, v21, v23
	s_or_b32 exec_lo, exec_lo, s10
	s_and_saveexec_b32 s10, s25
	s_cbranch_execz .LBB4_388
.LBB4_1165:                             ;   in Loop: Header=BB4_3 Depth=1
	ds_load_b32 v21, v37 offset:11648
	ds_load_b32 v23, v36 offset:12212
	s_wait_dscnt 0x0
	v_fmac_f32_e32 v20, v21, v23
	s_or_b32 exec_lo, exec_lo, s10
	s_and_saveexec_b32 s10, s3
	s_cbranch_execz .LBB4_389
.LBB4_1166:                             ;   in Loop: Header=BB4_3 Depth=1
	ds_load_b32 v21, v37 offset:11904
	ds_load_b32 v23, v36 offset:12216
	s_wait_dscnt 0x0
	v_fmac_f32_e32 v20, v21, v23
	s_or_b32 exec_lo, exec_lo, s10
	s_and_saveexec_b32 s10, s20
	s_cbranch_execnz .LBB4_390
	s_branch .LBB4_391
.LBB4_1167:                             ;   in Loop: Header=BB4_3 Depth=1
	ds_load_b32 v21, v33 offset:9600
	ds_load_b32 v23, v32 offset:10132
	s_wait_dscnt 0x0
	v_fmac_f32_e32 v20, v21, v23
	s_or_b32 exec_lo, exec_lo, s10
	s_and_saveexec_b32 s10, s20
	s_cbranch_execz .LBB4_443
.LBB4_1168:                             ;   in Loop: Header=BB4_3 Depth=1
	ds_load_b32 v21, v33 offset:9856
	ds_load_b32 v23, v32 offset:10136
	s_wait_dscnt 0x0
	v_fmac_f32_e32 v20, v21, v23
	s_or_b32 exec_lo, exec_lo, s10
	s_and_saveexec_b32 s10, s2
	s_cbranch_execnz .LBB4_444
	s_branch .LBB4_445
.LBB4_1169:                             ;   in Loop: Header=BB4_3 Depth=1
	ds_load_b32 v21, v45 offset:15616
	ds_load_b32 v23, v44 offset:16372
	s_wait_dscnt 0x0
	v_fmac_f32_e32 v20, v21, v23
	s_or_b32 exec_lo, exec_lo, s9
	s_and_saveexec_b32 s9, s4
	s_cbranch_execz .LBB4_537
.LBB4_1170:                             ;   in Loop: Header=BB4_3 Depth=1
	ds_load_b32 v21, v45 offset:15872
	ds_load_b32 v23, v44 offset:16376
	s_wait_dscnt 0x0
	v_fmac_f32_e32 v20, v21, v23
	s_or_b32 exec_lo, exec_lo, s9
	s_and_saveexec_b32 s9, s24
	s_cbranch_execnz .LBB4_538
	s_branch .LBB4_539
.LBB4_1171:                             ;   in Loop: Header=BB4_3 Depth=1
	ds_load_b32 v21, v33 offset:7520
	ds_load_b32 v23, v32 offset:8052
	s_wait_dscnt 0x0
	v_fmac_f32_e32 v20, v21, v23
	s_or_b32 exec_lo, exec_lo, s10
	s_and_saveexec_b32 s10, s20
	s_cbranch_execz .LBB4_687
.LBB4_1172:                             ;   in Loop: Header=BB4_3 Depth=1
	ds_load_b32 v21, v33 offset:7776
	ds_load_b32 v23, v32 offset:8056
	s_wait_dscnt 0x0
	v_fmac_f32_e32 v20, v21, v23
	s_or_b32 exec_lo, exec_lo, s10
	s_and_saveexec_b32 s10, s2
	s_cbranch_execnz .LBB4_688
	s_branch .LBB4_689
.LBB4_1173:                             ;   in Loop: Header=BB4_3 Depth=1
	ds_load_b32 v21, v37 offset:6464
	ds_load_b32 v23, v36 offset:8036
	s_wait_dscnt 0x0
	v_fmac_f32_e32 v20, v21, v23
	s_or_b32 exec_lo, exec_lo, s10
	s_and_saveexec_b32 s10, s22
	s_cbranch_execz .LBB4_725
.LBB4_1174:                             ;   in Loop: Header=BB4_3 Depth=1
	ds_load_b32 v21, v37 offset:6720
	ds_load_b32 v23, v36 offset:8040
	s_wait_dscnt 0x0
	v_fmac_f32_e32 v20, v21, v23
	s_or_b32 exec_lo, exec_lo, s10
	s_and_saveexec_b32 s10, s23
	s_cbranch_execz .LBB4_726
.LBB4_1175:                             ;   in Loop: Header=BB4_3 Depth=1
	ds_load_b32 v21, v37 offset:6976
	ds_load_b32 v23, v36 offset:8044
	s_wait_dscnt 0x0
	v_fmac_f32_e32 v20, v21, v23
	s_or_b32 exec_lo, exec_lo, s10
	s_and_saveexec_b32 s10, s24
	s_cbranch_execz .LBB4_727
.LBB4_1176:                             ;   in Loop: Header=BB4_3 Depth=1
	ds_load_b32 v21, v37 offset:7232
	ds_load_b32 v23, v36 offset:8048
	s_wait_dscnt 0x0
	v_fmac_f32_e32 v20, v21, v23
	s_or_b32 exec_lo, exec_lo, s10
	s_and_saveexec_b32 s10, s25
	s_cbranch_execz .LBB4_728
.LBB4_1177:                             ;   in Loop: Header=BB4_3 Depth=1
	ds_load_b32 v21, v37 offset:7488
	ds_load_b32 v23, v36 offset:8052
	s_wait_dscnt 0x0
	v_fmac_f32_e32 v20, v21, v23
	s_or_b32 exec_lo, exec_lo, s10
	s_and_saveexec_b32 s10, s3
	s_cbranch_execz .LBB4_729
.LBB4_1178:                             ;   in Loop: Header=BB4_3 Depth=1
	ds_load_b32 v21, v37 offset:7744
	ds_load_b32 v23, v36 offset:8056
	s_wait_dscnt 0x0
	v_fmac_f32_e32 v20, v21, v23
	s_or_b32 exec_lo, exec_lo, s10
	s_and_saveexec_b32 s10, s20
	s_cbranch_execnz .LBB4_730
	s_branch .LBB4_731
.LBB4_1179:                             ;   in Loop: Header=BB4_3 Depth=1
	ds_load_b32 v21, v33 offset:5440
	ds_load_b32 v23, v32 offset:5972
	s_wait_dscnt 0x0
	v_fmac_f32_e32 v20, v21, v23
	s_or_b32 exec_lo, exec_lo, s10
	s_and_saveexec_b32 s10, s20
	s_cbranch_execz .LBB4_783
.LBB4_1180:                             ;   in Loop: Header=BB4_3 Depth=1
	ds_load_b32 v21, v33 offset:5696
	ds_load_b32 v23, v32 offset:5976
	s_wait_dscnt 0x0
	v_fmac_f32_e32 v20, v21, v23
	s_or_b32 exec_lo, exec_lo, s10
	s_and_saveexec_b32 s10, s2
	s_cbranch_execnz .LBB4_784
	s_branch .LBB4_785
.LBB4_1181:                             ;   in Loop: Header=BB4_3 Depth=1
	ds_load_b32 v21, v41 offset:6912
	ds_load_b32 v23, v40 offset:8044
	s_wait_dscnt 0x0
	v_fmac_f32_e32 v20, v21, v23
	s_or_b32 exec_lo, exec_lo, s10
	s_and_saveexec_b32 s10, s4
	s_cbranch_execz .LBB4_841
.LBB4_1182:                             ;   in Loop: Header=BB4_3 Depth=1
	ds_load_b32 v21, v41 offset:7168
	ds_load_b32 v23, v40 offset:8048
	s_wait_dscnt 0x0
	v_fmac_f32_e32 v20, v21, v23
	s_or_b32 exec_lo, exec_lo, s10
	s_and_saveexec_b32 s10, s22
	s_cbranch_execz .LBB4_842
.LBB4_1183:                             ;   in Loop: Header=BB4_3 Depth=1
	ds_load_b32 v21, v41 offset:7424
	ds_load_b32 v23, v40 offset:8052
	s_wait_dscnt 0x0
	v_fmac_f32_e32 v20, v21, v23
	s_or_b32 exec_lo, exec_lo, s10
	s_and_saveexec_b32 s10, s24
	s_cbranch_execz .LBB4_843
.LBB4_1184:                             ;   in Loop: Header=BB4_3 Depth=1
	ds_load_b32 v21, v41 offset:7680
	ds_load_b32 v23, v40 offset:8056
	s_wait_dscnt 0x0
	v_fmac_f32_e32 v20, v21, v23
	s_or_b32 exec_lo, exec_lo, s10
	s_and_saveexec_b32 s10, s3
	s_cbranch_execnz .LBB4_844
	s_branch .LBB4_845
.LBB4_1185:                             ;   in Loop: Header=BB4_3 Depth=1
	ds_load_b32 v21, v33 offset:3360
	ds_load_b32 v23, v32 offset:3892
	s_wait_dscnt 0x0
	v_fmac_f32_e32 v20, v21, v23
	s_or_b32 exec_lo, exec_lo, s10
	s_and_saveexec_b32 s10, s20
	s_cbranch_execz .LBB4_929
.LBB4_1186:                             ;   in Loop: Header=BB4_3 Depth=1
	ds_load_b32 v21, v33 offset:3616
	ds_load_b32 v23, v32 offset:3896
	s_wait_dscnt 0x0
	v_fmac_f32_e32 v20, v21, v23
	s_or_b32 exec_lo, exec_lo, s10
	s_and_saveexec_b32 s10, s2
	s_cbranch_execnz .LBB4_930
	s_branch .LBB4_931
.LBB4_1187:                             ;   in Loop: Header=BB4_3 Depth=1
	ds_load_b32 v21, v37 offset:2304
	ds_load_b32 v23, v36 offset:3876
	s_wait_dscnt 0x0
	v_fmac_f32_e32 v20, v21, v23
	s_or_b32 exec_lo, exec_lo, s10
	s_and_saveexec_b32 s10, s22
	s_cbranch_execz .LBB4_967
.LBB4_1188:                             ;   in Loop: Header=BB4_3 Depth=1
	ds_load_b32 v21, v37 offset:2560
	ds_load_b32 v23, v36 offset:3880
	s_wait_dscnt 0x0
	v_fmac_f32_e32 v20, v21, v23
	s_or_b32 exec_lo, exec_lo, s10
	s_and_saveexec_b32 s10, s23
	s_cbranch_execz .LBB4_968
.LBB4_1189:                             ;   in Loop: Header=BB4_3 Depth=1
	ds_load_b32 v21, v37 offset:2816
	ds_load_b32 v23, v36 offset:3884
	s_wait_dscnt 0x0
	v_fmac_f32_e32 v20, v21, v23
	s_or_b32 exec_lo, exec_lo, s10
	s_and_saveexec_b32 s10, s24
	s_cbranch_execz .LBB4_969
.LBB4_1190:                             ;   in Loop: Header=BB4_3 Depth=1
	ds_load_b32 v21, v37 offset:3072
	ds_load_b32 v23, v36 offset:3888
	s_wait_dscnt 0x0
	v_fmac_f32_e32 v20, v21, v23
	s_or_b32 exec_lo, exec_lo, s10
	s_and_saveexec_b32 s10, s25
	s_cbranch_execz .LBB4_970
.LBB4_1191:                             ;   in Loop: Header=BB4_3 Depth=1
	ds_load_b32 v21, v37 offset:3328
	ds_load_b32 v23, v36 offset:3892
	s_wait_dscnt 0x0
	v_fmac_f32_e32 v20, v21, v23
	s_or_b32 exec_lo, exec_lo, s10
	s_and_saveexec_b32 s10, s3
	s_cbranch_execz .LBB4_971
.LBB4_1192:                             ;   in Loop: Header=BB4_3 Depth=1
	ds_load_b32 v21, v37 offset:3584
	ds_load_b32 v23, v36 offset:3896
	s_wait_dscnt 0x0
	v_fmac_f32_e32 v20, v21, v23
	s_or_b32 exec_lo, exec_lo, s10
	s_and_saveexec_b32 s10, s20
	s_cbranch_execnz .LBB4_972
	s_branch .LBB4_973
.LBB4_1193:                             ;   in Loop: Header=BB4_3 Depth=1
	ds_load_b32 v21, v33 offset:1280
	ds_load_b32 v23, v32 offset:1812
	s_wait_dscnt 0x0
	v_fmac_f32_e32 v20, v21, v23
	s_or_b32 exec_lo, exec_lo, s10
	s_and_saveexec_b32 s10, s20
	s_cbranch_execz .LBB4_1025
.LBB4_1194:                             ;   in Loop: Header=BB4_3 Depth=1
	ds_load_b32 v21, v33 offset:1536
	ds_load_b32 v23, v32 offset:1816
	s_wait_dscnt 0x0
	v_fmac_f32_e32 v20, v21, v23
	s_or_b32 exec_lo, exec_lo, s10
	s_and_saveexec_b32 s10, s2
	s_cbranch_execnz .LBB4_1026
	s_branch .LBB4_1027
.LBB4_1195:
	s_endpgm
	.section	.rodata,"a",@progbits
	.p2align	6, 0x0
	.amdhsa_kernel _ZL19rocblas_trsv_deviceILi64ELi16ELb0ELb0ELb0ELb0EfPKfS1_PfEviT7_lllT6_T8_lllPii
		.amdhsa_group_segment_fixed_size 20740
		.amdhsa_private_segment_fixed_size 0
		.amdhsa_kernarg_size 352
		.amdhsa_user_sgpr_count 2
		.amdhsa_user_sgpr_dispatch_ptr 0
		.amdhsa_user_sgpr_queue_ptr 0
		.amdhsa_user_sgpr_kernarg_segment_ptr 1
		.amdhsa_user_sgpr_dispatch_id 0
		.amdhsa_user_sgpr_kernarg_preload_length 0
		.amdhsa_user_sgpr_kernarg_preload_offset 0
		.amdhsa_user_sgpr_private_segment_size 0
		.amdhsa_wavefront_size32 1
		.amdhsa_uses_dynamic_stack 0
		.amdhsa_enable_private_segment 0
		.amdhsa_system_sgpr_workgroup_id_x 1
		.amdhsa_system_sgpr_workgroup_id_y 0
		.amdhsa_system_sgpr_workgroup_id_z 1
		.amdhsa_system_sgpr_workgroup_info 0
		.amdhsa_system_vgpr_workitem_id 1
		.amdhsa_next_free_vgpr 73
		.amdhsa_next_free_sgpr 105
		.amdhsa_named_barrier_count 0
		.amdhsa_reserve_vcc 1
		.amdhsa_float_round_mode_32 0
		.amdhsa_float_round_mode_16_64 0
		.amdhsa_float_denorm_mode_32 3
		.amdhsa_float_denorm_mode_16_64 3
		.amdhsa_fp16_overflow 0
		.amdhsa_memory_ordered 1
		.amdhsa_forward_progress 1
		.amdhsa_inst_pref_size 255
		.amdhsa_round_robin_scheduling 0
		.amdhsa_exception_fp_ieee_invalid_op 0
		.amdhsa_exception_fp_denorm_src 0
		.amdhsa_exception_fp_ieee_div_zero 0
		.amdhsa_exception_fp_ieee_overflow 0
		.amdhsa_exception_fp_ieee_underflow 0
		.amdhsa_exception_fp_ieee_inexact 0
		.amdhsa_exception_int_div_zero 0
	.end_amdhsa_kernel
	.section	.text._ZL19rocblas_trsv_deviceILi64ELi16ELb0ELb0ELb0ELb0EfPKfS1_PfEviT7_lllT6_T8_lllPii,"axG",@progbits,_ZL19rocblas_trsv_deviceILi64ELi16ELb0ELb0ELb0ELb0EfPKfS1_PfEviT7_lllT6_T8_lllPii,comdat
.Lfunc_end4:
	.size	_ZL19rocblas_trsv_deviceILi64ELi16ELb0ELb0ELb0ELb0EfPKfS1_PfEviT7_lllT6_T8_lllPii, .Lfunc_end4-_ZL19rocblas_trsv_deviceILi64ELi16ELb0ELb0ELb0ELb0EfPKfS1_PfEviT7_lllT6_T8_lllPii
                                        ; -- End function
	.set _ZL19rocblas_trsv_deviceILi64ELi16ELb0ELb0ELb0ELb0EfPKfS1_PfEviT7_lllT6_T8_lllPii.num_vgpr, 73
	.set _ZL19rocblas_trsv_deviceILi64ELi16ELb0ELb0ELb0ELb0EfPKfS1_PfEviT7_lllT6_T8_lllPii.num_agpr, 0
	.set _ZL19rocblas_trsv_deviceILi64ELi16ELb0ELb0ELb0ELb0EfPKfS1_PfEviT7_lllT6_T8_lllPii.numbered_sgpr, 105
	.set _ZL19rocblas_trsv_deviceILi64ELi16ELb0ELb0ELb0ELb0EfPKfS1_PfEviT7_lllT6_T8_lllPii.num_named_barrier, 0
	.set _ZL19rocblas_trsv_deviceILi64ELi16ELb0ELb0ELb0ELb0EfPKfS1_PfEviT7_lllT6_T8_lllPii.private_seg_size, 0
	.set _ZL19rocblas_trsv_deviceILi64ELi16ELb0ELb0ELb0ELb0EfPKfS1_PfEviT7_lllT6_T8_lllPii.uses_vcc, 1
	.set _ZL19rocblas_trsv_deviceILi64ELi16ELb0ELb0ELb0ELb0EfPKfS1_PfEviT7_lllT6_T8_lllPii.uses_flat_scratch, 0
	.set _ZL19rocblas_trsv_deviceILi64ELi16ELb0ELb0ELb0ELb0EfPKfS1_PfEviT7_lllT6_T8_lllPii.has_dyn_sized_stack, 0
	.set _ZL19rocblas_trsv_deviceILi64ELi16ELb0ELb0ELb0ELb0EfPKfS1_PfEviT7_lllT6_T8_lllPii.has_recursion, 0
	.set _ZL19rocblas_trsv_deviceILi64ELi16ELb0ELb0ELb0ELb0EfPKfS1_PfEviT7_lllT6_T8_lllPii.has_indirect_call, 0
	.section	.AMDGPU.csdata,"",@progbits
; Kernel info:
; codeLenInByte = 38388
; TotalNumSgprs: 107
; NumVgprs: 73
; ScratchSize: 0
; MemoryBound: 0
; FloatMode: 240
; IeeeMode: 1
; LDSByteSize: 20740 bytes/workgroup (compile time only)
; SGPRBlocks: 0
; VGPRBlocks: 4
; NumSGPRsForWavesPerEU: 107
; NumVGPRsForWavesPerEU: 73
; NamedBarCnt: 0
; Occupancy: 12
; WaveLimiterHint : 0
; COMPUTE_PGM_RSRC2:SCRATCH_EN: 0
; COMPUTE_PGM_RSRC2:USER_SGPR: 2
; COMPUTE_PGM_RSRC2:TRAP_HANDLER: 0
; COMPUTE_PGM_RSRC2:TGID_X_EN: 1
; COMPUTE_PGM_RSRC2:TGID_Y_EN: 0
; COMPUTE_PGM_RSRC2:TGID_Z_EN: 1
; COMPUTE_PGM_RSRC2:TIDIG_COMP_CNT: 1
	.section	.text._ZL19rocblas_trsv_deviceILi64ELi16ELb0ELb1ELb0ELb0EfPKfS1_PfEviT7_lllT6_T8_lllPii,"axG",@progbits,_ZL19rocblas_trsv_deviceILi64ELi16ELb0ELb1ELb0ELb0EfPKfS1_PfEviT7_lllT6_T8_lllPii,comdat
	.globl	_ZL19rocblas_trsv_deviceILi64ELi16ELb0ELb1ELb0ELb0EfPKfS1_PfEviT7_lllT6_T8_lllPii ; -- Begin function _ZL19rocblas_trsv_deviceILi64ELi16ELb0ELb1ELb0ELb0EfPKfS1_PfEviT7_lllT6_T8_lllPii
	.p2align	8
	.type	_ZL19rocblas_trsv_deviceILi64ELi16ELb0ELb1ELb0ELb0EfPKfS1_PfEviT7_lllT6_T8_lllPii,@function
_ZL19rocblas_trsv_deviceILi64ELi16ELb0ELb1ELb0ELb0EfPKfS1_PfEviT7_lllT6_T8_lllPii: ; @_ZL19rocblas_trsv_deviceILi64ELi16ELb0ELb1ELb0ELb0EfPKfS1_PfEviT7_lllT6_T8_lllPii
; %bb.0:
	s_load_b32 s6, s[0:1], 0x58
	s_bfe_u32 s2, ttmp6, 0x40014
	s_lshr_b32 s3, ttmp7, 16
	s_add_co_i32 s2, s2, 1
	s_bfe_u32 s5, ttmp6, 0x40008
	s_mul_i32 s4, s3, s2
	s_getreg_b32 s2, hwreg(HW_REG_IB_STS2, 6, 4)
	s_add_co_i32 s5, s5, s4
	s_cmp_eq_u32 s2, 0
	s_mov_b32 s81, 0
	s_cselect_b32 s80, s3, s5
                                        ; implicit-def: $vgpr87 : SGPR spill to VGPR lane
	s_wait_kmcnt 0x0
	s_cmp_ge_u32 s80, s6
	v_writelane_b32 v87, s6, 0
	s_cbranch_scc1 .LBB5_1257
; %bb.1:
	s_clause 0x2
	s_load_b512 s[60:75], s[0:1], 0x8
	s_load_b32 s3, s[0:1], 0x6c
	s_load_b32 s87, s[0:1], 0x0
	s_bfe_u32 s5, ttmp6, 0x4000c
	s_and_b32 s4, ttmp6, 15
	s_add_co_i32 s5, s5, 1
	s_load_b128 s[76:79], s[0:1], 0x48
	s_wait_xcnt 0x0
	s_mul_i32 s0, ttmp9, s5
	v_and_b32_e32 v4, 0x3ff, v0
	s_add_co_i32 s6, s4, s0
	v_bfe_u32 v28, v0, 10, 10
	v_mov_b32_e32 v3, 0
                                        ; implicit-def: $vgpr86 : SGPR spill to VGPR lane
                                        ; implicit-def: $vgpr85 : SGPR spill to VGPR lane
                                        ; implicit-def: $vgpr84 : SGPR spill to VGPR lane
                                        ; implicit-def: $vgpr76
                                        ; implicit-def: $vgpr77
	v_lshrrev_b32_e32 v19, 10, v0
	v_lshlrev_b32_e32 v1, 6, v4
	v_mul_i32_i24_e32 v73, 0xffffff04, v4
	v_lshl_add_u32 v24, v28, 6, v4
	v_dual_mov_b32 v7, v3 :: v_dual_mov_b32 v5, v3
	v_dual_add_nc_u32 v74, 32, v28 :: v_dual_add_nc_u32 v75, 48, v28
	s_wait_kmcnt 0x0
	s_lshl_b64 s[0:1], s[62:63], 2
	s_lshl_b64 s[4:5], s[72:73], 2
	s_cmp_eq_u32 s2, 0
	s_add_nc_u64 s[0:1], s[60:61], s[0:1]
	s_cselect_b32 s88, ttmp9, s6
	s_and_b32 s2, s3, 0xffff
	s_add_co_i32 s3, s87, -1
	s_ashr_i32 s6, s87, 31
	v_writelane_b32 v87, s0, 1
	s_ashr_i32 s7, s3, 31
	s_lshr_b32 s6, s6, 26
	s_lshr_b32 s7, s7, 26
	s_add_co_i32 s6, s87, s6
	s_add_co_i32 s3, s3, s7
	v_writelane_b32 v87, s1, 2
	s_and_not1_b32 s6, s6, 63
	s_ashr_i32 s3, s3, 6
	s_sub_co_i32 s15, s87, s6
	s_add_nc_u64 s[4:5], s[70:71], s[4:5]
	s_cmp_eq_u32 s3, s88
	v_writelane_b32 v87, s4, 3
	s_cselect_b32 s0, -1, 0
	s_cmp_lg_u32 s15, 0
	v_mad_u32_u24 v6, v28, s2, v4
	s_cselect_b32 s1, -1, 0
	v_writelane_b32 v87, s5, 4
	s_lshl_b32 s10, s88, 6
	v_sub_co_u32 v29, s2, s88, 1
	s_and_b32 s16, s1, s0
	v_dual_add_nc_u32 v2, v28, v1 :: v_dual_add_nc_u32 v18, s10, v28
	s_xor_b32 s0, s2, -1
	s_xor_b32 s90, s16, -1
	v_lshrrev_b32_e32 v13, 1, v24
	v_add_nc_u32_e32 v25, 16, v28
	v_add_nc_u32_e32 v16, s10, v4
	s_cmp_lt_i32 s88, 5
	v_writelane_b32 v87, s0, 5
	s_cselect_b32 vcc_lo, -1, 0
	s_add_nc_u64 s[0:1], s[64:65], 1
	v_subrev_nc_u32_e32 v8, 64, v18
	v_mad_nc_u64_u32 v[22:23], s0, s10, v[4:5]
	v_dual_add_nc_u32 v5, v25, v1 :: v_dual_ashrrev_i32 v17, 31, v16
	v_dual_cndmask_b32 v68, v24, v2, vcc_lo :: v_dual_lshlrev_b32 v2, 8, v13
	v_lshl_add_u32 v12, v25, 6, v4
	s_or_b32 vcc_lo, vcc_lo, s16
	v_ashrrev_i32_e32 v9, 31, v8
	v_lshl_add_u32 v21, v74, 6, v4
	s_delay_alu instid0(VALU_DEP_3)
	v_dual_cndmask_b32 v27, v12, v5 :: v_dual_sub_nc_u32 v30, 0, v2
	v_and_b32_e32 v12, 1, v0
	v_lshl_add_u32 v5, v13, 2, 0x4000
	s_ashr_i32 s11, s10, 31
	s_mul_i32 s1, s1, s10
	s_mul_i32 s0, s0, s11
	v_lshlrev_b32_e32 v31, 2, v12
	v_cmp_eq_u32_e64 s2, 1, v12
	v_cmp_eq_u32_e64 s3, 0, v12
	v_lshlrev_b32_e32 v12, 6, v24
	v_add3_u32 v23, s0, s1, v23
	v_cmp_gt_u32_e64 s0, 4, v24
	v_cmp_eq_u32_e64 s1, 0, v28
	v_cmp_gt_u32_e64 s4, 2, v4
	v_and_b32_e32 v12, 0xffffff00, v12
	v_lshrrev_b32_e32 v20, 5, v24
	s_and_b32 s92, s2, s0
	s_and_b32 s93, s3, s0
	v_cmp_gt_u32_e64 s2, 16, v24
	v_sub_nc_u32_e32 v36, 0, v12
	v_dual_lshlrev_b32 v32, 2, v4 :: v_dual_sub_nc_u32 v33, v31, v2
	v_and_b32_e32 v2, -4, v24
	s_and_b32 s94, s1, s4
	v_lshl_add_u32 v54, v75, 6, v4
	s_xor_b32 s91, vcc_lo, -1
	v_add_nc_u64_e32 v[14:15], s[10:11], v[6:7]
	v_add_nc_u32_e32 v35, 0x4000, v2
	v_lshrrev_b32_e32 v2, 3, v24
	v_and_b32_e32 v13, 3, v0
	v_bitop3_b32 v78, v0, v19, 0x3ff bitop3:0xa8
	v_subrev_nc_u32_e32 v19, 32, v18
	v_cmp_ne_u32_e64 s17, v4, v74
	v_cmp_ne_u32_e64 s18, v4, v75
	v_lshlrev_b32_e32 v37, 2, v13
	v_cmp_gt_u32_e64 s59, 0xf0, v24
	v_mad_u32_u24 v34, 0xfc, v4, v32
	v_mul_u64_e32 v[10:11], s[64:65], v[16:17]
	v_mul_u64_e32 v[14:15], s[74:75], v[14:15]
	v_dual_sub_nc_u32 v41, v37, v12 :: v_dual_lshlrev_b32 v12, 8, v2
	v_cmp_eq_u32_e64 s3, 3, v13
	v_cmp_ne_u32_e64 s4, 3, v13
	v_cmp_eq_u32_e64 s5, 2, v13
	v_cmp_gt_u32_e64 s6, 2, v13
	v_sub_nc_u32_e32 v44, 0, v12
	s_and_b32 s95, s3, s2
	v_cmp_eq_u32_e64 s3, 1, v13
	s_and_b32 s96, s4, s2
	v_cmp_eq_u32_e64 s4, 0, v13
	v_and_b32_e32 v13, 7, v0
	s_and_b32 s97, s5, s2
	s_and_b32 s99, s3, s2
	v_cmp_gt_u32_e64 s3, 4, v4
	s_and_b32 s100, s4, s2
	v_cmp_eq_u32_e64 s4, 7, v13
	v_cmp_ne_u32_e64 s5, 7, v13
	s_and_b32 s98, s6, s2
	s_and_b32 s101, s1, s3
	v_cmp_gt_u32_e64 s3, 64, v24
	v_cmp_eq_u32_e64 s6, 6, v13
	v_cmp_gt_u32_e64 s7, 4, v13
	v_lshlrev_b32_e32 v45, 2, v13
	v_lshl_add_u32 v43, v2, 2, 0x4000
	s_and_b32 s102, s4, s3
	v_cmp_gt_u32_e64 s4, 6, v13
	s_and_b32 s103, s5, s3
	v_cmp_eq_u32_e64 s5, 5, v13
	s_and_b32 s104, s6, s3
	v_cmp_gt_u32_e64 s6, 5, v13
	s_and_b32 vcc_hi, s4, s3
	v_cmp_eq_u32_e64 s4, 4, v13
	s_and_b32 s36, s5, s3
	v_cmp_eq_u32_e64 s5, 3, v13
	s_and_b32 s37, s6, s3
	s_and_b32 s39, s7, s3
	;; [unrolled: 1-line block ×3, first 2 shown]
	v_cmp_gt_u32_e64 s4, 3, v13
	v_cmp_eq_u32_e64 s6, 2, v13
	s_and_b32 s40, s5, s3
	v_cmp_gt_u32_e64 s5, 2, v13
	v_cmp_eq_u32_e64 s7, 1, v13
	s_and_b32 s41, s4, s3
	v_cmp_eq_u32_e64 s4, 0, v13
	v_and_b32_e32 v13, 15, v0
	v_lshrrev_b32_e32 v2, 4, v24
	s_and_b32 s43, s5, s3
	v_cmp_gt_u32_e64 s5, 8, v4
	s_and_b32 s42, s6, s3
	v_dual_lshlrev_b32 v52, 2, v13 :: v_dual_sub_nc_u32 v48, v45, v12
	v_lshlrev_b32_e32 v12, 8, v2
	s_and_b32 s44, s7, s3
	s_and_b32 s45, s4, s3
	;; [unrolled: 1-line block ×3, first 2 shown]
	v_cmp_gt_u32_e64 s4, 0x100, v24
	v_dual_sub_nc_u32 v51, 0, v12 :: v_dual_sub_nc_u32 v53, v52, v12
	v_add_nc_u32_e32 v12, v74, v1
	v_cmp_eq_u32_e64 s5, 15, v13
	v_cmp_ne_u32_e64 s6, 15, v13
	v_cmp_eq_u32_e64 s7, 14, v13
	v_cmp_gt_u32_e64 s8, 14, v13
	v_cmp_eq_u32_e64 s9, 13, v13
	s_and_b32 s47, s5, s4
	s_and_b32 s48, s6, s4
	;; [unrolled: 1-line block ×5, first 2 shown]
	v_cmp_gt_u32_e64 s5, 13, v13
	v_cmp_eq_u32_e64 s6, 12, v13
	v_cmp_gt_u32_e64 s7, 12, v13
	v_cmp_eq_u32_e64 s8, 11, v13
	v_cmp_gt_u32_e64 s9, 11, v13
	s_and_b32 s52, s5, s4
	s_and_b32 s53, s6, s4
	;; [unrolled: 1-line block ×5, first 2 shown]
	v_cmp_eq_u32_e64 s5, 10, v13
	v_cmp_gt_u32_e64 s6, 10, v13
	v_cmp_eq_u32_e64 s7, 9, v13
	v_cmp_gt_u32_e64 s8, 9, v13
	v_cmp_eq_u32_e64 s9, 8, v13
	s_and_b32 s57, s5, s4
	s_and_b32 s58, s6, s4
	;; [unrolled: 1-line block ×5, first 2 shown]
	v_cmp_gt_u32_e64 s5, 8, v13
	v_cmp_eq_u32_e64 s6, 7, v13
	v_cmp_gt_u32_e64 s7, 7, v13
	v_cmp_eq_u32_e64 s8, 6, v13
	v_cmp_gt_u32_e64 s9, 6, v13
	s_and_b32 s12, s5, s4
	s_and_b32 s13, s6, s4
	;; [unrolled: 1-line block ×5, first 2 shown]
	v_cmp_eq_u32_e64 s5, 5, v13
	v_cmp_gt_u32_e64 s6, 5, v13
	v_cmp_eq_u32_e64 s7, 4, v13
	v_cmp_gt_u32_e64 s8, 4, v13
	v_cmp_eq_u32_e64 s9, 3, v13
	s_and_b32 s28, s5, s4
	s_and_b32 s30, s6, s4
	;; [unrolled: 1-line block ×5, first 2 shown]
	v_cmp_gt_u32_e64 s5, 3, v13
	v_cmp_eq_u32_e64 s6, 2, v13
	v_cmp_gt_u32_e64 s7, 2, v13
	v_cmp_eq_u32_e64 s8, 1, v13
	v_cmp_eq_u32_e64 s9, 0, v13
	v_and_b32_e32 v13, 31, v0
	v_lshl_add_u32 v50, v2, 2, 0x4000
	s_and_b32 s27, s5, s4
	s_and_b32 s31, s7, s4
	v_dual_add_nc_u32 v2, s10, v6 :: v_dual_add_nc_u32 v1, v75, v1
	v_cmp_gt_u32_e64 s5, 0x400, v24
	v_cmp_eq_u32_e64 s7, 31, v13
	s_and_b32 s29, s6, s4
	v_cmp_gt_u32_e64 s6, 16, v4
	v_dual_cndmask_b32 v70, v21, v12 :: v_dual_cndmask_b32 v71, v54, v1
	v_lshlrev_b32_e32 v1, 8, v20
	v_cmp_ne_u32_e32 vcc_lo, 31, v13
	s_and_b32 s7, s7, s5
	s_and_b32 s11, s1, s6
	v_writelane_b32 v87, s7, 6
	v_cmp_eq_u32_e64 s6, 30, v13
	s_and_b32 s7, vcc_lo, s5
	v_cmp_gt_u32_e32 vcc_lo, 30, v13
	s_and_b32 s34, s8, s4
	v_writelane_b32 v87, s7, 7
	s_and_b32 s6, s6, s5
	v_cmp_gt_u32_e64 s7, 29, v13
	s_and_b32 s10, vcc_lo, s5
	v_cmp_eq_u32_e64 s8, 28, v13
	v_writelane_b32 v87, s6, 8
	v_cmp_eq_u32_e64 s6, 29, v13
	s_and_b32 s86, s9, s4
	v_cmp_gt_u32_e64 s9, 28, v13
	v_cmp_eq_u32_e32 vcc_lo, 27, v13
	v_writelane_b32 v87, s10, 9
	s_and_b32 s6, s6, s5
	v_dual_lshlrev_b32 v60, 2, v13 :: v_dual_lshlrev_b32 v72, 2, v28
	v_cmp_le_i32_e64 s10, s15, v75
	v_writelane_b32 v87, s6, 10
	s_and_b32 s6, s7, s5
	v_cmp_gt_i32_e64 s7, s87, v8
	v_or_b32_e32 v62, 0x5000, v72
	v_mad_i32_i24 v38, 0xffffff04, v4, v34
	v_writelane_b32 v87, s6, 11
	s_and_b32 s6, s8, s5
	v_dual_sub_nc_u32 v59, 0, v1 :: v_dual_sub_nc_u32 v61, v60, v1
	v_add_nc_u32_e32 v67, v62, v32
	v_writelane_b32 v87, s6, 12
	s_and_b32 s6, s9, s5
	v_mad_u32_u24 v39, 0xfc, v4, v38
	v_mul_u64_e32 v[0:1], s[74:75], v[16:17]
	v_mul_lo_u32 v73, v73, 6
	v_writelane_b32 v87, s6, 13
	s_and_b32 s6, vcc_lo, s5
	v_cmp_gt_u32_e32 vcc_lo, 27, v13
	v_mad_i32_i24 v40, 0xffffff04, v4, v39
	v_lshl_add_u32 v7, v20, 2, 0x4000
	v_writelane_b32 v87, s6, 14
	v_mad_nc_u64_u32 v[20:21], s64, v74, v[22:23]
	s_and_b32 s6, vcc_lo, s5
	v_cmp_eq_u32_e32 vcc_lo, 26, v13
	v_mad_u32_u24 v42, 0xfc, v4, v40
	v_writelane_b32 v87, s6, 15
	v_mul_u32_u24_e32 v26, 0xfc, v4
	v_dual_lshlrev_b32 v68, 2, v68 :: v_dual_lshlrev_b32 v69, 2, v27
	s_and_b32 s6, vcc_lo, s5
	v_cmp_gt_u32_e32 vcc_lo, 26, v13
	v_writelane_b32 v87, s6, 16
	v_mad_i32_i24 v46, 0xffffff04, v4, v42
	v_mad_u32 v26, v26, 7, v73
	v_dual_lshlrev_b32 v71, 2, v71 :: v_dual_bitop2_b32 v27, v74, v4 bitop3:0x54
	s_and_b32 s6, vcc_lo, s5
	v_cmp_eq_u32_e32 vcc_lo, 25, v13
	v_writelane_b32 v87, s6, 17
	v_mad_u32_u24 v47, 0xfc, v4, v46
	v_mad_u32 v21, s65, v74, v21
	v_mul_u32_u24_e32 v73, 0xf8, v4
	s_and_b32 s6, vcc_lo, s5
	v_cmp_gt_u32_e32 vcc_lo, 25, v13
	v_writelane_b32 v87, s6, 18
	v_mad_i32_i24 v49, 0xffffff04, v4, v47
	v_dual_sub_nc_u32 v73, v26, v73 :: v_dual_bitop2_b32 v79, v75, v4 bitop3:0x54
	s_and_b32 s6, vcc_lo, s5
	v_cmp_eq_u32_e32 vcc_lo, 24, v13
	v_writelane_b32 v87, s6, 19
	v_mad_u32_u24 v54, 0xfc, v4, v49
	v_lshl_add_u32 v63, v6, 2, 0x5000
	v_lshl_add_u32 v64, v24, 2, 0x4000
	s_and_b32 s6, vcc_lo, s5
	v_cmp_gt_u32_e32 vcc_lo, 24, v13
	v_writelane_b32 v87, s6, 20
	v_mad_i32_i24 v55, 0xffffff04, v4, v54
	v_add_nc_u32_e32 v65, 0x4000, v32
	v_cmp_gt_u32_e64 s19, 56, v24
	s_and_b32 s6, vcc_lo, s5
	v_cmp_eq_u32_e32 vcc_lo, 23, v13
	v_writelane_b32 v87, s6, 21
	v_mad_u32_u24 v56, 0xfc, v4, v55
	v_lshl_add_u32 v66, v28, 8, v55
	v_cmp_gt_u32_e64 s20, 48, v24
	s_and_b32 s6, vcc_lo, s5
	v_cmp_gt_u32_e32 vcc_lo, 23, v13
	v_writelane_b32 v87, s6, 22
	v_mad_i32_i24 v57, 0xffffff04, v4, v56
	v_cmp_gt_u32_e64 s21, 40, v24
	v_cmp_gt_u32_e64 s22, 32, v24
	s_and_b32 s6, vcc_lo, s5
	v_cmp_eq_u32_e32 vcc_lo, 22, v13
	v_writelane_b32 v87, s6, 23
	v_mad_u32_u24 v58, 0xfc, v4, v57
	v_cmp_gt_u32_e64 s23, 24, v24
	v_cmp_gt_u32_e64 s60, 64, v6
	s_and_b32 s6, vcc_lo, s5
	v_cmp_gt_u32_e32 vcc_lo, 22, v13
	v_writelane_b32 v87, s6, 24
	v_dual_add_nc_u32 v72, v58, v72 :: v_dual_lshlrev_b32 v70, 2, v70
	s_and_b32 s6, vcc_lo, s5
	v_cmp_eq_u32_e32 vcc_lo, 21, v13
	v_writelane_b32 v87, s6, 25
	s_and_b32 s6, vcc_lo, s5
	v_cmp_gt_u32_e32 vcc_lo, 21, v13
	v_writelane_b32 v87, s6, 26
	s_and_b32 s6, vcc_lo, s5
	v_cmp_eq_u32_e32 vcc_lo, 20, v13
	v_writelane_b32 v87, s6, 27
	s_and_b32 s6, vcc_lo, s5
	v_cmp_gt_u32_e32 vcc_lo, 20, v13
	v_writelane_b32 v87, s6, 28
	;; [unrolled: 6-line block ×20, first 2 shown]
	s_and_b32 s6, vcc_lo, s5
	v_cmp_eq_u32_e32 vcc_lo, 1, v13
	v_writelane_b32 v85, s6, 1
	s_and_b32 s6, vcc_lo, s5
	v_cmp_eq_u32_e32 vcc_lo, 0, v13
	v_writelane_b32 v85, s6, 2
	v_mul_u64_e32 v[12:13], s[74:75], v[2:3]
	v_subrev_nc_u32_e32 v2, 48, v18
	s_and_b32 s72, vcc_lo, s5
	v_cmp_gt_u32_e32 vcc_lo, 32, v4
	s_and_b32 s6, s1, vcc_lo
	v_cmp_le_i32_e32 vcc_lo, s15, v4
	v_writelane_b32 v85, s6, 3
	s_and_b32 s6, vcc_lo, s16
	s_delay_alu instid0(SALU_CYCLE_1) | instskip(SKIP_1) | instid1(SALU_CYCLE_1)
	v_writelane_b32 v85, s6, 4
	s_xor_b32 s6, s6, -1
	s_and_b32 s73, s1, s6
	v_cmp_gt_i32_e64 s6, s15, v4
	s_cmp_gt_i32 s88, 0
	s_cselect_b32 s70, -1, 0
	s_and_b32 s6, s1, s6
	s_delay_alu instid0(SALU_CYCLE_1) | instskip(SKIP_3) | instid1(SALU_CYCLE_1)
	v_writelane_b32 v85, s6, 5
	v_cmp_gt_i32_e64 s6, s87, v16
	v_mad_nc_u64_u32 v[16:17], s64, v28, v[22:23]
	s_and_b32 s7, s7, s6
	v_writelane_b32 v85, s7, 6
	v_cmp_gt_i32_e64 s7, s87, v2
	v_add_nc_u32_e32 v2, -16, v18
	s_delay_alu instid0(VALU_DEP_4) | instskip(SKIP_1) | instid1(SALU_CYCLE_1)
	v_mad_u32 v17, s65, v28, v17
	s_and_b32 s7, s7, s6
	v_writelane_b32 v85, s7, 7
	v_cmp_gt_i32_e64 s7, s87, v19
	v_mad_nc_u64_u32 v[18:19], s64, v25, v[22:23]
	v_mad_nc_u64_u32 v[22:23], s64, v75, v[22:23]
	v_cmp_gt_u32_e64 s64, 64, v78
	s_and_b32 s7, s7, s6
	s_delay_alu instid0(SALU_CYCLE_1)
	v_writelane_b32 v85, s7, 8
	v_cmp_gt_i32_e64 s7, s87, v2
	v_or_b32_e32 v2, v25, v4
	v_mad_u32 v19, s65, v25, v19
	s_and_b32 s7, s7, s6
	v_mad_u32 v23, s65, v75, v23
	v_writelane_b32 v85, s7, 9
	v_cmp_le_i32_e64 s7, s15, v28
	s_or_b32 s8, s7, vcc_lo
	v_cmp_ge_u32_e64 s7, v4, v28
	s_or_b32 s8, s8, s7
	s_delay_alu instid0(SALU_CYCLE_1) | instskip(SKIP_4) | instid1(SALU_CYCLE_1)
	v_writelane_b32 v85, s8, 10
	v_cmp_le_i32_e64 s8, s15, v25
	s_or_b32 s9, s8, vcc_lo
	v_cmp_ge_u32_e64 s8, v4, v25
	s_or_b32 s9, s9, s8
	v_writelane_b32 v85, s9, 11
	v_cmp_le_i32_e64 s9, s15, v74
	s_or_b32 s16, s9, vcc_lo
	v_cmp_ge_u32_e64 s9, v4, v74
                                        ; implicit-def: $vgpr74
	s_or_b32 s15, s16, s9
	v_cmp_ne_u32_e64 s16, v4, v25
	v_writelane_b32 v85, s15, 12
	s_or_b32 s15, s10, vcc_lo
	v_cmp_ge_u32_e64 s10, v4, v75
                                        ; implicit-def: $vgpr75
	s_or_b32 s15, s15, s10
	s_delay_alu instid0(SALU_CYCLE_1) | instskip(SKIP_1) | instid1(VALU_DEP_1)
	v_writelane_b32 v85, s15, 13
	v_cmp_ne_u32_e64 s15, v4, v28
	v_writelane_b32 v85, s15, 14
	s_or_b32 s15, vcc_lo, s15
	s_delay_alu instid0(SALU_CYCLE_1)
	v_writelane_b32 v85, s15, 15
	s_or_b32 s15, vcc_lo, s16
	v_writelane_b32 v85, s16, 16
	v_cmp_gt_u32_e64 s16, 2, v24
	v_writelane_b32 v85, s15, 17
	s_or_b32 s15, vcc_lo, s17
	v_writelane_b32 v85, s17, 18
	v_cmp_gt_u32_e64 s17, 12, v24
	;; [unrolled: 4-line block ×3, first 2 shown]
	v_writelane_b32 v85, s15, 21
	v_cmp_eq_u32_e64 s15, 0, v78
	v_writelane_b32 v85, s59, 22
	v_cmp_gt_u32_e64 s59, 0xe0, v24
	s_delay_alu instid0(VALU_DEP_1) | instskip(SKIP_1) | instid1(VALU_DEP_1)
	v_writelane_b32 v85, s59, 23
	v_cmp_gt_u32_e64 s59, 0xd0, v24
	v_writelane_b32 v85, s59, 24
	v_cmp_gt_u32_e64 s59, 0xc0, v24
	s_delay_alu instid0(VALU_DEP_1) | instskip(SKIP_1) | instid1(VALU_DEP_1)
	v_writelane_b32 v85, s59, 25
	v_cmp_gt_u32_e64 s59, 0xb0, v24
	;; [unrolled: 5-line block ×16, first 2 shown]
	v_writelane_b32 v84, s59, 22
	v_cmp_gt_u32_e64 s59, 0x120, v24
	s_delay_alu instid0(VALU_DEP_1) | instskip(SKIP_3) | instid1(VALU_DEP_1)
	v_writelane_b32 v84, s59, 23
	v_cmp_eq_u32_e64 s59, 0, v6
	v_writelane_b32 v84, s64, 24
	v_cmp_gt_u32_e64 s64, 64, v2
	v_writelane_b32 v84, s64, 25
	v_cmp_gt_u32_e64 s64, 64, v27
	s_delay_alu instid0(VALU_DEP_1) | instskip(SKIP_1) | instid1(VALU_DEP_1)
	v_writelane_b32 v84, s64, 26
	v_cmp_gt_u32_e64 s64, 64, v79
	v_writelane_b32 v84, s64, 27
	s_branch .LBB5_3
.LBB5_2:                                ;   in Loop: Header=BB5_3 Depth=1
	s_wait_xcnt 0x0
	s_or_b32 exec_lo, exec_lo, s64
	v_readlane_b32 s64, v87, 0
	s_add_co_i32 s80, s80, 0x10000
	global_wb scope:SCOPE_DEV
	s_wait_storecnt 0x0
	global_inv scope:SCOPE_DEV
	s_cmp_lt_u32 s80, s64
	s_cbranch_scc0 .LBB5_1257
.LBB5_3:                                ; =>This Loop Header: Depth=1
                                        ;     Child Loop BB5_1110 Depth 2
                                        ;       Child Loop BB5_1112 Depth 3
                                        ;     Child Loop BB5_1147 Depth 2
	global_load_b32 v2, v3, s[68:69]
	v_readlane_b32 s82, v87, 1
	v_readlane_b32 s83, v87, 2
	s_mul_u64 s[64:65], s[66:67], s[80:81]
	s_delay_alu instid0(SALU_CYCLE_1) | instskip(NEXT) | instid1(SALU_CYCLE_1)
	s_lshl_b64 s[64:65], s[64:65], 2
	s_add_nc_u64 s[82:83], s[82:83], s[64:65]
	v_readlane_b32 s64, v87, 5
	v_lshl_add_u64 v[24:25], v[10:11], 2, s[82:83]
	s_and_not1_b32 vcc_lo, exec_lo, s64
	s_cbranch_vccz .LBB5_6
; %bb.4:                                ;   in Loop: Header=BB5_3 Depth=1
	s_and_not1_b32 vcc_lo, exec_lo, s90
	s_mov_b32 s64, -1
	s_cbranch_vccz .LBB5_15
.LBB5_5:                                ;   in Loop: Header=BB5_3 Depth=1
	s_and_b32 vcc_lo, exec_lo, s64
	s_cbranch_vccnz .LBB5_25
	s_branch .LBB5_66
.LBB5_6:                                ;   in Loop: Header=BB5_3 Depth=1
	s_delay_alu instid0(VALU_DEP_1)
	v_lshl_add_u64 v[26:27], v[8:9], 2, v[24:25]
	v_dual_mov_b32 v75, 0 :: v_dual_mov_b32 v74, 0
	s_wait_loadcnt 0x0
	s_barrier_signal -1
	s_barrier_wait -1
	s_wait_xcnt 0x0
	s_mov_b32 s64, exec_lo
	v_readlane_b32 s65, v85, 6
	s_and_b32 s65, s64, s65
	s_delay_alu instid0(SALU_CYCLE_1)
	s_mov_b32 exec_lo, s65
	s_cbranch_execz .LBB5_8
; %bb.7:                                ;   in Loop: Header=BB5_3 Depth=1
	global_load_b32 v74, v[26:27], off
.LBB5_8:                                ;   in Loop: Header=BB5_3 Depth=1
	s_wait_xcnt 0x0
	s_or_b32 exec_lo, exec_lo, s64
	s_wait_loadcnt 0x0
	s_barrier_signal -1
	s_barrier_wait -1
	s_mov_b32 s64, exec_lo
	v_readlane_b32 s65, v85, 7
	s_and_b32 s65, s64, s65
	s_delay_alu instid0(SALU_CYCLE_1)
	s_mov_b32 exec_lo, s65
	s_cbranch_execz .LBB5_10
; %bb.9:                                ;   in Loop: Header=BB5_3 Depth=1
	global_load_b32 v75, v[26:27], off offset:64
.LBB5_10:                               ;   in Loop: Header=BB5_3 Depth=1
	s_wait_xcnt 0x0
	s_or_b32 exec_lo, exec_lo, s64
	v_dual_mov_b32 v77, 0 :: v_dual_mov_b32 v76, 0
	s_wait_loadcnt 0x0
	s_barrier_signal -1
	s_barrier_wait -1
	s_mov_b32 s64, exec_lo
	v_readlane_b32 s65, v85, 8
	s_and_b32 s65, s64, s65
	s_delay_alu instid0(SALU_CYCLE_1)
	s_mov_b32 exec_lo, s65
	s_cbranch_execz .LBB5_12
; %bb.11:                               ;   in Loop: Header=BB5_3 Depth=1
	global_load_b32 v76, v[26:27], off offset:128
.LBB5_12:                               ;   in Loop: Header=BB5_3 Depth=1
	s_wait_xcnt 0x0
	s_or_b32 exec_lo, exec_lo, s64
	s_wait_loadcnt 0x0
	s_barrier_signal -1
	s_barrier_wait -1
	s_mov_b32 s64, exec_lo
	v_readlane_b32 s65, v85, 9
	s_and_b32 s65, s64, s65
	s_delay_alu instid0(SALU_CYCLE_1)
	s_mov_b32 exec_lo, s65
	s_cbranch_execz .LBB5_14
; %bb.13:                               ;   in Loop: Header=BB5_3 Depth=1
	global_load_b32 v77, v[26:27], off offset:192
.LBB5_14:                               ;   in Loop: Header=BB5_3 Depth=1
	s_wait_xcnt 0x0
	s_or_b32 exec_lo, exec_lo, s64
	s_delay_alu instid0(SALU_CYCLE_1)
	s_and_not1_b32 vcc_lo, exec_lo, s90
	s_mov_b32 s64, -1
	s_cbranch_vccnz .LBB5_5
.LBB5_15:                               ;   in Loop: Header=BB5_3 Depth=1
	s_wait_xcnt 0x0
	s_and_saveexec_b32 s64, s7
	s_delay_alu instid0(SALU_CYCLE_1)
	s_xor_b32 s65, exec_lo, s64
	s_cbranch_execnz .LBB5_1168
; %bb.16:                               ;   in Loop: Header=BB5_3 Depth=1
	s_and_not1_saveexec_b32 s64, s65
	s_cbranch_execnz .LBB5_1175
.LBB5_17:                               ;   in Loop: Header=BB5_3 Depth=1
	s_or_b32 exec_lo, exec_lo, s64
	s_and_saveexec_b32 s64, s8
	s_delay_alu instid0(SALU_CYCLE_1)
	s_xor_b32 s65, exec_lo, s64
	s_cbranch_execnz .LBB5_1176
.LBB5_18:                               ;   in Loop: Header=BB5_3 Depth=1
	s_and_not1_saveexec_b32 s64, s65
	s_cbranch_execnz .LBB5_1183
.LBB5_19:                               ;   in Loop: Header=BB5_3 Depth=1
	s_or_b32 exec_lo, exec_lo, s64
	s_and_saveexec_b32 s64, s9
	s_delay_alu instid0(SALU_CYCLE_1)
	s_xor_b32 s65, exec_lo, s64
	s_cbranch_execnz .LBB5_1184
.LBB5_20:                               ;   in Loop: Header=BB5_3 Depth=1
	s_and_not1_saveexec_b32 s64, s65
	s_cbranch_execnz .LBB5_1191
.LBB5_21:                               ;   in Loop: Header=BB5_3 Depth=1
	s_or_b32 exec_lo, exec_lo, s64
	s_and_saveexec_b32 s64, s10
	s_delay_alu instid0(SALU_CYCLE_1)
	s_xor_b32 s65, exec_lo, s64
	s_cbranch_execnz .LBB5_1192
.LBB5_22:                               ;   in Loop: Header=BB5_3 Depth=1
	s_and_not1_saveexec_b32 s64, s65
	s_cbranch_execz .LBB5_24
.LBB5_23:                               ;   in Loop: Header=BB5_3 Depth=1
	v_lshl_add_u64 v[26:27], v[22:23], 2, s[82:83]
	global_load_b32 v26, v[26:27], off
	s_wait_loadcnt 0x0
	v_xor_b32_e32 v26, 0x80000000, v26
	ds_store_b32 v71, v26
.LBB5_24:                               ;   in Loop: Header=BB5_3 Depth=1
	s_or_b32 exec_lo, exec_lo, s64
	s_branch .LBB5_66
.LBB5_25:                               ;   in Loop: Header=BB5_3 Depth=1
	v_readlane_b32 s65, v85, 10
	s_wait_xcnt 0x0
	s_and_saveexec_b32 s64, s65
	s_delay_alu instid0(SALU_CYCLE_1)
	s_xor_b32 s65, exec_lo, s64
	s_cbranch_execz .LBB5_33
; %bb.26:                               ;   in Loop: Header=BB5_3 Depth=1
	s_mov_b32 s64, exec_lo
	v_readlane_b32 s71, v85, 15
	s_and_b32 s71, s64, s71
	s_delay_alu instid0(SALU_CYCLE_1)
	s_xor_b32 s64, s71, s64
	s_mov_b32 exec_lo, s71
	s_cbranch_execz .LBB5_30
; %bb.27:                               ;   in Loop: Header=BB5_3 Depth=1
	s_mov_b32 s71, exec_lo
	v_readlane_b32 s84, v84, 24
	s_and_b32 s84, s71, s84
	s_delay_alu instid0(SALU_CYCLE_1)
	s_mov_b32 exec_lo, s84
; %bb.28:                               ;   in Loop: Header=BB5_3 Depth=1
	ds_store_b32 v72, v3
; %bb.29:                               ;   in Loop: Header=BB5_3 Depth=1
	s_or_b32 exec_lo, exec_lo, s71
.LBB5_30:                               ;   in Loop: Header=BB5_3 Depth=1
	s_and_not1_saveexec_b32 s64, s64
	s_cbranch_execz .LBB5_32
; %bb.31:                               ;   in Loop: Header=BB5_3 Depth=1
	v_lshl_add_u64 v[26:27], v[16:17], 2, s[82:83]
	global_load_b32 v26, v[26:27], off
	s_wait_loadcnt 0x0
	v_div_scale_f32 v27, null, v26, v26, 1.0
	s_delay_alu instid0(VALU_DEP_1) | instskip(SKIP_1) | instid1(TRANS32_DEP_1)
	v_rcp_f32_e32 v78, v27
	v_nop
	v_fma_f32 v79, -v27, v78, 1.0
	s_delay_alu instid0(VALU_DEP_1) | instskip(SKIP_1) | instid1(VALU_DEP_1)
	v_fmac_f32_e32 v78, v79, v78
	v_div_scale_f32 v79, vcc_lo, 1.0, v26, 1.0
	v_mul_f32_e32 v80, v79, v78
	s_delay_alu instid0(VALU_DEP_1) | instskip(NEXT) | instid1(VALU_DEP_1)
	v_fma_f32 v81, -v27, v80, v79
	v_fmac_f32_e32 v80, v81, v78
	s_delay_alu instid0(VALU_DEP_1) | instskip(NEXT) | instid1(VALU_DEP_1)
	v_fma_f32 v27, -v27, v80, v79
	v_div_fmas_f32 v27, v27, v78, v80
	s_delay_alu instid0(VALU_DEP_1)
	v_div_fixup_f32 v26, v27, v26, 1.0
	ds_store_b32 v72, v26
.LBB5_32:                               ;   in Loop: Header=BB5_3 Depth=1
	s_or_b32 exec_lo, exec_lo, s64
.LBB5_33:                               ;   in Loop: Header=BB5_3 Depth=1
	s_and_not1_saveexec_b32 s64, s65
	s_cbranch_execz .LBB5_35
; %bb.34:                               ;   in Loop: Header=BB5_3 Depth=1
	v_lshl_add_u64 v[26:27], v[16:17], 2, s[82:83]
	global_load_b32 v26, v[26:27], off
	s_wait_loadcnt 0x0
	v_xor_b32_e32 v26, 0x80000000, v26
	ds_store_b32 v72, v26
.LBB5_35:                               ;   in Loop: Header=BB5_3 Depth=1
	s_or_b32 exec_lo, exec_lo, s64
	v_readlane_b32 s65, v85, 11
	s_and_saveexec_b32 s64, s65
	s_delay_alu instid0(SALU_CYCLE_1)
	s_xor_b32 s65, exec_lo, s64
	s_cbranch_execz .LBB5_43
; %bb.36:                               ;   in Loop: Header=BB5_3 Depth=1
	s_mov_b32 s64, exec_lo
	v_readlane_b32 s71, v85, 17
	s_and_b32 s71, s64, s71
	s_delay_alu instid0(SALU_CYCLE_1)
	s_xor_b32 s64, s71, s64
	s_mov_b32 exec_lo, s71
	s_cbranch_execz .LBB5_40
; %bb.37:                               ;   in Loop: Header=BB5_3 Depth=1
	s_mov_b32 s71, exec_lo
	v_readlane_b32 s84, v84, 25
	s_and_b32 s84, s71, s84
	s_delay_alu instid0(SALU_CYCLE_1)
	s_mov_b32 exec_lo, s84
; %bb.38:                               ;   in Loop: Header=BB5_3 Depth=1
	ds_store_b32 v69, v3
; %bb.39:                               ;   in Loop: Header=BB5_3 Depth=1
	s_or_b32 exec_lo, exec_lo, s71
.LBB5_40:                               ;   in Loop: Header=BB5_3 Depth=1
	s_and_not1_saveexec_b32 s64, s64
	s_cbranch_execz .LBB5_42
; %bb.41:                               ;   in Loop: Header=BB5_3 Depth=1
	v_lshl_add_u64 v[26:27], v[18:19], 2, s[82:83]
	global_load_b32 v26, v[26:27], off
	s_wait_loadcnt 0x0
	v_div_scale_f32 v27, null, v26, v26, 1.0
	s_delay_alu instid0(VALU_DEP_1) | instskip(SKIP_1) | instid1(TRANS32_DEP_1)
	v_rcp_f32_e32 v78, v27
	v_nop
	v_fma_f32 v79, -v27, v78, 1.0
	s_delay_alu instid0(VALU_DEP_1) | instskip(SKIP_1) | instid1(VALU_DEP_1)
	v_fmac_f32_e32 v78, v79, v78
	v_div_scale_f32 v79, vcc_lo, 1.0, v26, 1.0
	v_mul_f32_e32 v80, v79, v78
	s_delay_alu instid0(VALU_DEP_1) | instskip(NEXT) | instid1(VALU_DEP_1)
	v_fma_f32 v81, -v27, v80, v79
	v_fmac_f32_e32 v80, v81, v78
	s_delay_alu instid0(VALU_DEP_1) | instskip(NEXT) | instid1(VALU_DEP_1)
	v_fma_f32 v27, -v27, v80, v79
	v_div_fmas_f32 v27, v27, v78, v80
	s_delay_alu instid0(VALU_DEP_1)
	v_div_fixup_f32 v26, v27, v26, 1.0
	ds_store_b32 v69, v26
.LBB5_42:                               ;   in Loop: Header=BB5_3 Depth=1
	s_or_b32 exec_lo, exec_lo, s64
.LBB5_43:                               ;   in Loop: Header=BB5_3 Depth=1
	s_and_not1_saveexec_b32 s64, s65
	s_cbranch_execz .LBB5_45
; %bb.44:                               ;   in Loop: Header=BB5_3 Depth=1
	v_lshl_add_u64 v[26:27], v[18:19], 2, s[82:83]
	global_load_b32 v26, v[26:27], off
	s_wait_loadcnt 0x0
	v_xor_b32_e32 v26, 0x80000000, v26
	ds_store_b32 v69, v26
.LBB5_45:                               ;   in Loop: Header=BB5_3 Depth=1
	s_or_b32 exec_lo, exec_lo, s64
	v_readlane_b32 s65, v85, 12
	;; [unrolled: 61-line block ×3, first 2 shown]
	s_and_saveexec_b32 s64, s65
	s_delay_alu instid0(SALU_CYCLE_1)
	s_xor_b32 s65, exec_lo, s64
	s_cbranch_execz .LBB5_63
; %bb.56:                               ;   in Loop: Header=BB5_3 Depth=1
	s_mov_b32 s64, exec_lo
	v_readlane_b32 s71, v85, 21
	s_and_b32 s71, s64, s71
	s_delay_alu instid0(SALU_CYCLE_1)
	s_xor_b32 s64, s71, s64
	s_mov_b32 exec_lo, s71
	s_cbranch_execz .LBB5_60
; %bb.57:                               ;   in Loop: Header=BB5_3 Depth=1
	s_mov_b32 s71, exec_lo
	v_readlane_b32 s84, v84, 27
	s_and_b32 s84, s71, s84
	s_delay_alu instid0(SALU_CYCLE_1)
	s_mov_b32 exec_lo, s84
; %bb.58:                               ;   in Loop: Header=BB5_3 Depth=1
	ds_store_b32 v71, v3
; %bb.59:                               ;   in Loop: Header=BB5_3 Depth=1
	s_or_b32 exec_lo, exec_lo, s71
.LBB5_60:                               ;   in Loop: Header=BB5_3 Depth=1
	s_and_not1_saveexec_b32 s64, s64
	s_cbranch_execz .LBB5_62
; %bb.61:                               ;   in Loop: Header=BB5_3 Depth=1
	v_lshl_add_u64 v[26:27], v[22:23], 2, s[82:83]
	global_load_b32 v26, v[26:27], off
	s_wait_loadcnt 0x0
	v_div_scale_f32 v27, null, v26, v26, 1.0
	s_delay_alu instid0(VALU_DEP_1) | instskip(SKIP_1) | instid1(TRANS32_DEP_1)
	v_rcp_f32_e32 v78, v27
	v_nop
	v_fma_f32 v79, -v27, v78, 1.0
	s_delay_alu instid0(VALU_DEP_1) | instskip(SKIP_1) | instid1(VALU_DEP_1)
	v_fmac_f32_e32 v78, v79, v78
	v_div_scale_f32 v79, vcc_lo, 1.0, v26, 1.0
	v_mul_f32_e32 v80, v79, v78
	s_delay_alu instid0(VALU_DEP_1) | instskip(NEXT) | instid1(VALU_DEP_1)
	v_fma_f32 v81, -v27, v80, v79
	v_fmac_f32_e32 v80, v81, v78
	s_delay_alu instid0(VALU_DEP_1) | instskip(NEXT) | instid1(VALU_DEP_1)
	v_fma_f32 v27, -v27, v80, v79
	v_div_fmas_f32 v27, v27, v78, v80
	s_delay_alu instid0(VALU_DEP_1)
	v_div_fixup_f32 v26, v27, v26, 1.0
	ds_store_b32 v71, v26
.LBB5_62:                               ;   in Loop: Header=BB5_3 Depth=1
	s_or_b32 exec_lo, exec_lo, s64
.LBB5_63:                               ;   in Loop: Header=BB5_3 Depth=1
	s_and_not1_saveexec_b32 s64, s65
	s_cbranch_execz .LBB5_65
; %bb.64:                               ;   in Loop: Header=BB5_3 Depth=1
	v_lshl_add_u64 v[26:27], v[22:23], 2, s[82:83]
	global_load_b32 v26, v[26:27], off
	s_wait_loadcnt 0x0
	v_xor_b32_e32 v26, 0x80000000, v26
	ds_store_b32 v71, v26
.LBB5_65:                               ;   in Loop: Header=BB5_3 Depth=1
	s_or_b32 exec_lo, exec_lo, s64
.LBB5_66:                               ;   in Loop: Header=BB5_3 Depth=1
	s_delay_alu instid0(SALU_CYCLE_1)
	s_and_not1_b32 vcc_lo, exec_lo, s91
	s_wait_loadcnt_dscnt 0x0
	s_barrier_signal -1
	s_barrier_wait -1
	s_cbranch_vccnz .LBB5_1104
; %bb.67:                               ;   in Loop: Header=BB5_3 Depth=1
	s_and_saveexec_b32 s64, s15
	s_cbranch_execz .LBB5_69
; %bb.68:                               ;   in Loop: Header=BB5_3 Depth=1
	ds_load_b64 v[26:27], v3 offset:16376
	ds_load_b32 v78, v3 offset:16120
	s_wait_dscnt 0x0
	v_mul_f32_e32 v27, v78, v27
	s_delay_alu instid0(VALU_DEP_1)
	v_mul_f32_e32 v26, v26, v27
	v_add_nc_u32_e64 v27, 0x3c00, 0
	ds_store_2addr_b32 v27, v26, v26 offset0:191 offset1:254
.LBB5_69:                               ;   in Loop: Header=BB5_3 Depth=1
	s_or_b32 exec_lo, exec_lo, s64
	v_mov_b32_e32 v26, 0
	s_wait_dscnt 0x0
	s_barrier_signal -1
	s_barrier_wait -1
	global_wb scope:SCOPE_DEV
	s_wait_storecnt 0x0
	global_inv scope:SCOPE_DEV
	s_and_saveexec_b32 s64, s0
	s_cbranch_execz .LBB5_73
; %bb.70:                               ;   in Loop: Header=BB5_3 Depth=1
	ds_load_b32 v26, v31 offset:16112
	ds_load_b32 v27, v30 offset:16376
	s_wait_dscnt 0x0
	v_fma_f32 v26, v26, v27, 0
	s_and_saveexec_b32 s65, s16
	s_cbranch_execz .LBB5_72
; %bb.71:                               ;   in Loop: Header=BB5_3 Depth=1
	ds_load_b32 v27, v32 offset:16368
	ds_load_b32 v78, v3 offset:16380
	s_wait_dscnt 0x0
	v_fmac_f32_e32 v26, v27, v78
.LBB5_72:                               ;   in Loop: Header=BB5_3 Depth=1
	s_or_b32 exec_lo, exec_lo, s65
.LBB5_73:                               ;   in Loop: Header=BB5_3 Depth=1
	s_delay_alu instid0(SALU_CYCLE_1)
	s_or_b32 exec_lo, exec_lo, s64
	s_and_saveexec_b32 s64, s92
	s_cbranch_execz .LBB5_75
; %bb.74:                               ;   in Loop: Header=BB5_3 Depth=1
	ds_load_b32 v27, v3 offset:15860
	s_wait_dscnt 0x0
	v_mul_f32_e32 v26, v26, v27
	s_delay_alu instid0(VALU_DEP_1)
	v_xor_b32_e32 v27, 0x80000000, v26
	ds_store_b32 v5, v27
.LBB5_75:                               ;   in Loop: Header=BB5_3 Depth=1
	s_or_b32 exec_lo, exec_lo, s64
	s_wait_loadcnt_dscnt 0x0
	s_barrier_signal -1
	s_barrier_wait -1
	s_and_saveexec_b32 s64, s93
	s_cbranch_execz .LBB5_77
; %bb.76:                               ;   in Loop: Header=BB5_3 Depth=1
	ds_load_b32 v27, v3 offset:15856
	ds_load_b32 v78, v5
	s_wait_dscnt 0x0
	v_fma_f32 v26, -v27, v78, v26
.LBB5_77:                               ;   in Loop: Header=BB5_3 Depth=1
	s_or_b32 exec_lo, exec_lo, s64
	s_barrier_signal -1
	s_barrier_wait -1
	s_and_saveexec_b32 s64, s93
	s_cbranch_execz .LBB5_79
; %bb.78:                               ;   in Loop: Header=BB5_3 Depth=1
	ds_load_b32 v27, v3 offset:15600
	s_wait_dscnt 0x0
	v_mul_f32_e32 v26, v26, v27
	s_delay_alu instid0(VALU_DEP_1)
	v_xor_b32_e32 v27, 0x80000000, v26
	ds_store_b32 v5, v27
.LBB5_79:                               ;   in Loop: Header=BB5_3 Depth=1
	s_or_b32 exec_lo, exec_lo, s64
	s_wait_dscnt 0x0
	s_barrier_signal -1
	s_barrier_wait -1
	s_barrier_signal -1
	s_barrier_wait -1
	s_and_saveexec_b32 s64, s0
; %bb.80:                               ;   in Loop: Header=BB5_3 Depth=1
	ds_store_b32 v33, v26 offset:16368
; %bb.81:                               ;   in Loop: Header=BB5_3 Depth=1
	s_or_b32 exec_lo, exec_lo, s64
	s_wait_dscnt 0x0
	s_barrier_signal -1
	s_barrier_wait -1
	s_barrier_signal -1
	s_barrier_wait -1
	s_and_saveexec_b32 s64, s94
	s_cbranch_execz .LBB5_83
; %bb.82:                               ;   in Loop: Header=BB5_3 Depth=1
	ds_load_b32 v26, v34 offset:16112
	s_wait_dscnt 0x0
	ds_store_b32 v32, v26 offset:15608
	ds_load_b32 v26, v34 offset:16116
	s_wait_dscnt 0x0
	ds_store_b32 v32, v26 offset:15864
.LBB5_83:                               ;   in Loop: Header=BB5_3 Depth=1
	s_or_b32 exec_lo, exec_lo, s64
	s_wait_dscnt 0x0
	s_barrier_signal -1
	s_barrier_wait -1
	s_and_saveexec_b32 s64, s15
	s_cbranch_execz .LBB5_85
; %bb.84:                               ;   in Loop: Header=BB5_3 Depth=1
	ds_load_b64 v[26:27], v3 offset:15856
	ds_load_b32 v78, v3 offset:15600
	s_wait_dscnt 0x0
	v_mul_f32_e32 v27, v78, v27
	s_delay_alu instid0(VALU_DEP_1)
	v_mul_f32_e32 v26, v26, v27
	v_add_nc_u32_e64 v27, 0x3c00, 0
	ds_store_2addr_b32 v27, v26, v26 offset0:61 offset1:124
.LBB5_85:                               ;   in Loop: Header=BB5_3 Depth=1
	s_or_b32 exec_lo, exec_lo, s64
	v_mov_b32_e32 v26, 0
	s_wait_dscnt 0x0
	s_barrier_signal -1
	s_barrier_wait -1
	global_wb scope:SCOPE_DEV
	s_wait_storecnt 0x0
	global_inv scope:SCOPE_DEV
	s_and_saveexec_b32 s65, s2
	s_cbranch_execz .LBB5_91
; %bb.86:                               ;   in Loop: Header=BB5_3 Depth=1
	ds_load_b32 v26, v37 offset:15584
	ds_load_b32 v27, v36 offset:16368
	s_wait_dscnt 0x0
	v_fma_f32 v26, v26, v27, 0
	s_and_saveexec_b32 s64, s17
	s_cbranch_execnz .LBB5_1207
; %bb.87:                               ;   in Loop: Header=BB5_3 Depth=1
	s_or_b32 exec_lo, exec_lo, s64
	s_and_saveexec_b32 s64, s18
	s_cbranch_execnz .LBB5_1208
.LBB5_88:                               ;   in Loop: Header=BB5_3 Depth=1
	s_or_b32 exec_lo, exec_lo, s64
	s_and_saveexec_b32 s64, s0
	s_cbranch_execz .LBB5_90
.LBB5_89:                               ;   in Loop: Header=BB5_3 Depth=1
	ds_load_b32 v27, v38 offset:16352
	ds_load_b32 v78, v3 offset:16380
	s_wait_dscnt 0x0
	v_fmac_f32_e32 v26, v27, v78
.LBB5_90:                               ;   in Loop: Header=BB5_3 Depth=1
	s_or_b32 exec_lo, exec_lo, s64
.LBB5_91:                               ;   in Loop: Header=BB5_3 Depth=1
	s_delay_alu instid0(SALU_CYCLE_1)
	s_or_b32 exec_lo, exec_lo, s65
	s_and_saveexec_b32 s64, s95
	s_cbranch_execz .LBB5_93
; %bb.92:                               ;   in Loop: Header=BB5_3 Depth=1
	ds_load_b32 v27, v3 offset:15340
	s_wait_dscnt 0x0
	v_mul_f32_e32 v26, v26, v27
	s_delay_alu instid0(VALU_DEP_1)
	v_xor_b32_e32 v27, 0x80000000, v26
	ds_store_b32 v35, v27
.LBB5_93:                               ;   in Loop: Header=BB5_3 Depth=1
	s_or_b32 exec_lo, exec_lo, s64
	s_wait_loadcnt_dscnt 0x0
	s_barrier_signal -1
	s_barrier_wait -1
	s_and_saveexec_b32 s64, s96
	s_cbranch_execz .LBB5_95
; %bb.94:                               ;   in Loop: Header=BB5_3 Depth=1
	ds_load_b32 v27, v37 offset:15328
	ds_load_b32 v78, v35
	s_wait_dscnt 0x0
	v_fma_f32 v26, -v27, v78, v26
.LBB5_95:                               ;   in Loop: Header=BB5_3 Depth=1
	s_or_b32 exec_lo, exec_lo, s64
	s_barrier_signal -1
	s_barrier_wait -1
	s_and_saveexec_b32 s64, s97
	s_cbranch_execz .LBB5_97
; %bb.96:                               ;   in Loop: Header=BB5_3 Depth=1
	ds_load_b32 v27, v3 offset:15080
	s_wait_dscnt 0x0
	v_mul_f32_e32 v26, v26, v27
	s_delay_alu instid0(VALU_DEP_1)
	v_xor_b32_e32 v27, 0x80000000, v26
	ds_store_b32 v35, v27
.LBB5_97:                               ;   in Loop: Header=BB5_3 Depth=1
	s_or_b32 exec_lo, exec_lo, s64
	s_wait_dscnt 0x0
	s_barrier_signal -1
	s_barrier_wait -1
	s_and_saveexec_b32 s64, s98
	s_cbranch_execz .LBB5_99
; %bb.98:                               ;   in Loop: Header=BB5_3 Depth=1
	ds_load_b32 v27, v37 offset:15072
	ds_load_b32 v78, v35
	s_wait_dscnt 0x0
	v_fma_f32 v26, -v27, v78, v26
.LBB5_99:                               ;   in Loop: Header=BB5_3 Depth=1
	s_or_b32 exec_lo, exec_lo, s64
	s_barrier_signal -1
	s_barrier_wait -1
	s_and_saveexec_b32 s64, s99
	s_cbranch_execz .LBB5_101
; %bb.100:                              ;   in Loop: Header=BB5_3 Depth=1
	ds_load_b32 v27, v3 offset:14820
	s_wait_dscnt 0x0
	v_mul_f32_e32 v26, v26, v27
	s_delay_alu instid0(VALU_DEP_1)
	v_xor_b32_e32 v27, 0x80000000, v26
	ds_store_b32 v35, v27
.LBB5_101:                              ;   in Loop: Header=BB5_3 Depth=1
	s_or_b32 exec_lo, exec_lo, s64
	s_wait_dscnt 0x0
	s_barrier_signal -1
	s_barrier_wait -1
	s_and_saveexec_b32 s64, s100
	s_cbranch_execz .LBB5_103
; %bb.102:                              ;   in Loop: Header=BB5_3 Depth=1
	ds_load_b32 v27, v3 offset:14816
	ds_load_b32 v78, v35
	s_wait_dscnt 0x0
	v_fma_f32 v26, -v27, v78, v26
.LBB5_103:                              ;   in Loop: Header=BB5_3 Depth=1
	s_or_b32 exec_lo, exec_lo, s64
	s_barrier_signal -1
	s_barrier_wait -1
	s_and_saveexec_b32 s64, s100
	s_cbranch_execz .LBB5_105
; %bb.104:                              ;   in Loop: Header=BB5_3 Depth=1
	ds_load_b32 v27, v3 offset:14560
	s_wait_dscnt 0x0
	v_mul_f32_e32 v26, v26, v27
	s_delay_alu instid0(VALU_DEP_1)
	v_xor_b32_e32 v27, 0x80000000, v26
	ds_store_b32 v35, v27
.LBB5_105:                              ;   in Loop: Header=BB5_3 Depth=1
	s_or_b32 exec_lo, exec_lo, s64
	s_wait_dscnt 0x0
	s_barrier_signal -1
	s_barrier_wait -1
	s_barrier_signal -1
	s_barrier_wait -1
	s_and_saveexec_b32 s64, s2
; %bb.106:                              ;   in Loop: Header=BB5_3 Depth=1
	ds_store_b32 v41, v26 offset:16352
; %bb.107:                              ;   in Loop: Header=BB5_3 Depth=1
	s_or_b32 exec_lo, exec_lo, s64
	s_wait_dscnt 0x0
	s_barrier_signal -1
	s_barrier_wait -1
	s_barrier_signal -1
	s_barrier_wait -1
	s_and_saveexec_b32 s64, s101
	s_cbranch_execz .LBB5_109
; %bb.108:                              ;   in Loop: Header=BB5_3 Depth=1
	ds_load_b32 v26, v39 offset:15584
	s_wait_dscnt 0x0
	ds_store_b32 v40, v26 offset:14576
	ds_load_b32 v26, v39 offset:15588
	s_wait_dscnt 0x0
	ds_store_b32 v40, v26 offset:14832
	;; [unrolled: 3-line block ×4, first 2 shown]
.LBB5_109:                              ;   in Loop: Header=BB5_3 Depth=1
	s_or_b32 exec_lo, exec_lo, s64
	s_wait_dscnt 0x0
	s_barrier_signal -1
	s_barrier_wait -1
	s_and_saveexec_b32 s64, s15
	s_cbranch_execz .LBB5_111
; %bb.110:                              ;   in Loop: Header=BB5_3 Depth=1
	ds_load_b64 v[26:27], v3 offset:15336
	ds_load_b32 v78, v3 offset:15080
	s_wait_dscnt 0x0
	v_mul_f32_e32 v27, v78, v27
	s_delay_alu instid0(VALU_DEP_1)
	v_mul_f32_e32 v26, v26, v27
	v_add_nc_u32_e64 v27, 0x3800, 0
	ds_store_2addr_b32 v27, v26, v26 offset0:187 offset1:250
.LBB5_111:                              ;   in Loop: Header=BB5_3 Depth=1
	s_or_b32 exec_lo, exec_lo, s64
	v_mov_b32_e32 v26, 0
	s_wait_dscnt 0x0
	s_barrier_signal -1
	s_barrier_wait -1
	global_wb scope:SCOPE_DEV
	s_wait_storecnt 0x0
	global_inv scope:SCOPE_DEV
	s_and_saveexec_b32 s64, s0
	s_cbranch_execz .LBB5_115
; %bb.112:                              ;   in Loop: Header=BB5_3 Depth=1
	ds_load_b32 v26, v31 offset:15072
	ds_load_b32 v27, v30 offset:15336
	s_wait_dscnt 0x0
	v_fma_f32 v26, v26, v27, 0
	s_and_saveexec_b32 s65, s16
	s_cbranch_execz .LBB5_114
; %bb.113:                              ;   in Loop: Header=BB5_3 Depth=1
	ds_load_b32 v27, v40 offset:15328
	ds_load_b32 v78, v3 offset:15340
	s_wait_dscnt 0x0
	v_fmac_f32_e32 v26, v27, v78
.LBB5_114:                              ;   in Loop: Header=BB5_3 Depth=1
	s_or_b32 exec_lo, exec_lo, s65
.LBB5_115:                              ;   in Loop: Header=BB5_3 Depth=1
	s_delay_alu instid0(SALU_CYCLE_1)
	s_or_b32 exec_lo, exec_lo, s64
	s_and_saveexec_b32 s64, s92
	s_cbranch_execz .LBB5_117
; %bb.116:                              ;   in Loop: Header=BB5_3 Depth=1
	ds_load_b32 v27, v3 offset:14820
	s_wait_dscnt 0x0
	v_mul_f32_e32 v26, v26, v27
	s_delay_alu instid0(VALU_DEP_1)
	v_xor_b32_e32 v27, 0x80000000, v26
	ds_store_b32 v5, v27
.LBB5_117:                              ;   in Loop: Header=BB5_3 Depth=1
	s_or_b32 exec_lo, exec_lo, s64
	s_wait_loadcnt_dscnt 0x0
	s_barrier_signal -1
	s_barrier_wait -1
	s_and_saveexec_b32 s64, s93
	s_cbranch_execz .LBB5_119
; %bb.118:                              ;   in Loop: Header=BB5_3 Depth=1
	ds_load_b32 v27, v3 offset:14816
	ds_load_b32 v78, v5
	s_wait_dscnt 0x0
	v_fma_f32 v26, -v27, v78, v26
.LBB5_119:                              ;   in Loop: Header=BB5_3 Depth=1
	s_or_b32 exec_lo, exec_lo, s64
	s_barrier_signal -1
	s_barrier_wait -1
	s_and_saveexec_b32 s64, s93
	s_cbranch_execz .LBB5_121
; %bb.120:                              ;   in Loop: Header=BB5_3 Depth=1
	ds_load_b32 v27, v3 offset:14560
	s_wait_dscnt 0x0
	v_mul_f32_e32 v26, v26, v27
	s_delay_alu instid0(VALU_DEP_1)
	v_xor_b32_e32 v27, 0x80000000, v26
	ds_store_b32 v5, v27
.LBB5_121:                              ;   in Loop: Header=BB5_3 Depth=1
	s_or_b32 exec_lo, exec_lo, s64
	s_wait_dscnt 0x0
	s_barrier_signal -1
	s_barrier_wait -1
	s_barrier_signal -1
	s_barrier_wait -1
	s_and_saveexec_b32 s64, s0
; %bb.122:                              ;   in Loop: Header=BB5_3 Depth=1
	ds_store_b32 v33, v26 offset:15328
; %bb.123:                              ;   in Loop: Header=BB5_3 Depth=1
	s_or_b32 exec_lo, exec_lo, s64
	s_wait_dscnt 0x0
	s_barrier_signal -1
	s_barrier_wait -1
	s_barrier_signal -1
	s_barrier_wait -1
	s_and_saveexec_b32 s64, s94
	s_cbranch_execz .LBB5_125
; %bb.124:                              ;   in Loop: Header=BB5_3 Depth=1
	ds_load_b32 v26, v42 offset:15072
	s_wait_dscnt 0x0
	ds_store_b32 v40, v26 offset:14568
	ds_load_b32 v26, v42 offset:15076
	s_wait_dscnt 0x0
	ds_store_b32 v40, v26 offset:14824
.LBB5_125:                              ;   in Loop: Header=BB5_3 Depth=1
	s_or_b32 exec_lo, exec_lo, s64
	s_wait_dscnt 0x0
	s_barrier_signal -1
	s_barrier_wait -1
	s_and_saveexec_b32 s64, s15
	s_cbranch_execz .LBB5_127
; %bb.126:                              ;   in Loop: Header=BB5_3 Depth=1
	ds_load_b64 v[26:27], v3 offset:14816
	ds_load_b32 v78, v3 offset:14560
	s_wait_dscnt 0x0
	v_mul_f32_e32 v27, v78, v27
	s_delay_alu instid0(VALU_DEP_1)
	v_mul_f32_e32 v26, v26, v27
	v_add_nc_u32_e64 v27, 0x3800, 0
	ds_store_2addr_b32 v27, v26, v26 offset0:57 offset1:120
.LBB5_127:                              ;   in Loop: Header=BB5_3 Depth=1
	s_or_b32 exec_lo, exec_lo, s64
	v_mov_b32_e32 v26, 0
	s_wait_dscnt 0x0
	s_barrier_signal -1
	s_barrier_wait -1
	global_wb scope:SCOPE_DEV
	s_wait_storecnt 0x0
	global_inv scope:SCOPE_DEV
	s_and_saveexec_b32 s65, s3
	s_cbranch_execz .LBB5_137
; %bb.128:                              ;   in Loop: Header=BB5_3 Depth=1
	ds_load_b32 v26, v45 offset:14528
	ds_load_b32 v27, v44 offset:16352
	s_wait_dscnt 0x0
	v_fma_f32 v26, v26, v27, 0
	s_and_saveexec_b32 s64, s19
	s_cbranch_execnz .LBB5_1209
; %bb.129:                              ;   in Loop: Header=BB5_3 Depth=1
	s_or_b32 exec_lo, exec_lo, s64
	s_and_saveexec_b32 s64, s20
	s_cbranch_execnz .LBB5_1210
.LBB5_130:                              ;   in Loop: Header=BB5_3 Depth=1
	s_or_b32 exec_lo, exec_lo, s64
	s_and_saveexec_b32 s64, s21
	s_cbranch_execnz .LBB5_1211
.LBB5_131:                              ;   in Loop: Header=BB5_3 Depth=1
	s_or_b32 exec_lo, exec_lo, s64
	s_and_saveexec_b32 s64, s22
	s_cbranch_execnz .LBB5_1212
.LBB5_132:                              ;   in Loop: Header=BB5_3 Depth=1
	s_or_b32 exec_lo, exec_lo, s64
	s_and_saveexec_b32 s64, s23
	s_cbranch_execnz .LBB5_1213
.LBB5_133:                              ;   in Loop: Header=BB5_3 Depth=1
	s_or_b32 exec_lo, exec_lo, s64
	s_and_saveexec_b32 s64, s2
	s_cbranch_execnz .LBB5_1214
.LBB5_134:                              ;   in Loop: Header=BB5_3 Depth=1
	s_or_b32 exec_lo, exec_lo, s64
	s_and_saveexec_b32 s64, s18
	s_cbranch_execz .LBB5_136
.LBB5_135:                              ;   in Loop: Header=BB5_3 Depth=1
	ds_load_b32 v27, v46 offset:16320
	ds_load_b32 v78, v3 offset:16380
	s_wait_dscnt 0x0
	v_fmac_f32_e32 v26, v27, v78
.LBB5_136:                              ;   in Loop: Header=BB5_3 Depth=1
	s_or_b32 exec_lo, exec_lo, s64
.LBB5_137:                              ;   in Loop: Header=BB5_3 Depth=1
	s_delay_alu instid0(SALU_CYCLE_1)
	s_or_b32 exec_lo, exec_lo, s65
	s_and_saveexec_b32 s64, s102
	s_cbranch_execz .LBB5_139
; %bb.138:                              ;   in Loop: Header=BB5_3 Depth=1
	ds_load_b32 v27, v3 offset:14300
	s_wait_dscnt 0x0
	v_mul_f32_e32 v26, v26, v27
	s_delay_alu instid0(VALU_DEP_1)
	v_xor_b32_e32 v27, 0x80000000, v26
	ds_store_b32 v43, v27
.LBB5_139:                              ;   in Loop: Header=BB5_3 Depth=1
	s_or_b32 exec_lo, exec_lo, s64
	s_wait_loadcnt_dscnt 0x0
	s_barrier_signal -1
	s_barrier_wait -1
	s_and_saveexec_b32 s64, s103
	s_cbranch_execz .LBB5_141
; %bb.140:                              ;   in Loop: Header=BB5_3 Depth=1
	ds_load_b32 v27, v45 offset:14272
	ds_load_b32 v78, v43
	s_wait_dscnt 0x0
	v_fma_f32 v26, -v27, v78, v26
.LBB5_141:                              ;   in Loop: Header=BB5_3 Depth=1
	s_or_b32 exec_lo, exec_lo, s64
	s_barrier_signal -1
	s_barrier_wait -1
	s_and_saveexec_b32 s64, s104
	s_cbranch_execz .LBB5_143
; %bb.142:                              ;   in Loop: Header=BB5_3 Depth=1
	ds_load_b32 v27, v3 offset:14040
	s_wait_dscnt 0x0
	v_mul_f32_e32 v26, v26, v27
	s_delay_alu instid0(VALU_DEP_1)
	v_xor_b32_e32 v27, 0x80000000, v26
	ds_store_b32 v43, v27
.LBB5_143:                              ;   in Loop: Header=BB5_3 Depth=1
	s_or_b32 exec_lo, exec_lo, s64
	s_wait_dscnt 0x0
	s_barrier_signal -1
	s_barrier_wait -1
	s_and_saveexec_b32 s64, vcc_hi
	s_cbranch_execz .LBB5_145
; %bb.144:                              ;   in Loop: Header=BB5_3 Depth=1
	ds_load_b32 v27, v45 offset:14016
	ds_load_b32 v78, v43
	s_wait_dscnt 0x0
	v_fma_f32 v26, -v27, v78, v26
.LBB5_145:                              ;   in Loop: Header=BB5_3 Depth=1
	s_or_b32 exec_lo, exec_lo, s64
	s_barrier_signal -1
	s_barrier_wait -1
	s_and_saveexec_b32 s64, s36
	s_cbranch_execz .LBB5_147
; %bb.146:                              ;   in Loop: Header=BB5_3 Depth=1
	ds_load_b32 v27, v3 offset:13780
	s_wait_dscnt 0x0
	v_mul_f32_e32 v26, v26, v27
	s_delay_alu instid0(VALU_DEP_1)
	v_xor_b32_e32 v27, 0x80000000, v26
	ds_store_b32 v43, v27
.LBB5_147:                              ;   in Loop: Header=BB5_3 Depth=1
	s_or_b32 exec_lo, exec_lo, s64
	s_wait_dscnt 0x0
	s_barrier_signal -1
	s_barrier_wait -1
	s_and_saveexec_b32 s64, s37
	s_cbranch_execz .LBB5_149
; %bb.148:                              ;   in Loop: Header=BB5_3 Depth=1
	ds_load_b32 v27, v45 offset:13760
	ds_load_b32 v78, v43
	s_wait_dscnt 0x0
	v_fma_f32 v26, -v27, v78, v26
.LBB5_149:                              ;   in Loop: Header=BB5_3 Depth=1
	s_or_b32 exec_lo, exec_lo, s64
	s_barrier_signal -1
	s_barrier_wait -1
	s_and_saveexec_b32 s64, s38
	s_cbranch_execz .LBB5_151
; %bb.150:                              ;   in Loop: Header=BB5_3 Depth=1
	ds_load_b32 v27, v3 offset:13520
	s_wait_dscnt 0x0
	v_mul_f32_e32 v26, v26, v27
	s_delay_alu instid0(VALU_DEP_1)
	v_xor_b32_e32 v27, 0x80000000, v26
	ds_store_b32 v43, v27
.LBB5_151:                              ;   in Loop: Header=BB5_3 Depth=1
	s_or_b32 exec_lo, exec_lo, s64
	s_wait_dscnt 0x0
	s_barrier_signal -1
	s_barrier_wait -1
	s_and_saveexec_b32 s64, s39
	;; [unrolled: 25-line block ×5, first 2 shown]
	s_cbranch_execz .LBB5_165
; %bb.164:                              ;   in Loop: Header=BB5_3 Depth=1
	ds_load_b32 v27, v3 offset:12736
	ds_load_b32 v78, v43
	s_wait_dscnt 0x0
	v_fma_f32 v26, -v27, v78, v26
.LBB5_165:                              ;   in Loop: Header=BB5_3 Depth=1
	s_or_b32 exec_lo, exec_lo, s64
	s_barrier_signal -1
	s_barrier_wait -1
	s_and_saveexec_b32 s64, s45
	s_cbranch_execz .LBB5_167
; %bb.166:                              ;   in Loop: Header=BB5_3 Depth=1
	ds_load_b32 v27, v3 offset:12480
	s_wait_dscnt 0x0
	v_mul_f32_e32 v26, v26, v27
	s_delay_alu instid0(VALU_DEP_1)
	v_xor_b32_e32 v27, 0x80000000, v26
	ds_store_b32 v43, v27
.LBB5_167:                              ;   in Loop: Header=BB5_3 Depth=1
	s_or_b32 exec_lo, exec_lo, s64
	s_wait_dscnt 0x0
	s_barrier_signal -1
	s_barrier_wait -1
	s_barrier_signal -1
	s_barrier_wait -1
	s_and_saveexec_b32 s64, s3
; %bb.168:                              ;   in Loop: Header=BB5_3 Depth=1
	ds_store_b32 v48, v26 offset:16320
; %bb.169:                              ;   in Loop: Header=BB5_3 Depth=1
	s_or_b32 exec_lo, exec_lo, s64
	s_wait_dscnt 0x0
	s_barrier_signal -1
	s_barrier_wait -1
	s_barrier_signal -1
	s_barrier_wait -1
	s_and_saveexec_b32 s64, s46
	s_cbranch_execz .LBB5_171
; %bb.170:                              ;   in Loop: Header=BB5_3 Depth=1
	ds_load_b32 v26, v47 offset:14528
	s_wait_dscnt 0x0
	ds_store_b32 v49, v26 offset:12512
	ds_load_b32 v26, v47 offset:14532
	s_wait_dscnt 0x0
	ds_store_b32 v49, v26 offset:12768
	ds_load_b32 v26, v47 offset:14536
	s_wait_dscnt 0x0
	ds_store_b32 v49, v26 offset:13024
	ds_load_b32 v26, v47 offset:14540
	s_wait_dscnt 0x0
	ds_store_b32 v49, v26 offset:13280
	ds_load_b32 v26, v47 offset:14544
	s_wait_dscnt 0x0
	ds_store_b32 v49, v26 offset:13536
	ds_load_b32 v26, v47 offset:14548
	s_wait_dscnt 0x0
	ds_store_b32 v49, v26 offset:13792
	ds_load_b32 v26, v47 offset:14552
	s_wait_dscnt 0x0
	ds_store_b32 v49, v26 offset:14048
	ds_load_b32 v26, v47 offset:14556
	s_wait_dscnt 0x0
	ds_store_b32 v49, v26 offset:14304
.LBB5_171:                              ;   in Loop: Header=BB5_3 Depth=1
	s_or_b32 exec_lo, exec_lo, s64
	s_wait_dscnt 0x0
	s_barrier_signal -1
	s_barrier_wait -1
	s_and_saveexec_b32 s64, s15
	s_cbranch_execz .LBB5_173
; %bb.172:                              ;   in Loop: Header=BB5_3 Depth=1
	ds_load_b64 v[26:27], v3 offset:14296
	ds_load_b32 v78, v3 offset:14040
	s_wait_dscnt 0x0
	v_mul_f32_e32 v27, v78, v27
	s_delay_alu instid0(VALU_DEP_1)
	v_mul_f32_e32 v26, v26, v27
	v_add_nc_u32_e64 v27, 0x3400, 0
	ds_store_2addr_b32 v27, v26, v26 offset0:183 offset1:246
.LBB5_173:                              ;   in Loop: Header=BB5_3 Depth=1
	s_or_b32 exec_lo, exec_lo, s64
	v_mov_b32_e32 v26, 0
	s_wait_dscnt 0x0
	s_barrier_signal -1
	s_barrier_wait -1
	global_wb scope:SCOPE_DEV
	s_wait_storecnt 0x0
	global_inv scope:SCOPE_DEV
	s_and_saveexec_b32 s64, s0
	s_cbranch_execz .LBB5_177
; %bb.174:                              ;   in Loop: Header=BB5_3 Depth=1
	ds_load_b32 v26, v31 offset:14032
	ds_load_b32 v27, v30 offset:14296
	s_wait_dscnt 0x0
	v_fma_f32 v26, v26, v27, 0
	s_and_saveexec_b32 s65, s16
	s_cbranch_execz .LBB5_176
; %bb.175:                              ;   in Loop: Header=BB5_3 Depth=1
	ds_load_b32 v27, v49 offset:14288
	ds_load_b32 v78, v3 offset:14300
	s_wait_dscnt 0x0
	v_fmac_f32_e32 v26, v27, v78
.LBB5_176:                              ;   in Loop: Header=BB5_3 Depth=1
	s_or_b32 exec_lo, exec_lo, s65
.LBB5_177:                              ;   in Loop: Header=BB5_3 Depth=1
	s_delay_alu instid0(SALU_CYCLE_1)
	s_or_b32 exec_lo, exec_lo, s64
	s_and_saveexec_b32 s64, s92
	s_cbranch_execz .LBB5_179
; %bb.178:                              ;   in Loop: Header=BB5_3 Depth=1
	ds_load_b32 v27, v3 offset:13780
	s_wait_dscnt 0x0
	v_mul_f32_e32 v26, v26, v27
	s_delay_alu instid0(VALU_DEP_1)
	v_xor_b32_e32 v27, 0x80000000, v26
	ds_store_b32 v5, v27
.LBB5_179:                              ;   in Loop: Header=BB5_3 Depth=1
	s_or_b32 exec_lo, exec_lo, s64
	s_wait_loadcnt_dscnt 0x0
	s_barrier_signal -1
	s_barrier_wait -1
	s_and_saveexec_b32 s64, s93
	s_cbranch_execz .LBB5_181
; %bb.180:                              ;   in Loop: Header=BB5_3 Depth=1
	ds_load_b32 v27, v3 offset:13776
	ds_load_b32 v78, v5
	s_wait_dscnt 0x0
	v_fma_f32 v26, -v27, v78, v26
.LBB5_181:                              ;   in Loop: Header=BB5_3 Depth=1
	s_or_b32 exec_lo, exec_lo, s64
	s_barrier_signal -1
	s_barrier_wait -1
	s_and_saveexec_b32 s64, s93
	s_cbranch_execz .LBB5_183
; %bb.182:                              ;   in Loop: Header=BB5_3 Depth=1
	ds_load_b32 v27, v3 offset:13520
	s_wait_dscnt 0x0
	v_mul_f32_e32 v26, v26, v27
	s_delay_alu instid0(VALU_DEP_1)
	v_xor_b32_e32 v27, 0x80000000, v26
	ds_store_b32 v5, v27
.LBB5_183:                              ;   in Loop: Header=BB5_3 Depth=1
	s_or_b32 exec_lo, exec_lo, s64
	s_wait_dscnt 0x0
	s_barrier_signal -1
	s_barrier_wait -1
	s_barrier_signal -1
	s_barrier_wait -1
	s_and_saveexec_b32 s64, s0
; %bb.184:                              ;   in Loop: Header=BB5_3 Depth=1
	ds_store_b32 v33, v26 offset:14288
; %bb.185:                              ;   in Loop: Header=BB5_3 Depth=1
	s_or_b32 exec_lo, exec_lo, s64
	s_wait_dscnt 0x0
	s_barrier_signal -1
	s_barrier_wait -1
	s_barrier_signal -1
	s_barrier_wait -1
	s_and_saveexec_b32 s64, s94
	s_cbranch_execz .LBB5_187
; %bb.186:                              ;   in Loop: Header=BB5_3 Depth=1
	ds_load_b32 v26, v54 offset:14032
	s_wait_dscnt 0x0
	ds_store_b32 v49, v26 offset:13528
	ds_load_b32 v26, v54 offset:14036
	s_wait_dscnt 0x0
	ds_store_b32 v49, v26 offset:13784
.LBB5_187:                              ;   in Loop: Header=BB5_3 Depth=1
	s_or_b32 exec_lo, exec_lo, s64
	s_wait_dscnt 0x0
	s_barrier_signal -1
	s_barrier_wait -1
	s_and_saveexec_b32 s64, s15
	s_cbranch_execz .LBB5_189
; %bb.188:                              ;   in Loop: Header=BB5_3 Depth=1
	ds_load_b64 v[26:27], v3 offset:13776
	ds_load_b32 v78, v3 offset:13520
	s_wait_dscnt 0x0
	v_mul_f32_e32 v27, v78, v27
	s_delay_alu instid0(VALU_DEP_1)
	v_mul_f32_e32 v26, v26, v27
	v_add_nc_u32_e64 v27, 0x3400, 0
	ds_store_2addr_b32 v27, v26, v26 offset0:53 offset1:116
.LBB5_189:                              ;   in Loop: Header=BB5_3 Depth=1
	s_or_b32 exec_lo, exec_lo, s64
	v_mov_b32_e32 v26, 0
	s_wait_dscnt 0x0
	s_barrier_signal -1
	s_barrier_wait -1
	global_wb scope:SCOPE_DEV
	s_wait_storecnt 0x0
	global_inv scope:SCOPE_DEV
	s_and_saveexec_b32 s65, s2
	s_cbranch_execz .LBB5_195
; %bb.190:                              ;   in Loop: Header=BB5_3 Depth=1
	ds_load_b32 v26, v37 offset:13504
	ds_load_b32 v27, v36 offset:14288
	s_wait_dscnt 0x0
	v_fma_f32 v26, v26, v27, 0
	s_and_saveexec_b32 s64, s17
	s_cbranch_execnz .LBB5_1215
; %bb.191:                              ;   in Loop: Header=BB5_3 Depth=1
	s_or_b32 exec_lo, exec_lo, s64
	s_and_saveexec_b32 s64, s18
	s_cbranch_execnz .LBB5_1216
.LBB5_192:                              ;   in Loop: Header=BB5_3 Depth=1
	s_or_b32 exec_lo, exec_lo, s64
	s_and_saveexec_b32 s64, s0
	s_cbranch_execz .LBB5_194
.LBB5_193:                              ;   in Loop: Header=BB5_3 Depth=1
	ds_load_b32 v27, v55 offset:14272
	ds_load_b32 v78, v3 offset:14300
	s_wait_dscnt 0x0
	v_fmac_f32_e32 v26, v27, v78
.LBB5_194:                              ;   in Loop: Header=BB5_3 Depth=1
	s_or_b32 exec_lo, exec_lo, s64
.LBB5_195:                              ;   in Loop: Header=BB5_3 Depth=1
	s_delay_alu instid0(SALU_CYCLE_1)
	s_or_b32 exec_lo, exec_lo, s65
	s_and_saveexec_b32 s64, s95
	s_cbranch_execz .LBB5_197
; %bb.196:                              ;   in Loop: Header=BB5_3 Depth=1
	ds_load_b32 v27, v3 offset:13260
	s_wait_dscnt 0x0
	v_mul_f32_e32 v26, v26, v27
	s_delay_alu instid0(VALU_DEP_1)
	v_xor_b32_e32 v27, 0x80000000, v26
	ds_store_b32 v35, v27
.LBB5_197:                              ;   in Loop: Header=BB5_3 Depth=1
	s_or_b32 exec_lo, exec_lo, s64
	s_wait_loadcnt_dscnt 0x0
	s_barrier_signal -1
	s_barrier_wait -1
	s_and_saveexec_b32 s64, s96
	s_cbranch_execz .LBB5_199
; %bb.198:                              ;   in Loop: Header=BB5_3 Depth=1
	ds_load_b32 v27, v37 offset:13248
	ds_load_b32 v78, v35
	s_wait_dscnt 0x0
	v_fma_f32 v26, -v27, v78, v26
.LBB5_199:                              ;   in Loop: Header=BB5_3 Depth=1
	s_or_b32 exec_lo, exec_lo, s64
	s_barrier_signal -1
	s_barrier_wait -1
	s_and_saveexec_b32 s64, s97
	s_cbranch_execz .LBB5_201
; %bb.200:                              ;   in Loop: Header=BB5_3 Depth=1
	ds_load_b32 v27, v3 offset:13000
	s_wait_dscnt 0x0
	v_mul_f32_e32 v26, v26, v27
	s_delay_alu instid0(VALU_DEP_1)
	v_xor_b32_e32 v27, 0x80000000, v26
	ds_store_b32 v35, v27
.LBB5_201:                              ;   in Loop: Header=BB5_3 Depth=1
	s_or_b32 exec_lo, exec_lo, s64
	s_wait_dscnt 0x0
	s_barrier_signal -1
	s_barrier_wait -1
	s_and_saveexec_b32 s64, s98
	s_cbranch_execz .LBB5_203
; %bb.202:                              ;   in Loop: Header=BB5_3 Depth=1
	ds_load_b32 v27, v37 offset:12992
	ds_load_b32 v78, v35
	s_wait_dscnt 0x0
	v_fma_f32 v26, -v27, v78, v26
.LBB5_203:                              ;   in Loop: Header=BB5_3 Depth=1
	s_or_b32 exec_lo, exec_lo, s64
	s_barrier_signal -1
	s_barrier_wait -1
	s_and_saveexec_b32 s64, s99
	s_cbranch_execz .LBB5_205
; %bb.204:                              ;   in Loop: Header=BB5_3 Depth=1
	ds_load_b32 v27, v3 offset:12740
	s_wait_dscnt 0x0
	v_mul_f32_e32 v26, v26, v27
	s_delay_alu instid0(VALU_DEP_1)
	v_xor_b32_e32 v27, 0x80000000, v26
	ds_store_b32 v35, v27
.LBB5_205:                              ;   in Loop: Header=BB5_3 Depth=1
	s_or_b32 exec_lo, exec_lo, s64
	s_wait_dscnt 0x0
	;; [unrolled: 25-line block ×3, first 2 shown]
	s_barrier_signal -1
	s_barrier_wait -1
	s_barrier_signal -1
	s_barrier_wait -1
	s_and_saveexec_b32 s64, s2
; %bb.210:                              ;   in Loop: Header=BB5_3 Depth=1
	ds_store_b32 v41, v26 offset:14272
; %bb.211:                              ;   in Loop: Header=BB5_3 Depth=1
	s_or_b32 exec_lo, exec_lo, s64
	s_wait_dscnt 0x0
	s_barrier_signal -1
	s_barrier_wait -1
	s_barrier_signal -1
	s_barrier_wait -1
	s_and_saveexec_b32 s64, s101
	s_cbranch_execz .LBB5_213
; %bb.212:                              ;   in Loop: Header=BB5_3 Depth=1
	ds_load_b32 v26, v56 offset:13504
	s_wait_dscnt 0x0
	ds_store_b32 v57, v26 offset:12496
	ds_load_b32 v26, v56 offset:13508
	s_wait_dscnt 0x0
	ds_store_b32 v57, v26 offset:12752
	;; [unrolled: 3-line block ×4, first 2 shown]
.LBB5_213:                              ;   in Loop: Header=BB5_3 Depth=1
	s_or_b32 exec_lo, exec_lo, s64
	s_wait_dscnt 0x0
	s_barrier_signal -1
	s_barrier_wait -1
	s_and_saveexec_b32 s64, s15
	s_cbranch_execz .LBB5_215
; %bb.214:                              ;   in Loop: Header=BB5_3 Depth=1
	ds_load_b64 v[26:27], v3 offset:13256
	ds_load_b32 v78, v3 offset:13000
	s_wait_dscnt 0x0
	v_mul_f32_e32 v27, v78, v27
	s_delay_alu instid0(VALU_DEP_1)
	v_mul_f32_e32 v26, v26, v27
	v_add_nc_u32_e64 v27, 0x3000, 0
	ds_store_2addr_b32 v27, v26, v26 offset0:179 offset1:242
.LBB5_215:                              ;   in Loop: Header=BB5_3 Depth=1
	s_or_b32 exec_lo, exec_lo, s64
	v_mov_b32_e32 v26, 0
	s_wait_dscnt 0x0
	s_barrier_signal -1
	s_barrier_wait -1
	global_wb scope:SCOPE_DEV
	s_wait_storecnt 0x0
	global_inv scope:SCOPE_DEV
	s_and_saveexec_b32 s64, s0
	s_cbranch_execz .LBB5_219
; %bb.216:                              ;   in Loop: Header=BB5_3 Depth=1
	ds_load_b32 v26, v31 offset:12992
	ds_load_b32 v27, v30 offset:13256
	s_wait_dscnt 0x0
	v_fma_f32 v26, v26, v27, 0
	s_and_saveexec_b32 s65, s16
	s_cbranch_execz .LBB5_218
; %bb.217:                              ;   in Loop: Header=BB5_3 Depth=1
	ds_load_b32 v27, v57 offset:13248
	ds_load_b32 v78, v3 offset:13260
	s_wait_dscnt 0x0
	v_fmac_f32_e32 v26, v27, v78
.LBB5_218:                              ;   in Loop: Header=BB5_3 Depth=1
	s_or_b32 exec_lo, exec_lo, s65
.LBB5_219:                              ;   in Loop: Header=BB5_3 Depth=1
	s_delay_alu instid0(SALU_CYCLE_1)
	s_or_b32 exec_lo, exec_lo, s64
	s_and_saveexec_b32 s64, s92
	s_cbranch_execz .LBB5_221
; %bb.220:                              ;   in Loop: Header=BB5_3 Depth=1
	ds_load_b32 v27, v3 offset:12740
	s_wait_dscnt 0x0
	v_mul_f32_e32 v26, v26, v27
	s_delay_alu instid0(VALU_DEP_1)
	v_xor_b32_e32 v27, 0x80000000, v26
	ds_store_b32 v5, v27
.LBB5_221:                              ;   in Loop: Header=BB5_3 Depth=1
	s_or_b32 exec_lo, exec_lo, s64
	s_wait_loadcnt_dscnt 0x0
	s_barrier_signal -1
	s_barrier_wait -1
	s_and_saveexec_b32 s64, s93
	s_cbranch_execz .LBB5_223
; %bb.222:                              ;   in Loop: Header=BB5_3 Depth=1
	ds_load_b32 v27, v3 offset:12736
	ds_load_b32 v78, v5
	s_wait_dscnt 0x0
	v_fma_f32 v26, -v27, v78, v26
.LBB5_223:                              ;   in Loop: Header=BB5_3 Depth=1
	s_or_b32 exec_lo, exec_lo, s64
	s_barrier_signal -1
	s_barrier_wait -1
	s_and_saveexec_b32 s64, s93
	s_cbranch_execz .LBB5_225
; %bb.224:                              ;   in Loop: Header=BB5_3 Depth=1
	ds_load_b32 v27, v3 offset:12480
	s_wait_dscnt 0x0
	v_mul_f32_e32 v26, v26, v27
	s_delay_alu instid0(VALU_DEP_1)
	v_xor_b32_e32 v27, 0x80000000, v26
	ds_store_b32 v5, v27
.LBB5_225:                              ;   in Loop: Header=BB5_3 Depth=1
	s_or_b32 exec_lo, exec_lo, s64
	s_wait_dscnt 0x0
	s_barrier_signal -1
	s_barrier_wait -1
	s_barrier_signal -1
	s_barrier_wait -1
	s_and_saveexec_b32 s64, s0
; %bb.226:                              ;   in Loop: Header=BB5_3 Depth=1
	ds_store_b32 v33, v26 offset:13248
; %bb.227:                              ;   in Loop: Header=BB5_3 Depth=1
	s_or_b32 exec_lo, exec_lo, s64
	s_wait_dscnt 0x0
	s_barrier_signal -1
	s_barrier_wait -1
	s_barrier_signal -1
	s_barrier_wait -1
	s_and_saveexec_b32 s64, s94
	s_cbranch_execz .LBB5_229
; %bb.228:                              ;   in Loop: Header=BB5_3 Depth=1
	ds_load_b32 v26, v58 offset:12992
	s_wait_dscnt 0x0
	ds_store_b32 v57, v26 offset:12488
	ds_load_b32 v26, v58 offset:12996
	s_wait_dscnt 0x0
	ds_store_b32 v57, v26 offset:12744
.LBB5_229:                              ;   in Loop: Header=BB5_3 Depth=1
	s_or_b32 exec_lo, exec_lo, s64
	s_wait_dscnt 0x0
	s_barrier_signal -1
	s_barrier_wait -1
	s_and_saveexec_b32 s64, s15
	s_cbranch_execz .LBB5_231
; %bb.230:                              ;   in Loop: Header=BB5_3 Depth=1
	ds_load_b64 v[26:27], v3 offset:12736
	ds_load_b32 v78, v3 offset:12480
	s_wait_dscnt 0x0
	v_mul_f32_e32 v27, v78, v27
	s_delay_alu instid0(VALU_DEP_1)
	v_mul_f32_e32 v26, v26, v27
	v_add_nc_u32_e64 v27, 0x3000, 0
	ds_store_2addr_b32 v27, v26, v26 offset0:49 offset1:112
.LBB5_231:                              ;   in Loop: Header=BB5_3 Depth=1
	s_or_b32 exec_lo, exec_lo, s64
	v_mov_b32_e32 v26, 0
	s_wait_dscnt 0x0
	s_barrier_signal -1
	s_barrier_wait -1
	global_wb scope:SCOPE_DEV
	s_wait_storecnt 0x0
	global_inv scope:SCOPE_DEV
	s_and_saveexec_b32 s65, s4
	s_cbranch_execz .LBB5_259
; %bb.232:                              ;   in Loop: Header=BB5_3 Depth=1
	ds_load_b32 v26, v52 offset:12416
	ds_load_b32 v27, v51 offset:16320
	s_wait_dscnt 0x0
	v_fma_f32 v26, v26, v27, 0
	s_mov_b32 s64, exec_lo
	v_readlane_b32 s71, v85, 22
	s_and_b32 s71, s64, s71
	s_delay_alu instid0(SALU_CYCLE_1)
	s_mov_b32 exec_lo, s71
	s_cbranch_execz .LBB5_234
; %bb.233:                              ;   in Loop: Header=BB5_3 Depth=1
	ds_load_b32 v27, v52 offset:12672
	ds_load_b32 v78, v51 offset:16324
	s_wait_dscnt 0x0
	v_fmac_f32_e32 v26, v27, v78
.LBB5_234:                              ;   in Loop: Header=BB5_3 Depth=1
	s_or_b32 exec_lo, exec_lo, s64
	s_delay_alu instid0(SALU_CYCLE_1) | instskip(SKIP_2) | instid1(SALU_CYCLE_1)
	s_mov_b32 s64, exec_lo
	v_readlane_b32 s71, v85, 23
	s_and_b32 s71, s64, s71
	s_mov_b32 exec_lo, s71
	s_cbranch_execz .LBB5_236
; %bb.235:                              ;   in Loop: Header=BB5_3 Depth=1
	ds_load_b32 v27, v52 offset:12928
	ds_load_b32 v78, v51 offset:16328
	s_wait_dscnt 0x0
	v_fmac_f32_e32 v26, v27, v78
.LBB5_236:                              ;   in Loop: Header=BB5_3 Depth=1
	s_or_b32 exec_lo, exec_lo, s64
	s_delay_alu instid0(SALU_CYCLE_1) | instskip(SKIP_2) | instid1(SALU_CYCLE_1)
	s_mov_b32 s64, exec_lo
	v_readlane_b32 s71, v85, 24
	s_and_b32 s71, s64, s71
	;; [unrolled: 13-line block ×10, first 2 shown]
	s_mov_b32 exec_lo, s71
	s_cbranch_execnz .LBB5_1217
; %bb.253:                              ;   in Loop: Header=BB5_3 Depth=1
	s_or_b32 exec_lo, exec_lo, s64
	s_and_saveexec_b32 s64, s3
	s_cbranch_execnz .LBB5_1218
.LBB5_254:                              ;   in Loop: Header=BB5_3 Depth=1
	s_or_b32 exec_lo, exec_lo, s64
	s_and_saveexec_b32 s64, s20
	s_cbranch_execnz .LBB5_1219
.LBB5_255:                              ;   in Loop: Header=BB5_3 Depth=1
	s_or_b32 exec_lo, exec_lo, s64
	s_and_saveexec_b32 s64, s22
	s_cbranch_execnz .LBB5_1220
.LBB5_256:                              ;   in Loop: Header=BB5_3 Depth=1
	s_or_b32 exec_lo, exec_lo, s64
	s_and_saveexec_b32 s64, s2
	s_cbranch_execz .LBB5_258
.LBB5_257:                              ;   in Loop: Header=BB5_3 Depth=1
	ds_load_b32 v27, v32 offset:16256
	ds_load_b32 v78, v3 offset:16380
	s_wait_dscnt 0x0
	v_fmac_f32_e32 v26, v27, v78
.LBB5_258:                              ;   in Loop: Header=BB5_3 Depth=1
	s_or_b32 exec_lo, exec_lo, s64
.LBB5_259:                              ;   in Loop: Header=BB5_3 Depth=1
	s_delay_alu instid0(SALU_CYCLE_1)
	s_or_b32 exec_lo, exec_lo, s65
	s_and_saveexec_b32 s64, s47
	s_cbranch_execz .LBB5_261
; %bb.260:                              ;   in Loop: Header=BB5_3 Depth=1
	ds_load_b32 v27, v3 offset:12220
	s_wait_dscnt 0x0
	v_mul_f32_e32 v26, v26, v27
	s_delay_alu instid0(VALU_DEP_1)
	v_xor_b32_e32 v27, 0x80000000, v26
	ds_store_b32 v50, v27
.LBB5_261:                              ;   in Loop: Header=BB5_3 Depth=1
	s_or_b32 exec_lo, exec_lo, s64
	s_wait_loadcnt_dscnt 0x0
	s_barrier_signal -1
	s_barrier_wait -1
	s_and_saveexec_b32 s64, s48
	s_cbranch_execz .LBB5_263
; %bb.262:                              ;   in Loop: Header=BB5_3 Depth=1
	ds_load_b32 v27, v52 offset:12160
	ds_load_b32 v78, v50
	s_wait_dscnt 0x0
	v_fma_f32 v26, -v27, v78, v26
.LBB5_263:                              ;   in Loop: Header=BB5_3 Depth=1
	s_or_b32 exec_lo, exec_lo, s64
	s_barrier_signal -1
	s_barrier_wait -1
	s_and_saveexec_b32 s64, s49
	s_cbranch_execz .LBB5_265
; %bb.264:                              ;   in Loop: Header=BB5_3 Depth=1
	ds_load_b32 v27, v3 offset:11960
	s_wait_dscnt 0x0
	v_mul_f32_e32 v26, v26, v27
	s_delay_alu instid0(VALU_DEP_1)
	v_xor_b32_e32 v27, 0x80000000, v26
	ds_store_b32 v50, v27
.LBB5_265:                              ;   in Loop: Header=BB5_3 Depth=1
	s_or_b32 exec_lo, exec_lo, s64
	s_wait_dscnt 0x0
	s_barrier_signal -1
	s_barrier_wait -1
	s_and_saveexec_b32 s64, s50
	s_cbranch_execz .LBB5_267
; %bb.266:                              ;   in Loop: Header=BB5_3 Depth=1
	ds_load_b32 v27, v52 offset:11904
	ds_load_b32 v78, v50
	s_wait_dscnt 0x0
	v_fma_f32 v26, -v27, v78, v26
.LBB5_267:                              ;   in Loop: Header=BB5_3 Depth=1
	s_or_b32 exec_lo, exec_lo, s64
	s_barrier_signal -1
	s_barrier_wait -1
	s_and_saveexec_b32 s64, s51
	s_cbranch_execz .LBB5_269
; %bb.268:                              ;   in Loop: Header=BB5_3 Depth=1
	ds_load_b32 v27, v3 offset:11700
	s_wait_dscnt 0x0
	v_mul_f32_e32 v26, v26, v27
	s_delay_alu instid0(VALU_DEP_1)
	v_xor_b32_e32 v27, 0x80000000, v26
	ds_store_b32 v50, v27
.LBB5_269:                              ;   in Loop: Header=BB5_3 Depth=1
	s_or_b32 exec_lo, exec_lo, s64
	s_wait_dscnt 0x0
	;; [unrolled: 25-line block ×15, first 2 shown]
	s_barrier_signal -1
	s_barrier_wait -1
	s_barrier_signal -1
	s_barrier_wait -1
	s_and_saveexec_b32 s64, s4
; %bb.322:                              ;   in Loop: Header=BB5_3 Depth=1
	ds_store_b32 v53, v26 offset:16256
; %bb.323:                              ;   in Loop: Header=BB5_3 Depth=1
	s_or_b32 exec_lo, exec_lo, s64
	s_wait_dscnt 0x0
	s_barrier_signal -1
	s_barrier_wait -1
	s_barrier_signal -1
	s_barrier_wait -1
	s_and_saveexec_b32 s65, s11
	s_cbranch_execz .LBB5_325
; %bb.324:                              ;   in Loop: Header=BB5_3 Depth=1
	ds_load_b32 v26, v34 offset:12416
	s_wait_dscnt 0x0
	ds_store_b32 v38, v26 offset:8384
	ds_load_b32 v26, v34 offset:12420
	s_wait_dscnt 0x0
	ds_store_b32 v38, v26 offset:8640
	ds_load_b32 v26, v34 offset:12424
	s_wait_dscnt 0x0
	ds_store_b32 v38, v26 offset:8896
	ds_load_b32 v26, v34 offset:12428
	s_wait_dscnt 0x0
	ds_store_b32 v38, v26 offset:9152
	ds_load_b32 v26, v34 offset:12432
	s_wait_dscnt 0x0
	ds_store_b32 v38, v26 offset:9408
	ds_load_b32 v26, v34 offset:12436
	s_wait_dscnt 0x0
	ds_store_b32 v38, v26 offset:9664
	ds_load_b32 v26, v34 offset:12440
	s_wait_dscnt 0x0
	ds_store_b32 v38, v26 offset:9920
	ds_load_b32 v26, v34 offset:12444
	s_wait_dscnt 0x0
	ds_store_b32 v38, v26 offset:10176
	ds_load_b32 v26, v34 offset:12448
	s_wait_dscnt 0x0
	ds_store_b32 v38, v26 offset:10432
	ds_load_b32 v26, v34 offset:12452
	s_wait_dscnt 0x0
	ds_store_b32 v38, v26 offset:10688
	ds_load_b32 v26, v34 offset:12456
	s_wait_dscnt 0x0
	ds_store_b32 v38, v26 offset:10944
	ds_load_b32 v26, v34 offset:12460
	s_wait_dscnt 0x0
	ds_store_b32 v38, v26 offset:11200
	ds_load_b32 v26, v34 offset:12464
	s_wait_dscnt 0x0
	ds_store_b32 v38, v26 offset:11456
	ds_load_b32 v26, v34 offset:12468
	s_wait_dscnt 0x0
	ds_store_b32 v38, v26 offset:11712
	ds_load_b32 v26, v34 offset:12472
	s_wait_dscnt 0x0
	ds_store_b32 v38, v26 offset:11968
	ds_load_b32 v26, v34 offset:12476
	s_wait_dscnt 0x0
	ds_store_b32 v38, v26 offset:12224
.LBB5_325:                              ;   in Loop: Header=BB5_3 Depth=1
	s_or_b32 exec_lo, exec_lo, s65
	s_wait_dscnt 0x0
	s_barrier_signal -1
	s_barrier_wait -1
	s_and_saveexec_b32 s64, s15
	s_cbranch_execz .LBB5_327
; %bb.326:                              ;   in Loop: Header=BB5_3 Depth=1
	ds_load_b64 v[26:27], v3 offset:12216
	ds_load_b32 v78, v3 offset:11960
	s_wait_dscnt 0x0
	v_mul_f32_e32 v27, v78, v27
	s_delay_alu instid0(VALU_DEP_1)
	v_mul_f32_e32 v26, v26, v27
	v_add_nc_u32_e64 v27, 0x2c00, 0
	ds_store_2addr_b32 v27, v26, v26 offset0:175 offset1:238
.LBB5_327:                              ;   in Loop: Header=BB5_3 Depth=1
	s_or_b32 exec_lo, exec_lo, s64
	v_mov_b32_e32 v26, 0
	s_wait_dscnt 0x0
	s_barrier_signal -1
	s_barrier_wait -1
	global_wb scope:SCOPE_DEV
	s_wait_storecnt 0x0
	global_inv scope:SCOPE_DEV
	s_and_saveexec_b32 s64, s0
	s_cbranch_execz .LBB5_331
; %bb.328:                              ;   in Loop: Header=BB5_3 Depth=1
	ds_load_b32 v26, v31 offset:11952
	ds_load_b32 v27, v30 offset:12216
	s_wait_dscnt 0x0
	v_fma_f32 v26, v26, v27, 0
	s_and_saveexec_b32 s65, s16
	s_cbranch_execz .LBB5_330
; %bb.329:                              ;   in Loop: Header=BB5_3 Depth=1
	ds_load_b32 v27, v32 offset:12208
	ds_load_b32 v78, v3 offset:12220
	s_wait_dscnt 0x0
	v_fmac_f32_e32 v26, v27, v78
.LBB5_330:                              ;   in Loop: Header=BB5_3 Depth=1
	s_or_b32 exec_lo, exec_lo, s65
.LBB5_331:                              ;   in Loop: Header=BB5_3 Depth=1
	s_delay_alu instid0(SALU_CYCLE_1)
	s_or_b32 exec_lo, exec_lo, s64
	s_and_saveexec_b32 s64, s92
	s_cbranch_execz .LBB5_333
; %bb.332:                              ;   in Loop: Header=BB5_3 Depth=1
	ds_load_b32 v27, v3 offset:11700
	s_wait_dscnt 0x0
	v_mul_f32_e32 v26, v26, v27
	s_delay_alu instid0(VALU_DEP_1)
	v_xor_b32_e32 v27, 0x80000000, v26
	ds_store_b32 v5, v27
.LBB5_333:                              ;   in Loop: Header=BB5_3 Depth=1
	s_or_b32 exec_lo, exec_lo, s64
	s_wait_loadcnt_dscnt 0x0
	s_barrier_signal -1
	s_barrier_wait -1
	s_and_saveexec_b32 s64, s93
	s_cbranch_execz .LBB5_335
; %bb.334:                              ;   in Loop: Header=BB5_3 Depth=1
	ds_load_b32 v27, v3 offset:11696
	ds_load_b32 v78, v5
	s_wait_dscnt 0x0
	v_fma_f32 v26, -v27, v78, v26
.LBB5_335:                              ;   in Loop: Header=BB5_3 Depth=1
	s_or_b32 exec_lo, exec_lo, s64
	s_barrier_signal -1
	s_barrier_wait -1
	s_and_saveexec_b32 s64, s93
	s_cbranch_execz .LBB5_337
; %bb.336:                              ;   in Loop: Header=BB5_3 Depth=1
	ds_load_b32 v27, v3 offset:11440
	s_wait_dscnt 0x0
	v_mul_f32_e32 v26, v26, v27
	s_delay_alu instid0(VALU_DEP_1)
	v_xor_b32_e32 v27, 0x80000000, v26
	ds_store_b32 v5, v27
.LBB5_337:                              ;   in Loop: Header=BB5_3 Depth=1
	s_or_b32 exec_lo, exec_lo, s64
	s_wait_dscnt 0x0
	s_barrier_signal -1
	s_barrier_wait -1
	s_barrier_signal -1
	s_barrier_wait -1
	s_and_saveexec_b32 s64, s0
; %bb.338:                              ;   in Loop: Header=BB5_3 Depth=1
	ds_store_b32 v33, v26 offset:12208
; %bb.339:                              ;   in Loop: Header=BB5_3 Depth=1
	s_or_b32 exec_lo, exec_lo, s64
	s_wait_dscnt 0x0
	s_barrier_signal -1
	s_barrier_wait -1
	s_barrier_signal -1
	s_barrier_wait -1
	s_and_saveexec_b32 s64, s94
	s_cbranch_execz .LBB5_341
; %bb.340:                              ;   in Loop: Header=BB5_3 Depth=1
	ds_load_b32 v26, v34 offset:11952
	s_wait_dscnt 0x0
	ds_store_b32 v32, v26 offset:11448
	ds_load_b32 v26, v34 offset:11956
	s_wait_dscnt 0x0
	ds_store_b32 v32, v26 offset:11704
.LBB5_341:                              ;   in Loop: Header=BB5_3 Depth=1
	s_or_b32 exec_lo, exec_lo, s64
	s_wait_dscnt 0x0
	s_barrier_signal -1
	s_barrier_wait -1
	s_and_saveexec_b32 s64, s15
	s_cbranch_execz .LBB5_343
; %bb.342:                              ;   in Loop: Header=BB5_3 Depth=1
	ds_load_b64 v[26:27], v3 offset:11696
	ds_load_b32 v78, v3 offset:11440
	s_wait_dscnt 0x0
	v_mul_f32_e32 v27, v78, v27
	s_delay_alu instid0(VALU_DEP_1)
	v_mul_f32_e32 v26, v26, v27
	v_add_nc_u32_e64 v27, 0x2c00, 0
	ds_store_2addr_b32 v27, v26, v26 offset0:45 offset1:108
.LBB5_343:                              ;   in Loop: Header=BB5_3 Depth=1
	s_or_b32 exec_lo, exec_lo, s64
	v_mov_b32_e32 v26, 0
	s_wait_dscnt 0x0
	s_barrier_signal -1
	s_barrier_wait -1
	global_wb scope:SCOPE_DEV
	s_wait_storecnt 0x0
	global_inv scope:SCOPE_DEV
	s_and_saveexec_b32 s65, s2
	s_cbranch_execz .LBB5_349
; %bb.344:                              ;   in Loop: Header=BB5_3 Depth=1
	ds_load_b32 v26, v37 offset:11424
	ds_load_b32 v27, v36 offset:12208
	s_wait_dscnt 0x0
	v_fma_f32 v26, v26, v27, 0
	s_and_saveexec_b32 s64, s17
	s_cbranch_execnz .LBB5_1221
; %bb.345:                              ;   in Loop: Header=BB5_3 Depth=1
	s_or_b32 exec_lo, exec_lo, s64
	s_and_saveexec_b32 s64, s18
	s_cbranch_execnz .LBB5_1222
.LBB5_346:                              ;   in Loop: Header=BB5_3 Depth=1
	s_or_b32 exec_lo, exec_lo, s64
	s_and_saveexec_b32 s64, s0
	s_cbranch_execz .LBB5_348
.LBB5_347:                              ;   in Loop: Header=BB5_3 Depth=1
	ds_load_b32 v27, v38 offset:12192
	ds_load_b32 v78, v3 offset:12220
	s_wait_dscnt 0x0
	v_fmac_f32_e32 v26, v27, v78
.LBB5_348:                              ;   in Loop: Header=BB5_3 Depth=1
	s_or_b32 exec_lo, exec_lo, s64
.LBB5_349:                              ;   in Loop: Header=BB5_3 Depth=1
	s_delay_alu instid0(SALU_CYCLE_1)
	s_or_b32 exec_lo, exec_lo, s65
	s_and_saveexec_b32 s64, s95
	s_cbranch_execz .LBB5_351
; %bb.350:                              ;   in Loop: Header=BB5_3 Depth=1
	ds_load_b32 v27, v3 offset:11180
	s_wait_dscnt 0x0
	v_mul_f32_e32 v26, v26, v27
	s_delay_alu instid0(VALU_DEP_1)
	v_xor_b32_e32 v27, 0x80000000, v26
	ds_store_b32 v35, v27
.LBB5_351:                              ;   in Loop: Header=BB5_3 Depth=1
	s_or_b32 exec_lo, exec_lo, s64
	s_wait_loadcnt_dscnt 0x0
	s_barrier_signal -1
	s_barrier_wait -1
	s_and_saveexec_b32 s64, s96
	s_cbranch_execz .LBB5_353
; %bb.352:                              ;   in Loop: Header=BB5_3 Depth=1
	ds_load_b32 v27, v37 offset:11168
	ds_load_b32 v78, v35
	s_wait_dscnt 0x0
	v_fma_f32 v26, -v27, v78, v26
.LBB5_353:                              ;   in Loop: Header=BB5_3 Depth=1
	s_or_b32 exec_lo, exec_lo, s64
	s_barrier_signal -1
	s_barrier_wait -1
	s_and_saveexec_b32 s64, s97
	s_cbranch_execz .LBB5_355
; %bb.354:                              ;   in Loop: Header=BB5_3 Depth=1
	ds_load_b32 v27, v3 offset:10920
	s_wait_dscnt 0x0
	v_mul_f32_e32 v26, v26, v27
	s_delay_alu instid0(VALU_DEP_1)
	v_xor_b32_e32 v27, 0x80000000, v26
	ds_store_b32 v35, v27
.LBB5_355:                              ;   in Loop: Header=BB5_3 Depth=1
	s_or_b32 exec_lo, exec_lo, s64
	s_wait_dscnt 0x0
	s_barrier_signal -1
	s_barrier_wait -1
	s_and_saveexec_b32 s64, s98
	s_cbranch_execz .LBB5_357
; %bb.356:                              ;   in Loop: Header=BB5_3 Depth=1
	ds_load_b32 v27, v37 offset:10912
	ds_load_b32 v78, v35
	s_wait_dscnt 0x0
	v_fma_f32 v26, -v27, v78, v26
.LBB5_357:                              ;   in Loop: Header=BB5_3 Depth=1
	s_or_b32 exec_lo, exec_lo, s64
	s_barrier_signal -1
	s_barrier_wait -1
	s_and_saveexec_b32 s64, s99
	s_cbranch_execz .LBB5_359
; %bb.358:                              ;   in Loop: Header=BB5_3 Depth=1
	ds_load_b32 v27, v3 offset:10660
	s_wait_dscnt 0x0
	v_mul_f32_e32 v26, v26, v27
	s_delay_alu instid0(VALU_DEP_1)
	v_xor_b32_e32 v27, 0x80000000, v26
	ds_store_b32 v35, v27
.LBB5_359:                              ;   in Loop: Header=BB5_3 Depth=1
	s_or_b32 exec_lo, exec_lo, s64
	s_wait_dscnt 0x0
	;; [unrolled: 25-line block ×3, first 2 shown]
	s_barrier_signal -1
	s_barrier_wait -1
	s_barrier_signal -1
	s_barrier_wait -1
	s_and_saveexec_b32 s64, s2
; %bb.364:                              ;   in Loop: Header=BB5_3 Depth=1
	ds_store_b32 v41, v26 offset:12192
; %bb.365:                              ;   in Loop: Header=BB5_3 Depth=1
	s_or_b32 exec_lo, exec_lo, s64
	s_wait_dscnt 0x0
	s_barrier_signal -1
	s_barrier_wait -1
	s_barrier_signal -1
	s_barrier_wait -1
	s_and_saveexec_b32 s64, s101
	s_cbranch_execz .LBB5_367
; %bb.366:                              ;   in Loop: Header=BB5_3 Depth=1
	ds_load_b32 v26, v39 offset:11424
	s_wait_dscnt 0x0
	ds_store_b32 v40, v26 offset:10416
	ds_load_b32 v26, v39 offset:11428
	s_wait_dscnt 0x0
	ds_store_b32 v40, v26 offset:10672
	;; [unrolled: 3-line block ×4, first 2 shown]
.LBB5_367:                              ;   in Loop: Header=BB5_3 Depth=1
	s_or_b32 exec_lo, exec_lo, s64
	s_wait_dscnt 0x0
	s_barrier_signal -1
	s_barrier_wait -1
	s_and_saveexec_b32 s64, s15
	s_cbranch_execz .LBB5_369
; %bb.368:                              ;   in Loop: Header=BB5_3 Depth=1
	ds_load_b64 v[26:27], v3 offset:11176
	ds_load_b32 v78, v3 offset:10920
	s_wait_dscnt 0x0
	v_mul_f32_e32 v27, v78, v27
	s_delay_alu instid0(VALU_DEP_1)
	v_mul_f32_e32 v26, v26, v27
	v_add_nc_u32_e64 v27, 0x2800, 0
	ds_store_2addr_b32 v27, v26, v26 offset0:171 offset1:234
.LBB5_369:                              ;   in Loop: Header=BB5_3 Depth=1
	s_or_b32 exec_lo, exec_lo, s64
	v_mov_b32_e32 v26, 0
	s_wait_dscnt 0x0
	s_barrier_signal -1
	s_barrier_wait -1
	global_wb scope:SCOPE_DEV
	s_wait_storecnt 0x0
	global_inv scope:SCOPE_DEV
	s_and_saveexec_b32 s64, s0
	s_cbranch_execz .LBB5_373
; %bb.370:                              ;   in Loop: Header=BB5_3 Depth=1
	ds_load_b32 v26, v31 offset:10912
	ds_load_b32 v27, v30 offset:11176
	s_wait_dscnt 0x0
	v_fma_f32 v26, v26, v27, 0
	s_and_saveexec_b32 s65, s16
	s_cbranch_execz .LBB5_372
; %bb.371:                              ;   in Loop: Header=BB5_3 Depth=1
	ds_load_b32 v27, v40 offset:11168
	ds_load_b32 v78, v3 offset:11180
	s_wait_dscnt 0x0
	v_fmac_f32_e32 v26, v27, v78
.LBB5_372:                              ;   in Loop: Header=BB5_3 Depth=1
	s_or_b32 exec_lo, exec_lo, s65
.LBB5_373:                              ;   in Loop: Header=BB5_3 Depth=1
	s_delay_alu instid0(SALU_CYCLE_1)
	s_or_b32 exec_lo, exec_lo, s64
	s_and_saveexec_b32 s64, s92
	s_cbranch_execz .LBB5_375
; %bb.374:                              ;   in Loop: Header=BB5_3 Depth=1
	ds_load_b32 v27, v3 offset:10660
	s_wait_dscnt 0x0
	v_mul_f32_e32 v26, v26, v27
	s_delay_alu instid0(VALU_DEP_1)
	v_xor_b32_e32 v27, 0x80000000, v26
	ds_store_b32 v5, v27
.LBB5_375:                              ;   in Loop: Header=BB5_3 Depth=1
	s_or_b32 exec_lo, exec_lo, s64
	s_wait_loadcnt_dscnt 0x0
	s_barrier_signal -1
	s_barrier_wait -1
	s_and_saveexec_b32 s64, s93
	s_cbranch_execz .LBB5_377
; %bb.376:                              ;   in Loop: Header=BB5_3 Depth=1
	ds_load_b32 v27, v3 offset:10656
	ds_load_b32 v78, v5
	s_wait_dscnt 0x0
	v_fma_f32 v26, -v27, v78, v26
.LBB5_377:                              ;   in Loop: Header=BB5_3 Depth=1
	s_or_b32 exec_lo, exec_lo, s64
	s_barrier_signal -1
	s_barrier_wait -1
	s_and_saveexec_b32 s64, s93
	s_cbranch_execz .LBB5_379
; %bb.378:                              ;   in Loop: Header=BB5_3 Depth=1
	ds_load_b32 v27, v3 offset:10400
	s_wait_dscnt 0x0
	v_mul_f32_e32 v26, v26, v27
	s_delay_alu instid0(VALU_DEP_1)
	v_xor_b32_e32 v27, 0x80000000, v26
	ds_store_b32 v5, v27
.LBB5_379:                              ;   in Loop: Header=BB5_3 Depth=1
	s_or_b32 exec_lo, exec_lo, s64
	s_wait_dscnt 0x0
	s_barrier_signal -1
	s_barrier_wait -1
	s_barrier_signal -1
	s_barrier_wait -1
	s_and_saveexec_b32 s64, s0
; %bb.380:                              ;   in Loop: Header=BB5_3 Depth=1
	ds_store_b32 v33, v26 offset:11168
; %bb.381:                              ;   in Loop: Header=BB5_3 Depth=1
	s_or_b32 exec_lo, exec_lo, s64
	s_wait_dscnt 0x0
	s_barrier_signal -1
	s_barrier_wait -1
	s_barrier_signal -1
	s_barrier_wait -1
	s_and_saveexec_b32 s64, s94
	s_cbranch_execz .LBB5_383
; %bb.382:                              ;   in Loop: Header=BB5_3 Depth=1
	ds_load_b32 v26, v42 offset:10912
	s_wait_dscnt 0x0
	ds_store_b32 v40, v26 offset:10408
	ds_load_b32 v26, v42 offset:10916
	s_wait_dscnt 0x0
	ds_store_b32 v40, v26 offset:10664
.LBB5_383:                              ;   in Loop: Header=BB5_3 Depth=1
	s_or_b32 exec_lo, exec_lo, s64
	s_wait_dscnt 0x0
	s_barrier_signal -1
	s_barrier_wait -1
	s_and_saveexec_b32 s64, s15
	s_cbranch_execz .LBB5_385
; %bb.384:                              ;   in Loop: Header=BB5_3 Depth=1
	ds_load_b64 v[26:27], v3 offset:10656
	ds_load_b32 v78, v3 offset:10400
	s_wait_dscnt 0x0
	v_mul_f32_e32 v27, v78, v27
	s_delay_alu instid0(VALU_DEP_1)
	v_mul_f32_e32 v26, v26, v27
	v_add_nc_u32_e64 v27, 0x2800, 0
	ds_store_2addr_b32 v27, v26, v26 offset0:41 offset1:104
.LBB5_385:                              ;   in Loop: Header=BB5_3 Depth=1
	s_or_b32 exec_lo, exec_lo, s64
	v_mov_b32_e32 v26, 0
	s_wait_dscnt 0x0
	s_barrier_signal -1
	s_barrier_wait -1
	global_wb scope:SCOPE_DEV
	s_wait_storecnt 0x0
	global_inv scope:SCOPE_DEV
	s_and_saveexec_b32 s65, s3
	s_cbranch_execz .LBB5_395
; %bb.386:                              ;   in Loop: Header=BB5_3 Depth=1
	ds_load_b32 v26, v45 offset:10368
	ds_load_b32 v27, v44 offset:12192
	s_wait_dscnt 0x0
	v_fma_f32 v26, v26, v27, 0
	s_and_saveexec_b32 s64, s19
	s_cbranch_execnz .LBB5_1223
; %bb.387:                              ;   in Loop: Header=BB5_3 Depth=1
	s_or_b32 exec_lo, exec_lo, s64
	s_and_saveexec_b32 s64, s20
	s_cbranch_execnz .LBB5_1224
.LBB5_388:                              ;   in Loop: Header=BB5_3 Depth=1
	s_or_b32 exec_lo, exec_lo, s64
	s_and_saveexec_b32 s64, s21
	s_cbranch_execnz .LBB5_1225
.LBB5_389:                              ;   in Loop: Header=BB5_3 Depth=1
	s_or_b32 exec_lo, exec_lo, s64
	s_and_saveexec_b32 s64, s22
	s_cbranch_execnz .LBB5_1226
.LBB5_390:                              ;   in Loop: Header=BB5_3 Depth=1
	s_or_b32 exec_lo, exec_lo, s64
	s_and_saveexec_b32 s64, s23
	s_cbranch_execnz .LBB5_1227
.LBB5_391:                              ;   in Loop: Header=BB5_3 Depth=1
	s_or_b32 exec_lo, exec_lo, s64
	s_and_saveexec_b32 s64, s2
	s_cbranch_execnz .LBB5_1228
.LBB5_392:                              ;   in Loop: Header=BB5_3 Depth=1
	s_or_b32 exec_lo, exec_lo, s64
	s_and_saveexec_b32 s64, s18
	s_cbranch_execz .LBB5_394
.LBB5_393:                              ;   in Loop: Header=BB5_3 Depth=1
	ds_load_b32 v27, v46 offset:12160
	ds_load_b32 v78, v3 offset:12220
	s_wait_dscnt 0x0
	v_fmac_f32_e32 v26, v27, v78
.LBB5_394:                              ;   in Loop: Header=BB5_3 Depth=1
	s_or_b32 exec_lo, exec_lo, s64
.LBB5_395:                              ;   in Loop: Header=BB5_3 Depth=1
	s_delay_alu instid0(SALU_CYCLE_1)
	s_or_b32 exec_lo, exec_lo, s65
	s_and_saveexec_b32 s64, s102
	s_cbranch_execz .LBB5_397
; %bb.396:                              ;   in Loop: Header=BB5_3 Depth=1
	ds_load_b32 v27, v3 offset:10140
	s_wait_dscnt 0x0
	v_mul_f32_e32 v26, v26, v27
	s_delay_alu instid0(VALU_DEP_1)
	v_xor_b32_e32 v27, 0x80000000, v26
	ds_store_b32 v43, v27
.LBB5_397:                              ;   in Loop: Header=BB5_3 Depth=1
	s_or_b32 exec_lo, exec_lo, s64
	s_wait_loadcnt_dscnt 0x0
	s_barrier_signal -1
	s_barrier_wait -1
	s_and_saveexec_b32 s64, s103
	s_cbranch_execz .LBB5_399
; %bb.398:                              ;   in Loop: Header=BB5_3 Depth=1
	ds_load_b32 v27, v45 offset:10112
	ds_load_b32 v78, v43
	s_wait_dscnt 0x0
	v_fma_f32 v26, -v27, v78, v26
.LBB5_399:                              ;   in Loop: Header=BB5_3 Depth=1
	s_or_b32 exec_lo, exec_lo, s64
	s_barrier_signal -1
	s_barrier_wait -1
	s_and_saveexec_b32 s64, s104
	s_cbranch_execz .LBB5_401
; %bb.400:                              ;   in Loop: Header=BB5_3 Depth=1
	ds_load_b32 v27, v3 offset:9880
	s_wait_dscnt 0x0
	v_mul_f32_e32 v26, v26, v27
	s_delay_alu instid0(VALU_DEP_1)
	v_xor_b32_e32 v27, 0x80000000, v26
	ds_store_b32 v43, v27
.LBB5_401:                              ;   in Loop: Header=BB5_3 Depth=1
	s_or_b32 exec_lo, exec_lo, s64
	s_wait_dscnt 0x0
	s_barrier_signal -1
	s_barrier_wait -1
	s_and_saveexec_b32 s64, vcc_hi
	s_cbranch_execz .LBB5_403
; %bb.402:                              ;   in Loop: Header=BB5_3 Depth=1
	ds_load_b32 v27, v45 offset:9856
	ds_load_b32 v78, v43
	s_wait_dscnt 0x0
	v_fma_f32 v26, -v27, v78, v26
.LBB5_403:                              ;   in Loop: Header=BB5_3 Depth=1
	s_or_b32 exec_lo, exec_lo, s64
	s_barrier_signal -1
	s_barrier_wait -1
	s_and_saveexec_b32 s64, s36
	s_cbranch_execz .LBB5_405
; %bb.404:                              ;   in Loop: Header=BB5_3 Depth=1
	ds_load_b32 v27, v3 offset:9620
	s_wait_dscnt 0x0
	v_mul_f32_e32 v26, v26, v27
	s_delay_alu instid0(VALU_DEP_1)
	v_xor_b32_e32 v27, 0x80000000, v26
	ds_store_b32 v43, v27
.LBB5_405:                              ;   in Loop: Header=BB5_3 Depth=1
	s_or_b32 exec_lo, exec_lo, s64
	s_wait_dscnt 0x0
	s_barrier_signal -1
	s_barrier_wait -1
	s_and_saveexec_b32 s64, s37
	s_cbranch_execz .LBB5_407
; %bb.406:                              ;   in Loop: Header=BB5_3 Depth=1
	ds_load_b32 v27, v45 offset:9600
	ds_load_b32 v78, v43
	s_wait_dscnt 0x0
	v_fma_f32 v26, -v27, v78, v26
.LBB5_407:                              ;   in Loop: Header=BB5_3 Depth=1
	s_or_b32 exec_lo, exec_lo, s64
	s_barrier_signal -1
	s_barrier_wait -1
	s_and_saveexec_b32 s64, s38
	s_cbranch_execz .LBB5_409
; %bb.408:                              ;   in Loop: Header=BB5_3 Depth=1
	ds_load_b32 v27, v3 offset:9360
	s_wait_dscnt 0x0
	v_mul_f32_e32 v26, v26, v27
	s_delay_alu instid0(VALU_DEP_1)
	v_xor_b32_e32 v27, 0x80000000, v26
	ds_store_b32 v43, v27
.LBB5_409:                              ;   in Loop: Header=BB5_3 Depth=1
	s_or_b32 exec_lo, exec_lo, s64
	s_wait_dscnt 0x0
	s_barrier_signal -1
	s_barrier_wait -1
	s_and_saveexec_b32 s64, s39
	;; [unrolled: 25-line block ×5, first 2 shown]
	s_cbranch_execz .LBB5_423
; %bb.422:                              ;   in Loop: Header=BB5_3 Depth=1
	ds_load_b32 v27, v3 offset:8576
	ds_load_b32 v78, v43
	s_wait_dscnt 0x0
	v_fma_f32 v26, -v27, v78, v26
.LBB5_423:                              ;   in Loop: Header=BB5_3 Depth=1
	s_or_b32 exec_lo, exec_lo, s64
	s_barrier_signal -1
	s_barrier_wait -1
	s_and_saveexec_b32 s64, s45
	s_cbranch_execz .LBB5_425
; %bb.424:                              ;   in Loop: Header=BB5_3 Depth=1
	ds_load_b32 v27, v3 offset:8320
	s_wait_dscnt 0x0
	v_mul_f32_e32 v26, v26, v27
	s_delay_alu instid0(VALU_DEP_1)
	v_xor_b32_e32 v27, 0x80000000, v26
	ds_store_b32 v43, v27
.LBB5_425:                              ;   in Loop: Header=BB5_3 Depth=1
	s_or_b32 exec_lo, exec_lo, s64
	s_wait_dscnt 0x0
	s_barrier_signal -1
	s_barrier_wait -1
	s_barrier_signal -1
	s_barrier_wait -1
	s_and_saveexec_b32 s64, s3
; %bb.426:                              ;   in Loop: Header=BB5_3 Depth=1
	ds_store_b32 v48, v26 offset:12160
; %bb.427:                              ;   in Loop: Header=BB5_3 Depth=1
	s_or_b32 exec_lo, exec_lo, s64
	s_wait_dscnt 0x0
	s_barrier_signal -1
	s_barrier_wait -1
	s_barrier_signal -1
	s_barrier_wait -1
	s_and_saveexec_b32 s64, s46
	s_cbranch_execz .LBB5_429
; %bb.428:                              ;   in Loop: Header=BB5_3 Depth=1
	ds_load_b32 v26, v47 offset:10368
	s_wait_dscnt 0x0
	ds_store_b32 v49, v26 offset:8352
	ds_load_b32 v26, v47 offset:10372
	s_wait_dscnt 0x0
	ds_store_b32 v49, v26 offset:8608
	;; [unrolled: 3-line block ×8, first 2 shown]
.LBB5_429:                              ;   in Loop: Header=BB5_3 Depth=1
	s_or_b32 exec_lo, exec_lo, s64
	s_wait_dscnt 0x0
	s_barrier_signal -1
	s_barrier_wait -1
	s_and_saveexec_b32 s64, s15
	s_cbranch_execz .LBB5_431
; %bb.430:                              ;   in Loop: Header=BB5_3 Depth=1
	ds_load_b64 v[26:27], v3 offset:10136
	ds_load_b32 v78, v3 offset:9880
	s_wait_dscnt 0x0
	v_mul_f32_e32 v27, v78, v27
	s_delay_alu instid0(VALU_DEP_1)
	v_mul_f32_e32 v26, v26, v27
	v_add_nc_u32_e64 v27, 0x2400, 0
	ds_store_2addr_b32 v27, v26, v26 offset0:167 offset1:230
.LBB5_431:                              ;   in Loop: Header=BB5_3 Depth=1
	s_or_b32 exec_lo, exec_lo, s64
	v_mov_b32_e32 v26, 0
	s_wait_dscnt 0x0
	s_barrier_signal -1
	s_barrier_wait -1
	global_wb scope:SCOPE_DEV
	s_wait_storecnt 0x0
	global_inv scope:SCOPE_DEV
	s_and_saveexec_b32 s64, s0
	s_cbranch_execz .LBB5_435
; %bb.432:                              ;   in Loop: Header=BB5_3 Depth=1
	ds_load_b32 v26, v31 offset:9872
	ds_load_b32 v27, v30 offset:10136
	s_wait_dscnt 0x0
	v_fma_f32 v26, v26, v27, 0
	s_and_saveexec_b32 s65, s16
	s_cbranch_execz .LBB5_434
; %bb.433:                              ;   in Loop: Header=BB5_3 Depth=1
	ds_load_b32 v27, v49 offset:10128
	ds_load_b32 v78, v3 offset:10140
	s_wait_dscnt 0x0
	v_fmac_f32_e32 v26, v27, v78
.LBB5_434:                              ;   in Loop: Header=BB5_3 Depth=1
	s_or_b32 exec_lo, exec_lo, s65
.LBB5_435:                              ;   in Loop: Header=BB5_3 Depth=1
	s_delay_alu instid0(SALU_CYCLE_1)
	s_or_b32 exec_lo, exec_lo, s64
	s_and_saveexec_b32 s64, s92
	s_cbranch_execz .LBB5_437
; %bb.436:                              ;   in Loop: Header=BB5_3 Depth=1
	ds_load_b32 v27, v3 offset:9620
	s_wait_dscnt 0x0
	v_mul_f32_e32 v26, v26, v27
	s_delay_alu instid0(VALU_DEP_1)
	v_xor_b32_e32 v27, 0x80000000, v26
	ds_store_b32 v5, v27
.LBB5_437:                              ;   in Loop: Header=BB5_3 Depth=1
	s_or_b32 exec_lo, exec_lo, s64
	s_wait_loadcnt_dscnt 0x0
	s_barrier_signal -1
	s_barrier_wait -1
	s_and_saveexec_b32 s64, s93
	s_cbranch_execz .LBB5_439
; %bb.438:                              ;   in Loop: Header=BB5_3 Depth=1
	ds_load_b32 v27, v3 offset:9616
	ds_load_b32 v78, v5
	s_wait_dscnt 0x0
	v_fma_f32 v26, -v27, v78, v26
.LBB5_439:                              ;   in Loop: Header=BB5_3 Depth=1
	s_or_b32 exec_lo, exec_lo, s64
	s_barrier_signal -1
	s_barrier_wait -1
	s_and_saveexec_b32 s64, s93
	s_cbranch_execz .LBB5_441
; %bb.440:                              ;   in Loop: Header=BB5_3 Depth=1
	ds_load_b32 v27, v3 offset:9360
	s_wait_dscnt 0x0
	v_mul_f32_e32 v26, v26, v27
	s_delay_alu instid0(VALU_DEP_1)
	v_xor_b32_e32 v27, 0x80000000, v26
	ds_store_b32 v5, v27
.LBB5_441:                              ;   in Loop: Header=BB5_3 Depth=1
	s_or_b32 exec_lo, exec_lo, s64
	s_wait_dscnt 0x0
	s_barrier_signal -1
	s_barrier_wait -1
	s_barrier_signal -1
	s_barrier_wait -1
	s_and_saveexec_b32 s64, s0
; %bb.442:                              ;   in Loop: Header=BB5_3 Depth=1
	ds_store_b32 v33, v26 offset:10128
; %bb.443:                              ;   in Loop: Header=BB5_3 Depth=1
	s_or_b32 exec_lo, exec_lo, s64
	s_wait_dscnt 0x0
	s_barrier_signal -1
	s_barrier_wait -1
	s_barrier_signal -1
	s_barrier_wait -1
	s_and_saveexec_b32 s64, s94
	s_cbranch_execz .LBB5_445
; %bb.444:                              ;   in Loop: Header=BB5_3 Depth=1
	ds_load_b32 v26, v54 offset:9872
	s_wait_dscnt 0x0
	ds_store_b32 v49, v26 offset:9368
	ds_load_b32 v26, v54 offset:9876
	s_wait_dscnt 0x0
	ds_store_b32 v49, v26 offset:9624
.LBB5_445:                              ;   in Loop: Header=BB5_3 Depth=1
	s_or_b32 exec_lo, exec_lo, s64
	s_wait_dscnt 0x0
	s_barrier_signal -1
	s_barrier_wait -1
	s_and_saveexec_b32 s64, s15
	s_cbranch_execz .LBB5_447
; %bb.446:                              ;   in Loop: Header=BB5_3 Depth=1
	ds_load_b64 v[26:27], v3 offset:9616
	ds_load_b32 v78, v3 offset:9360
	s_wait_dscnt 0x0
	v_mul_f32_e32 v27, v78, v27
	s_delay_alu instid0(VALU_DEP_1)
	v_mul_f32_e32 v26, v26, v27
	v_add_nc_u32_e64 v27, 0x2400, 0
	ds_store_2addr_b32 v27, v26, v26 offset0:37 offset1:100
.LBB5_447:                              ;   in Loop: Header=BB5_3 Depth=1
	s_or_b32 exec_lo, exec_lo, s64
	v_mov_b32_e32 v26, 0
	s_wait_dscnt 0x0
	s_barrier_signal -1
	s_barrier_wait -1
	global_wb scope:SCOPE_DEV
	s_wait_storecnt 0x0
	global_inv scope:SCOPE_DEV
	s_and_saveexec_b32 s65, s2
	s_cbranch_execz .LBB5_453
; %bb.448:                              ;   in Loop: Header=BB5_3 Depth=1
	ds_load_b32 v26, v37 offset:9344
	ds_load_b32 v27, v36 offset:10128
	s_wait_dscnt 0x0
	v_fma_f32 v26, v26, v27, 0
	s_and_saveexec_b32 s64, s17
	s_cbranch_execnz .LBB5_1229
; %bb.449:                              ;   in Loop: Header=BB5_3 Depth=1
	s_or_b32 exec_lo, exec_lo, s64
	s_and_saveexec_b32 s64, s18
	s_cbranch_execnz .LBB5_1230
.LBB5_450:                              ;   in Loop: Header=BB5_3 Depth=1
	s_or_b32 exec_lo, exec_lo, s64
	s_and_saveexec_b32 s64, s0
	s_cbranch_execz .LBB5_452
.LBB5_451:                              ;   in Loop: Header=BB5_3 Depth=1
	ds_load_b32 v27, v55 offset:10112
	ds_load_b32 v78, v3 offset:10140
	s_wait_dscnt 0x0
	v_fmac_f32_e32 v26, v27, v78
.LBB5_452:                              ;   in Loop: Header=BB5_3 Depth=1
	s_or_b32 exec_lo, exec_lo, s64
.LBB5_453:                              ;   in Loop: Header=BB5_3 Depth=1
	s_delay_alu instid0(SALU_CYCLE_1)
	s_or_b32 exec_lo, exec_lo, s65
	s_and_saveexec_b32 s64, s95
	s_cbranch_execz .LBB5_455
; %bb.454:                              ;   in Loop: Header=BB5_3 Depth=1
	ds_load_b32 v27, v3 offset:9100
	s_wait_dscnt 0x0
	v_mul_f32_e32 v26, v26, v27
	s_delay_alu instid0(VALU_DEP_1)
	v_xor_b32_e32 v27, 0x80000000, v26
	ds_store_b32 v35, v27
.LBB5_455:                              ;   in Loop: Header=BB5_3 Depth=1
	s_or_b32 exec_lo, exec_lo, s64
	s_wait_loadcnt_dscnt 0x0
	s_barrier_signal -1
	s_barrier_wait -1
	s_and_saveexec_b32 s64, s96
	s_cbranch_execz .LBB5_457
; %bb.456:                              ;   in Loop: Header=BB5_3 Depth=1
	ds_load_b32 v27, v37 offset:9088
	ds_load_b32 v78, v35
	s_wait_dscnt 0x0
	v_fma_f32 v26, -v27, v78, v26
.LBB5_457:                              ;   in Loop: Header=BB5_3 Depth=1
	s_or_b32 exec_lo, exec_lo, s64
	s_barrier_signal -1
	s_barrier_wait -1
	s_and_saveexec_b32 s64, s97
	s_cbranch_execz .LBB5_459
; %bb.458:                              ;   in Loop: Header=BB5_3 Depth=1
	ds_load_b32 v27, v3 offset:8840
	s_wait_dscnt 0x0
	v_mul_f32_e32 v26, v26, v27
	s_delay_alu instid0(VALU_DEP_1)
	v_xor_b32_e32 v27, 0x80000000, v26
	ds_store_b32 v35, v27
.LBB5_459:                              ;   in Loop: Header=BB5_3 Depth=1
	s_or_b32 exec_lo, exec_lo, s64
	s_wait_dscnt 0x0
	s_barrier_signal -1
	s_barrier_wait -1
	s_and_saveexec_b32 s64, s98
	s_cbranch_execz .LBB5_461
; %bb.460:                              ;   in Loop: Header=BB5_3 Depth=1
	ds_load_b32 v27, v37 offset:8832
	ds_load_b32 v78, v35
	s_wait_dscnt 0x0
	v_fma_f32 v26, -v27, v78, v26
.LBB5_461:                              ;   in Loop: Header=BB5_3 Depth=1
	s_or_b32 exec_lo, exec_lo, s64
	s_barrier_signal -1
	s_barrier_wait -1
	s_and_saveexec_b32 s64, s99
	s_cbranch_execz .LBB5_463
; %bb.462:                              ;   in Loop: Header=BB5_3 Depth=1
	ds_load_b32 v27, v3 offset:8580
	s_wait_dscnt 0x0
	v_mul_f32_e32 v26, v26, v27
	s_delay_alu instid0(VALU_DEP_1)
	v_xor_b32_e32 v27, 0x80000000, v26
	ds_store_b32 v35, v27
.LBB5_463:                              ;   in Loop: Header=BB5_3 Depth=1
	s_or_b32 exec_lo, exec_lo, s64
	s_wait_dscnt 0x0
	;; [unrolled: 25-line block ×3, first 2 shown]
	s_barrier_signal -1
	s_barrier_wait -1
	s_barrier_signal -1
	s_barrier_wait -1
	s_and_saveexec_b32 s64, s2
; %bb.468:                              ;   in Loop: Header=BB5_3 Depth=1
	ds_store_b32 v41, v26 offset:10112
; %bb.469:                              ;   in Loop: Header=BB5_3 Depth=1
	s_or_b32 exec_lo, exec_lo, s64
	s_wait_dscnt 0x0
	s_barrier_signal -1
	s_barrier_wait -1
	s_barrier_signal -1
	s_barrier_wait -1
	s_and_saveexec_b32 s64, s101
	s_cbranch_execz .LBB5_471
; %bb.470:                              ;   in Loop: Header=BB5_3 Depth=1
	ds_load_b32 v26, v56 offset:9344
	s_wait_dscnt 0x0
	ds_store_b32 v57, v26 offset:8336
	ds_load_b32 v26, v56 offset:9348
	s_wait_dscnt 0x0
	ds_store_b32 v57, v26 offset:8592
	;; [unrolled: 3-line block ×4, first 2 shown]
.LBB5_471:                              ;   in Loop: Header=BB5_3 Depth=1
	s_or_b32 exec_lo, exec_lo, s64
	s_wait_dscnt 0x0
	s_barrier_signal -1
	s_barrier_wait -1
	s_and_saveexec_b32 s64, s15
	s_cbranch_execz .LBB5_473
; %bb.472:                              ;   in Loop: Header=BB5_3 Depth=1
	ds_load_b64 v[26:27], v3 offset:9096
	ds_load_b32 v78, v3 offset:8840
	s_wait_dscnt 0x0
	v_mul_f32_e32 v27, v78, v27
	s_delay_alu instid0(VALU_DEP_1)
	v_mul_f32_e32 v26, v26, v27
	v_add_nc_u32_e64 v27, 0x2000, 0
	ds_store_2addr_b32 v27, v26, v26 offset0:163 offset1:226
.LBB5_473:                              ;   in Loop: Header=BB5_3 Depth=1
	s_or_b32 exec_lo, exec_lo, s64
	v_mov_b32_e32 v26, 0
	s_wait_dscnt 0x0
	s_barrier_signal -1
	s_barrier_wait -1
	global_wb scope:SCOPE_DEV
	s_wait_storecnt 0x0
	global_inv scope:SCOPE_DEV
	s_and_saveexec_b32 s64, s0
	s_cbranch_execz .LBB5_477
; %bb.474:                              ;   in Loop: Header=BB5_3 Depth=1
	ds_load_b32 v26, v31 offset:8832
	ds_load_b32 v27, v30 offset:9096
	s_wait_dscnt 0x0
	v_fma_f32 v26, v26, v27, 0
	s_and_saveexec_b32 s65, s16
	s_cbranch_execz .LBB5_476
; %bb.475:                              ;   in Loop: Header=BB5_3 Depth=1
	ds_load_b32 v27, v57 offset:9088
	ds_load_b32 v78, v3 offset:9100
	s_wait_dscnt 0x0
	v_fmac_f32_e32 v26, v27, v78
.LBB5_476:                              ;   in Loop: Header=BB5_3 Depth=1
	s_or_b32 exec_lo, exec_lo, s65
.LBB5_477:                              ;   in Loop: Header=BB5_3 Depth=1
	s_delay_alu instid0(SALU_CYCLE_1)
	s_or_b32 exec_lo, exec_lo, s64
	s_and_saveexec_b32 s64, s92
	s_cbranch_execz .LBB5_479
; %bb.478:                              ;   in Loop: Header=BB5_3 Depth=1
	ds_load_b32 v27, v3 offset:8580
	s_wait_dscnt 0x0
	v_mul_f32_e32 v26, v26, v27
	s_delay_alu instid0(VALU_DEP_1)
	v_xor_b32_e32 v27, 0x80000000, v26
	ds_store_b32 v5, v27
.LBB5_479:                              ;   in Loop: Header=BB5_3 Depth=1
	s_or_b32 exec_lo, exec_lo, s64
	s_wait_loadcnt_dscnt 0x0
	s_barrier_signal -1
	s_barrier_wait -1
	s_and_saveexec_b32 s64, s93
	s_cbranch_execz .LBB5_481
; %bb.480:                              ;   in Loop: Header=BB5_3 Depth=1
	ds_load_b32 v27, v3 offset:8576
	ds_load_b32 v78, v5
	s_wait_dscnt 0x0
	v_fma_f32 v26, -v27, v78, v26
.LBB5_481:                              ;   in Loop: Header=BB5_3 Depth=1
	s_or_b32 exec_lo, exec_lo, s64
	s_barrier_signal -1
	s_barrier_wait -1
	s_and_saveexec_b32 s64, s93
	s_cbranch_execz .LBB5_483
; %bb.482:                              ;   in Loop: Header=BB5_3 Depth=1
	ds_load_b32 v27, v3 offset:8320
	s_wait_dscnt 0x0
	v_mul_f32_e32 v26, v26, v27
	s_delay_alu instid0(VALU_DEP_1)
	v_xor_b32_e32 v27, 0x80000000, v26
	ds_store_b32 v5, v27
.LBB5_483:                              ;   in Loop: Header=BB5_3 Depth=1
	s_or_b32 exec_lo, exec_lo, s64
	s_wait_dscnt 0x0
	s_barrier_signal -1
	s_barrier_wait -1
	s_barrier_signal -1
	s_barrier_wait -1
	s_and_saveexec_b32 s64, s0
; %bb.484:                              ;   in Loop: Header=BB5_3 Depth=1
	ds_store_b32 v33, v26 offset:9088
; %bb.485:                              ;   in Loop: Header=BB5_3 Depth=1
	s_or_b32 exec_lo, exec_lo, s64
	s_wait_dscnt 0x0
	s_barrier_signal -1
	s_barrier_wait -1
	s_barrier_signal -1
	s_barrier_wait -1
	s_and_saveexec_b32 s64, s94
	s_cbranch_execz .LBB5_487
; %bb.486:                              ;   in Loop: Header=BB5_3 Depth=1
	ds_load_b32 v26, v58 offset:8832
	s_wait_dscnt 0x0
	ds_store_b32 v57, v26 offset:8328
	ds_load_b32 v26, v58 offset:8836
	s_wait_dscnt 0x0
	ds_store_b32 v57, v26 offset:8584
.LBB5_487:                              ;   in Loop: Header=BB5_3 Depth=1
	s_or_b32 exec_lo, exec_lo, s64
	s_wait_dscnt 0x0
	s_barrier_signal -1
	s_barrier_wait -1
	s_and_saveexec_b32 s64, s15
	s_cbranch_execz .LBB5_489
; %bb.488:                              ;   in Loop: Header=BB5_3 Depth=1
	ds_load_b64 v[26:27], v3 offset:8576
	ds_load_b32 v78, v3 offset:8320
	s_wait_dscnt 0x0
	v_mul_f32_e32 v27, v78, v27
	s_delay_alu instid0(VALU_DEP_1)
	v_mul_f32_e32 v26, v26, v27
	v_add_nc_u32_e64 v27, 0x2000, 0
	ds_store_2addr_b32 v27, v26, v26 offset0:33 offset1:96
.LBB5_489:                              ;   in Loop: Header=BB5_3 Depth=1
	s_or_b32 exec_lo, exec_lo, s64
	v_mov_b32_e32 v26, 0
	s_wait_dscnt 0x0
	s_barrier_signal -1
	s_barrier_wait -1
	global_wb scope:SCOPE_DEV
	s_wait_storecnt 0x0
	global_inv scope:SCOPE_DEV
	s_and_saveexec_b32 s65, s5
	s_cbranch_execz .LBB5_551
; %bb.490:                              ;   in Loop: Header=BB5_3 Depth=1
	ds_load_b32 v26, v60 offset:8192
	ds_load_b32 v27, v59 offset:16256
	s_wait_dscnt 0x0
	v_fma_f32 v26, v26, v27, 0
	s_mov_b32 s64, exec_lo
	v_readlane_b32 s71, v84, 1
	s_and_b32 s71, s64, s71
	s_delay_alu instid0(SALU_CYCLE_1)
	s_mov_b32 exec_lo, s71
	s_cbranch_execz .LBB5_492
; %bb.491:                              ;   in Loop: Header=BB5_3 Depth=1
	ds_load_b32 v27, v60 offset:8448
	ds_load_b32 v78, v59 offset:16260
	s_wait_dscnt 0x0
	v_fmac_f32_e32 v26, v27, v78
.LBB5_492:                              ;   in Loop: Header=BB5_3 Depth=1
	s_or_b32 exec_lo, exec_lo, s64
	s_delay_alu instid0(SALU_CYCLE_1) | instskip(SKIP_2) | instid1(SALU_CYCLE_1)
	s_mov_b32 s64, exec_lo
	v_readlane_b32 s71, v84, 2
	s_and_b32 s71, s64, s71
	s_mov_b32 exec_lo, s71
	s_cbranch_execz .LBB5_494
; %bb.493:                              ;   in Loop: Header=BB5_3 Depth=1
	ds_load_b32 v27, v60 offset:8704
	ds_load_b32 v78, v59 offset:16264
	s_wait_dscnt 0x0
	v_fmac_f32_e32 v26, v27, v78
.LBB5_494:                              ;   in Loop: Header=BB5_3 Depth=1
	s_or_b32 exec_lo, exec_lo, s64
	s_delay_alu instid0(SALU_CYCLE_1) | instskip(SKIP_2) | instid1(SALU_CYCLE_1)
	s_mov_b32 s64, exec_lo
	v_readlane_b32 s71, v84, 3
	s_and_b32 s71, s64, s71
	;; [unrolled: 13-line block ×22, first 2 shown]
	s_mov_b32 exec_lo, s71
	s_cbranch_execz .LBB5_536
; %bb.535:                              ;   in Loop: Header=BB5_3 Depth=1
	ds_load_b32 v27, v60 offset:14080
	ds_load_b32 v78, v59 offset:16348
	s_wait_dscnt 0x0
	v_fmac_f32_e32 v26, v27, v78
.LBB5_536:                              ;   in Loop: Header=BB5_3 Depth=1
	s_or_b32 exec_lo, exec_lo, s64
	s_and_saveexec_b32 s64, s4
	s_cbranch_execz .LBB5_538
; %bb.537:                              ;   in Loop: Header=BB5_3 Depth=1
	ds_load_b32 v27, v60 offset:14336
	ds_load_b32 v78, v59 offset:16352
	s_wait_dscnt 0x0
	v_fmac_f32_e32 v26, v27, v78
.LBB5_538:                              ;   in Loop: Header=BB5_3 Depth=1
	s_or_b32 exec_lo, exec_lo, s64
	s_delay_alu instid0(SALU_CYCLE_1) | instskip(SKIP_2) | instid1(SALU_CYCLE_1)
	s_mov_b32 s64, exec_lo
	v_readlane_b32 s71, v85, 23
	s_and_b32 s71, s64, s71
	s_mov_b32 exec_lo, s71
	s_cbranch_execz .LBB5_540
; %bb.539:                              ;   in Loop: Header=BB5_3 Depth=1
	ds_load_b32 v27, v60 offset:14592
	ds_load_b32 v78, v59 offset:16356
	s_wait_dscnt 0x0
	v_fmac_f32_e32 v26, v27, v78
.LBB5_540:                              ;   in Loop: Header=BB5_3 Depth=1
	s_or_b32 exec_lo, exec_lo, s64
	s_delay_alu instid0(SALU_CYCLE_1) | instskip(SKIP_2) | instid1(SALU_CYCLE_1)
	s_mov_b32 s64, exec_lo
	v_readlane_b32 s71, v85, 25
	s_and_b32 s71, s64, s71
	s_mov_b32 exec_lo, s71
	;; [unrolled: 13-line block ×5, first 2 shown]
	s_cbranch_execnz .LBB5_1231
; %bb.547:                              ;   in Loop: Header=BB5_3 Depth=1
	s_or_b32 exec_lo, exec_lo, s64
	s_and_saveexec_b32 s64, s3
	s_cbranch_execnz .LBB5_1232
.LBB5_548:                              ;   in Loop: Header=BB5_3 Depth=1
	s_or_b32 exec_lo, exec_lo, s64
	s_and_saveexec_b32 s64, s22
	s_cbranch_execz .LBB5_550
.LBB5_549:                              ;   in Loop: Header=BB5_3 Depth=1
	ds_load_b32 v27, v32 offset:16128
	ds_load_b32 v78, v3 offset:16380
	s_wait_dscnt 0x0
	v_fmac_f32_e32 v26, v27, v78
.LBB5_550:                              ;   in Loop: Header=BB5_3 Depth=1
	s_or_b32 exec_lo, exec_lo, s64
.LBB5_551:                              ;   in Loop: Header=BB5_3 Depth=1
	s_delay_alu instid0(SALU_CYCLE_1) | instskip(NEXT) | instid1(SALU_CYCLE_1)
	s_or_b32 exec_lo, exec_lo, s65
	s_mov_b32 s64, exec_lo
	v_readlane_b32 s65, v87, 6
	s_and_b32 s65, s64, s65
	s_delay_alu instid0(SALU_CYCLE_1)
	s_mov_b32 exec_lo, s65
	s_cbranch_execz .LBB5_553
; %bb.552:                              ;   in Loop: Header=BB5_3 Depth=1
	ds_load_b32 v27, v3 offset:8060
	s_wait_dscnt 0x0
	v_mul_f32_e32 v26, v26, v27
	s_delay_alu instid0(VALU_DEP_1)
	v_xor_b32_e32 v27, 0x80000000, v26
	ds_store_b32 v7, v27
.LBB5_553:                              ;   in Loop: Header=BB5_3 Depth=1
	s_or_b32 exec_lo, exec_lo, s64
	s_wait_loadcnt_dscnt 0x0
	s_barrier_signal -1
	s_barrier_wait -1
	s_mov_b32 s64, exec_lo
	v_readlane_b32 s65, v87, 7
	s_and_b32 s65, s64, s65
	s_delay_alu instid0(SALU_CYCLE_1)
	s_mov_b32 exec_lo, s65
	s_cbranch_execz .LBB5_555
; %bb.554:                              ;   in Loop: Header=BB5_3 Depth=1
	ds_load_b32 v27, v60 offset:7936
	ds_load_b32 v78, v7
	s_wait_dscnt 0x0
	v_fma_f32 v26, -v27, v78, v26
.LBB5_555:                              ;   in Loop: Header=BB5_3 Depth=1
	s_or_b32 exec_lo, exec_lo, s64
	s_barrier_signal -1
	s_barrier_wait -1
	s_mov_b32 s64, exec_lo
	v_readlane_b32 s65, v87, 8
	s_and_b32 s65, s64, s65
	s_delay_alu instid0(SALU_CYCLE_1)
	s_mov_b32 exec_lo, s65
	s_cbranch_execz .LBB5_557
; %bb.556:                              ;   in Loop: Header=BB5_3 Depth=1
	ds_load_b32 v27, v3 offset:7800
	s_wait_dscnt 0x0
	v_mul_f32_e32 v26, v26, v27
	s_delay_alu instid0(VALU_DEP_1)
	v_xor_b32_e32 v27, 0x80000000, v26
	ds_store_b32 v7, v27
.LBB5_557:                              ;   in Loop: Header=BB5_3 Depth=1
	s_or_b32 exec_lo, exec_lo, s64
	s_wait_dscnt 0x0
	s_barrier_signal -1
	s_barrier_wait -1
	s_mov_b32 s64, exec_lo
	v_readlane_b32 s65, v87, 9
	s_and_b32 s65, s64, s65
	s_delay_alu instid0(SALU_CYCLE_1)
	s_mov_b32 exec_lo, s65
	s_cbranch_execz .LBB5_559
; %bb.558:                              ;   in Loop: Header=BB5_3 Depth=1
	ds_load_b32 v27, v60 offset:7680
	ds_load_b32 v78, v7
	s_wait_dscnt 0x0
	v_fma_f32 v26, -v27, v78, v26
.LBB5_559:                              ;   in Loop: Header=BB5_3 Depth=1
	s_or_b32 exec_lo, exec_lo, s64
	s_barrier_signal -1
	s_barrier_wait -1
	s_mov_b32 s64, exec_lo
	v_readlane_b32 s65, v87, 10
	s_and_b32 s65, s64, s65
	s_delay_alu instid0(SALU_CYCLE_1)
	s_mov_b32 exec_lo, s65
	s_cbranch_execz .LBB5_561
; %bb.560:                              ;   in Loop: Header=BB5_3 Depth=1
	ds_load_b32 v27, v3 offset:7540
	s_wait_dscnt 0x0
	v_mul_f32_e32 v26, v26, v27
	s_delay_alu instid0(VALU_DEP_1)
	v_xor_b32_e32 v27, 0x80000000, v26
	ds_store_b32 v7, v27
.LBB5_561:                              ;   in Loop: Header=BB5_3 Depth=1
	s_or_b32 exec_lo, exec_lo, s64
	s_wait_dscnt 0x0
	;; [unrolled: 33-line block ×30, first 2 shown]
	s_barrier_signal -1
	s_barrier_wait -1
	s_and_saveexec_b32 s64, s72
	s_cbranch_execz .LBB5_675
; %bb.674:                              ;   in Loop: Header=BB5_3 Depth=1
	ds_load_b32 v27, v3 offset:256
	ds_load_b32 v78, v7
	s_wait_dscnt 0x0
	v_fma_f32 v26, -v27, v78, v26
.LBB5_675:                              ;   in Loop: Header=BB5_3 Depth=1
	s_or_b32 exec_lo, exec_lo, s64
	s_barrier_signal -1
	s_barrier_wait -1
	s_and_saveexec_b32 s64, s72
	s_cbranch_execz .LBB5_677
; %bb.676:                              ;   in Loop: Header=BB5_3 Depth=1
	ds_load_b32 v27, v3
	s_wait_dscnt 0x0
	v_mul_f32_e32 v26, v26, v27
	s_delay_alu instid0(VALU_DEP_1)
	v_xor_b32_e32 v27, 0x80000000, v26
	ds_store_b32 v7, v27
.LBB5_677:                              ;   in Loop: Header=BB5_3 Depth=1
	s_or_b32 exec_lo, exec_lo, s64
	s_wait_dscnt 0x0
	s_barrier_signal -1
	s_barrier_wait -1
	s_barrier_signal -1
	s_barrier_wait -1
	s_and_saveexec_b32 s64, s5
; %bb.678:                              ;   in Loop: Header=BB5_3 Depth=1
	ds_store_b32 v61, v26 offset:16128
; %bb.679:                              ;   in Loop: Header=BB5_3 Depth=1
	s_or_b32 exec_lo, exec_lo, s64
	s_wait_dscnt 0x0
	s_barrier_signal -1
	s_barrier_wait -1
	s_barrier_signal -1
	s_barrier_wait -1
	s_mov_b32 s65, exec_lo
	v_readlane_b32 s64, v85, 3
	s_and_b32 s64, s65, s64
	s_delay_alu instid0(SALU_CYCLE_1)
	s_mov_b32 exec_lo, s64
	s_cbranch_execz .LBB5_681
; %bb.680:                              ;   in Loop: Header=BB5_3 Depth=1
	ds_load_b32 v26, v34 offset:8192
	s_wait_dscnt 0x0
	ds_store_b32 v38, v26 offset:128
	ds_load_b32 v26, v34 offset:8196
	s_wait_dscnt 0x0
	ds_store_b32 v38, v26 offset:384
	;; [unrolled: 3-line block ×32, first 2 shown]
.LBB5_681:                              ;   in Loop: Header=BB5_3 Depth=1
	s_or_b32 exec_lo, exec_lo, s65
	s_wait_dscnt 0x0
	s_barrier_signal -1
	s_barrier_wait -1
	s_and_saveexec_b32 s64, s15
	s_cbranch_execz .LBB5_683
; %bb.682:                              ;   in Loop: Header=BB5_3 Depth=1
	ds_load_b64 v[26:27], v3 offset:8056
	ds_load_b32 v78, v3 offset:7800
	s_wait_dscnt 0x0
	v_mul_f32_e32 v27, v78, v27
	s_delay_alu instid0(VALU_DEP_1)
	v_mul_f32_e32 v26, v26, v27
	v_add_nc_u32_e64 v27, 0x1c00, 0
	ds_store_2addr_b32 v27, v26, v26 offset0:159 offset1:222
.LBB5_683:                              ;   in Loop: Header=BB5_3 Depth=1
	s_or_b32 exec_lo, exec_lo, s64
	v_mov_b32_e32 v26, 0
	s_wait_dscnt 0x0
	s_barrier_signal -1
	s_barrier_wait -1
	global_wb scope:SCOPE_DEV
	s_wait_storecnt 0x0
	global_inv scope:SCOPE_DEV
	s_and_saveexec_b32 s64, s0
	s_cbranch_execz .LBB5_687
; %bb.684:                              ;   in Loop: Header=BB5_3 Depth=1
	ds_load_b32 v26, v31 offset:7792
	ds_load_b32 v27, v30 offset:8056
	s_wait_dscnt 0x0
	v_fma_f32 v26, v26, v27, 0
	s_and_saveexec_b32 s65, s16
	s_cbranch_execz .LBB5_686
; %bb.685:                              ;   in Loop: Header=BB5_3 Depth=1
	ds_load_b32 v27, v32 offset:8048
	ds_load_b32 v78, v3 offset:8060
	s_wait_dscnt 0x0
	v_fmac_f32_e32 v26, v27, v78
.LBB5_686:                              ;   in Loop: Header=BB5_3 Depth=1
	s_or_b32 exec_lo, exec_lo, s65
.LBB5_687:                              ;   in Loop: Header=BB5_3 Depth=1
	s_delay_alu instid0(SALU_CYCLE_1)
	s_or_b32 exec_lo, exec_lo, s64
	s_and_saveexec_b32 s64, s92
	s_cbranch_execz .LBB5_689
; %bb.688:                              ;   in Loop: Header=BB5_3 Depth=1
	ds_load_b32 v27, v3 offset:7540
	s_wait_dscnt 0x0
	v_mul_f32_e32 v26, v26, v27
	s_delay_alu instid0(VALU_DEP_1)
	v_xor_b32_e32 v27, 0x80000000, v26
	ds_store_b32 v5, v27
.LBB5_689:                              ;   in Loop: Header=BB5_3 Depth=1
	s_or_b32 exec_lo, exec_lo, s64
	s_wait_loadcnt_dscnt 0x0
	s_barrier_signal -1
	s_barrier_wait -1
	s_and_saveexec_b32 s64, s93
	s_cbranch_execz .LBB5_691
; %bb.690:                              ;   in Loop: Header=BB5_3 Depth=1
	ds_load_b32 v27, v3 offset:7536
	ds_load_b32 v78, v5
	s_wait_dscnt 0x0
	v_fma_f32 v26, -v27, v78, v26
.LBB5_691:                              ;   in Loop: Header=BB5_3 Depth=1
	s_or_b32 exec_lo, exec_lo, s64
	s_barrier_signal -1
	s_barrier_wait -1
	s_and_saveexec_b32 s64, s93
	s_cbranch_execz .LBB5_693
; %bb.692:                              ;   in Loop: Header=BB5_3 Depth=1
	ds_load_b32 v27, v3 offset:7280
	s_wait_dscnt 0x0
	v_mul_f32_e32 v26, v26, v27
	s_delay_alu instid0(VALU_DEP_1)
	v_xor_b32_e32 v27, 0x80000000, v26
	ds_store_b32 v5, v27
.LBB5_693:                              ;   in Loop: Header=BB5_3 Depth=1
	s_or_b32 exec_lo, exec_lo, s64
	s_wait_dscnt 0x0
	s_barrier_signal -1
	s_barrier_wait -1
	s_barrier_signal -1
	s_barrier_wait -1
	s_and_saveexec_b32 s64, s0
; %bb.694:                              ;   in Loop: Header=BB5_3 Depth=1
	ds_store_b32 v33, v26 offset:8048
; %bb.695:                              ;   in Loop: Header=BB5_3 Depth=1
	s_or_b32 exec_lo, exec_lo, s64
	s_wait_dscnt 0x0
	s_barrier_signal -1
	s_barrier_wait -1
	s_barrier_signal -1
	s_barrier_wait -1
	s_and_saveexec_b32 s64, s94
	s_cbranch_execz .LBB5_697
; %bb.696:                              ;   in Loop: Header=BB5_3 Depth=1
	ds_load_b32 v26, v34 offset:7792
	s_wait_dscnt 0x0
	ds_store_b32 v32, v26 offset:7288
	ds_load_b32 v26, v34 offset:7796
	s_wait_dscnt 0x0
	ds_store_b32 v32, v26 offset:7544
.LBB5_697:                              ;   in Loop: Header=BB5_3 Depth=1
	s_or_b32 exec_lo, exec_lo, s64
	s_wait_dscnt 0x0
	s_barrier_signal -1
	s_barrier_wait -1
	s_and_saveexec_b32 s64, s15
	s_cbranch_execz .LBB5_699
; %bb.698:                              ;   in Loop: Header=BB5_3 Depth=1
	ds_load_b64 v[26:27], v3 offset:7536
	ds_load_b32 v78, v3 offset:7280
	s_wait_dscnt 0x0
	v_mul_f32_e32 v27, v78, v27
	s_delay_alu instid0(VALU_DEP_1)
	v_mul_f32_e32 v26, v26, v27
	v_add_nc_u32_e64 v27, 0x1c00, 0
	ds_store_2addr_b32 v27, v26, v26 offset0:29 offset1:92
.LBB5_699:                              ;   in Loop: Header=BB5_3 Depth=1
	s_or_b32 exec_lo, exec_lo, s64
	v_mov_b32_e32 v26, 0
	s_wait_dscnt 0x0
	s_barrier_signal -1
	s_barrier_wait -1
	global_wb scope:SCOPE_DEV
	s_wait_storecnt 0x0
	global_inv scope:SCOPE_DEV
	s_and_saveexec_b32 s65, s2
	s_cbranch_execz .LBB5_705
; %bb.700:                              ;   in Loop: Header=BB5_3 Depth=1
	ds_load_b32 v26, v37 offset:7264
	ds_load_b32 v27, v36 offset:8048
	s_wait_dscnt 0x0
	v_fma_f32 v26, v26, v27, 0
	s_and_saveexec_b32 s64, s17
	s_cbranch_execnz .LBB5_1233
; %bb.701:                              ;   in Loop: Header=BB5_3 Depth=1
	s_or_b32 exec_lo, exec_lo, s64
	s_and_saveexec_b32 s64, s18
	s_cbranch_execnz .LBB5_1234
.LBB5_702:                              ;   in Loop: Header=BB5_3 Depth=1
	s_or_b32 exec_lo, exec_lo, s64
	s_and_saveexec_b32 s64, s0
	s_cbranch_execz .LBB5_704
.LBB5_703:                              ;   in Loop: Header=BB5_3 Depth=1
	ds_load_b32 v27, v38 offset:8032
	ds_load_b32 v78, v3 offset:8060
	s_wait_dscnt 0x0
	v_fmac_f32_e32 v26, v27, v78
.LBB5_704:                              ;   in Loop: Header=BB5_3 Depth=1
	s_or_b32 exec_lo, exec_lo, s64
.LBB5_705:                              ;   in Loop: Header=BB5_3 Depth=1
	s_delay_alu instid0(SALU_CYCLE_1)
	s_or_b32 exec_lo, exec_lo, s65
	s_and_saveexec_b32 s64, s95
	s_cbranch_execz .LBB5_707
; %bb.706:                              ;   in Loop: Header=BB5_3 Depth=1
	ds_load_b32 v27, v3 offset:7020
	s_wait_dscnt 0x0
	v_mul_f32_e32 v26, v26, v27
	s_delay_alu instid0(VALU_DEP_1)
	v_xor_b32_e32 v27, 0x80000000, v26
	ds_store_b32 v35, v27
.LBB5_707:                              ;   in Loop: Header=BB5_3 Depth=1
	s_or_b32 exec_lo, exec_lo, s64
	s_wait_loadcnt_dscnt 0x0
	s_barrier_signal -1
	s_barrier_wait -1
	s_and_saveexec_b32 s64, s96
	s_cbranch_execz .LBB5_709
; %bb.708:                              ;   in Loop: Header=BB5_3 Depth=1
	ds_load_b32 v27, v37 offset:7008
	ds_load_b32 v78, v35
	s_wait_dscnt 0x0
	v_fma_f32 v26, -v27, v78, v26
.LBB5_709:                              ;   in Loop: Header=BB5_3 Depth=1
	s_or_b32 exec_lo, exec_lo, s64
	s_barrier_signal -1
	s_barrier_wait -1
	s_and_saveexec_b32 s64, s97
	s_cbranch_execz .LBB5_711
; %bb.710:                              ;   in Loop: Header=BB5_3 Depth=1
	ds_load_b32 v27, v3 offset:6760
	s_wait_dscnt 0x0
	v_mul_f32_e32 v26, v26, v27
	s_delay_alu instid0(VALU_DEP_1)
	v_xor_b32_e32 v27, 0x80000000, v26
	ds_store_b32 v35, v27
.LBB5_711:                              ;   in Loop: Header=BB5_3 Depth=1
	s_or_b32 exec_lo, exec_lo, s64
	s_wait_dscnt 0x0
	s_barrier_signal -1
	s_barrier_wait -1
	s_and_saveexec_b32 s64, s98
	s_cbranch_execz .LBB5_713
; %bb.712:                              ;   in Loop: Header=BB5_3 Depth=1
	ds_load_b32 v27, v37 offset:6752
	ds_load_b32 v78, v35
	s_wait_dscnt 0x0
	v_fma_f32 v26, -v27, v78, v26
.LBB5_713:                              ;   in Loop: Header=BB5_3 Depth=1
	s_or_b32 exec_lo, exec_lo, s64
	s_barrier_signal -1
	s_barrier_wait -1
	s_and_saveexec_b32 s64, s99
	s_cbranch_execz .LBB5_715
; %bb.714:                              ;   in Loop: Header=BB5_3 Depth=1
	ds_load_b32 v27, v3 offset:6500
	s_wait_dscnt 0x0
	v_mul_f32_e32 v26, v26, v27
	s_delay_alu instid0(VALU_DEP_1)
	v_xor_b32_e32 v27, 0x80000000, v26
	ds_store_b32 v35, v27
.LBB5_715:                              ;   in Loop: Header=BB5_3 Depth=1
	s_or_b32 exec_lo, exec_lo, s64
	s_wait_dscnt 0x0
	;; [unrolled: 25-line block ×3, first 2 shown]
	s_barrier_signal -1
	s_barrier_wait -1
	s_barrier_signal -1
	s_barrier_wait -1
	s_and_saveexec_b32 s64, s2
; %bb.720:                              ;   in Loop: Header=BB5_3 Depth=1
	ds_store_b32 v41, v26 offset:8032
; %bb.721:                              ;   in Loop: Header=BB5_3 Depth=1
	s_or_b32 exec_lo, exec_lo, s64
	s_wait_dscnt 0x0
	s_barrier_signal -1
	s_barrier_wait -1
	s_barrier_signal -1
	s_barrier_wait -1
	s_and_saveexec_b32 s64, s101
	s_cbranch_execz .LBB5_723
; %bb.722:                              ;   in Loop: Header=BB5_3 Depth=1
	ds_load_b32 v26, v39 offset:7264
	s_wait_dscnt 0x0
	ds_store_b32 v40, v26 offset:6256
	ds_load_b32 v26, v39 offset:7268
	s_wait_dscnt 0x0
	ds_store_b32 v40, v26 offset:6512
	;; [unrolled: 3-line block ×4, first 2 shown]
.LBB5_723:                              ;   in Loop: Header=BB5_3 Depth=1
	s_or_b32 exec_lo, exec_lo, s64
	s_wait_dscnt 0x0
	s_barrier_signal -1
	s_barrier_wait -1
	s_and_saveexec_b32 s64, s15
	s_cbranch_execz .LBB5_725
; %bb.724:                              ;   in Loop: Header=BB5_3 Depth=1
	ds_load_b64 v[26:27], v3 offset:7016
	ds_load_b32 v78, v3 offset:6760
	s_wait_dscnt 0x0
	v_mul_f32_e32 v27, v78, v27
	s_delay_alu instid0(VALU_DEP_1)
	v_mul_f32_e32 v26, v26, v27
	v_add_nc_u32_e64 v27, 0x1800, 0
	ds_store_2addr_b32 v27, v26, v26 offset0:155 offset1:218
.LBB5_725:                              ;   in Loop: Header=BB5_3 Depth=1
	s_or_b32 exec_lo, exec_lo, s64
	v_mov_b32_e32 v26, 0
	s_wait_dscnt 0x0
	s_barrier_signal -1
	s_barrier_wait -1
	global_wb scope:SCOPE_DEV
	s_wait_storecnt 0x0
	global_inv scope:SCOPE_DEV
	s_and_saveexec_b32 s64, s0
	s_cbranch_execz .LBB5_729
; %bb.726:                              ;   in Loop: Header=BB5_3 Depth=1
	ds_load_b32 v26, v31 offset:6752
	ds_load_b32 v27, v30 offset:7016
	s_wait_dscnt 0x0
	v_fma_f32 v26, v26, v27, 0
	s_and_saveexec_b32 s65, s16
	s_cbranch_execz .LBB5_728
; %bb.727:                              ;   in Loop: Header=BB5_3 Depth=1
	ds_load_b32 v27, v40 offset:7008
	ds_load_b32 v78, v3 offset:7020
	s_wait_dscnt 0x0
	v_fmac_f32_e32 v26, v27, v78
.LBB5_728:                              ;   in Loop: Header=BB5_3 Depth=1
	s_or_b32 exec_lo, exec_lo, s65
.LBB5_729:                              ;   in Loop: Header=BB5_3 Depth=1
	s_delay_alu instid0(SALU_CYCLE_1)
	s_or_b32 exec_lo, exec_lo, s64
	s_and_saveexec_b32 s64, s92
	s_cbranch_execz .LBB5_731
; %bb.730:                              ;   in Loop: Header=BB5_3 Depth=1
	ds_load_b32 v27, v3 offset:6500
	s_wait_dscnt 0x0
	v_mul_f32_e32 v26, v26, v27
	s_delay_alu instid0(VALU_DEP_1)
	v_xor_b32_e32 v27, 0x80000000, v26
	ds_store_b32 v5, v27
.LBB5_731:                              ;   in Loop: Header=BB5_3 Depth=1
	s_or_b32 exec_lo, exec_lo, s64
	s_wait_loadcnt_dscnt 0x0
	s_barrier_signal -1
	s_barrier_wait -1
	s_and_saveexec_b32 s64, s93
	s_cbranch_execz .LBB5_733
; %bb.732:                              ;   in Loop: Header=BB5_3 Depth=1
	ds_load_b32 v27, v3 offset:6496
	ds_load_b32 v78, v5
	s_wait_dscnt 0x0
	v_fma_f32 v26, -v27, v78, v26
.LBB5_733:                              ;   in Loop: Header=BB5_3 Depth=1
	s_or_b32 exec_lo, exec_lo, s64
	s_barrier_signal -1
	s_barrier_wait -1
	s_and_saveexec_b32 s64, s93
	s_cbranch_execz .LBB5_735
; %bb.734:                              ;   in Loop: Header=BB5_3 Depth=1
	ds_load_b32 v27, v3 offset:6240
	s_wait_dscnt 0x0
	v_mul_f32_e32 v26, v26, v27
	s_delay_alu instid0(VALU_DEP_1)
	v_xor_b32_e32 v27, 0x80000000, v26
	ds_store_b32 v5, v27
.LBB5_735:                              ;   in Loop: Header=BB5_3 Depth=1
	s_or_b32 exec_lo, exec_lo, s64
	s_wait_dscnt 0x0
	s_barrier_signal -1
	s_barrier_wait -1
	s_barrier_signal -1
	s_barrier_wait -1
	s_and_saveexec_b32 s64, s0
; %bb.736:                              ;   in Loop: Header=BB5_3 Depth=1
	ds_store_b32 v33, v26 offset:7008
; %bb.737:                              ;   in Loop: Header=BB5_3 Depth=1
	s_or_b32 exec_lo, exec_lo, s64
	s_wait_dscnt 0x0
	s_barrier_signal -1
	s_barrier_wait -1
	s_barrier_signal -1
	s_barrier_wait -1
	s_and_saveexec_b32 s64, s94
	s_cbranch_execz .LBB5_739
; %bb.738:                              ;   in Loop: Header=BB5_3 Depth=1
	ds_load_b32 v26, v42 offset:6752
	s_wait_dscnt 0x0
	ds_store_b32 v40, v26 offset:6248
	ds_load_b32 v26, v42 offset:6756
	s_wait_dscnt 0x0
	ds_store_b32 v40, v26 offset:6504
.LBB5_739:                              ;   in Loop: Header=BB5_3 Depth=1
	s_or_b32 exec_lo, exec_lo, s64
	s_wait_dscnt 0x0
	s_barrier_signal -1
	s_barrier_wait -1
	s_and_saveexec_b32 s64, s15
	s_cbranch_execz .LBB5_741
; %bb.740:                              ;   in Loop: Header=BB5_3 Depth=1
	ds_load_b64 v[26:27], v3 offset:6496
	ds_load_b32 v78, v3 offset:6240
	s_wait_dscnt 0x0
	v_mul_f32_e32 v27, v78, v27
	s_delay_alu instid0(VALU_DEP_1)
	v_mul_f32_e32 v26, v26, v27
	v_add_nc_u32_e64 v27, 0x1800, 0
	ds_store_2addr_b32 v27, v26, v26 offset0:25 offset1:88
.LBB5_741:                              ;   in Loop: Header=BB5_3 Depth=1
	s_or_b32 exec_lo, exec_lo, s64
	v_mov_b32_e32 v26, 0
	s_wait_dscnt 0x0
	s_barrier_signal -1
	s_barrier_wait -1
	global_wb scope:SCOPE_DEV
	s_wait_storecnt 0x0
	global_inv scope:SCOPE_DEV
	s_and_saveexec_b32 s65, s3
	s_cbranch_execz .LBB5_751
; %bb.742:                              ;   in Loop: Header=BB5_3 Depth=1
	ds_load_b32 v26, v45 offset:6208
	ds_load_b32 v27, v44 offset:8032
	s_wait_dscnt 0x0
	v_fma_f32 v26, v26, v27, 0
	s_and_saveexec_b32 s64, s19
	s_cbranch_execnz .LBB5_1235
; %bb.743:                              ;   in Loop: Header=BB5_3 Depth=1
	s_or_b32 exec_lo, exec_lo, s64
	s_and_saveexec_b32 s64, s20
	s_cbranch_execnz .LBB5_1236
.LBB5_744:                              ;   in Loop: Header=BB5_3 Depth=1
	s_or_b32 exec_lo, exec_lo, s64
	s_and_saveexec_b32 s64, s21
	s_cbranch_execnz .LBB5_1237
.LBB5_745:                              ;   in Loop: Header=BB5_3 Depth=1
	s_or_b32 exec_lo, exec_lo, s64
	s_and_saveexec_b32 s64, s22
	s_cbranch_execnz .LBB5_1238
.LBB5_746:                              ;   in Loop: Header=BB5_3 Depth=1
	s_or_b32 exec_lo, exec_lo, s64
	s_and_saveexec_b32 s64, s23
	s_cbranch_execnz .LBB5_1239
.LBB5_747:                              ;   in Loop: Header=BB5_3 Depth=1
	s_or_b32 exec_lo, exec_lo, s64
	s_and_saveexec_b32 s64, s2
	s_cbranch_execnz .LBB5_1240
.LBB5_748:                              ;   in Loop: Header=BB5_3 Depth=1
	s_or_b32 exec_lo, exec_lo, s64
	s_and_saveexec_b32 s64, s18
	s_cbranch_execz .LBB5_750
.LBB5_749:                              ;   in Loop: Header=BB5_3 Depth=1
	ds_load_b32 v27, v46 offset:8000
	ds_load_b32 v78, v3 offset:8060
	s_wait_dscnt 0x0
	v_fmac_f32_e32 v26, v27, v78
.LBB5_750:                              ;   in Loop: Header=BB5_3 Depth=1
	s_or_b32 exec_lo, exec_lo, s64
.LBB5_751:                              ;   in Loop: Header=BB5_3 Depth=1
	s_delay_alu instid0(SALU_CYCLE_1)
	s_or_b32 exec_lo, exec_lo, s65
	s_and_saveexec_b32 s64, s102
	s_cbranch_execz .LBB5_753
; %bb.752:                              ;   in Loop: Header=BB5_3 Depth=1
	ds_load_b32 v27, v3 offset:5980
	s_wait_dscnt 0x0
	v_mul_f32_e32 v26, v26, v27
	s_delay_alu instid0(VALU_DEP_1)
	v_xor_b32_e32 v27, 0x80000000, v26
	ds_store_b32 v43, v27
.LBB5_753:                              ;   in Loop: Header=BB5_3 Depth=1
	s_or_b32 exec_lo, exec_lo, s64
	s_wait_loadcnt_dscnt 0x0
	s_barrier_signal -1
	s_barrier_wait -1
	s_and_saveexec_b32 s64, s103
	s_cbranch_execz .LBB5_755
; %bb.754:                              ;   in Loop: Header=BB5_3 Depth=1
	ds_load_b32 v27, v45 offset:5952
	ds_load_b32 v78, v43
	s_wait_dscnt 0x0
	v_fma_f32 v26, -v27, v78, v26
.LBB5_755:                              ;   in Loop: Header=BB5_3 Depth=1
	s_or_b32 exec_lo, exec_lo, s64
	s_barrier_signal -1
	s_barrier_wait -1
	s_and_saveexec_b32 s64, s104
	s_cbranch_execz .LBB5_757
; %bb.756:                              ;   in Loop: Header=BB5_3 Depth=1
	ds_load_b32 v27, v3 offset:5720
	s_wait_dscnt 0x0
	v_mul_f32_e32 v26, v26, v27
	s_delay_alu instid0(VALU_DEP_1)
	v_xor_b32_e32 v27, 0x80000000, v26
	ds_store_b32 v43, v27
.LBB5_757:                              ;   in Loop: Header=BB5_3 Depth=1
	s_or_b32 exec_lo, exec_lo, s64
	s_wait_dscnt 0x0
	s_barrier_signal -1
	s_barrier_wait -1
	s_and_saveexec_b32 s64, vcc_hi
	s_cbranch_execz .LBB5_759
; %bb.758:                              ;   in Loop: Header=BB5_3 Depth=1
	ds_load_b32 v27, v45 offset:5696
	ds_load_b32 v78, v43
	s_wait_dscnt 0x0
	v_fma_f32 v26, -v27, v78, v26
.LBB5_759:                              ;   in Loop: Header=BB5_3 Depth=1
	s_or_b32 exec_lo, exec_lo, s64
	s_barrier_signal -1
	s_barrier_wait -1
	s_and_saveexec_b32 s64, s36
	s_cbranch_execz .LBB5_761
; %bb.760:                              ;   in Loop: Header=BB5_3 Depth=1
	ds_load_b32 v27, v3 offset:5460
	s_wait_dscnt 0x0
	v_mul_f32_e32 v26, v26, v27
	s_delay_alu instid0(VALU_DEP_1)
	v_xor_b32_e32 v27, 0x80000000, v26
	ds_store_b32 v43, v27
.LBB5_761:                              ;   in Loop: Header=BB5_3 Depth=1
	s_or_b32 exec_lo, exec_lo, s64
	s_wait_dscnt 0x0
	s_barrier_signal -1
	s_barrier_wait -1
	s_and_saveexec_b32 s64, s37
	s_cbranch_execz .LBB5_763
; %bb.762:                              ;   in Loop: Header=BB5_3 Depth=1
	ds_load_b32 v27, v45 offset:5440
	ds_load_b32 v78, v43
	s_wait_dscnt 0x0
	v_fma_f32 v26, -v27, v78, v26
.LBB5_763:                              ;   in Loop: Header=BB5_3 Depth=1
	s_or_b32 exec_lo, exec_lo, s64
	s_barrier_signal -1
	s_barrier_wait -1
	s_and_saveexec_b32 s64, s38
	s_cbranch_execz .LBB5_765
; %bb.764:                              ;   in Loop: Header=BB5_3 Depth=1
	ds_load_b32 v27, v3 offset:5200
	s_wait_dscnt 0x0
	v_mul_f32_e32 v26, v26, v27
	s_delay_alu instid0(VALU_DEP_1)
	v_xor_b32_e32 v27, 0x80000000, v26
	ds_store_b32 v43, v27
.LBB5_765:                              ;   in Loop: Header=BB5_3 Depth=1
	s_or_b32 exec_lo, exec_lo, s64
	s_wait_dscnt 0x0
	s_barrier_signal -1
	s_barrier_wait -1
	s_and_saveexec_b32 s64, s39
	s_cbranch_execz .LBB5_767
; %bb.766:                              ;   in Loop: Header=BB5_3 Depth=1
	ds_load_b32 v27, v45 offset:5184
	ds_load_b32 v78, v43
	s_wait_dscnt 0x0
	v_fma_f32 v26, -v27, v78, v26
.LBB5_767:                              ;   in Loop: Header=BB5_3 Depth=1
	s_or_b32 exec_lo, exec_lo, s64
	s_barrier_signal -1
	s_barrier_wait -1
	s_and_saveexec_b32 s64, s40
	s_cbranch_execz .LBB5_769
; %bb.768:                              ;   in Loop: Header=BB5_3 Depth=1
	ds_load_b32 v27, v3 offset:4940
	s_wait_dscnt 0x0
	v_mul_f32_e32 v26, v26, v27
	s_delay_alu instid0(VALU_DEP_1)
	v_xor_b32_e32 v27, 0x80000000, v26
	ds_store_b32 v43, v27
.LBB5_769:                              ;   in Loop: Header=BB5_3 Depth=1
	s_or_b32 exec_lo, exec_lo, s64
	s_wait_dscnt 0x0
	s_barrier_signal -1
	s_barrier_wait -1
	s_and_saveexec_b32 s64, s41
	s_cbranch_execz .LBB5_771
; %bb.770:                              ;   in Loop: Header=BB5_3 Depth=1
	ds_load_b32 v27, v45 offset:4928
	ds_load_b32 v78, v43
	s_wait_dscnt 0x0
	v_fma_f32 v26, -v27, v78, v26
.LBB5_771:                              ;   in Loop: Header=BB5_3 Depth=1
	s_or_b32 exec_lo, exec_lo, s64
	s_barrier_signal -1
	s_barrier_wait -1
	s_and_saveexec_b32 s64, s42
	s_cbranch_execz .LBB5_773
; %bb.772:                              ;   in Loop: Header=BB5_3 Depth=1
	ds_load_b32 v27, v3 offset:4680
	s_wait_dscnt 0x0
	v_mul_f32_e32 v26, v26, v27
	s_delay_alu instid0(VALU_DEP_1)
	v_xor_b32_e32 v27, 0x80000000, v26
	ds_store_b32 v43, v27
.LBB5_773:                              ;   in Loop: Header=BB5_3 Depth=1
	s_or_b32 exec_lo, exec_lo, s64
	s_wait_dscnt 0x0
	s_barrier_signal -1
	s_barrier_wait -1
	s_and_saveexec_b32 s64, s43
	s_cbranch_execz .LBB5_775
; %bb.774:                              ;   in Loop: Header=BB5_3 Depth=1
	ds_load_b32 v27, v45 offset:4672
	ds_load_b32 v78, v43
	s_wait_dscnt 0x0
	v_fma_f32 v26, -v27, v78, v26
.LBB5_775:                              ;   in Loop: Header=BB5_3 Depth=1
	s_or_b32 exec_lo, exec_lo, s64
	s_barrier_signal -1
	s_barrier_wait -1
	s_and_saveexec_b32 s64, s44
	s_cbranch_execz .LBB5_777
; %bb.776:                              ;   in Loop: Header=BB5_3 Depth=1
	ds_load_b32 v27, v3 offset:4420
	s_wait_dscnt 0x0
	v_mul_f32_e32 v26, v26, v27
	s_delay_alu instid0(VALU_DEP_1)
	v_xor_b32_e32 v27, 0x80000000, v26
	ds_store_b32 v43, v27
.LBB5_777:                              ;   in Loop: Header=BB5_3 Depth=1
	s_or_b32 exec_lo, exec_lo, s64
	s_wait_dscnt 0x0
	s_barrier_signal -1
	s_barrier_wait -1
	s_and_saveexec_b32 s64, s45
	s_cbranch_execz .LBB5_779
; %bb.778:                              ;   in Loop: Header=BB5_3 Depth=1
	ds_load_b32 v27, v3 offset:4416
	ds_load_b32 v78, v43
	s_wait_dscnt 0x0
	v_fma_f32 v26, -v27, v78, v26
.LBB5_779:                              ;   in Loop: Header=BB5_3 Depth=1
	s_or_b32 exec_lo, exec_lo, s64
	s_barrier_signal -1
	s_barrier_wait -1
	s_and_saveexec_b32 s64, s45
	s_cbranch_execz .LBB5_781
; %bb.780:                              ;   in Loop: Header=BB5_3 Depth=1
	ds_load_b32 v27, v3 offset:4160
	s_wait_dscnt 0x0
	v_mul_f32_e32 v26, v26, v27
	s_delay_alu instid0(VALU_DEP_1)
	v_xor_b32_e32 v27, 0x80000000, v26
	ds_store_b32 v43, v27
.LBB5_781:                              ;   in Loop: Header=BB5_3 Depth=1
	s_or_b32 exec_lo, exec_lo, s64
	s_wait_dscnt 0x0
	s_barrier_signal -1
	s_barrier_wait -1
	s_barrier_signal -1
	s_barrier_wait -1
	s_and_saveexec_b32 s64, s3
; %bb.782:                              ;   in Loop: Header=BB5_3 Depth=1
	ds_store_b32 v48, v26 offset:8000
; %bb.783:                              ;   in Loop: Header=BB5_3 Depth=1
	s_or_b32 exec_lo, exec_lo, s64
	s_wait_dscnt 0x0
	s_barrier_signal -1
	s_barrier_wait -1
	s_barrier_signal -1
	s_barrier_wait -1
	s_and_saveexec_b32 s64, s46
	s_cbranch_execz .LBB5_785
; %bb.784:                              ;   in Loop: Header=BB5_3 Depth=1
	ds_load_b32 v26, v47 offset:6208
	s_wait_dscnt 0x0
	ds_store_b32 v49, v26 offset:4192
	ds_load_b32 v26, v47 offset:6212
	s_wait_dscnt 0x0
	ds_store_b32 v49, v26 offset:4448
	;; [unrolled: 3-line block ×8, first 2 shown]
.LBB5_785:                              ;   in Loop: Header=BB5_3 Depth=1
	s_or_b32 exec_lo, exec_lo, s64
	s_wait_dscnt 0x0
	s_barrier_signal -1
	s_barrier_wait -1
	s_and_saveexec_b32 s64, s15
	s_cbranch_execz .LBB5_787
; %bb.786:                              ;   in Loop: Header=BB5_3 Depth=1
	ds_load_b64 v[26:27], v3 offset:5976
	ds_load_b32 v78, v3 offset:5720
	s_wait_dscnt 0x0
	v_mul_f32_e32 v27, v78, v27
	s_delay_alu instid0(VALU_DEP_1)
	v_mul_f32_e32 v26, v26, v27
	v_add_nc_u32_e64 v27, 0x1400, 0
	ds_store_2addr_b32 v27, v26, v26 offset0:151 offset1:214
.LBB5_787:                              ;   in Loop: Header=BB5_3 Depth=1
	s_or_b32 exec_lo, exec_lo, s64
	v_mov_b32_e32 v26, 0
	s_wait_dscnt 0x0
	s_barrier_signal -1
	s_barrier_wait -1
	global_wb scope:SCOPE_DEV
	s_wait_storecnt 0x0
	global_inv scope:SCOPE_DEV
	s_and_saveexec_b32 s64, s0
	s_cbranch_execz .LBB5_791
; %bb.788:                              ;   in Loop: Header=BB5_3 Depth=1
	ds_load_b32 v26, v31 offset:5712
	ds_load_b32 v27, v30 offset:5976
	s_wait_dscnt 0x0
	v_fma_f32 v26, v26, v27, 0
	s_and_saveexec_b32 s65, s16
	s_cbranch_execz .LBB5_790
; %bb.789:                              ;   in Loop: Header=BB5_3 Depth=1
	ds_load_b32 v27, v49 offset:5968
	ds_load_b32 v78, v3 offset:5980
	s_wait_dscnt 0x0
	v_fmac_f32_e32 v26, v27, v78
.LBB5_790:                              ;   in Loop: Header=BB5_3 Depth=1
	s_or_b32 exec_lo, exec_lo, s65
.LBB5_791:                              ;   in Loop: Header=BB5_3 Depth=1
	s_delay_alu instid0(SALU_CYCLE_1)
	s_or_b32 exec_lo, exec_lo, s64
	s_and_saveexec_b32 s64, s92
	s_cbranch_execz .LBB5_793
; %bb.792:                              ;   in Loop: Header=BB5_3 Depth=1
	ds_load_b32 v27, v3 offset:5460
	s_wait_dscnt 0x0
	v_mul_f32_e32 v26, v26, v27
	s_delay_alu instid0(VALU_DEP_1)
	v_xor_b32_e32 v27, 0x80000000, v26
	ds_store_b32 v5, v27
.LBB5_793:                              ;   in Loop: Header=BB5_3 Depth=1
	s_or_b32 exec_lo, exec_lo, s64
	s_wait_loadcnt_dscnt 0x0
	s_barrier_signal -1
	s_barrier_wait -1
	s_and_saveexec_b32 s64, s93
	s_cbranch_execz .LBB5_795
; %bb.794:                              ;   in Loop: Header=BB5_3 Depth=1
	ds_load_b32 v27, v3 offset:5456
	ds_load_b32 v78, v5
	s_wait_dscnt 0x0
	v_fma_f32 v26, -v27, v78, v26
.LBB5_795:                              ;   in Loop: Header=BB5_3 Depth=1
	s_or_b32 exec_lo, exec_lo, s64
	s_barrier_signal -1
	s_barrier_wait -1
	s_and_saveexec_b32 s64, s93
	s_cbranch_execz .LBB5_797
; %bb.796:                              ;   in Loop: Header=BB5_3 Depth=1
	ds_load_b32 v27, v3 offset:5200
	s_wait_dscnt 0x0
	v_mul_f32_e32 v26, v26, v27
	s_delay_alu instid0(VALU_DEP_1)
	v_xor_b32_e32 v27, 0x80000000, v26
	ds_store_b32 v5, v27
.LBB5_797:                              ;   in Loop: Header=BB5_3 Depth=1
	s_or_b32 exec_lo, exec_lo, s64
	s_wait_dscnt 0x0
	s_barrier_signal -1
	s_barrier_wait -1
	s_barrier_signal -1
	s_barrier_wait -1
	s_and_saveexec_b32 s64, s0
; %bb.798:                              ;   in Loop: Header=BB5_3 Depth=1
	ds_store_b32 v33, v26 offset:5968
; %bb.799:                              ;   in Loop: Header=BB5_3 Depth=1
	s_or_b32 exec_lo, exec_lo, s64
	s_wait_dscnt 0x0
	s_barrier_signal -1
	s_barrier_wait -1
	s_barrier_signal -1
	s_barrier_wait -1
	s_and_saveexec_b32 s64, s94
	s_cbranch_execz .LBB5_801
; %bb.800:                              ;   in Loop: Header=BB5_3 Depth=1
	ds_load_b32 v26, v54 offset:5712
	s_wait_dscnt 0x0
	ds_store_b32 v49, v26 offset:5208
	ds_load_b32 v26, v54 offset:5716
	s_wait_dscnt 0x0
	ds_store_b32 v49, v26 offset:5464
.LBB5_801:                              ;   in Loop: Header=BB5_3 Depth=1
	s_or_b32 exec_lo, exec_lo, s64
	s_wait_dscnt 0x0
	s_barrier_signal -1
	s_barrier_wait -1
	s_and_saveexec_b32 s64, s15
	s_cbranch_execz .LBB5_803
; %bb.802:                              ;   in Loop: Header=BB5_3 Depth=1
	ds_load_b64 v[26:27], v3 offset:5456
	ds_load_b32 v78, v3 offset:5200
	s_wait_dscnt 0x0
	v_mul_f32_e32 v27, v78, v27
	s_delay_alu instid0(VALU_DEP_1)
	v_mul_f32_e32 v26, v26, v27
	v_add_nc_u32_e64 v27, 0x1400, 0
	ds_store_2addr_b32 v27, v26, v26 offset0:21 offset1:84
.LBB5_803:                              ;   in Loop: Header=BB5_3 Depth=1
	s_or_b32 exec_lo, exec_lo, s64
	v_mov_b32_e32 v26, 0
	s_wait_dscnt 0x0
	s_barrier_signal -1
	s_barrier_wait -1
	global_wb scope:SCOPE_DEV
	s_wait_storecnt 0x0
	global_inv scope:SCOPE_DEV
	s_and_saveexec_b32 s65, s2
	s_cbranch_execz .LBB5_809
; %bb.804:                              ;   in Loop: Header=BB5_3 Depth=1
	ds_load_b32 v26, v37 offset:5184
	ds_load_b32 v27, v36 offset:5968
	s_wait_dscnt 0x0
	v_fma_f32 v26, v26, v27, 0
	s_and_saveexec_b32 s64, s17
	s_cbranch_execnz .LBB5_1241
; %bb.805:                              ;   in Loop: Header=BB5_3 Depth=1
	s_or_b32 exec_lo, exec_lo, s64
	s_and_saveexec_b32 s64, s18
	s_cbranch_execnz .LBB5_1242
.LBB5_806:                              ;   in Loop: Header=BB5_3 Depth=1
	s_or_b32 exec_lo, exec_lo, s64
	s_and_saveexec_b32 s64, s0
	s_cbranch_execz .LBB5_808
.LBB5_807:                              ;   in Loop: Header=BB5_3 Depth=1
	ds_load_b32 v27, v55 offset:5952
	ds_load_b32 v78, v3 offset:5980
	s_wait_dscnt 0x0
	v_fmac_f32_e32 v26, v27, v78
.LBB5_808:                              ;   in Loop: Header=BB5_3 Depth=1
	s_or_b32 exec_lo, exec_lo, s64
.LBB5_809:                              ;   in Loop: Header=BB5_3 Depth=1
	s_delay_alu instid0(SALU_CYCLE_1)
	s_or_b32 exec_lo, exec_lo, s65
	s_and_saveexec_b32 s64, s95
	s_cbranch_execz .LBB5_811
; %bb.810:                              ;   in Loop: Header=BB5_3 Depth=1
	ds_load_b32 v27, v3 offset:4940
	s_wait_dscnt 0x0
	v_mul_f32_e32 v26, v26, v27
	s_delay_alu instid0(VALU_DEP_1)
	v_xor_b32_e32 v27, 0x80000000, v26
	ds_store_b32 v35, v27
.LBB5_811:                              ;   in Loop: Header=BB5_3 Depth=1
	s_or_b32 exec_lo, exec_lo, s64
	s_wait_loadcnt_dscnt 0x0
	s_barrier_signal -1
	s_barrier_wait -1
	s_and_saveexec_b32 s64, s96
	s_cbranch_execz .LBB5_813
; %bb.812:                              ;   in Loop: Header=BB5_3 Depth=1
	ds_load_b32 v27, v37 offset:4928
	ds_load_b32 v78, v35
	s_wait_dscnt 0x0
	v_fma_f32 v26, -v27, v78, v26
.LBB5_813:                              ;   in Loop: Header=BB5_3 Depth=1
	s_or_b32 exec_lo, exec_lo, s64
	s_barrier_signal -1
	s_barrier_wait -1
	s_and_saveexec_b32 s64, s97
	s_cbranch_execz .LBB5_815
; %bb.814:                              ;   in Loop: Header=BB5_3 Depth=1
	ds_load_b32 v27, v3 offset:4680
	s_wait_dscnt 0x0
	v_mul_f32_e32 v26, v26, v27
	s_delay_alu instid0(VALU_DEP_1)
	v_xor_b32_e32 v27, 0x80000000, v26
	ds_store_b32 v35, v27
.LBB5_815:                              ;   in Loop: Header=BB5_3 Depth=1
	s_or_b32 exec_lo, exec_lo, s64
	s_wait_dscnt 0x0
	s_barrier_signal -1
	s_barrier_wait -1
	s_and_saveexec_b32 s64, s98
	s_cbranch_execz .LBB5_817
; %bb.816:                              ;   in Loop: Header=BB5_3 Depth=1
	ds_load_b32 v27, v37 offset:4672
	ds_load_b32 v78, v35
	s_wait_dscnt 0x0
	v_fma_f32 v26, -v27, v78, v26
.LBB5_817:                              ;   in Loop: Header=BB5_3 Depth=1
	s_or_b32 exec_lo, exec_lo, s64
	s_barrier_signal -1
	s_barrier_wait -1
	s_and_saveexec_b32 s64, s99
	s_cbranch_execz .LBB5_819
; %bb.818:                              ;   in Loop: Header=BB5_3 Depth=1
	ds_load_b32 v27, v3 offset:4420
	s_wait_dscnt 0x0
	v_mul_f32_e32 v26, v26, v27
	s_delay_alu instid0(VALU_DEP_1)
	v_xor_b32_e32 v27, 0x80000000, v26
	ds_store_b32 v35, v27
.LBB5_819:                              ;   in Loop: Header=BB5_3 Depth=1
	s_or_b32 exec_lo, exec_lo, s64
	s_wait_dscnt 0x0
	;; [unrolled: 25-line block ×3, first 2 shown]
	s_barrier_signal -1
	s_barrier_wait -1
	s_barrier_signal -1
	s_barrier_wait -1
	s_and_saveexec_b32 s64, s2
; %bb.824:                              ;   in Loop: Header=BB5_3 Depth=1
	ds_store_b32 v41, v26 offset:5952
; %bb.825:                              ;   in Loop: Header=BB5_3 Depth=1
	s_or_b32 exec_lo, exec_lo, s64
	s_wait_dscnt 0x0
	s_barrier_signal -1
	s_barrier_wait -1
	s_barrier_signal -1
	s_barrier_wait -1
	s_and_saveexec_b32 s64, s101
	s_cbranch_execz .LBB5_827
; %bb.826:                              ;   in Loop: Header=BB5_3 Depth=1
	ds_load_b32 v26, v56 offset:5184
	s_wait_dscnt 0x0
	ds_store_b32 v57, v26 offset:4176
	ds_load_b32 v26, v56 offset:5188
	s_wait_dscnt 0x0
	ds_store_b32 v57, v26 offset:4432
	;; [unrolled: 3-line block ×4, first 2 shown]
.LBB5_827:                              ;   in Loop: Header=BB5_3 Depth=1
	s_or_b32 exec_lo, exec_lo, s64
	s_wait_dscnt 0x0
	s_barrier_signal -1
	s_barrier_wait -1
	s_and_saveexec_b32 s64, s15
	s_cbranch_execz .LBB5_829
; %bb.828:                              ;   in Loop: Header=BB5_3 Depth=1
	ds_load_b64 v[26:27], v3 offset:4936
	ds_load_b32 v78, v3 offset:4680
	s_wait_dscnt 0x0
	v_mul_f32_e32 v27, v78, v27
	s_delay_alu instid0(VALU_DEP_1)
	v_mul_f32_e32 v26, v26, v27
	v_add_nc_u32_e64 v27, 0x1000, 0
	ds_store_2addr_b32 v27, v26, v26 offset0:147 offset1:210
.LBB5_829:                              ;   in Loop: Header=BB5_3 Depth=1
	s_or_b32 exec_lo, exec_lo, s64
	v_mov_b32_e32 v26, 0
	s_wait_dscnt 0x0
	s_barrier_signal -1
	s_barrier_wait -1
	global_wb scope:SCOPE_DEV
	s_wait_storecnt 0x0
	global_inv scope:SCOPE_DEV
	s_and_saveexec_b32 s64, s0
	s_cbranch_execz .LBB5_833
; %bb.830:                              ;   in Loop: Header=BB5_3 Depth=1
	ds_load_b32 v26, v31 offset:4672
	ds_load_b32 v27, v30 offset:4936
	s_wait_dscnt 0x0
	v_fma_f32 v26, v26, v27, 0
	s_and_saveexec_b32 s65, s16
	s_cbranch_execz .LBB5_832
; %bb.831:                              ;   in Loop: Header=BB5_3 Depth=1
	ds_load_b32 v27, v57 offset:4928
	ds_load_b32 v78, v3 offset:4940
	s_wait_dscnt 0x0
	v_fmac_f32_e32 v26, v27, v78
.LBB5_832:                              ;   in Loop: Header=BB5_3 Depth=1
	s_or_b32 exec_lo, exec_lo, s65
.LBB5_833:                              ;   in Loop: Header=BB5_3 Depth=1
	s_delay_alu instid0(SALU_CYCLE_1)
	s_or_b32 exec_lo, exec_lo, s64
	s_and_saveexec_b32 s64, s92
	s_cbranch_execz .LBB5_835
; %bb.834:                              ;   in Loop: Header=BB5_3 Depth=1
	ds_load_b32 v27, v3 offset:4420
	s_wait_dscnt 0x0
	v_mul_f32_e32 v26, v26, v27
	s_delay_alu instid0(VALU_DEP_1)
	v_xor_b32_e32 v27, 0x80000000, v26
	ds_store_b32 v5, v27
.LBB5_835:                              ;   in Loop: Header=BB5_3 Depth=1
	s_or_b32 exec_lo, exec_lo, s64
	s_wait_loadcnt_dscnt 0x0
	s_barrier_signal -1
	s_barrier_wait -1
	s_and_saveexec_b32 s64, s93
	s_cbranch_execz .LBB5_837
; %bb.836:                              ;   in Loop: Header=BB5_3 Depth=1
	ds_load_b32 v27, v3 offset:4416
	ds_load_b32 v78, v5
	s_wait_dscnt 0x0
	v_fma_f32 v26, -v27, v78, v26
.LBB5_837:                              ;   in Loop: Header=BB5_3 Depth=1
	s_or_b32 exec_lo, exec_lo, s64
	s_barrier_signal -1
	s_barrier_wait -1
	s_and_saveexec_b32 s64, s93
	s_cbranch_execz .LBB5_839
; %bb.838:                              ;   in Loop: Header=BB5_3 Depth=1
	ds_load_b32 v27, v3 offset:4160
	s_wait_dscnt 0x0
	v_mul_f32_e32 v26, v26, v27
	s_delay_alu instid0(VALU_DEP_1)
	v_xor_b32_e32 v27, 0x80000000, v26
	ds_store_b32 v5, v27
.LBB5_839:                              ;   in Loop: Header=BB5_3 Depth=1
	s_or_b32 exec_lo, exec_lo, s64
	s_wait_dscnt 0x0
	s_barrier_signal -1
	s_barrier_wait -1
	s_barrier_signal -1
	s_barrier_wait -1
	s_and_saveexec_b32 s64, s0
; %bb.840:                              ;   in Loop: Header=BB5_3 Depth=1
	ds_store_b32 v33, v26 offset:4928
; %bb.841:                              ;   in Loop: Header=BB5_3 Depth=1
	s_or_b32 exec_lo, exec_lo, s64
	s_wait_dscnt 0x0
	s_barrier_signal -1
	s_barrier_wait -1
	s_barrier_signal -1
	s_barrier_wait -1
	s_and_saveexec_b32 s64, s94
	s_cbranch_execz .LBB5_843
; %bb.842:                              ;   in Loop: Header=BB5_3 Depth=1
	ds_load_b32 v26, v58 offset:4672
	s_wait_dscnt 0x0
	ds_store_b32 v57, v26 offset:4168
	ds_load_b32 v26, v58 offset:4676
	s_wait_dscnt 0x0
	ds_store_b32 v57, v26 offset:4424
.LBB5_843:                              ;   in Loop: Header=BB5_3 Depth=1
	s_or_b32 exec_lo, exec_lo, s64
	s_wait_dscnt 0x0
	s_barrier_signal -1
	s_barrier_wait -1
	s_and_saveexec_b32 s64, s15
	s_cbranch_execz .LBB5_845
; %bb.844:                              ;   in Loop: Header=BB5_3 Depth=1
	ds_load_b64 v[26:27], v3 offset:4416
	ds_load_b32 v78, v3 offset:4160
	s_wait_dscnt 0x0
	v_mul_f32_e32 v27, v78, v27
	s_delay_alu instid0(VALU_DEP_1)
	v_mul_f32_e32 v26, v26, v27
	v_add_nc_u32_e64 v27, 0x1000, 0
	ds_store_2addr_b32 v27, v26, v26 offset0:17 offset1:80
.LBB5_845:                              ;   in Loop: Header=BB5_3 Depth=1
	s_or_b32 exec_lo, exec_lo, s64
	v_mov_b32_e32 v26, 0
	s_wait_dscnt 0x0
	s_barrier_signal -1
	s_barrier_wait -1
	global_wb scope:SCOPE_DEV
	s_wait_storecnt 0x0
	global_inv scope:SCOPE_DEV
	s_and_saveexec_b32 s65, s4
	s_cbranch_execz .LBB5_873
; %bb.846:                              ;   in Loop: Header=BB5_3 Depth=1
	ds_load_b32 v26, v52 offset:4096
	ds_load_b32 v27, v51 offset:8000
	s_wait_dscnt 0x0
	v_fma_f32 v26, v26, v27, 0
	s_mov_b32 s64, exec_lo
	v_readlane_b32 s71, v85, 22
	s_and_b32 s71, s64, s71
	s_delay_alu instid0(SALU_CYCLE_1)
	s_mov_b32 exec_lo, s71
	s_cbranch_execz .LBB5_848
; %bb.847:                              ;   in Loop: Header=BB5_3 Depth=1
	ds_load_b32 v27, v52 offset:4352
	ds_load_b32 v78, v51 offset:8004
	s_wait_dscnt 0x0
	v_fmac_f32_e32 v26, v27, v78
.LBB5_848:                              ;   in Loop: Header=BB5_3 Depth=1
	s_or_b32 exec_lo, exec_lo, s64
	s_delay_alu instid0(SALU_CYCLE_1) | instskip(SKIP_2) | instid1(SALU_CYCLE_1)
	s_mov_b32 s64, exec_lo
	v_readlane_b32 s71, v85, 23
	s_and_b32 s71, s64, s71
	s_mov_b32 exec_lo, s71
	s_cbranch_execz .LBB5_850
; %bb.849:                              ;   in Loop: Header=BB5_3 Depth=1
	ds_load_b32 v27, v52 offset:4608
	ds_load_b32 v78, v51 offset:8008
	s_wait_dscnt 0x0
	v_fmac_f32_e32 v26, v27, v78
.LBB5_850:                              ;   in Loop: Header=BB5_3 Depth=1
	s_or_b32 exec_lo, exec_lo, s64
	s_delay_alu instid0(SALU_CYCLE_1) | instskip(SKIP_2) | instid1(SALU_CYCLE_1)
	s_mov_b32 s64, exec_lo
	v_readlane_b32 s71, v85, 24
	s_and_b32 s71, s64, s71
	;; [unrolled: 13-line block ×10, first 2 shown]
	s_mov_b32 exec_lo, s71
	s_cbranch_execnz .LBB5_1243
; %bb.867:                              ;   in Loop: Header=BB5_3 Depth=1
	s_or_b32 exec_lo, exec_lo, s64
	s_and_saveexec_b32 s64, s3
	s_cbranch_execnz .LBB5_1244
.LBB5_868:                              ;   in Loop: Header=BB5_3 Depth=1
	s_or_b32 exec_lo, exec_lo, s64
	s_and_saveexec_b32 s64, s20
	s_cbranch_execnz .LBB5_1245
.LBB5_869:                              ;   in Loop: Header=BB5_3 Depth=1
	s_or_b32 exec_lo, exec_lo, s64
	s_and_saveexec_b32 s64, s22
	s_cbranch_execnz .LBB5_1246
.LBB5_870:                              ;   in Loop: Header=BB5_3 Depth=1
	s_or_b32 exec_lo, exec_lo, s64
	s_and_saveexec_b32 s64, s2
	s_cbranch_execz .LBB5_872
.LBB5_871:                              ;   in Loop: Header=BB5_3 Depth=1
	ds_load_b32 v27, v32 offset:7936
	ds_load_b32 v78, v3 offset:8060
	s_wait_dscnt 0x0
	v_fmac_f32_e32 v26, v27, v78
.LBB5_872:                              ;   in Loop: Header=BB5_3 Depth=1
	s_or_b32 exec_lo, exec_lo, s64
.LBB5_873:                              ;   in Loop: Header=BB5_3 Depth=1
	s_delay_alu instid0(SALU_CYCLE_1)
	s_or_b32 exec_lo, exec_lo, s65
	s_and_saveexec_b32 s64, s47
	s_cbranch_execz .LBB5_875
; %bb.874:                              ;   in Loop: Header=BB5_3 Depth=1
	ds_load_b32 v27, v3 offset:3900
	s_wait_dscnt 0x0
	v_mul_f32_e32 v26, v26, v27
	s_delay_alu instid0(VALU_DEP_1)
	v_xor_b32_e32 v27, 0x80000000, v26
	ds_store_b32 v50, v27
.LBB5_875:                              ;   in Loop: Header=BB5_3 Depth=1
	s_or_b32 exec_lo, exec_lo, s64
	s_wait_loadcnt_dscnt 0x0
	s_barrier_signal -1
	s_barrier_wait -1
	s_and_saveexec_b32 s64, s48
	s_cbranch_execz .LBB5_877
; %bb.876:                              ;   in Loop: Header=BB5_3 Depth=1
	ds_load_b32 v27, v52 offset:3840
	ds_load_b32 v78, v50
	s_wait_dscnt 0x0
	v_fma_f32 v26, -v27, v78, v26
.LBB5_877:                              ;   in Loop: Header=BB5_3 Depth=1
	s_or_b32 exec_lo, exec_lo, s64
	s_barrier_signal -1
	s_barrier_wait -1
	s_and_saveexec_b32 s64, s49
	s_cbranch_execz .LBB5_879
; %bb.878:                              ;   in Loop: Header=BB5_3 Depth=1
	ds_load_b32 v27, v3 offset:3640
	s_wait_dscnt 0x0
	v_mul_f32_e32 v26, v26, v27
	s_delay_alu instid0(VALU_DEP_1)
	v_xor_b32_e32 v27, 0x80000000, v26
	ds_store_b32 v50, v27
.LBB5_879:                              ;   in Loop: Header=BB5_3 Depth=1
	s_or_b32 exec_lo, exec_lo, s64
	s_wait_dscnt 0x0
	s_barrier_signal -1
	s_barrier_wait -1
	s_and_saveexec_b32 s64, s50
	s_cbranch_execz .LBB5_881
; %bb.880:                              ;   in Loop: Header=BB5_3 Depth=1
	ds_load_b32 v27, v52 offset:3584
	ds_load_b32 v78, v50
	s_wait_dscnt 0x0
	v_fma_f32 v26, -v27, v78, v26
.LBB5_881:                              ;   in Loop: Header=BB5_3 Depth=1
	s_or_b32 exec_lo, exec_lo, s64
	s_barrier_signal -1
	s_barrier_wait -1
	s_and_saveexec_b32 s64, s51
	s_cbranch_execz .LBB5_883
; %bb.882:                              ;   in Loop: Header=BB5_3 Depth=1
	ds_load_b32 v27, v3 offset:3380
	s_wait_dscnt 0x0
	v_mul_f32_e32 v26, v26, v27
	s_delay_alu instid0(VALU_DEP_1)
	v_xor_b32_e32 v27, 0x80000000, v26
	ds_store_b32 v50, v27
.LBB5_883:                              ;   in Loop: Header=BB5_3 Depth=1
	s_or_b32 exec_lo, exec_lo, s64
	s_wait_dscnt 0x0
	;; [unrolled: 25-line block ×14, first 2 shown]
	s_barrier_signal -1
	s_barrier_wait -1
	s_and_saveexec_b32 s64, s86
	s_cbranch_execz .LBB5_933
; %bb.932:                              ;   in Loop: Header=BB5_3 Depth=1
	ds_load_b32 v27, v3 offset:256
	ds_load_b32 v78, v50
	s_wait_dscnt 0x0
	v_fma_f32 v26, -v27, v78, v26
.LBB5_933:                              ;   in Loop: Header=BB5_3 Depth=1
	s_or_b32 exec_lo, exec_lo, s64
	s_barrier_signal -1
	s_barrier_wait -1
	s_and_saveexec_b32 s64, s86
	s_cbranch_execz .LBB5_935
; %bb.934:                              ;   in Loop: Header=BB5_3 Depth=1
	ds_load_b32 v27, v3
	s_wait_dscnt 0x0
	v_mul_f32_e32 v26, v26, v27
	s_delay_alu instid0(VALU_DEP_1)
	v_xor_b32_e32 v27, 0x80000000, v26
	ds_store_b32 v50, v27
.LBB5_935:                              ;   in Loop: Header=BB5_3 Depth=1
	s_or_b32 exec_lo, exec_lo, s64
	s_wait_dscnt 0x0
	s_barrier_signal -1
	s_barrier_wait -1
	s_barrier_signal -1
	s_barrier_wait -1
	s_and_saveexec_b32 s64, s4
; %bb.936:                              ;   in Loop: Header=BB5_3 Depth=1
	ds_store_b32 v53, v26 offset:7936
; %bb.937:                              ;   in Loop: Header=BB5_3 Depth=1
	s_or_b32 exec_lo, exec_lo, s64
	s_wait_dscnt 0x0
	s_barrier_signal -1
	s_barrier_wait -1
	s_barrier_signal -1
	s_barrier_wait -1
	s_and_saveexec_b32 s65, s11
	s_cbranch_execz .LBB5_939
; %bb.938:                              ;   in Loop: Header=BB5_3 Depth=1
	ds_load_b32 v26, v34 offset:4096
	s_wait_dscnt 0x0
	ds_store_b32 v38, v26 offset:64
	ds_load_b32 v26, v34 offset:4100
	s_wait_dscnt 0x0
	ds_store_b32 v38, v26 offset:320
	;; [unrolled: 3-line block ×16, first 2 shown]
.LBB5_939:                              ;   in Loop: Header=BB5_3 Depth=1
	s_or_b32 exec_lo, exec_lo, s65
	s_wait_dscnt 0x0
	s_barrier_signal -1
	s_barrier_wait -1
	s_and_saveexec_b32 s64, s15
	s_cbranch_execz .LBB5_941
; %bb.940:                              ;   in Loop: Header=BB5_3 Depth=1
	ds_load_b64 v[26:27], v3 offset:3896
	ds_load_b32 v78, v3 offset:3640
	s_wait_dscnt 0x0
	v_mul_f32_e32 v27, v78, v27
	s_delay_alu instid0(VALU_DEP_1)
	v_mul_f32_e32 v26, v26, v27
	v_add_nc_u32_e64 v27, 0xc00, 0
	ds_store_2addr_b32 v27, v26, v26 offset0:143 offset1:206
.LBB5_941:                              ;   in Loop: Header=BB5_3 Depth=1
	s_or_b32 exec_lo, exec_lo, s64
	v_mov_b32_e32 v26, 0
	s_wait_dscnt 0x0
	s_barrier_signal -1
	s_barrier_wait -1
	global_wb scope:SCOPE_DEV
	s_wait_storecnt 0x0
	global_inv scope:SCOPE_DEV
	s_and_saveexec_b32 s64, s0
	s_cbranch_execz .LBB5_945
; %bb.942:                              ;   in Loop: Header=BB5_3 Depth=1
	ds_load_b32 v26, v31 offset:3632
	ds_load_b32 v27, v30 offset:3896
	s_wait_dscnt 0x0
	v_fma_f32 v26, v26, v27, 0
	s_and_saveexec_b32 s65, s16
	s_cbranch_execz .LBB5_944
; %bb.943:                              ;   in Loop: Header=BB5_3 Depth=1
	ds_load_b32 v27, v32 offset:3888
	ds_load_b32 v78, v3 offset:3900
	s_wait_dscnt 0x0
	v_fmac_f32_e32 v26, v27, v78
.LBB5_944:                              ;   in Loop: Header=BB5_3 Depth=1
	s_or_b32 exec_lo, exec_lo, s65
.LBB5_945:                              ;   in Loop: Header=BB5_3 Depth=1
	s_delay_alu instid0(SALU_CYCLE_1)
	s_or_b32 exec_lo, exec_lo, s64
	s_and_saveexec_b32 s64, s92
	s_cbranch_execz .LBB5_947
; %bb.946:                              ;   in Loop: Header=BB5_3 Depth=1
	ds_load_b32 v27, v3 offset:3380
	s_wait_dscnt 0x0
	v_mul_f32_e32 v26, v26, v27
	s_delay_alu instid0(VALU_DEP_1)
	v_xor_b32_e32 v27, 0x80000000, v26
	ds_store_b32 v5, v27
.LBB5_947:                              ;   in Loop: Header=BB5_3 Depth=1
	s_or_b32 exec_lo, exec_lo, s64
	s_wait_loadcnt_dscnt 0x0
	s_barrier_signal -1
	s_barrier_wait -1
	s_and_saveexec_b32 s64, s93
	s_cbranch_execz .LBB5_949
; %bb.948:                              ;   in Loop: Header=BB5_3 Depth=1
	ds_load_b32 v27, v3 offset:3376
	ds_load_b32 v78, v5
	s_wait_dscnt 0x0
	v_fma_f32 v26, -v27, v78, v26
.LBB5_949:                              ;   in Loop: Header=BB5_3 Depth=1
	s_or_b32 exec_lo, exec_lo, s64
	s_barrier_signal -1
	s_barrier_wait -1
	s_and_saveexec_b32 s64, s93
	s_cbranch_execz .LBB5_951
; %bb.950:                              ;   in Loop: Header=BB5_3 Depth=1
	ds_load_b32 v27, v3 offset:3120
	s_wait_dscnt 0x0
	v_mul_f32_e32 v26, v26, v27
	s_delay_alu instid0(VALU_DEP_1)
	v_xor_b32_e32 v27, 0x80000000, v26
	ds_store_b32 v5, v27
.LBB5_951:                              ;   in Loop: Header=BB5_3 Depth=1
	s_or_b32 exec_lo, exec_lo, s64
	s_wait_dscnt 0x0
	s_barrier_signal -1
	s_barrier_wait -1
	s_barrier_signal -1
	s_barrier_wait -1
	s_and_saveexec_b32 s64, s0
; %bb.952:                              ;   in Loop: Header=BB5_3 Depth=1
	ds_store_b32 v33, v26 offset:3888
; %bb.953:                              ;   in Loop: Header=BB5_3 Depth=1
	s_or_b32 exec_lo, exec_lo, s64
	s_wait_dscnt 0x0
	s_barrier_signal -1
	s_barrier_wait -1
	s_barrier_signal -1
	s_barrier_wait -1
	s_and_saveexec_b32 s64, s94
	s_cbranch_execz .LBB5_955
; %bb.954:                              ;   in Loop: Header=BB5_3 Depth=1
	ds_load_b32 v26, v34 offset:3632
	s_wait_dscnt 0x0
	ds_store_b32 v32, v26 offset:3128
	ds_load_b32 v26, v34 offset:3636
	s_wait_dscnt 0x0
	ds_store_b32 v32, v26 offset:3384
.LBB5_955:                              ;   in Loop: Header=BB5_3 Depth=1
	s_or_b32 exec_lo, exec_lo, s64
	s_wait_dscnt 0x0
	s_barrier_signal -1
	s_barrier_wait -1
	s_and_saveexec_b32 s64, s15
	s_cbranch_execz .LBB5_957
; %bb.956:                              ;   in Loop: Header=BB5_3 Depth=1
	ds_load_b64 v[26:27], v3 offset:3376
	ds_load_b32 v78, v3 offset:3120
	s_wait_dscnt 0x0
	v_mul_f32_e32 v27, v78, v27
	s_delay_alu instid0(VALU_DEP_1)
	v_mul_f32_e32 v26, v26, v27
	v_add_nc_u32_e64 v27, 0xc00, 0
	ds_store_2addr_b32 v27, v26, v26 offset0:13 offset1:76
.LBB5_957:                              ;   in Loop: Header=BB5_3 Depth=1
	s_or_b32 exec_lo, exec_lo, s64
	v_mov_b32_e32 v26, 0
	s_wait_dscnt 0x0
	s_barrier_signal -1
	s_barrier_wait -1
	global_wb scope:SCOPE_DEV
	s_wait_storecnt 0x0
	global_inv scope:SCOPE_DEV
	s_and_saveexec_b32 s65, s2
	s_cbranch_execz .LBB5_963
; %bb.958:                              ;   in Loop: Header=BB5_3 Depth=1
	ds_load_b32 v26, v37 offset:3104
	ds_load_b32 v27, v36 offset:3888
	s_wait_dscnt 0x0
	v_fma_f32 v26, v26, v27, 0
	s_and_saveexec_b32 s64, s17
	s_cbranch_execnz .LBB5_1247
; %bb.959:                              ;   in Loop: Header=BB5_3 Depth=1
	s_or_b32 exec_lo, exec_lo, s64
	s_and_saveexec_b32 s64, s18
	s_cbranch_execnz .LBB5_1248
.LBB5_960:                              ;   in Loop: Header=BB5_3 Depth=1
	s_or_b32 exec_lo, exec_lo, s64
	s_and_saveexec_b32 s64, s0
	s_cbranch_execz .LBB5_962
.LBB5_961:                              ;   in Loop: Header=BB5_3 Depth=1
	ds_load_b32 v27, v38 offset:3872
	ds_load_b32 v78, v3 offset:3900
	s_wait_dscnt 0x0
	v_fmac_f32_e32 v26, v27, v78
.LBB5_962:                              ;   in Loop: Header=BB5_3 Depth=1
	s_or_b32 exec_lo, exec_lo, s64
.LBB5_963:                              ;   in Loop: Header=BB5_3 Depth=1
	s_delay_alu instid0(SALU_CYCLE_1)
	s_or_b32 exec_lo, exec_lo, s65
	s_and_saveexec_b32 s64, s95
	s_cbranch_execz .LBB5_965
; %bb.964:                              ;   in Loop: Header=BB5_3 Depth=1
	ds_load_b32 v27, v3 offset:2860
	s_wait_dscnt 0x0
	v_mul_f32_e32 v26, v26, v27
	s_delay_alu instid0(VALU_DEP_1)
	v_xor_b32_e32 v27, 0x80000000, v26
	ds_store_b32 v35, v27
.LBB5_965:                              ;   in Loop: Header=BB5_3 Depth=1
	s_or_b32 exec_lo, exec_lo, s64
	s_wait_loadcnt_dscnt 0x0
	s_barrier_signal -1
	s_barrier_wait -1
	s_and_saveexec_b32 s64, s96
	s_cbranch_execz .LBB5_967
; %bb.966:                              ;   in Loop: Header=BB5_3 Depth=1
	ds_load_b32 v27, v37 offset:2848
	ds_load_b32 v78, v35
	s_wait_dscnt 0x0
	v_fma_f32 v26, -v27, v78, v26
.LBB5_967:                              ;   in Loop: Header=BB5_3 Depth=1
	s_or_b32 exec_lo, exec_lo, s64
	s_barrier_signal -1
	s_barrier_wait -1
	s_and_saveexec_b32 s64, s97
	s_cbranch_execz .LBB5_969
; %bb.968:                              ;   in Loop: Header=BB5_3 Depth=1
	ds_load_b32 v27, v3 offset:2600
	s_wait_dscnt 0x0
	v_mul_f32_e32 v26, v26, v27
	s_delay_alu instid0(VALU_DEP_1)
	v_xor_b32_e32 v27, 0x80000000, v26
	ds_store_b32 v35, v27
.LBB5_969:                              ;   in Loop: Header=BB5_3 Depth=1
	s_or_b32 exec_lo, exec_lo, s64
	s_wait_dscnt 0x0
	s_barrier_signal -1
	s_barrier_wait -1
	s_and_saveexec_b32 s64, s98
	s_cbranch_execz .LBB5_971
; %bb.970:                              ;   in Loop: Header=BB5_3 Depth=1
	ds_load_b32 v27, v37 offset:2592
	ds_load_b32 v78, v35
	s_wait_dscnt 0x0
	v_fma_f32 v26, -v27, v78, v26
.LBB5_971:                              ;   in Loop: Header=BB5_3 Depth=1
	s_or_b32 exec_lo, exec_lo, s64
	s_barrier_signal -1
	s_barrier_wait -1
	s_and_saveexec_b32 s64, s99
	s_cbranch_execz .LBB5_973
; %bb.972:                              ;   in Loop: Header=BB5_3 Depth=1
	ds_load_b32 v27, v3 offset:2340
	s_wait_dscnt 0x0
	v_mul_f32_e32 v26, v26, v27
	s_delay_alu instid0(VALU_DEP_1)
	v_xor_b32_e32 v27, 0x80000000, v26
	ds_store_b32 v35, v27
.LBB5_973:                              ;   in Loop: Header=BB5_3 Depth=1
	s_or_b32 exec_lo, exec_lo, s64
	s_wait_dscnt 0x0
	;; [unrolled: 25-line block ×3, first 2 shown]
	s_barrier_signal -1
	s_barrier_wait -1
	s_barrier_signal -1
	s_barrier_wait -1
	s_and_saveexec_b32 s64, s2
; %bb.978:                              ;   in Loop: Header=BB5_3 Depth=1
	ds_store_b32 v41, v26 offset:3872
; %bb.979:                              ;   in Loop: Header=BB5_3 Depth=1
	s_or_b32 exec_lo, exec_lo, s64
	s_wait_dscnt 0x0
	s_barrier_signal -1
	s_barrier_wait -1
	s_barrier_signal -1
	s_barrier_wait -1
	s_and_saveexec_b32 s64, s101
	s_cbranch_execz .LBB5_981
; %bb.980:                              ;   in Loop: Header=BB5_3 Depth=1
	ds_load_b32 v26, v39 offset:3104
	s_wait_dscnt 0x0
	ds_store_b32 v40, v26 offset:2096
	ds_load_b32 v26, v39 offset:3108
	s_wait_dscnt 0x0
	ds_store_b32 v40, v26 offset:2352
	;; [unrolled: 3-line block ×4, first 2 shown]
.LBB5_981:                              ;   in Loop: Header=BB5_3 Depth=1
	s_or_b32 exec_lo, exec_lo, s64
	s_wait_dscnt 0x0
	s_barrier_signal -1
	s_barrier_wait -1
	s_and_saveexec_b32 s64, s15
	s_cbranch_execz .LBB5_983
; %bb.982:                              ;   in Loop: Header=BB5_3 Depth=1
	ds_load_b64 v[26:27], v3 offset:2856
	ds_load_b32 v78, v3 offset:2600
	s_wait_dscnt 0x0
	v_mul_f32_e32 v27, v78, v27
	s_delay_alu instid0(VALU_DEP_1)
	v_mul_f32_e32 v26, v26, v27
	v_add_nc_u32_e64 v27, 0x800, 0
	ds_store_2addr_b32 v27, v26, v26 offset0:139 offset1:202
.LBB5_983:                              ;   in Loop: Header=BB5_3 Depth=1
	s_or_b32 exec_lo, exec_lo, s64
	v_mov_b32_e32 v26, 0
	s_wait_dscnt 0x0
	s_barrier_signal -1
	s_barrier_wait -1
	global_wb scope:SCOPE_DEV
	s_wait_storecnt 0x0
	global_inv scope:SCOPE_DEV
	s_and_saveexec_b32 s64, s0
	s_cbranch_execz .LBB5_987
; %bb.984:                              ;   in Loop: Header=BB5_3 Depth=1
	ds_load_b32 v26, v31 offset:2592
	ds_load_b32 v27, v30 offset:2856
	s_wait_dscnt 0x0
	v_fma_f32 v26, v26, v27, 0
	s_and_saveexec_b32 s65, s16
	s_cbranch_execz .LBB5_986
; %bb.985:                              ;   in Loop: Header=BB5_3 Depth=1
	ds_load_b32 v27, v40 offset:2848
	ds_load_b32 v78, v3 offset:2860
	s_wait_dscnt 0x0
	v_fmac_f32_e32 v26, v27, v78
.LBB5_986:                              ;   in Loop: Header=BB5_3 Depth=1
	s_or_b32 exec_lo, exec_lo, s65
.LBB5_987:                              ;   in Loop: Header=BB5_3 Depth=1
	s_delay_alu instid0(SALU_CYCLE_1)
	s_or_b32 exec_lo, exec_lo, s64
	s_and_saveexec_b32 s64, s92
	s_cbranch_execz .LBB5_989
; %bb.988:                              ;   in Loop: Header=BB5_3 Depth=1
	ds_load_b32 v27, v3 offset:2340
	s_wait_dscnt 0x0
	v_mul_f32_e32 v26, v26, v27
	s_delay_alu instid0(VALU_DEP_1)
	v_xor_b32_e32 v27, 0x80000000, v26
	ds_store_b32 v5, v27
.LBB5_989:                              ;   in Loop: Header=BB5_3 Depth=1
	s_or_b32 exec_lo, exec_lo, s64
	s_wait_loadcnt_dscnt 0x0
	s_barrier_signal -1
	s_barrier_wait -1
	s_and_saveexec_b32 s64, s93
	s_cbranch_execz .LBB5_991
; %bb.990:                              ;   in Loop: Header=BB5_3 Depth=1
	ds_load_b32 v27, v3 offset:2336
	ds_load_b32 v78, v5
	s_wait_dscnt 0x0
	v_fma_f32 v26, -v27, v78, v26
.LBB5_991:                              ;   in Loop: Header=BB5_3 Depth=1
	s_or_b32 exec_lo, exec_lo, s64
	s_barrier_signal -1
	s_barrier_wait -1
	s_and_saveexec_b32 s64, s93
	s_cbranch_execz .LBB5_993
; %bb.992:                              ;   in Loop: Header=BB5_3 Depth=1
	ds_load_b32 v27, v3 offset:2080
	s_wait_dscnt 0x0
	v_mul_f32_e32 v26, v26, v27
	s_delay_alu instid0(VALU_DEP_1)
	v_xor_b32_e32 v27, 0x80000000, v26
	ds_store_b32 v5, v27
.LBB5_993:                              ;   in Loop: Header=BB5_3 Depth=1
	s_or_b32 exec_lo, exec_lo, s64
	s_wait_dscnt 0x0
	s_barrier_signal -1
	s_barrier_wait -1
	s_barrier_signal -1
	s_barrier_wait -1
	s_and_saveexec_b32 s64, s0
; %bb.994:                              ;   in Loop: Header=BB5_3 Depth=1
	ds_store_b32 v33, v26 offset:2848
; %bb.995:                              ;   in Loop: Header=BB5_3 Depth=1
	s_or_b32 exec_lo, exec_lo, s64
	s_wait_dscnt 0x0
	s_barrier_signal -1
	s_barrier_wait -1
	s_barrier_signal -1
	s_barrier_wait -1
	s_and_saveexec_b32 s64, s94
	s_cbranch_execz .LBB5_997
; %bb.996:                              ;   in Loop: Header=BB5_3 Depth=1
	ds_load_b32 v26, v42 offset:2592
	s_wait_dscnt 0x0
	ds_store_b32 v40, v26 offset:2088
	ds_load_b32 v26, v42 offset:2596
	s_wait_dscnt 0x0
	ds_store_b32 v40, v26 offset:2344
.LBB5_997:                              ;   in Loop: Header=BB5_3 Depth=1
	s_or_b32 exec_lo, exec_lo, s64
	s_wait_dscnt 0x0
	s_barrier_signal -1
	s_barrier_wait -1
	s_and_saveexec_b32 s64, s15
	s_cbranch_execz .LBB5_999
; %bb.998:                              ;   in Loop: Header=BB5_3 Depth=1
	ds_load_b64 v[26:27], v3 offset:2336
	ds_load_b32 v78, v3 offset:2080
	s_wait_dscnt 0x0
	v_mul_f32_e32 v27, v78, v27
	s_delay_alu instid0(VALU_DEP_1)
	v_mul_f32_e32 v26, v26, v27
	v_add_nc_u32_e64 v27, 0x800, 0
	ds_store_2addr_b32 v27, v26, v26 offset0:9 offset1:72
.LBB5_999:                              ;   in Loop: Header=BB5_3 Depth=1
	s_or_b32 exec_lo, exec_lo, s64
	v_mov_b32_e32 v26, 0
	s_wait_dscnt 0x0
	s_barrier_signal -1
	s_barrier_wait -1
	global_wb scope:SCOPE_DEV
	s_wait_storecnt 0x0
	global_inv scope:SCOPE_DEV
	s_and_saveexec_b32 s65, s3
	s_cbranch_execz .LBB5_1009
; %bb.1000:                             ;   in Loop: Header=BB5_3 Depth=1
	ds_load_b32 v26, v45 offset:2048
	ds_load_b32 v27, v44 offset:3872
	s_wait_dscnt 0x0
	v_fma_f32 v26, v26, v27, 0
	s_and_saveexec_b32 s64, s19
	s_cbranch_execnz .LBB5_1249
; %bb.1001:                             ;   in Loop: Header=BB5_3 Depth=1
	s_or_b32 exec_lo, exec_lo, s64
	s_and_saveexec_b32 s64, s20
	s_cbranch_execnz .LBB5_1250
.LBB5_1002:                             ;   in Loop: Header=BB5_3 Depth=1
	s_or_b32 exec_lo, exec_lo, s64
	s_and_saveexec_b32 s64, s21
	s_cbranch_execnz .LBB5_1251
.LBB5_1003:                             ;   in Loop: Header=BB5_3 Depth=1
	s_or_b32 exec_lo, exec_lo, s64
	s_and_saveexec_b32 s64, s22
	s_cbranch_execnz .LBB5_1252
.LBB5_1004:                             ;   in Loop: Header=BB5_3 Depth=1
	s_or_b32 exec_lo, exec_lo, s64
	s_and_saveexec_b32 s64, s23
	s_cbranch_execnz .LBB5_1253
.LBB5_1005:                             ;   in Loop: Header=BB5_3 Depth=1
	s_or_b32 exec_lo, exec_lo, s64
	s_and_saveexec_b32 s64, s2
	s_cbranch_execnz .LBB5_1254
.LBB5_1006:                             ;   in Loop: Header=BB5_3 Depth=1
	s_or_b32 exec_lo, exec_lo, s64
	s_and_saveexec_b32 s64, s18
	s_cbranch_execz .LBB5_1008
.LBB5_1007:                             ;   in Loop: Header=BB5_3 Depth=1
	ds_load_b32 v27, v46 offset:3840
	ds_load_b32 v78, v3 offset:3900
	s_wait_dscnt 0x0
	v_fmac_f32_e32 v26, v27, v78
.LBB5_1008:                             ;   in Loop: Header=BB5_3 Depth=1
	s_or_b32 exec_lo, exec_lo, s64
.LBB5_1009:                             ;   in Loop: Header=BB5_3 Depth=1
	s_delay_alu instid0(SALU_CYCLE_1)
	s_or_b32 exec_lo, exec_lo, s65
	s_and_saveexec_b32 s64, s102
	s_cbranch_execz .LBB5_1011
; %bb.1010:                             ;   in Loop: Header=BB5_3 Depth=1
	ds_load_b32 v27, v3 offset:1820
	s_wait_dscnt 0x0
	v_mul_f32_e32 v26, v26, v27
	s_delay_alu instid0(VALU_DEP_1)
	v_xor_b32_e32 v27, 0x80000000, v26
	ds_store_b32 v43, v27
.LBB5_1011:                             ;   in Loop: Header=BB5_3 Depth=1
	s_or_b32 exec_lo, exec_lo, s64
	s_wait_loadcnt_dscnt 0x0
	s_barrier_signal -1
	s_barrier_wait -1
	s_and_saveexec_b32 s64, s103
	s_cbranch_execz .LBB5_1013
; %bb.1012:                             ;   in Loop: Header=BB5_3 Depth=1
	ds_load_b32 v27, v45 offset:1792
	ds_load_b32 v78, v43
	s_wait_dscnt 0x0
	v_fma_f32 v26, -v27, v78, v26
.LBB5_1013:                             ;   in Loop: Header=BB5_3 Depth=1
	s_or_b32 exec_lo, exec_lo, s64
	s_barrier_signal -1
	s_barrier_wait -1
	s_and_saveexec_b32 s64, s104
	s_cbranch_execz .LBB5_1015
; %bb.1014:                             ;   in Loop: Header=BB5_3 Depth=1
	ds_load_b32 v27, v3 offset:1560
	s_wait_dscnt 0x0
	v_mul_f32_e32 v26, v26, v27
	s_delay_alu instid0(VALU_DEP_1)
	v_xor_b32_e32 v27, 0x80000000, v26
	ds_store_b32 v43, v27
.LBB5_1015:                             ;   in Loop: Header=BB5_3 Depth=1
	s_or_b32 exec_lo, exec_lo, s64
	s_wait_dscnt 0x0
	s_barrier_signal -1
	s_barrier_wait -1
	s_and_saveexec_b32 s64, vcc_hi
	s_cbranch_execz .LBB5_1017
; %bb.1016:                             ;   in Loop: Header=BB5_3 Depth=1
	ds_load_b32 v27, v45 offset:1536
	ds_load_b32 v78, v43
	s_wait_dscnt 0x0
	v_fma_f32 v26, -v27, v78, v26
.LBB5_1017:                             ;   in Loop: Header=BB5_3 Depth=1
	s_or_b32 exec_lo, exec_lo, s64
	s_barrier_signal -1
	s_barrier_wait -1
	s_and_saveexec_b32 s64, s36
	s_cbranch_execz .LBB5_1019
; %bb.1018:                             ;   in Loop: Header=BB5_3 Depth=1
	ds_load_b32 v27, v3 offset:1300
	s_wait_dscnt 0x0
	v_mul_f32_e32 v26, v26, v27
	s_delay_alu instid0(VALU_DEP_1)
	v_xor_b32_e32 v27, 0x80000000, v26
	ds_store_b32 v43, v27
.LBB5_1019:                             ;   in Loop: Header=BB5_3 Depth=1
	s_or_b32 exec_lo, exec_lo, s64
	s_wait_dscnt 0x0
	s_barrier_signal -1
	s_barrier_wait -1
	s_and_saveexec_b32 s64, s37
	s_cbranch_execz .LBB5_1021
; %bb.1020:                             ;   in Loop: Header=BB5_3 Depth=1
	ds_load_b32 v27, v45 offset:1280
	ds_load_b32 v78, v43
	s_wait_dscnt 0x0
	v_fma_f32 v26, -v27, v78, v26
.LBB5_1021:                             ;   in Loop: Header=BB5_3 Depth=1
	s_or_b32 exec_lo, exec_lo, s64
	s_barrier_signal -1
	s_barrier_wait -1
	s_and_saveexec_b32 s64, s38
	s_cbranch_execz .LBB5_1023
; %bb.1022:                             ;   in Loop: Header=BB5_3 Depth=1
	ds_load_b32 v27, v3 offset:1040
	s_wait_dscnt 0x0
	v_mul_f32_e32 v26, v26, v27
	s_delay_alu instid0(VALU_DEP_1)
	v_xor_b32_e32 v27, 0x80000000, v26
	ds_store_b32 v43, v27
.LBB5_1023:                             ;   in Loop: Header=BB5_3 Depth=1
	s_or_b32 exec_lo, exec_lo, s64
	s_wait_dscnt 0x0
	s_barrier_signal -1
	s_barrier_wait -1
	s_and_saveexec_b32 s64, s39
	;; [unrolled: 25-line block ×5, first 2 shown]
	s_cbranch_execz .LBB5_1037
; %bb.1036:                             ;   in Loop: Header=BB5_3 Depth=1
	ds_load_b32 v27, v3 offset:256
	ds_load_b32 v78, v43
	s_wait_dscnt 0x0
	v_fma_f32 v26, -v27, v78, v26
.LBB5_1037:                             ;   in Loop: Header=BB5_3 Depth=1
	s_or_b32 exec_lo, exec_lo, s64
	s_barrier_signal -1
	s_barrier_wait -1
	s_and_saveexec_b32 s64, s45
	s_cbranch_execz .LBB5_1039
; %bb.1038:                             ;   in Loop: Header=BB5_3 Depth=1
	ds_load_b32 v27, v3
	s_wait_dscnt 0x0
	v_mul_f32_e32 v26, v26, v27
	s_delay_alu instid0(VALU_DEP_1)
	v_xor_b32_e32 v27, 0x80000000, v26
	ds_store_b32 v43, v27
.LBB5_1039:                             ;   in Loop: Header=BB5_3 Depth=1
	s_or_b32 exec_lo, exec_lo, s64
	s_wait_dscnt 0x0
	s_barrier_signal -1
	s_barrier_wait -1
	s_barrier_signal -1
	s_barrier_wait -1
	s_and_saveexec_b32 s64, s3
; %bb.1040:                             ;   in Loop: Header=BB5_3 Depth=1
	ds_store_b32 v48, v26 offset:3840
; %bb.1041:                             ;   in Loop: Header=BB5_3 Depth=1
	s_or_b32 exec_lo, exec_lo, s64
	s_wait_dscnt 0x0
	s_barrier_signal -1
	s_barrier_wait -1
	s_barrier_signal -1
	s_barrier_wait -1
	s_and_saveexec_b32 s64, s46
	s_cbranch_execz .LBB5_1043
; %bb.1042:                             ;   in Loop: Header=BB5_3 Depth=1
	ds_load_b32 v26, v47 offset:2048
	s_wait_dscnt 0x0
	ds_store_b32 v49, v26 offset:32
	ds_load_b32 v26, v47 offset:2052
	s_wait_dscnt 0x0
	ds_store_b32 v49, v26 offset:288
	;; [unrolled: 3-line block ×8, first 2 shown]
.LBB5_1043:                             ;   in Loop: Header=BB5_3 Depth=1
	s_or_b32 exec_lo, exec_lo, s64
	s_wait_dscnt 0x0
	s_barrier_signal -1
	s_barrier_wait -1
	s_and_saveexec_b32 s64, s15
	s_cbranch_execz .LBB5_1045
; %bb.1044:                             ;   in Loop: Header=BB5_3 Depth=1
	ds_load_b64 v[26:27], v3 offset:1816
	ds_load_b32 v78, v3 offset:1560
	s_wait_dscnt 0x0
	v_mul_f32_e32 v27, v78, v27
	s_delay_alu instid0(VALU_DEP_1)
	v_mul_f32_e32 v26, v26, v27
	v_add_nc_u32_e64 v27, 0x400, 0
	ds_store_2addr_b32 v27, v26, v26 offset0:135 offset1:198
.LBB5_1045:                             ;   in Loop: Header=BB5_3 Depth=1
	s_or_b32 exec_lo, exec_lo, s64
	v_mov_b32_e32 v26, 0
	s_wait_dscnt 0x0
	s_barrier_signal -1
	s_barrier_wait -1
	global_wb scope:SCOPE_DEV
	s_wait_storecnt 0x0
	global_inv scope:SCOPE_DEV
	s_and_saveexec_b32 s64, s0
	s_cbranch_execz .LBB5_1049
; %bb.1046:                             ;   in Loop: Header=BB5_3 Depth=1
	ds_load_b32 v26, v31 offset:1552
	ds_load_b32 v27, v30 offset:1816
	s_wait_dscnt 0x0
	v_fma_f32 v26, v26, v27, 0
	s_and_saveexec_b32 s65, s16
	s_cbranch_execz .LBB5_1048
; %bb.1047:                             ;   in Loop: Header=BB5_3 Depth=1
	ds_load_b32 v27, v49 offset:1808
	ds_load_b32 v78, v3 offset:1820
	s_wait_dscnt 0x0
	v_fmac_f32_e32 v26, v27, v78
.LBB5_1048:                             ;   in Loop: Header=BB5_3 Depth=1
	s_or_b32 exec_lo, exec_lo, s65
.LBB5_1049:                             ;   in Loop: Header=BB5_3 Depth=1
	s_delay_alu instid0(SALU_CYCLE_1)
	s_or_b32 exec_lo, exec_lo, s64
	s_and_saveexec_b32 s64, s92
	s_cbranch_execz .LBB5_1051
; %bb.1050:                             ;   in Loop: Header=BB5_3 Depth=1
	ds_load_b32 v27, v3 offset:1300
	s_wait_dscnt 0x0
	v_mul_f32_e32 v26, v26, v27
	s_delay_alu instid0(VALU_DEP_1)
	v_xor_b32_e32 v27, 0x80000000, v26
	ds_store_b32 v5, v27
.LBB5_1051:                             ;   in Loop: Header=BB5_3 Depth=1
	s_or_b32 exec_lo, exec_lo, s64
	s_wait_loadcnt_dscnt 0x0
	s_barrier_signal -1
	s_barrier_wait -1
	s_and_saveexec_b32 s64, s93
	s_cbranch_execz .LBB5_1053
; %bb.1052:                             ;   in Loop: Header=BB5_3 Depth=1
	ds_load_b32 v27, v3 offset:1296
	ds_load_b32 v78, v5
	s_wait_dscnt 0x0
	v_fma_f32 v26, -v27, v78, v26
.LBB5_1053:                             ;   in Loop: Header=BB5_3 Depth=1
	s_or_b32 exec_lo, exec_lo, s64
	s_barrier_signal -1
	s_barrier_wait -1
	s_and_saveexec_b32 s64, s93
	s_cbranch_execz .LBB5_1055
; %bb.1054:                             ;   in Loop: Header=BB5_3 Depth=1
	ds_load_b32 v27, v3 offset:1040
	s_wait_dscnt 0x0
	v_mul_f32_e32 v26, v26, v27
	s_delay_alu instid0(VALU_DEP_1)
	v_xor_b32_e32 v27, 0x80000000, v26
	ds_store_b32 v5, v27
.LBB5_1055:                             ;   in Loop: Header=BB5_3 Depth=1
	s_or_b32 exec_lo, exec_lo, s64
	s_wait_dscnt 0x0
	s_barrier_signal -1
	s_barrier_wait -1
	s_barrier_signal -1
	s_barrier_wait -1
	s_and_saveexec_b32 s64, s0
; %bb.1056:                             ;   in Loop: Header=BB5_3 Depth=1
	ds_store_b32 v33, v26 offset:1808
; %bb.1057:                             ;   in Loop: Header=BB5_3 Depth=1
	s_or_b32 exec_lo, exec_lo, s64
	s_wait_dscnt 0x0
	s_barrier_signal -1
	s_barrier_wait -1
	s_barrier_signal -1
	s_barrier_wait -1
	s_and_saveexec_b32 s64, s94
	s_cbranch_execz .LBB5_1059
; %bb.1058:                             ;   in Loop: Header=BB5_3 Depth=1
	ds_load_b32 v26, v54 offset:1552
	s_wait_dscnt 0x0
	ds_store_b32 v49, v26 offset:1048
	ds_load_b32 v26, v54 offset:1556
	s_wait_dscnt 0x0
	ds_store_b32 v49, v26 offset:1304
.LBB5_1059:                             ;   in Loop: Header=BB5_3 Depth=1
	s_or_b32 exec_lo, exec_lo, s64
	s_wait_dscnt 0x0
	s_barrier_signal -1
	s_barrier_wait -1
	s_and_saveexec_b32 s64, s15
	s_cbranch_execz .LBB5_1061
; %bb.1060:                             ;   in Loop: Header=BB5_3 Depth=1
	ds_load_b64 v[26:27], v3 offset:1296
	ds_load_b32 v78, v3 offset:1040
	s_wait_dscnt 0x0
	v_mul_f32_e32 v27, v78, v27
	s_delay_alu instid0(VALU_DEP_1)
	v_mul_f32_e32 v26, v26, v27
	v_add_nc_u32_e64 v27, 0x400, 0
	ds_store_2addr_b32 v27, v26, v26 offset0:5 offset1:68
.LBB5_1061:                             ;   in Loop: Header=BB5_3 Depth=1
	s_or_b32 exec_lo, exec_lo, s64
	v_mov_b32_e32 v26, 0
	s_wait_dscnt 0x0
	s_barrier_signal -1
	s_barrier_wait -1
	global_wb scope:SCOPE_DEV
	s_wait_storecnt 0x0
	global_inv scope:SCOPE_DEV
	s_and_saveexec_b32 s65, s2
	s_cbranch_execz .LBB5_1067
; %bb.1062:                             ;   in Loop: Header=BB5_3 Depth=1
	ds_load_b32 v26, v37 offset:1024
	ds_load_b32 v27, v36 offset:1808
	s_wait_dscnt 0x0
	v_fma_f32 v26, v26, v27, 0
	s_and_saveexec_b32 s64, s17
	s_cbranch_execnz .LBB5_1255
; %bb.1063:                             ;   in Loop: Header=BB5_3 Depth=1
	s_or_b32 exec_lo, exec_lo, s64
	s_and_saveexec_b32 s64, s18
	s_cbranch_execnz .LBB5_1256
.LBB5_1064:                             ;   in Loop: Header=BB5_3 Depth=1
	s_or_b32 exec_lo, exec_lo, s64
	s_and_saveexec_b32 s64, s0
	s_cbranch_execz .LBB5_1066
.LBB5_1065:                             ;   in Loop: Header=BB5_3 Depth=1
	ds_load_b32 v27, v55 offset:1792
	ds_load_b32 v78, v3 offset:1820
	s_wait_dscnt 0x0
	v_fmac_f32_e32 v26, v27, v78
.LBB5_1066:                             ;   in Loop: Header=BB5_3 Depth=1
	s_or_b32 exec_lo, exec_lo, s64
.LBB5_1067:                             ;   in Loop: Header=BB5_3 Depth=1
	s_delay_alu instid0(SALU_CYCLE_1)
	s_or_b32 exec_lo, exec_lo, s65
	s_and_saveexec_b32 s64, s95
	s_cbranch_execz .LBB5_1069
; %bb.1068:                             ;   in Loop: Header=BB5_3 Depth=1
	ds_load_b32 v27, v3 offset:780
	s_wait_dscnt 0x0
	v_mul_f32_e32 v26, v26, v27
	s_delay_alu instid0(VALU_DEP_1)
	v_xor_b32_e32 v27, 0x80000000, v26
	ds_store_b32 v35, v27
.LBB5_1069:                             ;   in Loop: Header=BB5_3 Depth=1
	s_or_b32 exec_lo, exec_lo, s64
	s_wait_loadcnt_dscnt 0x0
	s_barrier_signal -1
	s_barrier_wait -1
	s_and_saveexec_b32 s64, s96
	s_cbranch_execz .LBB5_1071
; %bb.1070:                             ;   in Loop: Header=BB5_3 Depth=1
	ds_load_b32 v27, v37 offset:768
	ds_load_b32 v78, v35
	s_wait_dscnt 0x0
	v_fma_f32 v26, -v27, v78, v26
.LBB5_1071:                             ;   in Loop: Header=BB5_3 Depth=1
	s_or_b32 exec_lo, exec_lo, s64
	s_barrier_signal -1
	s_barrier_wait -1
	s_and_saveexec_b32 s64, s97
	s_cbranch_execz .LBB5_1073
; %bb.1072:                             ;   in Loop: Header=BB5_3 Depth=1
	ds_load_b32 v27, v3 offset:520
	s_wait_dscnt 0x0
	v_mul_f32_e32 v26, v26, v27
	s_delay_alu instid0(VALU_DEP_1)
	v_xor_b32_e32 v27, 0x80000000, v26
	ds_store_b32 v35, v27
.LBB5_1073:                             ;   in Loop: Header=BB5_3 Depth=1
	s_or_b32 exec_lo, exec_lo, s64
	s_wait_dscnt 0x0
	s_barrier_signal -1
	s_barrier_wait -1
	s_and_saveexec_b32 s64, s98
	s_cbranch_execz .LBB5_1075
; %bb.1074:                             ;   in Loop: Header=BB5_3 Depth=1
	ds_load_b32 v27, v37 offset:512
	ds_load_b32 v78, v35
	s_wait_dscnt 0x0
	v_fma_f32 v26, -v27, v78, v26
.LBB5_1075:                             ;   in Loop: Header=BB5_3 Depth=1
	s_or_b32 exec_lo, exec_lo, s64
	s_barrier_signal -1
	s_barrier_wait -1
	s_and_saveexec_b32 s64, s99
	s_cbranch_execz .LBB5_1077
; %bb.1076:                             ;   in Loop: Header=BB5_3 Depth=1
	ds_load_b32 v27, v3 offset:260
	s_wait_dscnt 0x0
	v_mul_f32_e32 v26, v26, v27
	s_delay_alu instid0(VALU_DEP_1)
	v_xor_b32_e32 v27, 0x80000000, v26
	ds_store_b32 v35, v27
.LBB5_1077:                             ;   in Loop: Header=BB5_3 Depth=1
	s_or_b32 exec_lo, exec_lo, s64
	s_wait_dscnt 0x0
	s_barrier_signal -1
	s_barrier_wait -1
	s_and_saveexec_b32 s64, s100
	s_cbranch_execz .LBB5_1079
; %bb.1078:                             ;   in Loop: Header=BB5_3 Depth=1
	ds_load_b32 v27, v3 offset:256
	ds_load_b32 v78, v35
	s_wait_dscnt 0x0
	v_fma_f32 v26, -v27, v78, v26
.LBB5_1079:                             ;   in Loop: Header=BB5_3 Depth=1
	s_or_b32 exec_lo, exec_lo, s64
	s_barrier_signal -1
	s_barrier_wait -1
	s_and_saveexec_b32 s64, s100
	s_cbranch_execz .LBB5_1081
; %bb.1080:                             ;   in Loop: Header=BB5_3 Depth=1
	ds_load_b32 v27, v3
	s_wait_dscnt 0x0
	v_mul_f32_e32 v26, v26, v27
	s_delay_alu instid0(VALU_DEP_1)
	v_xor_b32_e32 v27, 0x80000000, v26
	ds_store_b32 v35, v27
.LBB5_1081:                             ;   in Loop: Header=BB5_3 Depth=1
	s_or_b32 exec_lo, exec_lo, s64
	s_wait_dscnt 0x0
	s_barrier_signal -1
	s_barrier_wait -1
	s_barrier_signal -1
	s_barrier_wait -1
	s_and_saveexec_b32 s64, s2
; %bb.1082:                             ;   in Loop: Header=BB5_3 Depth=1
	ds_store_b32 v41, v26 offset:1792
; %bb.1083:                             ;   in Loop: Header=BB5_3 Depth=1
	s_or_b32 exec_lo, exec_lo, s64
	s_wait_dscnt 0x0
	s_barrier_signal -1
	s_barrier_wait -1
	s_barrier_signal -1
	s_barrier_wait -1
	s_and_saveexec_b32 s64, s101
	s_cbranch_execz .LBB5_1085
; %bb.1084:                             ;   in Loop: Header=BB5_3 Depth=1
	ds_load_b32 v26, v56 offset:1024
	s_wait_dscnt 0x0
	ds_store_b32 v57, v26 offset:16
	ds_load_b32 v26, v56 offset:1028
	s_wait_dscnt 0x0
	ds_store_b32 v57, v26 offset:272
	;; [unrolled: 3-line block ×4, first 2 shown]
.LBB5_1085:                             ;   in Loop: Header=BB5_3 Depth=1
	s_or_b32 exec_lo, exec_lo, s64
	s_wait_dscnt 0x0
	s_barrier_signal -1
	s_barrier_wait -1
	s_and_saveexec_b32 s64, s15
	s_cbranch_execz .LBB5_1087
; %bb.1086:                             ;   in Loop: Header=BB5_3 Depth=1
	ds_load_b64 v[26:27], v3 offset:776
	ds_load_b32 v78, v3 offset:520
	s_wait_dscnt 0x0
	v_mul_f32_e32 v27, v78, v27
	s_delay_alu instid0(VALU_DEP_1)
	v_mul_f32_e32 v26, v26, v27
	ds_store_2addr_b32 v3, v26, v26 offset0:131 offset1:194
.LBB5_1087:                             ;   in Loop: Header=BB5_3 Depth=1
	s_or_b32 exec_lo, exec_lo, s64
	v_mov_b32_e32 v26, 0
	s_wait_dscnt 0x0
	s_barrier_signal -1
	s_barrier_wait -1
	global_wb scope:SCOPE_DEV
	s_wait_storecnt 0x0
	global_inv scope:SCOPE_DEV
	s_and_saveexec_b32 s64, s0
	s_cbranch_execz .LBB5_1091
; %bb.1088:                             ;   in Loop: Header=BB5_3 Depth=1
	ds_load_b32 v26, v31 offset:512
	ds_load_b32 v27, v30 offset:776
	s_wait_dscnt 0x0
	v_fma_f32 v26, v26, v27, 0
	s_and_saveexec_b32 s65, s16
	s_cbranch_execz .LBB5_1090
; %bb.1089:                             ;   in Loop: Header=BB5_3 Depth=1
	ds_load_b32 v27, v57 offset:768
	ds_load_b32 v78, v3 offset:780
	s_wait_dscnt 0x0
	v_fmac_f32_e32 v26, v27, v78
.LBB5_1090:                             ;   in Loop: Header=BB5_3 Depth=1
	s_or_b32 exec_lo, exec_lo, s65
.LBB5_1091:                             ;   in Loop: Header=BB5_3 Depth=1
	s_delay_alu instid0(SALU_CYCLE_1)
	s_or_b32 exec_lo, exec_lo, s64
	s_and_saveexec_b32 s64, s92
	s_cbranch_execz .LBB5_1093
; %bb.1092:                             ;   in Loop: Header=BB5_3 Depth=1
	ds_load_b32 v27, v3 offset:260
	s_wait_dscnt 0x0
	v_mul_f32_e32 v26, v26, v27
	s_delay_alu instid0(VALU_DEP_1)
	v_xor_b32_e32 v27, 0x80000000, v26
	ds_store_b32 v5, v27
.LBB5_1093:                             ;   in Loop: Header=BB5_3 Depth=1
	s_or_b32 exec_lo, exec_lo, s64
	s_wait_loadcnt_dscnt 0x0
	s_barrier_signal -1
	s_barrier_wait -1
	s_and_saveexec_b32 s64, s93
	s_cbranch_execz .LBB5_1095
; %bb.1094:                             ;   in Loop: Header=BB5_3 Depth=1
	ds_load_b32 v27, v3 offset:256
	ds_load_b32 v78, v5
	s_wait_dscnt 0x0
	v_fma_f32 v26, -v27, v78, v26
.LBB5_1095:                             ;   in Loop: Header=BB5_3 Depth=1
	s_or_b32 exec_lo, exec_lo, s64
	s_barrier_signal -1
	s_barrier_wait -1
	s_and_saveexec_b32 s64, s93
	s_cbranch_execz .LBB5_1097
; %bb.1096:                             ;   in Loop: Header=BB5_3 Depth=1
	ds_load_b32 v27, v3
	s_wait_dscnt 0x0
	v_mul_f32_e32 v26, v26, v27
	s_delay_alu instid0(VALU_DEP_1)
	v_xor_b32_e32 v27, 0x80000000, v26
	ds_store_b32 v5, v27
.LBB5_1097:                             ;   in Loop: Header=BB5_3 Depth=1
	s_or_b32 exec_lo, exec_lo, s64
	s_wait_dscnt 0x0
	s_barrier_signal -1
	s_barrier_wait -1
	s_barrier_signal -1
	s_barrier_wait -1
	s_and_saveexec_b32 s64, s0
; %bb.1098:                             ;   in Loop: Header=BB5_3 Depth=1
	ds_store_b32 v33, v26 offset:768
; %bb.1099:                             ;   in Loop: Header=BB5_3 Depth=1
	s_or_b32 exec_lo, exec_lo, s64
	s_wait_dscnt 0x0
	s_barrier_signal -1
	s_barrier_wait -1
	s_barrier_signal -1
	s_barrier_wait -1
	s_and_saveexec_b32 s64, s94
	s_cbranch_execz .LBB5_1101
; %bb.1100:                             ;   in Loop: Header=BB5_3 Depth=1
	ds_load_b32 v26, v58 offset:512
	s_wait_dscnt 0x0
	ds_store_b32 v57, v26 offset:8
	ds_load_b32 v26, v58 offset:516
	s_wait_dscnt 0x0
	ds_store_b32 v57, v26 offset:264
.LBB5_1101:                             ;   in Loop: Header=BB5_3 Depth=1
	s_or_b32 exec_lo, exec_lo, s64
	s_wait_dscnt 0x0
	s_barrier_signal -1
	s_barrier_wait -1
	s_and_saveexec_b32 s64, s15
	s_cbranch_execz .LBB5_1103
; %bb.1102:                             ;   in Loop: Header=BB5_3 Depth=1
	ds_load_b64 v[26:27], v3 offset:256
	ds_load_b32 v78, v3
	s_wait_dscnt 0x0
	v_mul_f32_e32 v27, v78, v27
	s_delay_alu instid0(VALU_DEP_1)
	v_mul_f32_e32 v26, v26, v27
	ds_store_2addr_b32 v3, v26, v26 offset0:1 offset1:64
.LBB5_1103:                             ;   in Loop: Header=BB5_3 Depth=1
	s_or_b32 exec_lo, exec_lo, s64
.LBB5_1104:                             ;   in Loop: Header=BB5_3 Depth=1
	v_readlane_b32 s82, v87, 3
	v_readlane_b32 s83, v87, 4
	s_mul_u64 s[64:65], s[76:77], s[80:81]
	v_mov_b32_e32 v78, 0
	s_lshl_b64 s[64:65], s[64:65], 2
	s_wait_dscnt 0x0
	s_add_nc_u64 s[82:83], s[82:83], s[64:65]
	s_barrier_signal -1
	s_barrier_wait -1
	s_and_saveexec_b32 s64, s73
	s_cbranch_execz .LBB5_1106
; %bb.1105:                             ;   in Loop: Header=BB5_3 Depth=1
	v_lshl_add_u64 v[26:27], v[0:1], 2, s[82:83]
	global_load_b32 v26, v[26:27], off
	s_wait_loadcnt 0x0
	v_mul_f32_e64 v78, v26, -v2
.LBB5_1106:                             ;   in Loop: Header=BB5_3 Depth=1
	s_or_b32 exec_lo, exec_lo, s64
	s_delay_alu instid0(SALU_CYCLE_1)
	s_and_not1_b32 vcc_lo, exec_lo, s70
	s_cbranch_vccnz .LBB5_1132
; %bb.1107:                             ;   in Loop: Header=BB5_3 Depth=1
	v_mov_b32_e32 v79, -1
	s_lshl_b64 s[64:65], s[80:81], 2
	s_mov_b32 s71, 0
	s_add_nc_u64 s[84:85], s[78:79], s[64:65]
	s_branch .LBB5_1110
.LBB5_1108:                             ;   in Loop: Header=BB5_1110 Depth=2
	s_wait_xcnt 0x0
	ds_load_b32 v26, v62 offset:192
	s_wait_loadcnt_dscnt 0x0
	v_fmac_f32_e32 v78, v2, v26
.LBB5_1109:                             ;   in Loop: Header=BB5_1110 Depth=2
	s_or_b32 exec_lo, exec_lo, s64
	s_add_co_i32 s71, s71, 1
	s_delay_alu instid0(SALU_CYCLE_1)
	s_cmp_eq_u32 s71, s88
	s_cbranch_scc1 .LBB5_1132
.LBB5_1110:                             ;   Parent Loop BB5_3 Depth=1
                                        ; =>  This Loop Header: Depth=2
                                        ;       Child Loop BB5_1112 Depth 3
	v_cmp_gt_i32_e32 vcc_lo, s71, v79
	s_and_b32 s65, s59, vcc_lo
	s_delay_alu instid0(SALU_CYCLE_1)
	s_and_saveexec_b32 s64, s65
	s_cbranch_execz .LBB5_1113
; %bb.1111:                             ;   in Loop: Header=BB5_1110 Depth=2
	global_load_b32 v79, v3, s[84:85]
	s_wait_loadcnt 0x0
	v_cmp_le_i32_e32 vcc_lo, s71, v79
	s_cbranch_vccnz .LBB5_1113
.LBB5_1112:                             ;   Parent Loop BB5_3 Depth=1
                                        ;     Parent Loop BB5_1110 Depth=2
                                        ; =>    This Inner Loop Header: Depth=3
	global_wb scope:SCOPE_DEV
	s_wait_storecnt 0x0
	global_inv scope:SCOPE_DEV
	global_load_b32 v79, v3, s[84:85]
	s_wait_loadcnt 0x0
	v_cmp_gt_i32_e32 vcc_lo, s71, v79
	s_cbranch_vccnz .LBB5_1112
.LBB5_1113:                             ;   in Loop: Header=BB5_1110 Depth=2
	s_or_b32 exec_lo, exec_lo, s64
	s_lshl_b32 s65, s71, 6
	global_wb scope:SCOPE_DEV
	s_wait_storecnt 0x0
	global_inv scope:SCOPE_DEV
	s_wait_loadcnt 0x0
	s_barrier_signal -1
	s_barrier_wait -1
	s_and_saveexec_b32 s64, s60
	s_cbranch_execz .LBB5_1117
; %bb.1114:                             ;   in Loop: Header=BB5_1110 Depth=2
	v_dual_mov_b32 v26, 0 :: v_dual_bitop2_b32 v2, s65, v6 bitop3:0x54
	s_mov_b32 s89, exec_lo
	s_delay_alu instid0(VALU_DEP_1)
	v_cmpx_gt_i32_e64 s87, v2
	s_cbranch_execz .LBB5_1116
; %bb.1115:                             ;   in Loop: Header=BB5_1110 Depth=2
	v_mul_u64_e32 v[26:27], s[74:75], v[2:3]
	s_delay_alu instid0(VALU_DEP_1)
	v_lshl_add_u64 v[26:27], v[26:27], 2, s[82:83]
	global_load_b32 v26, v[26:27], off
.LBB5_1116:                             ;   in Loop: Header=BB5_1110 Depth=2
	s_wait_xcnt 0x0
	s_or_b32 exec_lo, exec_lo, s89
	s_wait_loadcnt 0x0
	ds_store_b32 v63, v26
.LBB5_1117:                             ;   in Loop: Header=BB5_1110 Depth=2
	s_or_b32 exec_lo, exec_lo, s64
	v_add_nc_u32_e32 v2, s65, v28
	v_cmp_ne_u32_e32 vcc_lo, s71, v29
	s_wait_dscnt 0x0
	s_barrier_signal -1
	s_barrier_wait -1
	v_cmp_gt_i32_e64 s65, s87, v2
	v_lshl_add_u64 v[26:27], v[2:3], 2, v[24:25]
	v_cndmask_b32_e64 v80, 0, 1, vcc_lo
	s_and_b32 s65, s65, s6
	s_delay_alu instid0(SALU_CYCLE_1)
	s_and_saveexec_b32 s64, s65
	s_cbranch_execz .LBB5_1121
; %bb.1118:                             ;   in Loop: Header=BB5_1110 Depth=2
	v_mov_b32_e32 v81, v74
	s_and_not1_b32 vcc_lo, exec_lo, vcc_lo
	s_cbranch_vccnz .LBB5_1120
; %bb.1119:                             ;   in Loop: Header=BB5_1110 Depth=2
	global_load_b32 v81, v[26:27], off
.LBB5_1120:                             ;   in Loop: Header=BB5_1110 Depth=2
	ds_load_b32 v82, v62
	s_wait_loadcnt_dscnt 0x0
	v_fmac_f32_e32 v78, v81, v82
.LBB5_1121:                             ;   in Loop: Header=BB5_1110 Depth=2
	s_or_b32 exec_lo, exec_lo, s64
	v_add_nc_u32_e32 v81, 16, v2
	s_delay_alu instid0(VALU_DEP_1) | instskip(SKIP_1) | instid1(SALU_CYCLE_1)
	v_cmp_gt_i32_e32 vcc_lo, s87, v81
	s_and_b32 s65, vcc_lo, s6
	s_and_saveexec_b32 s64, s65
	s_cbranch_execz .LBB5_1125
; %bb.1122:                             ;   in Loop: Header=BB5_1110 Depth=2
	v_cmp_ne_u32_e32 vcc_lo, 1, v80
	v_mov_b32_e32 v81, v75
	s_cbranch_vccnz .LBB5_1124
; %bb.1123:                             ;   in Loop: Header=BB5_1110 Depth=2
	global_load_b32 v81, v[26:27], off offset:64
.LBB5_1124:                             ;   in Loop: Header=BB5_1110 Depth=2
	ds_load_b32 v82, v62 offset:64
	s_wait_loadcnt_dscnt 0x0
	v_fmac_f32_e32 v78, v81, v82
.LBB5_1125:                             ;   in Loop: Header=BB5_1110 Depth=2
	s_or_b32 exec_lo, exec_lo, s64
	v_add_nc_u32_e32 v81, 32, v2
	s_delay_alu instid0(VALU_DEP_1) | instskip(SKIP_1) | instid1(SALU_CYCLE_1)
	v_cmp_gt_i32_e32 vcc_lo, s87, v81
	s_and_b32 s65, vcc_lo, s6
	s_and_saveexec_b32 s64, s65
	s_cbranch_execz .LBB5_1129
; %bb.1126:                             ;   in Loop: Header=BB5_1110 Depth=2
	v_cmp_ne_u32_e32 vcc_lo, 1, v80
	v_mov_b32_e32 v81, v76
	s_cbranch_vccnz .LBB5_1128
; %bb.1127:                             ;   in Loop: Header=BB5_1110 Depth=2
	global_load_b32 v81, v[26:27], off offset:128
.LBB5_1128:                             ;   in Loop: Header=BB5_1110 Depth=2
	ds_load_b32 v82, v62 offset:128
	s_wait_loadcnt_dscnt 0x0
	v_fmac_f32_e32 v78, v81, v82
.LBB5_1129:                             ;   in Loop: Header=BB5_1110 Depth=2
	s_or_b32 exec_lo, exec_lo, s64
	v_add_nc_u32_e32 v2, 48, v2
	s_delay_alu instid0(VALU_DEP_1) | instskip(SKIP_1) | instid1(SALU_CYCLE_1)
	v_cmp_gt_i32_e32 vcc_lo, s87, v2
	s_and_b32 s65, vcc_lo, s6
	s_and_saveexec_b32 s64, s65
	s_cbranch_execz .LBB5_1109
; %bb.1130:                             ;   in Loop: Header=BB5_1110 Depth=2
	v_cmp_ne_u32_e32 vcc_lo, 1, v80
	v_mov_b32_e32 v2, v77
	s_cbranch_vccnz .LBB5_1108
; %bb.1131:                             ;   in Loop: Header=BB5_1110 Depth=2
	global_load_b32 v2, v[26:27], off offset:192
	s_branch .LBB5_1108
.LBB5_1132:                             ;   in Loop: Header=BB5_3 Depth=1
	ds_store_b32 v64, v78
	s_wait_dscnt 0x0
	s_barrier_signal -1
	s_barrier_wait -1
	s_and_saveexec_b32 s65, s1
	s_cbranch_execz .LBB5_1134
; %bb.1133:                             ;   in Loop: Header=BB5_3 Depth=1
	ds_load_2addr_stride64_b32 v[24:25], v65 offset0:1 offset1:2
	ds_load_2addr_stride64_b32 v[26:27], v65 offset0:3 offset1:4
	ds_load_2addr_stride64_b32 v[80:81], v65 offset0:5 offset1:6
	ds_load_2addr_stride64_b32 v[82:83], v65 offset0:7 offset1:8
	v_readlane_b32 s64, v85, 4
	s_wait_dscnt 0x3
	v_add_f32_e32 v2, v78, v24
	s_delay_alu instid0(VALU_DEP_1) | instskip(SKIP_3) | instid1(VALU_DEP_1)
	v_add_f32_e32 v2, v2, v25
	ds_load_2addr_stride64_b32 v[24:25], v65 offset0:9 offset1:10
	s_wait_dscnt 0x3
	v_add_f32_e32 v2, v2, v26
	v_add_f32_e32 v2, v2, v27
	ds_load_2addr_stride64_b32 v[26:27], v65 offset0:11 offset1:12
	s_wait_dscnt 0x3
	v_add_f32_e32 v2, v2, v80
	ds_load_2addr_stride64_b32 v[78:79], v65 offset0:13 offset1:14
	ds_load_b32 v80, v65 offset:3840
	v_add_f32_e32 v2, v2, v81
	s_wait_dscnt 0x4
	s_delay_alu instid0(VALU_DEP_1) | instskip(NEXT) | instid1(VALU_DEP_1)
	v_add_f32_e32 v2, v2, v82
	v_add_f32_e32 v2, v2, v83
	s_wait_dscnt 0x3
	s_delay_alu instid0(VALU_DEP_1) | instskip(NEXT) | instid1(VALU_DEP_1)
	v_add_f32_e32 v2, v2, v24
	;; [unrolled: 4-line block ×5, first 2 shown]
	v_cndmask_b32_e64 v78, -v2, 0, s64
.LBB5_1134:                             ;   in Loop: Header=BB5_3 Depth=1
	s_or_b32 exec_lo, exec_lo, s65
	s_delay_alu instid0(SALU_CYCLE_1)
	s_and_not1_b32 vcc_lo, exec_lo, s91
	s_cbranch_vccnz .LBB5_1144
; %bb.1135:                             ;   in Loop: Header=BB5_3 Depth=1
	s_and_saveexec_b32 s64, s1
; %bb.1136:                             ;   in Loop: Header=BB5_3 Depth=1
	ds_store_b32 v67, v78
; %bb.1137:                             ;   in Loop: Header=BB5_3 Depth=1
	s_or_b32 exec_lo, exec_lo, s64
	v_mov_b32_e32 v2, 0
	s_wait_dscnt 0x0
	s_barrier_signal -1
	s_barrier_wait -1
	s_and_saveexec_b32 s64, s7
	s_cbranch_execnz .LBB5_1199
; %bb.1138:                             ;   in Loop: Header=BB5_3 Depth=1
	s_or_b32 exec_lo, exec_lo, s64
	s_and_saveexec_b32 s64, s8
	s_cbranch_execnz .LBB5_1200
.LBB5_1139:                             ;   in Loop: Header=BB5_3 Depth=1
	s_or_b32 exec_lo, exec_lo, s64
	s_and_saveexec_b32 s64, s9
	s_cbranch_execnz .LBB5_1201
.LBB5_1140:                             ;   in Loop: Header=BB5_3 Depth=1
	s_or_b32 exec_lo, exec_lo, s64
	s_and_saveexec_b32 s64, s10
	s_cbranch_execz .LBB5_1142
.LBB5_1141:                             ;   in Loop: Header=BB5_3 Depth=1
	ds_load_b32 v24, v66 offset:12288
	ds_load_b32 v25, v62 offset:192
	s_wait_dscnt 0x0
	v_fmac_f32_e32 v2, v24, v25
.LBB5_1142:                             ;   in Loop: Header=BB5_3 Depth=1
	s_or_b32 exec_lo, exec_lo, s64
	s_mov_b32 s71, 0
	s_mov_b32 s65, 0
	ds_store_b32 v64, v2
	s_wait_dscnt 0x0
	s_barrier_signal -1
	s_barrier_wait -1
                                        ; implicit-def: $vgpr24
	s_and_saveexec_b32 s84, s1
	s_cbranch_execz .LBB5_1202
; %bb.1143:                             ;   in Loop: Header=BB5_3 Depth=1
	ds_load_2addr_stride64_b32 v[24:25], v65 offset0:1 offset1:2
	ds_load_2addr_stride64_b32 v[26:27], v65 offset0:3 offset1:4
	;; [unrolled: 1-line block ×4, first 2 shown]
	s_mov_b32 s65, exec_lo
	s_wait_dscnt 0x3
	v_add_f32_e32 v2, v2, v24
	s_delay_alu instid0(VALU_DEP_1) | instskip(SKIP_3) | instid1(VALU_DEP_1)
	v_add_f32_e32 v2, v25, v2
	ds_load_2addr_stride64_b32 v[24:25], v65 offset0:9 offset1:10
	s_wait_dscnt 0x3
	v_add_f32_e32 v2, v26, v2
	v_add_f32_e32 v2, v27, v2
	ds_load_2addr_stride64_b32 v[26:27], v65 offset0:11 offset1:12
	s_wait_dscnt 0x3
	v_add_f32_e32 v2, v80, v2
	s_delay_alu instid0(VALU_DEP_1) | instskip(SKIP_4) | instid1(VALU_DEP_1)
	v_add_f32_e32 v2, v81, v2
	ds_load_2addr_stride64_b32 v[80:81], v65 offset0:13 offset1:14
	ds_load_b32 v79, v65 offset:3840
	s_wait_dscnt 0x4
	v_add_f32_e32 v2, v82, v2
	v_add_f32_e32 v2, v83, v2
	s_wait_dscnt 0x3
	s_delay_alu instid0(VALU_DEP_1) | instskip(NEXT) | instid1(VALU_DEP_1)
	v_add_f32_e32 v2, v24, v2
	v_add_f32_e32 v2, v25, v2
	s_wait_dscnt 0x2
	s_delay_alu instid0(VALU_DEP_1) | instskip(NEXT) | instid1(VALU_DEP_1)
	;; [unrolled: 4-line block ×3, first 2 shown]
	v_add_f32_e32 v2, v80, v2
	v_add_f32_e32 v2, v81, v2
	s_wait_dscnt 0x0
	s_delay_alu instid0(VALU_DEP_1) | instskip(SKIP_1) | instid1(SALU_CYCLE_1)
	v_add_f32_e32 v24, v79, v2
	s_or_b32 exec_lo, exec_lo, s84
	s_and_b32 vcc_lo, exec_lo, s71
	s_cbranch_vccnz .LBB5_1145
	s_branch .LBB5_1203
.LBB5_1144:                             ;   in Loop: Header=BB5_3 Depth=1
	s_mov_b32 s65, 0
                                        ; implicit-def: $vgpr24
	s_cbranch_execz .LBB5_1203
.LBB5_1145:                             ;   in Loop: Header=BB5_3 Depth=1
	v_dual_mov_b32 v2, v4 :: v_dual_mov_b32 v24, v73
	s_mov_b32 s71, 0
	s_branch .LBB5_1147
.LBB5_1146:                             ;   in Loop: Header=BB5_1147 Depth=2
	s_or_b32 exec_lo, exec_lo, s64
	v_add_nc_u32_e32 v24, 0x400, v24
	v_add_nc_u32_e32 v2, -4, v2
	s_add_co_i32 s71, s71, 4
	s_delay_alu instid0(SALU_CYCLE_1)
	s_cmp_lg_u32 s71, 64
	s_barrier_signal -1
	s_barrier_wait -1
	s_cbranch_scc0 .LBB5_1163
.LBB5_1147:                             ;   Parent Loop BB5_3 Depth=1
                                        ; =>  This Inner Loop Header: Depth=2
	s_delay_alu instid0(VALU_DEP_1) | instskip(SKIP_2) | instid1(SALU_CYCLE_1)
	v_cmp_eq_u32_e32 vcc_lo, 0, v2
	v_add_nc_u32_e32 v25, v58, v32
	s_and_b32 s84, s1, vcc_lo
	s_and_saveexec_b32 s64, s84
	s_cbranch_execz .LBB5_1149
; %bb.1148:                             ;   in Loop: Header=BB5_1147 Depth=2
	ds_load_b32 v26, v25
	s_wait_dscnt 0x0
	v_mul_f32_e32 v78, v78, v26
	ds_store_b32 v3, v78 offset:20736
.LBB5_1149:                             ;   in Loop: Header=BB5_1147 Depth=2
	s_or_b32 exec_lo, exec_lo, s64
	v_cmp_lt_u32_e32 vcc_lo, s71, v4
	s_wait_dscnt 0x0
	s_barrier_signal -1
	s_barrier_wait -1
	s_and_b32 s84, s1, vcc_lo
	s_delay_alu instid0(SALU_CYCLE_1)
	s_and_saveexec_b32 s64, s84
	s_cbranch_execz .LBB5_1151
; %bb.1150:                             ;   in Loop: Header=BB5_1147 Depth=2
	ds_load_b32 v26, v24
	ds_load_b32 v27, v3 offset:20736
	s_wait_dscnt 0x0
	v_fmac_f32_e32 v78, v26, v27
.LBB5_1151:                             ;   in Loop: Header=BB5_1147 Depth=2
	s_or_b32 exec_lo, exec_lo, s64
	s_or_b32 s64, s71, 1
	s_delay_alu instid0(SALU_CYCLE_1) | instskip(SKIP_3) | instid1(SALU_CYCLE_1)
	v_cmp_eq_u32_e32 vcc_lo, s64, v4
	s_barrier_signal -1
	s_barrier_wait -1
	s_and_b32 s85, s1, vcc_lo
	s_and_saveexec_b32 s84, s85
	s_cbranch_execz .LBB5_1153
; %bb.1152:                             ;   in Loop: Header=BB5_1147 Depth=2
	ds_load_b32 v26, v25
	s_wait_dscnt 0x0
	v_mul_f32_e32 v78, v78, v26
	ds_store_b32 v3, v78 offset:20736
.LBB5_1153:                             ;   in Loop: Header=BB5_1147 Depth=2
	s_or_b32 exec_lo, exec_lo, s84
	v_cmp_lt_u32_e32 vcc_lo, s64, v4
	s_wait_dscnt 0x0
	s_barrier_signal -1
	s_barrier_wait -1
	s_and_b32 s84, s1, vcc_lo
	s_delay_alu instid0(SALU_CYCLE_1)
	s_and_saveexec_b32 s64, s84
	s_cbranch_execz .LBB5_1155
; %bb.1154:                             ;   in Loop: Header=BB5_1147 Depth=2
	ds_load_b32 v26, v24 offset:256
	ds_load_b32 v27, v3 offset:20736
	s_wait_dscnt 0x0
	v_fmac_f32_e32 v78, v26, v27
.LBB5_1155:                             ;   in Loop: Header=BB5_1147 Depth=2
	s_or_b32 exec_lo, exec_lo, s64
	s_or_b32 s64, s71, 2
	s_delay_alu instid0(SALU_CYCLE_1) | instskip(SKIP_3) | instid1(SALU_CYCLE_1)
	v_cmp_eq_u32_e32 vcc_lo, s64, v4
	s_barrier_signal -1
	s_barrier_wait -1
	s_and_b32 s85, s1, vcc_lo
	s_and_saveexec_b32 s84, s85
	s_cbranch_execz .LBB5_1157
; %bb.1156:                             ;   in Loop: Header=BB5_1147 Depth=2
	ds_load_b32 v26, v25
	s_wait_dscnt 0x0
	v_mul_f32_e32 v78, v78, v26
	ds_store_b32 v3, v78 offset:20736
.LBB5_1157:                             ;   in Loop: Header=BB5_1147 Depth=2
	s_or_b32 exec_lo, exec_lo, s84
	v_cmp_lt_u32_e32 vcc_lo, s64, v4
	s_wait_dscnt 0x0
	s_barrier_signal -1
	s_barrier_wait -1
	s_and_b32 s84, s1, vcc_lo
	s_delay_alu instid0(SALU_CYCLE_1)
	s_and_saveexec_b32 s64, s84
	s_cbranch_execz .LBB5_1159
; %bb.1158:                             ;   in Loop: Header=BB5_1147 Depth=2
	ds_load_b32 v26, v24 offset:512
	ds_load_b32 v27, v3 offset:20736
	s_wait_dscnt 0x0
	v_fmac_f32_e32 v78, v26, v27
.LBB5_1159:                             ;   in Loop: Header=BB5_1147 Depth=2
	s_or_b32 exec_lo, exec_lo, s64
	s_or_b32 s64, s71, 3
	s_delay_alu instid0(SALU_CYCLE_1) | instskip(SKIP_3) | instid1(SALU_CYCLE_1)
	v_cmp_eq_u32_e32 vcc_lo, s64, v4
	s_barrier_signal -1
	s_barrier_wait -1
	s_and_b32 s85, s1, vcc_lo
	s_and_saveexec_b32 s84, s85
	s_cbranch_execz .LBB5_1161
; %bb.1160:                             ;   in Loop: Header=BB5_1147 Depth=2
	ds_load_b32 v25, v25
	s_wait_dscnt 0x0
	v_mul_f32_e32 v78, v78, v25
	ds_store_b32 v3, v78 offset:20736
.LBB5_1161:                             ;   in Loop: Header=BB5_1147 Depth=2
	s_or_b32 exec_lo, exec_lo, s84
	v_cmp_lt_u32_e32 vcc_lo, s64, v4
	s_wait_dscnt 0x0
	s_barrier_signal -1
	s_barrier_wait -1
	s_and_b32 s84, s1, vcc_lo
	s_delay_alu instid0(SALU_CYCLE_1)
	s_and_saveexec_b32 s64, s84
	s_cbranch_execz .LBB5_1146
; %bb.1162:                             ;   in Loop: Header=BB5_1147 Depth=2
	ds_load_b32 v25, v24 offset:768
	ds_load_b32 v26, v3 offset:20736
	s_wait_dscnt 0x0
	v_fmac_f32_e32 v78, v25, v26
	s_branch .LBB5_1146
.LBB5_1163:                             ;   in Loop: Header=BB5_3 Depth=1
	s_and_b32 vcc_lo, exec_lo, s90
	s_mov_b32 s64, -1
	s_cbranch_vccz .LBB5_1165
; %bb.1164:                             ;   in Loop: Header=BB5_3 Depth=1
	s_and_not1_b32 s65, s65, exec_lo
	s_and_b32 s71, s1, exec_lo
	s_mov_b32 s64, 0
	s_or_b32 s65, s65, s71
.LBB5_1165:                             ;   in Loop: Header=BB5_3 Depth=1
	s_and_not1_b32 vcc_lo, exec_lo, s64
	s_cbranch_vccnz .LBB5_1167
; %bb.1166:                             ;   in Loop: Header=BB5_3 Depth=1
	s_and_not1_b32 s64, s65, exec_lo
	v_readlane_b32 s65, v85, 5
	s_and_b32 s65, s65, exec_lo
	s_delay_alu instid0(SALU_CYCLE_1)
	s_or_b32 s65, s64, s65
.LBB5_1167:                             ;   in Loop: Header=BB5_3 Depth=1
	v_mov_b64_e32 v[24:25], v[14:15]
	s_and_saveexec_b32 s64, s65
	s_cbranch_execnz .LBB5_1204
	s_branch .LBB5_1205
.LBB5_1168:                             ;   in Loop: Header=BB5_3 Depth=1
	s_mov_b32 s64, exec_lo
	v_readlane_b32 s71, v85, 14
	s_and_b32 s71, s64, s71
	s_delay_alu instid0(SALU_CYCLE_1)
	s_xor_b32 s64, s71, s64
	s_mov_b32 exec_lo, s71
	s_cbranch_execz .LBB5_1172
; %bb.1169:                             ;   in Loop: Header=BB5_3 Depth=1
	s_mov_b32 s71, exec_lo
	v_readlane_b32 s84, v84, 24
	s_and_b32 s84, s71, s84
	s_delay_alu instid0(SALU_CYCLE_1)
	s_mov_b32 exec_lo, s84
; %bb.1170:                             ;   in Loop: Header=BB5_3 Depth=1
	ds_store_b32 v68, v3
; %bb.1171:                             ;   in Loop: Header=BB5_3 Depth=1
	s_or_b32 exec_lo, exec_lo, s71
.LBB5_1172:                             ;   in Loop: Header=BB5_3 Depth=1
	s_and_not1_saveexec_b32 s64, s64
	s_cbranch_execz .LBB5_1174
; %bb.1173:                             ;   in Loop: Header=BB5_3 Depth=1
	v_lshl_add_u64 v[26:27], v[16:17], 2, s[82:83]
	global_load_b32 v26, v[26:27], off
	s_wait_loadcnt 0x0
	v_div_scale_f32 v27, null, v26, v26, 1.0
	s_delay_alu instid0(VALU_DEP_1) | instskip(SKIP_1) | instid1(TRANS32_DEP_1)
	v_rcp_f32_e32 v78, v27
	v_nop
	v_fma_f32 v79, -v27, v78, 1.0
	s_delay_alu instid0(VALU_DEP_1) | instskip(SKIP_1) | instid1(VALU_DEP_1)
	v_fmac_f32_e32 v78, v79, v78
	v_div_scale_f32 v79, vcc_lo, 1.0, v26, 1.0
	v_mul_f32_e32 v80, v79, v78
	s_delay_alu instid0(VALU_DEP_1) | instskip(NEXT) | instid1(VALU_DEP_1)
	v_fma_f32 v81, -v27, v80, v79
	v_fmac_f32_e32 v80, v81, v78
	s_delay_alu instid0(VALU_DEP_1) | instskip(NEXT) | instid1(VALU_DEP_1)
	v_fma_f32 v27, -v27, v80, v79
	v_div_fmas_f32 v27, v27, v78, v80
	s_delay_alu instid0(VALU_DEP_1)
	v_div_fixup_f32 v26, v27, v26, 1.0
	ds_store_b32 v68, v26
.LBB5_1174:                             ;   in Loop: Header=BB5_3 Depth=1
	s_or_b32 exec_lo, exec_lo, s64
	s_and_not1_saveexec_b32 s64, s65
	s_cbranch_execz .LBB5_17
.LBB5_1175:                             ;   in Loop: Header=BB5_3 Depth=1
	v_lshl_add_u64 v[26:27], v[16:17], 2, s[82:83]
	global_load_b32 v26, v[26:27], off
	s_wait_loadcnt 0x0
	v_xor_b32_e32 v26, 0x80000000, v26
	ds_store_b32 v68, v26
	s_or_b32 exec_lo, exec_lo, s64
	s_and_saveexec_b32 s64, s8
	s_delay_alu instid0(SALU_CYCLE_1)
	s_xor_b32 s65, exec_lo, s64
	s_cbranch_execz .LBB5_18
.LBB5_1176:                             ;   in Loop: Header=BB5_3 Depth=1
	s_mov_b32 s64, exec_lo
	v_readlane_b32 s71, v85, 16
	s_and_b32 s71, s64, s71
	s_delay_alu instid0(SALU_CYCLE_1)
	s_xor_b32 s64, s71, s64
	s_mov_b32 exec_lo, s71
	s_cbranch_execz .LBB5_1180
; %bb.1177:                             ;   in Loop: Header=BB5_3 Depth=1
	s_mov_b32 s71, exec_lo
	v_readlane_b32 s84, v84, 25
	s_and_b32 s84, s71, s84
	s_delay_alu instid0(SALU_CYCLE_1)
	s_mov_b32 exec_lo, s84
; %bb.1178:                             ;   in Loop: Header=BB5_3 Depth=1
	ds_store_b32 v69, v3
; %bb.1179:                             ;   in Loop: Header=BB5_3 Depth=1
	s_or_b32 exec_lo, exec_lo, s71
.LBB5_1180:                             ;   in Loop: Header=BB5_3 Depth=1
	s_and_not1_saveexec_b32 s64, s64
	s_cbranch_execz .LBB5_1182
; %bb.1181:                             ;   in Loop: Header=BB5_3 Depth=1
	v_lshl_add_u64 v[26:27], v[18:19], 2, s[82:83]
	global_load_b32 v26, v[26:27], off
	s_wait_loadcnt 0x0
	v_div_scale_f32 v27, null, v26, v26, 1.0
	s_delay_alu instid0(VALU_DEP_1) | instskip(SKIP_1) | instid1(TRANS32_DEP_1)
	v_rcp_f32_e32 v78, v27
	v_nop
	v_fma_f32 v79, -v27, v78, 1.0
	s_delay_alu instid0(VALU_DEP_1) | instskip(SKIP_1) | instid1(VALU_DEP_1)
	v_fmac_f32_e32 v78, v79, v78
	v_div_scale_f32 v79, vcc_lo, 1.0, v26, 1.0
	v_mul_f32_e32 v80, v79, v78
	s_delay_alu instid0(VALU_DEP_1) | instskip(NEXT) | instid1(VALU_DEP_1)
	v_fma_f32 v81, -v27, v80, v79
	v_fmac_f32_e32 v80, v81, v78
	s_delay_alu instid0(VALU_DEP_1) | instskip(NEXT) | instid1(VALU_DEP_1)
	v_fma_f32 v27, -v27, v80, v79
	v_div_fmas_f32 v27, v27, v78, v80
	s_delay_alu instid0(VALU_DEP_1)
	v_div_fixup_f32 v26, v27, v26, 1.0
	ds_store_b32 v69, v26
.LBB5_1182:                             ;   in Loop: Header=BB5_3 Depth=1
	s_or_b32 exec_lo, exec_lo, s64
	s_and_not1_saveexec_b32 s64, s65
	s_cbranch_execz .LBB5_19
.LBB5_1183:                             ;   in Loop: Header=BB5_3 Depth=1
	v_lshl_add_u64 v[26:27], v[18:19], 2, s[82:83]
	global_load_b32 v26, v[26:27], off
	s_wait_loadcnt 0x0
	v_xor_b32_e32 v26, 0x80000000, v26
	ds_store_b32 v69, v26
	s_or_b32 exec_lo, exec_lo, s64
	s_and_saveexec_b32 s64, s9
	s_delay_alu instid0(SALU_CYCLE_1)
	s_xor_b32 s65, exec_lo, s64
	s_cbranch_execz .LBB5_20
.LBB5_1184:                             ;   in Loop: Header=BB5_3 Depth=1
	s_mov_b32 s64, exec_lo
	v_readlane_b32 s71, v85, 18
	s_and_b32 s71, s64, s71
	s_delay_alu instid0(SALU_CYCLE_1)
	s_xor_b32 s64, s71, s64
	s_mov_b32 exec_lo, s71
	s_cbranch_execz .LBB5_1188
; %bb.1185:                             ;   in Loop: Header=BB5_3 Depth=1
	s_mov_b32 s71, exec_lo
	v_readlane_b32 s84, v84, 26
	s_and_b32 s84, s71, s84
	s_delay_alu instid0(SALU_CYCLE_1)
	s_mov_b32 exec_lo, s84
; %bb.1186:                             ;   in Loop: Header=BB5_3 Depth=1
	ds_store_b32 v70, v3
; %bb.1187:                             ;   in Loop: Header=BB5_3 Depth=1
	s_or_b32 exec_lo, exec_lo, s71
.LBB5_1188:                             ;   in Loop: Header=BB5_3 Depth=1
	s_and_not1_saveexec_b32 s64, s64
	s_cbranch_execz .LBB5_1190
; %bb.1189:                             ;   in Loop: Header=BB5_3 Depth=1
	v_lshl_add_u64 v[26:27], v[20:21], 2, s[82:83]
	global_load_b32 v26, v[26:27], off
	s_wait_loadcnt 0x0
	v_div_scale_f32 v27, null, v26, v26, 1.0
	s_delay_alu instid0(VALU_DEP_1) | instskip(SKIP_1) | instid1(TRANS32_DEP_1)
	v_rcp_f32_e32 v78, v27
	v_nop
	v_fma_f32 v79, -v27, v78, 1.0
	s_delay_alu instid0(VALU_DEP_1) | instskip(SKIP_1) | instid1(VALU_DEP_1)
	v_fmac_f32_e32 v78, v79, v78
	v_div_scale_f32 v79, vcc_lo, 1.0, v26, 1.0
	v_mul_f32_e32 v80, v79, v78
	s_delay_alu instid0(VALU_DEP_1) | instskip(NEXT) | instid1(VALU_DEP_1)
	v_fma_f32 v81, -v27, v80, v79
	v_fmac_f32_e32 v80, v81, v78
	s_delay_alu instid0(VALU_DEP_1) | instskip(NEXT) | instid1(VALU_DEP_1)
	v_fma_f32 v27, -v27, v80, v79
	v_div_fmas_f32 v27, v27, v78, v80
	s_delay_alu instid0(VALU_DEP_1)
	v_div_fixup_f32 v26, v27, v26, 1.0
	ds_store_b32 v70, v26
.LBB5_1190:                             ;   in Loop: Header=BB5_3 Depth=1
	s_or_b32 exec_lo, exec_lo, s64
	s_and_not1_saveexec_b32 s64, s65
	s_cbranch_execz .LBB5_21
.LBB5_1191:                             ;   in Loop: Header=BB5_3 Depth=1
	v_lshl_add_u64 v[26:27], v[20:21], 2, s[82:83]
	global_load_b32 v26, v[26:27], off
	s_wait_loadcnt 0x0
	v_xor_b32_e32 v26, 0x80000000, v26
	ds_store_b32 v70, v26
	s_or_b32 exec_lo, exec_lo, s64
	s_and_saveexec_b32 s64, s10
	s_delay_alu instid0(SALU_CYCLE_1)
	s_xor_b32 s65, exec_lo, s64
	s_cbranch_execz .LBB5_22
.LBB5_1192:                             ;   in Loop: Header=BB5_3 Depth=1
	s_mov_b32 s64, exec_lo
	v_readlane_b32 s71, v85, 20
	s_and_b32 s71, s64, s71
	s_delay_alu instid0(SALU_CYCLE_1)
	s_xor_b32 s64, s71, s64
	s_mov_b32 exec_lo, s71
	s_cbranch_execz .LBB5_1196
; %bb.1193:                             ;   in Loop: Header=BB5_3 Depth=1
	s_mov_b32 s71, exec_lo
	v_readlane_b32 s84, v84, 27
	s_and_b32 s84, s71, s84
	s_delay_alu instid0(SALU_CYCLE_1)
	s_mov_b32 exec_lo, s84
; %bb.1194:                             ;   in Loop: Header=BB5_3 Depth=1
	ds_store_b32 v71, v3
; %bb.1195:                             ;   in Loop: Header=BB5_3 Depth=1
	s_or_b32 exec_lo, exec_lo, s71
.LBB5_1196:                             ;   in Loop: Header=BB5_3 Depth=1
	s_and_not1_saveexec_b32 s64, s64
	s_cbranch_execz .LBB5_1198
; %bb.1197:                             ;   in Loop: Header=BB5_3 Depth=1
	v_lshl_add_u64 v[26:27], v[22:23], 2, s[82:83]
	global_load_b32 v26, v[26:27], off
	s_wait_loadcnt 0x0
	v_div_scale_f32 v27, null, v26, v26, 1.0
	s_delay_alu instid0(VALU_DEP_1) | instskip(SKIP_1) | instid1(TRANS32_DEP_1)
	v_rcp_f32_e32 v78, v27
	v_nop
	v_fma_f32 v79, -v27, v78, 1.0
	s_delay_alu instid0(VALU_DEP_1) | instskip(SKIP_1) | instid1(VALU_DEP_1)
	v_fmac_f32_e32 v78, v79, v78
	v_div_scale_f32 v79, vcc_lo, 1.0, v26, 1.0
	v_mul_f32_e32 v80, v79, v78
	s_delay_alu instid0(VALU_DEP_1) | instskip(NEXT) | instid1(VALU_DEP_1)
	v_fma_f32 v81, -v27, v80, v79
	v_fmac_f32_e32 v80, v81, v78
	s_delay_alu instid0(VALU_DEP_1) | instskip(NEXT) | instid1(VALU_DEP_1)
	v_fma_f32 v27, -v27, v80, v79
	v_div_fmas_f32 v27, v27, v78, v80
	s_delay_alu instid0(VALU_DEP_1)
	v_div_fixup_f32 v26, v27, v26, 1.0
	ds_store_b32 v71, v26
.LBB5_1198:                             ;   in Loop: Header=BB5_3 Depth=1
	s_or_b32 exec_lo, exec_lo, s64
	s_and_not1_saveexec_b32 s64, s65
	s_cbranch_execnz .LBB5_23
	s_branch .LBB5_24
.LBB5_1199:                             ;   in Loop: Header=BB5_3 Depth=1
	ds_load_b32 v2, v66
	ds_load_b32 v24, v62
	s_wait_dscnt 0x0
	v_fma_f32 v2, v2, v24, 0
	s_or_b32 exec_lo, exec_lo, s64
	s_and_saveexec_b32 s64, s8
	s_cbranch_execz .LBB5_1139
.LBB5_1200:                             ;   in Loop: Header=BB5_3 Depth=1
	ds_load_b32 v24, v66 offset:4096
	ds_load_b32 v25, v62 offset:64
	s_wait_dscnt 0x0
	v_fmac_f32_e32 v2, v24, v25
	s_or_b32 exec_lo, exec_lo, s64
	s_and_saveexec_b32 s64, s9
	s_cbranch_execz .LBB5_1140
.LBB5_1201:                             ;   in Loop: Header=BB5_3 Depth=1
	ds_load_b32 v24, v66 offset:8192
	ds_load_b32 v25, v62 offset:128
	s_wait_dscnt 0x0
	v_fmac_f32_e32 v2, v24, v25
	s_or_b32 exec_lo, exec_lo, s64
	s_and_saveexec_b32 s64, s10
	s_cbranch_execnz .LBB5_1141
	s_branch .LBB5_1142
.LBB5_1202:                             ;   in Loop: Header=BB5_3 Depth=1
	s_or_b32 exec_lo, exec_lo, s84
	s_delay_alu instid0(SALU_CYCLE_1)
	s_and_b32 vcc_lo, exec_lo, s71
	s_cbranch_vccnz .LBB5_1145
.LBB5_1203:                             ;   in Loop: Header=BB5_3 Depth=1
	v_mov_b32_e32 v78, v24
	v_mov_b64_e32 v[24:25], v[12:13]
	s_and_saveexec_b32 s64, s65
	s_cbranch_execz .LBB5_1205
.LBB5_1204:                             ;   in Loop: Header=BB5_3 Depth=1
	s_delay_alu instid0(VALU_DEP_1)
	v_lshl_add_u64 v[24:25], v[24:25], 2, s[82:83]
	global_store_b32 v[24:25], v78, off
.LBB5_1205:                             ;   in Loop: Header=BB5_3 Depth=1
	s_wait_xcnt 0x0
	s_or_b32 exec_lo, exec_lo, s64
	global_wb scope:SCOPE_DEV
	s_wait_storecnt 0x0
	global_inv scope:SCOPE_DEV
	s_wait_loadcnt 0x0
	s_barrier_signal -1
	s_barrier_wait -1
	s_and_saveexec_b32 s64, s59
	s_cbranch_execz .LBB5_2
; %bb.1206:                             ;   in Loop: Header=BB5_3 Depth=1
	s_lshl_b64 s[82:83], s[80:81], 2
	s_delay_alu instid0(SALU_CYCLE_1)
	s_add_nc_u64 s[82:83], s[78:79], s[82:83]
	global_load_b32 v2, v3, s[82:83]
	s_wait_loadcnt 0x0
	v_add_nc_u32_e32 v2, 1, v2
	global_store_b32 v3, v2, s[82:83]
	s_branch .LBB5_2
.LBB5_1207:                             ;   in Loop: Header=BB5_3 Depth=1
	ds_load_b32 v27, v37 offset:15840
	ds_load_b32 v78, v36 offset:16372
	s_wait_dscnt 0x0
	v_fmac_f32_e32 v26, v27, v78
	s_or_b32 exec_lo, exec_lo, s64
	s_and_saveexec_b32 s64, s18
	s_cbranch_execz .LBB5_88
.LBB5_1208:                             ;   in Loop: Header=BB5_3 Depth=1
	ds_load_b32 v27, v37 offset:16096
	ds_load_b32 v78, v36 offset:16376
	s_wait_dscnt 0x0
	v_fmac_f32_e32 v26, v27, v78
	s_or_b32 exec_lo, exec_lo, s64
	s_and_saveexec_b32 s64, s0
	s_cbranch_execnz .LBB5_89
	s_branch .LBB5_90
.LBB5_1209:                             ;   in Loop: Header=BB5_3 Depth=1
	ds_load_b32 v27, v45 offset:14784
	ds_load_b32 v78, v44 offset:16356
	s_wait_dscnt 0x0
	v_fmac_f32_e32 v26, v27, v78
	s_or_b32 exec_lo, exec_lo, s64
	s_and_saveexec_b32 s64, s20
	s_cbranch_execz .LBB5_130
.LBB5_1210:                             ;   in Loop: Header=BB5_3 Depth=1
	ds_load_b32 v27, v45 offset:15040
	ds_load_b32 v78, v44 offset:16360
	s_wait_dscnt 0x0
	v_fmac_f32_e32 v26, v27, v78
	s_or_b32 exec_lo, exec_lo, s64
	s_and_saveexec_b32 s64, s21
	s_cbranch_execz .LBB5_131
.LBB5_1211:                             ;   in Loop: Header=BB5_3 Depth=1
	ds_load_b32 v27, v45 offset:15296
	ds_load_b32 v78, v44 offset:16364
	s_wait_dscnt 0x0
	v_fmac_f32_e32 v26, v27, v78
	s_or_b32 exec_lo, exec_lo, s64
	s_and_saveexec_b32 s64, s22
	s_cbranch_execz .LBB5_132
.LBB5_1212:                             ;   in Loop: Header=BB5_3 Depth=1
	ds_load_b32 v27, v45 offset:15552
	ds_load_b32 v78, v44 offset:16368
	s_wait_dscnt 0x0
	v_fmac_f32_e32 v26, v27, v78
	s_or_b32 exec_lo, exec_lo, s64
	s_and_saveexec_b32 s64, s23
	s_cbranch_execz .LBB5_133
.LBB5_1213:                             ;   in Loop: Header=BB5_3 Depth=1
	ds_load_b32 v27, v45 offset:15808
	ds_load_b32 v78, v44 offset:16372
	s_wait_dscnt 0x0
	v_fmac_f32_e32 v26, v27, v78
	s_or_b32 exec_lo, exec_lo, s64
	s_and_saveexec_b32 s64, s2
	s_cbranch_execz .LBB5_134
.LBB5_1214:                             ;   in Loop: Header=BB5_3 Depth=1
	ds_load_b32 v27, v45 offset:16064
	ds_load_b32 v78, v44 offset:16376
	s_wait_dscnt 0x0
	v_fmac_f32_e32 v26, v27, v78
	s_or_b32 exec_lo, exec_lo, s64
	s_and_saveexec_b32 s64, s18
	s_cbranch_execnz .LBB5_135
	s_branch .LBB5_136
.LBB5_1215:                             ;   in Loop: Header=BB5_3 Depth=1
	ds_load_b32 v27, v37 offset:13760
	ds_load_b32 v78, v36 offset:14292
	s_wait_dscnt 0x0
	v_fmac_f32_e32 v26, v27, v78
	s_or_b32 exec_lo, exec_lo, s64
	s_and_saveexec_b32 s64, s18
	s_cbranch_execz .LBB5_192
.LBB5_1216:                             ;   in Loop: Header=BB5_3 Depth=1
	ds_load_b32 v27, v37 offset:14016
	ds_load_b32 v78, v36 offset:14296
	s_wait_dscnt 0x0
	v_fmac_f32_e32 v26, v27, v78
	s_or_b32 exec_lo, exec_lo, s64
	s_and_saveexec_b32 s64, s0
	s_cbranch_execnz .LBB5_193
	s_branch .LBB5_194
.LBB5_1217:                             ;   in Loop: Header=BB5_3 Depth=1
	ds_load_b32 v27, v52 offset:15232
	ds_load_b32 v78, v51 offset:16364
	s_wait_dscnt 0x0
	v_fmac_f32_e32 v26, v27, v78
	s_or_b32 exec_lo, exec_lo, s64
	s_and_saveexec_b32 s64, s3
	s_cbranch_execz .LBB5_254
.LBB5_1218:                             ;   in Loop: Header=BB5_3 Depth=1
	ds_load_b32 v27, v52 offset:15488
	ds_load_b32 v78, v51 offset:16368
	s_wait_dscnt 0x0
	v_fmac_f32_e32 v26, v27, v78
	s_or_b32 exec_lo, exec_lo, s64
	s_and_saveexec_b32 s64, s20
	s_cbranch_execz .LBB5_255
.LBB5_1219:                             ;   in Loop: Header=BB5_3 Depth=1
	ds_load_b32 v27, v52 offset:15744
	ds_load_b32 v78, v51 offset:16372
	s_wait_dscnt 0x0
	v_fmac_f32_e32 v26, v27, v78
	s_or_b32 exec_lo, exec_lo, s64
	s_and_saveexec_b32 s64, s22
	s_cbranch_execz .LBB5_256
.LBB5_1220:                             ;   in Loop: Header=BB5_3 Depth=1
	ds_load_b32 v27, v52 offset:16000
	ds_load_b32 v78, v51 offset:16376
	s_wait_dscnt 0x0
	v_fmac_f32_e32 v26, v27, v78
	s_or_b32 exec_lo, exec_lo, s64
	s_and_saveexec_b32 s64, s2
	s_cbranch_execnz .LBB5_257
	s_branch .LBB5_258
.LBB5_1221:                             ;   in Loop: Header=BB5_3 Depth=1
	ds_load_b32 v27, v37 offset:11680
	ds_load_b32 v78, v36 offset:12212
	s_wait_dscnt 0x0
	v_fmac_f32_e32 v26, v27, v78
	s_or_b32 exec_lo, exec_lo, s64
	s_and_saveexec_b32 s64, s18
	s_cbranch_execz .LBB5_346
.LBB5_1222:                             ;   in Loop: Header=BB5_3 Depth=1
	ds_load_b32 v27, v37 offset:11936
	ds_load_b32 v78, v36 offset:12216
	s_wait_dscnt 0x0
	v_fmac_f32_e32 v26, v27, v78
	s_or_b32 exec_lo, exec_lo, s64
	s_and_saveexec_b32 s64, s0
	s_cbranch_execnz .LBB5_347
	s_branch .LBB5_348
.LBB5_1223:                             ;   in Loop: Header=BB5_3 Depth=1
	ds_load_b32 v27, v45 offset:10624
	ds_load_b32 v78, v44 offset:12196
	s_wait_dscnt 0x0
	v_fmac_f32_e32 v26, v27, v78
	s_or_b32 exec_lo, exec_lo, s64
	s_and_saveexec_b32 s64, s20
	s_cbranch_execz .LBB5_388
.LBB5_1224:                             ;   in Loop: Header=BB5_3 Depth=1
	ds_load_b32 v27, v45 offset:10880
	ds_load_b32 v78, v44 offset:12200
	s_wait_dscnt 0x0
	v_fmac_f32_e32 v26, v27, v78
	s_or_b32 exec_lo, exec_lo, s64
	s_and_saveexec_b32 s64, s21
	s_cbranch_execz .LBB5_389
.LBB5_1225:                             ;   in Loop: Header=BB5_3 Depth=1
	ds_load_b32 v27, v45 offset:11136
	ds_load_b32 v78, v44 offset:12204
	s_wait_dscnt 0x0
	v_fmac_f32_e32 v26, v27, v78
	s_or_b32 exec_lo, exec_lo, s64
	s_and_saveexec_b32 s64, s22
	s_cbranch_execz .LBB5_390
.LBB5_1226:                             ;   in Loop: Header=BB5_3 Depth=1
	ds_load_b32 v27, v45 offset:11392
	ds_load_b32 v78, v44 offset:12208
	s_wait_dscnt 0x0
	v_fmac_f32_e32 v26, v27, v78
	s_or_b32 exec_lo, exec_lo, s64
	s_and_saveexec_b32 s64, s23
	s_cbranch_execz .LBB5_391
.LBB5_1227:                             ;   in Loop: Header=BB5_3 Depth=1
	ds_load_b32 v27, v45 offset:11648
	ds_load_b32 v78, v44 offset:12212
	s_wait_dscnt 0x0
	v_fmac_f32_e32 v26, v27, v78
	s_or_b32 exec_lo, exec_lo, s64
	s_and_saveexec_b32 s64, s2
	s_cbranch_execz .LBB5_392
.LBB5_1228:                             ;   in Loop: Header=BB5_3 Depth=1
	ds_load_b32 v27, v45 offset:11904
	ds_load_b32 v78, v44 offset:12216
	s_wait_dscnt 0x0
	v_fmac_f32_e32 v26, v27, v78
	s_or_b32 exec_lo, exec_lo, s64
	s_and_saveexec_b32 s64, s18
	s_cbranch_execnz .LBB5_393
	s_branch .LBB5_394
.LBB5_1229:                             ;   in Loop: Header=BB5_3 Depth=1
	ds_load_b32 v27, v37 offset:9600
	ds_load_b32 v78, v36 offset:10132
	s_wait_dscnt 0x0
	v_fmac_f32_e32 v26, v27, v78
	s_or_b32 exec_lo, exec_lo, s64
	s_and_saveexec_b32 s64, s18
	s_cbranch_execz .LBB5_450
.LBB5_1230:                             ;   in Loop: Header=BB5_3 Depth=1
	ds_load_b32 v27, v37 offset:9856
	ds_load_b32 v78, v36 offset:10136
	s_wait_dscnt 0x0
	v_fmac_f32_e32 v26, v27, v78
	s_or_b32 exec_lo, exec_lo, s64
	s_and_saveexec_b32 s64, s0
	s_cbranch_execnz .LBB5_451
	s_branch .LBB5_452
.LBB5_1231:                             ;   in Loop: Header=BB5_3 Depth=1
	ds_load_b32 v27, v60 offset:15616
	ds_load_b32 v78, v59 offset:16372
	s_wait_dscnt 0x0
	v_fmac_f32_e32 v26, v27, v78
	s_or_b32 exec_lo, exec_lo, s64
	s_and_saveexec_b32 s64, s3
	s_cbranch_execz .LBB5_548
.LBB5_1232:                             ;   in Loop: Header=BB5_3 Depth=1
	ds_load_b32 v27, v60 offset:15872
	ds_load_b32 v78, v59 offset:16376
	s_wait_dscnt 0x0
	v_fmac_f32_e32 v26, v27, v78
	s_or_b32 exec_lo, exec_lo, s64
	s_and_saveexec_b32 s64, s22
	s_cbranch_execnz .LBB5_549
	s_branch .LBB5_550
.LBB5_1233:                             ;   in Loop: Header=BB5_3 Depth=1
	ds_load_b32 v27, v37 offset:7520
	ds_load_b32 v78, v36 offset:8052
	s_wait_dscnt 0x0
	v_fmac_f32_e32 v26, v27, v78
	s_or_b32 exec_lo, exec_lo, s64
	s_and_saveexec_b32 s64, s18
	s_cbranch_execz .LBB5_702
.LBB5_1234:                             ;   in Loop: Header=BB5_3 Depth=1
	ds_load_b32 v27, v37 offset:7776
	ds_load_b32 v78, v36 offset:8056
	s_wait_dscnt 0x0
	v_fmac_f32_e32 v26, v27, v78
	s_or_b32 exec_lo, exec_lo, s64
	s_and_saveexec_b32 s64, s0
	s_cbranch_execnz .LBB5_703
	s_branch .LBB5_704
.LBB5_1235:                             ;   in Loop: Header=BB5_3 Depth=1
	ds_load_b32 v27, v45 offset:6464
	ds_load_b32 v78, v44 offset:8036
	s_wait_dscnt 0x0
	v_fmac_f32_e32 v26, v27, v78
	s_or_b32 exec_lo, exec_lo, s64
	s_and_saveexec_b32 s64, s20
	s_cbranch_execz .LBB5_744
.LBB5_1236:                             ;   in Loop: Header=BB5_3 Depth=1
	ds_load_b32 v27, v45 offset:6720
	ds_load_b32 v78, v44 offset:8040
	s_wait_dscnt 0x0
	v_fmac_f32_e32 v26, v27, v78
	s_or_b32 exec_lo, exec_lo, s64
	s_and_saveexec_b32 s64, s21
	s_cbranch_execz .LBB5_745
.LBB5_1237:                             ;   in Loop: Header=BB5_3 Depth=1
	ds_load_b32 v27, v45 offset:6976
	ds_load_b32 v78, v44 offset:8044
	s_wait_dscnt 0x0
	v_fmac_f32_e32 v26, v27, v78
	s_or_b32 exec_lo, exec_lo, s64
	s_and_saveexec_b32 s64, s22
	s_cbranch_execz .LBB5_746
.LBB5_1238:                             ;   in Loop: Header=BB5_3 Depth=1
	ds_load_b32 v27, v45 offset:7232
	ds_load_b32 v78, v44 offset:8048
	s_wait_dscnt 0x0
	v_fmac_f32_e32 v26, v27, v78
	s_or_b32 exec_lo, exec_lo, s64
	s_and_saveexec_b32 s64, s23
	s_cbranch_execz .LBB5_747
.LBB5_1239:                             ;   in Loop: Header=BB5_3 Depth=1
	ds_load_b32 v27, v45 offset:7488
	ds_load_b32 v78, v44 offset:8052
	s_wait_dscnt 0x0
	v_fmac_f32_e32 v26, v27, v78
	s_or_b32 exec_lo, exec_lo, s64
	s_and_saveexec_b32 s64, s2
	s_cbranch_execz .LBB5_748
.LBB5_1240:                             ;   in Loop: Header=BB5_3 Depth=1
	ds_load_b32 v27, v45 offset:7744
	ds_load_b32 v78, v44 offset:8056
	s_wait_dscnt 0x0
	v_fmac_f32_e32 v26, v27, v78
	s_or_b32 exec_lo, exec_lo, s64
	s_and_saveexec_b32 s64, s18
	s_cbranch_execnz .LBB5_749
	s_branch .LBB5_750
.LBB5_1241:                             ;   in Loop: Header=BB5_3 Depth=1
	ds_load_b32 v27, v37 offset:5440
	ds_load_b32 v78, v36 offset:5972
	s_wait_dscnt 0x0
	v_fmac_f32_e32 v26, v27, v78
	s_or_b32 exec_lo, exec_lo, s64
	s_and_saveexec_b32 s64, s18
	s_cbranch_execz .LBB5_806
.LBB5_1242:                             ;   in Loop: Header=BB5_3 Depth=1
	ds_load_b32 v27, v37 offset:5696
	ds_load_b32 v78, v36 offset:5976
	s_wait_dscnt 0x0
	v_fmac_f32_e32 v26, v27, v78
	s_or_b32 exec_lo, exec_lo, s64
	s_and_saveexec_b32 s64, s0
	s_cbranch_execnz .LBB5_807
	s_branch .LBB5_808
.LBB5_1243:                             ;   in Loop: Header=BB5_3 Depth=1
	ds_load_b32 v27, v52 offset:6912
	ds_load_b32 v78, v51 offset:8044
	s_wait_dscnt 0x0
	v_fmac_f32_e32 v26, v27, v78
	s_or_b32 exec_lo, exec_lo, s64
	s_and_saveexec_b32 s64, s3
	s_cbranch_execz .LBB5_868
.LBB5_1244:                             ;   in Loop: Header=BB5_3 Depth=1
	ds_load_b32 v27, v52 offset:7168
	ds_load_b32 v78, v51 offset:8048
	s_wait_dscnt 0x0
	v_fmac_f32_e32 v26, v27, v78
	s_or_b32 exec_lo, exec_lo, s64
	s_and_saveexec_b32 s64, s20
	s_cbranch_execz .LBB5_869
.LBB5_1245:                             ;   in Loop: Header=BB5_3 Depth=1
	ds_load_b32 v27, v52 offset:7424
	ds_load_b32 v78, v51 offset:8052
	s_wait_dscnt 0x0
	v_fmac_f32_e32 v26, v27, v78
	s_or_b32 exec_lo, exec_lo, s64
	s_and_saveexec_b32 s64, s22
	s_cbranch_execz .LBB5_870
.LBB5_1246:                             ;   in Loop: Header=BB5_3 Depth=1
	ds_load_b32 v27, v52 offset:7680
	ds_load_b32 v78, v51 offset:8056
	s_wait_dscnt 0x0
	v_fmac_f32_e32 v26, v27, v78
	s_or_b32 exec_lo, exec_lo, s64
	s_and_saveexec_b32 s64, s2
	s_cbranch_execnz .LBB5_871
	s_branch .LBB5_872
.LBB5_1247:                             ;   in Loop: Header=BB5_3 Depth=1
	ds_load_b32 v27, v37 offset:3360
	ds_load_b32 v78, v36 offset:3892
	s_wait_dscnt 0x0
	v_fmac_f32_e32 v26, v27, v78
	s_or_b32 exec_lo, exec_lo, s64
	s_and_saveexec_b32 s64, s18
	s_cbranch_execz .LBB5_960
.LBB5_1248:                             ;   in Loop: Header=BB5_3 Depth=1
	ds_load_b32 v27, v37 offset:3616
	ds_load_b32 v78, v36 offset:3896
	s_wait_dscnt 0x0
	v_fmac_f32_e32 v26, v27, v78
	s_or_b32 exec_lo, exec_lo, s64
	s_and_saveexec_b32 s64, s0
	s_cbranch_execnz .LBB5_961
	s_branch .LBB5_962
.LBB5_1249:                             ;   in Loop: Header=BB5_3 Depth=1
	ds_load_b32 v27, v45 offset:2304
	ds_load_b32 v78, v44 offset:3876
	s_wait_dscnt 0x0
	v_fmac_f32_e32 v26, v27, v78
	s_or_b32 exec_lo, exec_lo, s64
	s_and_saveexec_b32 s64, s20
	s_cbranch_execz .LBB5_1002
.LBB5_1250:                             ;   in Loop: Header=BB5_3 Depth=1
	ds_load_b32 v27, v45 offset:2560
	ds_load_b32 v78, v44 offset:3880
	s_wait_dscnt 0x0
	v_fmac_f32_e32 v26, v27, v78
	s_or_b32 exec_lo, exec_lo, s64
	s_and_saveexec_b32 s64, s21
	s_cbranch_execz .LBB5_1003
.LBB5_1251:                             ;   in Loop: Header=BB5_3 Depth=1
	ds_load_b32 v27, v45 offset:2816
	ds_load_b32 v78, v44 offset:3884
	s_wait_dscnt 0x0
	v_fmac_f32_e32 v26, v27, v78
	s_or_b32 exec_lo, exec_lo, s64
	s_and_saveexec_b32 s64, s22
	s_cbranch_execz .LBB5_1004
.LBB5_1252:                             ;   in Loop: Header=BB5_3 Depth=1
	ds_load_b32 v27, v45 offset:3072
	ds_load_b32 v78, v44 offset:3888
	s_wait_dscnt 0x0
	v_fmac_f32_e32 v26, v27, v78
	s_or_b32 exec_lo, exec_lo, s64
	s_and_saveexec_b32 s64, s23
	s_cbranch_execz .LBB5_1005
.LBB5_1253:                             ;   in Loop: Header=BB5_3 Depth=1
	ds_load_b32 v27, v45 offset:3328
	ds_load_b32 v78, v44 offset:3892
	s_wait_dscnt 0x0
	v_fmac_f32_e32 v26, v27, v78
	s_or_b32 exec_lo, exec_lo, s64
	s_and_saveexec_b32 s64, s2
	s_cbranch_execz .LBB5_1006
.LBB5_1254:                             ;   in Loop: Header=BB5_3 Depth=1
	ds_load_b32 v27, v45 offset:3584
	ds_load_b32 v78, v44 offset:3896
	s_wait_dscnt 0x0
	v_fmac_f32_e32 v26, v27, v78
	s_or_b32 exec_lo, exec_lo, s64
	s_and_saveexec_b32 s64, s18
	s_cbranch_execnz .LBB5_1007
	s_branch .LBB5_1008
.LBB5_1255:                             ;   in Loop: Header=BB5_3 Depth=1
	ds_load_b32 v27, v37 offset:1280
	ds_load_b32 v78, v36 offset:1812
	s_wait_dscnt 0x0
	v_fmac_f32_e32 v26, v27, v78
	s_or_b32 exec_lo, exec_lo, s64
	s_and_saveexec_b32 s64, s18
	s_cbranch_execz .LBB5_1064
.LBB5_1256:                             ;   in Loop: Header=BB5_3 Depth=1
	ds_load_b32 v27, v37 offset:1536
	ds_load_b32 v78, v36 offset:1816
	s_wait_dscnt 0x0
	v_fmac_f32_e32 v26, v27, v78
	s_or_b32 exec_lo, exec_lo, s64
	s_and_saveexec_b32 s64, s0
	s_cbranch_execnz .LBB5_1065
	s_branch .LBB5_1066
.LBB5_1257:
	s_endpgm
	.section	.rodata,"a",@progbits
	.p2align	6, 0x0
	.amdhsa_kernel _ZL19rocblas_trsv_deviceILi64ELi16ELb0ELb1ELb0ELb0EfPKfS1_PfEviT7_lllT6_T8_lllPii
		.amdhsa_group_segment_fixed_size 20740
		.amdhsa_private_segment_fixed_size 0
		.amdhsa_kernarg_size 352
		.amdhsa_user_sgpr_count 2
		.amdhsa_user_sgpr_dispatch_ptr 0
		.amdhsa_user_sgpr_queue_ptr 0
		.amdhsa_user_sgpr_kernarg_segment_ptr 1
		.amdhsa_user_sgpr_dispatch_id 0
		.amdhsa_user_sgpr_kernarg_preload_length 0
		.amdhsa_user_sgpr_kernarg_preload_offset 0
		.amdhsa_user_sgpr_private_segment_size 0
		.amdhsa_wavefront_size32 1
		.amdhsa_uses_dynamic_stack 0
		.amdhsa_enable_private_segment 0
		.amdhsa_system_sgpr_workgroup_id_x 1
		.amdhsa_system_sgpr_workgroup_id_y 0
		.amdhsa_system_sgpr_workgroup_id_z 1
		.amdhsa_system_sgpr_workgroup_info 0
		.amdhsa_system_vgpr_workitem_id 1
		.amdhsa_next_free_vgpr 88
		.amdhsa_next_free_sgpr 105
		.amdhsa_named_barrier_count 0
		.amdhsa_reserve_vcc 1
		.amdhsa_float_round_mode_32 0
		.amdhsa_float_round_mode_16_64 0
		.amdhsa_float_denorm_mode_32 3
		.amdhsa_float_denorm_mode_16_64 3
		.amdhsa_fp16_overflow 0
		.amdhsa_memory_ordered 1
		.amdhsa_forward_progress 1
		.amdhsa_inst_pref_size 255
		.amdhsa_round_robin_scheduling 0
		.amdhsa_exception_fp_ieee_invalid_op 0
		.amdhsa_exception_fp_denorm_src 0
		.amdhsa_exception_fp_ieee_div_zero 0
		.amdhsa_exception_fp_ieee_overflow 0
		.amdhsa_exception_fp_ieee_underflow 0
		.amdhsa_exception_fp_ieee_inexact 0
		.amdhsa_exception_int_div_zero 0
	.end_amdhsa_kernel
	.section	.text._ZL19rocblas_trsv_deviceILi64ELi16ELb0ELb1ELb0ELb0EfPKfS1_PfEviT7_lllT6_T8_lllPii,"axG",@progbits,_ZL19rocblas_trsv_deviceILi64ELi16ELb0ELb1ELb0ELb0EfPKfS1_PfEviT7_lllT6_T8_lllPii,comdat
.Lfunc_end5:
	.size	_ZL19rocblas_trsv_deviceILi64ELi16ELb0ELb1ELb0ELb0EfPKfS1_PfEviT7_lllT6_T8_lllPii, .Lfunc_end5-_ZL19rocblas_trsv_deviceILi64ELi16ELb0ELb1ELb0ELb0EfPKfS1_PfEviT7_lllT6_T8_lllPii
                                        ; -- End function
	.set _ZL19rocblas_trsv_deviceILi64ELi16ELb0ELb1ELb0ELb0EfPKfS1_PfEviT7_lllT6_T8_lllPii.num_vgpr, 88
	.set _ZL19rocblas_trsv_deviceILi64ELi16ELb0ELb1ELb0ELb0EfPKfS1_PfEviT7_lllT6_T8_lllPii.num_agpr, 0
	.set _ZL19rocblas_trsv_deviceILi64ELi16ELb0ELb1ELb0ELb0EfPKfS1_PfEviT7_lllT6_T8_lllPii.numbered_sgpr, 105
	.set _ZL19rocblas_trsv_deviceILi64ELi16ELb0ELb1ELb0ELb0EfPKfS1_PfEviT7_lllT6_T8_lllPii.num_named_barrier, 0
	.set _ZL19rocblas_trsv_deviceILi64ELi16ELb0ELb1ELb0ELb0EfPKfS1_PfEviT7_lllT6_T8_lllPii.private_seg_size, 0
	.set _ZL19rocblas_trsv_deviceILi64ELi16ELb0ELb1ELb0ELb0EfPKfS1_PfEviT7_lllT6_T8_lllPii.uses_vcc, 1
	.set _ZL19rocblas_trsv_deviceILi64ELi16ELb0ELb1ELb0ELb0EfPKfS1_PfEviT7_lllT6_T8_lllPii.uses_flat_scratch, 0
	.set _ZL19rocblas_trsv_deviceILi64ELi16ELb0ELb1ELb0ELb0EfPKfS1_PfEviT7_lllT6_T8_lllPii.has_dyn_sized_stack, 0
	.set _ZL19rocblas_trsv_deviceILi64ELi16ELb0ELb1ELb0ELb0EfPKfS1_PfEviT7_lllT6_T8_lllPii.has_recursion, 0
	.set _ZL19rocblas_trsv_deviceILi64ELi16ELb0ELb1ELb0ELb0EfPKfS1_PfEviT7_lllT6_T8_lllPii.has_indirect_call, 0
	.section	.AMDGPU.csdata,"",@progbits
; Kernel info:
; codeLenInByte = 42580
; TotalNumSgprs: 107
; NumVgprs: 88
; ScratchSize: 0
; MemoryBound: 0
; FloatMode: 240
; IeeeMode: 1
; LDSByteSize: 20740 bytes/workgroup (compile time only)
; SGPRBlocks: 0
; VGPRBlocks: 5
; NumSGPRsForWavesPerEU: 107
; NumVGPRsForWavesPerEU: 88
; NamedBarCnt: 0
; Occupancy: 10
; WaveLimiterHint : 0
; COMPUTE_PGM_RSRC2:SCRATCH_EN: 0
; COMPUTE_PGM_RSRC2:USER_SGPR: 2
; COMPUTE_PGM_RSRC2:TRAP_HANDLER: 0
; COMPUTE_PGM_RSRC2:TGID_X_EN: 1
; COMPUTE_PGM_RSRC2:TGID_Y_EN: 0
; COMPUTE_PGM_RSRC2:TGID_Z_EN: 1
; COMPUTE_PGM_RSRC2:TIDIG_COMP_CNT: 1
	.section	.text._ZL19rocblas_trsv_deviceILi64ELi16ELb0ELb1ELb1ELb0EfPKfS1_PfEviT7_lllT6_T8_lllPii,"axG",@progbits,_ZL19rocblas_trsv_deviceILi64ELi16ELb0ELb1ELb1ELb0EfPKfS1_PfEviT7_lllT6_T8_lllPii,comdat
	.globl	_ZL19rocblas_trsv_deviceILi64ELi16ELb0ELb1ELb1ELb0EfPKfS1_PfEviT7_lllT6_T8_lllPii ; -- Begin function _ZL19rocblas_trsv_deviceILi64ELi16ELb0ELb1ELb1ELb0EfPKfS1_PfEviT7_lllT6_T8_lllPii
	.p2align	8
	.type	_ZL19rocblas_trsv_deviceILi64ELi16ELb0ELb1ELb1ELb0EfPKfS1_PfEviT7_lllT6_T8_lllPii,@function
_ZL19rocblas_trsv_deviceILi64ELi16ELb0ELb1ELb1ELb0EfPKfS1_PfEviT7_lllT6_T8_lllPii: ; @_ZL19rocblas_trsv_deviceILi64ELi16ELb0ELb1ELb1ELb0EfPKfS1_PfEviT7_lllT6_T8_lllPii
; %bb.0:
	s_load_b32 s6, s[0:1], 0x58
	s_bfe_u32 s2, ttmp6, 0x40014
	s_lshr_b32 s3, ttmp7, 16
	s_add_co_i32 s2, s2, 1
	s_bfe_u32 s5, ttmp6, 0x40008
	s_mul_i32 s4, s3, s2
	s_getreg_b32 s2, hwreg(HW_REG_IB_STS2, 6, 4)
	s_add_co_i32 s5, s5, s4
	s_cmp_eq_u32 s2, 0
	s_mov_b32 s81, 0
	s_cselect_b32 s80, s3, s5
                                        ; implicit-def: $vgpr87 : SGPR spill to VGPR lane
	s_wait_kmcnt 0x0
	s_cmp_ge_u32 s80, s6
	v_writelane_b32 v87, s6, 0
	s_cbranch_scc1 .LBB6_1257
; %bb.1:
	s_clause 0x2
	s_load_b512 s[60:75], s[0:1], 0x8
	s_load_b32 s3, s[0:1], 0x6c
	s_load_b32 s87, s[0:1], 0x0
	s_bfe_u32 s5, ttmp6, 0x4000c
	s_and_b32 s4, ttmp6, 15
	s_add_co_i32 s5, s5, 1
	s_load_b128 s[76:79], s[0:1], 0x48
	s_wait_xcnt 0x0
	s_mul_i32 s0, ttmp9, s5
	v_and_b32_e32 v4, 0x3ff, v0
	s_add_co_i32 s6, s4, s0
	v_bfe_u32 v28, v0, 10, 10
	v_mov_b32_e32 v3, 0
                                        ; implicit-def: $vgpr86 : SGPR spill to VGPR lane
                                        ; implicit-def: $vgpr85 : SGPR spill to VGPR lane
                                        ; implicit-def: $vgpr84 : SGPR spill to VGPR lane
                                        ; implicit-def: $vgpr76
                                        ; implicit-def: $vgpr77
	v_lshrrev_b32_e32 v19, 10, v0
	v_lshlrev_b32_e32 v1, 6, v4
	v_mul_i32_i24_e32 v73, 0xffffff04, v4
	v_lshl_add_u32 v24, v28, 6, v4
	v_dual_mov_b32 v7, v3 :: v_dual_mov_b32 v5, v3
	v_dual_add_nc_u32 v74, 32, v28 :: v_dual_add_nc_u32 v75, 48, v28
	s_wait_kmcnt 0x0
	s_lshl_b64 s[0:1], s[62:63], 2
	s_lshl_b64 s[4:5], s[72:73], 2
	s_cmp_eq_u32 s2, 0
	s_add_nc_u64 s[0:1], s[60:61], s[0:1]
	s_cselect_b32 s88, ttmp9, s6
	s_and_b32 s2, s3, 0xffff
	s_add_co_i32 s3, s87, -1
	s_ashr_i32 s6, s87, 31
	v_writelane_b32 v87, s0, 1
	s_ashr_i32 s7, s3, 31
	s_lshr_b32 s6, s6, 26
	s_lshr_b32 s7, s7, 26
	s_add_co_i32 s6, s87, s6
	s_add_co_i32 s3, s3, s7
	v_writelane_b32 v87, s1, 2
	s_and_not1_b32 s6, s6, 63
	s_ashr_i32 s3, s3, 6
	s_sub_co_i32 s15, s87, s6
	s_add_nc_u64 s[4:5], s[70:71], s[4:5]
	s_cmp_eq_u32 s3, s88
	v_writelane_b32 v87, s4, 3
	s_cselect_b32 s0, -1, 0
	s_cmp_lg_u32 s15, 0
	v_mad_u32_u24 v6, v28, s2, v4
	s_cselect_b32 s1, -1, 0
	v_writelane_b32 v87, s5, 4
	s_lshl_b32 s10, s88, 6
	v_sub_co_u32 v29, s2, s88, 1
	s_and_b32 s16, s1, s0
	v_dual_add_nc_u32 v2, v28, v1 :: v_dual_add_nc_u32 v18, s10, v28
	s_xor_b32 s0, s2, -1
	s_xor_b32 s90, s16, -1
	v_lshrrev_b32_e32 v13, 1, v24
	v_add_nc_u32_e32 v25, 16, v28
	v_add_nc_u32_e32 v16, s10, v4
	s_cmp_lt_i32 s88, 5
	v_writelane_b32 v87, s0, 5
	s_cselect_b32 vcc_lo, -1, 0
	s_add_nc_u64 s[0:1], s[64:65], 1
	v_subrev_nc_u32_e32 v8, 64, v18
	v_mad_nc_u64_u32 v[22:23], s0, s10, v[4:5]
	v_dual_add_nc_u32 v5, v25, v1 :: v_dual_ashrrev_i32 v17, 31, v16
	v_dual_cndmask_b32 v68, v24, v2, vcc_lo :: v_dual_lshlrev_b32 v2, 8, v13
	v_lshl_add_u32 v12, v25, 6, v4
	s_or_b32 vcc_lo, vcc_lo, s16
	v_ashrrev_i32_e32 v9, 31, v8
	v_lshl_add_u32 v21, v74, 6, v4
	s_delay_alu instid0(VALU_DEP_3)
	v_dual_cndmask_b32 v27, v12, v5 :: v_dual_sub_nc_u32 v30, 0, v2
	v_and_b32_e32 v12, 1, v0
	v_lshl_add_u32 v5, v13, 2, 0x4000
	s_ashr_i32 s11, s10, 31
	s_mul_i32 s1, s1, s10
	s_mul_i32 s0, s0, s11
	v_lshlrev_b32_e32 v31, 2, v12
	v_cmp_eq_u32_e64 s2, 1, v12
	v_cmp_eq_u32_e64 s3, 0, v12
	v_lshlrev_b32_e32 v12, 6, v24
	v_add3_u32 v23, s0, s1, v23
	v_cmp_gt_u32_e64 s0, 4, v24
	v_cmp_eq_u32_e64 s1, 0, v28
	v_cmp_gt_u32_e64 s4, 2, v4
	v_and_b32_e32 v12, 0xffffff00, v12
	v_lshrrev_b32_e32 v20, 5, v24
	s_and_b32 s92, s2, s0
	s_and_b32 s93, s3, s0
	v_cmp_gt_u32_e64 s2, 16, v24
	v_sub_nc_u32_e32 v36, 0, v12
	v_dual_lshlrev_b32 v32, 2, v4 :: v_dual_sub_nc_u32 v33, v31, v2
	v_and_b32_e32 v2, -4, v24
	s_and_b32 s94, s1, s4
	v_lshl_add_u32 v54, v75, 6, v4
	s_xor_b32 s91, vcc_lo, -1
	v_add_nc_u64_e32 v[14:15], s[10:11], v[6:7]
	v_add_nc_u32_e32 v35, 0x4000, v2
	v_lshrrev_b32_e32 v2, 3, v24
	v_and_b32_e32 v13, 3, v0
	v_bitop3_b32 v78, v0, v19, 0x3ff bitop3:0xa8
	v_subrev_nc_u32_e32 v19, 32, v18
	v_cmp_ne_u32_e64 s17, v4, v74
	v_cmp_ne_u32_e64 s18, v4, v75
	v_lshlrev_b32_e32 v37, 2, v13
	v_cmp_gt_u32_e64 s59, 0xf0, v24
	v_mad_u32_u24 v34, 0xfc, v4, v32
	v_mul_u64_e32 v[10:11], s[64:65], v[16:17]
	v_mul_u64_e32 v[14:15], s[74:75], v[14:15]
	v_dual_sub_nc_u32 v41, v37, v12 :: v_dual_lshlrev_b32 v12, 8, v2
	v_cmp_eq_u32_e64 s3, 3, v13
	v_cmp_ne_u32_e64 s4, 3, v13
	v_cmp_eq_u32_e64 s5, 2, v13
	v_cmp_gt_u32_e64 s6, 2, v13
	v_sub_nc_u32_e32 v44, 0, v12
	s_and_b32 s95, s3, s2
	v_cmp_eq_u32_e64 s3, 1, v13
	s_and_b32 s96, s4, s2
	v_cmp_eq_u32_e64 s4, 0, v13
	v_and_b32_e32 v13, 7, v0
	s_and_b32 s97, s5, s2
	s_and_b32 s99, s3, s2
	v_cmp_gt_u32_e64 s3, 4, v4
	s_and_b32 s100, s4, s2
	v_cmp_eq_u32_e64 s4, 7, v13
	v_cmp_ne_u32_e64 s5, 7, v13
	s_and_b32 s98, s6, s2
	s_and_b32 s101, s1, s3
	v_cmp_gt_u32_e64 s3, 64, v24
	v_cmp_eq_u32_e64 s6, 6, v13
	v_cmp_gt_u32_e64 s7, 4, v13
	v_lshlrev_b32_e32 v45, 2, v13
	v_lshl_add_u32 v43, v2, 2, 0x4000
	s_and_b32 s102, s4, s3
	v_cmp_gt_u32_e64 s4, 6, v13
	s_and_b32 s103, s5, s3
	v_cmp_eq_u32_e64 s5, 5, v13
	s_and_b32 s104, s6, s3
	v_cmp_gt_u32_e64 s6, 5, v13
	s_and_b32 vcc_hi, s4, s3
	v_cmp_eq_u32_e64 s4, 4, v13
	s_and_b32 s36, s5, s3
	v_cmp_eq_u32_e64 s5, 3, v13
	s_and_b32 s37, s6, s3
	s_and_b32 s39, s7, s3
	;; [unrolled: 1-line block ×3, first 2 shown]
	v_cmp_gt_u32_e64 s4, 3, v13
	v_cmp_eq_u32_e64 s6, 2, v13
	s_and_b32 s40, s5, s3
	v_cmp_gt_u32_e64 s5, 2, v13
	v_cmp_eq_u32_e64 s7, 1, v13
	s_and_b32 s41, s4, s3
	v_cmp_eq_u32_e64 s4, 0, v13
	v_and_b32_e32 v13, 15, v0
	v_lshrrev_b32_e32 v2, 4, v24
	s_and_b32 s43, s5, s3
	v_cmp_gt_u32_e64 s5, 8, v4
	s_and_b32 s42, s6, s3
	v_dual_lshlrev_b32 v52, 2, v13 :: v_dual_sub_nc_u32 v48, v45, v12
	v_lshlrev_b32_e32 v12, 8, v2
	s_and_b32 s44, s7, s3
	s_and_b32 s45, s4, s3
	;; [unrolled: 1-line block ×3, first 2 shown]
	v_cmp_gt_u32_e64 s4, 0x100, v24
	v_dual_sub_nc_u32 v51, 0, v12 :: v_dual_sub_nc_u32 v53, v52, v12
	v_add_nc_u32_e32 v12, v74, v1
	v_cmp_eq_u32_e64 s5, 15, v13
	v_cmp_ne_u32_e64 s6, 15, v13
	v_cmp_eq_u32_e64 s7, 14, v13
	v_cmp_gt_u32_e64 s8, 14, v13
	v_cmp_eq_u32_e64 s9, 13, v13
	s_and_b32 s47, s5, s4
	s_and_b32 s48, s6, s4
	;; [unrolled: 1-line block ×5, first 2 shown]
	v_cmp_gt_u32_e64 s5, 13, v13
	v_cmp_eq_u32_e64 s6, 12, v13
	v_cmp_gt_u32_e64 s7, 12, v13
	v_cmp_eq_u32_e64 s8, 11, v13
	v_cmp_gt_u32_e64 s9, 11, v13
	s_and_b32 s52, s5, s4
	s_and_b32 s53, s6, s4
	;; [unrolled: 1-line block ×5, first 2 shown]
	v_cmp_eq_u32_e64 s5, 10, v13
	v_cmp_gt_u32_e64 s6, 10, v13
	v_cmp_eq_u32_e64 s7, 9, v13
	v_cmp_gt_u32_e64 s8, 9, v13
	v_cmp_eq_u32_e64 s9, 8, v13
	s_and_b32 s57, s5, s4
	s_and_b32 s58, s6, s4
	;; [unrolled: 1-line block ×5, first 2 shown]
	v_cmp_gt_u32_e64 s5, 8, v13
	v_cmp_eq_u32_e64 s6, 7, v13
	v_cmp_gt_u32_e64 s7, 7, v13
	v_cmp_eq_u32_e64 s8, 6, v13
	v_cmp_gt_u32_e64 s9, 6, v13
	s_and_b32 s12, s5, s4
	s_and_b32 s13, s6, s4
	s_and_b32 s14, s7, s4
	s_and_b32 s24, s8, s4
	s_and_b32 s26, s9, s4
	v_cmp_eq_u32_e64 s5, 5, v13
	v_cmp_gt_u32_e64 s6, 5, v13
	v_cmp_eq_u32_e64 s7, 4, v13
	v_cmp_gt_u32_e64 s8, 4, v13
	v_cmp_eq_u32_e64 s9, 3, v13
	s_and_b32 s28, s5, s4
	s_and_b32 s30, s6, s4
	;; [unrolled: 1-line block ×5, first 2 shown]
	v_cmp_gt_u32_e64 s5, 3, v13
	v_cmp_eq_u32_e64 s6, 2, v13
	v_cmp_gt_u32_e64 s7, 2, v13
	v_cmp_eq_u32_e64 s8, 1, v13
	v_cmp_eq_u32_e64 s9, 0, v13
	v_and_b32_e32 v13, 31, v0
	v_lshl_add_u32 v50, v2, 2, 0x4000
	s_and_b32 s27, s5, s4
	s_and_b32 s31, s7, s4
	v_dual_add_nc_u32 v2, s10, v6 :: v_dual_add_nc_u32 v1, v75, v1
	v_cmp_gt_u32_e64 s5, 0x400, v24
	v_cmp_eq_u32_e64 s7, 31, v13
	s_and_b32 s29, s6, s4
	v_cmp_gt_u32_e64 s6, 16, v4
	v_dual_cndmask_b32 v70, v21, v12 :: v_dual_cndmask_b32 v71, v54, v1
	v_lshlrev_b32_e32 v1, 8, v20
	v_cmp_ne_u32_e32 vcc_lo, 31, v13
	s_and_b32 s7, s7, s5
	s_and_b32 s11, s1, s6
	v_writelane_b32 v87, s7, 6
	v_cmp_eq_u32_e64 s6, 30, v13
	s_and_b32 s7, vcc_lo, s5
	v_cmp_gt_u32_e32 vcc_lo, 30, v13
	s_and_b32 s34, s8, s4
	v_writelane_b32 v87, s7, 7
	s_and_b32 s6, s6, s5
	v_cmp_gt_u32_e64 s7, 29, v13
	s_and_b32 s10, vcc_lo, s5
	v_cmp_eq_u32_e64 s8, 28, v13
	v_writelane_b32 v87, s6, 8
	v_cmp_eq_u32_e64 s6, 29, v13
	s_and_b32 s86, s9, s4
	v_cmp_gt_u32_e64 s9, 28, v13
	v_cmp_eq_u32_e32 vcc_lo, 27, v13
	v_writelane_b32 v87, s10, 9
	s_and_b32 s6, s6, s5
	v_dual_lshlrev_b32 v60, 2, v13 :: v_dual_lshlrev_b32 v72, 2, v28
	v_cmp_le_i32_e64 s10, s15, v75
	v_writelane_b32 v87, s6, 10
	s_and_b32 s6, s7, s5
	v_cmp_gt_i32_e64 s7, s87, v8
	v_or_b32_e32 v62, 0x5000, v72
	v_mad_i32_i24 v38, 0xffffff04, v4, v34
	v_writelane_b32 v87, s6, 11
	s_and_b32 s6, s8, s5
	v_dual_sub_nc_u32 v59, 0, v1 :: v_dual_sub_nc_u32 v61, v60, v1
	v_add_nc_u32_e32 v67, v62, v32
	v_writelane_b32 v87, s6, 12
	s_and_b32 s6, s9, s5
	v_mad_u32_u24 v39, 0xfc, v4, v38
	v_mul_u64_e32 v[0:1], s[74:75], v[16:17]
	v_mul_lo_u32 v73, v73, 6
	v_writelane_b32 v87, s6, 13
	s_and_b32 s6, vcc_lo, s5
	v_cmp_gt_u32_e32 vcc_lo, 27, v13
	v_mad_i32_i24 v40, 0xffffff04, v4, v39
	v_lshl_add_u32 v7, v20, 2, 0x4000
	v_writelane_b32 v87, s6, 14
	v_mad_nc_u64_u32 v[20:21], s64, v74, v[22:23]
	s_and_b32 s6, vcc_lo, s5
	v_cmp_eq_u32_e32 vcc_lo, 26, v13
	v_mad_u32_u24 v42, 0xfc, v4, v40
	v_writelane_b32 v87, s6, 15
	v_mul_u32_u24_e32 v26, 0xfc, v4
	v_dual_lshlrev_b32 v68, 2, v68 :: v_dual_lshlrev_b32 v69, 2, v27
	s_and_b32 s6, vcc_lo, s5
	v_cmp_gt_u32_e32 vcc_lo, 26, v13
	v_writelane_b32 v87, s6, 16
	v_mad_i32_i24 v46, 0xffffff04, v4, v42
	v_mad_u32 v26, v26, 7, v73
	v_dual_lshlrev_b32 v71, 2, v71 :: v_dual_bitop2_b32 v27, v74, v4 bitop3:0x54
	s_and_b32 s6, vcc_lo, s5
	v_cmp_eq_u32_e32 vcc_lo, 25, v13
	v_writelane_b32 v87, s6, 17
	v_mad_u32_u24 v47, 0xfc, v4, v46
	v_mad_u32 v21, s65, v74, v21
	v_mul_u32_u24_e32 v73, 0xf8, v4
	s_and_b32 s6, vcc_lo, s5
	v_cmp_gt_u32_e32 vcc_lo, 25, v13
	v_writelane_b32 v87, s6, 18
	v_mad_i32_i24 v49, 0xffffff04, v4, v47
	v_dual_sub_nc_u32 v73, v26, v73 :: v_dual_bitop2_b32 v79, v75, v4 bitop3:0x54
	s_and_b32 s6, vcc_lo, s5
	v_cmp_eq_u32_e32 vcc_lo, 24, v13
	v_writelane_b32 v87, s6, 19
	v_mad_u32_u24 v54, 0xfc, v4, v49
	v_lshl_add_u32 v63, v6, 2, 0x5000
	v_lshl_add_u32 v64, v24, 2, 0x4000
	s_and_b32 s6, vcc_lo, s5
	v_cmp_gt_u32_e32 vcc_lo, 24, v13
	v_writelane_b32 v87, s6, 20
	v_mad_i32_i24 v55, 0xffffff04, v4, v54
	v_add_nc_u32_e32 v65, 0x4000, v32
	v_cmp_gt_u32_e64 s19, 56, v24
	s_and_b32 s6, vcc_lo, s5
	v_cmp_eq_u32_e32 vcc_lo, 23, v13
	v_writelane_b32 v87, s6, 21
	v_mad_u32_u24 v56, 0xfc, v4, v55
	v_lshl_add_u32 v66, v28, 8, v55
	v_cmp_gt_u32_e64 s20, 48, v24
	s_and_b32 s6, vcc_lo, s5
	v_cmp_gt_u32_e32 vcc_lo, 23, v13
	v_writelane_b32 v87, s6, 22
	v_mad_i32_i24 v57, 0xffffff04, v4, v56
	v_cmp_gt_u32_e64 s21, 40, v24
	v_cmp_gt_u32_e64 s22, 32, v24
	s_and_b32 s6, vcc_lo, s5
	v_cmp_eq_u32_e32 vcc_lo, 22, v13
	v_writelane_b32 v87, s6, 23
	v_mad_u32_u24 v58, 0xfc, v4, v57
	v_cmp_gt_u32_e64 s23, 24, v24
	v_cmp_gt_u32_e64 s60, 64, v6
	s_and_b32 s6, vcc_lo, s5
	v_cmp_gt_u32_e32 vcc_lo, 22, v13
	v_writelane_b32 v87, s6, 24
	v_dual_add_nc_u32 v72, v58, v72 :: v_dual_lshlrev_b32 v70, 2, v70
	s_and_b32 s6, vcc_lo, s5
	v_cmp_eq_u32_e32 vcc_lo, 21, v13
	v_writelane_b32 v87, s6, 25
	s_and_b32 s6, vcc_lo, s5
	v_cmp_gt_u32_e32 vcc_lo, 21, v13
	v_writelane_b32 v87, s6, 26
	s_and_b32 s6, vcc_lo, s5
	v_cmp_eq_u32_e32 vcc_lo, 20, v13
	v_writelane_b32 v87, s6, 27
	s_and_b32 s6, vcc_lo, s5
	v_cmp_gt_u32_e32 vcc_lo, 20, v13
	v_writelane_b32 v87, s6, 28
	;; [unrolled: 6-line block ×20, first 2 shown]
	s_and_b32 s6, vcc_lo, s5
	v_cmp_eq_u32_e32 vcc_lo, 1, v13
	v_writelane_b32 v85, s6, 1
	s_and_b32 s6, vcc_lo, s5
	v_cmp_eq_u32_e32 vcc_lo, 0, v13
	v_writelane_b32 v85, s6, 2
	v_mul_u64_e32 v[12:13], s[74:75], v[2:3]
	v_subrev_nc_u32_e32 v2, 48, v18
	s_and_b32 s72, vcc_lo, s5
	v_cmp_gt_u32_e32 vcc_lo, 32, v4
	s_and_b32 s6, s1, vcc_lo
	v_cmp_le_i32_e32 vcc_lo, s15, v4
	v_writelane_b32 v85, s6, 3
	s_and_b32 s6, vcc_lo, s16
	s_delay_alu instid0(SALU_CYCLE_1) | instskip(SKIP_1) | instid1(SALU_CYCLE_1)
	v_writelane_b32 v85, s6, 4
	s_xor_b32 s6, s6, -1
	s_and_b32 s73, s1, s6
	v_cmp_gt_i32_e64 s6, s15, v4
	s_cmp_gt_i32 s88, 0
	s_cselect_b32 s70, -1, 0
	s_and_b32 s6, s1, s6
	s_delay_alu instid0(SALU_CYCLE_1) | instskip(SKIP_3) | instid1(SALU_CYCLE_1)
	v_writelane_b32 v85, s6, 5
	v_cmp_gt_i32_e64 s6, s87, v16
	v_mad_nc_u64_u32 v[16:17], s64, v28, v[22:23]
	s_and_b32 s7, s7, s6
	v_writelane_b32 v85, s7, 6
	v_cmp_gt_i32_e64 s7, s87, v2
	v_add_nc_u32_e32 v2, -16, v18
	s_delay_alu instid0(VALU_DEP_4) | instskip(SKIP_1) | instid1(SALU_CYCLE_1)
	v_mad_u32 v17, s65, v28, v17
	s_and_b32 s7, s7, s6
	v_writelane_b32 v85, s7, 7
	v_cmp_gt_i32_e64 s7, s87, v19
	v_mad_nc_u64_u32 v[18:19], s64, v25, v[22:23]
	v_mad_nc_u64_u32 v[22:23], s64, v75, v[22:23]
	v_cmp_gt_u32_e64 s64, 64, v78
	s_and_b32 s7, s7, s6
	s_delay_alu instid0(SALU_CYCLE_1)
	v_writelane_b32 v85, s7, 8
	v_cmp_gt_i32_e64 s7, s87, v2
	v_or_b32_e32 v2, v25, v4
	v_mad_u32 v19, s65, v25, v19
	s_and_b32 s7, s7, s6
	v_mad_u32 v23, s65, v75, v23
	v_writelane_b32 v85, s7, 9
	v_cmp_le_i32_e64 s7, s15, v28
	s_or_b32 s8, s7, vcc_lo
	v_cmp_ge_u32_e64 s7, v4, v28
	s_or_b32 s8, s8, s7
	s_delay_alu instid0(SALU_CYCLE_1) | instskip(SKIP_4) | instid1(SALU_CYCLE_1)
	v_writelane_b32 v85, s8, 10
	v_cmp_le_i32_e64 s8, s15, v25
	s_or_b32 s9, s8, vcc_lo
	v_cmp_ge_u32_e64 s8, v4, v25
	s_or_b32 s9, s9, s8
	v_writelane_b32 v85, s9, 11
	v_cmp_le_i32_e64 s9, s15, v74
	s_or_b32 s16, s9, vcc_lo
	v_cmp_ge_u32_e64 s9, v4, v74
                                        ; implicit-def: $vgpr74
	s_or_b32 s15, s16, s9
	v_cmp_ne_u32_e64 s16, v4, v25
	v_writelane_b32 v85, s15, 12
	s_or_b32 s15, s10, vcc_lo
	v_cmp_ge_u32_e64 s10, v4, v75
                                        ; implicit-def: $vgpr75
	s_or_b32 s15, s15, s10
	s_delay_alu instid0(SALU_CYCLE_1) | instskip(SKIP_1) | instid1(VALU_DEP_1)
	v_writelane_b32 v85, s15, 13
	v_cmp_ne_u32_e64 s15, v4, v28
	v_writelane_b32 v85, s15, 14
	s_or_b32 s15, vcc_lo, s15
	s_delay_alu instid0(SALU_CYCLE_1)
	v_writelane_b32 v85, s15, 15
	s_or_b32 s15, vcc_lo, s16
	v_writelane_b32 v85, s16, 16
	v_cmp_gt_u32_e64 s16, 2, v24
	v_writelane_b32 v85, s15, 17
	s_or_b32 s15, vcc_lo, s17
	v_writelane_b32 v85, s17, 18
	v_cmp_gt_u32_e64 s17, 12, v24
	v_writelane_b32 v85, s15, 19
	s_or_b32 s15, vcc_lo, s18
	v_writelane_b32 v85, s18, 20
	v_cmp_gt_u32_e64 s18, 8, v24
	v_writelane_b32 v85, s15, 21
	v_cmp_eq_u32_e64 s15, 0, v78
	v_writelane_b32 v85, s59, 22
	v_cmp_gt_u32_e64 s59, 0xe0, v24
	s_delay_alu instid0(VALU_DEP_1) | instskip(SKIP_1) | instid1(VALU_DEP_1)
	v_writelane_b32 v85, s59, 23
	v_cmp_gt_u32_e64 s59, 0xd0, v24
	v_writelane_b32 v85, s59, 24
	v_cmp_gt_u32_e64 s59, 0xc0, v24
	s_delay_alu instid0(VALU_DEP_1) | instskip(SKIP_1) | instid1(VALU_DEP_1)
	v_writelane_b32 v85, s59, 25
	v_cmp_gt_u32_e64 s59, 0xb0, v24
	;; [unrolled: 5-line block ×16, first 2 shown]
	v_writelane_b32 v84, s59, 22
	v_cmp_gt_u32_e64 s59, 0x120, v24
	s_delay_alu instid0(VALU_DEP_1) | instskip(SKIP_3) | instid1(VALU_DEP_1)
	v_writelane_b32 v84, s59, 23
	v_cmp_eq_u32_e64 s59, 0, v6
	v_writelane_b32 v84, s64, 24
	v_cmp_gt_u32_e64 s64, 64, v2
	v_writelane_b32 v84, s64, 25
	v_cmp_gt_u32_e64 s64, 64, v27
	s_delay_alu instid0(VALU_DEP_1) | instskip(SKIP_1) | instid1(VALU_DEP_1)
	v_writelane_b32 v84, s64, 26
	v_cmp_gt_u32_e64 s64, 64, v79
	v_writelane_b32 v84, s64, 27
	s_branch .LBB6_3
.LBB6_2:                                ;   in Loop: Header=BB6_3 Depth=1
	s_wait_xcnt 0x0
	s_or_b32 exec_lo, exec_lo, s64
	v_readlane_b32 s64, v87, 0
	s_add_co_i32 s80, s80, 0x10000
	global_wb scope:SCOPE_DEV
	s_wait_storecnt 0x0
	global_inv scope:SCOPE_DEV
	s_cmp_lt_u32 s80, s64
	s_cbranch_scc0 .LBB6_1257
.LBB6_3:                                ; =>This Loop Header: Depth=1
                                        ;     Child Loop BB6_1110 Depth 2
                                        ;       Child Loop BB6_1112 Depth 3
                                        ;     Child Loop BB6_1147 Depth 2
	global_load_b32 v2, v3, s[68:69]
	v_readlane_b32 s82, v87, 1
	v_readlane_b32 s83, v87, 2
	s_mul_u64 s[64:65], s[66:67], s[80:81]
	s_delay_alu instid0(SALU_CYCLE_1) | instskip(NEXT) | instid1(SALU_CYCLE_1)
	s_lshl_b64 s[64:65], s[64:65], 2
	s_add_nc_u64 s[82:83], s[82:83], s[64:65]
	v_readlane_b32 s64, v87, 5
	v_lshl_add_u64 v[24:25], v[10:11], 2, s[82:83]
	s_and_not1_b32 vcc_lo, exec_lo, s64
	s_cbranch_vccz .LBB6_6
; %bb.4:                                ;   in Loop: Header=BB6_3 Depth=1
	s_and_not1_b32 vcc_lo, exec_lo, s90
	s_mov_b32 s64, -1
	s_cbranch_vccz .LBB6_15
.LBB6_5:                                ;   in Loop: Header=BB6_3 Depth=1
	s_and_b32 vcc_lo, exec_lo, s64
	s_cbranch_vccnz .LBB6_25
	s_branch .LBB6_66
.LBB6_6:                                ;   in Loop: Header=BB6_3 Depth=1
	s_delay_alu instid0(VALU_DEP_1)
	v_lshl_add_u64 v[26:27], v[8:9], 2, v[24:25]
	v_dual_mov_b32 v75, 0 :: v_dual_mov_b32 v74, 0
	s_wait_loadcnt 0x0
	s_barrier_signal -1
	s_barrier_wait -1
	s_wait_xcnt 0x0
	s_mov_b32 s64, exec_lo
	v_readlane_b32 s65, v85, 6
	s_and_b32 s65, s64, s65
	s_delay_alu instid0(SALU_CYCLE_1)
	s_mov_b32 exec_lo, s65
	s_cbranch_execz .LBB6_8
; %bb.7:                                ;   in Loop: Header=BB6_3 Depth=1
	global_load_b32 v74, v[26:27], off
.LBB6_8:                                ;   in Loop: Header=BB6_3 Depth=1
	s_wait_xcnt 0x0
	s_or_b32 exec_lo, exec_lo, s64
	s_wait_loadcnt 0x0
	s_barrier_signal -1
	s_barrier_wait -1
	s_mov_b32 s64, exec_lo
	v_readlane_b32 s65, v85, 7
	s_and_b32 s65, s64, s65
	s_delay_alu instid0(SALU_CYCLE_1)
	s_mov_b32 exec_lo, s65
	s_cbranch_execz .LBB6_10
; %bb.9:                                ;   in Loop: Header=BB6_3 Depth=1
	global_load_b32 v75, v[26:27], off offset:64
.LBB6_10:                               ;   in Loop: Header=BB6_3 Depth=1
	s_wait_xcnt 0x0
	s_or_b32 exec_lo, exec_lo, s64
	v_dual_mov_b32 v77, 0 :: v_dual_mov_b32 v76, 0
	s_wait_loadcnt 0x0
	s_barrier_signal -1
	s_barrier_wait -1
	s_mov_b32 s64, exec_lo
	v_readlane_b32 s65, v85, 8
	s_and_b32 s65, s64, s65
	s_delay_alu instid0(SALU_CYCLE_1)
	s_mov_b32 exec_lo, s65
	s_cbranch_execz .LBB6_12
; %bb.11:                               ;   in Loop: Header=BB6_3 Depth=1
	global_load_b32 v76, v[26:27], off offset:128
.LBB6_12:                               ;   in Loop: Header=BB6_3 Depth=1
	s_wait_xcnt 0x0
	s_or_b32 exec_lo, exec_lo, s64
	s_wait_loadcnt 0x0
	s_barrier_signal -1
	s_barrier_wait -1
	s_mov_b32 s64, exec_lo
	v_readlane_b32 s65, v85, 9
	s_and_b32 s65, s64, s65
	s_delay_alu instid0(SALU_CYCLE_1)
	s_mov_b32 exec_lo, s65
	s_cbranch_execz .LBB6_14
; %bb.13:                               ;   in Loop: Header=BB6_3 Depth=1
	global_load_b32 v77, v[26:27], off offset:192
.LBB6_14:                               ;   in Loop: Header=BB6_3 Depth=1
	s_wait_xcnt 0x0
	s_or_b32 exec_lo, exec_lo, s64
	s_delay_alu instid0(SALU_CYCLE_1)
	s_and_not1_b32 vcc_lo, exec_lo, s90
	s_mov_b32 s64, -1
	s_cbranch_vccnz .LBB6_5
.LBB6_15:                               ;   in Loop: Header=BB6_3 Depth=1
	s_wait_xcnt 0x0
	s_and_saveexec_b32 s64, s7
	s_delay_alu instid0(SALU_CYCLE_1)
	s_xor_b32 s65, exec_lo, s64
	s_cbranch_execnz .LBB6_1168
; %bb.16:                               ;   in Loop: Header=BB6_3 Depth=1
	s_and_not1_saveexec_b32 s64, s65
	s_cbranch_execnz .LBB6_1175
.LBB6_17:                               ;   in Loop: Header=BB6_3 Depth=1
	s_or_b32 exec_lo, exec_lo, s64
	s_and_saveexec_b32 s64, s8
	s_delay_alu instid0(SALU_CYCLE_1)
	s_xor_b32 s65, exec_lo, s64
	s_cbranch_execnz .LBB6_1176
.LBB6_18:                               ;   in Loop: Header=BB6_3 Depth=1
	s_and_not1_saveexec_b32 s64, s65
	s_cbranch_execnz .LBB6_1183
.LBB6_19:                               ;   in Loop: Header=BB6_3 Depth=1
	s_or_b32 exec_lo, exec_lo, s64
	s_and_saveexec_b32 s64, s9
	s_delay_alu instid0(SALU_CYCLE_1)
	s_xor_b32 s65, exec_lo, s64
	s_cbranch_execnz .LBB6_1184
.LBB6_20:                               ;   in Loop: Header=BB6_3 Depth=1
	s_and_not1_saveexec_b32 s64, s65
	s_cbranch_execnz .LBB6_1191
.LBB6_21:                               ;   in Loop: Header=BB6_3 Depth=1
	s_or_b32 exec_lo, exec_lo, s64
	s_and_saveexec_b32 s64, s10
	s_delay_alu instid0(SALU_CYCLE_1)
	s_xor_b32 s65, exec_lo, s64
	s_cbranch_execnz .LBB6_1192
.LBB6_22:                               ;   in Loop: Header=BB6_3 Depth=1
	s_and_not1_saveexec_b32 s64, s65
	s_cbranch_execz .LBB6_24
.LBB6_23:                               ;   in Loop: Header=BB6_3 Depth=1
	v_lshl_add_u64 v[26:27], v[22:23], 2, s[82:83]
	global_load_b32 v26, v[26:27], off
	s_wait_loadcnt 0x0
	v_xor_b32_e32 v26, 0x80000000, v26
	ds_store_b32 v71, v26
.LBB6_24:                               ;   in Loop: Header=BB6_3 Depth=1
	s_or_b32 exec_lo, exec_lo, s64
	s_branch .LBB6_66
.LBB6_25:                               ;   in Loop: Header=BB6_3 Depth=1
	v_readlane_b32 s65, v85, 10
	s_wait_xcnt 0x0
	s_and_saveexec_b32 s64, s65
	s_delay_alu instid0(SALU_CYCLE_1)
	s_xor_b32 s65, exec_lo, s64
	s_cbranch_execz .LBB6_33
; %bb.26:                               ;   in Loop: Header=BB6_3 Depth=1
	s_mov_b32 s64, exec_lo
	v_readlane_b32 s71, v85, 15
	s_and_b32 s71, s64, s71
	s_delay_alu instid0(SALU_CYCLE_1)
	s_xor_b32 s64, s71, s64
	s_mov_b32 exec_lo, s71
	s_cbranch_execz .LBB6_30
; %bb.27:                               ;   in Loop: Header=BB6_3 Depth=1
	s_mov_b32 s71, exec_lo
	v_readlane_b32 s84, v84, 24
	s_and_b32 s84, s71, s84
	s_delay_alu instid0(SALU_CYCLE_1)
	s_mov_b32 exec_lo, s84
; %bb.28:                               ;   in Loop: Header=BB6_3 Depth=1
	ds_store_b32 v72, v3
; %bb.29:                               ;   in Loop: Header=BB6_3 Depth=1
	s_or_b32 exec_lo, exec_lo, s71
.LBB6_30:                               ;   in Loop: Header=BB6_3 Depth=1
	s_and_not1_saveexec_b32 s64, s64
	s_cbranch_execz .LBB6_32
; %bb.31:                               ;   in Loop: Header=BB6_3 Depth=1
	v_lshl_add_u64 v[26:27], v[16:17], 2, s[82:83]
	global_load_b32 v26, v[26:27], off
	s_wait_loadcnt 0x0
	v_div_scale_f32 v27, null, v26, v26, 1.0
	s_delay_alu instid0(VALU_DEP_1) | instskip(SKIP_1) | instid1(TRANS32_DEP_1)
	v_rcp_f32_e32 v78, v27
	v_nop
	v_fma_f32 v79, -v27, v78, 1.0
	s_delay_alu instid0(VALU_DEP_1) | instskip(SKIP_1) | instid1(VALU_DEP_1)
	v_fmac_f32_e32 v78, v79, v78
	v_div_scale_f32 v79, vcc_lo, 1.0, v26, 1.0
	v_mul_f32_e32 v80, v79, v78
	s_delay_alu instid0(VALU_DEP_1) | instskip(NEXT) | instid1(VALU_DEP_1)
	v_fma_f32 v81, -v27, v80, v79
	v_fmac_f32_e32 v80, v81, v78
	s_delay_alu instid0(VALU_DEP_1) | instskip(NEXT) | instid1(VALU_DEP_1)
	v_fma_f32 v27, -v27, v80, v79
	v_div_fmas_f32 v27, v27, v78, v80
	s_delay_alu instid0(VALU_DEP_1)
	v_div_fixup_f32 v26, v27, v26, 1.0
	ds_store_b32 v72, v26
.LBB6_32:                               ;   in Loop: Header=BB6_3 Depth=1
	s_or_b32 exec_lo, exec_lo, s64
.LBB6_33:                               ;   in Loop: Header=BB6_3 Depth=1
	s_and_not1_saveexec_b32 s64, s65
	s_cbranch_execz .LBB6_35
; %bb.34:                               ;   in Loop: Header=BB6_3 Depth=1
	v_lshl_add_u64 v[26:27], v[16:17], 2, s[82:83]
	global_load_b32 v26, v[26:27], off
	s_wait_loadcnt 0x0
	v_xor_b32_e32 v26, 0x80000000, v26
	ds_store_b32 v72, v26
.LBB6_35:                               ;   in Loop: Header=BB6_3 Depth=1
	s_or_b32 exec_lo, exec_lo, s64
	v_readlane_b32 s65, v85, 11
	s_and_saveexec_b32 s64, s65
	s_delay_alu instid0(SALU_CYCLE_1)
	s_xor_b32 s65, exec_lo, s64
	s_cbranch_execz .LBB6_43
; %bb.36:                               ;   in Loop: Header=BB6_3 Depth=1
	s_mov_b32 s64, exec_lo
	v_readlane_b32 s71, v85, 17
	s_and_b32 s71, s64, s71
	s_delay_alu instid0(SALU_CYCLE_1)
	s_xor_b32 s64, s71, s64
	s_mov_b32 exec_lo, s71
	s_cbranch_execz .LBB6_40
; %bb.37:                               ;   in Loop: Header=BB6_3 Depth=1
	s_mov_b32 s71, exec_lo
	v_readlane_b32 s84, v84, 25
	s_and_b32 s84, s71, s84
	s_delay_alu instid0(SALU_CYCLE_1)
	s_mov_b32 exec_lo, s84
; %bb.38:                               ;   in Loop: Header=BB6_3 Depth=1
	ds_store_b32 v69, v3
; %bb.39:                               ;   in Loop: Header=BB6_3 Depth=1
	s_or_b32 exec_lo, exec_lo, s71
.LBB6_40:                               ;   in Loop: Header=BB6_3 Depth=1
	s_and_not1_saveexec_b32 s64, s64
	s_cbranch_execz .LBB6_42
; %bb.41:                               ;   in Loop: Header=BB6_3 Depth=1
	v_lshl_add_u64 v[26:27], v[18:19], 2, s[82:83]
	global_load_b32 v26, v[26:27], off
	s_wait_loadcnt 0x0
	v_div_scale_f32 v27, null, v26, v26, 1.0
	s_delay_alu instid0(VALU_DEP_1) | instskip(SKIP_1) | instid1(TRANS32_DEP_1)
	v_rcp_f32_e32 v78, v27
	v_nop
	v_fma_f32 v79, -v27, v78, 1.0
	s_delay_alu instid0(VALU_DEP_1) | instskip(SKIP_1) | instid1(VALU_DEP_1)
	v_fmac_f32_e32 v78, v79, v78
	v_div_scale_f32 v79, vcc_lo, 1.0, v26, 1.0
	v_mul_f32_e32 v80, v79, v78
	s_delay_alu instid0(VALU_DEP_1) | instskip(NEXT) | instid1(VALU_DEP_1)
	v_fma_f32 v81, -v27, v80, v79
	v_fmac_f32_e32 v80, v81, v78
	s_delay_alu instid0(VALU_DEP_1) | instskip(NEXT) | instid1(VALU_DEP_1)
	v_fma_f32 v27, -v27, v80, v79
	v_div_fmas_f32 v27, v27, v78, v80
	s_delay_alu instid0(VALU_DEP_1)
	v_div_fixup_f32 v26, v27, v26, 1.0
	ds_store_b32 v69, v26
.LBB6_42:                               ;   in Loop: Header=BB6_3 Depth=1
	s_or_b32 exec_lo, exec_lo, s64
.LBB6_43:                               ;   in Loop: Header=BB6_3 Depth=1
	s_and_not1_saveexec_b32 s64, s65
	s_cbranch_execz .LBB6_45
; %bb.44:                               ;   in Loop: Header=BB6_3 Depth=1
	v_lshl_add_u64 v[26:27], v[18:19], 2, s[82:83]
	global_load_b32 v26, v[26:27], off
	s_wait_loadcnt 0x0
	v_xor_b32_e32 v26, 0x80000000, v26
	ds_store_b32 v69, v26
.LBB6_45:                               ;   in Loop: Header=BB6_3 Depth=1
	s_or_b32 exec_lo, exec_lo, s64
	v_readlane_b32 s65, v85, 12
	;; [unrolled: 61-line block ×3, first 2 shown]
	s_and_saveexec_b32 s64, s65
	s_delay_alu instid0(SALU_CYCLE_1)
	s_xor_b32 s65, exec_lo, s64
	s_cbranch_execz .LBB6_63
; %bb.56:                               ;   in Loop: Header=BB6_3 Depth=1
	s_mov_b32 s64, exec_lo
	v_readlane_b32 s71, v85, 21
	s_and_b32 s71, s64, s71
	s_delay_alu instid0(SALU_CYCLE_1)
	s_xor_b32 s64, s71, s64
	s_mov_b32 exec_lo, s71
	s_cbranch_execz .LBB6_60
; %bb.57:                               ;   in Loop: Header=BB6_3 Depth=1
	s_mov_b32 s71, exec_lo
	v_readlane_b32 s84, v84, 27
	s_and_b32 s84, s71, s84
	s_delay_alu instid0(SALU_CYCLE_1)
	s_mov_b32 exec_lo, s84
; %bb.58:                               ;   in Loop: Header=BB6_3 Depth=1
	ds_store_b32 v71, v3
; %bb.59:                               ;   in Loop: Header=BB6_3 Depth=1
	s_or_b32 exec_lo, exec_lo, s71
.LBB6_60:                               ;   in Loop: Header=BB6_3 Depth=1
	s_and_not1_saveexec_b32 s64, s64
	s_cbranch_execz .LBB6_62
; %bb.61:                               ;   in Loop: Header=BB6_3 Depth=1
	v_lshl_add_u64 v[26:27], v[22:23], 2, s[82:83]
	global_load_b32 v26, v[26:27], off
	s_wait_loadcnt 0x0
	v_div_scale_f32 v27, null, v26, v26, 1.0
	s_delay_alu instid0(VALU_DEP_1) | instskip(SKIP_1) | instid1(TRANS32_DEP_1)
	v_rcp_f32_e32 v78, v27
	v_nop
	v_fma_f32 v79, -v27, v78, 1.0
	s_delay_alu instid0(VALU_DEP_1) | instskip(SKIP_1) | instid1(VALU_DEP_1)
	v_fmac_f32_e32 v78, v79, v78
	v_div_scale_f32 v79, vcc_lo, 1.0, v26, 1.0
	v_mul_f32_e32 v80, v79, v78
	s_delay_alu instid0(VALU_DEP_1) | instskip(NEXT) | instid1(VALU_DEP_1)
	v_fma_f32 v81, -v27, v80, v79
	v_fmac_f32_e32 v80, v81, v78
	s_delay_alu instid0(VALU_DEP_1) | instskip(NEXT) | instid1(VALU_DEP_1)
	v_fma_f32 v27, -v27, v80, v79
	v_div_fmas_f32 v27, v27, v78, v80
	s_delay_alu instid0(VALU_DEP_1)
	v_div_fixup_f32 v26, v27, v26, 1.0
	ds_store_b32 v71, v26
.LBB6_62:                               ;   in Loop: Header=BB6_3 Depth=1
	s_or_b32 exec_lo, exec_lo, s64
.LBB6_63:                               ;   in Loop: Header=BB6_3 Depth=1
	s_and_not1_saveexec_b32 s64, s65
	s_cbranch_execz .LBB6_65
; %bb.64:                               ;   in Loop: Header=BB6_3 Depth=1
	v_lshl_add_u64 v[26:27], v[22:23], 2, s[82:83]
	global_load_b32 v26, v[26:27], off
	s_wait_loadcnt 0x0
	v_xor_b32_e32 v26, 0x80000000, v26
	ds_store_b32 v71, v26
.LBB6_65:                               ;   in Loop: Header=BB6_3 Depth=1
	s_or_b32 exec_lo, exec_lo, s64
.LBB6_66:                               ;   in Loop: Header=BB6_3 Depth=1
	s_delay_alu instid0(SALU_CYCLE_1)
	s_and_not1_b32 vcc_lo, exec_lo, s91
	s_wait_loadcnt_dscnt 0x0
	s_barrier_signal -1
	s_barrier_wait -1
	s_cbranch_vccnz .LBB6_1104
; %bb.67:                               ;   in Loop: Header=BB6_3 Depth=1
	s_and_saveexec_b32 s64, s15
	s_cbranch_execz .LBB6_69
; %bb.68:                               ;   in Loop: Header=BB6_3 Depth=1
	ds_load_b64 v[26:27], v3 offset:16376
	ds_load_b32 v78, v3 offset:16120
	s_wait_dscnt 0x0
	v_mul_f32_e32 v27, v78, v27
	s_delay_alu instid0(VALU_DEP_1)
	v_mul_f32_e32 v26, v26, v27
	v_add_nc_u32_e64 v27, 0x3c00, 0
	ds_store_2addr_b32 v27, v26, v26 offset0:191 offset1:254
.LBB6_69:                               ;   in Loop: Header=BB6_3 Depth=1
	s_or_b32 exec_lo, exec_lo, s64
	v_mov_b32_e32 v26, 0
	s_wait_dscnt 0x0
	s_barrier_signal -1
	s_barrier_wait -1
	global_wb scope:SCOPE_DEV
	s_wait_storecnt 0x0
	global_inv scope:SCOPE_DEV
	s_and_saveexec_b32 s64, s0
	s_cbranch_execz .LBB6_73
; %bb.70:                               ;   in Loop: Header=BB6_3 Depth=1
	ds_load_b32 v26, v31 offset:16112
	ds_load_b32 v27, v30 offset:16376
	s_wait_dscnt 0x0
	v_fma_f32 v26, v26, v27, 0
	s_and_saveexec_b32 s65, s16
	s_cbranch_execz .LBB6_72
; %bb.71:                               ;   in Loop: Header=BB6_3 Depth=1
	ds_load_b32 v27, v32 offset:16368
	ds_load_b32 v78, v3 offset:16380
	s_wait_dscnt 0x0
	v_fmac_f32_e32 v26, v27, v78
.LBB6_72:                               ;   in Loop: Header=BB6_3 Depth=1
	s_or_b32 exec_lo, exec_lo, s65
.LBB6_73:                               ;   in Loop: Header=BB6_3 Depth=1
	s_delay_alu instid0(SALU_CYCLE_1)
	s_or_b32 exec_lo, exec_lo, s64
	s_and_saveexec_b32 s64, s92
	s_cbranch_execz .LBB6_75
; %bb.74:                               ;   in Loop: Header=BB6_3 Depth=1
	ds_load_b32 v27, v3 offset:15860
	s_wait_dscnt 0x0
	v_mul_f32_e32 v26, v26, v27
	s_delay_alu instid0(VALU_DEP_1)
	v_xor_b32_e32 v27, 0x80000000, v26
	ds_store_b32 v5, v27
.LBB6_75:                               ;   in Loop: Header=BB6_3 Depth=1
	s_or_b32 exec_lo, exec_lo, s64
	s_wait_loadcnt_dscnt 0x0
	s_barrier_signal -1
	s_barrier_wait -1
	s_and_saveexec_b32 s64, s93
	s_cbranch_execz .LBB6_77
; %bb.76:                               ;   in Loop: Header=BB6_3 Depth=1
	ds_load_b32 v27, v3 offset:15856
	ds_load_b32 v78, v5
	s_wait_dscnt 0x0
	v_fma_f32 v26, -v27, v78, v26
.LBB6_77:                               ;   in Loop: Header=BB6_3 Depth=1
	s_or_b32 exec_lo, exec_lo, s64
	s_barrier_signal -1
	s_barrier_wait -1
	s_and_saveexec_b32 s64, s93
	s_cbranch_execz .LBB6_79
; %bb.78:                               ;   in Loop: Header=BB6_3 Depth=1
	ds_load_b32 v27, v3 offset:15600
	s_wait_dscnt 0x0
	v_mul_f32_e32 v26, v26, v27
	s_delay_alu instid0(VALU_DEP_1)
	v_xor_b32_e32 v27, 0x80000000, v26
	ds_store_b32 v5, v27
.LBB6_79:                               ;   in Loop: Header=BB6_3 Depth=1
	s_or_b32 exec_lo, exec_lo, s64
	s_wait_dscnt 0x0
	s_barrier_signal -1
	s_barrier_wait -1
	s_barrier_signal -1
	s_barrier_wait -1
	s_and_saveexec_b32 s64, s0
; %bb.80:                               ;   in Loop: Header=BB6_3 Depth=1
	ds_store_b32 v33, v26 offset:16368
; %bb.81:                               ;   in Loop: Header=BB6_3 Depth=1
	s_or_b32 exec_lo, exec_lo, s64
	s_wait_dscnt 0x0
	s_barrier_signal -1
	s_barrier_wait -1
	s_barrier_signal -1
	s_barrier_wait -1
	s_and_saveexec_b32 s64, s94
	s_cbranch_execz .LBB6_83
; %bb.82:                               ;   in Loop: Header=BB6_3 Depth=1
	ds_load_b32 v26, v34 offset:16112
	s_wait_dscnt 0x0
	ds_store_b32 v32, v26 offset:15608
	ds_load_b32 v26, v34 offset:16116
	s_wait_dscnt 0x0
	ds_store_b32 v32, v26 offset:15864
.LBB6_83:                               ;   in Loop: Header=BB6_3 Depth=1
	s_or_b32 exec_lo, exec_lo, s64
	s_wait_dscnt 0x0
	s_barrier_signal -1
	s_barrier_wait -1
	s_and_saveexec_b32 s64, s15
	s_cbranch_execz .LBB6_85
; %bb.84:                               ;   in Loop: Header=BB6_3 Depth=1
	ds_load_b64 v[26:27], v3 offset:15856
	ds_load_b32 v78, v3 offset:15600
	s_wait_dscnt 0x0
	v_mul_f32_e32 v27, v78, v27
	s_delay_alu instid0(VALU_DEP_1)
	v_mul_f32_e32 v26, v26, v27
	v_add_nc_u32_e64 v27, 0x3c00, 0
	ds_store_2addr_b32 v27, v26, v26 offset0:61 offset1:124
.LBB6_85:                               ;   in Loop: Header=BB6_3 Depth=1
	s_or_b32 exec_lo, exec_lo, s64
	v_mov_b32_e32 v26, 0
	s_wait_dscnt 0x0
	s_barrier_signal -1
	s_barrier_wait -1
	global_wb scope:SCOPE_DEV
	s_wait_storecnt 0x0
	global_inv scope:SCOPE_DEV
	s_and_saveexec_b32 s65, s2
	s_cbranch_execz .LBB6_91
; %bb.86:                               ;   in Loop: Header=BB6_3 Depth=1
	ds_load_b32 v26, v37 offset:15584
	ds_load_b32 v27, v36 offset:16368
	s_wait_dscnt 0x0
	v_fma_f32 v26, v26, v27, 0
	s_and_saveexec_b32 s64, s17
	s_cbranch_execnz .LBB6_1207
; %bb.87:                               ;   in Loop: Header=BB6_3 Depth=1
	s_or_b32 exec_lo, exec_lo, s64
	s_and_saveexec_b32 s64, s18
	s_cbranch_execnz .LBB6_1208
.LBB6_88:                               ;   in Loop: Header=BB6_3 Depth=1
	s_or_b32 exec_lo, exec_lo, s64
	s_and_saveexec_b32 s64, s0
	s_cbranch_execz .LBB6_90
.LBB6_89:                               ;   in Loop: Header=BB6_3 Depth=1
	ds_load_b32 v27, v38 offset:16352
	ds_load_b32 v78, v3 offset:16380
	s_wait_dscnt 0x0
	v_fmac_f32_e32 v26, v27, v78
.LBB6_90:                               ;   in Loop: Header=BB6_3 Depth=1
	s_or_b32 exec_lo, exec_lo, s64
.LBB6_91:                               ;   in Loop: Header=BB6_3 Depth=1
	s_delay_alu instid0(SALU_CYCLE_1)
	s_or_b32 exec_lo, exec_lo, s65
	s_and_saveexec_b32 s64, s95
	s_cbranch_execz .LBB6_93
; %bb.92:                               ;   in Loop: Header=BB6_3 Depth=1
	ds_load_b32 v27, v3 offset:15340
	s_wait_dscnt 0x0
	v_mul_f32_e32 v26, v26, v27
	s_delay_alu instid0(VALU_DEP_1)
	v_xor_b32_e32 v27, 0x80000000, v26
	ds_store_b32 v35, v27
.LBB6_93:                               ;   in Loop: Header=BB6_3 Depth=1
	s_or_b32 exec_lo, exec_lo, s64
	s_wait_loadcnt_dscnt 0x0
	s_barrier_signal -1
	s_barrier_wait -1
	s_and_saveexec_b32 s64, s96
	s_cbranch_execz .LBB6_95
; %bb.94:                               ;   in Loop: Header=BB6_3 Depth=1
	ds_load_b32 v27, v37 offset:15328
	ds_load_b32 v78, v35
	s_wait_dscnt 0x0
	v_fma_f32 v26, -v27, v78, v26
.LBB6_95:                               ;   in Loop: Header=BB6_3 Depth=1
	s_or_b32 exec_lo, exec_lo, s64
	s_barrier_signal -1
	s_barrier_wait -1
	s_and_saveexec_b32 s64, s97
	s_cbranch_execz .LBB6_97
; %bb.96:                               ;   in Loop: Header=BB6_3 Depth=1
	ds_load_b32 v27, v3 offset:15080
	s_wait_dscnt 0x0
	v_mul_f32_e32 v26, v26, v27
	s_delay_alu instid0(VALU_DEP_1)
	v_xor_b32_e32 v27, 0x80000000, v26
	ds_store_b32 v35, v27
.LBB6_97:                               ;   in Loop: Header=BB6_3 Depth=1
	s_or_b32 exec_lo, exec_lo, s64
	s_wait_dscnt 0x0
	s_barrier_signal -1
	s_barrier_wait -1
	s_and_saveexec_b32 s64, s98
	s_cbranch_execz .LBB6_99
; %bb.98:                               ;   in Loop: Header=BB6_3 Depth=1
	ds_load_b32 v27, v37 offset:15072
	ds_load_b32 v78, v35
	s_wait_dscnt 0x0
	v_fma_f32 v26, -v27, v78, v26
.LBB6_99:                               ;   in Loop: Header=BB6_3 Depth=1
	s_or_b32 exec_lo, exec_lo, s64
	s_barrier_signal -1
	s_barrier_wait -1
	s_and_saveexec_b32 s64, s99
	s_cbranch_execz .LBB6_101
; %bb.100:                              ;   in Loop: Header=BB6_3 Depth=1
	ds_load_b32 v27, v3 offset:14820
	s_wait_dscnt 0x0
	v_mul_f32_e32 v26, v26, v27
	s_delay_alu instid0(VALU_DEP_1)
	v_xor_b32_e32 v27, 0x80000000, v26
	ds_store_b32 v35, v27
.LBB6_101:                              ;   in Loop: Header=BB6_3 Depth=1
	s_or_b32 exec_lo, exec_lo, s64
	s_wait_dscnt 0x0
	s_barrier_signal -1
	s_barrier_wait -1
	s_and_saveexec_b32 s64, s100
	s_cbranch_execz .LBB6_103
; %bb.102:                              ;   in Loop: Header=BB6_3 Depth=1
	ds_load_b32 v27, v3 offset:14816
	ds_load_b32 v78, v35
	s_wait_dscnt 0x0
	v_fma_f32 v26, -v27, v78, v26
.LBB6_103:                              ;   in Loop: Header=BB6_3 Depth=1
	s_or_b32 exec_lo, exec_lo, s64
	s_barrier_signal -1
	s_barrier_wait -1
	s_and_saveexec_b32 s64, s100
	s_cbranch_execz .LBB6_105
; %bb.104:                              ;   in Loop: Header=BB6_3 Depth=1
	ds_load_b32 v27, v3 offset:14560
	s_wait_dscnt 0x0
	v_mul_f32_e32 v26, v26, v27
	s_delay_alu instid0(VALU_DEP_1)
	v_xor_b32_e32 v27, 0x80000000, v26
	ds_store_b32 v35, v27
.LBB6_105:                              ;   in Loop: Header=BB6_3 Depth=1
	s_or_b32 exec_lo, exec_lo, s64
	s_wait_dscnt 0x0
	s_barrier_signal -1
	s_barrier_wait -1
	s_barrier_signal -1
	s_barrier_wait -1
	s_and_saveexec_b32 s64, s2
; %bb.106:                              ;   in Loop: Header=BB6_3 Depth=1
	ds_store_b32 v41, v26 offset:16352
; %bb.107:                              ;   in Loop: Header=BB6_3 Depth=1
	s_or_b32 exec_lo, exec_lo, s64
	s_wait_dscnt 0x0
	s_barrier_signal -1
	s_barrier_wait -1
	s_barrier_signal -1
	s_barrier_wait -1
	s_and_saveexec_b32 s64, s101
	s_cbranch_execz .LBB6_109
; %bb.108:                              ;   in Loop: Header=BB6_3 Depth=1
	ds_load_b32 v26, v39 offset:15584
	s_wait_dscnt 0x0
	ds_store_b32 v40, v26 offset:14576
	ds_load_b32 v26, v39 offset:15588
	s_wait_dscnt 0x0
	ds_store_b32 v40, v26 offset:14832
	;; [unrolled: 3-line block ×4, first 2 shown]
.LBB6_109:                              ;   in Loop: Header=BB6_3 Depth=1
	s_or_b32 exec_lo, exec_lo, s64
	s_wait_dscnt 0x0
	s_barrier_signal -1
	s_barrier_wait -1
	s_and_saveexec_b32 s64, s15
	s_cbranch_execz .LBB6_111
; %bb.110:                              ;   in Loop: Header=BB6_3 Depth=1
	ds_load_b64 v[26:27], v3 offset:15336
	ds_load_b32 v78, v3 offset:15080
	s_wait_dscnt 0x0
	v_mul_f32_e32 v27, v78, v27
	s_delay_alu instid0(VALU_DEP_1)
	v_mul_f32_e32 v26, v26, v27
	v_add_nc_u32_e64 v27, 0x3800, 0
	ds_store_2addr_b32 v27, v26, v26 offset0:187 offset1:250
.LBB6_111:                              ;   in Loop: Header=BB6_3 Depth=1
	s_or_b32 exec_lo, exec_lo, s64
	v_mov_b32_e32 v26, 0
	s_wait_dscnt 0x0
	s_barrier_signal -1
	s_barrier_wait -1
	global_wb scope:SCOPE_DEV
	s_wait_storecnt 0x0
	global_inv scope:SCOPE_DEV
	s_and_saveexec_b32 s64, s0
	s_cbranch_execz .LBB6_115
; %bb.112:                              ;   in Loop: Header=BB6_3 Depth=1
	ds_load_b32 v26, v31 offset:15072
	ds_load_b32 v27, v30 offset:15336
	s_wait_dscnt 0x0
	v_fma_f32 v26, v26, v27, 0
	s_and_saveexec_b32 s65, s16
	s_cbranch_execz .LBB6_114
; %bb.113:                              ;   in Loop: Header=BB6_3 Depth=1
	ds_load_b32 v27, v40 offset:15328
	ds_load_b32 v78, v3 offset:15340
	s_wait_dscnt 0x0
	v_fmac_f32_e32 v26, v27, v78
.LBB6_114:                              ;   in Loop: Header=BB6_3 Depth=1
	s_or_b32 exec_lo, exec_lo, s65
.LBB6_115:                              ;   in Loop: Header=BB6_3 Depth=1
	s_delay_alu instid0(SALU_CYCLE_1)
	s_or_b32 exec_lo, exec_lo, s64
	s_and_saveexec_b32 s64, s92
	s_cbranch_execz .LBB6_117
; %bb.116:                              ;   in Loop: Header=BB6_3 Depth=1
	ds_load_b32 v27, v3 offset:14820
	s_wait_dscnt 0x0
	v_mul_f32_e32 v26, v26, v27
	s_delay_alu instid0(VALU_DEP_1)
	v_xor_b32_e32 v27, 0x80000000, v26
	ds_store_b32 v5, v27
.LBB6_117:                              ;   in Loop: Header=BB6_3 Depth=1
	s_or_b32 exec_lo, exec_lo, s64
	s_wait_loadcnt_dscnt 0x0
	s_barrier_signal -1
	s_barrier_wait -1
	s_and_saveexec_b32 s64, s93
	s_cbranch_execz .LBB6_119
; %bb.118:                              ;   in Loop: Header=BB6_3 Depth=1
	ds_load_b32 v27, v3 offset:14816
	ds_load_b32 v78, v5
	s_wait_dscnt 0x0
	v_fma_f32 v26, -v27, v78, v26
.LBB6_119:                              ;   in Loop: Header=BB6_3 Depth=1
	s_or_b32 exec_lo, exec_lo, s64
	s_barrier_signal -1
	s_barrier_wait -1
	s_and_saveexec_b32 s64, s93
	s_cbranch_execz .LBB6_121
; %bb.120:                              ;   in Loop: Header=BB6_3 Depth=1
	ds_load_b32 v27, v3 offset:14560
	s_wait_dscnt 0x0
	v_mul_f32_e32 v26, v26, v27
	s_delay_alu instid0(VALU_DEP_1)
	v_xor_b32_e32 v27, 0x80000000, v26
	ds_store_b32 v5, v27
.LBB6_121:                              ;   in Loop: Header=BB6_3 Depth=1
	s_or_b32 exec_lo, exec_lo, s64
	s_wait_dscnt 0x0
	s_barrier_signal -1
	s_barrier_wait -1
	s_barrier_signal -1
	s_barrier_wait -1
	s_and_saveexec_b32 s64, s0
; %bb.122:                              ;   in Loop: Header=BB6_3 Depth=1
	ds_store_b32 v33, v26 offset:15328
; %bb.123:                              ;   in Loop: Header=BB6_3 Depth=1
	s_or_b32 exec_lo, exec_lo, s64
	s_wait_dscnt 0x0
	s_barrier_signal -1
	s_barrier_wait -1
	s_barrier_signal -1
	s_barrier_wait -1
	s_and_saveexec_b32 s64, s94
	s_cbranch_execz .LBB6_125
; %bb.124:                              ;   in Loop: Header=BB6_3 Depth=1
	ds_load_b32 v26, v42 offset:15072
	s_wait_dscnt 0x0
	ds_store_b32 v40, v26 offset:14568
	ds_load_b32 v26, v42 offset:15076
	s_wait_dscnt 0x0
	ds_store_b32 v40, v26 offset:14824
.LBB6_125:                              ;   in Loop: Header=BB6_3 Depth=1
	s_or_b32 exec_lo, exec_lo, s64
	s_wait_dscnt 0x0
	s_barrier_signal -1
	s_barrier_wait -1
	s_and_saveexec_b32 s64, s15
	s_cbranch_execz .LBB6_127
; %bb.126:                              ;   in Loop: Header=BB6_3 Depth=1
	ds_load_b64 v[26:27], v3 offset:14816
	ds_load_b32 v78, v3 offset:14560
	s_wait_dscnt 0x0
	v_mul_f32_e32 v27, v78, v27
	s_delay_alu instid0(VALU_DEP_1)
	v_mul_f32_e32 v26, v26, v27
	v_add_nc_u32_e64 v27, 0x3800, 0
	ds_store_2addr_b32 v27, v26, v26 offset0:57 offset1:120
.LBB6_127:                              ;   in Loop: Header=BB6_3 Depth=1
	s_or_b32 exec_lo, exec_lo, s64
	v_mov_b32_e32 v26, 0
	s_wait_dscnt 0x0
	s_barrier_signal -1
	s_barrier_wait -1
	global_wb scope:SCOPE_DEV
	s_wait_storecnt 0x0
	global_inv scope:SCOPE_DEV
	s_and_saveexec_b32 s65, s3
	s_cbranch_execz .LBB6_137
; %bb.128:                              ;   in Loop: Header=BB6_3 Depth=1
	ds_load_b32 v26, v45 offset:14528
	ds_load_b32 v27, v44 offset:16352
	s_wait_dscnt 0x0
	v_fma_f32 v26, v26, v27, 0
	s_and_saveexec_b32 s64, s19
	s_cbranch_execnz .LBB6_1209
; %bb.129:                              ;   in Loop: Header=BB6_3 Depth=1
	s_or_b32 exec_lo, exec_lo, s64
	s_and_saveexec_b32 s64, s20
	s_cbranch_execnz .LBB6_1210
.LBB6_130:                              ;   in Loop: Header=BB6_3 Depth=1
	s_or_b32 exec_lo, exec_lo, s64
	s_and_saveexec_b32 s64, s21
	s_cbranch_execnz .LBB6_1211
.LBB6_131:                              ;   in Loop: Header=BB6_3 Depth=1
	s_or_b32 exec_lo, exec_lo, s64
	s_and_saveexec_b32 s64, s22
	s_cbranch_execnz .LBB6_1212
.LBB6_132:                              ;   in Loop: Header=BB6_3 Depth=1
	s_or_b32 exec_lo, exec_lo, s64
	s_and_saveexec_b32 s64, s23
	s_cbranch_execnz .LBB6_1213
.LBB6_133:                              ;   in Loop: Header=BB6_3 Depth=1
	s_or_b32 exec_lo, exec_lo, s64
	s_and_saveexec_b32 s64, s2
	s_cbranch_execnz .LBB6_1214
.LBB6_134:                              ;   in Loop: Header=BB6_3 Depth=1
	s_or_b32 exec_lo, exec_lo, s64
	s_and_saveexec_b32 s64, s18
	s_cbranch_execz .LBB6_136
.LBB6_135:                              ;   in Loop: Header=BB6_3 Depth=1
	ds_load_b32 v27, v46 offset:16320
	ds_load_b32 v78, v3 offset:16380
	s_wait_dscnt 0x0
	v_fmac_f32_e32 v26, v27, v78
.LBB6_136:                              ;   in Loop: Header=BB6_3 Depth=1
	s_or_b32 exec_lo, exec_lo, s64
.LBB6_137:                              ;   in Loop: Header=BB6_3 Depth=1
	s_delay_alu instid0(SALU_CYCLE_1)
	s_or_b32 exec_lo, exec_lo, s65
	s_and_saveexec_b32 s64, s102
	s_cbranch_execz .LBB6_139
; %bb.138:                              ;   in Loop: Header=BB6_3 Depth=1
	ds_load_b32 v27, v3 offset:14300
	s_wait_dscnt 0x0
	v_mul_f32_e32 v26, v26, v27
	s_delay_alu instid0(VALU_DEP_1)
	v_xor_b32_e32 v27, 0x80000000, v26
	ds_store_b32 v43, v27
.LBB6_139:                              ;   in Loop: Header=BB6_3 Depth=1
	s_or_b32 exec_lo, exec_lo, s64
	s_wait_loadcnt_dscnt 0x0
	s_barrier_signal -1
	s_barrier_wait -1
	s_and_saveexec_b32 s64, s103
	s_cbranch_execz .LBB6_141
; %bb.140:                              ;   in Loop: Header=BB6_3 Depth=1
	ds_load_b32 v27, v45 offset:14272
	ds_load_b32 v78, v43
	s_wait_dscnt 0x0
	v_fma_f32 v26, -v27, v78, v26
.LBB6_141:                              ;   in Loop: Header=BB6_3 Depth=1
	s_or_b32 exec_lo, exec_lo, s64
	s_barrier_signal -1
	s_barrier_wait -1
	s_and_saveexec_b32 s64, s104
	s_cbranch_execz .LBB6_143
; %bb.142:                              ;   in Loop: Header=BB6_3 Depth=1
	ds_load_b32 v27, v3 offset:14040
	s_wait_dscnt 0x0
	v_mul_f32_e32 v26, v26, v27
	s_delay_alu instid0(VALU_DEP_1)
	v_xor_b32_e32 v27, 0x80000000, v26
	ds_store_b32 v43, v27
.LBB6_143:                              ;   in Loop: Header=BB6_3 Depth=1
	s_or_b32 exec_lo, exec_lo, s64
	s_wait_dscnt 0x0
	s_barrier_signal -1
	s_barrier_wait -1
	s_and_saveexec_b32 s64, vcc_hi
	s_cbranch_execz .LBB6_145
; %bb.144:                              ;   in Loop: Header=BB6_3 Depth=1
	ds_load_b32 v27, v45 offset:14016
	ds_load_b32 v78, v43
	s_wait_dscnt 0x0
	v_fma_f32 v26, -v27, v78, v26
.LBB6_145:                              ;   in Loop: Header=BB6_3 Depth=1
	s_or_b32 exec_lo, exec_lo, s64
	s_barrier_signal -1
	s_barrier_wait -1
	s_and_saveexec_b32 s64, s36
	s_cbranch_execz .LBB6_147
; %bb.146:                              ;   in Loop: Header=BB6_3 Depth=1
	ds_load_b32 v27, v3 offset:13780
	s_wait_dscnt 0x0
	v_mul_f32_e32 v26, v26, v27
	s_delay_alu instid0(VALU_DEP_1)
	v_xor_b32_e32 v27, 0x80000000, v26
	ds_store_b32 v43, v27
.LBB6_147:                              ;   in Loop: Header=BB6_3 Depth=1
	s_or_b32 exec_lo, exec_lo, s64
	s_wait_dscnt 0x0
	s_barrier_signal -1
	s_barrier_wait -1
	s_and_saveexec_b32 s64, s37
	s_cbranch_execz .LBB6_149
; %bb.148:                              ;   in Loop: Header=BB6_3 Depth=1
	ds_load_b32 v27, v45 offset:13760
	ds_load_b32 v78, v43
	s_wait_dscnt 0x0
	v_fma_f32 v26, -v27, v78, v26
.LBB6_149:                              ;   in Loop: Header=BB6_3 Depth=1
	s_or_b32 exec_lo, exec_lo, s64
	s_barrier_signal -1
	s_barrier_wait -1
	s_and_saveexec_b32 s64, s38
	s_cbranch_execz .LBB6_151
; %bb.150:                              ;   in Loop: Header=BB6_3 Depth=1
	ds_load_b32 v27, v3 offset:13520
	s_wait_dscnt 0x0
	v_mul_f32_e32 v26, v26, v27
	s_delay_alu instid0(VALU_DEP_1)
	v_xor_b32_e32 v27, 0x80000000, v26
	ds_store_b32 v43, v27
.LBB6_151:                              ;   in Loop: Header=BB6_3 Depth=1
	s_or_b32 exec_lo, exec_lo, s64
	s_wait_dscnt 0x0
	s_barrier_signal -1
	s_barrier_wait -1
	s_and_saveexec_b32 s64, s39
	;; [unrolled: 25-line block ×5, first 2 shown]
	s_cbranch_execz .LBB6_165
; %bb.164:                              ;   in Loop: Header=BB6_3 Depth=1
	ds_load_b32 v27, v3 offset:12736
	ds_load_b32 v78, v43
	s_wait_dscnt 0x0
	v_fma_f32 v26, -v27, v78, v26
.LBB6_165:                              ;   in Loop: Header=BB6_3 Depth=1
	s_or_b32 exec_lo, exec_lo, s64
	s_barrier_signal -1
	s_barrier_wait -1
	s_and_saveexec_b32 s64, s45
	s_cbranch_execz .LBB6_167
; %bb.166:                              ;   in Loop: Header=BB6_3 Depth=1
	ds_load_b32 v27, v3 offset:12480
	s_wait_dscnt 0x0
	v_mul_f32_e32 v26, v26, v27
	s_delay_alu instid0(VALU_DEP_1)
	v_xor_b32_e32 v27, 0x80000000, v26
	ds_store_b32 v43, v27
.LBB6_167:                              ;   in Loop: Header=BB6_3 Depth=1
	s_or_b32 exec_lo, exec_lo, s64
	s_wait_dscnt 0x0
	s_barrier_signal -1
	s_barrier_wait -1
	s_barrier_signal -1
	s_barrier_wait -1
	s_and_saveexec_b32 s64, s3
; %bb.168:                              ;   in Loop: Header=BB6_3 Depth=1
	ds_store_b32 v48, v26 offset:16320
; %bb.169:                              ;   in Loop: Header=BB6_3 Depth=1
	s_or_b32 exec_lo, exec_lo, s64
	s_wait_dscnt 0x0
	s_barrier_signal -1
	s_barrier_wait -1
	s_barrier_signal -1
	s_barrier_wait -1
	s_and_saveexec_b32 s64, s46
	s_cbranch_execz .LBB6_171
; %bb.170:                              ;   in Loop: Header=BB6_3 Depth=1
	ds_load_b32 v26, v47 offset:14528
	s_wait_dscnt 0x0
	ds_store_b32 v49, v26 offset:12512
	ds_load_b32 v26, v47 offset:14532
	s_wait_dscnt 0x0
	ds_store_b32 v49, v26 offset:12768
	;; [unrolled: 3-line block ×8, first 2 shown]
.LBB6_171:                              ;   in Loop: Header=BB6_3 Depth=1
	s_or_b32 exec_lo, exec_lo, s64
	s_wait_dscnt 0x0
	s_barrier_signal -1
	s_barrier_wait -1
	s_and_saveexec_b32 s64, s15
	s_cbranch_execz .LBB6_173
; %bb.172:                              ;   in Loop: Header=BB6_3 Depth=1
	ds_load_b64 v[26:27], v3 offset:14296
	ds_load_b32 v78, v3 offset:14040
	s_wait_dscnt 0x0
	v_mul_f32_e32 v27, v78, v27
	s_delay_alu instid0(VALU_DEP_1)
	v_mul_f32_e32 v26, v26, v27
	v_add_nc_u32_e64 v27, 0x3400, 0
	ds_store_2addr_b32 v27, v26, v26 offset0:183 offset1:246
.LBB6_173:                              ;   in Loop: Header=BB6_3 Depth=1
	s_or_b32 exec_lo, exec_lo, s64
	v_mov_b32_e32 v26, 0
	s_wait_dscnt 0x0
	s_barrier_signal -1
	s_barrier_wait -1
	global_wb scope:SCOPE_DEV
	s_wait_storecnt 0x0
	global_inv scope:SCOPE_DEV
	s_and_saveexec_b32 s64, s0
	s_cbranch_execz .LBB6_177
; %bb.174:                              ;   in Loop: Header=BB6_3 Depth=1
	ds_load_b32 v26, v31 offset:14032
	ds_load_b32 v27, v30 offset:14296
	s_wait_dscnt 0x0
	v_fma_f32 v26, v26, v27, 0
	s_and_saveexec_b32 s65, s16
	s_cbranch_execz .LBB6_176
; %bb.175:                              ;   in Loop: Header=BB6_3 Depth=1
	ds_load_b32 v27, v49 offset:14288
	ds_load_b32 v78, v3 offset:14300
	s_wait_dscnt 0x0
	v_fmac_f32_e32 v26, v27, v78
.LBB6_176:                              ;   in Loop: Header=BB6_3 Depth=1
	s_or_b32 exec_lo, exec_lo, s65
.LBB6_177:                              ;   in Loop: Header=BB6_3 Depth=1
	s_delay_alu instid0(SALU_CYCLE_1)
	s_or_b32 exec_lo, exec_lo, s64
	s_and_saveexec_b32 s64, s92
	s_cbranch_execz .LBB6_179
; %bb.178:                              ;   in Loop: Header=BB6_3 Depth=1
	ds_load_b32 v27, v3 offset:13780
	s_wait_dscnt 0x0
	v_mul_f32_e32 v26, v26, v27
	s_delay_alu instid0(VALU_DEP_1)
	v_xor_b32_e32 v27, 0x80000000, v26
	ds_store_b32 v5, v27
.LBB6_179:                              ;   in Loop: Header=BB6_3 Depth=1
	s_or_b32 exec_lo, exec_lo, s64
	s_wait_loadcnt_dscnt 0x0
	s_barrier_signal -1
	s_barrier_wait -1
	s_and_saveexec_b32 s64, s93
	s_cbranch_execz .LBB6_181
; %bb.180:                              ;   in Loop: Header=BB6_3 Depth=1
	ds_load_b32 v27, v3 offset:13776
	ds_load_b32 v78, v5
	s_wait_dscnt 0x0
	v_fma_f32 v26, -v27, v78, v26
.LBB6_181:                              ;   in Loop: Header=BB6_3 Depth=1
	s_or_b32 exec_lo, exec_lo, s64
	s_barrier_signal -1
	s_barrier_wait -1
	s_and_saveexec_b32 s64, s93
	s_cbranch_execz .LBB6_183
; %bb.182:                              ;   in Loop: Header=BB6_3 Depth=1
	ds_load_b32 v27, v3 offset:13520
	s_wait_dscnt 0x0
	v_mul_f32_e32 v26, v26, v27
	s_delay_alu instid0(VALU_DEP_1)
	v_xor_b32_e32 v27, 0x80000000, v26
	ds_store_b32 v5, v27
.LBB6_183:                              ;   in Loop: Header=BB6_3 Depth=1
	s_or_b32 exec_lo, exec_lo, s64
	s_wait_dscnt 0x0
	s_barrier_signal -1
	s_barrier_wait -1
	s_barrier_signal -1
	s_barrier_wait -1
	s_and_saveexec_b32 s64, s0
; %bb.184:                              ;   in Loop: Header=BB6_3 Depth=1
	ds_store_b32 v33, v26 offset:14288
; %bb.185:                              ;   in Loop: Header=BB6_3 Depth=1
	s_or_b32 exec_lo, exec_lo, s64
	s_wait_dscnt 0x0
	s_barrier_signal -1
	s_barrier_wait -1
	s_barrier_signal -1
	s_barrier_wait -1
	s_and_saveexec_b32 s64, s94
	s_cbranch_execz .LBB6_187
; %bb.186:                              ;   in Loop: Header=BB6_3 Depth=1
	ds_load_b32 v26, v54 offset:14032
	s_wait_dscnt 0x0
	ds_store_b32 v49, v26 offset:13528
	ds_load_b32 v26, v54 offset:14036
	s_wait_dscnt 0x0
	ds_store_b32 v49, v26 offset:13784
.LBB6_187:                              ;   in Loop: Header=BB6_3 Depth=1
	s_or_b32 exec_lo, exec_lo, s64
	s_wait_dscnt 0x0
	s_barrier_signal -1
	s_barrier_wait -1
	s_and_saveexec_b32 s64, s15
	s_cbranch_execz .LBB6_189
; %bb.188:                              ;   in Loop: Header=BB6_3 Depth=1
	ds_load_b64 v[26:27], v3 offset:13776
	ds_load_b32 v78, v3 offset:13520
	s_wait_dscnt 0x0
	v_mul_f32_e32 v27, v78, v27
	s_delay_alu instid0(VALU_DEP_1)
	v_mul_f32_e32 v26, v26, v27
	v_add_nc_u32_e64 v27, 0x3400, 0
	ds_store_2addr_b32 v27, v26, v26 offset0:53 offset1:116
.LBB6_189:                              ;   in Loop: Header=BB6_3 Depth=1
	s_or_b32 exec_lo, exec_lo, s64
	v_mov_b32_e32 v26, 0
	s_wait_dscnt 0x0
	s_barrier_signal -1
	s_barrier_wait -1
	global_wb scope:SCOPE_DEV
	s_wait_storecnt 0x0
	global_inv scope:SCOPE_DEV
	s_and_saveexec_b32 s65, s2
	s_cbranch_execz .LBB6_195
; %bb.190:                              ;   in Loop: Header=BB6_3 Depth=1
	ds_load_b32 v26, v37 offset:13504
	ds_load_b32 v27, v36 offset:14288
	s_wait_dscnt 0x0
	v_fma_f32 v26, v26, v27, 0
	s_and_saveexec_b32 s64, s17
	s_cbranch_execnz .LBB6_1215
; %bb.191:                              ;   in Loop: Header=BB6_3 Depth=1
	s_or_b32 exec_lo, exec_lo, s64
	s_and_saveexec_b32 s64, s18
	s_cbranch_execnz .LBB6_1216
.LBB6_192:                              ;   in Loop: Header=BB6_3 Depth=1
	s_or_b32 exec_lo, exec_lo, s64
	s_and_saveexec_b32 s64, s0
	s_cbranch_execz .LBB6_194
.LBB6_193:                              ;   in Loop: Header=BB6_3 Depth=1
	ds_load_b32 v27, v55 offset:14272
	ds_load_b32 v78, v3 offset:14300
	s_wait_dscnt 0x0
	v_fmac_f32_e32 v26, v27, v78
.LBB6_194:                              ;   in Loop: Header=BB6_3 Depth=1
	s_or_b32 exec_lo, exec_lo, s64
.LBB6_195:                              ;   in Loop: Header=BB6_3 Depth=1
	s_delay_alu instid0(SALU_CYCLE_1)
	s_or_b32 exec_lo, exec_lo, s65
	s_and_saveexec_b32 s64, s95
	s_cbranch_execz .LBB6_197
; %bb.196:                              ;   in Loop: Header=BB6_3 Depth=1
	ds_load_b32 v27, v3 offset:13260
	s_wait_dscnt 0x0
	v_mul_f32_e32 v26, v26, v27
	s_delay_alu instid0(VALU_DEP_1)
	v_xor_b32_e32 v27, 0x80000000, v26
	ds_store_b32 v35, v27
.LBB6_197:                              ;   in Loop: Header=BB6_3 Depth=1
	s_or_b32 exec_lo, exec_lo, s64
	s_wait_loadcnt_dscnt 0x0
	s_barrier_signal -1
	s_barrier_wait -1
	s_and_saveexec_b32 s64, s96
	s_cbranch_execz .LBB6_199
; %bb.198:                              ;   in Loop: Header=BB6_3 Depth=1
	ds_load_b32 v27, v37 offset:13248
	ds_load_b32 v78, v35
	s_wait_dscnt 0x0
	v_fma_f32 v26, -v27, v78, v26
.LBB6_199:                              ;   in Loop: Header=BB6_3 Depth=1
	s_or_b32 exec_lo, exec_lo, s64
	s_barrier_signal -1
	s_barrier_wait -1
	s_and_saveexec_b32 s64, s97
	s_cbranch_execz .LBB6_201
; %bb.200:                              ;   in Loop: Header=BB6_3 Depth=1
	ds_load_b32 v27, v3 offset:13000
	s_wait_dscnt 0x0
	v_mul_f32_e32 v26, v26, v27
	s_delay_alu instid0(VALU_DEP_1)
	v_xor_b32_e32 v27, 0x80000000, v26
	ds_store_b32 v35, v27
.LBB6_201:                              ;   in Loop: Header=BB6_3 Depth=1
	s_or_b32 exec_lo, exec_lo, s64
	s_wait_dscnt 0x0
	s_barrier_signal -1
	s_barrier_wait -1
	s_and_saveexec_b32 s64, s98
	s_cbranch_execz .LBB6_203
; %bb.202:                              ;   in Loop: Header=BB6_3 Depth=1
	ds_load_b32 v27, v37 offset:12992
	ds_load_b32 v78, v35
	s_wait_dscnt 0x0
	v_fma_f32 v26, -v27, v78, v26
.LBB6_203:                              ;   in Loop: Header=BB6_3 Depth=1
	s_or_b32 exec_lo, exec_lo, s64
	s_barrier_signal -1
	s_barrier_wait -1
	s_and_saveexec_b32 s64, s99
	s_cbranch_execz .LBB6_205
; %bb.204:                              ;   in Loop: Header=BB6_3 Depth=1
	ds_load_b32 v27, v3 offset:12740
	s_wait_dscnt 0x0
	v_mul_f32_e32 v26, v26, v27
	s_delay_alu instid0(VALU_DEP_1)
	v_xor_b32_e32 v27, 0x80000000, v26
	ds_store_b32 v35, v27
.LBB6_205:                              ;   in Loop: Header=BB6_3 Depth=1
	s_or_b32 exec_lo, exec_lo, s64
	s_wait_dscnt 0x0
	;; [unrolled: 25-line block ×3, first 2 shown]
	s_barrier_signal -1
	s_barrier_wait -1
	s_barrier_signal -1
	s_barrier_wait -1
	s_and_saveexec_b32 s64, s2
; %bb.210:                              ;   in Loop: Header=BB6_3 Depth=1
	ds_store_b32 v41, v26 offset:14272
; %bb.211:                              ;   in Loop: Header=BB6_3 Depth=1
	s_or_b32 exec_lo, exec_lo, s64
	s_wait_dscnt 0x0
	s_barrier_signal -1
	s_barrier_wait -1
	s_barrier_signal -1
	s_barrier_wait -1
	s_and_saveexec_b32 s64, s101
	s_cbranch_execz .LBB6_213
; %bb.212:                              ;   in Loop: Header=BB6_3 Depth=1
	ds_load_b32 v26, v56 offset:13504
	s_wait_dscnt 0x0
	ds_store_b32 v57, v26 offset:12496
	ds_load_b32 v26, v56 offset:13508
	s_wait_dscnt 0x0
	ds_store_b32 v57, v26 offset:12752
	;; [unrolled: 3-line block ×4, first 2 shown]
.LBB6_213:                              ;   in Loop: Header=BB6_3 Depth=1
	s_or_b32 exec_lo, exec_lo, s64
	s_wait_dscnt 0x0
	s_barrier_signal -1
	s_barrier_wait -1
	s_and_saveexec_b32 s64, s15
	s_cbranch_execz .LBB6_215
; %bb.214:                              ;   in Loop: Header=BB6_3 Depth=1
	ds_load_b64 v[26:27], v3 offset:13256
	ds_load_b32 v78, v3 offset:13000
	s_wait_dscnt 0x0
	v_mul_f32_e32 v27, v78, v27
	s_delay_alu instid0(VALU_DEP_1)
	v_mul_f32_e32 v26, v26, v27
	v_add_nc_u32_e64 v27, 0x3000, 0
	ds_store_2addr_b32 v27, v26, v26 offset0:179 offset1:242
.LBB6_215:                              ;   in Loop: Header=BB6_3 Depth=1
	s_or_b32 exec_lo, exec_lo, s64
	v_mov_b32_e32 v26, 0
	s_wait_dscnt 0x0
	s_barrier_signal -1
	s_barrier_wait -1
	global_wb scope:SCOPE_DEV
	s_wait_storecnt 0x0
	global_inv scope:SCOPE_DEV
	s_and_saveexec_b32 s64, s0
	s_cbranch_execz .LBB6_219
; %bb.216:                              ;   in Loop: Header=BB6_3 Depth=1
	ds_load_b32 v26, v31 offset:12992
	ds_load_b32 v27, v30 offset:13256
	s_wait_dscnt 0x0
	v_fma_f32 v26, v26, v27, 0
	s_and_saveexec_b32 s65, s16
	s_cbranch_execz .LBB6_218
; %bb.217:                              ;   in Loop: Header=BB6_3 Depth=1
	ds_load_b32 v27, v57 offset:13248
	ds_load_b32 v78, v3 offset:13260
	s_wait_dscnt 0x0
	v_fmac_f32_e32 v26, v27, v78
.LBB6_218:                              ;   in Loop: Header=BB6_3 Depth=1
	s_or_b32 exec_lo, exec_lo, s65
.LBB6_219:                              ;   in Loop: Header=BB6_3 Depth=1
	s_delay_alu instid0(SALU_CYCLE_1)
	s_or_b32 exec_lo, exec_lo, s64
	s_and_saveexec_b32 s64, s92
	s_cbranch_execz .LBB6_221
; %bb.220:                              ;   in Loop: Header=BB6_3 Depth=1
	ds_load_b32 v27, v3 offset:12740
	s_wait_dscnt 0x0
	v_mul_f32_e32 v26, v26, v27
	s_delay_alu instid0(VALU_DEP_1)
	v_xor_b32_e32 v27, 0x80000000, v26
	ds_store_b32 v5, v27
.LBB6_221:                              ;   in Loop: Header=BB6_3 Depth=1
	s_or_b32 exec_lo, exec_lo, s64
	s_wait_loadcnt_dscnt 0x0
	s_barrier_signal -1
	s_barrier_wait -1
	s_and_saveexec_b32 s64, s93
	s_cbranch_execz .LBB6_223
; %bb.222:                              ;   in Loop: Header=BB6_3 Depth=1
	ds_load_b32 v27, v3 offset:12736
	ds_load_b32 v78, v5
	s_wait_dscnt 0x0
	v_fma_f32 v26, -v27, v78, v26
.LBB6_223:                              ;   in Loop: Header=BB6_3 Depth=1
	s_or_b32 exec_lo, exec_lo, s64
	s_barrier_signal -1
	s_barrier_wait -1
	s_and_saveexec_b32 s64, s93
	s_cbranch_execz .LBB6_225
; %bb.224:                              ;   in Loop: Header=BB6_3 Depth=1
	ds_load_b32 v27, v3 offset:12480
	s_wait_dscnt 0x0
	v_mul_f32_e32 v26, v26, v27
	s_delay_alu instid0(VALU_DEP_1)
	v_xor_b32_e32 v27, 0x80000000, v26
	ds_store_b32 v5, v27
.LBB6_225:                              ;   in Loop: Header=BB6_3 Depth=1
	s_or_b32 exec_lo, exec_lo, s64
	s_wait_dscnt 0x0
	s_barrier_signal -1
	s_barrier_wait -1
	s_barrier_signal -1
	s_barrier_wait -1
	s_and_saveexec_b32 s64, s0
; %bb.226:                              ;   in Loop: Header=BB6_3 Depth=1
	ds_store_b32 v33, v26 offset:13248
; %bb.227:                              ;   in Loop: Header=BB6_3 Depth=1
	s_or_b32 exec_lo, exec_lo, s64
	s_wait_dscnt 0x0
	s_barrier_signal -1
	s_barrier_wait -1
	s_barrier_signal -1
	s_barrier_wait -1
	s_and_saveexec_b32 s64, s94
	s_cbranch_execz .LBB6_229
; %bb.228:                              ;   in Loop: Header=BB6_3 Depth=1
	ds_load_b32 v26, v58 offset:12992
	s_wait_dscnt 0x0
	ds_store_b32 v57, v26 offset:12488
	ds_load_b32 v26, v58 offset:12996
	s_wait_dscnt 0x0
	ds_store_b32 v57, v26 offset:12744
.LBB6_229:                              ;   in Loop: Header=BB6_3 Depth=1
	s_or_b32 exec_lo, exec_lo, s64
	s_wait_dscnt 0x0
	s_barrier_signal -1
	s_barrier_wait -1
	s_and_saveexec_b32 s64, s15
	s_cbranch_execz .LBB6_231
; %bb.230:                              ;   in Loop: Header=BB6_3 Depth=1
	ds_load_b64 v[26:27], v3 offset:12736
	ds_load_b32 v78, v3 offset:12480
	s_wait_dscnt 0x0
	v_mul_f32_e32 v27, v78, v27
	s_delay_alu instid0(VALU_DEP_1)
	v_mul_f32_e32 v26, v26, v27
	v_add_nc_u32_e64 v27, 0x3000, 0
	ds_store_2addr_b32 v27, v26, v26 offset0:49 offset1:112
.LBB6_231:                              ;   in Loop: Header=BB6_3 Depth=1
	s_or_b32 exec_lo, exec_lo, s64
	v_mov_b32_e32 v26, 0
	s_wait_dscnt 0x0
	s_barrier_signal -1
	s_barrier_wait -1
	global_wb scope:SCOPE_DEV
	s_wait_storecnt 0x0
	global_inv scope:SCOPE_DEV
	s_and_saveexec_b32 s65, s4
	s_cbranch_execz .LBB6_259
; %bb.232:                              ;   in Loop: Header=BB6_3 Depth=1
	ds_load_b32 v26, v52 offset:12416
	ds_load_b32 v27, v51 offset:16320
	s_wait_dscnt 0x0
	v_fma_f32 v26, v26, v27, 0
	s_mov_b32 s64, exec_lo
	v_readlane_b32 s71, v85, 22
	s_and_b32 s71, s64, s71
	s_delay_alu instid0(SALU_CYCLE_1)
	s_mov_b32 exec_lo, s71
	s_cbranch_execz .LBB6_234
; %bb.233:                              ;   in Loop: Header=BB6_3 Depth=1
	ds_load_b32 v27, v52 offset:12672
	ds_load_b32 v78, v51 offset:16324
	s_wait_dscnt 0x0
	v_fmac_f32_e32 v26, v27, v78
.LBB6_234:                              ;   in Loop: Header=BB6_3 Depth=1
	s_or_b32 exec_lo, exec_lo, s64
	s_delay_alu instid0(SALU_CYCLE_1) | instskip(SKIP_2) | instid1(SALU_CYCLE_1)
	s_mov_b32 s64, exec_lo
	v_readlane_b32 s71, v85, 23
	s_and_b32 s71, s64, s71
	s_mov_b32 exec_lo, s71
	s_cbranch_execz .LBB6_236
; %bb.235:                              ;   in Loop: Header=BB6_3 Depth=1
	ds_load_b32 v27, v52 offset:12928
	ds_load_b32 v78, v51 offset:16328
	s_wait_dscnt 0x0
	v_fmac_f32_e32 v26, v27, v78
.LBB6_236:                              ;   in Loop: Header=BB6_3 Depth=1
	s_or_b32 exec_lo, exec_lo, s64
	s_delay_alu instid0(SALU_CYCLE_1) | instskip(SKIP_2) | instid1(SALU_CYCLE_1)
	s_mov_b32 s64, exec_lo
	v_readlane_b32 s71, v85, 24
	s_and_b32 s71, s64, s71
	;; [unrolled: 13-line block ×10, first 2 shown]
	s_mov_b32 exec_lo, s71
	s_cbranch_execnz .LBB6_1217
; %bb.253:                              ;   in Loop: Header=BB6_3 Depth=1
	s_or_b32 exec_lo, exec_lo, s64
	s_and_saveexec_b32 s64, s3
	s_cbranch_execnz .LBB6_1218
.LBB6_254:                              ;   in Loop: Header=BB6_3 Depth=1
	s_or_b32 exec_lo, exec_lo, s64
	s_and_saveexec_b32 s64, s20
	s_cbranch_execnz .LBB6_1219
.LBB6_255:                              ;   in Loop: Header=BB6_3 Depth=1
	s_or_b32 exec_lo, exec_lo, s64
	s_and_saveexec_b32 s64, s22
	s_cbranch_execnz .LBB6_1220
.LBB6_256:                              ;   in Loop: Header=BB6_3 Depth=1
	s_or_b32 exec_lo, exec_lo, s64
	s_and_saveexec_b32 s64, s2
	s_cbranch_execz .LBB6_258
.LBB6_257:                              ;   in Loop: Header=BB6_3 Depth=1
	ds_load_b32 v27, v32 offset:16256
	ds_load_b32 v78, v3 offset:16380
	s_wait_dscnt 0x0
	v_fmac_f32_e32 v26, v27, v78
.LBB6_258:                              ;   in Loop: Header=BB6_3 Depth=1
	s_or_b32 exec_lo, exec_lo, s64
.LBB6_259:                              ;   in Loop: Header=BB6_3 Depth=1
	s_delay_alu instid0(SALU_CYCLE_1)
	s_or_b32 exec_lo, exec_lo, s65
	s_and_saveexec_b32 s64, s47
	s_cbranch_execz .LBB6_261
; %bb.260:                              ;   in Loop: Header=BB6_3 Depth=1
	ds_load_b32 v27, v3 offset:12220
	s_wait_dscnt 0x0
	v_mul_f32_e32 v26, v26, v27
	s_delay_alu instid0(VALU_DEP_1)
	v_xor_b32_e32 v27, 0x80000000, v26
	ds_store_b32 v50, v27
.LBB6_261:                              ;   in Loop: Header=BB6_3 Depth=1
	s_or_b32 exec_lo, exec_lo, s64
	s_wait_loadcnt_dscnt 0x0
	s_barrier_signal -1
	s_barrier_wait -1
	s_and_saveexec_b32 s64, s48
	s_cbranch_execz .LBB6_263
; %bb.262:                              ;   in Loop: Header=BB6_3 Depth=1
	ds_load_b32 v27, v52 offset:12160
	ds_load_b32 v78, v50
	s_wait_dscnt 0x0
	v_fma_f32 v26, -v27, v78, v26
.LBB6_263:                              ;   in Loop: Header=BB6_3 Depth=1
	s_or_b32 exec_lo, exec_lo, s64
	s_barrier_signal -1
	s_barrier_wait -1
	s_and_saveexec_b32 s64, s49
	s_cbranch_execz .LBB6_265
; %bb.264:                              ;   in Loop: Header=BB6_3 Depth=1
	ds_load_b32 v27, v3 offset:11960
	s_wait_dscnt 0x0
	v_mul_f32_e32 v26, v26, v27
	s_delay_alu instid0(VALU_DEP_1)
	v_xor_b32_e32 v27, 0x80000000, v26
	ds_store_b32 v50, v27
.LBB6_265:                              ;   in Loop: Header=BB6_3 Depth=1
	s_or_b32 exec_lo, exec_lo, s64
	s_wait_dscnt 0x0
	s_barrier_signal -1
	s_barrier_wait -1
	s_and_saveexec_b32 s64, s50
	s_cbranch_execz .LBB6_267
; %bb.266:                              ;   in Loop: Header=BB6_3 Depth=1
	ds_load_b32 v27, v52 offset:11904
	ds_load_b32 v78, v50
	s_wait_dscnt 0x0
	v_fma_f32 v26, -v27, v78, v26
.LBB6_267:                              ;   in Loop: Header=BB6_3 Depth=1
	s_or_b32 exec_lo, exec_lo, s64
	s_barrier_signal -1
	s_barrier_wait -1
	s_and_saveexec_b32 s64, s51
	s_cbranch_execz .LBB6_269
; %bb.268:                              ;   in Loop: Header=BB6_3 Depth=1
	ds_load_b32 v27, v3 offset:11700
	s_wait_dscnt 0x0
	v_mul_f32_e32 v26, v26, v27
	s_delay_alu instid0(VALU_DEP_1)
	v_xor_b32_e32 v27, 0x80000000, v26
	ds_store_b32 v50, v27
.LBB6_269:                              ;   in Loop: Header=BB6_3 Depth=1
	s_or_b32 exec_lo, exec_lo, s64
	s_wait_dscnt 0x0
	;; [unrolled: 25-line block ×15, first 2 shown]
	s_barrier_signal -1
	s_barrier_wait -1
	s_barrier_signal -1
	s_barrier_wait -1
	s_and_saveexec_b32 s64, s4
; %bb.322:                              ;   in Loop: Header=BB6_3 Depth=1
	ds_store_b32 v53, v26 offset:16256
; %bb.323:                              ;   in Loop: Header=BB6_3 Depth=1
	s_or_b32 exec_lo, exec_lo, s64
	s_wait_dscnt 0x0
	s_barrier_signal -1
	s_barrier_wait -1
	s_barrier_signal -1
	s_barrier_wait -1
	s_and_saveexec_b32 s65, s11
	s_cbranch_execz .LBB6_325
; %bb.324:                              ;   in Loop: Header=BB6_3 Depth=1
	ds_load_b32 v26, v34 offset:12416
	s_wait_dscnt 0x0
	ds_store_b32 v38, v26 offset:8384
	ds_load_b32 v26, v34 offset:12420
	s_wait_dscnt 0x0
	ds_store_b32 v38, v26 offset:8640
	;; [unrolled: 3-line block ×16, first 2 shown]
.LBB6_325:                              ;   in Loop: Header=BB6_3 Depth=1
	s_or_b32 exec_lo, exec_lo, s65
	s_wait_dscnt 0x0
	s_barrier_signal -1
	s_barrier_wait -1
	s_and_saveexec_b32 s64, s15
	s_cbranch_execz .LBB6_327
; %bb.326:                              ;   in Loop: Header=BB6_3 Depth=1
	ds_load_b64 v[26:27], v3 offset:12216
	ds_load_b32 v78, v3 offset:11960
	s_wait_dscnt 0x0
	v_mul_f32_e32 v27, v78, v27
	s_delay_alu instid0(VALU_DEP_1)
	v_mul_f32_e32 v26, v26, v27
	v_add_nc_u32_e64 v27, 0x2c00, 0
	ds_store_2addr_b32 v27, v26, v26 offset0:175 offset1:238
.LBB6_327:                              ;   in Loop: Header=BB6_3 Depth=1
	s_or_b32 exec_lo, exec_lo, s64
	v_mov_b32_e32 v26, 0
	s_wait_dscnt 0x0
	s_barrier_signal -1
	s_barrier_wait -1
	global_wb scope:SCOPE_DEV
	s_wait_storecnt 0x0
	global_inv scope:SCOPE_DEV
	s_and_saveexec_b32 s64, s0
	s_cbranch_execz .LBB6_331
; %bb.328:                              ;   in Loop: Header=BB6_3 Depth=1
	ds_load_b32 v26, v31 offset:11952
	ds_load_b32 v27, v30 offset:12216
	s_wait_dscnt 0x0
	v_fma_f32 v26, v26, v27, 0
	s_and_saveexec_b32 s65, s16
	s_cbranch_execz .LBB6_330
; %bb.329:                              ;   in Loop: Header=BB6_3 Depth=1
	ds_load_b32 v27, v32 offset:12208
	ds_load_b32 v78, v3 offset:12220
	s_wait_dscnt 0x0
	v_fmac_f32_e32 v26, v27, v78
.LBB6_330:                              ;   in Loop: Header=BB6_3 Depth=1
	s_or_b32 exec_lo, exec_lo, s65
.LBB6_331:                              ;   in Loop: Header=BB6_3 Depth=1
	s_delay_alu instid0(SALU_CYCLE_1)
	s_or_b32 exec_lo, exec_lo, s64
	s_and_saveexec_b32 s64, s92
	s_cbranch_execz .LBB6_333
; %bb.332:                              ;   in Loop: Header=BB6_3 Depth=1
	ds_load_b32 v27, v3 offset:11700
	s_wait_dscnt 0x0
	v_mul_f32_e32 v26, v26, v27
	s_delay_alu instid0(VALU_DEP_1)
	v_xor_b32_e32 v27, 0x80000000, v26
	ds_store_b32 v5, v27
.LBB6_333:                              ;   in Loop: Header=BB6_3 Depth=1
	s_or_b32 exec_lo, exec_lo, s64
	s_wait_loadcnt_dscnt 0x0
	s_barrier_signal -1
	s_barrier_wait -1
	s_and_saveexec_b32 s64, s93
	s_cbranch_execz .LBB6_335
; %bb.334:                              ;   in Loop: Header=BB6_3 Depth=1
	ds_load_b32 v27, v3 offset:11696
	ds_load_b32 v78, v5
	s_wait_dscnt 0x0
	v_fma_f32 v26, -v27, v78, v26
.LBB6_335:                              ;   in Loop: Header=BB6_3 Depth=1
	s_or_b32 exec_lo, exec_lo, s64
	s_barrier_signal -1
	s_barrier_wait -1
	s_and_saveexec_b32 s64, s93
	s_cbranch_execz .LBB6_337
; %bb.336:                              ;   in Loop: Header=BB6_3 Depth=1
	ds_load_b32 v27, v3 offset:11440
	s_wait_dscnt 0x0
	v_mul_f32_e32 v26, v26, v27
	s_delay_alu instid0(VALU_DEP_1)
	v_xor_b32_e32 v27, 0x80000000, v26
	ds_store_b32 v5, v27
.LBB6_337:                              ;   in Loop: Header=BB6_3 Depth=1
	s_or_b32 exec_lo, exec_lo, s64
	s_wait_dscnt 0x0
	s_barrier_signal -1
	s_barrier_wait -1
	s_barrier_signal -1
	s_barrier_wait -1
	s_and_saveexec_b32 s64, s0
; %bb.338:                              ;   in Loop: Header=BB6_3 Depth=1
	ds_store_b32 v33, v26 offset:12208
; %bb.339:                              ;   in Loop: Header=BB6_3 Depth=1
	s_or_b32 exec_lo, exec_lo, s64
	s_wait_dscnt 0x0
	s_barrier_signal -1
	s_barrier_wait -1
	s_barrier_signal -1
	s_barrier_wait -1
	s_and_saveexec_b32 s64, s94
	s_cbranch_execz .LBB6_341
; %bb.340:                              ;   in Loop: Header=BB6_3 Depth=1
	ds_load_b32 v26, v34 offset:11952
	s_wait_dscnt 0x0
	ds_store_b32 v32, v26 offset:11448
	ds_load_b32 v26, v34 offset:11956
	s_wait_dscnt 0x0
	ds_store_b32 v32, v26 offset:11704
.LBB6_341:                              ;   in Loop: Header=BB6_3 Depth=1
	s_or_b32 exec_lo, exec_lo, s64
	s_wait_dscnt 0x0
	s_barrier_signal -1
	s_barrier_wait -1
	s_and_saveexec_b32 s64, s15
	s_cbranch_execz .LBB6_343
; %bb.342:                              ;   in Loop: Header=BB6_3 Depth=1
	ds_load_b64 v[26:27], v3 offset:11696
	ds_load_b32 v78, v3 offset:11440
	s_wait_dscnt 0x0
	v_mul_f32_e32 v27, v78, v27
	s_delay_alu instid0(VALU_DEP_1)
	v_mul_f32_e32 v26, v26, v27
	v_add_nc_u32_e64 v27, 0x2c00, 0
	ds_store_2addr_b32 v27, v26, v26 offset0:45 offset1:108
.LBB6_343:                              ;   in Loop: Header=BB6_3 Depth=1
	s_or_b32 exec_lo, exec_lo, s64
	v_mov_b32_e32 v26, 0
	s_wait_dscnt 0x0
	s_barrier_signal -1
	s_barrier_wait -1
	global_wb scope:SCOPE_DEV
	s_wait_storecnt 0x0
	global_inv scope:SCOPE_DEV
	s_and_saveexec_b32 s65, s2
	s_cbranch_execz .LBB6_349
; %bb.344:                              ;   in Loop: Header=BB6_3 Depth=1
	ds_load_b32 v26, v37 offset:11424
	ds_load_b32 v27, v36 offset:12208
	s_wait_dscnt 0x0
	v_fma_f32 v26, v26, v27, 0
	s_and_saveexec_b32 s64, s17
	s_cbranch_execnz .LBB6_1221
; %bb.345:                              ;   in Loop: Header=BB6_3 Depth=1
	s_or_b32 exec_lo, exec_lo, s64
	s_and_saveexec_b32 s64, s18
	s_cbranch_execnz .LBB6_1222
.LBB6_346:                              ;   in Loop: Header=BB6_3 Depth=1
	s_or_b32 exec_lo, exec_lo, s64
	s_and_saveexec_b32 s64, s0
	s_cbranch_execz .LBB6_348
.LBB6_347:                              ;   in Loop: Header=BB6_3 Depth=1
	ds_load_b32 v27, v38 offset:12192
	ds_load_b32 v78, v3 offset:12220
	s_wait_dscnt 0x0
	v_fmac_f32_e32 v26, v27, v78
.LBB6_348:                              ;   in Loop: Header=BB6_3 Depth=1
	s_or_b32 exec_lo, exec_lo, s64
.LBB6_349:                              ;   in Loop: Header=BB6_3 Depth=1
	s_delay_alu instid0(SALU_CYCLE_1)
	s_or_b32 exec_lo, exec_lo, s65
	s_and_saveexec_b32 s64, s95
	s_cbranch_execz .LBB6_351
; %bb.350:                              ;   in Loop: Header=BB6_3 Depth=1
	ds_load_b32 v27, v3 offset:11180
	s_wait_dscnt 0x0
	v_mul_f32_e32 v26, v26, v27
	s_delay_alu instid0(VALU_DEP_1)
	v_xor_b32_e32 v27, 0x80000000, v26
	ds_store_b32 v35, v27
.LBB6_351:                              ;   in Loop: Header=BB6_3 Depth=1
	s_or_b32 exec_lo, exec_lo, s64
	s_wait_loadcnt_dscnt 0x0
	s_barrier_signal -1
	s_barrier_wait -1
	s_and_saveexec_b32 s64, s96
	s_cbranch_execz .LBB6_353
; %bb.352:                              ;   in Loop: Header=BB6_3 Depth=1
	ds_load_b32 v27, v37 offset:11168
	ds_load_b32 v78, v35
	s_wait_dscnt 0x0
	v_fma_f32 v26, -v27, v78, v26
.LBB6_353:                              ;   in Loop: Header=BB6_3 Depth=1
	s_or_b32 exec_lo, exec_lo, s64
	s_barrier_signal -1
	s_barrier_wait -1
	s_and_saveexec_b32 s64, s97
	s_cbranch_execz .LBB6_355
; %bb.354:                              ;   in Loop: Header=BB6_3 Depth=1
	ds_load_b32 v27, v3 offset:10920
	s_wait_dscnt 0x0
	v_mul_f32_e32 v26, v26, v27
	s_delay_alu instid0(VALU_DEP_1)
	v_xor_b32_e32 v27, 0x80000000, v26
	ds_store_b32 v35, v27
.LBB6_355:                              ;   in Loop: Header=BB6_3 Depth=1
	s_or_b32 exec_lo, exec_lo, s64
	s_wait_dscnt 0x0
	s_barrier_signal -1
	s_barrier_wait -1
	s_and_saveexec_b32 s64, s98
	s_cbranch_execz .LBB6_357
; %bb.356:                              ;   in Loop: Header=BB6_3 Depth=1
	ds_load_b32 v27, v37 offset:10912
	ds_load_b32 v78, v35
	s_wait_dscnt 0x0
	v_fma_f32 v26, -v27, v78, v26
.LBB6_357:                              ;   in Loop: Header=BB6_3 Depth=1
	s_or_b32 exec_lo, exec_lo, s64
	s_barrier_signal -1
	s_barrier_wait -1
	s_and_saveexec_b32 s64, s99
	s_cbranch_execz .LBB6_359
; %bb.358:                              ;   in Loop: Header=BB6_3 Depth=1
	ds_load_b32 v27, v3 offset:10660
	s_wait_dscnt 0x0
	v_mul_f32_e32 v26, v26, v27
	s_delay_alu instid0(VALU_DEP_1)
	v_xor_b32_e32 v27, 0x80000000, v26
	ds_store_b32 v35, v27
.LBB6_359:                              ;   in Loop: Header=BB6_3 Depth=1
	s_or_b32 exec_lo, exec_lo, s64
	s_wait_dscnt 0x0
	;; [unrolled: 25-line block ×3, first 2 shown]
	s_barrier_signal -1
	s_barrier_wait -1
	s_barrier_signal -1
	s_barrier_wait -1
	s_and_saveexec_b32 s64, s2
; %bb.364:                              ;   in Loop: Header=BB6_3 Depth=1
	ds_store_b32 v41, v26 offset:12192
; %bb.365:                              ;   in Loop: Header=BB6_3 Depth=1
	s_or_b32 exec_lo, exec_lo, s64
	s_wait_dscnt 0x0
	s_barrier_signal -1
	s_barrier_wait -1
	s_barrier_signal -1
	s_barrier_wait -1
	s_and_saveexec_b32 s64, s101
	s_cbranch_execz .LBB6_367
; %bb.366:                              ;   in Loop: Header=BB6_3 Depth=1
	ds_load_b32 v26, v39 offset:11424
	s_wait_dscnt 0x0
	ds_store_b32 v40, v26 offset:10416
	ds_load_b32 v26, v39 offset:11428
	s_wait_dscnt 0x0
	ds_store_b32 v40, v26 offset:10672
	;; [unrolled: 3-line block ×4, first 2 shown]
.LBB6_367:                              ;   in Loop: Header=BB6_3 Depth=1
	s_or_b32 exec_lo, exec_lo, s64
	s_wait_dscnt 0x0
	s_barrier_signal -1
	s_barrier_wait -1
	s_and_saveexec_b32 s64, s15
	s_cbranch_execz .LBB6_369
; %bb.368:                              ;   in Loop: Header=BB6_3 Depth=1
	ds_load_b64 v[26:27], v3 offset:11176
	ds_load_b32 v78, v3 offset:10920
	s_wait_dscnt 0x0
	v_mul_f32_e32 v27, v78, v27
	s_delay_alu instid0(VALU_DEP_1)
	v_mul_f32_e32 v26, v26, v27
	v_add_nc_u32_e64 v27, 0x2800, 0
	ds_store_2addr_b32 v27, v26, v26 offset0:171 offset1:234
.LBB6_369:                              ;   in Loop: Header=BB6_3 Depth=1
	s_or_b32 exec_lo, exec_lo, s64
	v_mov_b32_e32 v26, 0
	s_wait_dscnt 0x0
	s_barrier_signal -1
	s_barrier_wait -1
	global_wb scope:SCOPE_DEV
	s_wait_storecnt 0x0
	global_inv scope:SCOPE_DEV
	s_and_saveexec_b32 s64, s0
	s_cbranch_execz .LBB6_373
; %bb.370:                              ;   in Loop: Header=BB6_3 Depth=1
	ds_load_b32 v26, v31 offset:10912
	ds_load_b32 v27, v30 offset:11176
	s_wait_dscnt 0x0
	v_fma_f32 v26, v26, v27, 0
	s_and_saveexec_b32 s65, s16
	s_cbranch_execz .LBB6_372
; %bb.371:                              ;   in Loop: Header=BB6_3 Depth=1
	ds_load_b32 v27, v40 offset:11168
	ds_load_b32 v78, v3 offset:11180
	s_wait_dscnt 0x0
	v_fmac_f32_e32 v26, v27, v78
.LBB6_372:                              ;   in Loop: Header=BB6_3 Depth=1
	s_or_b32 exec_lo, exec_lo, s65
.LBB6_373:                              ;   in Loop: Header=BB6_3 Depth=1
	s_delay_alu instid0(SALU_CYCLE_1)
	s_or_b32 exec_lo, exec_lo, s64
	s_and_saveexec_b32 s64, s92
	s_cbranch_execz .LBB6_375
; %bb.374:                              ;   in Loop: Header=BB6_3 Depth=1
	ds_load_b32 v27, v3 offset:10660
	s_wait_dscnt 0x0
	v_mul_f32_e32 v26, v26, v27
	s_delay_alu instid0(VALU_DEP_1)
	v_xor_b32_e32 v27, 0x80000000, v26
	ds_store_b32 v5, v27
.LBB6_375:                              ;   in Loop: Header=BB6_3 Depth=1
	s_or_b32 exec_lo, exec_lo, s64
	s_wait_loadcnt_dscnt 0x0
	s_barrier_signal -1
	s_barrier_wait -1
	s_and_saveexec_b32 s64, s93
	s_cbranch_execz .LBB6_377
; %bb.376:                              ;   in Loop: Header=BB6_3 Depth=1
	ds_load_b32 v27, v3 offset:10656
	ds_load_b32 v78, v5
	s_wait_dscnt 0x0
	v_fma_f32 v26, -v27, v78, v26
.LBB6_377:                              ;   in Loop: Header=BB6_3 Depth=1
	s_or_b32 exec_lo, exec_lo, s64
	s_barrier_signal -1
	s_barrier_wait -1
	s_and_saveexec_b32 s64, s93
	s_cbranch_execz .LBB6_379
; %bb.378:                              ;   in Loop: Header=BB6_3 Depth=1
	ds_load_b32 v27, v3 offset:10400
	s_wait_dscnt 0x0
	v_mul_f32_e32 v26, v26, v27
	s_delay_alu instid0(VALU_DEP_1)
	v_xor_b32_e32 v27, 0x80000000, v26
	ds_store_b32 v5, v27
.LBB6_379:                              ;   in Loop: Header=BB6_3 Depth=1
	s_or_b32 exec_lo, exec_lo, s64
	s_wait_dscnt 0x0
	s_barrier_signal -1
	s_barrier_wait -1
	s_barrier_signal -1
	s_barrier_wait -1
	s_and_saveexec_b32 s64, s0
; %bb.380:                              ;   in Loop: Header=BB6_3 Depth=1
	ds_store_b32 v33, v26 offset:11168
; %bb.381:                              ;   in Loop: Header=BB6_3 Depth=1
	s_or_b32 exec_lo, exec_lo, s64
	s_wait_dscnt 0x0
	s_barrier_signal -1
	s_barrier_wait -1
	s_barrier_signal -1
	s_barrier_wait -1
	s_and_saveexec_b32 s64, s94
	s_cbranch_execz .LBB6_383
; %bb.382:                              ;   in Loop: Header=BB6_3 Depth=1
	ds_load_b32 v26, v42 offset:10912
	s_wait_dscnt 0x0
	ds_store_b32 v40, v26 offset:10408
	ds_load_b32 v26, v42 offset:10916
	s_wait_dscnt 0x0
	ds_store_b32 v40, v26 offset:10664
.LBB6_383:                              ;   in Loop: Header=BB6_3 Depth=1
	s_or_b32 exec_lo, exec_lo, s64
	s_wait_dscnt 0x0
	s_barrier_signal -1
	s_barrier_wait -1
	s_and_saveexec_b32 s64, s15
	s_cbranch_execz .LBB6_385
; %bb.384:                              ;   in Loop: Header=BB6_3 Depth=1
	ds_load_b64 v[26:27], v3 offset:10656
	ds_load_b32 v78, v3 offset:10400
	s_wait_dscnt 0x0
	v_mul_f32_e32 v27, v78, v27
	s_delay_alu instid0(VALU_DEP_1)
	v_mul_f32_e32 v26, v26, v27
	v_add_nc_u32_e64 v27, 0x2800, 0
	ds_store_2addr_b32 v27, v26, v26 offset0:41 offset1:104
.LBB6_385:                              ;   in Loop: Header=BB6_3 Depth=1
	s_or_b32 exec_lo, exec_lo, s64
	v_mov_b32_e32 v26, 0
	s_wait_dscnt 0x0
	s_barrier_signal -1
	s_barrier_wait -1
	global_wb scope:SCOPE_DEV
	s_wait_storecnt 0x0
	global_inv scope:SCOPE_DEV
	s_and_saveexec_b32 s65, s3
	s_cbranch_execz .LBB6_395
; %bb.386:                              ;   in Loop: Header=BB6_3 Depth=1
	ds_load_b32 v26, v45 offset:10368
	ds_load_b32 v27, v44 offset:12192
	s_wait_dscnt 0x0
	v_fma_f32 v26, v26, v27, 0
	s_and_saveexec_b32 s64, s19
	s_cbranch_execnz .LBB6_1223
; %bb.387:                              ;   in Loop: Header=BB6_3 Depth=1
	s_or_b32 exec_lo, exec_lo, s64
	s_and_saveexec_b32 s64, s20
	s_cbranch_execnz .LBB6_1224
.LBB6_388:                              ;   in Loop: Header=BB6_3 Depth=1
	s_or_b32 exec_lo, exec_lo, s64
	s_and_saveexec_b32 s64, s21
	s_cbranch_execnz .LBB6_1225
.LBB6_389:                              ;   in Loop: Header=BB6_3 Depth=1
	s_or_b32 exec_lo, exec_lo, s64
	s_and_saveexec_b32 s64, s22
	s_cbranch_execnz .LBB6_1226
.LBB6_390:                              ;   in Loop: Header=BB6_3 Depth=1
	s_or_b32 exec_lo, exec_lo, s64
	s_and_saveexec_b32 s64, s23
	s_cbranch_execnz .LBB6_1227
.LBB6_391:                              ;   in Loop: Header=BB6_3 Depth=1
	s_or_b32 exec_lo, exec_lo, s64
	s_and_saveexec_b32 s64, s2
	s_cbranch_execnz .LBB6_1228
.LBB6_392:                              ;   in Loop: Header=BB6_3 Depth=1
	s_or_b32 exec_lo, exec_lo, s64
	s_and_saveexec_b32 s64, s18
	s_cbranch_execz .LBB6_394
.LBB6_393:                              ;   in Loop: Header=BB6_3 Depth=1
	ds_load_b32 v27, v46 offset:12160
	ds_load_b32 v78, v3 offset:12220
	s_wait_dscnt 0x0
	v_fmac_f32_e32 v26, v27, v78
.LBB6_394:                              ;   in Loop: Header=BB6_3 Depth=1
	s_or_b32 exec_lo, exec_lo, s64
.LBB6_395:                              ;   in Loop: Header=BB6_3 Depth=1
	s_delay_alu instid0(SALU_CYCLE_1)
	s_or_b32 exec_lo, exec_lo, s65
	s_and_saveexec_b32 s64, s102
	s_cbranch_execz .LBB6_397
; %bb.396:                              ;   in Loop: Header=BB6_3 Depth=1
	ds_load_b32 v27, v3 offset:10140
	s_wait_dscnt 0x0
	v_mul_f32_e32 v26, v26, v27
	s_delay_alu instid0(VALU_DEP_1)
	v_xor_b32_e32 v27, 0x80000000, v26
	ds_store_b32 v43, v27
.LBB6_397:                              ;   in Loop: Header=BB6_3 Depth=1
	s_or_b32 exec_lo, exec_lo, s64
	s_wait_loadcnt_dscnt 0x0
	s_barrier_signal -1
	s_barrier_wait -1
	s_and_saveexec_b32 s64, s103
	s_cbranch_execz .LBB6_399
; %bb.398:                              ;   in Loop: Header=BB6_3 Depth=1
	ds_load_b32 v27, v45 offset:10112
	ds_load_b32 v78, v43
	s_wait_dscnt 0x0
	v_fma_f32 v26, -v27, v78, v26
.LBB6_399:                              ;   in Loop: Header=BB6_3 Depth=1
	s_or_b32 exec_lo, exec_lo, s64
	s_barrier_signal -1
	s_barrier_wait -1
	s_and_saveexec_b32 s64, s104
	s_cbranch_execz .LBB6_401
; %bb.400:                              ;   in Loop: Header=BB6_3 Depth=1
	ds_load_b32 v27, v3 offset:9880
	s_wait_dscnt 0x0
	v_mul_f32_e32 v26, v26, v27
	s_delay_alu instid0(VALU_DEP_1)
	v_xor_b32_e32 v27, 0x80000000, v26
	ds_store_b32 v43, v27
.LBB6_401:                              ;   in Loop: Header=BB6_3 Depth=1
	s_or_b32 exec_lo, exec_lo, s64
	s_wait_dscnt 0x0
	s_barrier_signal -1
	s_barrier_wait -1
	s_and_saveexec_b32 s64, vcc_hi
	s_cbranch_execz .LBB6_403
; %bb.402:                              ;   in Loop: Header=BB6_3 Depth=1
	ds_load_b32 v27, v45 offset:9856
	ds_load_b32 v78, v43
	s_wait_dscnt 0x0
	v_fma_f32 v26, -v27, v78, v26
.LBB6_403:                              ;   in Loop: Header=BB6_3 Depth=1
	s_or_b32 exec_lo, exec_lo, s64
	s_barrier_signal -1
	s_barrier_wait -1
	s_and_saveexec_b32 s64, s36
	s_cbranch_execz .LBB6_405
; %bb.404:                              ;   in Loop: Header=BB6_3 Depth=1
	ds_load_b32 v27, v3 offset:9620
	s_wait_dscnt 0x0
	v_mul_f32_e32 v26, v26, v27
	s_delay_alu instid0(VALU_DEP_1)
	v_xor_b32_e32 v27, 0x80000000, v26
	ds_store_b32 v43, v27
.LBB6_405:                              ;   in Loop: Header=BB6_3 Depth=1
	s_or_b32 exec_lo, exec_lo, s64
	s_wait_dscnt 0x0
	s_barrier_signal -1
	s_barrier_wait -1
	s_and_saveexec_b32 s64, s37
	s_cbranch_execz .LBB6_407
; %bb.406:                              ;   in Loop: Header=BB6_3 Depth=1
	ds_load_b32 v27, v45 offset:9600
	ds_load_b32 v78, v43
	s_wait_dscnt 0x0
	v_fma_f32 v26, -v27, v78, v26
.LBB6_407:                              ;   in Loop: Header=BB6_3 Depth=1
	s_or_b32 exec_lo, exec_lo, s64
	s_barrier_signal -1
	s_barrier_wait -1
	s_and_saveexec_b32 s64, s38
	s_cbranch_execz .LBB6_409
; %bb.408:                              ;   in Loop: Header=BB6_3 Depth=1
	ds_load_b32 v27, v3 offset:9360
	s_wait_dscnt 0x0
	v_mul_f32_e32 v26, v26, v27
	s_delay_alu instid0(VALU_DEP_1)
	v_xor_b32_e32 v27, 0x80000000, v26
	ds_store_b32 v43, v27
.LBB6_409:                              ;   in Loop: Header=BB6_3 Depth=1
	s_or_b32 exec_lo, exec_lo, s64
	s_wait_dscnt 0x0
	s_barrier_signal -1
	s_barrier_wait -1
	s_and_saveexec_b32 s64, s39
	;; [unrolled: 25-line block ×5, first 2 shown]
	s_cbranch_execz .LBB6_423
; %bb.422:                              ;   in Loop: Header=BB6_3 Depth=1
	ds_load_b32 v27, v3 offset:8576
	ds_load_b32 v78, v43
	s_wait_dscnt 0x0
	v_fma_f32 v26, -v27, v78, v26
.LBB6_423:                              ;   in Loop: Header=BB6_3 Depth=1
	s_or_b32 exec_lo, exec_lo, s64
	s_barrier_signal -1
	s_barrier_wait -1
	s_and_saveexec_b32 s64, s45
	s_cbranch_execz .LBB6_425
; %bb.424:                              ;   in Loop: Header=BB6_3 Depth=1
	ds_load_b32 v27, v3 offset:8320
	s_wait_dscnt 0x0
	v_mul_f32_e32 v26, v26, v27
	s_delay_alu instid0(VALU_DEP_1)
	v_xor_b32_e32 v27, 0x80000000, v26
	ds_store_b32 v43, v27
.LBB6_425:                              ;   in Loop: Header=BB6_3 Depth=1
	s_or_b32 exec_lo, exec_lo, s64
	s_wait_dscnt 0x0
	s_barrier_signal -1
	s_barrier_wait -1
	s_barrier_signal -1
	s_barrier_wait -1
	s_and_saveexec_b32 s64, s3
; %bb.426:                              ;   in Loop: Header=BB6_3 Depth=1
	ds_store_b32 v48, v26 offset:12160
; %bb.427:                              ;   in Loop: Header=BB6_3 Depth=1
	s_or_b32 exec_lo, exec_lo, s64
	s_wait_dscnt 0x0
	s_barrier_signal -1
	s_barrier_wait -1
	s_barrier_signal -1
	s_barrier_wait -1
	s_and_saveexec_b32 s64, s46
	s_cbranch_execz .LBB6_429
; %bb.428:                              ;   in Loop: Header=BB6_3 Depth=1
	ds_load_b32 v26, v47 offset:10368
	s_wait_dscnt 0x0
	ds_store_b32 v49, v26 offset:8352
	ds_load_b32 v26, v47 offset:10372
	s_wait_dscnt 0x0
	ds_store_b32 v49, v26 offset:8608
	;; [unrolled: 3-line block ×8, first 2 shown]
.LBB6_429:                              ;   in Loop: Header=BB6_3 Depth=1
	s_or_b32 exec_lo, exec_lo, s64
	s_wait_dscnt 0x0
	s_barrier_signal -1
	s_barrier_wait -1
	s_and_saveexec_b32 s64, s15
	s_cbranch_execz .LBB6_431
; %bb.430:                              ;   in Loop: Header=BB6_3 Depth=1
	ds_load_b64 v[26:27], v3 offset:10136
	ds_load_b32 v78, v3 offset:9880
	s_wait_dscnt 0x0
	v_mul_f32_e32 v27, v78, v27
	s_delay_alu instid0(VALU_DEP_1)
	v_mul_f32_e32 v26, v26, v27
	v_add_nc_u32_e64 v27, 0x2400, 0
	ds_store_2addr_b32 v27, v26, v26 offset0:167 offset1:230
.LBB6_431:                              ;   in Loop: Header=BB6_3 Depth=1
	s_or_b32 exec_lo, exec_lo, s64
	v_mov_b32_e32 v26, 0
	s_wait_dscnt 0x0
	s_barrier_signal -1
	s_barrier_wait -1
	global_wb scope:SCOPE_DEV
	s_wait_storecnt 0x0
	global_inv scope:SCOPE_DEV
	s_and_saveexec_b32 s64, s0
	s_cbranch_execz .LBB6_435
; %bb.432:                              ;   in Loop: Header=BB6_3 Depth=1
	ds_load_b32 v26, v31 offset:9872
	ds_load_b32 v27, v30 offset:10136
	s_wait_dscnt 0x0
	v_fma_f32 v26, v26, v27, 0
	s_and_saveexec_b32 s65, s16
	s_cbranch_execz .LBB6_434
; %bb.433:                              ;   in Loop: Header=BB6_3 Depth=1
	ds_load_b32 v27, v49 offset:10128
	ds_load_b32 v78, v3 offset:10140
	s_wait_dscnt 0x0
	v_fmac_f32_e32 v26, v27, v78
.LBB6_434:                              ;   in Loop: Header=BB6_3 Depth=1
	s_or_b32 exec_lo, exec_lo, s65
.LBB6_435:                              ;   in Loop: Header=BB6_3 Depth=1
	s_delay_alu instid0(SALU_CYCLE_1)
	s_or_b32 exec_lo, exec_lo, s64
	s_and_saveexec_b32 s64, s92
	s_cbranch_execz .LBB6_437
; %bb.436:                              ;   in Loop: Header=BB6_3 Depth=1
	ds_load_b32 v27, v3 offset:9620
	s_wait_dscnt 0x0
	v_mul_f32_e32 v26, v26, v27
	s_delay_alu instid0(VALU_DEP_1)
	v_xor_b32_e32 v27, 0x80000000, v26
	ds_store_b32 v5, v27
.LBB6_437:                              ;   in Loop: Header=BB6_3 Depth=1
	s_or_b32 exec_lo, exec_lo, s64
	s_wait_loadcnt_dscnt 0x0
	s_barrier_signal -1
	s_barrier_wait -1
	s_and_saveexec_b32 s64, s93
	s_cbranch_execz .LBB6_439
; %bb.438:                              ;   in Loop: Header=BB6_3 Depth=1
	ds_load_b32 v27, v3 offset:9616
	ds_load_b32 v78, v5
	s_wait_dscnt 0x0
	v_fma_f32 v26, -v27, v78, v26
.LBB6_439:                              ;   in Loop: Header=BB6_3 Depth=1
	s_or_b32 exec_lo, exec_lo, s64
	s_barrier_signal -1
	s_barrier_wait -1
	s_and_saveexec_b32 s64, s93
	s_cbranch_execz .LBB6_441
; %bb.440:                              ;   in Loop: Header=BB6_3 Depth=1
	ds_load_b32 v27, v3 offset:9360
	s_wait_dscnt 0x0
	v_mul_f32_e32 v26, v26, v27
	s_delay_alu instid0(VALU_DEP_1)
	v_xor_b32_e32 v27, 0x80000000, v26
	ds_store_b32 v5, v27
.LBB6_441:                              ;   in Loop: Header=BB6_3 Depth=1
	s_or_b32 exec_lo, exec_lo, s64
	s_wait_dscnt 0x0
	s_barrier_signal -1
	s_barrier_wait -1
	s_barrier_signal -1
	s_barrier_wait -1
	s_and_saveexec_b32 s64, s0
; %bb.442:                              ;   in Loop: Header=BB6_3 Depth=1
	ds_store_b32 v33, v26 offset:10128
; %bb.443:                              ;   in Loop: Header=BB6_3 Depth=1
	s_or_b32 exec_lo, exec_lo, s64
	s_wait_dscnt 0x0
	s_barrier_signal -1
	s_barrier_wait -1
	s_barrier_signal -1
	s_barrier_wait -1
	s_and_saveexec_b32 s64, s94
	s_cbranch_execz .LBB6_445
; %bb.444:                              ;   in Loop: Header=BB6_3 Depth=1
	ds_load_b32 v26, v54 offset:9872
	s_wait_dscnt 0x0
	ds_store_b32 v49, v26 offset:9368
	ds_load_b32 v26, v54 offset:9876
	s_wait_dscnt 0x0
	ds_store_b32 v49, v26 offset:9624
.LBB6_445:                              ;   in Loop: Header=BB6_3 Depth=1
	s_or_b32 exec_lo, exec_lo, s64
	s_wait_dscnt 0x0
	s_barrier_signal -1
	s_barrier_wait -1
	s_and_saveexec_b32 s64, s15
	s_cbranch_execz .LBB6_447
; %bb.446:                              ;   in Loop: Header=BB6_3 Depth=1
	ds_load_b64 v[26:27], v3 offset:9616
	ds_load_b32 v78, v3 offset:9360
	s_wait_dscnt 0x0
	v_mul_f32_e32 v27, v78, v27
	s_delay_alu instid0(VALU_DEP_1)
	v_mul_f32_e32 v26, v26, v27
	v_add_nc_u32_e64 v27, 0x2400, 0
	ds_store_2addr_b32 v27, v26, v26 offset0:37 offset1:100
.LBB6_447:                              ;   in Loop: Header=BB6_3 Depth=1
	s_or_b32 exec_lo, exec_lo, s64
	v_mov_b32_e32 v26, 0
	s_wait_dscnt 0x0
	s_barrier_signal -1
	s_barrier_wait -1
	global_wb scope:SCOPE_DEV
	s_wait_storecnt 0x0
	global_inv scope:SCOPE_DEV
	s_and_saveexec_b32 s65, s2
	s_cbranch_execz .LBB6_453
; %bb.448:                              ;   in Loop: Header=BB6_3 Depth=1
	ds_load_b32 v26, v37 offset:9344
	ds_load_b32 v27, v36 offset:10128
	s_wait_dscnt 0x0
	v_fma_f32 v26, v26, v27, 0
	s_and_saveexec_b32 s64, s17
	s_cbranch_execnz .LBB6_1229
; %bb.449:                              ;   in Loop: Header=BB6_3 Depth=1
	s_or_b32 exec_lo, exec_lo, s64
	s_and_saveexec_b32 s64, s18
	s_cbranch_execnz .LBB6_1230
.LBB6_450:                              ;   in Loop: Header=BB6_3 Depth=1
	s_or_b32 exec_lo, exec_lo, s64
	s_and_saveexec_b32 s64, s0
	s_cbranch_execz .LBB6_452
.LBB6_451:                              ;   in Loop: Header=BB6_3 Depth=1
	ds_load_b32 v27, v55 offset:10112
	ds_load_b32 v78, v3 offset:10140
	s_wait_dscnt 0x0
	v_fmac_f32_e32 v26, v27, v78
.LBB6_452:                              ;   in Loop: Header=BB6_3 Depth=1
	s_or_b32 exec_lo, exec_lo, s64
.LBB6_453:                              ;   in Loop: Header=BB6_3 Depth=1
	s_delay_alu instid0(SALU_CYCLE_1)
	s_or_b32 exec_lo, exec_lo, s65
	s_and_saveexec_b32 s64, s95
	s_cbranch_execz .LBB6_455
; %bb.454:                              ;   in Loop: Header=BB6_3 Depth=1
	ds_load_b32 v27, v3 offset:9100
	s_wait_dscnt 0x0
	v_mul_f32_e32 v26, v26, v27
	s_delay_alu instid0(VALU_DEP_1)
	v_xor_b32_e32 v27, 0x80000000, v26
	ds_store_b32 v35, v27
.LBB6_455:                              ;   in Loop: Header=BB6_3 Depth=1
	s_or_b32 exec_lo, exec_lo, s64
	s_wait_loadcnt_dscnt 0x0
	s_barrier_signal -1
	s_barrier_wait -1
	s_and_saveexec_b32 s64, s96
	s_cbranch_execz .LBB6_457
; %bb.456:                              ;   in Loop: Header=BB6_3 Depth=1
	ds_load_b32 v27, v37 offset:9088
	ds_load_b32 v78, v35
	s_wait_dscnt 0x0
	v_fma_f32 v26, -v27, v78, v26
.LBB6_457:                              ;   in Loop: Header=BB6_3 Depth=1
	s_or_b32 exec_lo, exec_lo, s64
	s_barrier_signal -1
	s_barrier_wait -1
	s_and_saveexec_b32 s64, s97
	s_cbranch_execz .LBB6_459
; %bb.458:                              ;   in Loop: Header=BB6_3 Depth=1
	ds_load_b32 v27, v3 offset:8840
	s_wait_dscnt 0x0
	v_mul_f32_e32 v26, v26, v27
	s_delay_alu instid0(VALU_DEP_1)
	v_xor_b32_e32 v27, 0x80000000, v26
	ds_store_b32 v35, v27
.LBB6_459:                              ;   in Loop: Header=BB6_3 Depth=1
	s_or_b32 exec_lo, exec_lo, s64
	s_wait_dscnt 0x0
	s_barrier_signal -1
	s_barrier_wait -1
	s_and_saveexec_b32 s64, s98
	s_cbranch_execz .LBB6_461
; %bb.460:                              ;   in Loop: Header=BB6_3 Depth=1
	ds_load_b32 v27, v37 offset:8832
	ds_load_b32 v78, v35
	s_wait_dscnt 0x0
	v_fma_f32 v26, -v27, v78, v26
.LBB6_461:                              ;   in Loop: Header=BB6_3 Depth=1
	s_or_b32 exec_lo, exec_lo, s64
	s_barrier_signal -1
	s_barrier_wait -1
	s_and_saveexec_b32 s64, s99
	s_cbranch_execz .LBB6_463
; %bb.462:                              ;   in Loop: Header=BB6_3 Depth=1
	ds_load_b32 v27, v3 offset:8580
	s_wait_dscnt 0x0
	v_mul_f32_e32 v26, v26, v27
	s_delay_alu instid0(VALU_DEP_1)
	v_xor_b32_e32 v27, 0x80000000, v26
	ds_store_b32 v35, v27
.LBB6_463:                              ;   in Loop: Header=BB6_3 Depth=1
	s_or_b32 exec_lo, exec_lo, s64
	s_wait_dscnt 0x0
	;; [unrolled: 25-line block ×3, first 2 shown]
	s_barrier_signal -1
	s_barrier_wait -1
	s_barrier_signal -1
	s_barrier_wait -1
	s_and_saveexec_b32 s64, s2
; %bb.468:                              ;   in Loop: Header=BB6_3 Depth=1
	ds_store_b32 v41, v26 offset:10112
; %bb.469:                              ;   in Loop: Header=BB6_3 Depth=1
	s_or_b32 exec_lo, exec_lo, s64
	s_wait_dscnt 0x0
	s_barrier_signal -1
	s_barrier_wait -1
	s_barrier_signal -1
	s_barrier_wait -1
	s_and_saveexec_b32 s64, s101
	s_cbranch_execz .LBB6_471
; %bb.470:                              ;   in Loop: Header=BB6_3 Depth=1
	ds_load_b32 v26, v56 offset:9344
	s_wait_dscnt 0x0
	ds_store_b32 v57, v26 offset:8336
	ds_load_b32 v26, v56 offset:9348
	s_wait_dscnt 0x0
	ds_store_b32 v57, v26 offset:8592
	;; [unrolled: 3-line block ×4, first 2 shown]
.LBB6_471:                              ;   in Loop: Header=BB6_3 Depth=1
	s_or_b32 exec_lo, exec_lo, s64
	s_wait_dscnt 0x0
	s_barrier_signal -1
	s_barrier_wait -1
	s_and_saveexec_b32 s64, s15
	s_cbranch_execz .LBB6_473
; %bb.472:                              ;   in Loop: Header=BB6_3 Depth=1
	ds_load_b64 v[26:27], v3 offset:9096
	ds_load_b32 v78, v3 offset:8840
	s_wait_dscnt 0x0
	v_mul_f32_e32 v27, v78, v27
	s_delay_alu instid0(VALU_DEP_1)
	v_mul_f32_e32 v26, v26, v27
	v_add_nc_u32_e64 v27, 0x2000, 0
	ds_store_2addr_b32 v27, v26, v26 offset0:163 offset1:226
.LBB6_473:                              ;   in Loop: Header=BB6_3 Depth=1
	s_or_b32 exec_lo, exec_lo, s64
	v_mov_b32_e32 v26, 0
	s_wait_dscnt 0x0
	s_barrier_signal -1
	s_barrier_wait -1
	global_wb scope:SCOPE_DEV
	s_wait_storecnt 0x0
	global_inv scope:SCOPE_DEV
	s_and_saveexec_b32 s64, s0
	s_cbranch_execz .LBB6_477
; %bb.474:                              ;   in Loop: Header=BB6_3 Depth=1
	ds_load_b32 v26, v31 offset:8832
	ds_load_b32 v27, v30 offset:9096
	s_wait_dscnt 0x0
	v_fma_f32 v26, v26, v27, 0
	s_and_saveexec_b32 s65, s16
	s_cbranch_execz .LBB6_476
; %bb.475:                              ;   in Loop: Header=BB6_3 Depth=1
	ds_load_b32 v27, v57 offset:9088
	ds_load_b32 v78, v3 offset:9100
	s_wait_dscnt 0x0
	v_fmac_f32_e32 v26, v27, v78
.LBB6_476:                              ;   in Loop: Header=BB6_3 Depth=1
	s_or_b32 exec_lo, exec_lo, s65
.LBB6_477:                              ;   in Loop: Header=BB6_3 Depth=1
	s_delay_alu instid0(SALU_CYCLE_1)
	s_or_b32 exec_lo, exec_lo, s64
	s_and_saveexec_b32 s64, s92
	s_cbranch_execz .LBB6_479
; %bb.478:                              ;   in Loop: Header=BB6_3 Depth=1
	ds_load_b32 v27, v3 offset:8580
	s_wait_dscnt 0x0
	v_mul_f32_e32 v26, v26, v27
	s_delay_alu instid0(VALU_DEP_1)
	v_xor_b32_e32 v27, 0x80000000, v26
	ds_store_b32 v5, v27
.LBB6_479:                              ;   in Loop: Header=BB6_3 Depth=1
	s_or_b32 exec_lo, exec_lo, s64
	s_wait_loadcnt_dscnt 0x0
	s_barrier_signal -1
	s_barrier_wait -1
	s_and_saveexec_b32 s64, s93
	s_cbranch_execz .LBB6_481
; %bb.480:                              ;   in Loop: Header=BB6_3 Depth=1
	ds_load_b32 v27, v3 offset:8576
	ds_load_b32 v78, v5
	s_wait_dscnt 0x0
	v_fma_f32 v26, -v27, v78, v26
.LBB6_481:                              ;   in Loop: Header=BB6_3 Depth=1
	s_or_b32 exec_lo, exec_lo, s64
	s_barrier_signal -1
	s_barrier_wait -1
	s_and_saveexec_b32 s64, s93
	s_cbranch_execz .LBB6_483
; %bb.482:                              ;   in Loop: Header=BB6_3 Depth=1
	ds_load_b32 v27, v3 offset:8320
	s_wait_dscnt 0x0
	v_mul_f32_e32 v26, v26, v27
	s_delay_alu instid0(VALU_DEP_1)
	v_xor_b32_e32 v27, 0x80000000, v26
	ds_store_b32 v5, v27
.LBB6_483:                              ;   in Loop: Header=BB6_3 Depth=1
	s_or_b32 exec_lo, exec_lo, s64
	s_wait_dscnt 0x0
	s_barrier_signal -1
	s_barrier_wait -1
	s_barrier_signal -1
	s_barrier_wait -1
	s_and_saveexec_b32 s64, s0
; %bb.484:                              ;   in Loop: Header=BB6_3 Depth=1
	ds_store_b32 v33, v26 offset:9088
; %bb.485:                              ;   in Loop: Header=BB6_3 Depth=1
	s_or_b32 exec_lo, exec_lo, s64
	s_wait_dscnt 0x0
	s_barrier_signal -1
	s_barrier_wait -1
	s_barrier_signal -1
	s_barrier_wait -1
	s_and_saveexec_b32 s64, s94
	s_cbranch_execz .LBB6_487
; %bb.486:                              ;   in Loop: Header=BB6_3 Depth=1
	ds_load_b32 v26, v58 offset:8832
	s_wait_dscnt 0x0
	ds_store_b32 v57, v26 offset:8328
	ds_load_b32 v26, v58 offset:8836
	s_wait_dscnt 0x0
	ds_store_b32 v57, v26 offset:8584
.LBB6_487:                              ;   in Loop: Header=BB6_3 Depth=1
	s_or_b32 exec_lo, exec_lo, s64
	s_wait_dscnt 0x0
	s_barrier_signal -1
	s_barrier_wait -1
	s_and_saveexec_b32 s64, s15
	s_cbranch_execz .LBB6_489
; %bb.488:                              ;   in Loop: Header=BB6_3 Depth=1
	ds_load_b64 v[26:27], v3 offset:8576
	ds_load_b32 v78, v3 offset:8320
	s_wait_dscnt 0x0
	v_mul_f32_e32 v27, v78, v27
	s_delay_alu instid0(VALU_DEP_1)
	v_mul_f32_e32 v26, v26, v27
	v_add_nc_u32_e64 v27, 0x2000, 0
	ds_store_2addr_b32 v27, v26, v26 offset0:33 offset1:96
.LBB6_489:                              ;   in Loop: Header=BB6_3 Depth=1
	s_or_b32 exec_lo, exec_lo, s64
	v_mov_b32_e32 v26, 0
	s_wait_dscnt 0x0
	s_barrier_signal -1
	s_barrier_wait -1
	global_wb scope:SCOPE_DEV
	s_wait_storecnt 0x0
	global_inv scope:SCOPE_DEV
	s_and_saveexec_b32 s65, s5
	s_cbranch_execz .LBB6_551
; %bb.490:                              ;   in Loop: Header=BB6_3 Depth=1
	ds_load_b32 v26, v60 offset:8192
	ds_load_b32 v27, v59 offset:16256
	s_wait_dscnt 0x0
	v_fma_f32 v26, v26, v27, 0
	s_mov_b32 s64, exec_lo
	v_readlane_b32 s71, v84, 1
	s_and_b32 s71, s64, s71
	s_delay_alu instid0(SALU_CYCLE_1)
	s_mov_b32 exec_lo, s71
	s_cbranch_execz .LBB6_492
; %bb.491:                              ;   in Loop: Header=BB6_3 Depth=1
	ds_load_b32 v27, v60 offset:8448
	ds_load_b32 v78, v59 offset:16260
	s_wait_dscnt 0x0
	v_fmac_f32_e32 v26, v27, v78
.LBB6_492:                              ;   in Loop: Header=BB6_3 Depth=1
	s_or_b32 exec_lo, exec_lo, s64
	s_delay_alu instid0(SALU_CYCLE_1) | instskip(SKIP_2) | instid1(SALU_CYCLE_1)
	s_mov_b32 s64, exec_lo
	v_readlane_b32 s71, v84, 2
	s_and_b32 s71, s64, s71
	s_mov_b32 exec_lo, s71
	s_cbranch_execz .LBB6_494
; %bb.493:                              ;   in Loop: Header=BB6_3 Depth=1
	ds_load_b32 v27, v60 offset:8704
	ds_load_b32 v78, v59 offset:16264
	s_wait_dscnt 0x0
	v_fmac_f32_e32 v26, v27, v78
.LBB6_494:                              ;   in Loop: Header=BB6_3 Depth=1
	s_or_b32 exec_lo, exec_lo, s64
	s_delay_alu instid0(SALU_CYCLE_1) | instskip(SKIP_2) | instid1(SALU_CYCLE_1)
	s_mov_b32 s64, exec_lo
	v_readlane_b32 s71, v84, 3
	s_and_b32 s71, s64, s71
	;; [unrolled: 13-line block ×22, first 2 shown]
	s_mov_b32 exec_lo, s71
	s_cbranch_execz .LBB6_536
; %bb.535:                              ;   in Loop: Header=BB6_3 Depth=1
	ds_load_b32 v27, v60 offset:14080
	ds_load_b32 v78, v59 offset:16348
	s_wait_dscnt 0x0
	v_fmac_f32_e32 v26, v27, v78
.LBB6_536:                              ;   in Loop: Header=BB6_3 Depth=1
	s_or_b32 exec_lo, exec_lo, s64
	s_and_saveexec_b32 s64, s4
	s_cbranch_execz .LBB6_538
; %bb.537:                              ;   in Loop: Header=BB6_3 Depth=1
	ds_load_b32 v27, v60 offset:14336
	ds_load_b32 v78, v59 offset:16352
	s_wait_dscnt 0x0
	v_fmac_f32_e32 v26, v27, v78
.LBB6_538:                              ;   in Loop: Header=BB6_3 Depth=1
	s_or_b32 exec_lo, exec_lo, s64
	s_delay_alu instid0(SALU_CYCLE_1) | instskip(SKIP_2) | instid1(SALU_CYCLE_1)
	s_mov_b32 s64, exec_lo
	v_readlane_b32 s71, v85, 23
	s_and_b32 s71, s64, s71
	s_mov_b32 exec_lo, s71
	s_cbranch_execz .LBB6_540
; %bb.539:                              ;   in Loop: Header=BB6_3 Depth=1
	ds_load_b32 v27, v60 offset:14592
	ds_load_b32 v78, v59 offset:16356
	s_wait_dscnt 0x0
	v_fmac_f32_e32 v26, v27, v78
.LBB6_540:                              ;   in Loop: Header=BB6_3 Depth=1
	s_or_b32 exec_lo, exec_lo, s64
	s_delay_alu instid0(SALU_CYCLE_1) | instskip(SKIP_2) | instid1(SALU_CYCLE_1)
	s_mov_b32 s64, exec_lo
	v_readlane_b32 s71, v85, 25
	s_and_b32 s71, s64, s71
	s_mov_b32 exec_lo, s71
	;; [unrolled: 13-line block ×5, first 2 shown]
	s_cbranch_execnz .LBB6_1231
; %bb.547:                              ;   in Loop: Header=BB6_3 Depth=1
	s_or_b32 exec_lo, exec_lo, s64
	s_and_saveexec_b32 s64, s3
	s_cbranch_execnz .LBB6_1232
.LBB6_548:                              ;   in Loop: Header=BB6_3 Depth=1
	s_or_b32 exec_lo, exec_lo, s64
	s_and_saveexec_b32 s64, s22
	s_cbranch_execz .LBB6_550
.LBB6_549:                              ;   in Loop: Header=BB6_3 Depth=1
	ds_load_b32 v27, v32 offset:16128
	ds_load_b32 v78, v3 offset:16380
	s_wait_dscnt 0x0
	v_fmac_f32_e32 v26, v27, v78
.LBB6_550:                              ;   in Loop: Header=BB6_3 Depth=1
	s_or_b32 exec_lo, exec_lo, s64
.LBB6_551:                              ;   in Loop: Header=BB6_3 Depth=1
	s_delay_alu instid0(SALU_CYCLE_1) | instskip(NEXT) | instid1(SALU_CYCLE_1)
	s_or_b32 exec_lo, exec_lo, s65
	s_mov_b32 s64, exec_lo
	v_readlane_b32 s65, v87, 6
	s_and_b32 s65, s64, s65
	s_delay_alu instid0(SALU_CYCLE_1)
	s_mov_b32 exec_lo, s65
	s_cbranch_execz .LBB6_553
; %bb.552:                              ;   in Loop: Header=BB6_3 Depth=1
	ds_load_b32 v27, v3 offset:8060
	s_wait_dscnt 0x0
	v_mul_f32_e32 v26, v26, v27
	s_delay_alu instid0(VALU_DEP_1)
	v_xor_b32_e32 v27, 0x80000000, v26
	ds_store_b32 v7, v27
.LBB6_553:                              ;   in Loop: Header=BB6_3 Depth=1
	s_or_b32 exec_lo, exec_lo, s64
	s_wait_loadcnt_dscnt 0x0
	s_barrier_signal -1
	s_barrier_wait -1
	s_mov_b32 s64, exec_lo
	v_readlane_b32 s65, v87, 7
	s_and_b32 s65, s64, s65
	s_delay_alu instid0(SALU_CYCLE_1)
	s_mov_b32 exec_lo, s65
	s_cbranch_execz .LBB6_555
; %bb.554:                              ;   in Loop: Header=BB6_3 Depth=1
	ds_load_b32 v27, v60 offset:7936
	ds_load_b32 v78, v7
	s_wait_dscnt 0x0
	v_fma_f32 v26, -v27, v78, v26
.LBB6_555:                              ;   in Loop: Header=BB6_3 Depth=1
	s_or_b32 exec_lo, exec_lo, s64
	s_barrier_signal -1
	s_barrier_wait -1
	s_mov_b32 s64, exec_lo
	v_readlane_b32 s65, v87, 8
	s_and_b32 s65, s64, s65
	s_delay_alu instid0(SALU_CYCLE_1)
	s_mov_b32 exec_lo, s65
	s_cbranch_execz .LBB6_557
; %bb.556:                              ;   in Loop: Header=BB6_3 Depth=1
	ds_load_b32 v27, v3 offset:7800
	s_wait_dscnt 0x0
	v_mul_f32_e32 v26, v26, v27
	s_delay_alu instid0(VALU_DEP_1)
	v_xor_b32_e32 v27, 0x80000000, v26
	ds_store_b32 v7, v27
.LBB6_557:                              ;   in Loop: Header=BB6_3 Depth=1
	s_or_b32 exec_lo, exec_lo, s64
	s_wait_dscnt 0x0
	s_barrier_signal -1
	s_barrier_wait -1
	s_mov_b32 s64, exec_lo
	v_readlane_b32 s65, v87, 9
	s_and_b32 s65, s64, s65
	s_delay_alu instid0(SALU_CYCLE_1)
	s_mov_b32 exec_lo, s65
	s_cbranch_execz .LBB6_559
; %bb.558:                              ;   in Loop: Header=BB6_3 Depth=1
	ds_load_b32 v27, v60 offset:7680
	ds_load_b32 v78, v7
	s_wait_dscnt 0x0
	v_fma_f32 v26, -v27, v78, v26
.LBB6_559:                              ;   in Loop: Header=BB6_3 Depth=1
	s_or_b32 exec_lo, exec_lo, s64
	s_barrier_signal -1
	s_barrier_wait -1
	s_mov_b32 s64, exec_lo
	v_readlane_b32 s65, v87, 10
	s_and_b32 s65, s64, s65
	s_delay_alu instid0(SALU_CYCLE_1)
	s_mov_b32 exec_lo, s65
	s_cbranch_execz .LBB6_561
; %bb.560:                              ;   in Loop: Header=BB6_3 Depth=1
	ds_load_b32 v27, v3 offset:7540
	s_wait_dscnt 0x0
	v_mul_f32_e32 v26, v26, v27
	s_delay_alu instid0(VALU_DEP_1)
	v_xor_b32_e32 v27, 0x80000000, v26
	ds_store_b32 v7, v27
.LBB6_561:                              ;   in Loop: Header=BB6_3 Depth=1
	s_or_b32 exec_lo, exec_lo, s64
	s_wait_dscnt 0x0
	;; [unrolled: 33-line block ×30, first 2 shown]
	s_barrier_signal -1
	s_barrier_wait -1
	s_and_saveexec_b32 s64, s72
	s_cbranch_execz .LBB6_675
; %bb.674:                              ;   in Loop: Header=BB6_3 Depth=1
	ds_load_b32 v27, v3 offset:256
	ds_load_b32 v78, v7
	s_wait_dscnt 0x0
	v_fma_f32 v26, -v27, v78, v26
.LBB6_675:                              ;   in Loop: Header=BB6_3 Depth=1
	s_or_b32 exec_lo, exec_lo, s64
	s_barrier_signal -1
	s_barrier_wait -1
	s_and_saveexec_b32 s64, s72
	s_cbranch_execz .LBB6_677
; %bb.676:                              ;   in Loop: Header=BB6_3 Depth=1
	ds_load_b32 v27, v3
	s_wait_dscnt 0x0
	v_mul_f32_e32 v26, v26, v27
	s_delay_alu instid0(VALU_DEP_1)
	v_xor_b32_e32 v27, 0x80000000, v26
	ds_store_b32 v7, v27
.LBB6_677:                              ;   in Loop: Header=BB6_3 Depth=1
	s_or_b32 exec_lo, exec_lo, s64
	s_wait_dscnt 0x0
	s_barrier_signal -1
	s_barrier_wait -1
	s_barrier_signal -1
	s_barrier_wait -1
	s_and_saveexec_b32 s64, s5
; %bb.678:                              ;   in Loop: Header=BB6_3 Depth=1
	ds_store_b32 v61, v26 offset:16128
; %bb.679:                              ;   in Loop: Header=BB6_3 Depth=1
	s_or_b32 exec_lo, exec_lo, s64
	s_wait_dscnt 0x0
	s_barrier_signal -1
	s_barrier_wait -1
	s_barrier_signal -1
	s_barrier_wait -1
	s_mov_b32 s65, exec_lo
	v_readlane_b32 s64, v85, 3
	s_and_b32 s64, s65, s64
	s_delay_alu instid0(SALU_CYCLE_1)
	s_mov_b32 exec_lo, s64
	s_cbranch_execz .LBB6_681
; %bb.680:                              ;   in Loop: Header=BB6_3 Depth=1
	ds_load_b32 v26, v34 offset:8192
	s_wait_dscnt 0x0
	ds_store_b32 v38, v26 offset:128
	ds_load_b32 v26, v34 offset:8196
	s_wait_dscnt 0x0
	ds_store_b32 v38, v26 offset:384
	;; [unrolled: 3-line block ×32, first 2 shown]
.LBB6_681:                              ;   in Loop: Header=BB6_3 Depth=1
	s_or_b32 exec_lo, exec_lo, s65
	s_wait_dscnt 0x0
	s_barrier_signal -1
	s_barrier_wait -1
	s_and_saveexec_b32 s64, s15
	s_cbranch_execz .LBB6_683
; %bb.682:                              ;   in Loop: Header=BB6_3 Depth=1
	ds_load_b64 v[26:27], v3 offset:8056
	ds_load_b32 v78, v3 offset:7800
	s_wait_dscnt 0x0
	v_mul_f32_e32 v27, v78, v27
	s_delay_alu instid0(VALU_DEP_1)
	v_mul_f32_e32 v26, v26, v27
	v_add_nc_u32_e64 v27, 0x1c00, 0
	ds_store_2addr_b32 v27, v26, v26 offset0:159 offset1:222
.LBB6_683:                              ;   in Loop: Header=BB6_3 Depth=1
	s_or_b32 exec_lo, exec_lo, s64
	v_mov_b32_e32 v26, 0
	s_wait_dscnt 0x0
	s_barrier_signal -1
	s_barrier_wait -1
	global_wb scope:SCOPE_DEV
	s_wait_storecnt 0x0
	global_inv scope:SCOPE_DEV
	s_and_saveexec_b32 s64, s0
	s_cbranch_execz .LBB6_687
; %bb.684:                              ;   in Loop: Header=BB6_3 Depth=1
	ds_load_b32 v26, v31 offset:7792
	ds_load_b32 v27, v30 offset:8056
	s_wait_dscnt 0x0
	v_fma_f32 v26, v26, v27, 0
	s_and_saveexec_b32 s65, s16
	s_cbranch_execz .LBB6_686
; %bb.685:                              ;   in Loop: Header=BB6_3 Depth=1
	ds_load_b32 v27, v32 offset:8048
	ds_load_b32 v78, v3 offset:8060
	s_wait_dscnt 0x0
	v_fmac_f32_e32 v26, v27, v78
.LBB6_686:                              ;   in Loop: Header=BB6_3 Depth=1
	s_or_b32 exec_lo, exec_lo, s65
.LBB6_687:                              ;   in Loop: Header=BB6_3 Depth=1
	s_delay_alu instid0(SALU_CYCLE_1)
	s_or_b32 exec_lo, exec_lo, s64
	s_and_saveexec_b32 s64, s92
	s_cbranch_execz .LBB6_689
; %bb.688:                              ;   in Loop: Header=BB6_3 Depth=1
	ds_load_b32 v27, v3 offset:7540
	s_wait_dscnt 0x0
	v_mul_f32_e32 v26, v26, v27
	s_delay_alu instid0(VALU_DEP_1)
	v_xor_b32_e32 v27, 0x80000000, v26
	ds_store_b32 v5, v27
.LBB6_689:                              ;   in Loop: Header=BB6_3 Depth=1
	s_or_b32 exec_lo, exec_lo, s64
	s_wait_loadcnt_dscnt 0x0
	s_barrier_signal -1
	s_barrier_wait -1
	s_and_saveexec_b32 s64, s93
	s_cbranch_execz .LBB6_691
; %bb.690:                              ;   in Loop: Header=BB6_3 Depth=1
	ds_load_b32 v27, v3 offset:7536
	ds_load_b32 v78, v5
	s_wait_dscnt 0x0
	v_fma_f32 v26, -v27, v78, v26
.LBB6_691:                              ;   in Loop: Header=BB6_3 Depth=1
	s_or_b32 exec_lo, exec_lo, s64
	s_barrier_signal -1
	s_barrier_wait -1
	s_and_saveexec_b32 s64, s93
	s_cbranch_execz .LBB6_693
; %bb.692:                              ;   in Loop: Header=BB6_3 Depth=1
	ds_load_b32 v27, v3 offset:7280
	s_wait_dscnt 0x0
	v_mul_f32_e32 v26, v26, v27
	s_delay_alu instid0(VALU_DEP_1)
	v_xor_b32_e32 v27, 0x80000000, v26
	ds_store_b32 v5, v27
.LBB6_693:                              ;   in Loop: Header=BB6_3 Depth=1
	s_or_b32 exec_lo, exec_lo, s64
	s_wait_dscnt 0x0
	s_barrier_signal -1
	s_barrier_wait -1
	s_barrier_signal -1
	s_barrier_wait -1
	s_and_saveexec_b32 s64, s0
; %bb.694:                              ;   in Loop: Header=BB6_3 Depth=1
	ds_store_b32 v33, v26 offset:8048
; %bb.695:                              ;   in Loop: Header=BB6_3 Depth=1
	s_or_b32 exec_lo, exec_lo, s64
	s_wait_dscnt 0x0
	s_barrier_signal -1
	s_barrier_wait -1
	s_barrier_signal -1
	s_barrier_wait -1
	s_and_saveexec_b32 s64, s94
	s_cbranch_execz .LBB6_697
; %bb.696:                              ;   in Loop: Header=BB6_3 Depth=1
	ds_load_b32 v26, v34 offset:7792
	s_wait_dscnt 0x0
	ds_store_b32 v32, v26 offset:7288
	ds_load_b32 v26, v34 offset:7796
	s_wait_dscnt 0x0
	ds_store_b32 v32, v26 offset:7544
.LBB6_697:                              ;   in Loop: Header=BB6_3 Depth=1
	s_or_b32 exec_lo, exec_lo, s64
	s_wait_dscnt 0x0
	s_barrier_signal -1
	s_barrier_wait -1
	s_and_saveexec_b32 s64, s15
	s_cbranch_execz .LBB6_699
; %bb.698:                              ;   in Loop: Header=BB6_3 Depth=1
	ds_load_b64 v[26:27], v3 offset:7536
	ds_load_b32 v78, v3 offset:7280
	s_wait_dscnt 0x0
	v_mul_f32_e32 v27, v78, v27
	s_delay_alu instid0(VALU_DEP_1)
	v_mul_f32_e32 v26, v26, v27
	v_add_nc_u32_e64 v27, 0x1c00, 0
	ds_store_2addr_b32 v27, v26, v26 offset0:29 offset1:92
.LBB6_699:                              ;   in Loop: Header=BB6_3 Depth=1
	s_or_b32 exec_lo, exec_lo, s64
	v_mov_b32_e32 v26, 0
	s_wait_dscnt 0x0
	s_barrier_signal -1
	s_barrier_wait -1
	global_wb scope:SCOPE_DEV
	s_wait_storecnt 0x0
	global_inv scope:SCOPE_DEV
	s_and_saveexec_b32 s65, s2
	s_cbranch_execz .LBB6_705
; %bb.700:                              ;   in Loop: Header=BB6_3 Depth=1
	ds_load_b32 v26, v37 offset:7264
	ds_load_b32 v27, v36 offset:8048
	s_wait_dscnt 0x0
	v_fma_f32 v26, v26, v27, 0
	s_and_saveexec_b32 s64, s17
	s_cbranch_execnz .LBB6_1233
; %bb.701:                              ;   in Loop: Header=BB6_3 Depth=1
	s_or_b32 exec_lo, exec_lo, s64
	s_and_saveexec_b32 s64, s18
	s_cbranch_execnz .LBB6_1234
.LBB6_702:                              ;   in Loop: Header=BB6_3 Depth=1
	s_or_b32 exec_lo, exec_lo, s64
	s_and_saveexec_b32 s64, s0
	s_cbranch_execz .LBB6_704
.LBB6_703:                              ;   in Loop: Header=BB6_3 Depth=1
	ds_load_b32 v27, v38 offset:8032
	ds_load_b32 v78, v3 offset:8060
	s_wait_dscnt 0x0
	v_fmac_f32_e32 v26, v27, v78
.LBB6_704:                              ;   in Loop: Header=BB6_3 Depth=1
	s_or_b32 exec_lo, exec_lo, s64
.LBB6_705:                              ;   in Loop: Header=BB6_3 Depth=1
	s_delay_alu instid0(SALU_CYCLE_1)
	s_or_b32 exec_lo, exec_lo, s65
	s_and_saveexec_b32 s64, s95
	s_cbranch_execz .LBB6_707
; %bb.706:                              ;   in Loop: Header=BB6_3 Depth=1
	ds_load_b32 v27, v3 offset:7020
	s_wait_dscnt 0x0
	v_mul_f32_e32 v26, v26, v27
	s_delay_alu instid0(VALU_DEP_1)
	v_xor_b32_e32 v27, 0x80000000, v26
	ds_store_b32 v35, v27
.LBB6_707:                              ;   in Loop: Header=BB6_3 Depth=1
	s_or_b32 exec_lo, exec_lo, s64
	s_wait_loadcnt_dscnt 0x0
	s_barrier_signal -1
	s_barrier_wait -1
	s_and_saveexec_b32 s64, s96
	s_cbranch_execz .LBB6_709
; %bb.708:                              ;   in Loop: Header=BB6_3 Depth=1
	ds_load_b32 v27, v37 offset:7008
	ds_load_b32 v78, v35
	s_wait_dscnt 0x0
	v_fma_f32 v26, -v27, v78, v26
.LBB6_709:                              ;   in Loop: Header=BB6_3 Depth=1
	s_or_b32 exec_lo, exec_lo, s64
	s_barrier_signal -1
	s_barrier_wait -1
	s_and_saveexec_b32 s64, s97
	s_cbranch_execz .LBB6_711
; %bb.710:                              ;   in Loop: Header=BB6_3 Depth=1
	ds_load_b32 v27, v3 offset:6760
	s_wait_dscnt 0x0
	v_mul_f32_e32 v26, v26, v27
	s_delay_alu instid0(VALU_DEP_1)
	v_xor_b32_e32 v27, 0x80000000, v26
	ds_store_b32 v35, v27
.LBB6_711:                              ;   in Loop: Header=BB6_3 Depth=1
	s_or_b32 exec_lo, exec_lo, s64
	s_wait_dscnt 0x0
	s_barrier_signal -1
	s_barrier_wait -1
	s_and_saveexec_b32 s64, s98
	s_cbranch_execz .LBB6_713
; %bb.712:                              ;   in Loop: Header=BB6_3 Depth=1
	ds_load_b32 v27, v37 offset:6752
	ds_load_b32 v78, v35
	s_wait_dscnt 0x0
	v_fma_f32 v26, -v27, v78, v26
.LBB6_713:                              ;   in Loop: Header=BB6_3 Depth=1
	s_or_b32 exec_lo, exec_lo, s64
	s_barrier_signal -1
	s_barrier_wait -1
	s_and_saveexec_b32 s64, s99
	s_cbranch_execz .LBB6_715
; %bb.714:                              ;   in Loop: Header=BB6_3 Depth=1
	ds_load_b32 v27, v3 offset:6500
	s_wait_dscnt 0x0
	v_mul_f32_e32 v26, v26, v27
	s_delay_alu instid0(VALU_DEP_1)
	v_xor_b32_e32 v27, 0x80000000, v26
	ds_store_b32 v35, v27
.LBB6_715:                              ;   in Loop: Header=BB6_3 Depth=1
	s_or_b32 exec_lo, exec_lo, s64
	s_wait_dscnt 0x0
	;; [unrolled: 25-line block ×3, first 2 shown]
	s_barrier_signal -1
	s_barrier_wait -1
	s_barrier_signal -1
	s_barrier_wait -1
	s_and_saveexec_b32 s64, s2
; %bb.720:                              ;   in Loop: Header=BB6_3 Depth=1
	ds_store_b32 v41, v26 offset:8032
; %bb.721:                              ;   in Loop: Header=BB6_3 Depth=1
	s_or_b32 exec_lo, exec_lo, s64
	s_wait_dscnt 0x0
	s_barrier_signal -1
	s_barrier_wait -1
	s_barrier_signal -1
	s_barrier_wait -1
	s_and_saveexec_b32 s64, s101
	s_cbranch_execz .LBB6_723
; %bb.722:                              ;   in Loop: Header=BB6_3 Depth=1
	ds_load_b32 v26, v39 offset:7264
	s_wait_dscnt 0x0
	ds_store_b32 v40, v26 offset:6256
	ds_load_b32 v26, v39 offset:7268
	s_wait_dscnt 0x0
	ds_store_b32 v40, v26 offset:6512
	;; [unrolled: 3-line block ×4, first 2 shown]
.LBB6_723:                              ;   in Loop: Header=BB6_3 Depth=1
	s_or_b32 exec_lo, exec_lo, s64
	s_wait_dscnt 0x0
	s_barrier_signal -1
	s_barrier_wait -1
	s_and_saveexec_b32 s64, s15
	s_cbranch_execz .LBB6_725
; %bb.724:                              ;   in Loop: Header=BB6_3 Depth=1
	ds_load_b64 v[26:27], v3 offset:7016
	ds_load_b32 v78, v3 offset:6760
	s_wait_dscnt 0x0
	v_mul_f32_e32 v27, v78, v27
	s_delay_alu instid0(VALU_DEP_1)
	v_mul_f32_e32 v26, v26, v27
	v_add_nc_u32_e64 v27, 0x1800, 0
	ds_store_2addr_b32 v27, v26, v26 offset0:155 offset1:218
.LBB6_725:                              ;   in Loop: Header=BB6_3 Depth=1
	s_or_b32 exec_lo, exec_lo, s64
	v_mov_b32_e32 v26, 0
	s_wait_dscnt 0x0
	s_barrier_signal -1
	s_barrier_wait -1
	global_wb scope:SCOPE_DEV
	s_wait_storecnt 0x0
	global_inv scope:SCOPE_DEV
	s_and_saveexec_b32 s64, s0
	s_cbranch_execz .LBB6_729
; %bb.726:                              ;   in Loop: Header=BB6_3 Depth=1
	ds_load_b32 v26, v31 offset:6752
	ds_load_b32 v27, v30 offset:7016
	s_wait_dscnt 0x0
	v_fma_f32 v26, v26, v27, 0
	s_and_saveexec_b32 s65, s16
	s_cbranch_execz .LBB6_728
; %bb.727:                              ;   in Loop: Header=BB6_3 Depth=1
	ds_load_b32 v27, v40 offset:7008
	ds_load_b32 v78, v3 offset:7020
	s_wait_dscnt 0x0
	v_fmac_f32_e32 v26, v27, v78
.LBB6_728:                              ;   in Loop: Header=BB6_3 Depth=1
	s_or_b32 exec_lo, exec_lo, s65
.LBB6_729:                              ;   in Loop: Header=BB6_3 Depth=1
	s_delay_alu instid0(SALU_CYCLE_1)
	s_or_b32 exec_lo, exec_lo, s64
	s_and_saveexec_b32 s64, s92
	s_cbranch_execz .LBB6_731
; %bb.730:                              ;   in Loop: Header=BB6_3 Depth=1
	ds_load_b32 v27, v3 offset:6500
	s_wait_dscnt 0x0
	v_mul_f32_e32 v26, v26, v27
	s_delay_alu instid0(VALU_DEP_1)
	v_xor_b32_e32 v27, 0x80000000, v26
	ds_store_b32 v5, v27
.LBB6_731:                              ;   in Loop: Header=BB6_3 Depth=1
	s_or_b32 exec_lo, exec_lo, s64
	s_wait_loadcnt_dscnt 0x0
	s_barrier_signal -1
	s_barrier_wait -1
	s_and_saveexec_b32 s64, s93
	s_cbranch_execz .LBB6_733
; %bb.732:                              ;   in Loop: Header=BB6_3 Depth=1
	ds_load_b32 v27, v3 offset:6496
	ds_load_b32 v78, v5
	s_wait_dscnt 0x0
	v_fma_f32 v26, -v27, v78, v26
.LBB6_733:                              ;   in Loop: Header=BB6_3 Depth=1
	s_or_b32 exec_lo, exec_lo, s64
	s_barrier_signal -1
	s_barrier_wait -1
	s_and_saveexec_b32 s64, s93
	s_cbranch_execz .LBB6_735
; %bb.734:                              ;   in Loop: Header=BB6_3 Depth=1
	ds_load_b32 v27, v3 offset:6240
	s_wait_dscnt 0x0
	v_mul_f32_e32 v26, v26, v27
	s_delay_alu instid0(VALU_DEP_1)
	v_xor_b32_e32 v27, 0x80000000, v26
	ds_store_b32 v5, v27
.LBB6_735:                              ;   in Loop: Header=BB6_3 Depth=1
	s_or_b32 exec_lo, exec_lo, s64
	s_wait_dscnt 0x0
	s_barrier_signal -1
	s_barrier_wait -1
	s_barrier_signal -1
	s_barrier_wait -1
	s_and_saveexec_b32 s64, s0
; %bb.736:                              ;   in Loop: Header=BB6_3 Depth=1
	ds_store_b32 v33, v26 offset:7008
; %bb.737:                              ;   in Loop: Header=BB6_3 Depth=1
	s_or_b32 exec_lo, exec_lo, s64
	s_wait_dscnt 0x0
	s_barrier_signal -1
	s_barrier_wait -1
	s_barrier_signal -1
	s_barrier_wait -1
	s_and_saveexec_b32 s64, s94
	s_cbranch_execz .LBB6_739
; %bb.738:                              ;   in Loop: Header=BB6_3 Depth=1
	ds_load_b32 v26, v42 offset:6752
	s_wait_dscnt 0x0
	ds_store_b32 v40, v26 offset:6248
	ds_load_b32 v26, v42 offset:6756
	s_wait_dscnt 0x0
	ds_store_b32 v40, v26 offset:6504
.LBB6_739:                              ;   in Loop: Header=BB6_3 Depth=1
	s_or_b32 exec_lo, exec_lo, s64
	s_wait_dscnt 0x0
	s_barrier_signal -1
	s_barrier_wait -1
	s_and_saveexec_b32 s64, s15
	s_cbranch_execz .LBB6_741
; %bb.740:                              ;   in Loop: Header=BB6_3 Depth=1
	ds_load_b64 v[26:27], v3 offset:6496
	ds_load_b32 v78, v3 offset:6240
	s_wait_dscnt 0x0
	v_mul_f32_e32 v27, v78, v27
	s_delay_alu instid0(VALU_DEP_1)
	v_mul_f32_e32 v26, v26, v27
	v_add_nc_u32_e64 v27, 0x1800, 0
	ds_store_2addr_b32 v27, v26, v26 offset0:25 offset1:88
.LBB6_741:                              ;   in Loop: Header=BB6_3 Depth=1
	s_or_b32 exec_lo, exec_lo, s64
	v_mov_b32_e32 v26, 0
	s_wait_dscnt 0x0
	s_barrier_signal -1
	s_barrier_wait -1
	global_wb scope:SCOPE_DEV
	s_wait_storecnt 0x0
	global_inv scope:SCOPE_DEV
	s_and_saveexec_b32 s65, s3
	s_cbranch_execz .LBB6_751
; %bb.742:                              ;   in Loop: Header=BB6_3 Depth=1
	ds_load_b32 v26, v45 offset:6208
	ds_load_b32 v27, v44 offset:8032
	s_wait_dscnt 0x0
	v_fma_f32 v26, v26, v27, 0
	s_and_saveexec_b32 s64, s19
	s_cbranch_execnz .LBB6_1235
; %bb.743:                              ;   in Loop: Header=BB6_3 Depth=1
	s_or_b32 exec_lo, exec_lo, s64
	s_and_saveexec_b32 s64, s20
	s_cbranch_execnz .LBB6_1236
.LBB6_744:                              ;   in Loop: Header=BB6_3 Depth=1
	s_or_b32 exec_lo, exec_lo, s64
	s_and_saveexec_b32 s64, s21
	s_cbranch_execnz .LBB6_1237
.LBB6_745:                              ;   in Loop: Header=BB6_3 Depth=1
	s_or_b32 exec_lo, exec_lo, s64
	s_and_saveexec_b32 s64, s22
	s_cbranch_execnz .LBB6_1238
.LBB6_746:                              ;   in Loop: Header=BB6_3 Depth=1
	s_or_b32 exec_lo, exec_lo, s64
	s_and_saveexec_b32 s64, s23
	s_cbranch_execnz .LBB6_1239
.LBB6_747:                              ;   in Loop: Header=BB6_3 Depth=1
	s_or_b32 exec_lo, exec_lo, s64
	s_and_saveexec_b32 s64, s2
	s_cbranch_execnz .LBB6_1240
.LBB6_748:                              ;   in Loop: Header=BB6_3 Depth=1
	s_or_b32 exec_lo, exec_lo, s64
	s_and_saveexec_b32 s64, s18
	s_cbranch_execz .LBB6_750
.LBB6_749:                              ;   in Loop: Header=BB6_3 Depth=1
	ds_load_b32 v27, v46 offset:8000
	ds_load_b32 v78, v3 offset:8060
	s_wait_dscnt 0x0
	v_fmac_f32_e32 v26, v27, v78
.LBB6_750:                              ;   in Loop: Header=BB6_3 Depth=1
	s_or_b32 exec_lo, exec_lo, s64
.LBB6_751:                              ;   in Loop: Header=BB6_3 Depth=1
	s_delay_alu instid0(SALU_CYCLE_1)
	s_or_b32 exec_lo, exec_lo, s65
	s_and_saveexec_b32 s64, s102
	s_cbranch_execz .LBB6_753
; %bb.752:                              ;   in Loop: Header=BB6_3 Depth=1
	ds_load_b32 v27, v3 offset:5980
	s_wait_dscnt 0x0
	v_mul_f32_e32 v26, v26, v27
	s_delay_alu instid0(VALU_DEP_1)
	v_xor_b32_e32 v27, 0x80000000, v26
	ds_store_b32 v43, v27
.LBB6_753:                              ;   in Loop: Header=BB6_3 Depth=1
	s_or_b32 exec_lo, exec_lo, s64
	s_wait_loadcnt_dscnt 0x0
	s_barrier_signal -1
	s_barrier_wait -1
	s_and_saveexec_b32 s64, s103
	s_cbranch_execz .LBB6_755
; %bb.754:                              ;   in Loop: Header=BB6_3 Depth=1
	ds_load_b32 v27, v45 offset:5952
	ds_load_b32 v78, v43
	s_wait_dscnt 0x0
	v_fma_f32 v26, -v27, v78, v26
.LBB6_755:                              ;   in Loop: Header=BB6_3 Depth=1
	s_or_b32 exec_lo, exec_lo, s64
	s_barrier_signal -1
	s_barrier_wait -1
	s_and_saveexec_b32 s64, s104
	s_cbranch_execz .LBB6_757
; %bb.756:                              ;   in Loop: Header=BB6_3 Depth=1
	ds_load_b32 v27, v3 offset:5720
	s_wait_dscnt 0x0
	v_mul_f32_e32 v26, v26, v27
	s_delay_alu instid0(VALU_DEP_1)
	v_xor_b32_e32 v27, 0x80000000, v26
	ds_store_b32 v43, v27
.LBB6_757:                              ;   in Loop: Header=BB6_3 Depth=1
	s_or_b32 exec_lo, exec_lo, s64
	s_wait_dscnt 0x0
	s_barrier_signal -1
	s_barrier_wait -1
	s_and_saveexec_b32 s64, vcc_hi
	s_cbranch_execz .LBB6_759
; %bb.758:                              ;   in Loop: Header=BB6_3 Depth=1
	ds_load_b32 v27, v45 offset:5696
	ds_load_b32 v78, v43
	s_wait_dscnt 0x0
	v_fma_f32 v26, -v27, v78, v26
.LBB6_759:                              ;   in Loop: Header=BB6_3 Depth=1
	s_or_b32 exec_lo, exec_lo, s64
	s_barrier_signal -1
	s_barrier_wait -1
	s_and_saveexec_b32 s64, s36
	s_cbranch_execz .LBB6_761
; %bb.760:                              ;   in Loop: Header=BB6_3 Depth=1
	ds_load_b32 v27, v3 offset:5460
	s_wait_dscnt 0x0
	v_mul_f32_e32 v26, v26, v27
	s_delay_alu instid0(VALU_DEP_1)
	v_xor_b32_e32 v27, 0x80000000, v26
	ds_store_b32 v43, v27
.LBB6_761:                              ;   in Loop: Header=BB6_3 Depth=1
	s_or_b32 exec_lo, exec_lo, s64
	s_wait_dscnt 0x0
	s_barrier_signal -1
	s_barrier_wait -1
	s_and_saveexec_b32 s64, s37
	s_cbranch_execz .LBB6_763
; %bb.762:                              ;   in Loop: Header=BB6_3 Depth=1
	ds_load_b32 v27, v45 offset:5440
	ds_load_b32 v78, v43
	s_wait_dscnt 0x0
	v_fma_f32 v26, -v27, v78, v26
.LBB6_763:                              ;   in Loop: Header=BB6_3 Depth=1
	s_or_b32 exec_lo, exec_lo, s64
	s_barrier_signal -1
	s_barrier_wait -1
	s_and_saveexec_b32 s64, s38
	s_cbranch_execz .LBB6_765
; %bb.764:                              ;   in Loop: Header=BB6_3 Depth=1
	ds_load_b32 v27, v3 offset:5200
	s_wait_dscnt 0x0
	v_mul_f32_e32 v26, v26, v27
	s_delay_alu instid0(VALU_DEP_1)
	v_xor_b32_e32 v27, 0x80000000, v26
	ds_store_b32 v43, v27
.LBB6_765:                              ;   in Loop: Header=BB6_3 Depth=1
	s_or_b32 exec_lo, exec_lo, s64
	s_wait_dscnt 0x0
	s_barrier_signal -1
	s_barrier_wait -1
	s_and_saveexec_b32 s64, s39
	;; [unrolled: 25-line block ×5, first 2 shown]
	s_cbranch_execz .LBB6_779
; %bb.778:                              ;   in Loop: Header=BB6_3 Depth=1
	ds_load_b32 v27, v3 offset:4416
	ds_load_b32 v78, v43
	s_wait_dscnt 0x0
	v_fma_f32 v26, -v27, v78, v26
.LBB6_779:                              ;   in Loop: Header=BB6_3 Depth=1
	s_or_b32 exec_lo, exec_lo, s64
	s_barrier_signal -1
	s_barrier_wait -1
	s_and_saveexec_b32 s64, s45
	s_cbranch_execz .LBB6_781
; %bb.780:                              ;   in Loop: Header=BB6_3 Depth=1
	ds_load_b32 v27, v3 offset:4160
	s_wait_dscnt 0x0
	v_mul_f32_e32 v26, v26, v27
	s_delay_alu instid0(VALU_DEP_1)
	v_xor_b32_e32 v27, 0x80000000, v26
	ds_store_b32 v43, v27
.LBB6_781:                              ;   in Loop: Header=BB6_3 Depth=1
	s_or_b32 exec_lo, exec_lo, s64
	s_wait_dscnt 0x0
	s_barrier_signal -1
	s_barrier_wait -1
	s_barrier_signal -1
	s_barrier_wait -1
	s_and_saveexec_b32 s64, s3
; %bb.782:                              ;   in Loop: Header=BB6_3 Depth=1
	ds_store_b32 v48, v26 offset:8000
; %bb.783:                              ;   in Loop: Header=BB6_3 Depth=1
	s_or_b32 exec_lo, exec_lo, s64
	s_wait_dscnt 0x0
	s_barrier_signal -1
	s_barrier_wait -1
	s_barrier_signal -1
	s_barrier_wait -1
	s_and_saveexec_b32 s64, s46
	s_cbranch_execz .LBB6_785
; %bb.784:                              ;   in Loop: Header=BB6_3 Depth=1
	ds_load_b32 v26, v47 offset:6208
	s_wait_dscnt 0x0
	ds_store_b32 v49, v26 offset:4192
	ds_load_b32 v26, v47 offset:6212
	s_wait_dscnt 0x0
	ds_store_b32 v49, v26 offset:4448
	;; [unrolled: 3-line block ×8, first 2 shown]
.LBB6_785:                              ;   in Loop: Header=BB6_3 Depth=1
	s_or_b32 exec_lo, exec_lo, s64
	s_wait_dscnt 0x0
	s_barrier_signal -1
	s_barrier_wait -1
	s_and_saveexec_b32 s64, s15
	s_cbranch_execz .LBB6_787
; %bb.786:                              ;   in Loop: Header=BB6_3 Depth=1
	ds_load_b64 v[26:27], v3 offset:5976
	ds_load_b32 v78, v3 offset:5720
	s_wait_dscnt 0x0
	v_mul_f32_e32 v27, v78, v27
	s_delay_alu instid0(VALU_DEP_1)
	v_mul_f32_e32 v26, v26, v27
	v_add_nc_u32_e64 v27, 0x1400, 0
	ds_store_2addr_b32 v27, v26, v26 offset0:151 offset1:214
.LBB6_787:                              ;   in Loop: Header=BB6_3 Depth=1
	s_or_b32 exec_lo, exec_lo, s64
	v_mov_b32_e32 v26, 0
	s_wait_dscnt 0x0
	s_barrier_signal -1
	s_barrier_wait -1
	global_wb scope:SCOPE_DEV
	s_wait_storecnt 0x0
	global_inv scope:SCOPE_DEV
	s_and_saveexec_b32 s64, s0
	s_cbranch_execz .LBB6_791
; %bb.788:                              ;   in Loop: Header=BB6_3 Depth=1
	ds_load_b32 v26, v31 offset:5712
	ds_load_b32 v27, v30 offset:5976
	s_wait_dscnt 0x0
	v_fma_f32 v26, v26, v27, 0
	s_and_saveexec_b32 s65, s16
	s_cbranch_execz .LBB6_790
; %bb.789:                              ;   in Loop: Header=BB6_3 Depth=1
	ds_load_b32 v27, v49 offset:5968
	ds_load_b32 v78, v3 offset:5980
	s_wait_dscnt 0x0
	v_fmac_f32_e32 v26, v27, v78
.LBB6_790:                              ;   in Loop: Header=BB6_3 Depth=1
	s_or_b32 exec_lo, exec_lo, s65
.LBB6_791:                              ;   in Loop: Header=BB6_3 Depth=1
	s_delay_alu instid0(SALU_CYCLE_1)
	s_or_b32 exec_lo, exec_lo, s64
	s_and_saveexec_b32 s64, s92
	s_cbranch_execz .LBB6_793
; %bb.792:                              ;   in Loop: Header=BB6_3 Depth=1
	ds_load_b32 v27, v3 offset:5460
	s_wait_dscnt 0x0
	v_mul_f32_e32 v26, v26, v27
	s_delay_alu instid0(VALU_DEP_1)
	v_xor_b32_e32 v27, 0x80000000, v26
	ds_store_b32 v5, v27
.LBB6_793:                              ;   in Loop: Header=BB6_3 Depth=1
	s_or_b32 exec_lo, exec_lo, s64
	s_wait_loadcnt_dscnt 0x0
	s_barrier_signal -1
	s_barrier_wait -1
	s_and_saveexec_b32 s64, s93
	s_cbranch_execz .LBB6_795
; %bb.794:                              ;   in Loop: Header=BB6_3 Depth=1
	ds_load_b32 v27, v3 offset:5456
	ds_load_b32 v78, v5
	s_wait_dscnt 0x0
	v_fma_f32 v26, -v27, v78, v26
.LBB6_795:                              ;   in Loop: Header=BB6_3 Depth=1
	s_or_b32 exec_lo, exec_lo, s64
	s_barrier_signal -1
	s_barrier_wait -1
	s_and_saveexec_b32 s64, s93
	s_cbranch_execz .LBB6_797
; %bb.796:                              ;   in Loop: Header=BB6_3 Depth=1
	ds_load_b32 v27, v3 offset:5200
	s_wait_dscnt 0x0
	v_mul_f32_e32 v26, v26, v27
	s_delay_alu instid0(VALU_DEP_1)
	v_xor_b32_e32 v27, 0x80000000, v26
	ds_store_b32 v5, v27
.LBB6_797:                              ;   in Loop: Header=BB6_3 Depth=1
	s_or_b32 exec_lo, exec_lo, s64
	s_wait_dscnt 0x0
	s_barrier_signal -1
	s_barrier_wait -1
	s_barrier_signal -1
	s_barrier_wait -1
	s_and_saveexec_b32 s64, s0
; %bb.798:                              ;   in Loop: Header=BB6_3 Depth=1
	ds_store_b32 v33, v26 offset:5968
; %bb.799:                              ;   in Loop: Header=BB6_3 Depth=1
	s_or_b32 exec_lo, exec_lo, s64
	s_wait_dscnt 0x0
	s_barrier_signal -1
	s_barrier_wait -1
	s_barrier_signal -1
	s_barrier_wait -1
	s_and_saveexec_b32 s64, s94
	s_cbranch_execz .LBB6_801
; %bb.800:                              ;   in Loop: Header=BB6_3 Depth=1
	ds_load_b32 v26, v54 offset:5712
	s_wait_dscnt 0x0
	ds_store_b32 v49, v26 offset:5208
	ds_load_b32 v26, v54 offset:5716
	s_wait_dscnt 0x0
	ds_store_b32 v49, v26 offset:5464
.LBB6_801:                              ;   in Loop: Header=BB6_3 Depth=1
	s_or_b32 exec_lo, exec_lo, s64
	s_wait_dscnt 0x0
	s_barrier_signal -1
	s_barrier_wait -1
	s_and_saveexec_b32 s64, s15
	s_cbranch_execz .LBB6_803
; %bb.802:                              ;   in Loop: Header=BB6_3 Depth=1
	ds_load_b64 v[26:27], v3 offset:5456
	ds_load_b32 v78, v3 offset:5200
	s_wait_dscnt 0x0
	v_mul_f32_e32 v27, v78, v27
	s_delay_alu instid0(VALU_DEP_1)
	v_mul_f32_e32 v26, v26, v27
	v_add_nc_u32_e64 v27, 0x1400, 0
	ds_store_2addr_b32 v27, v26, v26 offset0:21 offset1:84
.LBB6_803:                              ;   in Loop: Header=BB6_3 Depth=1
	s_or_b32 exec_lo, exec_lo, s64
	v_mov_b32_e32 v26, 0
	s_wait_dscnt 0x0
	s_barrier_signal -1
	s_barrier_wait -1
	global_wb scope:SCOPE_DEV
	s_wait_storecnt 0x0
	global_inv scope:SCOPE_DEV
	s_and_saveexec_b32 s65, s2
	s_cbranch_execz .LBB6_809
; %bb.804:                              ;   in Loop: Header=BB6_3 Depth=1
	ds_load_b32 v26, v37 offset:5184
	ds_load_b32 v27, v36 offset:5968
	s_wait_dscnt 0x0
	v_fma_f32 v26, v26, v27, 0
	s_and_saveexec_b32 s64, s17
	s_cbranch_execnz .LBB6_1241
; %bb.805:                              ;   in Loop: Header=BB6_3 Depth=1
	s_or_b32 exec_lo, exec_lo, s64
	s_and_saveexec_b32 s64, s18
	s_cbranch_execnz .LBB6_1242
.LBB6_806:                              ;   in Loop: Header=BB6_3 Depth=1
	s_or_b32 exec_lo, exec_lo, s64
	s_and_saveexec_b32 s64, s0
	s_cbranch_execz .LBB6_808
.LBB6_807:                              ;   in Loop: Header=BB6_3 Depth=1
	ds_load_b32 v27, v55 offset:5952
	ds_load_b32 v78, v3 offset:5980
	s_wait_dscnt 0x0
	v_fmac_f32_e32 v26, v27, v78
.LBB6_808:                              ;   in Loop: Header=BB6_3 Depth=1
	s_or_b32 exec_lo, exec_lo, s64
.LBB6_809:                              ;   in Loop: Header=BB6_3 Depth=1
	s_delay_alu instid0(SALU_CYCLE_1)
	s_or_b32 exec_lo, exec_lo, s65
	s_and_saveexec_b32 s64, s95
	s_cbranch_execz .LBB6_811
; %bb.810:                              ;   in Loop: Header=BB6_3 Depth=1
	ds_load_b32 v27, v3 offset:4940
	s_wait_dscnt 0x0
	v_mul_f32_e32 v26, v26, v27
	s_delay_alu instid0(VALU_DEP_1)
	v_xor_b32_e32 v27, 0x80000000, v26
	ds_store_b32 v35, v27
.LBB6_811:                              ;   in Loop: Header=BB6_3 Depth=1
	s_or_b32 exec_lo, exec_lo, s64
	s_wait_loadcnt_dscnt 0x0
	s_barrier_signal -1
	s_barrier_wait -1
	s_and_saveexec_b32 s64, s96
	s_cbranch_execz .LBB6_813
; %bb.812:                              ;   in Loop: Header=BB6_3 Depth=1
	ds_load_b32 v27, v37 offset:4928
	ds_load_b32 v78, v35
	s_wait_dscnt 0x0
	v_fma_f32 v26, -v27, v78, v26
.LBB6_813:                              ;   in Loop: Header=BB6_3 Depth=1
	s_or_b32 exec_lo, exec_lo, s64
	s_barrier_signal -1
	s_barrier_wait -1
	s_and_saveexec_b32 s64, s97
	s_cbranch_execz .LBB6_815
; %bb.814:                              ;   in Loop: Header=BB6_3 Depth=1
	ds_load_b32 v27, v3 offset:4680
	s_wait_dscnt 0x0
	v_mul_f32_e32 v26, v26, v27
	s_delay_alu instid0(VALU_DEP_1)
	v_xor_b32_e32 v27, 0x80000000, v26
	ds_store_b32 v35, v27
.LBB6_815:                              ;   in Loop: Header=BB6_3 Depth=1
	s_or_b32 exec_lo, exec_lo, s64
	s_wait_dscnt 0x0
	s_barrier_signal -1
	s_barrier_wait -1
	s_and_saveexec_b32 s64, s98
	s_cbranch_execz .LBB6_817
; %bb.816:                              ;   in Loop: Header=BB6_3 Depth=1
	ds_load_b32 v27, v37 offset:4672
	ds_load_b32 v78, v35
	s_wait_dscnt 0x0
	v_fma_f32 v26, -v27, v78, v26
.LBB6_817:                              ;   in Loop: Header=BB6_3 Depth=1
	s_or_b32 exec_lo, exec_lo, s64
	s_barrier_signal -1
	s_barrier_wait -1
	s_and_saveexec_b32 s64, s99
	s_cbranch_execz .LBB6_819
; %bb.818:                              ;   in Loop: Header=BB6_3 Depth=1
	ds_load_b32 v27, v3 offset:4420
	s_wait_dscnt 0x0
	v_mul_f32_e32 v26, v26, v27
	s_delay_alu instid0(VALU_DEP_1)
	v_xor_b32_e32 v27, 0x80000000, v26
	ds_store_b32 v35, v27
.LBB6_819:                              ;   in Loop: Header=BB6_3 Depth=1
	s_or_b32 exec_lo, exec_lo, s64
	s_wait_dscnt 0x0
	;; [unrolled: 25-line block ×3, first 2 shown]
	s_barrier_signal -1
	s_barrier_wait -1
	s_barrier_signal -1
	s_barrier_wait -1
	s_and_saveexec_b32 s64, s2
; %bb.824:                              ;   in Loop: Header=BB6_3 Depth=1
	ds_store_b32 v41, v26 offset:5952
; %bb.825:                              ;   in Loop: Header=BB6_3 Depth=1
	s_or_b32 exec_lo, exec_lo, s64
	s_wait_dscnt 0x0
	s_barrier_signal -1
	s_barrier_wait -1
	s_barrier_signal -1
	s_barrier_wait -1
	s_and_saveexec_b32 s64, s101
	s_cbranch_execz .LBB6_827
; %bb.826:                              ;   in Loop: Header=BB6_3 Depth=1
	ds_load_b32 v26, v56 offset:5184
	s_wait_dscnt 0x0
	ds_store_b32 v57, v26 offset:4176
	ds_load_b32 v26, v56 offset:5188
	s_wait_dscnt 0x0
	ds_store_b32 v57, v26 offset:4432
	;; [unrolled: 3-line block ×4, first 2 shown]
.LBB6_827:                              ;   in Loop: Header=BB6_3 Depth=1
	s_or_b32 exec_lo, exec_lo, s64
	s_wait_dscnt 0x0
	s_barrier_signal -1
	s_barrier_wait -1
	s_and_saveexec_b32 s64, s15
	s_cbranch_execz .LBB6_829
; %bb.828:                              ;   in Loop: Header=BB6_3 Depth=1
	ds_load_b64 v[26:27], v3 offset:4936
	ds_load_b32 v78, v3 offset:4680
	s_wait_dscnt 0x0
	v_mul_f32_e32 v27, v78, v27
	s_delay_alu instid0(VALU_DEP_1)
	v_mul_f32_e32 v26, v26, v27
	v_add_nc_u32_e64 v27, 0x1000, 0
	ds_store_2addr_b32 v27, v26, v26 offset0:147 offset1:210
.LBB6_829:                              ;   in Loop: Header=BB6_3 Depth=1
	s_or_b32 exec_lo, exec_lo, s64
	v_mov_b32_e32 v26, 0
	s_wait_dscnt 0x0
	s_barrier_signal -1
	s_barrier_wait -1
	global_wb scope:SCOPE_DEV
	s_wait_storecnt 0x0
	global_inv scope:SCOPE_DEV
	s_and_saveexec_b32 s64, s0
	s_cbranch_execz .LBB6_833
; %bb.830:                              ;   in Loop: Header=BB6_3 Depth=1
	ds_load_b32 v26, v31 offset:4672
	ds_load_b32 v27, v30 offset:4936
	s_wait_dscnt 0x0
	v_fma_f32 v26, v26, v27, 0
	s_and_saveexec_b32 s65, s16
	s_cbranch_execz .LBB6_832
; %bb.831:                              ;   in Loop: Header=BB6_3 Depth=1
	ds_load_b32 v27, v57 offset:4928
	ds_load_b32 v78, v3 offset:4940
	s_wait_dscnt 0x0
	v_fmac_f32_e32 v26, v27, v78
.LBB6_832:                              ;   in Loop: Header=BB6_3 Depth=1
	s_or_b32 exec_lo, exec_lo, s65
.LBB6_833:                              ;   in Loop: Header=BB6_3 Depth=1
	s_delay_alu instid0(SALU_CYCLE_1)
	s_or_b32 exec_lo, exec_lo, s64
	s_and_saveexec_b32 s64, s92
	s_cbranch_execz .LBB6_835
; %bb.834:                              ;   in Loop: Header=BB6_3 Depth=1
	ds_load_b32 v27, v3 offset:4420
	s_wait_dscnt 0x0
	v_mul_f32_e32 v26, v26, v27
	s_delay_alu instid0(VALU_DEP_1)
	v_xor_b32_e32 v27, 0x80000000, v26
	ds_store_b32 v5, v27
.LBB6_835:                              ;   in Loop: Header=BB6_3 Depth=1
	s_or_b32 exec_lo, exec_lo, s64
	s_wait_loadcnt_dscnt 0x0
	s_barrier_signal -1
	s_barrier_wait -1
	s_and_saveexec_b32 s64, s93
	s_cbranch_execz .LBB6_837
; %bb.836:                              ;   in Loop: Header=BB6_3 Depth=1
	ds_load_b32 v27, v3 offset:4416
	ds_load_b32 v78, v5
	s_wait_dscnt 0x0
	v_fma_f32 v26, -v27, v78, v26
.LBB6_837:                              ;   in Loop: Header=BB6_3 Depth=1
	s_or_b32 exec_lo, exec_lo, s64
	s_barrier_signal -1
	s_barrier_wait -1
	s_and_saveexec_b32 s64, s93
	s_cbranch_execz .LBB6_839
; %bb.838:                              ;   in Loop: Header=BB6_3 Depth=1
	ds_load_b32 v27, v3 offset:4160
	s_wait_dscnt 0x0
	v_mul_f32_e32 v26, v26, v27
	s_delay_alu instid0(VALU_DEP_1)
	v_xor_b32_e32 v27, 0x80000000, v26
	ds_store_b32 v5, v27
.LBB6_839:                              ;   in Loop: Header=BB6_3 Depth=1
	s_or_b32 exec_lo, exec_lo, s64
	s_wait_dscnt 0x0
	s_barrier_signal -1
	s_barrier_wait -1
	s_barrier_signal -1
	s_barrier_wait -1
	s_and_saveexec_b32 s64, s0
; %bb.840:                              ;   in Loop: Header=BB6_3 Depth=1
	ds_store_b32 v33, v26 offset:4928
; %bb.841:                              ;   in Loop: Header=BB6_3 Depth=1
	s_or_b32 exec_lo, exec_lo, s64
	s_wait_dscnt 0x0
	s_barrier_signal -1
	s_barrier_wait -1
	s_barrier_signal -1
	s_barrier_wait -1
	s_and_saveexec_b32 s64, s94
	s_cbranch_execz .LBB6_843
; %bb.842:                              ;   in Loop: Header=BB6_3 Depth=1
	ds_load_b32 v26, v58 offset:4672
	s_wait_dscnt 0x0
	ds_store_b32 v57, v26 offset:4168
	ds_load_b32 v26, v58 offset:4676
	s_wait_dscnt 0x0
	ds_store_b32 v57, v26 offset:4424
.LBB6_843:                              ;   in Loop: Header=BB6_3 Depth=1
	s_or_b32 exec_lo, exec_lo, s64
	s_wait_dscnt 0x0
	s_barrier_signal -1
	s_barrier_wait -1
	s_and_saveexec_b32 s64, s15
	s_cbranch_execz .LBB6_845
; %bb.844:                              ;   in Loop: Header=BB6_3 Depth=1
	ds_load_b64 v[26:27], v3 offset:4416
	ds_load_b32 v78, v3 offset:4160
	s_wait_dscnt 0x0
	v_mul_f32_e32 v27, v78, v27
	s_delay_alu instid0(VALU_DEP_1)
	v_mul_f32_e32 v26, v26, v27
	v_add_nc_u32_e64 v27, 0x1000, 0
	ds_store_2addr_b32 v27, v26, v26 offset0:17 offset1:80
.LBB6_845:                              ;   in Loop: Header=BB6_3 Depth=1
	s_or_b32 exec_lo, exec_lo, s64
	v_mov_b32_e32 v26, 0
	s_wait_dscnt 0x0
	s_barrier_signal -1
	s_barrier_wait -1
	global_wb scope:SCOPE_DEV
	s_wait_storecnt 0x0
	global_inv scope:SCOPE_DEV
	s_and_saveexec_b32 s65, s4
	s_cbranch_execz .LBB6_873
; %bb.846:                              ;   in Loop: Header=BB6_3 Depth=1
	ds_load_b32 v26, v52 offset:4096
	ds_load_b32 v27, v51 offset:8000
	s_wait_dscnt 0x0
	v_fma_f32 v26, v26, v27, 0
	s_mov_b32 s64, exec_lo
	v_readlane_b32 s71, v85, 22
	s_and_b32 s71, s64, s71
	s_delay_alu instid0(SALU_CYCLE_1)
	s_mov_b32 exec_lo, s71
	s_cbranch_execz .LBB6_848
; %bb.847:                              ;   in Loop: Header=BB6_3 Depth=1
	ds_load_b32 v27, v52 offset:4352
	ds_load_b32 v78, v51 offset:8004
	s_wait_dscnt 0x0
	v_fmac_f32_e32 v26, v27, v78
.LBB6_848:                              ;   in Loop: Header=BB6_3 Depth=1
	s_or_b32 exec_lo, exec_lo, s64
	s_delay_alu instid0(SALU_CYCLE_1) | instskip(SKIP_2) | instid1(SALU_CYCLE_1)
	s_mov_b32 s64, exec_lo
	v_readlane_b32 s71, v85, 23
	s_and_b32 s71, s64, s71
	s_mov_b32 exec_lo, s71
	s_cbranch_execz .LBB6_850
; %bb.849:                              ;   in Loop: Header=BB6_3 Depth=1
	ds_load_b32 v27, v52 offset:4608
	ds_load_b32 v78, v51 offset:8008
	s_wait_dscnt 0x0
	v_fmac_f32_e32 v26, v27, v78
.LBB6_850:                              ;   in Loop: Header=BB6_3 Depth=1
	s_or_b32 exec_lo, exec_lo, s64
	s_delay_alu instid0(SALU_CYCLE_1) | instskip(SKIP_2) | instid1(SALU_CYCLE_1)
	s_mov_b32 s64, exec_lo
	v_readlane_b32 s71, v85, 24
	s_and_b32 s71, s64, s71
	s_mov_b32 exec_lo, s71
	s_cbranch_execz .LBB6_852
; %bb.851:                              ;   in Loop: Header=BB6_3 Depth=1
	ds_load_b32 v27, v52 offset:4864
	ds_load_b32 v78, v51 offset:8012
	s_wait_dscnt 0x0
	v_fmac_f32_e32 v26, v27, v78
.LBB6_852:                              ;   in Loop: Header=BB6_3 Depth=1
	s_or_b32 exec_lo, exec_lo, s64
	s_delay_alu instid0(SALU_CYCLE_1) | instskip(SKIP_2) | instid1(SALU_CYCLE_1)
	s_mov_b32 s64, exec_lo
	v_readlane_b32 s71, v85, 25
	s_and_b32 s71, s64, s71
	s_mov_b32 exec_lo, s71
	s_cbranch_execz .LBB6_854
; %bb.853:                              ;   in Loop: Header=BB6_3 Depth=1
	ds_load_b32 v27, v52 offset:5120
	ds_load_b32 v78, v51 offset:8016
	s_wait_dscnt 0x0
	v_fmac_f32_e32 v26, v27, v78
.LBB6_854:                              ;   in Loop: Header=BB6_3 Depth=1
	s_or_b32 exec_lo, exec_lo, s64
	s_delay_alu instid0(SALU_CYCLE_1) | instskip(SKIP_2) | instid1(SALU_CYCLE_1)
	s_mov_b32 s64, exec_lo
	v_readlane_b32 s71, v85, 26
	s_and_b32 s71, s64, s71
	s_mov_b32 exec_lo, s71
	s_cbranch_execz .LBB6_856
; %bb.855:                              ;   in Loop: Header=BB6_3 Depth=1
	ds_load_b32 v27, v52 offset:5376
	ds_load_b32 v78, v51 offset:8020
	s_wait_dscnt 0x0
	v_fmac_f32_e32 v26, v27, v78
.LBB6_856:                              ;   in Loop: Header=BB6_3 Depth=1
	s_or_b32 exec_lo, exec_lo, s64
	s_delay_alu instid0(SALU_CYCLE_1) | instskip(SKIP_2) | instid1(SALU_CYCLE_1)
	s_mov_b32 s64, exec_lo
	v_readlane_b32 s71, v85, 27
	s_and_b32 s71, s64, s71
	s_mov_b32 exec_lo, s71
	s_cbranch_execz .LBB6_858
; %bb.857:                              ;   in Loop: Header=BB6_3 Depth=1
	ds_load_b32 v27, v52 offset:5632
	ds_load_b32 v78, v51 offset:8024
	s_wait_dscnt 0x0
	v_fmac_f32_e32 v26, v27, v78
.LBB6_858:                              ;   in Loop: Header=BB6_3 Depth=1
	s_or_b32 exec_lo, exec_lo, s64
	s_delay_alu instid0(SALU_CYCLE_1) | instskip(SKIP_2) | instid1(SALU_CYCLE_1)
	s_mov_b32 s64, exec_lo
	v_readlane_b32 s71, v85, 28
	s_and_b32 s71, s64, s71
	s_mov_b32 exec_lo, s71
	s_cbranch_execz .LBB6_860
; %bb.859:                              ;   in Loop: Header=BB6_3 Depth=1
	ds_load_b32 v27, v52 offset:5888
	ds_load_b32 v78, v51 offset:8028
	s_wait_dscnt 0x0
	v_fmac_f32_e32 v26, v27, v78
.LBB6_860:                              ;   in Loop: Header=BB6_3 Depth=1
	s_or_b32 exec_lo, exec_lo, s64
	s_delay_alu instid0(SALU_CYCLE_1) | instskip(SKIP_2) | instid1(SALU_CYCLE_1)
	s_mov_b32 s64, exec_lo
	v_readlane_b32 s71, v85, 29
	s_and_b32 s71, s64, s71
	s_mov_b32 exec_lo, s71
	s_cbranch_execz .LBB6_862
; %bb.861:                              ;   in Loop: Header=BB6_3 Depth=1
	ds_load_b32 v27, v52 offset:6144
	ds_load_b32 v78, v51 offset:8032
	s_wait_dscnt 0x0
	v_fmac_f32_e32 v26, v27, v78
.LBB6_862:                              ;   in Loop: Header=BB6_3 Depth=1
	s_or_b32 exec_lo, exec_lo, s64
	s_delay_alu instid0(SALU_CYCLE_1) | instskip(SKIP_2) | instid1(SALU_CYCLE_1)
	s_mov_b32 s64, exec_lo
	v_readlane_b32 s71, v85, 30
	s_and_b32 s71, s64, s71
	s_mov_b32 exec_lo, s71
	s_cbranch_execz .LBB6_864
; %bb.863:                              ;   in Loop: Header=BB6_3 Depth=1
	ds_load_b32 v27, v52 offset:6400
	ds_load_b32 v78, v51 offset:8036
	s_wait_dscnt 0x0
	v_fmac_f32_e32 v26, v27, v78
.LBB6_864:                              ;   in Loop: Header=BB6_3 Depth=1
	s_or_b32 exec_lo, exec_lo, s64
	s_delay_alu instid0(SALU_CYCLE_1) | instskip(SKIP_2) | instid1(SALU_CYCLE_1)
	s_mov_b32 s64, exec_lo
	v_readlane_b32 s71, v85, 31
	s_and_b32 s71, s64, s71
	s_mov_b32 exec_lo, s71
	s_cbranch_execz .LBB6_866
; %bb.865:                              ;   in Loop: Header=BB6_3 Depth=1
	ds_load_b32 v27, v52 offset:6656
	ds_load_b32 v78, v51 offset:8040
	s_wait_dscnt 0x0
	v_fmac_f32_e32 v26, v27, v78
.LBB6_866:                              ;   in Loop: Header=BB6_3 Depth=1
	s_or_b32 exec_lo, exec_lo, s64
	s_delay_alu instid0(SALU_CYCLE_1) | instskip(SKIP_2) | instid1(SALU_CYCLE_1)
	s_mov_b32 s64, exec_lo
	v_readlane_b32 s71, v84, 0
	s_and_b32 s71, s64, s71
	s_mov_b32 exec_lo, s71
	s_cbranch_execnz .LBB6_1243
; %bb.867:                              ;   in Loop: Header=BB6_3 Depth=1
	s_or_b32 exec_lo, exec_lo, s64
	s_and_saveexec_b32 s64, s3
	s_cbranch_execnz .LBB6_1244
.LBB6_868:                              ;   in Loop: Header=BB6_3 Depth=1
	s_or_b32 exec_lo, exec_lo, s64
	s_and_saveexec_b32 s64, s20
	s_cbranch_execnz .LBB6_1245
.LBB6_869:                              ;   in Loop: Header=BB6_3 Depth=1
	s_or_b32 exec_lo, exec_lo, s64
	s_and_saveexec_b32 s64, s22
	s_cbranch_execnz .LBB6_1246
.LBB6_870:                              ;   in Loop: Header=BB6_3 Depth=1
	s_or_b32 exec_lo, exec_lo, s64
	s_and_saveexec_b32 s64, s2
	s_cbranch_execz .LBB6_872
.LBB6_871:                              ;   in Loop: Header=BB6_3 Depth=1
	ds_load_b32 v27, v32 offset:7936
	ds_load_b32 v78, v3 offset:8060
	s_wait_dscnt 0x0
	v_fmac_f32_e32 v26, v27, v78
.LBB6_872:                              ;   in Loop: Header=BB6_3 Depth=1
	s_or_b32 exec_lo, exec_lo, s64
.LBB6_873:                              ;   in Loop: Header=BB6_3 Depth=1
	s_delay_alu instid0(SALU_CYCLE_1)
	s_or_b32 exec_lo, exec_lo, s65
	s_and_saveexec_b32 s64, s47
	s_cbranch_execz .LBB6_875
; %bb.874:                              ;   in Loop: Header=BB6_3 Depth=1
	ds_load_b32 v27, v3 offset:3900
	s_wait_dscnt 0x0
	v_mul_f32_e32 v26, v26, v27
	s_delay_alu instid0(VALU_DEP_1)
	v_xor_b32_e32 v27, 0x80000000, v26
	ds_store_b32 v50, v27
.LBB6_875:                              ;   in Loop: Header=BB6_3 Depth=1
	s_or_b32 exec_lo, exec_lo, s64
	s_wait_loadcnt_dscnt 0x0
	s_barrier_signal -1
	s_barrier_wait -1
	s_and_saveexec_b32 s64, s48
	s_cbranch_execz .LBB6_877
; %bb.876:                              ;   in Loop: Header=BB6_3 Depth=1
	ds_load_b32 v27, v52 offset:3840
	ds_load_b32 v78, v50
	s_wait_dscnt 0x0
	v_fma_f32 v26, -v27, v78, v26
.LBB6_877:                              ;   in Loop: Header=BB6_3 Depth=1
	s_or_b32 exec_lo, exec_lo, s64
	s_barrier_signal -1
	s_barrier_wait -1
	s_and_saveexec_b32 s64, s49
	s_cbranch_execz .LBB6_879
; %bb.878:                              ;   in Loop: Header=BB6_3 Depth=1
	ds_load_b32 v27, v3 offset:3640
	s_wait_dscnt 0x0
	v_mul_f32_e32 v26, v26, v27
	s_delay_alu instid0(VALU_DEP_1)
	v_xor_b32_e32 v27, 0x80000000, v26
	ds_store_b32 v50, v27
.LBB6_879:                              ;   in Loop: Header=BB6_3 Depth=1
	s_or_b32 exec_lo, exec_lo, s64
	s_wait_dscnt 0x0
	s_barrier_signal -1
	s_barrier_wait -1
	s_and_saveexec_b32 s64, s50
	s_cbranch_execz .LBB6_881
; %bb.880:                              ;   in Loop: Header=BB6_3 Depth=1
	ds_load_b32 v27, v52 offset:3584
	ds_load_b32 v78, v50
	s_wait_dscnt 0x0
	v_fma_f32 v26, -v27, v78, v26
.LBB6_881:                              ;   in Loop: Header=BB6_3 Depth=1
	s_or_b32 exec_lo, exec_lo, s64
	s_barrier_signal -1
	s_barrier_wait -1
	s_and_saveexec_b32 s64, s51
	s_cbranch_execz .LBB6_883
; %bb.882:                              ;   in Loop: Header=BB6_3 Depth=1
	ds_load_b32 v27, v3 offset:3380
	s_wait_dscnt 0x0
	v_mul_f32_e32 v26, v26, v27
	s_delay_alu instid0(VALU_DEP_1)
	v_xor_b32_e32 v27, 0x80000000, v26
	ds_store_b32 v50, v27
.LBB6_883:                              ;   in Loop: Header=BB6_3 Depth=1
	s_or_b32 exec_lo, exec_lo, s64
	s_wait_dscnt 0x0
	;; [unrolled: 25-line block ×14, first 2 shown]
	s_barrier_signal -1
	s_barrier_wait -1
	s_and_saveexec_b32 s64, s86
	s_cbranch_execz .LBB6_933
; %bb.932:                              ;   in Loop: Header=BB6_3 Depth=1
	ds_load_b32 v27, v3 offset:256
	ds_load_b32 v78, v50
	s_wait_dscnt 0x0
	v_fma_f32 v26, -v27, v78, v26
.LBB6_933:                              ;   in Loop: Header=BB6_3 Depth=1
	s_or_b32 exec_lo, exec_lo, s64
	s_barrier_signal -1
	s_barrier_wait -1
	s_and_saveexec_b32 s64, s86
	s_cbranch_execz .LBB6_935
; %bb.934:                              ;   in Loop: Header=BB6_3 Depth=1
	ds_load_b32 v27, v3
	s_wait_dscnt 0x0
	v_mul_f32_e32 v26, v26, v27
	s_delay_alu instid0(VALU_DEP_1)
	v_xor_b32_e32 v27, 0x80000000, v26
	ds_store_b32 v50, v27
.LBB6_935:                              ;   in Loop: Header=BB6_3 Depth=1
	s_or_b32 exec_lo, exec_lo, s64
	s_wait_dscnt 0x0
	s_barrier_signal -1
	s_barrier_wait -1
	s_barrier_signal -1
	s_barrier_wait -1
	s_and_saveexec_b32 s64, s4
; %bb.936:                              ;   in Loop: Header=BB6_3 Depth=1
	ds_store_b32 v53, v26 offset:7936
; %bb.937:                              ;   in Loop: Header=BB6_3 Depth=1
	s_or_b32 exec_lo, exec_lo, s64
	s_wait_dscnt 0x0
	s_barrier_signal -1
	s_barrier_wait -1
	s_barrier_signal -1
	s_barrier_wait -1
	s_and_saveexec_b32 s65, s11
	s_cbranch_execz .LBB6_939
; %bb.938:                              ;   in Loop: Header=BB6_3 Depth=1
	ds_load_b32 v26, v34 offset:4096
	s_wait_dscnt 0x0
	ds_store_b32 v38, v26 offset:64
	ds_load_b32 v26, v34 offset:4100
	s_wait_dscnt 0x0
	ds_store_b32 v38, v26 offset:320
	;; [unrolled: 3-line block ×16, first 2 shown]
.LBB6_939:                              ;   in Loop: Header=BB6_3 Depth=1
	s_or_b32 exec_lo, exec_lo, s65
	s_wait_dscnt 0x0
	s_barrier_signal -1
	s_barrier_wait -1
	s_and_saveexec_b32 s64, s15
	s_cbranch_execz .LBB6_941
; %bb.940:                              ;   in Loop: Header=BB6_3 Depth=1
	ds_load_b64 v[26:27], v3 offset:3896
	ds_load_b32 v78, v3 offset:3640
	s_wait_dscnt 0x0
	v_mul_f32_e32 v27, v78, v27
	s_delay_alu instid0(VALU_DEP_1)
	v_mul_f32_e32 v26, v26, v27
	v_add_nc_u32_e64 v27, 0xc00, 0
	ds_store_2addr_b32 v27, v26, v26 offset0:143 offset1:206
.LBB6_941:                              ;   in Loop: Header=BB6_3 Depth=1
	s_or_b32 exec_lo, exec_lo, s64
	v_mov_b32_e32 v26, 0
	s_wait_dscnt 0x0
	s_barrier_signal -1
	s_barrier_wait -1
	global_wb scope:SCOPE_DEV
	s_wait_storecnt 0x0
	global_inv scope:SCOPE_DEV
	s_and_saveexec_b32 s64, s0
	s_cbranch_execz .LBB6_945
; %bb.942:                              ;   in Loop: Header=BB6_3 Depth=1
	ds_load_b32 v26, v31 offset:3632
	ds_load_b32 v27, v30 offset:3896
	s_wait_dscnt 0x0
	v_fma_f32 v26, v26, v27, 0
	s_and_saveexec_b32 s65, s16
	s_cbranch_execz .LBB6_944
; %bb.943:                              ;   in Loop: Header=BB6_3 Depth=1
	ds_load_b32 v27, v32 offset:3888
	ds_load_b32 v78, v3 offset:3900
	s_wait_dscnt 0x0
	v_fmac_f32_e32 v26, v27, v78
.LBB6_944:                              ;   in Loop: Header=BB6_3 Depth=1
	s_or_b32 exec_lo, exec_lo, s65
.LBB6_945:                              ;   in Loop: Header=BB6_3 Depth=1
	s_delay_alu instid0(SALU_CYCLE_1)
	s_or_b32 exec_lo, exec_lo, s64
	s_and_saveexec_b32 s64, s92
	s_cbranch_execz .LBB6_947
; %bb.946:                              ;   in Loop: Header=BB6_3 Depth=1
	ds_load_b32 v27, v3 offset:3380
	s_wait_dscnt 0x0
	v_mul_f32_e32 v26, v26, v27
	s_delay_alu instid0(VALU_DEP_1)
	v_xor_b32_e32 v27, 0x80000000, v26
	ds_store_b32 v5, v27
.LBB6_947:                              ;   in Loop: Header=BB6_3 Depth=1
	s_or_b32 exec_lo, exec_lo, s64
	s_wait_loadcnt_dscnt 0x0
	s_barrier_signal -1
	s_barrier_wait -1
	s_and_saveexec_b32 s64, s93
	s_cbranch_execz .LBB6_949
; %bb.948:                              ;   in Loop: Header=BB6_3 Depth=1
	ds_load_b32 v27, v3 offset:3376
	ds_load_b32 v78, v5
	s_wait_dscnt 0x0
	v_fma_f32 v26, -v27, v78, v26
.LBB6_949:                              ;   in Loop: Header=BB6_3 Depth=1
	s_or_b32 exec_lo, exec_lo, s64
	s_barrier_signal -1
	s_barrier_wait -1
	s_and_saveexec_b32 s64, s93
	s_cbranch_execz .LBB6_951
; %bb.950:                              ;   in Loop: Header=BB6_3 Depth=1
	ds_load_b32 v27, v3 offset:3120
	s_wait_dscnt 0x0
	v_mul_f32_e32 v26, v26, v27
	s_delay_alu instid0(VALU_DEP_1)
	v_xor_b32_e32 v27, 0x80000000, v26
	ds_store_b32 v5, v27
.LBB6_951:                              ;   in Loop: Header=BB6_3 Depth=1
	s_or_b32 exec_lo, exec_lo, s64
	s_wait_dscnt 0x0
	s_barrier_signal -1
	s_barrier_wait -1
	s_barrier_signal -1
	s_barrier_wait -1
	s_and_saveexec_b32 s64, s0
; %bb.952:                              ;   in Loop: Header=BB6_3 Depth=1
	ds_store_b32 v33, v26 offset:3888
; %bb.953:                              ;   in Loop: Header=BB6_3 Depth=1
	s_or_b32 exec_lo, exec_lo, s64
	s_wait_dscnt 0x0
	s_barrier_signal -1
	s_barrier_wait -1
	s_barrier_signal -1
	s_barrier_wait -1
	s_and_saveexec_b32 s64, s94
	s_cbranch_execz .LBB6_955
; %bb.954:                              ;   in Loop: Header=BB6_3 Depth=1
	ds_load_b32 v26, v34 offset:3632
	s_wait_dscnt 0x0
	ds_store_b32 v32, v26 offset:3128
	ds_load_b32 v26, v34 offset:3636
	s_wait_dscnt 0x0
	ds_store_b32 v32, v26 offset:3384
.LBB6_955:                              ;   in Loop: Header=BB6_3 Depth=1
	s_or_b32 exec_lo, exec_lo, s64
	s_wait_dscnt 0x0
	s_barrier_signal -1
	s_barrier_wait -1
	s_and_saveexec_b32 s64, s15
	s_cbranch_execz .LBB6_957
; %bb.956:                              ;   in Loop: Header=BB6_3 Depth=1
	ds_load_b64 v[26:27], v3 offset:3376
	ds_load_b32 v78, v3 offset:3120
	s_wait_dscnt 0x0
	v_mul_f32_e32 v27, v78, v27
	s_delay_alu instid0(VALU_DEP_1)
	v_mul_f32_e32 v26, v26, v27
	v_add_nc_u32_e64 v27, 0xc00, 0
	ds_store_2addr_b32 v27, v26, v26 offset0:13 offset1:76
.LBB6_957:                              ;   in Loop: Header=BB6_3 Depth=1
	s_or_b32 exec_lo, exec_lo, s64
	v_mov_b32_e32 v26, 0
	s_wait_dscnt 0x0
	s_barrier_signal -1
	s_barrier_wait -1
	global_wb scope:SCOPE_DEV
	s_wait_storecnt 0x0
	global_inv scope:SCOPE_DEV
	s_and_saveexec_b32 s65, s2
	s_cbranch_execz .LBB6_963
; %bb.958:                              ;   in Loop: Header=BB6_3 Depth=1
	ds_load_b32 v26, v37 offset:3104
	ds_load_b32 v27, v36 offset:3888
	s_wait_dscnt 0x0
	v_fma_f32 v26, v26, v27, 0
	s_and_saveexec_b32 s64, s17
	s_cbranch_execnz .LBB6_1247
; %bb.959:                              ;   in Loop: Header=BB6_3 Depth=1
	s_or_b32 exec_lo, exec_lo, s64
	s_and_saveexec_b32 s64, s18
	s_cbranch_execnz .LBB6_1248
.LBB6_960:                              ;   in Loop: Header=BB6_3 Depth=1
	s_or_b32 exec_lo, exec_lo, s64
	s_and_saveexec_b32 s64, s0
	s_cbranch_execz .LBB6_962
.LBB6_961:                              ;   in Loop: Header=BB6_3 Depth=1
	ds_load_b32 v27, v38 offset:3872
	ds_load_b32 v78, v3 offset:3900
	s_wait_dscnt 0x0
	v_fmac_f32_e32 v26, v27, v78
.LBB6_962:                              ;   in Loop: Header=BB6_3 Depth=1
	s_or_b32 exec_lo, exec_lo, s64
.LBB6_963:                              ;   in Loop: Header=BB6_3 Depth=1
	s_delay_alu instid0(SALU_CYCLE_1)
	s_or_b32 exec_lo, exec_lo, s65
	s_and_saveexec_b32 s64, s95
	s_cbranch_execz .LBB6_965
; %bb.964:                              ;   in Loop: Header=BB6_3 Depth=1
	ds_load_b32 v27, v3 offset:2860
	s_wait_dscnt 0x0
	v_mul_f32_e32 v26, v26, v27
	s_delay_alu instid0(VALU_DEP_1)
	v_xor_b32_e32 v27, 0x80000000, v26
	ds_store_b32 v35, v27
.LBB6_965:                              ;   in Loop: Header=BB6_3 Depth=1
	s_or_b32 exec_lo, exec_lo, s64
	s_wait_loadcnt_dscnt 0x0
	s_barrier_signal -1
	s_barrier_wait -1
	s_and_saveexec_b32 s64, s96
	s_cbranch_execz .LBB6_967
; %bb.966:                              ;   in Loop: Header=BB6_3 Depth=1
	ds_load_b32 v27, v37 offset:2848
	ds_load_b32 v78, v35
	s_wait_dscnt 0x0
	v_fma_f32 v26, -v27, v78, v26
.LBB6_967:                              ;   in Loop: Header=BB6_3 Depth=1
	s_or_b32 exec_lo, exec_lo, s64
	s_barrier_signal -1
	s_barrier_wait -1
	s_and_saveexec_b32 s64, s97
	s_cbranch_execz .LBB6_969
; %bb.968:                              ;   in Loop: Header=BB6_3 Depth=1
	ds_load_b32 v27, v3 offset:2600
	s_wait_dscnt 0x0
	v_mul_f32_e32 v26, v26, v27
	s_delay_alu instid0(VALU_DEP_1)
	v_xor_b32_e32 v27, 0x80000000, v26
	ds_store_b32 v35, v27
.LBB6_969:                              ;   in Loop: Header=BB6_3 Depth=1
	s_or_b32 exec_lo, exec_lo, s64
	s_wait_dscnt 0x0
	s_barrier_signal -1
	s_barrier_wait -1
	s_and_saveexec_b32 s64, s98
	s_cbranch_execz .LBB6_971
; %bb.970:                              ;   in Loop: Header=BB6_3 Depth=1
	ds_load_b32 v27, v37 offset:2592
	ds_load_b32 v78, v35
	s_wait_dscnt 0x0
	v_fma_f32 v26, -v27, v78, v26
.LBB6_971:                              ;   in Loop: Header=BB6_3 Depth=1
	s_or_b32 exec_lo, exec_lo, s64
	s_barrier_signal -1
	s_barrier_wait -1
	s_and_saveexec_b32 s64, s99
	s_cbranch_execz .LBB6_973
; %bb.972:                              ;   in Loop: Header=BB6_3 Depth=1
	ds_load_b32 v27, v3 offset:2340
	s_wait_dscnt 0x0
	v_mul_f32_e32 v26, v26, v27
	s_delay_alu instid0(VALU_DEP_1)
	v_xor_b32_e32 v27, 0x80000000, v26
	ds_store_b32 v35, v27
.LBB6_973:                              ;   in Loop: Header=BB6_3 Depth=1
	s_or_b32 exec_lo, exec_lo, s64
	s_wait_dscnt 0x0
	;; [unrolled: 25-line block ×3, first 2 shown]
	s_barrier_signal -1
	s_barrier_wait -1
	s_barrier_signal -1
	s_barrier_wait -1
	s_and_saveexec_b32 s64, s2
; %bb.978:                              ;   in Loop: Header=BB6_3 Depth=1
	ds_store_b32 v41, v26 offset:3872
; %bb.979:                              ;   in Loop: Header=BB6_3 Depth=1
	s_or_b32 exec_lo, exec_lo, s64
	s_wait_dscnt 0x0
	s_barrier_signal -1
	s_barrier_wait -1
	s_barrier_signal -1
	s_barrier_wait -1
	s_and_saveexec_b32 s64, s101
	s_cbranch_execz .LBB6_981
; %bb.980:                              ;   in Loop: Header=BB6_3 Depth=1
	ds_load_b32 v26, v39 offset:3104
	s_wait_dscnt 0x0
	ds_store_b32 v40, v26 offset:2096
	ds_load_b32 v26, v39 offset:3108
	s_wait_dscnt 0x0
	ds_store_b32 v40, v26 offset:2352
	;; [unrolled: 3-line block ×4, first 2 shown]
.LBB6_981:                              ;   in Loop: Header=BB6_3 Depth=1
	s_or_b32 exec_lo, exec_lo, s64
	s_wait_dscnt 0x0
	s_barrier_signal -1
	s_barrier_wait -1
	s_and_saveexec_b32 s64, s15
	s_cbranch_execz .LBB6_983
; %bb.982:                              ;   in Loop: Header=BB6_3 Depth=1
	ds_load_b64 v[26:27], v3 offset:2856
	ds_load_b32 v78, v3 offset:2600
	s_wait_dscnt 0x0
	v_mul_f32_e32 v27, v78, v27
	s_delay_alu instid0(VALU_DEP_1)
	v_mul_f32_e32 v26, v26, v27
	v_add_nc_u32_e64 v27, 0x800, 0
	ds_store_2addr_b32 v27, v26, v26 offset0:139 offset1:202
.LBB6_983:                              ;   in Loop: Header=BB6_3 Depth=1
	s_or_b32 exec_lo, exec_lo, s64
	v_mov_b32_e32 v26, 0
	s_wait_dscnt 0x0
	s_barrier_signal -1
	s_barrier_wait -1
	global_wb scope:SCOPE_DEV
	s_wait_storecnt 0x0
	global_inv scope:SCOPE_DEV
	s_and_saveexec_b32 s64, s0
	s_cbranch_execz .LBB6_987
; %bb.984:                              ;   in Loop: Header=BB6_3 Depth=1
	ds_load_b32 v26, v31 offset:2592
	ds_load_b32 v27, v30 offset:2856
	s_wait_dscnt 0x0
	v_fma_f32 v26, v26, v27, 0
	s_and_saveexec_b32 s65, s16
	s_cbranch_execz .LBB6_986
; %bb.985:                              ;   in Loop: Header=BB6_3 Depth=1
	ds_load_b32 v27, v40 offset:2848
	ds_load_b32 v78, v3 offset:2860
	s_wait_dscnt 0x0
	v_fmac_f32_e32 v26, v27, v78
.LBB6_986:                              ;   in Loop: Header=BB6_3 Depth=1
	s_or_b32 exec_lo, exec_lo, s65
.LBB6_987:                              ;   in Loop: Header=BB6_3 Depth=1
	s_delay_alu instid0(SALU_CYCLE_1)
	s_or_b32 exec_lo, exec_lo, s64
	s_and_saveexec_b32 s64, s92
	s_cbranch_execz .LBB6_989
; %bb.988:                              ;   in Loop: Header=BB6_3 Depth=1
	ds_load_b32 v27, v3 offset:2340
	s_wait_dscnt 0x0
	v_mul_f32_e32 v26, v26, v27
	s_delay_alu instid0(VALU_DEP_1)
	v_xor_b32_e32 v27, 0x80000000, v26
	ds_store_b32 v5, v27
.LBB6_989:                              ;   in Loop: Header=BB6_3 Depth=1
	s_or_b32 exec_lo, exec_lo, s64
	s_wait_loadcnt_dscnt 0x0
	s_barrier_signal -1
	s_barrier_wait -1
	s_and_saveexec_b32 s64, s93
	s_cbranch_execz .LBB6_991
; %bb.990:                              ;   in Loop: Header=BB6_3 Depth=1
	ds_load_b32 v27, v3 offset:2336
	ds_load_b32 v78, v5
	s_wait_dscnt 0x0
	v_fma_f32 v26, -v27, v78, v26
.LBB6_991:                              ;   in Loop: Header=BB6_3 Depth=1
	s_or_b32 exec_lo, exec_lo, s64
	s_barrier_signal -1
	s_barrier_wait -1
	s_and_saveexec_b32 s64, s93
	s_cbranch_execz .LBB6_993
; %bb.992:                              ;   in Loop: Header=BB6_3 Depth=1
	ds_load_b32 v27, v3 offset:2080
	s_wait_dscnt 0x0
	v_mul_f32_e32 v26, v26, v27
	s_delay_alu instid0(VALU_DEP_1)
	v_xor_b32_e32 v27, 0x80000000, v26
	ds_store_b32 v5, v27
.LBB6_993:                              ;   in Loop: Header=BB6_3 Depth=1
	s_or_b32 exec_lo, exec_lo, s64
	s_wait_dscnt 0x0
	s_barrier_signal -1
	s_barrier_wait -1
	s_barrier_signal -1
	s_barrier_wait -1
	s_and_saveexec_b32 s64, s0
; %bb.994:                              ;   in Loop: Header=BB6_3 Depth=1
	ds_store_b32 v33, v26 offset:2848
; %bb.995:                              ;   in Loop: Header=BB6_3 Depth=1
	s_or_b32 exec_lo, exec_lo, s64
	s_wait_dscnt 0x0
	s_barrier_signal -1
	s_barrier_wait -1
	s_barrier_signal -1
	s_barrier_wait -1
	s_and_saveexec_b32 s64, s94
	s_cbranch_execz .LBB6_997
; %bb.996:                              ;   in Loop: Header=BB6_3 Depth=1
	ds_load_b32 v26, v42 offset:2592
	s_wait_dscnt 0x0
	ds_store_b32 v40, v26 offset:2088
	ds_load_b32 v26, v42 offset:2596
	s_wait_dscnt 0x0
	ds_store_b32 v40, v26 offset:2344
.LBB6_997:                              ;   in Loop: Header=BB6_3 Depth=1
	s_or_b32 exec_lo, exec_lo, s64
	s_wait_dscnt 0x0
	s_barrier_signal -1
	s_barrier_wait -1
	s_and_saveexec_b32 s64, s15
	s_cbranch_execz .LBB6_999
; %bb.998:                              ;   in Loop: Header=BB6_3 Depth=1
	ds_load_b64 v[26:27], v3 offset:2336
	ds_load_b32 v78, v3 offset:2080
	s_wait_dscnt 0x0
	v_mul_f32_e32 v27, v78, v27
	s_delay_alu instid0(VALU_DEP_1)
	v_mul_f32_e32 v26, v26, v27
	v_add_nc_u32_e64 v27, 0x800, 0
	ds_store_2addr_b32 v27, v26, v26 offset0:9 offset1:72
.LBB6_999:                              ;   in Loop: Header=BB6_3 Depth=1
	s_or_b32 exec_lo, exec_lo, s64
	v_mov_b32_e32 v26, 0
	s_wait_dscnt 0x0
	s_barrier_signal -1
	s_barrier_wait -1
	global_wb scope:SCOPE_DEV
	s_wait_storecnt 0x0
	global_inv scope:SCOPE_DEV
	s_and_saveexec_b32 s65, s3
	s_cbranch_execz .LBB6_1009
; %bb.1000:                             ;   in Loop: Header=BB6_3 Depth=1
	ds_load_b32 v26, v45 offset:2048
	ds_load_b32 v27, v44 offset:3872
	s_wait_dscnt 0x0
	v_fma_f32 v26, v26, v27, 0
	s_and_saveexec_b32 s64, s19
	s_cbranch_execnz .LBB6_1249
; %bb.1001:                             ;   in Loop: Header=BB6_3 Depth=1
	s_or_b32 exec_lo, exec_lo, s64
	s_and_saveexec_b32 s64, s20
	s_cbranch_execnz .LBB6_1250
.LBB6_1002:                             ;   in Loop: Header=BB6_3 Depth=1
	s_or_b32 exec_lo, exec_lo, s64
	s_and_saveexec_b32 s64, s21
	s_cbranch_execnz .LBB6_1251
.LBB6_1003:                             ;   in Loop: Header=BB6_3 Depth=1
	s_or_b32 exec_lo, exec_lo, s64
	s_and_saveexec_b32 s64, s22
	s_cbranch_execnz .LBB6_1252
.LBB6_1004:                             ;   in Loop: Header=BB6_3 Depth=1
	s_or_b32 exec_lo, exec_lo, s64
	s_and_saveexec_b32 s64, s23
	s_cbranch_execnz .LBB6_1253
.LBB6_1005:                             ;   in Loop: Header=BB6_3 Depth=1
	s_or_b32 exec_lo, exec_lo, s64
	s_and_saveexec_b32 s64, s2
	s_cbranch_execnz .LBB6_1254
.LBB6_1006:                             ;   in Loop: Header=BB6_3 Depth=1
	s_or_b32 exec_lo, exec_lo, s64
	s_and_saveexec_b32 s64, s18
	s_cbranch_execz .LBB6_1008
.LBB6_1007:                             ;   in Loop: Header=BB6_3 Depth=1
	ds_load_b32 v27, v46 offset:3840
	ds_load_b32 v78, v3 offset:3900
	s_wait_dscnt 0x0
	v_fmac_f32_e32 v26, v27, v78
.LBB6_1008:                             ;   in Loop: Header=BB6_3 Depth=1
	s_or_b32 exec_lo, exec_lo, s64
.LBB6_1009:                             ;   in Loop: Header=BB6_3 Depth=1
	s_delay_alu instid0(SALU_CYCLE_1)
	s_or_b32 exec_lo, exec_lo, s65
	s_and_saveexec_b32 s64, s102
	s_cbranch_execz .LBB6_1011
; %bb.1010:                             ;   in Loop: Header=BB6_3 Depth=1
	ds_load_b32 v27, v3 offset:1820
	s_wait_dscnt 0x0
	v_mul_f32_e32 v26, v26, v27
	s_delay_alu instid0(VALU_DEP_1)
	v_xor_b32_e32 v27, 0x80000000, v26
	ds_store_b32 v43, v27
.LBB6_1011:                             ;   in Loop: Header=BB6_3 Depth=1
	s_or_b32 exec_lo, exec_lo, s64
	s_wait_loadcnt_dscnt 0x0
	s_barrier_signal -1
	s_barrier_wait -1
	s_and_saveexec_b32 s64, s103
	s_cbranch_execz .LBB6_1013
; %bb.1012:                             ;   in Loop: Header=BB6_3 Depth=1
	ds_load_b32 v27, v45 offset:1792
	ds_load_b32 v78, v43
	s_wait_dscnt 0x0
	v_fma_f32 v26, -v27, v78, v26
.LBB6_1013:                             ;   in Loop: Header=BB6_3 Depth=1
	s_or_b32 exec_lo, exec_lo, s64
	s_barrier_signal -1
	s_barrier_wait -1
	s_and_saveexec_b32 s64, s104
	s_cbranch_execz .LBB6_1015
; %bb.1014:                             ;   in Loop: Header=BB6_3 Depth=1
	ds_load_b32 v27, v3 offset:1560
	s_wait_dscnt 0x0
	v_mul_f32_e32 v26, v26, v27
	s_delay_alu instid0(VALU_DEP_1)
	v_xor_b32_e32 v27, 0x80000000, v26
	ds_store_b32 v43, v27
.LBB6_1015:                             ;   in Loop: Header=BB6_3 Depth=1
	s_or_b32 exec_lo, exec_lo, s64
	s_wait_dscnt 0x0
	s_barrier_signal -1
	s_barrier_wait -1
	s_and_saveexec_b32 s64, vcc_hi
	s_cbranch_execz .LBB6_1017
; %bb.1016:                             ;   in Loop: Header=BB6_3 Depth=1
	ds_load_b32 v27, v45 offset:1536
	ds_load_b32 v78, v43
	s_wait_dscnt 0x0
	v_fma_f32 v26, -v27, v78, v26
.LBB6_1017:                             ;   in Loop: Header=BB6_3 Depth=1
	s_or_b32 exec_lo, exec_lo, s64
	s_barrier_signal -1
	s_barrier_wait -1
	s_and_saveexec_b32 s64, s36
	s_cbranch_execz .LBB6_1019
; %bb.1018:                             ;   in Loop: Header=BB6_3 Depth=1
	ds_load_b32 v27, v3 offset:1300
	s_wait_dscnt 0x0
	v_mul_f32_e32 v26, v26, v27
	s_delay_alu instid0(VALU_DEP_1)
	v_xor_b32_e32 v27, 0x80000000, v26
	ds_store_b32 v43, v27
.LBB6_1019:                             ;   in Loop: Header=BB6_3 Depth=1
	s_or_b32 exec_lo, exec_lo, s64
	s_wait_dscnt 0x0
	s_barrier_signal -1
	s_barrier_wait -1
	s_and_saveexec_b32 s64, s37
	s_cbranch_execz .LBB6_1021
; %bb.1020:                             ;   in Loop: Header=BB6_3 Depth=1
	ds_load_b32 v27, v45 offset:1280
	ds_load_b32 v78, v43
	s_wait_dscnt 0x0
	v_fma_f32 v26, -v27, v78, v26
.LBB6_1021:                             ;   in Loop: Header=BB6_3 Depth=1
	s_or_b32 exec_lo, exec_lo, s64
	s_barrier_signal -1
	s_barrier_wait -1
	s_and_saveexec_b32 s64, s38
	s_cbranch_execz .LBB6_1023
; %bb.1022:                             ;   in Loop: Header=BB6_3 Depth=1
	ds_load_b32 v27, v3 offset:1040
	s_wait_dscnt 0x0
	v_mul_f32_e32 v26, v26, v27
	s_delay_alu instid0(VALU_DEP_1)
	v_xor_b32_e32 v27, 0x80000000, v26
	ds_store_b32 v43, v27
.LBB6_1023:                             ;   in Loop: Header=BB6_3 Depth=1
	s_or_b32 exec_lo, exec_lo, s64
	s_wait_dscnt 0x0
	s_barrier_signal -1
	s_barrier_wait -1
	s_and_saveexec_b32 s64, s39
	;; [unrolled: 25-line block ×5, first 2 shown]
	s_cbranch_execz .LBB6_1037
; %bb.1036:                             ;   in Loop: Header=BB6_3 Depth=1
	ds_load_b32 v27, v3 offset:256
	ds_load_b32 v78, v43
	s_wait_dscnt 0x0
	v_fma_f32 v26, -v27, v78, v26
.LBB6_1037:                             ;   in Loop: Header=BB6_3 Depth=1
	s_or_b32 exec_lo, exec_lo, s64
	s_barrier_signal -1
	s_barrier_wait -1
	s_and_saveexec_b32 s64, s45
	s_cbranch_execz .LBB6_1039
; %bb.1038:                             ;   in Loop: Header=BB6_3 Depth=1
	ds_load_b32 v27, v3
	s_wait_dscnt 0x0
	v_mul_f32_e32 v26, v26, v27
	s_delay_alu instid0(VALU_DEP_1)
	v_xor_b32_e32 v27, 0x80000000, v26
	ds_store_b32 v43, v27
.LBB6_1039:                             ;   in Loop: Header=BB6_3 Depth=1
	s_or_b32 exec_lo, exec_lo, s64
	s_wait_dscnt 0x0
	s_barrier_signal -1
	s_barrier_wait -1
	s_barrier_signal -1
	s_barrier_wait -1
	s_and_saveexec_b32 s64, s3
; %bb.1040:                             ;   in Loop: Header=BB6_3 Depth=1
	ds_store_b32 v48, v26 offset:3840
; %bb.1041:                             ;   in Loop: Header=BB6_3 Depth=1
	s_or_b32 exec_lo, exec_lo, s64
	s_wait_dscnt 0x0
	s_barrier_signal -1
	s_barrier_wait -1
	s_barrier_signal -1
	s_barrier_wait -1
	s_and_saveexec_b32 s64, s46
	s_cbranch_execz .LBB6_1043
; %bb.1042:                             ;   in Loop: Header=BB6_3 Depth=1
	ds_load_b32 v26, v47 offset:2048
	s_wait_dscnt 0x0
	ds_store_b32 v49, v26 offset:32
	ds_load_b32 v26, v47 offset:2052
	s_wait_dscnt 0x0
	ds_store_b32 v49, v26 offset:288
	;; [unrolled: 3-line block ×8, first 2 shown]
.LBB6_1043:                             ;   in Loop: Header=BB6_3 Depth=1
	s_or_b32 exec_lo, exec_lo, s64
	s_wait_dscnt 0x0
	s_barrier_signal -1
	s_barrier_wait -1
	s_and_saveexec_b32 s64, s15
	s_cbranch_execz .LBB6_1045
; %bb.1044:                             ;   in Loop: Header=BB6_3 Depth=1
	ds_load_b64 v[26:27], v3 offset:1816
	ds_load_b32 v78, v3 offset:1560
	s_wait_dscnt 0x0
	v_mul_f32_e32 v27, v78, v27
	s_delay_alu instid0(VALU_DEP_1)
	v_mul_f32_e32 v26, v26, v27
	v_add_nc_u32_e64 v27, 0x400, 0
	ds_store_2addr_b32 v27, v26, v26 offset0:135 offset1:198
.LBB6_1045:                             ;   in Loop: Header=BB6_3 Depth=1
	s_or_b32 exec_lo, exec_lo, s64
	v_mov_b32_e32 v26, 0
	s_wait_dscnt 0x0
	s_barrier_signal -1
	s_barrier_wait -1
	global_wb scope:SCOPE_DEV
	s_wait_storecnt 0x0
	global_inv scope:SCOPE_DEV
	s_and_saveexec_b32 s64, s0
	s_cbranch_execz .LBB6_1049
; %bb.1046:                             ;   in Loop: Header=BB6_3 Depth=1
	ds_load_b32 v26, v31 offset:1552
	ds_load_b32 v27, v30 offset:1816
	s_wait_dscnt 0x0
	v_fma_f32 v26, v26, v27, 0
	s_and_saveexec_b32 s65, s16
	s_cbranch_execz .LBB6_1048
; %bb.1047:                             ;   in Loop: Header=BB6_3 Depth=1
	ds_load_b32 v27, v49 offset:1808
	ds_load_b32 v78, v3 offset:1820
	s_wait_dscnt 0x0
	v_fmac_f32_e32 v26, v27, v78
.LBB6_1048:                             ;   in Loop: Header=BB6_3 Depth=1
	s_or_b32 exec_lo, exec_lo, s65
.LBB6_1049:                             ;   in Loop: Header=BB6_3 Depth=1
	s_delay_alu instid0(SALU_CYCLE_1)
	s_or_b32 exec_lo, exec_lo, s64
	s_and_saveexec_b32 s64, s92
	s_cbranch_execz .LBB6_1051
; %bb.1050:                             ;   in Loop: Header=BB6_3 Depth=1
	ds_load_b32 v27, v3 offset:1300
	s_wait_dscnt 0x0
	v_mul_f32_e32 v26, v26, v27
	s_delay_alu instid0(VALU_DEP_1)
	v_xor_b32_e32 v27, 0x80000000, v26
	ds_store_b32 v5, v27
.LBB6_1051:                             ;   in Loop: Header=BB6_3 Depth=1
	s_or_b32 exec_lo, exec_lo, s64
	s_wait_loadcnt_dscnt 0x0
	s_barrier_signal -1
	s_barrier_wait -1
	s_and_saveexec_b32 s64, s93
	s_cbranch_execz .LBB6_1053
; %bb.1052:                             ;   in Loop: Header=BB6_3 Depth=1
	ds_load_b32 v27, v3 offset:1296
	ds_load_b32 v78, v5
	s_wait_dscnt 0x0
	v_fma_f32 v26, -v27, v78, v26
.LBB6_1053:                             ;   in Loop: Header=BB6_3 Depth=1
	s_or_b32 exec_lo, exec_lo, s64
	s_barrier_signal -1
	s_barrier_wait -1
	s_and_saveexec_b32 s64, s93
	s_cbranch_execz .LBB6_1055
; %bb.1054:                             ;   in Loop: Header=BB6_3 Depth=1
	ds_load_b32 v27, v3 offset:1040
	s_wait_dscnt 0x0
	v_mul_f32_e32 v26, v26, v27
	s_delay_alu instid0(VALU_DEP_1)
	v_xor_b32_e32 v27, 0x80000000, v26
	ds_store_b32 v5, v27
.LBB6_1055:                             ;   in Loop: Header=BB6_3 Depth=1
	s_or_b32 exec_lo, exec_lo, s64
	s_wait_dscnt 0x0
	s_barrier_signal -1
	s_barrier_wait -1
	s_barrier_signal -1
	s_barrier_wait -1
	s_and_saveexec_b32 s64, s0
; %bb.1056:                             ;   in Loop: Header=BB6_3 Depth=1
	ds_store_b32 v33, v26 offset:1808
; %bb.1057:                             ;   in Loop: Header=BB6_3 Depth=1
	s_or_b32 exec_lo, exec_lo, s64
	s_wait_dscnt 0x0
	s_barrier_signal -1
	s_barrier_wait -1
	s_barrier_signal -1
	s_barrier_wait -1
	s_and_saveexec_b32 s64, s94
	s_cbranch_execz .LBB6_1059
; %bb.1058:                             ;   in Loop: Header=BB6_3 Depth=1
	ds_load_b32 v26, v54 offset:1552
	s_wait_dscnt 0x0
	ds_store_b32 v49, v26 offset:1048
	ds_load_b32 v26, v54 offset:1556
	s_wait_dscnt 0x0
	ds_store_b32 v49, v26 offset:1304
.LBB6_1059:                             ;   in Loop: Header=BB6_3 Depth=1
	s_or_b32 exec_lo, exec_lo, s64
	s_wait_dscnt 0x0
	s_barrier_signal -1
	s_barrier_wait -1
	s_and_saveexec_b32 s64, s15
	s_cbranch_execz .LBB6_1061
; %bb.1060:                             ;   in Loop: Header=BB6_3 Depth=1
	ds_load_b64 v[26:27], v3 offset:1296
	ds_load_b32 v78, v3 offset:1040
	s_wait_dscnt 0x0
	v_mul_f32_e32 v27, v78, v27
	s_delay_alu instid0(VALU_DEP_1)
	v_mul_f32_e32 v26, v26, v27
	v_add_nc_u32_e64 v27, 0x400, 0
	ds_store_2addr_b32 v27, v26, v26 offset0:5 offset1:68
.LBB6_1061:                             ;   in Loop: Header=BB6_3 Depth=1
	s_or_b32 exec_lo, exec_lo, s64
	v_mov_b32_e32 v26, 0
	s_wait_dscnt 0x0
	s_barrier_signal -1
	s_barrier_wait -1
	global_wb scope:SCOPE_DEV
	s_wait_storecnt 0x0
	global_inv scope:SCOPE_DEV
	s_and_saveexec_b32 s65, s2
	s_cbranch_execz .LBB6_1067
; %bb.1062:                             ;   in Loop: Header=BB6_3 Depth=1
	ds_load_b32 v26, v37 offset:1024
	ds_load_b32 v27, v36 offset:1808
	s_wait_dscnt 0x0
	v_fma_f32 v26, v26, v27, 0
	s_and_saveexec_b32 s64, s17
	s_cbranch_execnz .LBB6_1255
; %bb.1063:                             ;   in Loop: Header=BB6_3 Depth=1
	s_or_b32 exec_lo, exec_lo, s64
	s_and_saveexec_b32 s64, s18
	s_cbranch_execnz .LBB6_1256
.LBB6_1064:                             ;   in Loop: Header=BB6_3 Depth=1
	s_or_b32 exec_lo, exec_lo, s64
	s_and_saveexec_b32 s64, s0
	s_cbranch_execz .LBB6_1066
.LBB6_1065:                             ;   in Loop: Header=BB6_3 Depth=1
	ds_load_b32 v27, v55 offset:1792
	ds_load_b32 v78, v3 offset:1820
	s_wait_dscnt 0x0
	v_fmac_f32_e32 v26, v27, v78
.LBB6_1066:                             ;   in Loop: Header=BB6_3 Depth=1
	s_or_b32 exec_lo, exec_lo, s64
.LBB6_1067:                             ;   in Loop: Header=BB6_3 Depth=1
	s_delay_alu instid0(SALU_CYCLE_1)
	s_or_b32 exec_lo, exec_lo, s65
	s_and_saveexec_b32 s64, s95
	s_cbranch_execz .LBB6_1069
; %bb.1068:                             ;   in Loop: Header=BB6_3 Depth=1
	ds_load_b32 v27, v3 offset:780
	s_wait_dscnt 0x0
	v_mul_f32_e32 v26, v26, v27
	s_delay_alu instid0(VALU_DEP_1)
	v_xor_b32_e32 v27, 0x80000000, v26
	ds_store_b32 v35, v27
.LBB6_1069:                             ;   in Loop: Header=BB6_3 Depth=1
	s_or_b32 exec_lo, exec_lo, s64
	s_wait_loadcnt_dscnt 0x0
	s_barrier_signal -1
	s_barrier_wait -1
	s_and_saveexec_b32 s64, s96
	s_cbranch_execz .LBB6_1071
; %bb.1070:                             ;   in Loop: Header=BB6_3 Depth=1
	ds_load_b32 v27, v37 offset:768
	ds_load_b32 v78, v35
	s_wait_dscnt 0x0
	v_fma_f32 v26, -v27, v78, v26
.LBB6_1071:                             ;   in Loop: Header=BB6_3 Depth=1
	s_or_b32 exec_lo, exec_lo, s64
	s_barrier_signal -1
	s_barrier_wait -1
	s_and_saveexec_b32 s64, s97
	s_cbranch_execz .LBB6_1073
; %bb.1072:                             ;   in Loop: Header=BB6_3 Depth=1
	ds_load_b32 v27, v3 offset:520
	s_wait_dscnt 0x0
	v_mul_f32_e32 v26, v26, v27
	s_delay_alu instid0(VALU_DEP_1)
	v_xor_b32_e32 v27, 0x80000000, v26
	ds_store_b32 v35, v27
.LBB6_1073:                             ;   in Loop: Header=BB6_3 Depth=1
	s_or_b32 exec_lo, exec_lo, s64
	s_wait_dscnt 0x0
	s_barrier_signal -1
	s_barrier_wait -1
	s_and_saveexec_b32 s64, s98
	s_cbranch_execz .LBB6_1075
; %bb.1074:                             ;   in Loop: Header=BB6_3 Depth=1
	ds_load_b32 v27, v37 offset:512
	ds_load_b32 v78, v35
	s_wait_dscnt 0x0
	v_fma_f32 v26, -v27, v78, v26
.LBB6_1075:                             ;   in Loop: Header=BB6_3 Depth=1
	s_or_b32 exec_lo, exec_lo, s64
	s_barrier_signal -1
	s_barrier_wait -1
	s_and_saveexec_b32 s64, s99
	s_cbranch_execz .LBB6_1077
; %bb.1076:                             ;   in Loop: Header=BB6_3 Depth=1
	ds_load_b32 v27, v3 offset:260
	s_wait_dscnt 0x0
	v_mul_f32_e32 v26, v26, v27
	s_delay_alu instid0(VALU_DEP_1)
	v_xor_b32_e32 v27, 0x80000000, v26
	ds_store_b32 v35, v27
.LBB6_1077:                             ;   in Loop: Header=BB6_3 Depth=1
	s_or_b32 exec_lo, exec_lo, s64
	s_wait_dscnt 0x0
	s_barrier_signal -1
	s_barrier_wait -1
	s_and_saveexec_b32 s64, s100
	s_cbranch_execz .LBB6_1079
; %bb.1078:                             ;   in Loop: Header=BB6_3 Depth=1
	ds_load_b32 v27, v3 offset:256
	ds_load_b32 v78, v35
	s_wait_dscnt 0x0
	v_fma_f32 v26, -v27, v78, v26
.LBB6_1079:                             ;   in Loop: Header=BB6_3 Depth=1
	s_or_b32 exec_lo, exec_lo, s64
	s_barrier_signal -1
	s_barrier_wait -1
	s_and_saveexec_b32 s64, s100
	s_cbranch_execz .LBB6_1081
; %bb.1080:                             ;   in Loop: Header=BB6_3 Depth=1
	ds_load_b32 v27, v3
	s_wait_dscnt 0x0
	v_mul_f32_e32 v26, v26, v27
	s_delay_alu instid0(VALU_DEP_1)
	v_xor_b32_e32 v27, 0x80000000, v26
	ds_store_b32 v35, v27
.LBB6_1081:                             ;   in Loop: Header=BB6_3 Depth=1
	s_or_b32 exec_lo, exec_lo, s64
	s_wait_dscnt 0x0
	s_barrier_signal -1
	s_barrier_wait -1
	s_barrier_signal -1
	s_barrier_wait -1
	s_and_saveexec_b32 s64, s2
; %bb.1082:                             ;   in Loop: Header=BB6_3 Depth=1
	ds_store_b32 v41, v26 offset:1792
; %bb.1083:                             ;   in Loop: Header=BB6_3 Depth=1
	s_or_b32 exec_lo, exec_lo, s64
	s_wait_dscnt 0x0
	s_barrier_signal -1
	s_barrier_wait -1
	s_barrier_signal -1
	s_barrier_wait -1
	s_and_saveexec_b32 s64, s101
	s_cbranch_execz .LBB6_1085
; %bb.1084:                             ;   in Loop: Header=BB6_3 Depth=1
	ds_load_b32 v26, v56 offset:1024
	s_wait_dscnt 0x0
	ds_store_b32 v57, v26 offset:16
	ds_load_b32 v26, v56 offset:1028
	s_wait_dscnt 0x0
	ds_store_b32 v57, v26 offset:272
	;; [unrolled: 3-line block ×4, first 2 shown]
.LBB6_1085:                             ;   in Loop: Header=BB6_3 Depth=1
	s_or_b32 exec_lo, exec_lo, s64
	s_wait_dscnt 0x0
	s_barrier_signal -1
	s_barrier_wait -1
	s_and_saveexec_b32 s64, s15
	s_cbranch_execz .LBB6_1087
; %bb.1086:                             ;   in Loop: Header=BB6_3 Depth=1
	ds_load_b64 v[26:27], v3 offset:776
	ds_load_b32 v78, v3 offset:520
	s_wait_dscnt 0x0
	v_mul_f32_e32 v27, v78, v27
	s_delay_alu instid0(VALU_DEP_1)
	v_mul_f32_e32 v26, v26, v27
	ds_store_2addr_b32 v3, v26, v26 offset0:131 offset1:194
.LBB6_1087:                             ;   in Loop: Header=BB6_3 Depth=1
	s_or_b32 exec_lo, exec_lo, s64
	v_mov_b32_e32 v26, 0
	s_wait_dscnt 0x0
	s_barrier_signal -1
	s_barrier_wait -1
	global_wb scope:SCOPE_DEV
	s_wait_storecnt 0x0
	global_inv scope:SCOPE_DEV
	s_and_saveexec_b32 s64, s0
	s_cbranch_execz .LBB6_1091
; %bb.1088:                             ;   in Loop: Header=BB6_3 Depth=1
	ds_load_b32 v26, v31 offset:512
	ds_load_b32 v27, v30 offset:776
	s_wait_dscnt 0x0
	v_fma_f32 v26, v26, v27, 0
	s_and_saveexec_b32 s65, s16
	s_cbranch_execz .LBB6_1090
; %bb.1089:                             ;   in Loop: Header=BB6_3 Depth=1
	ds_load_b32 v27, v57 offset:768
	ds_load_b32 v78, v3 offset:780
	s_wait_dscnt 0x0
	v_fmac_f32_e32 v26, v27, v78
.LBB6_1090:                             ;   in Loop: Header=BB6_3 Depth=1
	s_or_b32 exec_lo, exec_lo, s65
.LBB6_1091:                             ;   in Loop: Header=BB6_3 Depth=1
	s_delay_alu instid0(SALU_CYCLE_1)
	s_or_b32 exec_lo, exec_lo, s64
	s_and_saveexec_b32 s64, s92
	s_cbranch_execz .LBB6_1093
; %bb.1092:                             ;   in Loop: Header=BB6_3 Depth=1
	ds_load_b32 v27, v3 offset:260
	s_wait_dscnt 0x0
	v_mul_f32_e32 v26, v26, v27
	s_delay_alu instid0(VALU_DEP_1)
	v_xor_b32_e32 v27, 0x80000000, v26
	ds_store_b32 v5, v27
.LBB6_1093:                             ;   in Loop: Header=BB6_3 Depth=1
	s_or_b32 exec_lo, exec_lo, s64
	s_wait_loadcnt_dscnt 0x0
	s_barrier_signal -1
	s_barrier_wait -1
	s_and_saveexec_b32 s64, s93
	s_cbranch_execz .LBB6_1095
; %bb.1094:                             ;   in Loop: Header=BB6_3 Depth=1
	ds_load_b32 v27, v3 offset:256
	ds_load_b32 v78, v5
	s_wait_dscnt 0x0
	v_fma_f32 v26, -v27, v78, v26
.LBB6_1095:                             ;   in Loop: Header=BB6_3 Depth=1
	s_or_b32 exec_lo, exec_lo, s64
	s_barrier_signal -1
	s_barrier_wait -1
	s_and_saveexec_b32 s64, s93
	s_cbranch_execz .LBB6_1097
; %bb.1096:                             ;   in Loop: Header=BB6_3 Depth=1
	ds_load_b32 v27, v3
	s_wait_dscnt 0x0
	v_mul_f32_e32 v26, v26, v27
	s_delay_alu instid0(VALU_DEP_1)
	v_xor_b32_e32 v27, 0x80000000, v26
	ds_store_b32 v5, v27
.LBB6_1097:                             ;   in Loop: Header=BB6_3 Depth=1
	s_or_b32 exec_lo, exec_lo, s64
	s_wait_dscnt 0x0
	s_barrier_signal -1
	s_barrier_wait -1
	s_barrier_signal -1
	s_barrier_wait -1
	s_and_saveexec_b32 s64, s0
; %bb.1098:                             ;   in Loop: Header=BB6_3 Depth=1
	ds_store_b32 v33, v26 offset:768
; %bb.1099:                             ;   in Loop: Header=BB6_3 Depth=1
	s_or_b32 exec_lo, exec_lo, s64
	s_wait_dscnt 0x0
	s_barrier_signal -1
	s_barrier_wait -1
	s_barrier_signal -1
	s_barrier_wait -1
	s_and_saveexec_b32 s64, s94
	s_cbranch_execz .LBB6_1101
; %bb.1100:                             ;   in Loop: Header=BB6_3 Depth=1
	ds_load_b32 v26, v58 offset:512
	s_wait_dscnt 0x0
	ds_store_b32 v57, v26 offset:8
	ds_load_b32 v26, v58 offset:516
	s_wait_dscnt 0x0
	ds_store_b32 v57, v26 offset:264
.LBB6_1101:                             ;   in Loop: Header=BB6_3 Depth=1
	s_or_b32 exec_lo, exec_lo, s64
	s_wait_dscnt 0x0
	s_barrier_signal -1
	s_barrier_wait -1
	s_and_saveexec_b32 s64, s15
	s_cbranch_execz .LBB6_1103
; %bb.1102:                             ;   in Loop: Header=BB6_3 Depth=1
	ds_load_b64 v[26:27], v3 offset:256
	ds_load_b32 v78, v3
	s_wait_dscnt 0x0
	v_mul_f32_e32 v27, v78, v27
	s_delay_alu instid0(VALU_DEP_1)
	v_mul_f32_e32 v26, v26, v27
	ds_store_2addr_b32 v3, v26, v26 offset0:1 offset1:64
.LBB6_1103:                             ;   in Loop: Header=BB6_3 Depth=1
	s_or_b32 exec_lo, exec_lo, s64
.LBB6_1104:                             ;   in Loop: Header=BB6_3 Depth=1
	v_readlane_b32 s82, v87, 3
	v_readlane_b32 s83, v87, 4
	s_mul_u64 s[64:65], s[76:77], s[80:81]
	v_mov_b32_e32 v78, 0
	s_lshl_b64 s[64:65], s[64:65], 2
	s_wait_dscnt 0x0
	s_add_nc_u64 s[82:83], s[82:83], s[64:65]
	s_barrier_signal -1
	s_barrier_wait -1
	s_and_saveexec_b32 s64, s73
	s_cbranch_execz .LBB6_1106
; %bb.1105:                             ;   in Loop: Header=BB6_3 Depth=1
	v_lshl_add_u64 v[26:27], v[0:1], 2, s[82:83]
	global_load_b32 v26, v[26:27], off
	s_wait_loadcnt 0x0
	v_mul_f32_e64 v78, v26, -v2
.LBB6_1106:                             ;   in Loop: Header=BB6_3 Depth=1
	s_or_b32 exec_lo, exec_lo, s64
	s_delay_alu instid0(SALU_CYCLE_1)
	s_and_not1_b32 vcc_lo, exec_lo, s70
	s_cbranch_vccnz .LBB6_1132
; %bb.1107:                             ;   in Loop: Header=BB6_3 Depth=1
	v_mov_b32_e32 v79, -1
	s_lshl_b64 s[64:65], s[80:81], 2
	s_mov_b32 s71, 0
	s_add_nc_u64 s[84:85], s[78:79], s[64:65]
	s_branch .LBB6_1110
.LBB6_1108:                             ;   in Loop: Header=BB6_1110 Depth=2
	s_wait_xcnt 0x0
	ds_load_b32 v26, v62 offset:192
	s_wait_loadcnt_dscnt 0x0
	v_fmac_f32_e32 v78, v2, v26
.LBB6_1109:                             ;   in Loop: Header=BB6_1110 Depth=2
	s_or_b32 exec_lo, exec_lo, s64
	s_add_co_i32 s71, s71, 1
	s_delay_alu instid0(SALU_CYCLE_1)
	s_cmp_eq_u32 s71, s88
	s_cbranch_scc1 .LBB6_1132
.LBB6_1110:                             ;   Parent Loop BB6_3 Depth=1
                                        ; =>  This Loop Header: Depth=2
                                        ;       Child Loop BB6_1112 Depth 3
	v_cmp_gt_i32_e32 vcc_lo, s71, v79
	s_and_b32 s65, s59, vcc_lo
	s_delay_alu instid0(SALU_CYCLE_1)
	s_and_saveexec_b32 s64, s65
	s_cbranch_execz .LBB6_1113
; %bb.1111:                             ;   in Loop: Header=BB6_1110 Depth=2
	global_load_b32 v79, v3, s[84:85]
	s_wait_loadcnt 0x0
	v_cmp_le_i32_e32 vcc_lo, s71, v79
	s_cbranch_vccnz .LBB6_1113
.LBB6_1112:                             ;   Parent Loop BB6_3 Depth=1
                                        ;     Parent Loop BB6_1110 Depth=2
                                        ; =>    This Inner Loop Header: Depth=3
	global_wb scope:SCOPE_DEV
	s_wait_storecnt 0x0
	global_inv scope:SCOPE_DEV
	global_load_b32 v79, v3, s[84:85]
	s_wait_loadcnt 0x0
	v_cmp_gt_i32_e32 vcc_lo, s71, v79
	s_cbranch_vccnz .LBB6_1112
.LBB6_1113:                             ;   in Loop: Header=BB6_1110 Depth=2
	s_or_b32 exec_lo, exec_lo, s64
	s_lshl_b32 s65, s71, 6
	global_wb scope:SCOPE_DEV
	s_wait_storecnt 0x0
	global_inv scope:SCOPE_DEV
	s_wait_loadcnt 0x0
	s_barrier_signal -1
	s_barrier_wait -1
	s_and_saveexec_b32 s64, s60
	s_cbranch_execz .LBB6_1117
; %bb.1114:                             ;   in Loop: Header=BB6_1110 Depth=2
	v_dual_mov_b32 v26, 0 :: v_dual_bitop2_b32 v2, s65, v6 bitop3:0x54
	s_mov_b32 s89, exec_lo
	s_delay_alu instid0(VALU_DEP_1)
	v_cmpx_gt_i32_e64 s87, v2
	s_cbranch_execz .LBB6_1116
; %bb.1115:                             ;   in Loop: Header=BB6_1110 Depth=2
	v_mul_u64_e32 v[26:27], s[74:75], v[2:3]
	s_delay_alu instid0(VALU_DEP_1)
	v_lshl_add_u64 v[26:27], v[26:27], 2, s[82:83]
	global_load_b32 v26, v[26:27], off
.LBB6_1116:                             ;   in Loop: Header=BB6_1110 Depth=2
	s_wait_xcnt 0x0
	s_or_b32 exec_lo, exec_lo, s89
	s_wait_loadcnt 0x0
	ds_store_b32 v63, v26
.LBB6_1117:                             ;   in Loop: Header=BB6_1110 Depth=2
	s_or_b32 exec_lo, exec_lo, s64
	v_add_nc_u32_e32 v2, s65, v28
	v_cmp_ne_u32_e32 vcc_lo, s71, v29
	s_wait_dscnt 0x0
	s_barrier_signal -1
	s_barrier_wait -1
	v_cmp_gt_i32_e64 s65, s87, v2
	v_lshl_add_u64 v[26:27], v[2:3], 2, v[24:25]
	v_cndmask_b32_e64 v80, 0, 1, vcc_lo
	s_and_b32 s65, s65, s6
	s_delay_alu instid0(SALU_CYCLE_1)
	s_and_saveexec_b32 s64, s65
	s_cbranch_execz .LBB6_1121
; %bb.1118:                             ;   in Loop: Header=BB6_1110 Depth=2
	v_mov_b32_e32 v81, v74
	s_and_not1_b32 vcc_lo, exec_lo, vcc_lo
	s_cbranch_vccnz .LBB6_1120
; %bb.1119:                             ;   in Loop: Header=BB6_1110 Depth=2
	global_load_b32 v81, v[26:27], off
.LBB6_1120:                             ;   in Loop: Header=BB6_1110 Depth=2
	ds_load_b32 v82, v62
	s_wait_loadcnt_dscnt 0x0
	v_fmac_f32_e32 v78, v81, v82
.LBB6_1121:                             ;   in Loop: Header=BB6_1110 Depth=2
	s_or_b32 exec_lo, exec_lo, s64
	v_add_nc_u32_e32 v81, 16, v2
	s_delay_alu instid0(VALU_DEP_1) | instskip(SKIP_1) | instid1(SALU_CYCLE_1)
	v_cmp_gt_i32_e32 vcc_lo, s87, v81
	s_and_b32 s65, vcc_lo, s6
	s_and_saveexec_b32 s64, s65
	s_cbranch_execz .LBB6_1125
; %bb.1122:                             ;   in Loop: Header=BB6_1110 Depth=2
	v_cmp_ne_u32_e32 vcc_lo, 1, v80
	v_mov_b32_e32 v81, v75
	s_cbranch_vccnz .LBB6_1124
; %bb.1123:                             ;   in Loop: Header=BB6_1110 Depth=2
	global_load_b32 v81, v[26:27], off offset:64
.LBB6_1124:                             ;   in Loop: Header=BB6_1110 Depth=2
	ds_load_b32 v82, v62 offset:64
	s_wait_loadcnt_dscnt 0x0
	v_fmac_f32_e32 v78, v81, v82
.LBB6_1125:                             ;   in Loop: Header=BB6_1110 Depth=2
	s_or_b32 exec_lo, exec_lo, s64
	v_add_nc_u32_e32 v81, 32, v2
	s_delay_alu instid0(VALU_DEP_1) | instskip(SKIP_1) | instid1(SALU_CYCLE_1)
	v_cmp_gt_i32_e32 vcc_lo, s87, v81
	s_and_b32 s65, vcc_lo, s6
	s_and_saveexec_b32 s64, s65
	s_cbranch_execz .LBB6_1129
; %bb.1126:                             ;   in Loop: Header=BB6_1110 Depth=2
	v_cmp_ne_u32_e32 vcc_lo, 1, v80
	v_mov_b32_e32 v81, v76
	s_cbranch_vccnz .LBB6_1128
; %bb.1127:                             ;   in Loop: Header=BB6_1110 Depth=2
	global_load_b32 v81, v[26:27], off offset:128
.LBB6_1128:                             ;   in Loop: Header=BB6_1110 Depth=2
	ds_load_b32 v82, v62 offset:128
	s_wait_loadcnt_dscnt 0x0
	v_fmac_f32_e32 v78, v81, v82
.LBB6_1129:                             ;   in Loop: Header=BB6_1110 Depth=2
	s_or_b32 exec_lo, exec_lo, s64
	v_add_nc_u32_e32 v2, 48, v2
	s_delay_alu instid0(VALU_DEP_1) | instskip(SKIP_1) | instid1(SALU_CYCLE_1)
	v_cmp_gt_i32_e32 vcc_lo, s87, v2
	s_and_b32 s65, vcc_lo, s6
	s_and_saveexec_b32 s64, s65
	s_cbranch_execz .LBB6_1109
; %bb.1130:                             ;   in Loop: Header=BB6_1110 Depth=2
	v_cmp_ne_u32_e32 vcc_lo, 1, v80
	v_mov_b32_e32 v2, v77
	s_cbranch_vccnz .LBB6_1108
; %bb.1131:                             ;   in Loop: Header=BB6_1110 Depth=2
	global_load_b32 v2, v[26:27], off offset:192
	s_branch .LBB6_1108
.LBB6_1132:                             ;   in Loop: Header=BB6_3 Depth=1
	ds_store_b32 v64, v78
	s_wait_dscnt 0x0
	s_barrier_signal -1
	s_barrier_wait -1
	s_and_saveexec_b32 s65, s1
	s_cbranch_execz .LBB6_1134
; %bb.1133:                             ;   in Loop: Header=BB6_3 Depth=1
	ds_load_2addr_stride64_b32 v[24:25], v65 offset0:1 offset1:2
	ds_load_2addr_stride64_b32 v[26:27], v65 offset0:3 offset1:4
	ds_load_2addr_stride64_b32 v[80:81], v65 offset0:5 offset1:6
	ds_load_2addr_stride64_b32 v[82:83], v65 offset0:7 offset1:8
	v_readlane_b32 s64, v85, 4
	s_wait_dscnt 0x3
	v_add_f32_e32 v2, v78, v24
	s_delay_alu instid0(VALU_DEP_1) | instskip(SKIP_3) | instid1(VALU_DEP_1)
	v_add_f32_e32 v2, v2, v25
	ds_load_2addr_stride64_b32 v[24:25], v65 offset0:9 offset1:10
	s_wait_dscnt 0x3
	v_add_f32_e32 v2, v2, v26
	v_add_f32_e32 v2, v2, v27
	ds_load_2addr_stride64_b32 v[26:27], v65 offset0:11 offset1:12
	s_wait_dscnt 0x3
	v_add_f32_e32 v2, v2, v80
	ds_load_2addr_stride64_b32 v[78:79], v65 offset0:13 offset1:14
	ds_load_b32 v80, v65 offset:3840
	v_add_f32_e32 v2, v2, v81
	s_wait_dscnt 0x4
	s_delay_alu instid0(VALU_DEP_1) | instskip(NEXT) | instid1(VALU_DEP_1)
	v_add_f32_e32 v2, v2, v82
	v_add_f32_e32 v2, v2, v83
	s_wait_dscnt 0x3
	s_delay_alu instid0(VALU_DEP_1) | instskip(NEXT) | instid1(VALU_DEP_1)
	v_add_f32_e32 v2, v2, v24
	;; [unrolled: 4-line block ×5, first 2 shown]
	v_cndmask_b32_e64 v78, -v2, 0, s64
.LBB6_1134:                             ;   in Loop: Header=BB6_3 Depth=1
	s_or_b32 exec_lo, exec_lo, s65
	s_delay_alu instid0(SALU_CYCLE_1)
	s_and_not1_b32 vcc_lo, exec_lo, s91
	s_cbranch_vccnz .LBB6_1144
; %bb.1135:                             ;   in Loop: Header=BB6_3 Depth=1
	s_and_saveexec_b32 s64, s1
; %bb.1136:                             ;   in Loop: Header=BB6_3 Depth=1
	ds_store_b32 v67, v78
; %bb.1137:                             ;   in Loop: Header=BB6_3 Depth=1
	s_or_b32 exec_lo, exec_lo, s64
	v_mov_b32_e32 v2, 0
	s_wait_dscnt 0x0
	s_barrier_signal -1
	s_barrier_wait -1
	s_and_saveexec_b32 s64, s7
	s_cbranch_execnz .LBB6_1199
; %bb.1138:                             ;   in Loop: Header=BB6_3 Depth=1
	s_or_b32 exec_lo, exec_lo, s64
	s_and_saveexec_b32 s64, s8
	s_cbranch_execnz .LBB6_1200
.LBB6_1139:                             ;   in Loop: Header=BB6_3 Depth=1
	s_or_b32 exec_lo, exec_lo, s64
	s_and_saveexec_b32 s64, s9
	s_cbranch_execnz .LBB6_1201
.LBB6_1140:                             ;   in Loop: Header=BB6_3 Depth=1
	s_or_b32 exec_lo, exec_lo, s64
	s_and_saveexec_b32 s64, s10
	s_cbranch_execz .LBB6_1142
.LBB6_1141:                             ;   in Loop: Header=BB6_3 Depth=1
	ds_load_b32 v24, v66 offset:12288
	ds_load_b32 v25, v62 offset:192
	s_wait_dscnt 0x0
	v_fmac_f32_e32 v2, v24, v25
.LBB6_1142:                             ;   in Loop: Header=BB6_3 Depth=1
	s_or_b32 exec_lo, exec_lo, s64
	s_mov_b32 s71, 0
	s_mov_b32 s65, 0
	ds_store_b32 v64, v2
	s_wait_dscnt 0x0
	s_barrier_signal -1
	s_barrier_wait -1
                                        ; implicit-def: $vgpr24
	s_and_saveexec_b32 s84, s1
	s_cbranch_execz .LBB6_1202
; %bb.1143:                             ;   in Loop: Header=BB6_3 Depth=1
	ds_load_2addr_stride64_b32 v[24:25], v65 offset0:1 offset1:2
	ds_load_2addr_stride64_b32 v[26:27], v65 offset0:3 offset1:4
	;; [unrolled: 1-line block ×4, first 2 shown]
	s_mov_b32 s65, exec_lo
	s_wait_dscnt 0x3
	v_add_f32_e32 v2, v2, v24
	s_delay_alu instid0(VALU_DEP_1) | instskip(SKIP_3) | instid1(VALU_DEP_1)
	v_add_f32_e32 v2, v25, v2
	ds_load_2addr_stride64_b32 v[24:25], v65 offset0:9 offset1:10
	s_wait_dscnt 0x3
	v_add_f32_e32 v2, v26, v2
	v_add_f32_e32 v2, v27, v2
	ds_load_2addr_stride64_b32 v[26:27], v65 offset0:11 offset1:12
	s_wait_dscnt 0x3
	v_add_f32_e32 v2, v80, v2
	s_delay_alu instid0(VALU_DEP_1) | instskip(SKIP_4) | instid1(VALU_DEP_1)
	v_add_f32_e32 v2, v81, v2
	ds_load_2addr_stride64_b32 v[80:81], v65 offset0:13 offset1:14
	ds_load_b32 v79, v65 offset:3840
	s_wait_dscnt 0x4
	v_add_f32_e32 v2, v82, v2
	v_add_f32_e32 v2, v83, v2
	s_wait_dscnt 0x3
	s_delay_alu instid0(VALU_DEP_1) | instskip(NEXT) | instid1(VALU_DEP_1)
	v_add_f32_e32 v2, v24, v2
	v_add_f32_e32 v2, v25, v2
	s_wait_dscnt 0x2
	s_delay_alu instid0(VALU_DEP_1) | instskip(NEXT) | instid1(VALU_DEP_1)
	;; [unrolled: 4-line block ×3, first 2 shown]
	v_add_f32_e32 v2, v80, v2
	v_add_f32_e32 v2, v81, v2
	s_wait_dscnt 0x0
	s_delay_alu instid0(VALU_DEP_1) | instskip(SKIP_1) | instid1(SALU_CYCLE_1)
	v_add_f32_e32 v24, v79, v2
	s_or_b32 exec_lo, exec_lo, s84
	s_and_b32 vcc_lo, exec_lo, s71
	s_cbranch_vccnz .LBB6_1145
	s_branch .LBB6_1203
.LBB6_1144:                             ;   in Loop: Header=BB6_3 Depth=1
	s_mov_b32 s65, 0
                                        ; implicit-def: $vgpr24
	s_cbranch_execz .LBB6_1203
.LBB6_1145:                             ;   in Loop: Header=BB6_3 Depth=1
	v_dual_mov_b32 v2, v4 :: v_dual_mov_b32 v24, v73
	s_mov_b32 s71, 0
	s_branch .LBB6_1147
.LBB6_1146:                             ;   in Loop: Header=BB6_1147 Depth=2
	s_or_b32 exec_lo, exec_lo, s64
	v_add_nc_u32_e32 v24, 0x400, v24
	v_add_nc_u32_e32 v2, -4, v2
	s_add_co_i32 s71, s71, 4
	s_delay_alu instid0(SALU_CYCLE_1)
	s_cmp_lg_u32 s71, 64
	s_barrier_signal -1
	s_barrier_wait -1
	s_cbranch_scc0 .LBB6_1163
.LBB6_1147:                             ;   Parent Loop BB6_3 Depth=1
                                        ; =>  This Inner Loop Header: Depth=2
	s_delay_alu instid0(VALU_DEP_1) | instskip(SKIP_2) | instid1(SALU_CYCLE_1)
	v_cmp_eq_u32_e32 vcc_lo, 0, v2
	v_add_nc_u32_e32 v25, v58, v32
	s_and_b32 s84, s1, vcc_lo
	s_and_saveexec_b32 s64, s84
	s_cbranch_execz .LBB6_1149
; %bb.1148:                             ;   in Loop: Header=BB6_1147 Depth=2
	ds_load_b32 v26, v25
	s_wait_dscnt 0x0
	v_mul_f32_e32 v78, v78, v26
	ds_store_b32 v3, v78 offset:20736
.LBB6_1149:                             ;   in Loop: Header=BB6_1147 Depth=2
	s_or_b32 exec_lo, exec_lo, s64
	v_cmp_lt_u32_e32 vcc_lo, s71, v4
	s_wait_dscnt 0x0
	s_barrier_signal -1
	s_barrier_wait -1
	s_and_b32 s84, s1, vcc_lo
	s_delay_alu instid0(SALU_CYCLE_1)
	s_and_saveexec_b32 s64, s84
	s_cbranch_execz .LBB6_1151
; %bb.1150:                             ;   in Loop: Header=BB6_1147 Depth=2
	ds_load_b32 v26, v24
	ds_load_b32 v27, v3 offset:20736
	s_wait_dscnt 0x0
	v_fmac_f32_e32 v78, v26, v27
.LBB6_1151:                             ;   in Loop: Header=BB6_1147 Depth=2
	s_or_b32 exec_lo, exec_lo, s64
	s_or_b32 s64, s71, 1
	s_delay_alu instid0(SALU_CYCLE_1) | instskip(SKIP_3) | instid1(SALU_CYCLE_1)
	v_cmp_eq_u32_e32 vcc_lo, s64, v4
	s_barrier_signal -1
	s_barrier_wait -1
	s_and_b32 s85, s1, vcc_lo
	s_and_saveexec_b32 s84, s85
	s_cbranch_execz .LBB6_1153
; %bb.1152:                             ;   in Loop: Header=BB6_1147 Depth=2
	ds_load_b32 v26, v25
	s_wait_dscnt 0x0
	v_mul_f32_e32 v78, v78, v26
	ds_store_b32 v3, v78 offset:20736
.LBB6_1153:                             ;   in Loop: Header=BB6_1147 Depth=2
	s_or_b32 exec_lo, exec_lo, s84
	v_cmp_lt_u32_e32 vcc_lo, s64, v4
	s_wait_dscnt 0x0
	s_barrier_signal -1
	s_barrier_wait -1
	s_and_b32 s84, s1, vcc_lo
	s_delay_alu instid0(SALU_CYCLE_1)
	s_and_saveexec_b32 s64, s84
	s_cbranch_execz .LBB6_1155
; %bb.1154:                             ;   in Loop: Header=BB6_1147 Depth=2
	ds_load_b32 v26, v24 offset:256
	ds_load_b32 v27, v3 offset:20736
	s_wait_dscnt 0x0
	v_fmac_f32_e32 v78, v26, v27
.LBB6_1155:                             ;   in Loop: Header=BB6_1147 Depth=2
	s_or_b32 exec_lo, exec_lo, s64
	s_or_b32 s64, s71, 2
	s_delay_alu instid0(SALU_CYCLE_1) | instskip(SKIP_3) | instid1(SALU_CYCLE_1)
	v_cmp_eq_u32_e32 vcc_lo, s64, v4
	s_barrier_signal -1
	s_barrier_wait -1
	s_and_b32 s85, s1, vcc_lo
	s_and_saveexec_b32 s84, s85
	s_cbranch_execz .LBB6_1157
; %bb.1156:                             ;   in Loop: Header=BB6_1147 Depth=2
	ds_load_b32 v26, v25
	s_wait_dscnt 0x0
	v_mul_f32_e32 v78, v78, v26
	ds_store_b32 v3, v78 offset:20736
.LBB6_1157:                             ;   in Loop: Header=BB6_1147 Depth=2
	s_or_b32 exec_lo, exec_lo, s84
	v_cmp_lt_u32_e32 vcc_lo, s64, v4
	s_wait_dscnt 0x0
	s_barrier_signal -1
	s_barrier_wait -1
	s_and_b32 s84, s1, vcc_lo
	s_delay_alu instid0(SALU_CYCLE_1)
	s_and_saveexec_b32 s64, s84
	s_cbranch_execz .LBB6_1159
; %bb.1158:                             ;   in Loop: Header=BB6_1147 Depth=2
	ds_load_b32 v26, v24 offset:512
	ds_load_b32 v27, v3 offset:20736
	s_wait_dscnt 0x0
	v_fmac_f32_e32 v78, v26, v27
.LBB6_1159:                             ;   in Loop: Header=BB6_1147 Depth=2
	s_or_b32 exec_lo, exec_lo, s64
	s_or_b32 s64, s71, 3
	s_delay_alu instid0(SALU_CYCLE_1) | instskip(SKIP_3) | instid1(SALU_CYCLE_1)
	v_cmp_eq_u32_e32 vcc_lo, s64, v4
	s_barrier_signal -1
	s_barrier_wait -1
	s_and_b32 s85, s1, vcc_lo
	s_and_saveexec_b32 s84, s85
	s_cbranch_execz .LBB6_1161
; %bb.1160:                             ;   in Loop: Header=BB6_1147 Depth=2
	ds_load_b32 v25, v25
	s_wait_dscnt 0x0
	v_mul_f32_e32 v78, v78, v25
	ds_store_b32 v3, v78 offset:20736
.LBB6_1161:                             ;   in Loop: Header=BB6_1147 Depth=2
	s_or_b32 exec_lo, exec_lo, s84
	v_cmp_lt_u32_e32 vcc_lo, s64, v4
	s_wait_dscnt 0x0
	s_barrier_signal -1
	s_barrier_wait -1
	s_and_b32 s84, s1, vcc_lo
	s_delay_alu instid0(SALU_CYCLE_1)
	s_and_saveexec_b32 s64, s84
	s_cbranch_execz .LBB6_1146
; %bb.1162:                             ;   in Loop: Header=BB6_1147 Depth=2
	ds_load_b32 v25, v24 offset:768
	ds_load_b32 v26, v3 offset:20736
	s_wait_dscnt 0x0
	v_fmac_f32_e32 v78, v25, v26
	s_branch .LBB6_1146
.LBB6_1163:                             ;   in Loop: Header=BB6_3 Depth=1
	s_and_b32 vcc_lo, exec_lo, s90
	s_mov_b32 s64, -1
	s_cbranch_vccz .LBB6_1165
; %bb.1164:                             ;   in Loop: Header=BB6_3 Depth=1
	s_and_not1_b32 s65, s65, exec_lo
	s_and_b32 s71, s1, exec_lo
	s_mov_b32 s64, 0
	s_or_b32 s65, s65, s71
.LBB6_1165:                             ;   in Loop: Header=BB6_3 Depth=1
	s_and_not1_b32 vcc_lo, exec_lo, s64
	s_cbranch_vccnz .LBB6_1167
; %bb.1166:                             ;   in Loop: Header=BB6_3 Depth=1
	s_and_not1_b32 s64, s65, exec_lo
	v_readlane_b32 s65, v85, 5
	s_and_b32 s65, s65, exec_lo
	s_delay_alu instid0(SALU_CYCLE_1)
	s_or_b32 s65, s64, s65
.LBB6_1167:                             ;   in Loop: Header=BB6_3 Depth=1
	v_mov_b64_e32 v[24:25], v[14:15]
	s_and_saveexec_b32 s64, s65
	s_cbranch_execnz .LBB6_1204
	s_branch .LBB6_1205
.LBB6_1168:                             ;   in Loop: Header=BB6_3 Depth=1
	s_mov_b32 s64, exec_lo
	v_readlane_b32 s71, v85, 14
	s_and_b32 s71, s64, s71
	s_delay_alu instid0(SALU_CYCLE_1)
	s_xor_b32 s64, s71, s64
	s_mov_b32 exec_lo, s71
	s_cbranch_execz .LBB6_1172
; %bb.1169:                             ;   in Loop: Header=BB6_3 Depth=1
	s_mov_b32 s71, exec_lo
	v_readlane_b32 s84, v84, 24
	s_and_b32 s84, s71, s84
	s_delay_alu instid0(SALU_CYCLE_1)
	s_mov_b32 exec_lo, s84
; %bb.1170:                             ;   in Loop: Header=BB6_3 Depth=1
	ds_store_b32 v68, v3
; %bb.1171:                             ;   in Loop: Header=BB6_3 Depth=1
	s_or_b32 exec_lo, exec_lo, s71
.LBB6_1172:                             ;   in Loop: Header=BB6_3 Depth=1
	s_and_not1_saveexec_b32 s64, s64
	s_cbranch_execz .LBB6_1174
; %bb.1173:                             ;   in Loop: Header=BB6_3 Depth=1
	v_lshl_add_u64 v[26:27], v[16:17], 2, s[82:83]
	global_load_b32 v26, v[26:27], off
	s_wait_loadcnt 0x0
	v_div_scale_f32 v27, null, v26, v26, 1.0
	s_delay_alu instid0(VALU_DEP_1) | instskip(SKIP_1) | instid1(TRANS32_DEP_1)
	v_rcp_f32_e32 v78, v27
	v_nop
	v_fma_f32 v79, -v27, v78, 1.0
	s_delay_alu instid0(VALU_DEP_1) | instskip(SKIP_1) | instid1(VALU_DEP_1)
	v_fmac_f32_e32 v78, v79, v78
	v_div_scale_f32 v79, vcc_lo, 1.0, v26, 1.0
	v_mul_f32_e32 v80, v79, v78
	s_delay_alu instid0(VALU_DEP_1) | instskip(NEXT) | instid1(VALU_DEP_1)
	v_fma_f32 v81, -v27, v80, v79
	v_fmac_f32_e32 v80, v81, v78
	s_delay_alu instid0(VALU_DEP_1) | instskip(NEXT) | instid1(VALU_DEP_1)
	v_fma_f32 v27, -v27, v80, v79
	v_div_fmas_f32 v27, v27, v78, v80
	s_delay_alu instid0(VALU_DEP_1)
	v_div_fixup_f32 v26, v27, v26, 1.0
	ds_store_b32 v68, v26
.LBB6_1174:                             ;   in Loop: Header=BB6_3 Depth=1
	s_or_b32 exec_lo, exec_lo, s64
	s_and_not1_saveexec_b32 s64, s65
	s_cbranch_execz .LBB6_17
.LBB6_1175:                             ;   in Loop: Header=BB6_3 Depth=1
	v_lshl_add_u64 v[26:27], v[16:17], 2, s[82:83]
	global_load_b32 v26, v[26:27], off
	s_wait_loadcnt 0x0
	v_xor_b32_e32 v26, 0x80000000, v26
	ds_store_b32 v68, v26
	s_or_b32 exec_lo, exec_lo, s64
	s_and_saveexec_b32 s64, s8
	s_delay_alu instid0(SALU_CYCLE_1)
	s_xor_b32 s65, exec_lo, s64
	s_cbranch_execz .LBB6_18
.LBB6_1176:                             ;   in Loop: Header=BB6_3 Depth=1
	s_mov_b32 s64, exec_lo
	v_readlane_b32 s71, v85, 16
	s_and_b32 s71, s64, s71
	s_delay_alu instid0(SALU_CYCLE_1)
	s_xor_b32 s64, s71, s64
	s_mov_b32 exec_lo, s71
	s_cbranch_execz .LBB6_1180
; %bb.1177:                             ;   in Loop: Header=BB6_3 Depth=1
	s_mov_b32 s71, exec_lo
	v_readlane_b32 s84, v84, 25
	s_and_b32 s84, s71, s84
	s_delay_alu instid0(SALU_CYCLE_1)
	s_mov_b32 exec_lo, s84
; %bb.1178:                             ;   in Loop: Header=BB6_3 Depth=1
	ds_store_b32 v69, v3
; %bb.1179:                             ;   in Loop: Header=BB6_3 Depth=1
	s_or_b32 exec_lo, exec_lo, s71
.LBB6_1180:                             ;   in Loop: Header=BB6_3 Depth=1
	s_and_not1_saveexec_b32 s64, s64
	s_cbranch_execz .LBB6_1182
; %bb.1181:                             ;   in Loop: Header=BB6_3 Depth=1
	v_lshl_add_u64 v[26:27], v[18:19], 2, s[82:83]
	global_load_b32 v26, v[26:27], off
	s_wait_loadcnt 0x0
	v_div_scale_f32 v27, null, v26, v26, 1.0
	s_delay_alu instid0(VALU_DEP_1) | instskip(SKIP_1) | instid1(TRANS32_DEP_1)
	v_rcp_f32_e32 v78, v27
	v_nop
	v_fma_f32 v79, -v27, v78, 1.0
	s_delay_alu instid0(VALU_DEP_1) | instskip(SKIP_1) | instid1(VALU_DEP_1)
	v_fmac_f32_e32 v78, v79, v78
	v_div_scale_f32 v79, vcc_lo, 1.0, v26, 1.0
	v_mul_f32_e32 v80, v79, v78
	s_delay_alu instid0(VALU_DEP_1) | instskip(NEXT) | instid1(VALU_DEP_1)
	v_fma_f32 v81, -v27, v80, v79
	v_fmac_f32_e32 v80, v81, v78
	s_delay_alu instid0(VALU_DEP_1) | instskip(NEXT) | instid1(VALU_DEP_1)
	v_fma_f32 v27, -v27, v80, v79
	v_div_fmas_f32 v27, v27, v78, v80
	s_delay_alu instid0(VALU_DEP_1)
	v_div_fixup_f32 v26, v27, v26, 1.0
	ds_store_b32 v69, v26
.LBB6_1182:                             ;   in Loop: Header=BB6_3 Depth=1
	s_or_b32 exec_lo, exec_lo, s64
	s_and_not1_saveexec_b32 s64, s65
	s_cbranch_execz .LBB6_19
.LBB6_1183:                             ;   in Loop: Header=BB6_3 Depth=1
	v_lshl_add_u64 v[26:27], v[18:19], 2, s[82:83]
	global_load_b32 v26, v[26:27], off
	s_wait_loadcnt 0x0
	v_xor_b32_e32 v26, 0x80000000, v26
	ds_store_b32 v69, v26
	s_or_b32 exec_lo, exec_lo, s64
	s_and_saveexec_b32 s64, s9
	s_delay_alu instid0(SALU_CYCLE_1)
	s_xor_b32 s65, exec_lo, s64
	s_cbranch_execz .LBB6_20
.LBB6_1184:                             ;   in Loop: Header=BB6_3 Depth=1
	s_mov_b32 s64, exec_lo
	v_readlane_b32 s71, v85, 18
	s_and_b32 s71, s64, s71
	s_delay_alu instid0(SALU_CYCLE_1)
	s_xor_b32 s64, s71, s64
	s_mov_b32 exec_lo, s71
	s_cbranch_execz .LBB6_1188
; %bb.1185:                             ;   in Loop: Header=BB6_3 Depth=1
	s_mov_b32 s71, exec_lo
	v_readlane_b32 s84, v84, 26
	s_and_b32 s84, s71, s84
	s_delay_alu instid0(SALU_CYCLE_1)
	s_mov_b32 exec_lo, s84
; %bb.1186:                             ;   in Loop: Header=BB6_3 Depth=1
	ds_store_b32 v70, v3
; %bb.1187:                             ;   in Loop: Header=BB6_3 Depth=1
	s_or_b32 exec_lo, exec_lo, s71
.LBB6_1188:                             ;   in Loop: Header=BB6_3 Depth=1
	s_and_not1_saveexec_b32 s64, s64
	s_cbranch_execz .LBB6_1190
; %bb.1189:                             ;   in Loop: Header=BB6_3 Depth=1
	v_lshl_add_u64 v[26:27], v[20:21], 2, s[82:83]
	global_load_b32 v26, v[26:27], off
	s_wait_loadcnt 0x0
	v_div_scale_f32 v27, null, v26, v26, 1.0
	s_delay_alu instid0(VALU_DEP_1) | instskip(SKIP_1) | instid1(TRANS32_DEP_1)
	v_rcp_f32_e32 v78, v27
	v_nop
	v_fma_f32 v79, -v27, v78, 1.0
	s_delay_alu instid0(VALU_DEP_1) | instskip(SKIP_1) | instid1(VALU_DEP_1)
	v_fmac_f32_e32 v78, v79, v78
	v_div_scale_f32 v79, vcc_lo, 1.0, v26, 1.0
	v_mul_f32_e32 v80, v79, v78
	s_delay_alu instid0(VALU_DEP_1) | instskip(NEXT) | instid1(VALU_DEP_1)
	v_fma_f32 v81, -v27, v80, v79
	v_fmac_f32_e32 v80, v81, v78
	s_delay_alu instid0(VALU_DEP_1) | instskip(NEXT) | instid1(VALU_DEP_1)
	v_fma_f32 v27, -v27, v80, v79
	v_div_fmas_f32 v27, v27, v78, v80
	s_delay_alu instid0(VALU_DEP_1)
	v_div_fixup_f32 v26, v27, v26, 1.0
	ds_store_b32 v70, v26
.LBB6_1190:                             ;   in Loop: Header=BB6_3 Depth=1
	s_or_b32 exec_lo, exec_lo, s64
	s_and_not1_saveexec_b32 s64, s65
	s_cbranch_execz .LBB6_21
.LBB6_1191:                             ;   in Loop: Header=BB6_3 Depth=1
	v_lshl_add_u64 v[26:27], v[20:21], 2, s[82:83]
	global_load_b32 v26, v[26:27], off
	s_wait_loadcnt 0x0
	v_xor_b32_e32 v26, 0x80000000, v26
	ds_store_b32 v70, v26
	s_or_b32 exec_lo, exec_lo, s64
	s_and_saveexec_b32 s64, s10
	s_delay_alu instid0(SALU_CYCLE_1)
	s_xor_b32 s65, exec_lo, s64
	s_cbranch_execz .LBB6_22
.LBB6_1192:                             ;   in Loop: Header=BB6_3 Depth=1
	s_mov_b32 s64, exec_lo
	v_readlane_b32 s71, v85, 20
	s_and_b32 s71, s64, s71
	s_delay_alu instid0(SALU_CYCLE_1)
	s_xor_b32 s64, s71, s64
	s_mov_b32 exec_lo, s71
	s_cbranch_execz .LBB6_1196
; %bb.1193:                             ;   in Loop: Header=BB6_3 Depth=1
	s_mov_b32 s71, exec_lo
	v_readlane_b32 s84, v84, 27
	s_and_b32 s84, s71, s84
	s_delay_alu instid0(SALU_CYCLE_1)
	s_mov_b32 exec_lo, s84
; %bb.1194:                             ;   in Loop: Header=BB6_3 Depth=1
	ds_store_b32 v71, v3
; %bb.1195:                             ;   in Loop: Header=BB6_3 Depth=1
	s_or_b32 exec_lo, exec_lo, s71
.LBB6_1196:                             ;   in Loop: Header=BB6_3 Depth=1
	s_and_not1_saveexec_b32 s64, s64
	s_cbranch_execz .LBB6_1198
; %bb.1197:                             ;   in Loop: Header=BB6_3 Depth=1
	v_lshl_add_u64 v[26:27], v[22:23], 2, s[82:83]
	global_load_b32 v26, v[26:27], off
	s_wait_loadcnt 0x0
	v_div_scale_f32 v27, null, v26, v26, 1.0
	s_delay_alu instid0(VALU_DEP_1) | instskip(SKIP_1) | instid1(TRANS32_DEP_1)
	v_rcp_f32_e32 v78, v27
	v_nop
	v_fma_f32 v79, -v27, v78, 1.0
	s_delay_alu instid0(VALU_DEP_1) | instskip(SKIP_1) | instid1(VALU_DEP_1)
	v_fmac_f32_e32 v78, v79, v78
	v_div_scale_f32 v79, vcc_lo, 1.0, v26, 1.0
	v_mul_f32_e32 v80, v79, v78
	s_delay_alu instid0(VALU_DEP_1) | instskip(NEXT) | instid1(VALU_DEP_1)
	v_fma_f32 v81, -v27, v80, v79
	v_fmac_f32_e32 v80, v81, v78
	s_delay_alu instid0(VALU_DEP_1) | instskip(NEXT) | instid1(VALU_DEP_1)
	v_fma_f32 v27, -v27, v80, v79
	v_div_fmas_f32 v27, v27, v78, v80
	s_delay_alu instid0(VALU_DEP_1)
	v_div_fixup_f32 v26, v27, v26, 1.0
	ds_store_b32 v71, v26
.LBB6_1198:                             ;   in Loop: Header=BB6_3 Depth=1
	s_or_b32 exec_lo, exec_lo, s64
	s_and_not1_saveexec_b32 s64, s65
	s_cbranch_execnz .LBB6_23
	s_branch .LBB6_24
.LBB6_1199:                             ;   in Loop: Header=BB6_3 Depth=1
	ds_load_b32 v2, v66
	ds_load_b32 v24, v62
	s_wait_dscnt 0x0
	v_fma_f32 v2, v2, v24, 0
	s_or_b32 exec_lo, exec_lo, s64
	s_and_saveexec_b32 s64, s8
	s_cbranch_execz .LBB6_1139
.LBB6_1200:                             ;   in Loop: Header=BB6_3 Depth=1
	ds_load_b32 v24, v66 offset:4096
	ds_load_b32 v25, v62 offset:64
	s_wait_dscnt 0x0
	v_fmac_f32_e32 v2, v24, v25
	s_or_b32 exec_lo, exec_lo, s64
	s_and_saveexec_b32 s64, s9
	s_cbranch_execz .LBB6_1140
.LBB6_1201:                             ;   in Loop: Header=BB6_3 Depth=1
	ds_load_b32 v24, v66 offset:8192
	ds_load_b32 v25, v62 offset:128
	s_wait_dscnt 0x0
	v_fmac_f32_e32 v2, v24, v25
	s_or_b32 exec_lo, exec_lo, s64
	s_and_saveexec_b32 s64, s10
	s_cbranch_execnz .LBB6_1141
	s_branch .LBB6_1142
.LBB6_1202:                             ;   in Loop: Header=BB6_3 Depth=1
	s_or_b32 exec_lo, exec_lo, s84
	s_delay_alu instid0(SALU_CYCLE_1)
	s_and_b32 vcc_lo, exec_lo, s71
	s_cbranch_vccnz .LBB6_1145
.LBB6_1203:                             ;   in Loop: Header=BB6_3 Depth=1
	v_mov_b32_e32 v78, v24
	v_mov_b64_e32 v[24:25], v[12:13]
	s_and_saveexec_b32 s64, s65
	s_cbranch_execz .LBB6_1205
.LBB6_1204:                             ;   in Loop: Header=BB6_3 Depth=1
	s_delay_alu instid0(VALU_DEP_1)
	v_lshl_add_u64 v[24:25], v[24:25], 2, s[82:83]
	global_store_b32 v[24:25], v78, off
.LBB6_1205:                             ;   in Loop: Header=BB6_3 Depth=1
	s_wait_xcnt 0x0
	s_or_b32 exec_lo, exec_lo, s64
	global_wb scope:SCOPE_DEV
	s_wait_storecnt 0x0
	global_inv scope:SCOPE_DEV
	s_wait_loadcnt 0x0
	s_barrier_signal -1
	s_barrier_wait -1
	s_and_saveexec_b32 s64, s59
	s_cbranch_execz .LBB6_2
; %bb.1206:                             ;   in Loop: Header=BB6_3 Depth=1
	s_lshl_b64 s[82:83], s[80:81], 2
	s_delay_alu instid0(SALU_CYCLE_1)
	s_add_nc_u64 s[82:83], s[78:79], s[82:83]
	global_load_b32 v2, v3, s[82:83]
	s_wait_loadcnt 0x0
	v_add_nc_u32_e32 v2, 1, v2
	global_store_b32 v3, v2, s[82:83]
	s_branch .LBB6_2
.LBB6_1207:                             ;   in Loop: Header=BB6_3 Depth=1
	ds_load_b32 v27, v37 offset:15840
	ds_load_b32 v78, v36 offset:16372
	s_wait_dscnt 0x0
	v_fmac_f32_e32 v26, v27, v78
	s_or_b32 exec_lo, exec_lo, s64
	s_and_saveexec_b32 s64, s18
	s_cbranch_execz .LBB6_88
.LBB6_1208:                             ;   in Loop: Header=BB6_3 Depth=1
	ds_load_b32 v27, v37 offset:16096
	ds_load_b32 v78, v36 offset:16376
	s_wait_dscnt 0x0
	v_fmac_f32_e32 v26, v27, v78
	s_or_b32 exec_lo, exec_lo, s64
	s_and_saveexec_b32 s64, s0
	s_cbranch_execnz .LBB6_89
	s_branch .LBB6_90
.LBB6_1209:                             ;   in Loop: Header=BB6_3 Depth=1
	ds_load_b32 v27, v45 offset:14784
	ds_load_b32 v78, v44 offset:16356
	s_wait_dscnt 0x0
	v_fmac_f32_e32 v26, v27, v78
	s_or_b32 exec_lo, exec_lo, s64
	s_and_saveexec_b32 s64, s20
	s_cbranch_execz .LBB6_130
.LBB6_1210:                             ;   in Loop: Header=BB6_3 Depth=1
	ds_load_b32 v27, v45 offset:15040
	ds_load_b32 v78, v44 offset:16360
	s_wait_dscnt 0x0
	v_fmac_f32_e32 v26, v27, v78
	s_or_b32 exec_lo, exec_lo, s64
	s_and_saveexec_b32 s64, s21
	s_cbranch_execz .LBB6_131
.LBB6_1211:                             ;   in Loop: Header=BB6_3 Depth=1
	ds_load_b32 v27, v45 offset:15296
	ds_load_b32 v78, v44 offset:16364
	s_wait_dscnt 0x0
	v_fmac_f32_e32 v26, v27, v78
	s_or_b32 exec_lo, exec_lo, s64
	s_and_saveexec_b32 s64, s22
	s_cbranch_execz .LBB6_132
.LBB6_1212:                             ;   in Loop: Header=BB6_3 Depth=1
	ds_load_b32 v27, v45 offset:15552
	ds_load_b32 v78, v44 offset:16368
	s_wait_dscnt 0x0
	v_fmac_f32_e32 v26, v27, v78
	s_or_b32 exec_lo, exec_lo, s64
	s_and_saveexec_b32 s64, s23
	s_cbranch_execz .LBB6_133
.LBB6_1213:                             ;   in Loop: Header=BB6_3 Depth=1
	ds_load_b32 v27, v45 offset:15808
	ds_load_b32 v78, v44 offset:16372
	s_wait_dscnt 0x0
	v_fmac_f32_e32 v26, v27, v78
	s_or_b32 exec_lo, exec_lo, s64
	s_and_saveexec_b32 s64, s2
	s_cbranch_execz .LBB6_134
.LBB6_1214:                             ;   in Loop: Header=BB6_3 Depth=1
	ds_load_b32 v27, v45 offset:16064
	ds_load_b32 v78, v44 offset:16376
	s_wait_dscnt 0x0
	v_fmac_f32_e32 v26, v27, v78
	s_or_b32 exec_lo, exec_lo, s64
	s_and_saveexec_b32 s64, s18
	s_cbranch_execnz .LBB6_135
	s_branch .LBB6_136
.LBB6_1215:                             ;   in Loop: Header=BB6_3 Depth=1
	ds_load_b32 v27, v37 offset:13760
	ds_load_b32 v78, v36 offset:14292
	s_wait_dscnt 0x0
	v_fmac_f32_e32 v26, v27, v78
	s_or_b32 exec_lo, exec_lo, s64
	s_and_saveexec_b32 s64, s18
	s_cbranch_execz .LBB6_192
.LBB6_1216:                             ;   in Loop: Header=BB6_3 Depth=1
	ds_load_b32 v27, v37 offset:14016
	ds_load_b32 v78, v36 offset:14296
	s_wait_dscnt 0x0
	v_fmac_f32_e32 v26, v27, v78
	s_or_b32 exec_lo, exec_lo, s64
	s_and_saveexec_b32 s64, s0
	s_cbranch_execnz .LBB6_193
	s_branch .LBB6_194
.LBB6_1217:                             ;   in Loop: Header=BB6_3 Depth=1
	ds_load_b32 v27, v52 offset:15232
	ds_load_b32 v78, v51 offset:16364
	s_wait_dscnt 0x0
	v_fmac_f32_e32 v26, v27, v78
	s_or_b32 exec_lo, exec_lo, s64
	s_and_saveexec_b32 s64, s3
	s_cbranch_execz .LBB6_254
.LBB6_1218:                             ;   in Loop: Header=BB6_3 Depth=1
	ds_load_b32 v27, v52 offset:15488
	ds_load_b32 v78, v51 offset:16368
	s_wait_dscnt 0x0
	v_fmac_f32_e32 v26, v27, v78
	s_or_b32 exec_lo, exec_lo, s64
	s_and_saveexec_b32 s64, s20
	s_cbranch_execz .LBB6_255
.LBB6_1219:                             ;   in Loop: Header=BB6_3 Depth=1
	ds_load_b32 v27, v52 offset:15744
	ds_load_b32 v78, v51 offset:16372
	s_wait_dscnt 0x0
	v_fmac_f32_e32 v26, v27, v78
	s_or_b32 exec_lo, exec_lo, s64
	s_and_saveexec_b32 s64, s22
	s_cbranch_execz .LBB6_256
.LBB6_1220:                             ;   in Loop: Header=BB6_3 Depth=1
	ds_load_b32 v27, v52 offset:16000
	ds_load_b32 v78, v51 offset:16376
	s_wait_dscnt 0x0
	v_fmac_f32_e32 v26, v27, v78
	s_or_b32 exec_lo, exec_lo, s64
	s_and_saveexec_b32 s64, s2
	s_cbranch_execnz .LBB6_257
	s_branch .LBB6_258
.LBB6_1221:                             ;   in Loop: Header=BB6_3 Depth=1
	ds_load_b32 v27, v37 offset:11680
	ds_load_b32 v78, v36 offset:12212
	s_wait_dscnt 0x0
	v_fmac_f32_e32 v26, v27, v78
	s_or_b32 exec_lo, exec_lo, s64
	s_and_saveexec_b32 s64, s18
	s_cbranch_execz .LBB6_346
.LBB6_1222:                             ;   in Loop: Header=BB6_3 Depth=1
	ds_load_b32 v27, v37 offset:11936
	ds_load_b32 v78, v36 offset:12216
	s_wait_dscnt 0x0
	v_fmac_f32_e32 v26, v27, v78
	s_or_b32 exec_lo, exec_lo, s64
	s_and_saveexec_b32 s64, s0
	s_cbranch_execnz .LBB6_347
	s_branch .LBB6_348
.LBB6_1223:                             ;   in Loop: Header=BB6_3 Depth=1
	ds_load_b32 v27, v45 offset:10624
	ds_load_b32 v78, v44 offset:12196
	s_wait_dscnt 0x0
	v_fmac_f32_e32 v26, v27, v78
	s_or_b32 exec_lo, exec_lo, s64
	s_and_saveexec_b32 s64, s20
	s_cbranch_execz .LBB6_388
.LBB6_1224:                             ;   in Loop: Header=BB6_3 Depth=1
	ds_load_b32 v27, v45 offset:10880
	ds_load_b32 v78, v44 offset:12200
	s_wait_dscnt 0x0
	v_fmac_f32_e32 v26, v27, v78
	s_or_b32 exec_lo, exec_lo, s64
	s_and_saveexec_b32 s64, s21
	s_cbranch_execz .LBB6_389
.LBB6_1225:                             ;   in Loop: Header=BB6_3 Depth=1
	ds_load_b32 v27, v45 offset:11136
	ds_load_b32 v78, v44 offset:12204
	s_wait_dscnt 0x0
	v_fmac_f32_e32 v26, v27, v78
	s_or_b32 exec_lo, exec_lo, s64
	s_and_saveexec_b32 s64, s22
	s_cbranch_execz .LBB6_390
.LBB6_1226:                             ;   in Loop: Header=BB6_3 Depth=1
	ds_load_b32 v27, v45 offset:11392
	ds_load_b32 v78, v44 offset:12208
	s_wait_dscnt 0x0
	v_fmac_f32_e32 v26, v27, v78
	s_or_b32 exec_lo, exec_lo, s64
	s_and_saveexec_b32 s64, s23
	s_cbranch_execz .LBB6_391
.LBB6_1227:                             ;   in Loop: Header=BB6_3 Depth=1
	ds_load_b32 v27, v45 offset:11648
	ds_load_b32 v78, v44 offset:12212
	s_wait_dscnt 0x0
	v_fmac_f32_e32 v26, v27, v78
	s_or_b32 exec_lo, exec_lo, s64
	s_and_saveexec_b32 s64, s2
	s_cbranch_execz .LBB6_392
.LBB6_1228:                             ;   in Loop: Header=BB6_3 Depth=1
	ds_load_b32 v27, v45 offset:11904
	ds_load_b32 v78, v44 offset:12216
	s_wait_dscnt 0x0
	v_fmac_f32_e32 v26, v27, v78
	s_or_b32 exec_lo, exec_lo, s64
	s_and_saveexec_b32 s64, s18
	s_cbranch_execnz .LBB6_393
	s_branch .LBB6_394
.LBB6_1229:                             ;   in Loop: Header=BB6_3 Depth=1
	ds_load_b32 v27, v37 offset:9600
	ds_load_b32 v78, v36 offset:10132
	s_wait_dscnt 0x0
	v_fmac_f32_e32 v26, v27, v78
	s_or_b32 exec_lo, exec_lo, s64
	s_and_saveexec_b32 s64, s18
	s_cbranch_execz .LBB6_450
.LBB6_1230:                             ;   in Loop: Header=BB6_3 Depth=1
	ds_load_b32 v27, v37 offset:9856
	ds_load_b32 v78, v36 offset:10136
	s_wait_dscnt 0x0
	v_fmac_f32_e32 v26, v27, v78
	s_or_b32 exec_lo, exec_lo, s64
	s_and_saveexec_b32 s64, s0
	s_cbranch_execnz .LBB6_451
	s_branch .LBB6_452
.LBB6_1231:                             ;   in Loop: Header=BB6_3 Depth=1
	ds_load_b32 v27, v60 offset:15616
	ds_load_b32 v78, v59 offset:16372
	s_wait_dscnt 0x0
	v_fmac_f32_e32 v26, v27, v78
	s_or_b32 exec_lo, exec_lo, s64
	s_and_saveexec_b32 s64, s3
	s_cbranch_execz .LBB6_548
.LBB6_1232:                             ;   in Loop: Header=BB6_3 Depth=1
	ds_load_b32 v27, v60 offset:15872
	ds_load_b32 v78, v59 offset:16376
	s_wait_dscnt 0x0
	v_fmac_f32_e32 v26, v27, v78
	s_or_b32 exec_lo, exec_lo, s64
	s_and_saveexec_b32 s64, s22
	s_cbranch_execnz .LBB6_549
	s_branch .LBB6_550
.LBB6_1233:                             ;   in Loop: Header=BB6_3 Depth=1
	ds_load_b32 v27, v37 offset:7520
	ds_load_b32 v78, v36 offset:8052
	s_wait_dscnt 0x0
	v_fmac_f32_e32 v26, v27, v78
	s_or_b32 exec_lo, exec_lo, s64
	s_and_saveexec_b32 s64, s18
	s_cbranch_execz .LBB6_702
.LBB6_1234:                             ;   in Loop: Header=BB6_3 Depth=1
	ds_load_b32 v27, v37 offset:7776
	ds_load_b32 v78, v36 offset:8056
	s_wait_dscnt 0x0
	v_fmac_f32_e32 v26, v27, v78
	s_or_b32 exec_lo, exec_lo, s64
	s_and_saveexec_b32 s64, s0
	s_cbranch_execnz .LBB6_703
	s_branch .LBB6_704
.LBB6_1235:                             ;   in Loop: Header=BB6_3 Depth=1
	ds_load_b32 v27, v45 offset:6464
	ds_load_b32 v78, v44 offset:8036
	s_wait_dscnt 0x0
	v_fmac_f32_e32 v26, v27, v78
	s_or_b32 exec_lo, exec_lo, s64
	s_and_saveexec_b32 s64, s20
	s_cbranch_execz .LBB6_744
.LBB6_1236:                             ;   in Loop: Header=BB6_3 Depth=1
	ds_load_b32 v27, v45 offset:6720
	ds_load_b32 v78, v44 offset:8040
	s_wait_dscnt 0x0
	v_fmac_f32_e32 v26, v27, v78
	s_or_b32 exec_lo, exec_lo, s64
	s_and_saveexec_b32 s64, s21
	s_cbranch_execz .LBB6_745
.LBB6_1237:                             ;   in Loop: Header=BB6_3 Depth=1
	ds_load_b32 v27, v45 offset:6976
	ds_load_b32 v78, v44 offset:8044
	s_wait_dscnt 0x0
	v_fmac_f32_e32 v26, v27, v78
	s_or_b32 exec_lo, exec_lo, s64
	s_and_saveexec_b32 s64, s22
	s_cbranch_execz .LBB6_746
.LBB6_1238:                             ;   in Loop: Header=BB6_3 Depth=1
	ds_load_b32 v27, v45 offset:7232
	ds_load_b32 v78, v44 offset:8048
	s_wait_dscnt 0x0
	v_fmac_f32_e32 v26, v27, v78
	s_or_b32 exec_lo, exec_lo, s64
	s_and_saveexec_b32 s64, s23
	s_cbranch_execz .LBB6_747
.LBB6_1239:                             ;   in Loop: Header=BB6_3 Depth=1
	ds_load_b32 v27, v45 offset:7488
	ds_load_b32 v78, v44 offset:8052
	s_wait_dscnt 0x0
	v_fmac_f32_e32 v26, v27, v78
	s_or_b32 exec_lo, exec_lo, s64
	s_and_saveexec_b32 s64, s2
	s_cbranch_execz .LBB6_748
.LBB6_1240:                             ;   in Loop: Header=BB6_3 Depth=1
	ds_load_b32 v27, v45 offset:7744
	ds_load_b32 v78, v44 offset:8056
	s_wait_dscnt 0x0
	v_fmac_f32_e32 v26, v27, v78
	s_or_b32 exec_lo, exec_lo, s64
	s_and_saveexec_b32 s64, s18
	s_cbranch_execnz .LBB6_749
	s_branch .LBB6_750
.LBB6_1241:                             ;   in Loop: Header=BB6_3 Depth=1
	ds_load_b32 v27, v37 offset:5440
	ds_load_b32 v78, v36 offset:5972
	s_wait_dscnt 0x0
	v_fmac_f32_e32 v26, v27, v78
	s_or_b32 exec_lo, exec_lo, s64
	s_and_saveexec_b32 s64, s18
	s_cbranch_execz .LBB6_806
.LBB6_1242:                             ;   in Loop: Header=BB6_3 Depth=1
	ds_load_b32 v27, v37 offset:5696
	ds_load_b32 v78, v36 offset:5976
	s_wait_dscnt 0x0
	v_fmac_f32_e32 v26, v27, v78
	s_or_b32 exec_lo, exec_lo, s64
	s_and_saveexec_b32 s64, s0
	s_cbranch_execnz .LBB6_807
	s_branch .LBB6_808
.LBB6_1243:                             ;   in Loop: Header=BB6_3 Depth=1
	ds_load_b32 v27, v52 offset:6912
	ds_load_b32 v78, v51 offset:8044
	s_wait_dscnt 0x0
	v_fmac_f32_e32 v26, v27, v78
	s_or_b32 exec_lo, exec_lo, s64
	s_and_saveexec_b32 s64, s3
	s_cbranch_execz .LBB6_868
.LBB6_1244:                             ;   in Loop: Header=BB6_3 Depth=1
	ds_load_b32 v27, v52 offset:7168
	ds_load_b32 v78, v51 offset:8048
	s_wait_dscnt 0x0
	v_fmac_f32_e32 v26, v27, v78
	s_or_b32 exec_lo, exec_lo, s64
	s_and_saveexec_b32 s64, s20
	s_cbranch_execz .LBB6_869
.LBB6_1245:                             ;   in Loop: Header=BB6_3 Depth=1
	ds_load_b32 v27, v52 offset:7424
	ds_load_b32 v78, v51 offset:8052
	s_wait_dscnt 0x0
	v_fmac_f32_e32 v26, v27, v78
	s_or_b32 exec_lo, exec_lo, s64
	s_and_saveexec_b32 s64, s22
	s_cbranch_execz .LBB6_870
.LBB6_1246:                             ;   in Loop: Header=BB6_3 Depth=1
	ds_load_b32 v27, v52 offset:7680
	ds_load_b32 v78, v51 offset:8056
	s_wait_dscnt 0x0
	v_fmac_f32_e32 v26, v27, v78
	s_or_b32 exec_lo, exec_lo, s64
	s_and_saveexec_b32 s64, s2
	s_cbranch_execnz .LBB6_871
	s_branch .LBB6_872
.LBB6_1247:                             ;   in Loop: Header=BB6_3 Depth=1
	ds_load_b32 v27, v37 offset:3360
	ds_load_b32 v78, v36 offset:3892
	s_wait_dscnt 0x0
	v_fmac_f32_e32 v26, v27, v78
	s_or_b32 exec_lo, exec_lo, s64
	s_and_saveexec_b32 s64, s18
	s_cbranch_execz .LBB6_960
.LBB6_1248:                             ;   in Loop: Header=BB6_3 Depth=1
	ds_load_b32 v27, v37 offset:3616
	ds_load_b32 v78, v36 offset:3896
	s_wait_dscnt 0x0
	v_fmac_f32_e32 v26, v27, v78
	s_or_b32 exec_lo, exec_lo, s64
	s_and_saveexec_b32 s64, s0
	s_cbranch_execnz .LBB6_961
	s_branch .LBB6_962
.LBB6_1249:                             ;   in Loop: Header=BB6_3 Depth=1
	ds_load_b32 v27, v45 offset:2304
	ds_load_b32 v78, v44 offset:3876
	s_wait_dscnt 0x0
	v_fmac_f32_e32 v26, v27, v78
	s_or_b32 exec_lo, exec_lo, s64
	s_and_saveexec_b32 s64, s20
	s_cbranch_execz .LBB6_1002
.LBB6_1250:                             ;   in Loop: Header=BB6_3 Depth=1
	ds_load_b32 v27, v45 offset:2560
	ds_load_b32 v78, v44 offset:3880
	s_wait_dscnt 0x0
	v_fmac_f32_e32 v26, v27, v78
	s_or_b32 exec_lo, exec_lo, s64
	s_and_saveexec_b32 s64, s21
	s_cbranch_execz .LBB6_1003
.LBB6_1251:                             ;   in Loop: Header=BB6_3 Depth=1
	ds_load_b32 v27, v45 offset:2816
	ds_load_b32 v78, v44 offset:3884
	s_wait_dscnt 0x0
	v_fmac_f32_e32 v26, v27, v78
	s_or_b32 exec_lo, exec_lo, s64
	s_and_saveexec_b32 s64, s22
	s_cbranch_execz .LBB6_1004
.LBB6_1252:                             ;   in Loop: Header=BB6_3 Depth=1
	ds_load_b32 v27, v45 offset:3072
	ds_load_b32 v78, v44 offset:3888
	s_wait_dscnt 0x0
	v_fmac_f32_e32 v26, v27, v78
	s_or_b32 exec_lo, exec_lo, s64
	s_and_saveexec_b32 s64, s23
	s_cbranch_execz .LBB6_1005
.LBB6_1253:                             ;   in Loop: Header=BB6_3 Depth=1
	ds_load_b32 v27, v45 offset:3328
	ds_load_b32 v78, v44 offset:3892
	s_wait_dscnt 0x0
	v_fmac_f32_e32 v26, v27, v78
	s_or_b32 exec_lo, exec_lo, s64
	s_and_saveexec_b32 s64, s2
	s_cbranch_execz .LBB6_1006
.LBB6_1254:                             ;   in Loop: Header=BB6_3 Depth=1
	ds_load_b32 v27, v45 offset:3584
	ds_load_b32 v78, v44 offset:3896
	s_wait_dscnt 0x0
	v_fmac_f32_e32 v26, v27, v78
	s_or_b32 exec_lo, exec_lo, s64
	s_and_saveexec_b32 s64, s18
	s_cbranch_execnz .LBB6_1007
	s_branch .LBB6_1008
.LBB6_1255:                             ;   in Loop: Header=BB6_3 Depth=1
	ds_load_b32 v27, v37 offset:1280
	ds_load_b32 v78, v36 offset:1812
	s_wait_dscnt 0x0
	v_fmac_f32_e32 v26, v27, v78
	s_or_b32 exec_lo, exec_lo, s64
	s_and_saveexec_b32 s64, s18
	s_cbranch_execz .LBB6_1064
.LBB6_1256:                             ;   in Loop: Header=BB6_3 Depth=1
	ds_load_b32 v27, v37 offset:1536
	ds_load_b32 v78, v36 offset:1816
	s_wait_dscnt 0x0
	v_fmac_f32_e32 v26, v27, v78
	s_or_b32 exec_lo, exec_lo, s64
	s_and_saveexec_b32 s64, s0
	s_cbranch_execnz .LBB6_1065
	s_branch .LBB6_1066
.LBB6_1257:
	s_endpgm
	.section	.rodata,"a",@progbits
	.p2align	6, 0x0
	.amdhsa_kernel _ZL19rocblas_trsv_deviceILi64ELi16ELb0ELb1ELb1ELb0EfPKfS1_PfEviT7_lllT6_T8_lllPii
		.amdhsa_group_segment_fixed_size 20740
		.amdhsa_private_segment_fixed_size 0
		.amdhsa_kernarg_size 352
		.amdhsa_user_sgpr_count 2
		.amdhsa_user_sgpr_dispatch_ptr 0
		.amdhsa_user_sgpr_queue_ptr 0
		.amdhsa_user_sgpr_kernarg_segment_ptr 1
		.amdhsa_user_sgpr_dispatch_id 0
		.amdhsa_user_sgpr_kernarg_preload_length 0
		.amdhsa_user_sgpr_kernarg_preload_offset 0
		.amdhsa_user_sgpr_private_segment_size 0
		.amdhsa_wavefront_size32 1
		.amdhsa_uses_dynamic_stack 0
		.amdhsa_enable_private_segment 0
		.amdhsa_system_sgpr_workgroup_id_x 1
		.amdhsa_system_sgpr_workgroup_id_y 0
		.amdhsa_system_sgpr_workgroup_id_z 1
		.amdhsa_system_sgpr_workgroup_info 0
		.amdhsa_system_vgpr_workitem_id 1
		.amdhsa_next_free_vgpr 88
		.amdhsa_next_free_sgpr 105
		.amdhsa_named_barrier_count 0
		.amdhsa_reserve_vcc 1
		.amdhsa_float_round_mode_32 0
		.amdhsa_float_round_mode_16_64 0
		.amdhsa_float_denorm_mode_32 3
		.amdhsa_float_denorm_mode_16_64 3
		.amdhsa_fp16_overflow 0
		.amdhsa_memory_ordered 1
		.amdhsa_forward_progress 1
		.amdhsa_inst_pref_size 255
		.amdhsa_round_robin_scheduling 0
		.amdhsa_exception_fp_ieee_invalid_op 0
		.amdhsa_exception_fp_denorm_src 0
		.amdhsa_exception_fp_ieee_div_zero 0
		.amdhsa_exception_fp_ieee_overflow 0
		.amdhsa_exception_fp_ieee_underflow 0
		.amdhsa_exception_fp_ieee_inexact 0
		.amdhsa_exception_int_div_zero 0
	.end_amdhsa_kernel
	.section	.text._ZL19rocblas_trsv_deviceILi64ELi16ELb0ELb1ELb1ELb0EfPKfS1_PfEviT7_lllT6_T8_lllPii,"axG",@progbits,_ZL19rocblas_trsv_deviceILi64ELi16ELb0ELb1ELb1ELb0EfPKfS1_PfEviT7_lllT6_T8_lllPii,comdat
.Lfunc_end6:
	.size	_ZL19rocblas_trsv_deviceILi64ELi16ELb0ELb1ELb1ELb0EfPKfS1_PfEviT7_lllT6_T8_lllPii, .Lfunc_end6-_ZL19rocblas_trsv_deviceILi64ELi16ELb0ELb1ELb1ELb0EfPKfS1_PfEviT7_lllT6_T8_lllPii
                                        ; -- End function
	.set _ZL19rocblas_trsv_deviceILi64ELi16ELb0ELb1ELb1ELb0EfPKfS1_PfEviT7_lllT6_T8_lllPii.num_vgpr, 88
	.set _ZL19rocblas_trsv_deviceILi64ELi16ELb0ELb1ELb1ELb0EfPKfS1_PfEviT7_lllT6_T8_lllPii.num_agpr, 0
	.set _ZL19rocblas_trsv_deviceILi64ELi16ELb0ELb1ELb1ELb0EfPKfS1_PfEviT7_lllT6_T8_lllPii.numbered_sgpr, 105
	.set _ZL19rocblas_trsv_deviceILi64ELi16ELb0ELb1ELb1ELb0EfPKfS1_PfEviT7_lllT6_T8_lllPii.num_named_barrier, 0
	.set _ZL19rocblas_trsv_deviceILi64ELi16ELb0ELb1ELb1ELb0EfPKfS1_PfEviT7_lllT6_T8_lllPii.private_seg_size, 0
	.set _ZL19rocblas_trsv_deviceILi64ELi16ELb0ELb1ELb1ELb0EfPKfS1_PfEviT7_lllT6_T8_lllPii.uses_vcc, 1
	.set _ZL19rocblas_trsv_deviceILi64ELi16ELb0ELb1ELb1ELb0EfPKfS1_PfEviT7_lllT6_T8_lllPii.uses_flat_scratch, 0
	.set _ZL19rocblas_trsv_deviceILi64ELi16ELb0ELb1ELb1ELb0EfPKfS1_PfEviT7_lllT6_T8_lllPii.has_dyn_sized_stack, 0
	.set _ZL19rocblas_trsv_deviceILi64ELi16ELb0ELb1ELb1ELb0EfPKfS1_PfEviT7_lllT6_T8_lllPii.has_recursion, 0
	.set _ZL19rocblas_trsv_deviceILi64ELi16ELb0ELb1ELb1ELb0EfPKfS1_PfEviT7_lllT6_T8_lllPii.has_indirect_call, 0
	.section	.AMDGPU.csdata,"",@progbits
; Kernel info:
; codeLenInByte = 42580
; TotalNumSgprs: 107
; NumVgprs: 88
; ScratchSize: 0
; MemoryBound: 0
; FloatMode: 240
; IeeeMode: 1
; LDSByteSize: 20740 bytes/workgroup (compile time only)
; SGPRBlocks: 0
; VGPRBlocks: 5
; NumSGPRsForWavesPerEU: 107
; NumVGPRsForWavesPerEU: 88
; NamedBarCnt: 0
; Occupancy: 10
; WaveLimiterHint : 0
; COMPUTE_PGM_RSRC2:SCRATCH_EN: 0
; COMPUTE_PGM_RSRC2:USER_SGPR: 2
; COMPUTE_PGM_RSRC2:TRAP_HANDLER: 0
; COMPUTE_PGM_RSRC2:TGID_X_EN: 1
; COMPUTE_PGM_RSRC2:TGID_Y_EN: 0
; COMPUTE_PGM_RSRC2:TGID_Z_EN: 1
; COMPUTE_PGM_RSRC2:TIDIG_COMP_CNT: 1
	.section	.text._ZL19rocblas_trsv_deviceILi64ELi16ELb1ELb0ELb0ELb1EfPKfS1_PfEviT7_lllT6_T8_lllPii,"axG",@progbits,_ZL19rocblas_trsv_deviceILi64ELi16ELb1ELb0ELb0ELb1EfPKfS1_PfEviT7_lllT6_T8_lllPii,comdat
	.globl	_ZL19rocblas_trsv_deviceILi64ELi16ELb1ELb0ELb0ELb1EfPKfS1_PfEviT7_lllT6_T8_lllPii ; -- Begin function _ZL19rocblas_trsv_deviceILi64ELi16ELb1ELb0ELb0ELb1EfPKfS1_PfEviT7_lllT6_T8_lllPii
	.p2align	8
	.type	_ZL19rocblas_trsv_deviceILi64ELi16ELb1ELb0ELb0ELb1EfPKfS1_PfEviT7_lllT6_T8_lllPii,@function
_ZL19rocblas_trsv_deviceILi64ELi16ELb1ELb0ELb0ELb1EfPKfS1_PfEviT7_lllT6_T8_lllPii: ; @_ZL19rocblas_trsv_deviceILi64ELi16ELb1ELb0ELb0ELb1EfPKfS1_PfEviT7_lllT6_T8_lllPii
; %bb.0:
	s_load_b32 s6, s[0:1], 0x58
	s_bfe_u32 s2, ttmp6, 0x40014
	s_lshr_b32 s3, ttmp7, 16
	s_add_co_i32 s2, s2, 1
	s_bfe_u32 s5, ttmp6, 0x40008
	s_mul_i32 s4, s3, s2
	s_getreg_b32 s2, hwreg(HW_REG_IB_STS2, 6, 4)
	s_add_co_i32 s5, s5, s4
	s_cmp_eq_u32 s2, 0
	s_mov_b32 s85, 0
	s_cselect_b32 s84, s3, s5
                                        ; implicit-def: $vgpr77 : SGPR spill to VGPR lane
	s_wait_kmcnt 0x0
	s_cmp_ge_u32 s84, s6
	v_writelane_b32 v77, s6, 0
	s_cbranch_scc1 .LBB7_1163
; %bb.1:
	s_clause 0x2
	s_load_b512 s[64:79], s[0:1], 0x8
	s_load_b32 s3, s[0:1], 0x6c
	s_load_b32 s97, s[0:1], 0x0
	s_bfe_u32 s5, ttmp6, 0x4000c
	s_and_b32 s4, ttmp6, 15
	s_add_co_i32 s5, s5, 1
	s_load_b128 s[80:83], s[0:1], 0x48
	s_wait_xcnt 0x0
	s_mul_i32 s0, ttmp9, s5
	v_bfe_u32 v4, v0, 10, 10
	s_add_co_i32 s4, s4, s0
	v_and_b32_e32 v6, 0x3ff, v0
	v_dual_lshrrev_b32 v22, 10, v0 :: v_dual_bitop2_b32 v15, 7, v0 bitop3:0x40
	s_delay_alu instid0(VALU_DEP_3) | instskip(SKIP_1) | instid1(VALU_DEP_3)
	v_dual_lshlrev_b32 v11, 6, v4 :: v_dual_add_nc_u32 v32, 16, v4
	v_and_b32_e32 v14, 1, v0
	v_cmp_lt_u32_e64 s6, 2, v15
	s_delay_alu instid0(VALU_DEP_4) | instskip(NEXT) | instid1(VALU_DEP_4)
	v_bitop3_b32 v70, v0, v22, 0x3ff bitop3:0xa8
	v_dual_add_nc_u32 v69, v11, v6 :: v_dual_bitop2_b32 v18, 15, v0 bitop3:0x40
	s_wait_kmcnt 0x0
	s_lshl_b64 s[14:15], s[66:67], 2
	s_lshl_b64 s[10:11], s[76:77], 2
	s_cmp_eq_u32 s2, 0
	s_add_nc_u64 s[0:1], s[68:69], 1
	s_cselect_b32 s98, ttmp9, s4
	s_and_b32 s2, s3, 0xffff
	s_add_co_i32 s3, s97, -1
	s_ashr_i32 s4, s97, 31
	s_ashr_i32 s5, s3, 31
	s_lshr_b32 s4, s4, 26
	s_lshr_b32 s5, s5, 26
	s_add_co_i32 s4, s97, s4
	s_add_co_i32 s3, s3, s5
	s_and_not1_b32 s4, s4, 63
	s_ashr_i32 s3, s3, 6
	s_sub_co_i32 s18, s97, s4
	s_cmp_eq_u32 s3, s98
	v_mad_u32_u24 v8, v4, s2, v6
	s_cselect_b32 s2, -1, 0
	s_cmp_lg_u32 s18, 0
	v_sub_co_u32 v7, s3, s98, 1
	s_cselect_b32 s4, -1, 0
	s_lshl_b32 s16, s98, 6
	s_delay_alu instid0(SALU_CYCLE_1) | instskip(SKIP_2) | instid1(VALU_DEP_2)
	v_dual_mov_b32 v3, 0 :: v_dual_add_nc_u32 v5, s16, v4
	s_ashr_i32 s17, s16, 31
	v_dual_add_nc_u32 v10, s16, v6 :: v_dual_add_nc_u32 v2, s16, v8
	v_dual_mov_b32 v9, v3 :: v_dual_bitop2_b32 v1, 3, v0 bitop3:0x40
	s_delay_alu instid0(VALU_DEP_3) | instskip(SKIP_2) | instid1(VALU_DEP_2)
	v_subrev_nc_u32_e32 v20, 64, v5
	s_xor_b32 s3, s3, -1
	s_and_b32 s19, s4, s2
	v_add_nc_u64_e32 v[16:17], s[16:17], v[8:9]
	v_xor_b32_e32 v9, v11, v6
	v_dual_ashrrev_i32 v21, 31, v20 :: v_dual_bitop2_b32 v11, v11, v6 bitop3:0x40
	v_writelane_b32 v77, s3, 1
	s_xor_b32 s100, s19, -1
	s_delay_alu instid0(VALU_DEP_3)
	v_lshrrev_b16 v9, 1, v9
	s_mul_u64 s[12:13], s[0:1], s[16:17]
	v_cmp_gt_u32_e64 s1, 16, v69
	s_cmp_gt_i32 s98, 4
	v_cmp_eq_u32_e32 vcc_lo, 1, v14
	v_add_nc_u16 v9, v11, v9
	v_ashrrev_i32_e32 v11, 31, v10
	v_cmp_ne_u32_e64 s3, 0, v1
	v_cmp_eq_u32_e64 s4, 1, v1
	s_cselect_b32 s0, -1, 0
	v_cmp_eq_u32_e64 s2, 0, v1
	s_and_b32 s101, s0, s100
	v_cmp_gt_u32_e64 s0, 4, v69
	s_and_b32 vcc_hi, s3, s1
	s_and_b32 s31, s4, s1
	v_cmp_eq_u32_e64 s3, 2, v1
	v_cmp_eq_u32_e64 s4, 3, v1
	s_xor_b32 s5, vcc_lo, -1
	s_and_b32 s103, vcc_lo, s0
	s_and_b32 s104, s2, s1
	v_cmp_lt_u32_e32 vcc_lo, 1, v1
	v_cmp_gt_u32_e64 s2, 64, v69
	s_and_b32 s34, s3, s1
	s_and_b32 s35, s4, s1
	v_cmp_eq_u32_e64 s3, 1, v15
	v_cmp_lt_u32_e64 s4, 1, v15
	s_and_b32 s33, vcc_lo, s1
	v_cmp_ne_u32_e32 vcc_lo, 0, v15
	s_and_b32 s41, s6, s2
	s_and_b32 s38, s3, s2
	;; [unrolled: 1-line block ×3, first 2 shown]
	v_cmp_lt_u32_e64 s3, 3, v15
	v_cmp_eq_u32_e64 s4, 4, v15
	v_cmp_eq_u32_e64 s6, 5, v15
	s_and_b32 s102, s5, s0
	v_cmp_eq_u32_e64 s5, 0, v15
	s_and_b32 s37, vcc_lo, s2
	v_cmp_eq_u32_e32 vcc_lo, 3, v15
	s_and_b32 s43, s3, s2
	s_and_b32 s44, s4, s2
	;; [unrolled: 1-line block ×3, first 2 shown]
	v_cmp_eq_u32_e64 s4, 6, v15
	v_cmp_gt_u32_e64 s3, 0x100, v69
	v_lshlrev_b32_e32 v14, 2, v14
	v_cmp_eq_u32_e64 s6, 0, v18
	s_and_b32 s36, s5, s2
	v_cmp_eq_u32_e64 s5, 2, v15
	s_and_b32 s42, vcc_lo, s2
	v_cmp_lt_u32_e32 vcc_lo, 5, v15
	v_cmp_ne_u32_e64 s7, 0, v18
	s_and_b32 s48, s4, s2
	s_and_b32 s4, s6, s3
	;; [unrolled: 1-line block ×3, first 2 shown]
	v_writelane_b32 v77, s4, 2
	v_cmp_lt_u32_e64 s5, 4, v15
	s_and_b32 s47, vcc_lo, s2
	s_and_b32 s4, s7, s3
	v_cmp_eq_u32_e32 vcc_lo, 1, v18
	v_writelane_b32 v77, s4, 3
	s_and_b32 s45, s5, s2
	v_cmp_eq_u32_e64 s5, 7, v15
	v_cmp_lt_u32_e64 s4, 1, v18
	s_and_b32 s8, vcc_lo, s3
	v_cmp_lt_u32_e64 s6, 2, v18
	v_writelane_b32 v77, s8, 4
	s_and_b32 s49, s5, s2
	v_cmp_eq_u32_e64 s5, 2, v18
	s_and_b32 s4, s4, s3
	v_cmp_eq_u32_e64 s7, 3, v18
	v_writelane_b32 v77, s4, 5
	v_cmp_lt_u32_e32 vcc_lo, 3, v18
	s_and_b32 s4, s5, s3
	v_cmp_lt_u32_e64 s5, 4, v18
	s_and_b32 s22, s7, s3
	v_writelane_b32 v77, s4, 6
	s_and_b32 s4, s6, s3
	v_cmp_lt_u32_e64 s7, 5, v18
	s_and_b32 s24, vcc_lo, s3
	v_cmp_eq_u32_e32 vcc_lo, 6, v18
	v_writelane_b32 v77, s4, 7
	v_cmp_eq_u32_e64 s4, 4, v18
	s_and_b32 s57, s7, s3
	v_cmp_eq_u32_e64 s7, 8, v18
	v_cmp_eq_u32_e64 s6, 5, v18
	s_and_b32 s28, s5, s3
	s_and_b32 s26, s4, s3
	v_cmp_lt_u32_e64 s4, 6, v18
	s_and_b32 s62, s7, s3
	v_cmp_lt_u32_e64 s7, 10, v18
	v_cmp_eq_u32_e64 s5, 7, v18
	s_and_b32 s58, vcc_lo, s3
	s_and_b32 s59, s4, s3
	v_cmp_eq_u32_e64 s4, 9, v18
	v_cmp_lt_u32_e32 vcc_lo, 8, v18
	s_and_b32 s25, s7, s3
	v_cmp_eq_u32_e64 s7, 13, v18
	v_dual_lshrrev_b32 v0, 2, v69 :: v_dual_bitop2_b32 v19, 31, v0 bitop3:0x40
	s_and_b32 s9, s4, s3
	v_cmp_lt_u32_e64 s4, 11, v18
	s_and_b32 s30, s6, s3
	v_cmp_lt_u32_e64 s6, 7, v18
	;; [unrolled: 2-line block ×3, first 2 shown]
	s_and_b32 s63, vcc_lo, s3
	v_cmp_eq_u32_e32 vcc_lo, 11, v18
	s_and_b32 s29, s4, s3
	s_and_b32 s50, s7, s3
	v_cmp_gt_u32_e64 s4, 0x400, v69
	v_cmp_eq_u32_e64 s7, 0, v19
	s_and_b32 s61, s6, s3
	v_cmp_eq_u32_e64 s6, 10, v18
	s_and_b32 s21, s5, s3
	v_cmp_eq_u32_e64 s5, 12, v18
	s_and_b32 s27, vcc_lo, s3
	v_cmp_lt_u32_e32 vcc_lo, 13, v18
	v_cmp_ne_u32_e64 s8, 0, v19
	s_and_b32 s7, s7, s4
	s_and_b32 s23, s6, s3
	v_writelane_b32 v77, s7, 8
	v_cmp_lt_u32_e64 s6, 12, v18
	s_and_b32 s96, s5, s3
	v_cmp_eq_u32_e64 s5, 14, v18
	s_and_b32 s51, vcc_lo, s3
	v_cmp_eq_u32_e32 vcc_lo, 1, v19
	s_and_b32 s7, s8, s4
	s_and_b32 s99, s6, s3
	v_writelane_b32 v77, s7, 9
	v_cmp_eq_u32_e64 s6, 15, v18
	s_and_b32 s52, s5, s3
	v_cmp_lt_u32_e64 s5, 1, v19
	s_and_b32 s7, vcc_lo, s4
	v_cmp_lt_u32_e32 vcc_lo, 2, v19
	v_writelane_b32 v77, s7, 10
	s_and_b32 s53, s6, s3
	v_cmp_eq_u32_e64 s6, 2, v19
	s_and_b32 s5, s5, s4
	s_and_b32 s16, vcc_lo, s4
	v_writelane_b32 v77, s5, 11
	v_cmp_eq_u32_e64 s7, 4, v19
	s_and_b32 s5, s6, s4
	v_cmp_lt_u32_e64 s6, 3, v19
	v_cmp_lt_u32_e64 s8, 4, v19
	v_writelane_b32 v77, s5, 12
	v_cmp_eq_u32_e64 s5, 3, v19
	v_cmp_eq_u32_e32 vcc_lo, 5, v19
                                        ; implicit-def: $vgpr76 : SGPR spill to VGPR lane
                                        ; implicit-def: $vgpr75 : SGPR spill to VGPR lane
	v_dual_add_nc_u32 v30, 32, v4 :: v_dual_add_nc_u32 v28, 48, v4
	v_writelane_b32 v77, s16, 13
	s_and_b32 s5, s5, s4
	v_mul_u64_e32 v[12:13], s[68:69], v[20:21]
	v_and_b32_e32 v21, 0xffff, v9
	v_mul_u32_u24_e32 v36, 0x104, v0
	v_writelane_b32 v77, s5, 14
	s_and_b32 s5, s6, s4
	v_lshlrev_b32_e32 v38, 2, v6
	v_lshl_add_u32 v9, v21, 2, 0x4000
	v_lshl_or_b32 v34, v21, 8, v14
	v_writelane_b32 v77, s5, 15
	s_and_b32 s5, s7, s4
	v_mul_u32_u24_e32 v35, 0x104, v21
	v_and_b32_e32 v14, 0x1fffc, v69
	v_lshrrev_b32_e32 v21, 3, v69
	v_writelane_b32 v77, s5, 16
	s_and_b32 s5, s8, s4
	s_delay_alu instid0(VALU_DEP_3)
	v_dual_lshlrev_b32 v37, 2, v1 :: v_dual_sub_nc_u32 v1, v36, v14
	v_dual_mov_b32 v64, 1.0 :: v_dual_add_nc_u32 v39, 0x4000, v14
	v_writelane_b32 v77, s5, 17
	s_and_b32 s5, vcc_lo, s4
	v_cmp_lt_u32_e32 vcc_lo, 5, v19
	v_dual_lshlrev_b32 v14, 2, v21 :: v_dual_lshlrev_b32 v44, 2, v15
	v_writelane_b32 v77, s5, 18
	v_lshl_or_b32 v40, v0, 8, v37
	s_and_b32 s5, vcc_lo, s4
	v_cmp_eq_u32_e32 vcc_lo, 6, v19
	v_mul_u32_u24_e32 v41, 0x104, v21
	v_writelane_b32 v77, s5, 19
	v_lshrrev_b32_e32 v0, 4, v69
	v_add_nc_u32_e32 v42, v1, v37
	s_and_b32 s5, vcc_lo, s4
	v_cmp_lt_u32_e32 vcc_lo, 6, v19
	v_writelane_b32 v77, s5, 20
	v_add_nc_u32_e32 v43, 0x4000, v14
	v_dual_sub_nc_u32 v1, v41, v14 :: v_dual_lshlrev_b32 v14, 2, v0
	s_and_b32 s5, vcc_lo, s4
	v_cmp_eq_u32_e32 vcc_lo, 7, v19
	v_writelane_b32 v77, s5, 21
	v_mul_u32_u24_e32 v45, 0x104, v0
	v_dual_lshrrev_b32 v15, 5, v69 :: v_dual_add_nc_u32 v47, v1, v44
	s_and_b32 s5, vcc_lo, s4
	v_cmp_lt_u32_e32 vcc_lo, 7, v19
	v_writelane_b32 v77, s5, 22
	s_delay_alu instid0(VALU_DEP_3)
	v_dual_lshlrev_b32 v48, 2, v18 :: v_dual_lshlrev_b32 v49, 2, v15
	v_dual_sub_nc_u32 v1, v45, v14 :: v_dual_lshlrev_b32 v50, 8, v15
	s_and_b32 s5, vcc_lo, s4
	v_cmp_eq_u32_e32 vcc_lo, 8, v19
	v_writelane_b32 v77, s5, 23
	v_add_nc_u32_e32 v52, 0x4000, v14
	v_mul_u64_e32 v[14:15], s[78:79], v[2:3]
	v_subrev_nc_u32_e32 v2, 48, v5
	s_and_b32 s5, vcc_lo, s4
	v_cmp_lt_u32_e32 vcc_lo, 8, v19
	v_writelane_b32 v77, s5, 24
	s_add_nc_u64 s[74:75], s[74:75], s[10:11]
	v_subrev_nc_u32_e32 v18, 32, v5
                                        ; implicit-def: $vgpr74 : SGPR spill to VGPR lane
	v_dual_mov_b32 v33, v3 :: v_dual_add_nc_u32 v60, 0x4000, v38
	s_and_b32 s5, vcc_lo, s4
	v_cmp_eq_u32_e32 vcc_lo, 9, v19
	v_writelane_b32 v77, s5, 25
	v_lshl_or_b32 v46, v21, 8, v44
	v_dual_lshlrev_b32 v51, 2, v19 :: v_dual_add_nc_u32 v54, v1, v48
	s_and_b32 s5, vcc_lo, s4
	v_cmp_lt_u32_e32 vcc_lo, 9, v19
	v_writelane_b32 v77, s5, 26
	v_lshl_or_b32 v53, v0, 8, v48
	v_mul_u64_e32 v[0:1], s[78:79], v[10:11]
	v_mul_u64_e32 v[16:17], s[78:79], v[16:17]
	s_and_b32 s5, vcc_lo, s4
	v_cmp_eq_u32_e32 vcc_lo, 10, v19
	v_writelane_b32 v77, s5, 27
	v_dual_lshlrev_b32 v26, 2, v6 :: v_dual_bitop2_b32 v71, v30, v6 bitop3:0x54
	v_lshl_add_u32 v57, v4, 2, 0x5000
	s_and_b32 s5, vcc_lo, s4
	v_cmp_lt_u32_e32 vcc_lo, 10, v19
	v_writelane_b32 v77, s5, 28
	s_add_nc_u64 s[66:67], s[64:65], s[14:15]
	v_add_nc_u32_e32 v55, 0x4000, v49
	v_dual_add_nc_u32 v62, v57, v38 :: v_dual_bitop2_b32 v56, v50, v51 bitop3:0x54
	s_and_b32 s5, vcc_lo, s4
	v_cmp_eq_u32_e32 vcc_lo, 11, v19
	v_writelane_b32 v77, s5, 29
	v_lshl_add_u32 v58, v8, 2, 0x5000
	v_lshl_add_u32 v59, v69, 2, 0x4000
	;; [unrolled: 1-line block ×3, first 2 shown]
	s_and_b32 s5, vcc_lo, s4
	v_cmp_lt_u32_e32 vcc_lo, 11, v19
	v_writelane_b32 v77, s5, 30
	v_lshl_add_u32 v63, v28, 8, v38
	v_cmp_eq_u32_e64 s11, 0, v70
	v_cmp_gt_u32_e64 s14, 8, v69
	s_and_b32 s5, vcc_lo, s4
	v_cmp_eq_u32_e32 vcc_lo, 12, v19
	v_writelane_b32 v77, s5, 31
	v_cmp_gt_u32_e64 s15, 56, v69
	v_cmp_eq_u32_e64 s55, 0, v8
	v_cmp_gt_u32_e64 s56, 64, v8
	s_and_b32 s5, vcc_lo, s4
	v_cmp_lt_u32_e32 vcc_lo, 12, v19
	v_writelane_b32 v76, s5, 0
	s_mul_u64 s[90:91], s[68:69], 0xc0
                                        ; implicit-def: $vgpr65
                                        ; implicit-def: $vgpr66
                                        ; implicit-def: $vgpr67
                                        ; implicit-def: $vgpr68
	v_dual_mov_b32 v31, v3 :: v_dual_mov_b32 v27, v3
	s_and_b32 s5, vcc_lo, s4
	v_cmp_eq_u32_e32 vcc_lo, 13, v19
	v_writelane_b32 v76, s5, 1
	s_delay_alu instid0(VALU_DEP_3) | instskip(SKIP_4) | instid1(VALU_DEP_3)
	v_mul_u64_e32 v[22:23], s[68:69], v[30:31]
	v_dual_mov_b32 v29, v3 :: v_dual_bitop2_b32 v31, v28, v6 bitop3:0x54
	s_and_b32 s5, vcc_lo, s4
	v_cmp_lt_u32_e32 vcc_lo, 13, v19
	v_writelane_b32 v76, s5, 2
	v_mul_u64_e32 v[24:25], s[68:69], v[28:29]
	s_and_b32 s5, vcc_lo, s4
	v_cmp_eq_u32_e32 vcc_lo, 14, v19
	v_writelane_b32 v76, s5, 3
	s_and_b32 s5, vcc_lo, s4
	v_cmp_lt_u32_e32 vcc_lo, 14, v19
	v_writelane_b32 v76, s5, 4
	s_and_b32 s5, vcc_lo, s4
	v_cmp_eq_u32_e32 vcc_lo, 15, v19
	v_writelane_b32 v76, s5, 5
	s_and_b32 s5, vcc_lo, s4
	v_cmp_lt_u32_e32 vcc_lo, 15, v19
	v_writelane_b32 v76, s5, 6
	;; [unrolled: 6-line block ×16, first 2 shown]
	s_and_b32 s5, vcc_lo, s4
	v_cmp_eq_u32_e32 vcc_lo, 30, v19
	v_writelane_b32 v75, s5, 3
	s_and_b32 s5, vcc_lo, s4
	v_cmp_eq_u32_e32 vcc_lo, 31, v19
	v_writelane_b32 v75, s5, 4
	v_cmp_eq_u32_e64 s5, 0, v4
	s_and_b32 s8, vcc_lo, s4
	v_cmp_le_i32_e32 vcc_lo, s18, v6
	s_and_b32 s6, vcc_lo, s19
	s_delay_alu instid0(SALU_CYCLE_1) | instskip(SKIP_1) | instid1(SALU_CYCLE_1)
	v_writelane_b32 v75, s6, 5
	s_xor_b32 s6, s6, -1
	s_and_b32 s7, s5, s6
	v_cmp_le_i32_e64 s6, s18, v4
	s_cmp_gt_i32 s98, 0
	s_cselect_b32 s54, -1, 0
	s_lshl_b64 s[76:77], s[12:13], 2
	s_or_b32 s16, s6, vcc_lo
	v_cmp_le_i32_e64 s6, s18, v32
	v_cmp_gt_u32_e64 s12, 2, v69
	v_cmp_gt_u32_e64 s13, 12, v69
	s_lshl_b64 s[86:87], s[68:69], 6
	s_lshl_b64 s[88:89], s[68:69], 7
	s_or_b32 s17, s6, vcc_lo
	v_cmp_le_i32_e64 s6, s18, v30
	s_or_b32 s19, s6, vcc_lo
	v_cmp_le_i32_e64 s6, s18, v28
	s_or_b32 s20, s6, vcc_lo
	v_cmp_gt_i32_e32 vcc_lo, s18, v6
	v_cmp_gt_u32_e64 s18, 32, v69
	s_and_b32 s6, s5, vcc_lo
	v_cmp_gt_i32_e32 vcc_lo, s97, v20
	v_writelane_b32 v75, s6, 6
	v_cmp_gt_i32_e64 s6, s97, v10
	v_mul_u64_e32 v[20:21], s[68:69], v[32:33]
	v_lshl_add_u32 v33, v30, 8, v38
	s_and_b32 s10, s6, vcc_lo
	v_cmp_gt_i32_e32 vcc_lo, s97, v2
	v_writelane_b32 v75, s10, 7
	v_dual_mov_b32 v5, v3 :: v_dual_add_nc_u32 v2, -16, v5
	s_and_b32 s10, s6, vcc_lo
	v_cmp_gt_i32_e32 vcc_lo, s97, v18
	v_writelane_b32 v75, s10, 8
	s_delay_alu instid0(VALU_DEP_3)
	v_mul_u64_e32 v[18:19], s[68:69], v[4:5]
	v_lshl_add_u32 v5, v32, 8, v38
	s_and_b32 s10, s6, vcc_lo
	v_cmp_gt_i32_e32 vcc_lo, s97, v2
	v_writelane_b32 v75, s10, 9
	v_or_b32_e32 v2, v32, v6
	s_and_b32 s10, s6, vcc_lo
	s_delay_alu instid0(SALU_CYCLE_1) | instskip(SKIP_1) | instid1(VALU_DEP_1)
	v_writelane_b32 v75, s10, 10
	v_cmp_le_u32_e64 s10, v6, v4
	v_writelane_b32 v75, s10, 11
	s_or_b32 s10, s16, s10
	v_cmp_gt_u32_e64 s16, 48, v69
	v_writelane_b32 v75, s10, 12
	v_cmp_le_u32_e64 s10, v6, v32
	s_delay_alu instid0(VALU_DEP_1) | instskip(SKIP_4) | instid1(VALU_DEP_1)
	v_writelane_b32 v75, s10, 13
	s_or_b32 s10, s17, s10
	v_cmp_gt_u32_e64 s17, 40, v69
	v_writelane_b32 v75, s10, 14
	v_cmp_le_u32_e64 s10, v6, v30
	v_writelane_b32 v75, s10, 15
	s_or_b32 s10, s19, s10
	v_cmp_gt_u32_e64 s19, 24, v69
	v_writelane_b32 v75, s10, 16
	v_cmp_le_u32_e64 s10, v6, v28
	s_delay_alu instid0(VALU_DEP_1) | instskip(SKIP_1) | instid1(SALU_CYCLE_1)
	v_writelane_b32 v75, s10, 17
	s_or_b32 s10, s20, s10
	v_writelane_b32 v75, s10, 18
	v_cmp_gt_u32_e64 s10, 0xf0, v69
	s_delay_alu instid0(VALU_DEP_1) | instskip(SKIP_1) | instid1(VALU_DEP_1)
	v_writelane_b32 v75, s10, 19
	v_cmp_gt_u32_e64 s10, 0xe0, v69
	v_writelane_b32 v75, s10, 20
	v_cmp_gt_u32_e64 s10, 0xd0, v69
	s_delay_alu instid0(VALU_DEP_1) | instskip(SKIP_1) | instid1(VALU_DEP_1)
	v_writelane_b32 v75, s10, 21
	v_cmp_gt_u32_e64 s10, 0xc0, v69
	;; [unrolled: 5-line block ×17, first 2 shown]
	v_writelane_b32 v74, s10, 20
	v_cmp_ge_u32_e64 s10, v6, v4
	s_delay_alu instid0(VALU_DEP_1) | instskip(SKIP_1) | instid1(VALU_DEP_1)
	v_writelane_b32 v74, s10, 21
	v_cmp_ge_u32_e64 s10, v6, v32
	v_writelane_b32 v74, s10, 22
	v_cmp_ge_u32_e64 s10, v6, v30
	s_delay_alu instid0(VALU_DEP_1) | instskip(SKIP_1) | instid1(VALU_DEP_1)
	v_writelane_b32 v74, s10, 23
	v_cmp_ge_u32_e64 s10, v6, v28
	v_writelane_b32 v74, s10, 24
	v_cmp_gt_u32_e64 s10, 64, v70
	s_delay_alu instid0(VALU_DEP_1) | instskip(SKIP_1) | instid1(VALU_DEP_1)
	v_writelane_b32 v74, s10, 25
	v_cmp_gt_u32_e64 s10, 64, v2
	v_writelane_b32 v74, s10, 26
	v_cmp_gt_u32_e64 s10, 64, v71
	s_delay_alu instid0(VALU_DEP_1) | instskip(SKIP_1) | instid1(VALU_DEP_1)
	v_writelane_b32 v74, s10, 27
	v_cmp_gt_u32_e64 s10, 64, v31
	v_writelane_b32 v74, s10, 28
	s_branch .LBB7_3
.LBB7_2:                                ;   in Loop: Header=BB7_3 Depth=1
	s_wait_xcnt 0x0
	s_or_b32 exec_lo, exec_lo, s10
	v_readlane_b32 s10, v77, 0
	s_add_co_i32 s84, s84, 0x10000
	global_wb scope:SCOPE_DEV
	s_wait_storecnt 0x0
	global_inv scope:SCOPE_DEV
	s_cmp_lt_u32 s84, s10
	s_cbranch_scc0 .LBB7_1163
.LBB7_3:                                ; =>This Loop Header: Depth=1
                                        ;     Child Loop BB7_1043 Depth 2
                                        ;       Child Loop BB7_1045 Depth 3
                                        ;     Child Loop BB7_1083 Depth 2
	global_load_b32 v2, v3, s[72:73]
	v_readlane_b32 s10, v77, 1
	s_mul_u64 s[64:65], s[70:71], s[84:85]
	s_delay_alu instid0(SALU_CYCLE_1)
	s_lshl_b64 s[64:65], s[64:65], 2
	s_and_not1_b32 vcc_lo, exec_lo, s10
	s_add_nc_u64 s[92:93], s[66:67], s[64:65]
	s_cbranch_vccnz .LBB7_13
; %bb.4:                                ;   in Loop: Header=BB7_3 Depth=1
	v_lshl_add_u64 v[28:29], v[12:13], 2, s[92:93]
	v_dual_mov_b32 v66, 0 :: v_dual_mov_b32 v65, 0
	s_wait_loadcnt 0x0
	s_barrier_signal -1
	s_delay_alu instid0(VALU_DEP_2)
	v_lshl_add_u64 v[28:29], v[10:11], 2, v[28:29]
	s_barrier_wait -1
	s_wait_xcnt 0x0
	s_mov_b32 s10, exec_lo
	v_readlane_b32 s20, v75, 7
	s_and_b32 s20, s10, s20
	s_delay_alu instid0(SALU_CYCLE_1)
	s_mov_b32 exec_lo, s20
	s_cbranch_execz .LBB7_6
; %bb.5:                                ;   in Loop: Header=BB7_3 Depth=1
	global_load_b32 v65, v[28:29], off
.LBB7_6:                                ;   in Loop: Header=BB7_3 Depth=1
	s_wait_xcnt 0x0
	s_or_b32 exec_lo, exec_lo, s10
	s_wait_loadcnt 0x0
	s_barrier_signal -1
	s_barrier_wait -1
	s_mov_b32 s10, exec_lo
	v_readlane_b32 s20, v75, 8
	s_and_b32 s20, s10, s20
	s_delay_alu instid0(SALU_CYCLE_1)
	s_mov_b32 exec_lo, s20
	s_cbranch_execz .LBB7_8
; %bb.7:                                ;   in Loop: Header=BB7_3 Depth=1
	v_add_nc_u64_e32 v[30:31], s[86:87], v[28:29]
	global_load_b32 v66, v[30:31], off
.LBB7_8:                                ;   in Loop: Header=BB7_3 Depth=1
	s_wait_xcnt 0x0
	s_or_b32 exec_lo, exec_lo, s10
	v_dual_mov_b32 v68, 0 :: v_dual_mov_b32 v67, 0
	s_wait_loadcnt 0x0
	s_barrier_signal -1
	s_barrier_wait -1
	s_mov_b32 s10, exec_lo
	v_readlane_b32 s20, v75, 9
	s_and_b32 s20, s10, s20
	s_delay_alu instid0(SALU_CYCLE_1)
	s_mov_b32 exec_lo, s20
	s_cbranch_execz .LBB7_10
; %bb.9:                                ;   in Loop: Header=BB7_3 Depth=1
	v_add_nc_u64_e32 v[30:31], s[88:89], v[28:29]
	global_load_b32 v67, v[30:31], off
.LBB7_10:                               ;   in Loop: Header=BB7_3 Depth=1
	s_wait_xcnt 0x0
	s_or_b32 exec_lo, exec_lo, s10
	s_wait_loadcnt 0x0
	s_barrier_signal -1
	s_barrier_wait -1
	s_mov_b32 s10, exec_lo
	v_readlane_b32 s20, v75, 10
	s_and_b32 s20, s10, s20
	s_delay_alu instid0(SALU_CYCLE_1)
	s_mov_b32 exec_lo, s20
	s_cbranch_execz .LBB7_12
; %bb.11:                               ;   in Loop: Header=BB7_3 Depth=1
	v_add_nc_u64_e32 v[28:29], s[90:91], v[28:29]
	global_load_b32 v68, v[28:29], off
.LBB7_12:                               ;   in Loop: Header=BB7_3 Depth=1
	s_wait_xcnt 0x0
	s_or_b32 exec_lo, exec_lo, s10
.LBB7_13:                               ;   in Loop: Header=BB7_3 Depth=1
	s_add_nc_u64 s[64:65], s[92:93], s[76:77]
	s_and_not1_b32 vcc_lo, exec_lo, s100
	v_add_nc_u64_e32 v[28:29], s[64:65], v[26:27]
	s_mov_b32 s10, -1
	s_cbranch_vccnz .LBB7_37
; %bb.14:                               ;   in Loop: Header=BB7_3 Depth=1
	s_mov_b32 s10, 0
	s_wait_xcnt 0x0
	s_mov_b32 s20, exec_lo
	v_readlane_b32 s64, v75, 11
	s_and_b32 s64, s20, s64
	s_delay_alu instid0(SALU_CYCLE_1)
	s_xor_b32 s20, s64, s20
	s_mov_b32 exec_lo, s64
	s_cbranch_execnz .LBB7_1104
; %bb.15:                               ;   in Loop: Header=BB7_3 Depth=1
	s_or_saveexec_b32 s64, s20
	v_mov_b32_e32 v30, 0
	s_xor_b32 exec_lo, exec_lo, s64
	s_cbranch_execnz .LBB7_1105
.LBB7_16:                               ;   in Loop: Header=BB7_3 Depth=1
	s_or_b32 exec_lo, exec_lo, s64
	s_and_saveexec_b32 s20, s10
.LBB7_17:                               ;   in Loop: Header=BB7_3 Depth=1
	ds_store_b32 v61, v30
.LBB7_18:                               ;   in Loop: Header=BB7_3 Depth=1
	s_or_b32 exec_lo, exec_lo, s20
	s_delay_alu instid0(SALU_CYCLE_1) | instskip(SKIP_2) | instid1(SALU_CYCLE_1)
	s_mov_b32 s10, exec_lo
	v_readlane_b32 s20, v75, 13
	s_and_b32 s20, s10, s20
	s_xor_b32 s10, s20, s10
	s_mov_b32 exec_lo, s20
	s_cbranch_execz .LBB7_22
; %bb.19:                               ;   in Loop: Header=BB7_3 Depth=1
	s_mov_b32 s20, exec_lo
	v_readlane_b32 s64, v74, 26
	s_and_b32 s64, s20, s64
	s_delay_alu instid0(SALU_CYCLE_1)
	s_mov_b32 exec_lo, s64
; %bb.20:                               ;   in Loop: Header=BB7_3 Depth=1
	ds_store_b32 v5, v3
; %bb.21:                               ;   in Loop: Header=BB7_3 Depth=1
	s_or_b32 exec_lo, exec_lo, s20
.LBB7_22:                               ;   in Loop: Header=BB7_3 Depth=1
	s_and_not1_saveexec_b32 s10, s10
	s_cbranch_execz .LBB7_24
; %bb.23:                               ;   in Loop: Header=BB7_3 Depth=1
	v_lshl_add_u64 v[30:31], v[20:21], 2, v[28:29]
	global_load_b32 v30, v[30:31], off
	s_wait_loadcnt 0x0
	v_xor_b32_e32 v30, 0x80000000, v30
	ds_store_b32 v5, v30
.LBB7_24:                               ;   in Loop: Header=BB7_3 Depth=1
	s_or_b32 exec_lo, exec_lo, s10
	s_delay_alu instid0(SALU_CYCLE_1) | instskip(SKIP_2) | instid1(SALU_CYCLE_1)
	s_mov_b32 s10, exec_lo
	v_readlane_b32 s20, v75, 15
	s_and_b32 s20, s10, s20
	s_xor_b32 s10, s20, s10
	s_mov_b32 exec_lo, s20
	s_cbranch_execz .LBB7_28
; %bb.25:                               ;   in Loop: Header=BB7_3 Depth=1
	s_mov_b32 s20, exec_lo
	v_readlane_b32 s64, v74, 27
	s_and_b32 s64, s20, s64
	s_delay_alu instid0(SALU_CYCLE_1)
	s_mov_b32 exec_lo, s64
; %bb.26:                               ;   in Loop: Header=BB7_3 Depth=1
	ds_store_b32 v33, v3
; %bb.27:                               ;   in Loop: Header=BB7_3 Depth=1
	s_or_b32 exec_lo, exec_lo, s20
.LBB7_28:                               ;   in Loop: Header=BB7_3 Depth=1
	s_and_not1_saveexec_b32 s10, s10
	s_cbranch_execz .LBB7_30
; %bb.29:                               ;   in Loop: Header=BB7_3 Depth=1
	v_lshl_add_u64 v[30:31], v[22:23], 2, v[28:29]
	global_load_b32 v30, v[30:31], off
	s_wait_loadcnt 0x0
	v_xor_b32_e32 v30, 0x80000000, v30
	ds_store_b32 v33, v30
.LBB7_30:                               ;   in Loop: Header=BB7_3 Depth=1
	;; [unrolled: 28-line block ×3, first 2 shown]
	s_or_b32 exec_lo, exec_lo, s10
	s_mov_b32 s10, 0
.LBB7_37:                               ;   in Loop: Header=BB7_3 Depth=1
	s_delay_alu instid0(SALU_CYCLE_1)
	s_and_b32 vcc_lo, exec_lo, s10
	s_cbranch_vccz .LBB7_61
; %bb.38:                               ;   in Loop: Header=BB7_3 Depth=1
	s_mov_b32 s10, 0
	s_wait_xcnt 0x0
	s_mov_b32 s20, exec_lo
	v_readlane_b32 s64, v75, 12
	s_and_b32 s64, s20, s64
	s_delay_alu instid0(SALU_CYCLE_1)
	s_xor_b32 s20, s64, s20
	s_mov_b32 exec_lo, s64
	s_cbranch_execnz .LBB7_1106
; %bb.39:                               ;   in Loop: Header=BB7_3 Depth=1
	s_or_saveexec_b32 s64, s20
	v_mov_b32_e32 v30, 0
	s_xor_b32 exec_lo, exec_lo, s64
	s_cbranch_execnz .LBB7_1107
.LBB7_40:                               ;   in Loop: Header=BB7_3 Depth=1
	s_or_b32 exec_lo, exec_lo, s64
	s_and_saveexec_b32 s20, s10
.LBB7_41:                               ;   in Loop: Header=BB7_3 Depth=1
	ds_store_b32 v61, v30
.LBB7_42:                               ;   in Loop: Header=BB7_3 Depth=1
	s_or_b32 exec_lo, exec_lo, s20
	s_delay_alu instid0(SALU_CYCLE_1) | instskip(SKIP_2) | instid1(SALU_CYCLE_1)
	s_mov_b32 s10, exec_lo
	v_readlane_b32 s20, v75, 14
	s_and_b32 s20, s10, s20
	s_xor_b32 s10, s20, s10
	s_mov_b32 exec_lo, s20
	s_cbranch_execz .LBB7_46
; %bb.43:                               ;   in Loop: Header=BB7_3 Depth=1
	s_mov_b32 s20, exec_lo
	v_readlane_b32 s64, v74, 26
	s_and_b32 s64, s20, s64
	s_delay_alu instid0(SALU_CYCLE_1)
	s_mov_b32 exec_lo, s64
; %bb.44:                               ;   in Loop: Header=BB7_3 Depth=1
	ds_store_b32 v5, v3
; %bb.45:                               ;   in Loop: Header=BB7_3 Depth=1
	s_or_b32 exec_lo, exec_lo, s20
.LBB7_46:                               ;   in Loop: Header=BB7_3 Depth=1
	s_and_not1_saveexec_b32 s10, s10
	s_cbranch_execz .LBB7_48
; %bb.47:                               ;   in Loop: Header=BB7_3 Depth=1
	v_lshl_add_u64 v[30:31], v[20:21], 2, v[28:29]
	global_load_b32 v30, v[30:31], off
	s_wait_loadcnt 0x0
	v_xor_b32_e32 v30, 0x80000000, v30
	ds_store_b32 v5, v30
.LBB7_48:                               ;   in Loop: Header=BB7_3 Depth=1
	s_or_b32 exec_lo, exec_lo, s10
	s_delay_alu instid0(SALU_CYCLE_1) | instskip(SKIP_2) | instid1(SALU_CYCLE_1)
	s_mov_b32 s10, exec_lo
	v_readlane_b32 s20, v75, 16
	s_and_b32 s20, s10, s20
	s_xor_b32 s10, s20, s10
	s_mov_b32 exec_lo, s20
	s_cbranch_execz .LBB7_52
; %bb.49:                               ;   in Loop: Header=BB7_3 Depth=1
	s_mov_b32 s20, exec_lo
	v_readlane_b32 s64, v74, 27
	s_and_b32 s64, s20, s64
	s_delay_alu instid0(SALU_CYCLE_1)
	s_mov_b32 exec_lo, s64
; %bb.50:                               ;   in Loop: Header=BB7_3 Depth=1
	ds_store_b32 v33, v3
; %bb.51:                               ;   in Loop: Header=BB7_3 Depth=1
	s_or_b32 exec_lo, exec_lo, s20
.LBB7_52:                               ;   in Loop: Header=BB7_3 Depth=1
	s_and_not1_saveexec_b32 s10, s10
	s_cbranch_execz .LBB7_54
; %bb.53:                               ;   in Loop: Header=BB7_3 Depth=1
	v_lshl_add_u64 v[30:31], v[22:23], 2, v[28:29]
	global_load_b32 v30, v[30:31], off
	s_wait_loadcnt 0x0
	v_xor_b32_e32 v30, 0x80000000, v30
	ds_store_b32 v33, v30
.LBB7_54:                               ;   in Loop: Header=BB7_3 Depth=1
	s_or_b32 exec_lo, exec_lo, s10
	s_delay_alu instid0(SALU_CYCLE_1) | instskip(SKIP_2) | instid1(SALU_CYCLE_1)
	s_mov_b32 s10, exec_lo
	v_readlane_b32 s20, v75, 18
	s_and_b32 s20, s10, s20
	s_xor_b32 s10, s20, s10
	s_mov_b32 exec_lo, s20
	s_cbranch_execz .LBB7_58
; %bb.55:                               ;   in Loop: Header=BB7_3 Depth=1
	s_mov_b32 s20, exec_lo
	v_readlane_b32 s64, v74, 28
	s_and_b32 s64, s20, s64
	s_delay_alu instid0(SALU_CYCLE_1)
	s_mov_b32 exec_lo, s64
; %bb.56:                               ;   in Loop: Header=BB7_3 Depth=1
	ds_store_b32 v63, v3
; %bb.57:                               ;   in Loop: Header=BB7_3 Depth=1
	s_or_b32 exec_lo, exec_lo, s20
                                        ; implicit-def: $vgpr28_vgpr29
.LBB7_58:                               ;   in Loop: Header=BB7_3 Depth=1
	s_and_not1_saveexec_b32 s10, s10
	s_cbranch_execz .LBB7_60
; %bb.59:                               ;   in Loop: Header=BB7_3 Depth=1
	v_lshl_add_u64 v[28:29], v[24:25], 2, v[28:29]
	global_load_b32 v28, v[28:29], off
	s_wait_loadcnt 0x0
	v_xor_b32_e32 v28, 0x80000000, v28
	ds_store_b32 v63, v28
.LBB7_60:                               ;   in Loop: Header=BB7_3 Depth=1
	s_or_b32 exec_lo, exec_lo, s10
.LBB7_61:                               ;   in Loop: Header=BB7_3 Depth=1
	s_delay_alu instid0(SALU_CYCLE_1)
	s_and_not1_b32 vcc_lo, exec_lo, s101
	s_wait_loadcnt_dscnt 0x0
	s_barrier_signal -1
	s_barrier_wait -1
	s_cbranch_vccnz .LBB7_1037
; %bb.62:                               ;   in Loop: Header=BB7_3 Depth=1
	s_and_saveexec_b32 s10, s11
; %bb.63:                               ;   in Loop: Header=BB7_3 Depth=1
	ds_store_2addr_b32 v3, v64, v64 offset1:65
; %bb.64:                               ;   in Loop: Header=BB7_3 Depth=1
	s_or_b32 exec_lo, exec_lo, s10
	v_mov_b32_e32 v28, 0
	s_wait_dscnt 0x0
	s_barrier_signal -1
	s_barrier_wait -1
	s_and_saveexec_b32 s10, s0
	s_cbranch_execz .LBB7_68
; %bb.65:                               ;   in Loop: Header=BB7_3 Depth=1
	ds_load_b32 v28, v34 offset:8
	ds_load_b32 v29, v35
	s_wait_dscnt 0x0
	v_fma_f32 v28, v28, v29, 0
	s_and_saveexec_b32 s20, s12
	s_cbranch_execz .LBB7_67
; %bb.66:                               ;   in Loop: Header=BB7_3 Depth=1
	ds_load_b32 v29, v38 offset:264
	ds_load_b32 v30, v3 offset:4
	s_wait_dscnt 0x0
	v_fmac_f32_e32 v28, v29, v30
.LBB7_67:                               ;   in Loop: Header=BB7_3 Depth=1
	s_or_b32 exec_lo, exec_lo, s20
	s_delay_alu instid0(VALU_DEP_1)
	v_xor_b32_e32 v28, 0x80000000, v28
.LBB7_68:                               ;   in Loop: Header=BB7_3 Depth=1
	s_or_b32 exec_lo, exec_lo, s10
	s_and_saveexec_b32 s10, s102
; %bb.69:                               ;   in Loop: Header=BB7_3 Depth=1
	ds_store_b32 v9, v28
; %bb.70:                               ;   in Loop: Header=BB7_3 Depth=1
	s_or_b32 exec_lo, exec_lo, s10
	s_wait_dscnt 0x0
	s_barrier_signal -1
	s_barrier_wait -1
	s_and_saveexec_b32 s10, s103
	s_cbranch_execz .LBB7_72
; %bb.71:                               ;   in Loop: Header=BB7_3 Depth=1
	ds_load_b32 v29, v3 offset:524
	ds_load_b32 v30, v9
	s_wait_dscnt 0x0
	v_fmac_f32_e32 v28, v29, v30
.LBB7_72:                               ;   in Loop: Header=BB7_3 Depth=1
	s_or_b32 exec_lo, exec_lo, s10
	s_barrier_signal -1
	s_barrier_wait -1
	s_and_saveexec_b32 s10, s103
; %bb.73:                               ;   in Loop: Header=BB7_3 Depth=1
	ds_store_b32 v9, v28
; %bb.74:                               ;   in Loop: Header=BB7_3 Depth=1
	s_or_b32 exec_lo, exec_lo, s10
	s_wait_dscnt 0x0
	s_barrier_signal -1
	s_barrier_wait -1
	s_barrier_signal -1
	s_barrier_wait -1
	s_and_saveexec_b32 s10, s0
; %bb.75:                               ;   in Loop: Header=BB7_3 Depth=1
	v_xor_b32_e32 v28, 0x80000000, v28
	ds_store_b32 v34, v28 offset:8
; %bb.76:                               ;   in Loop: Header=BB7_3 Depth=1
	s_or_b32 exec_lo, exec_lo, s10
	s_wait_dscnt 0x0
	s_barrier_signal -1
	s_barrier_wait -1
	s_barrier_signal -1
	s_barrier_wait -1
	s_and_saveexec_b32 s10, s11
; %bb.77:                               ;   in Loop: Header=BB7_3 Depth=1
	ds_store_2addr_b32 v3, v64, v64 offset0:130 offset1:195
; %bb.78:                               ;   in Loop: Header=BB7_3 Depth=1
	s_or_b32 exec_lo, exec_lo, s10
	v_mov_b32_e32 v28, 0
	s_wait_dscnt 0x0
	s_barrier_signal -1
	s_barrier_wait -1
	s_and_saveexec_b32 s10, s1
	s_cbranch_execz .LBB7_84
; %bb.79:                               ;   in Loop: Header=BB7_3 Depth=1
	ds_load_b32 v28, v40 offset:16
	ds_load_b32 v29, v36
	s_wait_dscnt 0x0
	v_fma_f32 v28, v28, v29, 0
	s_and_saveexec_b32 s20, s13
	s_cbranch_execnz .LBB7_1113
; %bb.80:                               ;   in Loop: Header=BB7_3 Depth=1
	s_or_b32 exec_lo, exec_lo, s20
	s_and_saveexec_b32 s20, s14
	s_cbranch_execnz .LBB7_1114
.LBB7_81:                               ;   in Loop: Header=BB7_3 Depth=1
	s_or_b32 exec_lo, exec_lo, s20
	s_and_saveexec_b32 s20, s0
	s_cbranch_execz .LBB7_83
.LBB7_82:                               ;   in Loop: Header=BB7_3 Depth=1
	ds_load_b32 v29, v38 offset:784
	ds_load_b32 v30, v3 offset:12
	s_wait_dscnt 0x0
	v_fmac_f32_e32 v28, v29, v30
.LBB7_83:                               ;   in Loop: Header=BB7_3 Depth=1
	s_or_b32 exec_lo, exec_lo, s20
	s_delay_alu instid0(VALU_DEP_1)
	v_xor_b32_e32 v28, 0x80000000, v28
.LBB7_84:                               ;   in Loop: Header=BB7_3 Depth=1
	s_or_b32 exec_lo, exec_lo, s10
	s_and_saveexec_b32 s10, s104
; %bb.85:                               ;   in Loop: Header=BB7_3 Depth=1
	ds_store_b32 v39, v28
; %bb.86:                               ;   in Loop: Header=BB7_3 Depth=1
	s_or_b32 exec_lo, exec_lo, s10
	s_wait_dscnt 0x0
	s_barrier_signal -1
	s_barrier_wait -1
	s_and_saveexec_b32 s10, vcc_hi
	s_cbranch_execz .LBB7_88
; %bb.87:                               ;   in Loop: Header=BB7_3 Depth=1
	ds_load_b32 v29, v37 offset:1040
	ds_load_b32 v30, v39
	s_wait_dscnt 0x0
	v_fmac_f32_e32 v28, v29, v30
.LBB7_88:                               ;   in Loop: Header=BB7_3 Depth=1
	s_or_b32 exec_lo, exec_lo, s10
	s_barrier_signal -1
	s_barrier_wait -1
	s_and_saveexec_b32 s10, s31
; %bb.89:                               ;   in Loop: Header=BB7_3 Depth=1
	ds_store_b32 v39, v28
; %bb.90:                               ;   in Loop: Header=BB7_3 Depth=1
	s_or_b32 exec_lo, exec_lo, s10
	s_wait_dscnt 0x0
	s_barrier_signal -1
	s_barrier_wait -1
	s_and_saveexec_b32 s10, s33
	s_cbranch_execz .LBB7_92
; %bb.91:                               ;   in Loop: Header=BB7_3 Depth=1
	ds_load_b32 v29, v37 offset:1296
	ds_load_b32 v30, v39
	s_wait_dscnt 0x0
	v_fmac_f32_e32 v28, v29, v30
.LBB7_92:                               ;   in Loop: Header=BB7_3 Depth=1
	s_or_b32 exec_lo, exec_lo, s10
	s_barrier_signal -1
	s_barrier_wait -1
	s_and_saveexec_b32 s10, s34
; %bb.93:                               ;   in Loop: Header=BB7_3 Depth=1
	ds_store_b32 v39, v28
; %bb.94:                               ;   in Loop: Header=BB7_3 Depth=1
	s_or_b32 exec_lo, exec_lo, s10
	s_wait_dscnt 0x0
	s_barrier_signal -1
	s_barrier_wait -1
	s_and_saveexec_b32 s10, s35
	s_cbranch_execz .LBB7_96
; %bb.95:                               ;   in Loop: Header=BB7_3 Depth=1
	ds_load_b32 v29, v3 offset:1564
	ds_load_b32 v30, v39
	s_wait_dscnt 0x0
	v_fmac_f32_e32 v28, v29, v30
.LBB7_96:                               ;   in Loop: Header=BB7_3 Depth=1
	s_or_b32 exec_lo, exec_lo, s10
	s_barrier_signal -1
	s_barrier_wait -1
	s_and_saveexec_b32 s10, s35
; %bb.97:                               ;   in Loop: Header=BB7_3 Depth=1
	ds_store_b32 v39, v28
; %bb.98:                               ;   in Loop: Header=BB7_3 Depth=1
	s_or_b32 exec_lo, exec_lo, s10
	s_wait_dscnt 0x0
	s_barrier_signal -1
	s_barrier_wait -1
	s_barrier_signal -1
	s_barrier_wait -1
	s_and_saveexec_b32 s10, s1
; %bb.99:                               ;   in Loop: Header=BB7_3 Depth=1
	v_xor_b32_e32 v28, 0x80000000, v28
	ds_store_b32 v40, v28 offset:16
; %bb.100:                              ;   in Loop: Header=BB7_3 Depth=1
	s_or_b32 exec_lo, exec_lo, s10
	s_wait_dscnt 0x0
	s_barrier_signal -1
	s_barrier_wait -1
	s_barrier_signal -1
	s_barrier_wait -1
	s_and_saveexec_b32 s10, s11
; %bb.101:                              ;   in Loop: Header=BB7_3 Depth=1
	v_add_nc_u32_e64 v28, 0x400, 0
	ds_store_2addr_b32 v28, v64, v64 offset0:4 offset1:69
; %bb.102:                              ;   in Loop: Header=BB7_3 Depth=1
	s_or_b32 exec_lo, exec_lo, s10
	v_mov_b32_e32 v28, 0
	s_wait_dscnt 0x0
	s_barrier_signal -1
	s_barrier_wait -1
	s_and_saveexec_b32 s10, s0
	s_cbranch_execz .LBB7_106
; %bb.103:                              ;   in Loop: Header=BB7_3 Depth=1
	ds_load_b32 v28, v34 offset:1048
	ds_load_b32 v29, v35 offset:1040
	s_wait_dscnt 0x0
	v_fma_f32 v28, v28, v29, 0
	s_and_saveexec_b32 s20, s12
	s_cbranch_execz .LBB7_105
; %bb.104:                              ;   in Loop: Header=BB7_3 Depth=1
	ds_load_b32 v29, v38 offset:1304
	ds_load_b32 v30, v3 offset:1044
	s_wait_dscnt 0x0
	v_fmac_f32_e32 v28, v29, v30
.LBB7_105:                              ;   in Loop: Header=BB7_3 Depth=1
	s_or_b32 exec_lo, exec_lo, s20
	s_delay_alu instid0(VALU_DEP_1)
	v_xor_b32_e32 v28, 0x80000000, v28
.LBB7_106:                              ;   in Loop: Header=BB7_3 Depth=1
	s_or_b32 exec_lo, exec_lo, s10
	s_and_saveexec_b32 s10, s102
; %bb.107:                              ;   in Loop: Header=BB7_3 Depth=1
	ds_store_b32 v9, v28
; %bb.108:                              ;   in Loop: Header=BB7_3 Depth=1
	s_or_b32 exec_lo, exec_lo, s10
	s_wait_dscnt 0x0
	s_barrier_signal -1
	s_barrier_wait -1
	s_and_saveexec_b32 s10, s103
	s_cbranch_execz .LBB7_110
; %bb.109:                              ;   in Loop: Header=BB7_3 Depth=1
	ds_load_b32 v29, v3 offset:1564
	ds_load_b32 v30, v9
	s_wait_dscnt 0x0
	v_fmac_f32_e32 v28, v29, v30
.LBB7_110:                              ;   in Loop: Header=BB7_3 Depth=1
	s_or_b32 exec_lo, exec_lo, s10
	s_barrier_signal -1
	s_barrier_wait -1
	s_and_saveexec_b32 s10, s103
; %bb.111:                              ;   in Loop: Header=BB7_3 Depth=1
	ds_store_b32 v9, v28
; %bb.112:                              ;   in Loop: Header=BB7_3 Depth=1
	s_or_b32 exec_lo, exec_lo, s10
	s_wait_dscnt 0x0
	s_barrier_signal -1
	s_barrier_wait -1
	s_barrier_signal -1
	s_barrier_wait -1
	s_and_saveexec_b32 s10, s0
; %bb.113:                              ;   in Loop: Header=BB7_3 Depth=1
	v_xor_b32_e32 v28, 0x80000000, v28
	ds_store_b32 v34, v28 offset:1048
; %bb.114:                              ;   in Loop: Header=BB7_3 Depth=1
	s_or_b32 exec_lo, exec_lo, s10
	s_wait_dscnt 0x0
	s_barrier_signal -1
	s_barrier_wait -1
	s_barrier_signal -1
	s_barrier_wait -1
	s_and_saveexec_b32 s10, s11
; %bb.115:                              ;   in Loop: Header=BB7_3 Depth=1
	v_add_nc_u32_e64 v28, 0x400, 0
	ds_store_2addr_b32 v28, v64, v64 offset0:134 offset1:199
; %bb.116:                              ;   in Loop: Header=BB7_3 Depth=1
	s_or_b32 exec_lo, exec_lo, s10
	v_mov_b32_e32 v28, 0
	s_wait_dscnt 0x0
	s_barrier_signal -1
	s_barrier_wait -1
	s_and_saveexec_b32 s10, s2
	s_cbranch_execz .LBB7_126
; %bb.117:                              ;   in Loop: Header=BB7_3 Depth=1
	ds_load_b32 v28, v46 offset:32
	ds_load_b32 v29, v41
	s_wait_dscnt 0x0
	v_fma_f32 v28, v28, v29, 0
	s_and_saveexec_b32 s20, s15
	s_cbranch_execnz .LBB7_1115
; %bb.118:                              ;   in Loop: Header=BB7_3 Depth=1
	s_or_b32 exec_lo, exec_lo, s20
	s_and_saveexec_b32 s20, s16
	s_cbranch_execnz .LBB7_1116
.LBB7_119:                              ;   in Loop: Header=BB7_3 Depth=1
	s_or_b32 exec_lo, exec_lo, s20
	s_and_saveexec_b32 s20, s17
	s_cbranch_execnz .LBB7_1117
.LBB7_120:                              ;   in Loop: Header=BB7_3 Depth=1
	s_or_b32 exec_lo, exec_lo, s20
	s_and_saveexec_b32 s20, s18
	s_cbranch_execnz .LBB7_1118
.LBB7_121:                              ;   in Loop: Header=BB7_3 Depth=1
	s_or_b32 exec_lo, exec_lo, s20
	s_and_saveexec_b32 s20, s19
	s_cbranch_execnz .LBB7_1119
.LBB7_122:                              ;   in Loop: Header=BB7_3 Depth=1
	s_or_b32 exec_lo, exec_lo, s20
	s_and_saveexec_b32 s20, s1
	s_cbranch_execnz .LBB7_1120
.LBB7_123:                              ;   in Loop: Header=BB7_3 Depth=1
	s_or_b32 exec_lo, exec_lo, s20
	s_and_saveexec_b32 s20, s14
	s_cbranch_execz .LBB7_125
.LBB7_124:                              ;   in Loop: Header=BB7_3 Depth=1
	ds_load_b32 v29, v38 offset:1824
	ds_load_b32 v30, v3 offset:28
	s_wait_dscnt 0x0
	v_fmac_f32_e32 v28, v29, v30
.LBB7_125:                              ;   in Loop: Header=BB7_3 Depth=1
	s_or_b32 exec_lo, exec_lo, s20
	s_delay_alu instid0(VALU_DEP_1)
	v_xor_b32_e32 v28, 0x80000000, v28
.LBB7_126:                              ;   in Loop: Header=BB7_3 Depth=1
	s_or_b32 exec_lo, exec_lo, s10
	s_and_saveexec_b32 s10, s36
; %bb.127:                              ;   in Loop: Header=BB7_3 Depth=1
	ds_store_b32 v43, v28
; %bb.128:                              ;   in Loop: Header=BB7_3 Depth=1
	s_or_b32 exec_lo, exec_lo, s10
	s_wait_dscnt 0x0
	s_barrier_signal -1
	s_barrier_wait -1
	s_and_saveexec_b32 s10, s37
	s_cbranch_execz .LBB7_130
; %bb.129:                              ;   in Loop: Header=BB7_3 Depth=1
	ds_load_b32 v29, v44 offset:2080
	ds_load_b32 v30, v43
	s_wait_dscnt 0x0
	v_fmac_f32_e32 v28, v29, v30
.LBB7_130:                              ;   in Loop: Header=BB7_3 Depth=1
	s_or_b32 exec_lo, exec_lo, s10
	s_barrier_signal -1
	s_barrier_wait -1
	s_and_saveexec_b32 s10, s38
; %bb.131:                              ;   in Loop: Header=BB7_3 Depth=1
	ds_store_b32 v43, v28
; %bb.132:                              ;   in Loop: Header=BB7_3 Depth=1
	s_or_b32 exec_lo, exec_lo, s10
	s_wait_dscnt 0x0
	s_barrier_signal -1
	s_barrier_wait -1
	s_and_saveexec_b32 s10, s39
	s_cbranch_execz .LBB7_134
; %bb.133:                              ;   in Loop: Header=BB7_3 Depth=1
	ds_load_b32 v29, v44 offset:2336
	ds_load_b32 v30, v43
	s_wait_dscnt 0x0
	v_fmac_f32_e32 v28, v29, v30
.LBB7_134:                              ;   in Loop: Header=BB7_3 Depth=1
	s_or_b32 exec_lo, exec_lo, s10
	s_barrier_signal -1
	s_barrier_wait -1
	;; [unrolled: 19-line block ×7, first 2 shown]
	s_and_saveexec_b32 s10, s49
; %bb.155:                              ;   in Loop: Header=BB7_3 Depth=1
	ds_store_b32 v43, v28
; %bb.156:                              ;   in Loop: Header=BB7_3 Depth=1
	s_or_b32 exec_lo, exec_lo, s10
	s_wait_dscnt 0x0
	s_barrier_signal -1
	s_barrier_wait -1
	s_barrier_signal -1
	s_barrier_wait -1
	s_and_saveexec_b32 s10, s2
; %bb.157:                              ;   in Loop: Header=BB7_3 Depth=1
	v_xor_b32_e32 v28, 0x80000000, v28
	ds_store_b32 v46, v28 offset:32
; %bb.158:                              ;   in Loop: Header=BB7_3 Depth=1
	s_or_b32 exec_lo, exec_lo, s10
	s_wait_dscnt 0x0
	s_barrier_signal -1
	s_barrier_wait -1
	s_barrier_signal -1
	s_barrier_wait -1
	s_and_saveexec_b32 s10, s11
; %bb.159:                              ;   in Loop: Header=BB7_3 Depth=1
	v_add_nc_u32_e64 v28, 0x800, 0
	ds_store_2addr_b32 v28, v64, v64 offset0:8 offset1:73
; %bb.160:                              ;   in Loop: Header=BB7_3 Depth=1
	s_or_b32 exec_lo, exec_lo, s10
	v_mov_b32_e32 v28, 0
	s_wait_dscnt 0x0
	s_barrier_signal -1
	s_barrier_wait -1
	s_and_saveexec_b32 s10, s0
	s_cbranch_execz .LBB7_164
; %bb.161:                              ;   in Loop: Header=BB7_3 Depth=1
	ds_load_b32 v28, v34 offset:2088
	ds_load_b32 v29, v35 offset:2080
	s_wait_dscnt 0x0
	v_fma_f32 v28, v28, v29, 0
	s_and_saveexec_b32 s20, s12
	s_cbranch_execz .LBB7_163
; %bb.162:                              ;   in Loop: Header=BB7_3 Depth=1
	ds_load_b32 v29, v38 offset:2344
	ds_load_b32 v30, v3 offset:2084
	s_wait_dscnt 0x0
	v_fmac_f32_e32 v28, v29, v30
.LBB7_163:                              ;   in Loop: Header=BB7_3 Depth=1
	s_or_b32 exec_lo, exec_lo, s20
	s_delay_alu instid0(VALU_DEP_1)
	v_xor_b32_e32 v28, 0x80000000, v28
.LBB7_164:                              ;   in Loop: Header=BB7_3 Depth=1
	s_or_b32 exec_lo, exec_lo, s10
	s_and_saveexec_b32 s10, s102
; %bb.165:                              ;   in Loop: Header=BB7_3 Depth=1
	ds_store_b32 v9, v28
; %bb.166:                              ;   in Loop: Header=BB7_3 Depth=1
	s_or_b32 exec_lo, exec_lo, s10
	s_wait_dscnt 0x0
	s_barrier_signal -1
	s_barrier_wait -1
	s_and_saveexec_b32 s10, s103
	s_cbranch_execz .LBB7_168
; %bb.167:                              ;   in Loop: Header=BB7_3 Depth=1
	ds_load_b32 v29, v3 offset:2604
	ds_load_b32 v30, v9
	s_wait_dscnt 0x0
	v_fmac_f32_e32 v28, v29, v30
.LBB7_168:                              ;   in Loop: Header=BB7_3 Depth=1
	s_or_b32 exec_lo, exec_lo, s10
	s_barrier_signal -1
	s_barrier_wait -1
	s_and_saveexec_b32 s10, s103
; %bb.169:                              ;   in Loop: Header=BB7_3 Depth=1
	ds_store_b32 v9, v28
; %bb.170:                              ;   in Loop: Header=BB7_3 Depth=1
	s_or_b32 exec_lo, exec_lo, s10
	s_wait_dscnt 0x0
	s_barrier_signal -1
	s_barrier_wait -1
	s_barrier_signal -1
	s_barrier_wait -1
	s_and_saveexec_b32 s10, s0
; %bb.171:                              ;   in Loop: Header=BB7_3 Depth=1
	v_xor_b32_e32 v28, 0x80000000, v28
	ds_store_b32 v34, v28 offset:2088
; %bb.172:                              ;   in Loop: Header=BB7_3 Depth=1
	s_or_b32 exec_lo, exec_lo, s10
	s_wait_dscnt 0x0
	s_barrier_signal -1
	s_barrier_wait -1
	s_barrier_signal -1
	s_barrier_wait -1
	s_and_saveexec_b32 s10, s11
; %bb.173:                              ;   in Loop: Header=BB7_3 Depth=1
	v_add_nc_u32_e64 v28, 0x800, 0
	ds_store_2addr_b32 v28, v64, v64 offset0:138 offset1:203
; %bb.174:                              ;   in Loop: Header=BB7_3 Depth=1
	s_or_b32 exec_lo, exec_lo, s10
	v_mov_b32_e32 v28, 0
	s_wait_dscnt 0x0
	s_barrier_signal -1
	s_barrier_wait -1
	s_and_saveexec_b32 s10, s1
	s_cbranch_execz .LBB7_180
; %bb.175:                              ;   in Loop: Header=BB7_3 Depth=1
	ds_load_b32 v28, v40 offset:2096
	ds_load_b32 v29, v36 offset:2080
	s_wait_dscnt 0x0
	v_fma_f32 v28, v28, v29, 0
	s_and_saveexec_b32 s20, s13
	s_cbranch_execnz .LBB7_1121
; %bb.176:                              ;   in Loop: Header=BB7_3 Depth=1
	s_or_b32 exec_lo, exec_lo, s20
	s_and_saveexec_b32 s20, s14
	s_cbranch_execnz .LBB7_1122
.LBB7_177:                              ;   in Loop: Header=BB7_3 Depth=1
	s_or_b32 exec_lo, exec_lo, s20
	s_and_saveexec_b32 s20, s0
	s_cbranch_execz .LBB7_179
.LBB7_178:                              ;   in Loop: Header=BB7_3 Depth=1
	ds_load_b32 v29, v38 offset:2864
	ds_load_b32 v30, v3 offset:2092
	s_wait_dscnt 0x0
	v_fmac_f32_e32 v28, v29, v30
.LBB7_179:                              ;   in Loop: Header=BB7_3 Depth=1
	s_or_b32 exec_lo, exec_lo, s20
	s_delay_alu instid0(VALU_DEP_1)
	v_xor_b32_e32 v28, 0x80000000, v28
.LBB7_180:                              ;   in Loop: Header=BB7_3 Depth=1
	s_or_b32 exec_lo, exec_lo, s10
	s_and_saveexec_b32 s10, s104
; %bb.181:                              ;   in Loop: Header=BB7_3 Depth=1
	ds_store_b32 v39, v28
; %bb.182:                              ;   in Loop: Header=BB7_3 Depth=1
	s_or_b32 exec_lo, exec_lo, s10
	s_wait_dscnt 0x0
	s_barrier_signal -1
	s_barrier_wait -1
	s_and_saveexec_b32 s10, vcc_hi
	s_cbranch_execz .LBB7_184
; %bb.183:                              ;   in Loop: Header=BB7_3 Depth=1
	ds_load_b32 v29, v37 offset:3120
	ds_load_b32 v30, v39
	s_wait_dscnt 0x0
	v_fmac_f32_e32 v28, v29, v30
.LBB7_184:                              ;   in Loop: Header=BB7_3 Depth=1
	s_or_b32 exec_lo, exec_lo, s10
	s_barrier_signal -1
	s_barrier_wait -1
	s_and_saveexec_b32 s10, s31
; %bb.185:                              ;   in Loop: Header=BB7_3 Depth=1
	ds_store_b32 v39, v28
; %bb.186:                              ;   in Loop: Header=BB7_3 Depth=1
	s_or_b32 exec_lo, exec_lo, s10
	s_wait_dscnt 0x0
	s_barrier_signal -1
	s_barrier_wait -1
	s_and_saveexec_b32 s10, s33
	s_cbranch_execz .LBB7_188
; %bb.187:                              ;   in Loop: Header=BB7_3 Depth=1
	ds_load_b32 v29, v37 offset:3376
	ds_load_b32 v30, v39
	s_wait_dscnt 0x0
	v_fmac_f32_e32 v28, v29, v30
.LBB7_188:                              ;   in Loop: Header=BB7_3 Depth=1
	s_or_b32 exec_lo, exec_lo, s10
	s_barrier_signal -1
	s_barrier_wait -1
	s_and_saveexec_b32 s10, s34
; %bb.189:                              ;   in Loop: Header=BB7_3 Depth=1
	ds_store_b32 v39, v28
; %bb.190:                              ;   in Loop: Header=BB7_3 Depth=1
	s_or_b32 exec_lo, exec_lo, s10
	s_wait_dscnt 0x0
	s_barrier_signal -1
	s_barrier_wait -1
	s_and_saveexec_b32 s10, s35
	s_cbranch_execz .LBB7_192
; %bb.191:                              ;   in Loop: Header=BB7_3 Depth=1
	ds_load_b32 v29, v3 offset:3644
	ds_load_b32 v30, v39
	s_wait_dscnt 0x0
	v_fmac_f32_e32 v28, v29, v30
.LBB7_192:                              ;   in Loop: Header=BB7_3 Depth=1
	s_or_b32 exec_lo, exec_lo, s10
	s_barrier_signal -1
	s_barrier_wait -1
	s_and_saveexec_b32 s10, s35
; %bb.193:                              ;   in Loop: Header=BB7_3 Depth=1
	ds_store_b32 v39, v28
; %bb.194:                              ;   in Loop: Header=BB7_3 Depth=1
	s_or_b32 exec_lo, exec_lo, s10
	s_wait_dscnt 0x0
	s_barrier_signal -1
	s_barrier_wait -1
	s_barrier_signal -1
	s_barrier_wait -1
	s_and_saveexec_b32 s10, s1
; %bb.195:                              ;   in Loop: Header=BB7_3 Depth=1
	v_xor_b32_e32 v28, 0x80000000, v28
	ds_store_b32 v40, v28 offset:2096
; %bb.196:                              ;   in Loop: Header=BB7_3 Depth=1
	s_or_b32 exec_lo, exec_lo, s10
	s_wait_dscnt 0x0
	s_barrier_signal -1
	s_barrier_wait -1
	s_barrier_signal -1
	s_barrier_wait -1
	s_and_saveexec_b32 s10, s11
; %bb.197:                              ;   in Loop: Header=BB7_3 Depth=1
	v_add_nc_u32_e64 v28, 0xc00, 0
	ds_store_2addr_b32 v28, v64, v64 offset0:12 offset1:77
; %bb.198:                              ;   in Loop: Header=BB7_3 Depth=1
	s_or_b32 exec_lo, exec_lo, s10
	v_mov_b32_e32 v28, 0
	s_wait_dscnt 0x0
	s_barrier_signal -1
	s_barrier_wait -1
	s_and_saveexec_b32 s10, s0
	s_cbranch_execz .LBB7_202
; %bb.199:                              ;   in Loop: Header=BB7_3 Depth=1
	ds_load_b32 v28, v34 offset:3128
	ds_load_b32 v29, v35 offset:3120
	s_wait_dscnt 0x0
	v_fma_f32 v28, v28, v29, 0
	s_and_saveexec_b32 s20, s12
	s_cbranch_execz .LBB7_201
; %bb.200:                              ;   in Loop: Header=BB7_3 Depth=1
	ds_load_b32 v29, v38 offset:3384
	ds_load_b32 v30, v3 offset:3124
	s_wait_dscnt 0x0
	v_fmac_f32_e32 v28, v29, v30
.LBB7_201:                              ;   in Loop: Header=BB7_3 Depth=1
	s_or_b32 exec_lo, exec_lo, s20
	s_delay_alu instid0(VALU_DEP_1)
	v_xor_b32_e32 v28, 0x80000000, v28
.LBB7_202:                              ;   in Loop: Header=BB7_3 Depth=1
	s_or_b32 exec_lo, exec_lo, s10
	s_and_saveexec_b32 s10, s102
; %bb.203:                              ;   in Loop: Header=BB7_3 Depth=1
	ds_store_b32 v9, v28
; %bb.204:                              ;   in Loop: Header=BB7_3 Depth=1
	s_or_b32 exec_lo, exec_lo, s10
	s_wait_dscnt 0x0
	s_barrier_signal -1
	s_barrier_wait -1
	s_and_saveexec_b32 s10, s103
	s_cbranch_execz .LBB7_206
; %bb.205:                              ;   in Loop: Header=BB7_3 Depth=1
	ds_load_b32 v29, v3 offset:3644
	ds_load_b32 v30, v9
	s_wait_dscnt 0x0
	v_fmac_f32_e32 v28, v29, v30
.LBB7_206:                              ;   in Loop: Header=BB7_3 Depth=1
	s_or_b32 exec_lo, exec_lo, s10
	s_barrier_signal -1
	s_barrier_wait -1
	s_and_saveexec_b32 s10, s103
; %bb.207:                              ;   in Loop: Header=BB7_3 Depth=1
	ds_store_b32 v9, v28
; %bb.208:                              ;   in Loop: Header=BB7_3 Depth=1
	s_or_b32 exec_lo, exec_lo, s10
	s_wait_dscnt 0x0
	s_barrier_signal -1
	s_barrier_wait -1
	s_barrier_signal -1
	s_barrier_wait -1
	s_and_saveexec_b32 s10, s0
; %bb.209:                              ;   in Loop: Header=BB7_3 Depth=1
	v_xor_b32_e32 v28, 0x80000000, v28
	ds_store_b32 v34, v28 offset:3128
; %bb.210:                              ;   in Loop: Header=BB7_3 Depth=1
	s_or_b32 exec_lo, exec_lo, s10
	s_wait_dscnt 0x0
	s_barrier_signal -1
	s_barrier_wait -1
	s_barrier_signal -1
	s_barrier_wait -1
	s_and_saveexec_b32 s10, s11
; %bb.211:                              ;   in Loop: Header=BB7_3 Depth=1
	v_add_nc_u32_e64 v28, 0xc00, 0
	ds_store_2addr_b32 v28, v64, v64 offset0:142 offset1:207
; %bb.212:                              ;   in Loop: Header=BB7_3 Depth=1
	s_or_b32 exec_lo, exec_lo, s10
	v_mov_b32_e32 v28, 0
	s_wait_dscnt 0x0
	s_barrier_signal -1
	s_barrier_wait -1
	s_and_saveexec_b32 s65, s3
	s_cbranch_execz .LBB7_240
; %bb.213:                              ;   in Loop: Header=BB7_3 Depth=1
	ds_load_b32 v28, v53 offset:64
	ds_load_b32 v29, v45
	s_wait_dscnt 0x0
	v_fma_f32 v28, v28, v29, 0
	s_mov_b32 s10, exec_lo
	v_readlane_b32 s20, v75, 19
	s_and_b32 s20, s10, s20
	s_delay_alu instid0(SALU_CYCLE_1)
	s_mov_b32 exec_lo, s20
	s_cbranch_execz .LBB7_215
; %bb.214:                              ;   in Loop: Header=BB7_3 Depth=1
	ds_load_b32 v29, v54 offset:320
	ds_load_b32 v30, v45 offset:4
	s_wait_dscnt 0x0
	v_fmac_f32_e32 v28, v29, v30
.LBB7_215:                              ;   in Loop: Header=BB7_3 Depth=1
	s_or_b32 exec_lo, exec_lo, s10
	s_delay_alu instid0(SALU_CYCLE_1) | instskip(SKIP_2) | instid1(SALU_CYCLE_1)
	s_mov_b32 s10, exec_lo
	v_readlane_b32 s20, v75, 20
	s_and_b32 s20, s10, s20
	s_mov_b32 exec_lo, s20
	s_cbranch_execz .LBB7_217
; %bb.216:                              ;   in Loop: Header=BB7_3 Depth=1
	ds_load_b32 v29, v54 offset:576
	ds_load_b32 v30, v45 offset:8
	s_wait_dscnt 0x0
	v_fmac_f32_e32 v28, v29, v30
.LBB7_217:                              ;   in Loop: Header=BB7_3 Depth=1
	s_or_b32 exec_lo, exec_lo, s10
	s_delay_alu instid0(SALU_CYCLE_1) | instskip(SKIP_2) | instid1(SALU_CYCLE_1)
	s_mov_b32 s10, exec_lo
	v_readlane_b32 s20, v75, 21
	s_and_b32 s20, s10, s20
	;; [unrolled: 13-line block ×10, first 2 shown]
	s_mov_b32 exec_lo, s20
	s_cbranch_execnz .LBB7_1123
; %bb.234:                              ;   in Loop: Header=BB7_3 Depth=1
	s_or_b32 exec_lo, exec_lo, s10
	s_and_saveexec_b32 s10, s2
	s_cbranch_execnz .LBB7_1124
.LBB7_235:                              ;   in Loop: Header=BB7_3 Depth=1
	s_or_b32 exec_lo, exec_lo, s10
	s_and_saveexec_b32 s10, s16
	s_cbranch_execnz .LBB7_1125
.LBB7_236:                              ;   in Loop: Header=BB7_3 Depth=1
	s_or_b32 exec_lo, exec_lo, s10
	s_and_saveexec_b32 s10, s18
	s_cbranch_execnz .LBB7_1126
.LBB7_237:                              ;   in Loop: Header=BB7_3 Depth=1
	s_or_b32 exec_lo, exec_lo, s10
	s_and_saveexec_b32 s10, s1
	s_cbranch_execz .LBB7_239
.LBB7_238:                              ;   in Loop: Header=BB7_3 Depth=1
	ds_load_b32 v29, v38 offset:3904
	ds_load_b32 v30, v3 offset:60
	s_wait_dscnt 0x0
	v_fmac_f32_e32 v28, v29, v30
.LBB7_239:                              ;   in Loop: Header=BB7_3 Depth=1
	s_or_b32 exec_lo, exec_lo, s10
	s_delay_alu instid0(VALU_DEP_1)
	v_xor_b32_e32 v28, 0x80000000, v28
.LBB7_240:                              ;   in Loop: Header=BB7_3 Depth=1
	s_or_b32 exec_lo, exec_lo, s65
	s_delay_alu instid0(SALU_CYCLE_1) | instskip(SKIP_2) | instid1(SALU_CYCLE_1)
	s_mov_b32 s10, exec_lo
	v_readlane_b32 s20, v77, 2
	s_and_b32 s20, s10, s20
	s_mov_b32 exec_lo, s20
; %bb.241:                              ;   in Loop: Header=BB7_3 Depth=1
	ds_store_b32 v52, v28
; %bb.242:                              ;   in Loop: Header=BB7_3 Depth=1
	s_or_b32 exec_lo, exec_lo, s10
	s_wait_dscnt 0x0
	s_barrier_signal -1
	s_barrier_wait -1
	s_mov_b32 s10, exec_lo
	v_readlane_b32 s20, v77, 3
	s_and_b32 s20, s10, s20
	s_delay_alu instid0(SALU_CYCLE_1)
	s_mov_b32 exec_lo, s20
	s_cbranch_execz .LBB7_244
; %bb.243:                              ;   in Loop: Header=BB7_3 Depth=1
	ds_load_b32 v29, v48 offset:4160
	ds_load_b32 v30, v52
	s_wait_dscnt 0x0
	v_fmac_f32_e32 v28, v29, v30
.LBB7_244:                              ;   in Loop: Header=BB7_3 Depth=1
	s_or_b32 exec_lo, exec_lo, s10
	s_barrier_signal -1
	s_barrier_wait -1
	s_mov_b32 s10, exec_lo
	v_readlane_b32 s20, v77, 4
	s_and_b32 s20, s10, s20
	s_delay_alu instid0(SALU_CYCLE_1)
	s_mov_b32 exec_lo, s20
; %bb.245:                              ;   in Loop: Header=BB7_3 Depth=1
	ds_store_b32 v52, v28
; %bb.246:                              ;   in Loop: Header=BB7_3 Depth=1
	s_or_b32 exec_lo, exec_lo, s10
	s_wait_dscnt 0x0
	s_barrier_signal -1
	s_barrier_wait -1
	s_mov_b32 s10, exec_lo
	v_readlane_b32 s20, v77, 5
	s_and_b32 s20, s10, s20
	s_delay_alu instid0(SALU_CYCLE_1)
	s_mov_b32 exec_lo, s20
	s_cbranch_execz .LBB7_248
; %bb.247:                              ;   in Loop: Header=BB7_3 Depth=1
	ds_load_b32 v29, v48 offset:4416
	ds_load_b32 v30, v52
	s_wait_dscnt 0x0
	v_fmac_f32_e32 v28, v29, v30
.LBB7_248:                              ;   in Loop: Header=BB7_3 Depth=1
	s_or_b32 exec_lo, exec_lo, s10
	s_barrier_signal -1
	s_barrier_wait -1
	s_mov_b32 s10, exec_lo
	v_readlane_b32 s20, v77, 6
	s_and_b32 s20, s10, s20
	s_delay_alu instid0(SALU_CYCLE_1)
	s_mov_b32 exec_lo, s20
; %bb.249:                              ;   in Loop: Header=BB7_3 Depth=1
	ds_store_b32 v52, v28
; %bb.250:                              ;   in Loop: Header=BB7_3 Depth=1
	s_or_b32 exec_lo, exec_lo, s10
	s_wait_dscnt 0x0
	s_barrier_signal -1
	s_barrier_wait -1
	s_mov_b32 s10, exec_lo
	v_readlane_b32 s20, v77, 7
	s_and_b32 s20, s10, s20
	s_delay_alu instid0(SALU_CYCLE_1)
	s_mov_b32 exec_lo, s20
	s_cbranch_execz .LBB7_252
; %bb.251:                              ;   in Loop: Header=BB7_3 Depth=1
	ds_load_b32 v29, v48 offset:4672
	ds_load_b32 v30, v52
	s_wait_dscnt 0x0
	v_fmac_f32_e32 v28, v29, v30
.LBB7_252:                              ;   in Loop: Header=BB7_3 Depth=1
	s_or_b32 exec_lo, exec_lo, s10
	s_barrier_signal -1
	s_barrier_wait -1
	s_and_saveexec_b32 s10, s22
; %bb.253:                              ;   in Loop: Header=BB7_3 Depth=1
	ds_store_b32 v52, v28
; %bb.254:                              ;   in Loop: Header=BB7_3 Depth=1
	s_or_b32 exec_lo, exec_lo, s10
	s_wait_dscnt 0x0
	s_barrier_signal -1
	s_barrier_wait -1
	s_and_saveexec_b32 s10, s24
	s_cbranch_execz .LBB7_256
; %bb.255:                              ;   in Loop: Header=BB7_3 Depth=1
	ds_load_b32 v29, v48 offset:4928
	ds_load_b32 v30, v52
	s_wait_dscnt 0x0
	v_fmac_f32_e32 v28, v29, v30
.LBB7_256:                              ;   in Loop: Header=BB7_3 Depth=1
	s_or_b32 exec_lo, exec_lo, s10
	s_barrier_signal -1
	s_barrier_wait -1
	s_and_saveexec_b32 s10, s26
; %bb.257:                              ;   in Loop: Header=BB7_3 Depth=1
	ds_store_b32 v52, v28
; %bb.258:                              ;   in Loop: Header=BB7_3 Depth=1
	s_or_b32 exec_lo, exec_lo, s10
	s_wait_dscnt 0x0
	s_barrier_signal -1
	s_barrier_wait -1
	s_and_saveexec_b32 s10, s28
	;; [unrolled: 19-line block ×12, first 2 shown]
	s_cbranch_execz .LBB7_300
; %bb.299:                              ;   in Loop: Header=BB7_3 Depth=1
	ds_load_b32 v29, v3 offset:7804
	ds_load_b32 v30, v52
	s_wait_dscnt 0x0
	v_fmac_f32_e32 v28, v29, v30
.LBB7_300:                              ;   in Loop: Header=BB7_3 Depth=1
	s_or_b32 exec_lo, exec_lo, s10
	s_barrier_signal -1
	s_barrier_wait -1
	s_and_saveexec_b32 s10, s53
; %bb.301:                              ;   in Loop: Header=BB7_3 Depth=1
	ds_store_b32 v52, v28
; %bb.302:                              ;   in Loop: Header=BB7_3 Depth=1
	s_or_b32 exec_lo, exec_lo, s10
	s_wait_dscnt 0x0
	s_barrier_signal -1
	s_barrier_wait -1
	s_barrier_signal -1
	s_barrier_wait -1
	s_and_saveexec_b32 s10, s3
; %bb.303:                              ;   in Loop: Header=BB7_3 Depth=1
	v_xor_b32_e32 v28, 0x80000000, v28
	ds_store_b32 v53, v28 offset:64
; %bb.304:                              ;   in Loop: Header=BB7_3 Depth=1
	s_or_b32 exec_lo, exec_lo, s10
	s_wait_dscnt 0x0
	s_barrier_signal -1
	s_barrier_wait -1
	s_barrier_signal -1
	s_barrier_wait -1
	s_and_saveexec_b32 s10, s11
; %bb.305:                              ;   in Loop: Header=BB7_3 Depth=1
	v_add_nc_u32_e64 v28, 0x1000, 0
	ds_store_2addr_b32 v28, v64, v64 offset0:16 offset1:81
; %bb.306:                              ;   in Loop: Header=BB7_3 Depth=1
	s_or_b32 exec_lo, exec_lo, s10
	v_mov_b32_e32 v28, 0
	s_wait_dscnt 0x0
	s_barrier_signal -1
	s_barrier_wait -1
	s_and_saveexec_b32 s10, s0
	s_cbranch_execz .LBB7_310
; %bb.307:                              ;   in Loop: Header=BB7_3 Depth=1
	ds_load_b32 v28, v34 offset:4168
	ds_load_b32 v29, v35 offset:4160
	s_wait_dscnt 0x0
	v_fma_f32 v28, v28, v29, 0
	s_and_saveexec_b32 s20, s12
	s_cbranch_execz .LBB7_309
; %bb.308:                              ;   in Loop: Header=BB7_3 Depth=1
	ds_load_b32 v29, v38 offset:4424
	ds_load_b32 v30, v3 offset:4164
	s_wait_dscnt 0x0
	v_fmac_f32_e32 v28, v29, v30
.LBB7_309:                              ;   in Loop: Header=BB7_3 Depth=1
	s_or_b32 exec_lo, exec_lo, s20
	s_delay_alu instid0(VALU_DEP_1)
	v_xor_b32_e32 v28, 0x80000000, v28
.LBB7_310:                              ;   in Loop: Header=BB7_3 Depth=1
	s_or_b32 exec_lo, exec_lo, s10
	s_and_saveexec_b32 s10, s102
; %bb.311:                              ;   in Loop: Header=BB7_3 Depth=1
	ds_store_b32 v9, v28
; %bb.312:                              ;   in Loop: Header=BB7_3 Depth=1
	s_or_b32 exec_lo, exec_lo, s10
	s_wait_dscnt 0x0
	s_barrier_signal -1
	s_barrier_wait -1
	s_and_saveexec_b32 s10, s103
	s_cbranch_execz .LBB7_314
; %bb.313:                              ;   in Loop: Header=BB7_3 Depth=1
	ds_load_b32 v29, v3 offset:4684
	ds_load_b32 v30, v9
	s_wait_dscnt 0x0
	v_fmac_f32_e32 v28, v29, v30
.LBB7_314:                              ;   in Loop: Header=BB7_3 Depth=1
	s_or_b32 exec_lo, exec_lo, s10
	s_barrier_signal -1
	s_barrier_wait -1
	s_and_saveexec_b32 s10, s103
; %bb.315:                              ;   in Loop: Header=BB7_3 Depth=1
	ds_store_b32 v9, v28
; %bb.316:                              ;   in Loop: Header=BB7_3 Depth=1
	s_or_b32 exec_lo, exec_lo, s10
	s_wait_dscnt 0x0
	s_barrier_signal -1
	s_barrier_wait -1
	s_barrier_signal -1
	s_barrier_wait -1
	s_and_saveexec_b32 s10, s0
; %bb.317:                              ;   in Loop: Header=BB7_3 Depth=1
	v_xor_b32_e32 v28, 0x80000000, v28
	ds_store_b32 v34, v28 offset:4168
; %bb.318:                              ;   in Loop: Header=BB7_3 Depth=1
	s_or_b32 exec_lo, exec_lo, s10
	s_wait_dscnt 0x0
	s_barrier_signal -1
	s_barrier_wait -1
	s_barrier_signal -1
	s_barrier_wait -1
	s_and_saveexec_b32 s10, s11
; %bb.319:                              ;   in Loop: Header=BB7_3 Depth=1
	v_add_nc_u32_e64 v28, 0x1000, 0
	ds_store_2addr_b32 v28, v64, v64 offset0:146 offset1:211
; %bb.320:                              ;   in Loop: Header=BB7_3 Depth=1
	s_or_b32 exec_lo, exec_lo, s10
	v_mov_b32_e32 v28, 0
	s_wait_dscnt 0x0
	s_barrier_signal -1
	s_barrier_wait -1
	s_and_saveexec_b32 s10, s1
	s_cbranch_execz .LBB7_326
; %bb.321:                              ;   in Loop: Header=BB7_3 Depth=1
	ds_load_b32 v28, v40 offset:4176
	ds_load_b32 v29, v36 offset:4160
	s_wait_dscnt 0x0
	v_fma_f32 v28, v28, v29, 0
	s_and_saveexec_b32 s20, s13
	s_cbranch_execnz .LBB7_1127
; %bb.322:                              ;   in Loop: Header=BB7_3 Depth=1
	s_or_b32 exec_lo, exec_lo, s20
	s_and_saveexec_b32 s20, s14
	s_cbranch_execnz .LBB7_1128
.LBB7_323:                              ;   in Loop: Header=BB7_3 Depth=1
	s_or_b32 exec_lo, exec_lo, s20
	s_and_saveexec_b32 s20, s0
	s_cbranch_execz .LBB7_325
.LBB7_324:                              ;   in Loop: Header=BB7_3 Depth=1
	ds_load_b32 v29, v38 offset:4944
	ds_load_b32 v30, v3 offset:4172
	s_wait_dscnt 0x0
	v_fmac_f32_e32 v28, v29, v30
.LBB7_325:                              ;   in Loop: Header=BB7_3 Depth=1
	s_or_b32 exec_lo, exec_lo, s20
	s_delay_alu instid0(VALU_DEP_1)
	v_xor_b32_e32 v28, 0x80000000, v28
.LBB7_326:                              ;   in Loop: Header=BB7_3 Depth=1
	s_or_b32 exec_lo, exec_lo, s10
	s_and_saveexec_b32 s10, s104
; %bb.327:                              ;   in Loop: Header=BB7_3 Depth=1
	ds_store_b32 v39, v28
; %bb.328:                              ;   in Loop: Header=BB7_3 Depth=1
	s_or_b32 exec_lo, exec_lo, s10
	s_wait_dscnt 0x0
	s_barrier_signal -1
	s_barrier_wait -1
	s_and_saveexec_b32 s10, vcc_hi
	s_cbranch_execz .LBB7_330
; %bb.329:                              ;   in Loop: Header=BB7_3 Depth=1
	ds_load_b32 v29, v37 offset:5200
	ds_load_b32 v30, v39
	s_wait_dscnt 0x0
	v_fmac_f32_e32 v28, v29, v30
.LBB7_330:                              ;   in Loop: Header=BB7_3 Depth=1
	s_or_b32 exec_lo, exec_lo, s10
	s_barrier_signal -1
	s_barrier_wait -1
	s_and_saveexec_b32 s10, s31
; %bb.331:                              ;   in Loop: Header=BB7_3 Depth=1
	ds_store_b32 v39, v28
; %bb.332:                              ;   in Loop: Header=BB7_3 Depth=1
	s_or_b32 exec_lo, exec_lo, s10
	s_wait_dscnt 0x0
	s_barrier_signal -1
	s_barrier_wait -1
	s_and_saveexec_b32 s10, s33
	s_cbranch_execz .LBB7_334
; %bb.333:                              ;   in Loop: Header=BB7_3 Depth=1
	ds_load_b32 v29, v37 offset:5456
	ds_load_b32 v30, v39
	s_wait_dscnt 0x0
	v_fmac_f32_e32 v28, v29, v30
.LBB7_334:                              ;   in Loop: Header=BB7_3 Depth=1
	s_or_b32 exec_lo, exec_lo, s10
	s_barrier_signal -1
	s_barrier_wait -1
	s_and_saveexec_b32 s10, s34
; %bb.335:                              ;   in Loop: Header=BB7_3 Depth=1
	ds_store_b32 v39, v28
; %bb.336:                              ;   in Loop: Header=BB7_3 Depth=1
	s_or_b32 exec_lo, exec_lo, s10
	s_wait_dscnt 0x0
	s_barrier_signal -1
	s_barrier_wait -1
	s_and_saveexec_b32 s10, s35
	s_cbranch_execz .LBB7_338
; %bb.337:                              ;   in Loop: Header=BB7_3 Depth=1
	ds_load_b32 v29, v3 offset:5724
	ds_load_b32 v30, v39
	s_wait_dscnt 0x0
	v_fmac_f32_e32 v28, v29, v30
.LBB7_338:                              ;   in Loop: Header=BB7_3 Depth=1
	s_or_b32 exec_lo, exec_lo, s10
	s_barrier_signal -1
	s_barrier_wait -1
	s_and_saveexec_b32 s10, s35
; %bb.339:                              ;   in Loop: Header=BB7_3 Depth=1
	ds_store_b32 v39, v28
; %bb.340:                              ;   in Loop: Header=BB7_3 Depth=1
	s_or_b32 exec_lo, exec_lo, s10
	s_wait_dscnt 0x0
	s_barrier_signal -1
	s_barrier_wait -1
	s_barrier_signal -1
	s_barrier_wait -1
	s_and_saveexec_b32 s10, s1
; %bb.341:                              ;   in Loop: Header=BB7_3 Depth=1
	v_xor_b32_e32 v28, 0x80000000, v28
	ds_store_b32 v40, v28 offset:4176
; %bb.342:                              ;   in Loop: Header=BB7_3 Depth=1
	s_or_b32 exec_lo, exec_lo, s10
	s_wait_dscnt 0x0
	s_barrier_signal -1
	s_barrier_wait -1
	s_barrier_signal -1
	s_barrier_wait -1
	s_and_saveexec_b32 s10, s11
; %bb.343:                              ;   in Loop: Header=BB7_3 Depth=1
	v_add_nc_u32_e64 v28, 0x1400, 0
	ds_store_2addr_b32 v28, v64, v64 offset0:20 offset1:85
; %bb.344:                              ;   in Loop: Header=BB7_3 Depth=1
	s_or_b32 exec_lo, exec_lo, s10
	v_mov_b32_e32 v28, 0
	s_wait_dscnt 0x0
	s_barrier_signal -1
	s_barrier_wait -1
	s_and_saveexec_b32 s10, s0
	s_cbranch_execz .LBB7_348
; %bb.345:                              ;   in Loop: Header=BB7_3 Depth=1
	ds_load_b32 v28, v34 offset:5208
	ds_load_b32 v29, v35 offset:5200
	s_wait_dscnt 0x0
	v_fma_f32 v28, v28, v29, 0
	s_and_saveexec_b32 s20, s12
	s_cbranch_execz .LBB7_347
; %bb.346:                              ;   in Loop: Header=BB7_3 Depth=1
	ds_load_b32 v29, v38 offset:5464
	ds_load_b32 v30, v3 offset:5204
	s_wait_dscnt 0x0
	v_fmac_f32_e32 v28, v29, v30
.LBB7_347:                              ;   in Loop: Header=BB7_3 Depth=1
	s_or_b32 exec_lo, exec_lo, s20
	s_delay_alu instid0(VALU_DEP_1)
	v_xor_b32_e32 v28, 0x80000000, v28
.LBB7_348:                              ;   in Loop: Header=BB7_3 Depth=1
	s_or_b32 exec_lo, exec_lo, s10
	s_and_saveexec_b32 s10, s102
; %bb.349:                              ;   in Loop: Header=BB7_3 Depth=1
	ds_store_b32 v9, v28
; %bb.350:                              ;   in Loop: Header=BB7_3 Depth=1
	s_or_b32 exec_lo, exec_lo, s10
	s_wait_dscnt 0x0
	s_barrier_signal -1
	s_barrier_wait -1
	s_and_saveexec_b32 s10, s103
	s_cbranch_execz .LBB7_352
; %bb.351:                              ;   in Loop: Header=BB7_3 Depth=1
	ds_load_b32 v29, v3 offset:5724
	ds_load_b32 v30, v9
	s_wait_dscnt 0x0
	v_fmac_f32_e32 v28, v29, v30
.LBB7_352:                              ;   in Loop: Header=BB7_3 Depth=1
	s_or_b32 exec_lo, exec_lo, s10
	s_barrier_signal -1
	s_barrier_wait -1
	s_and_saveexec_b32 s10, s103
; %bb.353:                              ;   in Loop: Header=BB7_3 Depth=1
	ds_store_b32 v9, v28
; %bb.354:                              ;   in Loop: Header=BB7_3 Depth=1
	s_or_b32 exec_lo, exec_lo, s10
	s_wait_dscnt 0x0
	s_barrier_signal -1
	s_barrier_wait -1
	s_barrier_signal -1
	s_barrier_wait -1
	s_and_saveexec_b32 s10, s0
; %bb.355:                              ;   in Loop: Header=BB7_3 Depth=1
	v_xor_b32_e32 v28, 0x80000000, v28
	ds_store_b32 v34, v28 offset:5208
; %bb.356:                              ;   in Loop: Header=BB7_3 Depth=1
	s_or_b32 exec_lo, exec_lo, s10
	s_wait_dscnt 0x0
	s_barrier_signal -1
	s_barrier_wait -1
	s_barrier_signal -1
	s_barrier_wait -1
	s_and_saveexec_b32 s10, s11
; %bb.357:                              ;   in Loop: Header=BB7_3 Depth=1
	v_add_nc_u32_e64 v28, 0x1400, 0
	ds_store_2addr_b32 v28, v64, v64 offset0:150 offset1:215
; %bb.358:                              ;   in Loop: Header=BB7_3 Depth=1
	s_or_b32 exec_lo, exec_lo, s10
	v_mov_b32_e32 v28, 0
	s_wait_dscnt 0x0
	s_barrier_signal -1
	s_barrier_wait -1
	s_and_saveexec_b32 s10, s2
	s_cbranch_execz .LBB7_368
; %bb.359:                              ;   in Loop: Header=BB7_3 Depth=1
	ds_load_b32 v28, v46 offset:4192
	ds_load_b32 v29, v41 offset:4160
	s_wait_dscnt 0x0
	v_fma_f32 v28, v28, v29, 0
	s_and_saveexec_b32 s20, s15
	s_cbranch_execnz .LBB7_1129
; %bb.360:                              ;   in Loop: Header=BB7_3 Depth=1
	s_or_b32 exec_lo, exec_lo, s20
	s_and_saveexec_b32 s20, s16
	s_cbranch_execnz .LBB7_1130
.LBB7_361:                              ;   in Loop: Header=BB7_3 Depth=1
	s_or_b32 exec_lo, exec_lo, s20
	s_and_saveexec_b32 s20, s17
	s_cbranch_execnz .LBB7_1131
.LBB7_362:                              ;   in Loop: Header=BB7_3 Depth=1
	s_or_b32 exec_lo, exec_lo, s20
	s_and_saveexec_b32 s20, s18
	s_cbranch_execnz .LBB7_1132
.LBB7_363:                              ;   in Loop: Header=BB7_3 Depth=1
	s_or_b32 exec_lo, exec_lo, s20
	s_and_saveexec_b32 s20, s19
	s_cbranch_execnz .LBB7_1133
.LBB7_364:                              ;   in Loop: Header=BB7_3 Depth=1
	s_or_b32 exec_lo, exec_lo, s20
	s_and_saveexec_b32 s20, s1
	s_cbranch_execnz .LBB7_1134
.LBB7_365:                              ;   in Loop: Header=BB7_3 Depth=1
	s_or_b32 exec_lo, exec_lo, s20
	s_and_saveexec_b32 s20, s14
	s_cbranch_execz .LBB7_367
.LBB7_366:                              ;   in Loop: Header=BB7_3 Depth=1
	ds_load_b32 v29, v38 offset:5984
	ds_load_b32 v30, v3 offset:4188
	s_wait_dscnt 0x0
	v_fmac_f32_e32 v28, v29, v30
.LBB7_367:                              ;   in Loop: Header=BB7_3 Depth=1
	s_or_b32 exec_lo, exec_lo, s20
	s_delay_alu instid0(VALU_DEP_1)
	v_xor_b32_e32 v28, 0x80000000, v28
.LBB7_368:                              ;   in Loop: Header=BB7_3 Depth=1
	s_or_b32 exec_lo, exec_lo, s10
	s_and_saveexec_b32 s10, s36
; %bb.369:                              ;   in Loop: Header=BB7_3 Depth=1
	ds_store_b32 v43, v28
; %bb.370:                              ;   in Loop: Header=BB7_3 Depth=1
	s_or_b32 exec_lo, exec_lo, s10
	s_wait_dscnt 0x0
	s_barrier_signal -1
	s_barrier_wait -1
	s_and_saveexec_b32 s10, s37
	s_cbranch_execz .LBB7_372
; %bb.371:                              ;   in Loop: Header=BB7_3 Depth=1
	ds_load_b32 v29, v44 offset:6240
	ds_load_b32 v30, v43
	s_wait_dscnt 0x0
	v_fmac_f32_e32 v28, v29, v30
.LBB7_372:                              ;   in Loop: Header=BB7_3 Depth=1
	s_or_b32 exec_lo, exec_lo, s10
	s_barrier_signal -1
	s_barrier_wait -1
	s_and_saveexec_b32 s10, s38
; %bb.373:                              ;   in Loop: Header=BB7_3 Depth=1
	ds_store_b32 v43, v28
; %bb.374:                              ;   in Loop: Header=BB7_3 Depth=1
	s_or_b32 exec_lo, exec_lo, s10
	s_wait_dscnt 0x0
	s_barrier_signal -1
	s_barrier_wait -1
	s_and_saveexec_b32 s10, s39
	s_cbranch_execz .LBB7_376
; %bb.375:                              ;   in Loop: Header=BB7_3 Depth=1
	ds_load_b32 v29, v44 offset:6496
	ds_load_b32 v30, v43
	s_wait_dscnt 0x0
	v_fmac_f32_e32 v28, v29, v30
.LBB7_376:                              ;   in Loop: Header=BB7_3 Depth=1
	s_or_b32 exec_lo, exec_lo, s10
	s_barrier_signal -1
	s_barrier_wait -1
	;; [unrolled: 19-line block ×7, first 2 shown]
	s_and_saveexec_b32 s10, s49
; %bb.397:                              ;   in Loop: Header=BB7_3 Depth=1
	ds_store_b32 v43, v28
; %bb.398:                              ;   in Loop: Header=BB7_3 Depth=1
	s_or_b32 exec_lo, exec_lo, s10
	s_wait_dscnt 0x0
	s_barrier_signal -1
	s_barrier_wait -1
	s_barrier_signal -1
	s_barrier_wait -1
	s_and_saveexec_b32 s10, s2
; %bb.399:                              ;   in Loop: Header=BB7_3 Depth=1
	v_xor_b32_e32 v28, 0x80000000, v28
	ds_store_b32 v46, v28 offset:4192
; %bb.400:                              ;   in Loop: Header=BB7_3 Depth=1
	s_or_b32 exec_lo, exec_lo, s10
	s_wait_dscnt 0x0
	s_barrier_signal -1
	s_barrier_wait -1
	s_barrier_signal -1
	s_barrier_wait -1
	s_and_saveexec_b32 s10, s11
; %bb.401:                              ;   in Loop: Header=BB7_3 Depth=1
	v_add_nc_u32_e64 v28, 0x1800, 0
	ds_store_2addr_b32 v28, v64, v64 offset0:24 offset1:89
; %bb.402:                              ;   in Loop: Header=BB7_3 Depth=1
	s_or_b32 exec_lo, exec_lo, s10
	v_mov_b32_e32 v28, 0
	s_wait_dscnt 0x0
	s_barrier_signal -1
	s_barrier_wait -1
	s_and_saveexec_b32 s10, s0
	s_cbranch_execz .LBB7_406
; %bb.403:                              ;   in Loop: Header=BB7_3 Depth=1
	ds_load_b32 v28, v34 offset:6248
	ds_load_b32 v29, v35 offset:6240
	s_wait_dscnt 0x0
	v_fma_f32 v28, v28, v29, 0
	s_and_saveexec_b32 s20, s12
	s_cbranch_execz .LBB7_405
; %bb.404:                              ;   in Loop: Header=BB7_3 Depth=1
	ds_load_b32 v29, v38 offset:6504
	ds_load_b32 v30, v3 offset:6244
	s_wait_dscnt 0x0
	v_fmac_f32_e32 v28, v29, v30
.LBB7_405:                              ;   in Loop: Header=BB7_3 Depth=1
	s_or_b32 exec_lo, exec_lo, s20
	s_delay_alu instid0(VALU_DEP_1)
	v_xor_b32_e32 v28, 0x80000000, v28
.LBB7_406:                              ;   in Loop: Header=BB7_3 Depth=1
	s_or_b32 exec_lo, exec_lo, s10
	s_and_saveexec_b32 s10, s102
; %bb.407:                              ;   in Loop: Header=BB7_3 Depth=1
	ds_store_b32 v9, v28
; %bb.408:                              ;   in Loop: Header=BB7_3 Depth=1
	s_or_b32 exec_lo, exec_lo, s10
	s_wait_dscnt 0x0
	s_barrier_signal -1
	s_barrier_wait -1
	s_and_saveexec_b32 s10, s103
	s_cbranch_execz .LBB7_410
; %bb.409:                              ;   in Loop: Header=BB7_3 Depth=1
	ds_load_b32 v29, v3 offset:6764
	ds_load_b32 v30, v9
	s_wait_dscnt 0x0
	v_fmac_f32_e32 v28, v29, v30
.LBB7_410:                              ;   in Loop: Header=BB7_3 Depth=1
	s_or_b32 exec_lo, exec_lo, s10
	s_barrier_signal -1
	s_barrier_wait -1
	s_and_saveexec_b32 s10, s103
; %bb.411:                              ;   in Loop: Header=BB7_3 Depth=1
	ds_store_b32 v9, v28
; %bb.412:                              ;   in Loop: Header=BB7_3 Depth=1
	s_or_b32 exec_lo, exec_lo, s10
	s_wait_dscnt 0x0
	s_barrier_signal -1
	s_barrier_wait -1
	s_barrier_signal -1
	s_barrier_wait -1
	s_and_saveexec_b32 s10, s0
; %bb.413:                              ;   in Loop: Header=BB7_3 Depth=1
	v_xor_b32_e32 v28, 0x80000000, v28
	ds_store_b32 v34, v28 offset:6248
; %bb.414:                              ;   in Loop: Header=BB7_3 Depth=1
	s_or_b32 exec_lo, exec_lo, s10
	s_wait_dscnt 0x0
	s_barrier_signal -1
	s_barrier_wait -1
	s_barrier_signal -1
	s_barrier_wait -1
	s_and_saveexec_b32 s10, s11
; %bb.415:                              ;   in Loop: Header=BB7_3 Depth=1
	v_add_nc_u32_e64 v28, 0x1800, 0
	ds_store_2addr_b32 v28, v64, v64 offset0:154 offset1:219
; %bb.416:                              ;   in Loop: Header=BB7_3 Depth=1
	s_or_b32 exec_lo, exec_lo, s10
	v_mov_b32_e32 v28, 0
	s_wait_dscnt 0x0
	s_barrier_signal -1
	s_barrier_wait -1
	s_and_saveexec_b32 s10, s1
	s_cbranch_execz .LBB7_422
; %bb.417:                              ;   in Loop: Header=BB7_3 Depth=1
	ds_load_b32 v28, v40 offset:6256
	ds_load_b32 v29, v36 offset:6240
	s_wait_dscnt 0x0
	v_fma_f32 v28, v28, v29, 0
	s_and_saveexec_b32 s20, s13
	s_cbranch_execnz .LBB7_1135
; %bb.418:                              ;   in Loop: Header=BB7_3 Depth=1
	s_or_b32 exec_lo, exec_lo, s20
	s_and_saveexec_b32 s20, s14
	s_cbranch_execnz .LBB7_1136
.LBB7_419:                              ;   in Loop: Header=BB7_3 Depth=1
	s_or_b32 exec_lo, exec_lo, s20
	s_and_saveexec_b32 s20, s0
	s_cbranch_execz .LBB7_421
.LBB7_420:                              ;   in Loop: Header=BB7_3 Depth=1
	ds_load_b32 v29, v38 offset:7024
	ds_load_b32 v30, v3 offset:6252
	s_wait_dscnt 0x0
	v_fmac_f32_e32 v28, v29, v30
.LBB7_421:                              ;   in Loop: Header=BB7_3 Depth=1
	s_or_b32 exec_lo, exec_lo, s20
	s_delay_alu instid0(VALU_DEP_1)
	v_xor_b32_e32 v28, 0x80000000, v28
.LBB7_422:                              ;   in Loop: Header=BB7_3 Depth=1
	s_or_b32 exec_lo, exec_lo, s10
	s_and_saveexec_b32 s10, s104
; %bb.423:                              ;   in Loop: Header=BB7_3 Depth=1
	ds_store_b32 v39, v28
; %bb.424:                              ;   in Loop: Header=BB7_3 Depth=1
	s_or_b32 exec_lo, exec_lo, s10
	s_wait_dscnt 0x0
	s_barrier_signal -1
	s_barrier_wait -1
	s_and_saveexec_b32 s10, vcc_hi
	s_cbranch_execz .LBB7_426
; %bb.425:                              ;   in Loop: Header=BB7_3 Depth=1
	ds_load_b32 v29, v37 offset:7280
	ds_load_b32 v30, v39
	s_wait_dscnt 0x0
	v_fmac_f32_e32 v28, v29, v30
.LBB7_426:                              ;   in Loop: Header=BB7_3 Depth=1
	s_or_b32 exec_lo, exec_lo, s10
	s_barrier_signal -1
	s_barrier_wait -1
	s_and_saveexec_b32 s10, s31
; %bb.427:                              ;   in Loop: Header=BB7_3 Depth=1
	ds_store_b32 v39, v28
; %bb.428:                              ;   in Loop: Header=BB7_3 Depth=1
	s_or_b32 exec_lo, exec_lo, s10
	s_wait_dscnt 0x0
	s_barrier_signal -1
	s_barrier_wait -1
	s_and_saveexec_b32 s10, s33
	s_cbranch_execz .LBB7_430
; %bb.429:                              ;   in Loop: Header=BB7_3 Depth=1
	ds_load_b32 v29, v37 offset:7536
	ds_load_b32 v30, v39
	s_wait_dscnt 0x0
	v_fmac_f32_e32 v28, v29, v30
.LBB7_430:                              ;   in Loop: Header=BB7_3 Depth=1
	s_or_b32 exec_lo, exec_lo, s10
	s_barrier_signal -1
	s_barrier_wait -1
	s_and_saveexec_b32 s10, s34
; %bb.431:                              ;   in Loop: Header=BB7_3 Depth=1
	ds_store_b32 v39, v28
; %bb.432:                              ;   in Loop: Header=BB7_3 Depth=1
	s_or_b32 exec_lo, exec_lo, s10
	s_wait_dscnt 0x0
	s_barrier_signal -1
	s_barrier_wait -1
	s_and_saveexec_b32 s10, s35
	s_cbranch_execz .LBB7_434
; %bb.433:                              ;   in Loop: Header=BB7_3 Depth=1
	ds_load_b32 v29, v3 offset:7804
	ds_load_b32 v30, v39
	s_wait_dscnt 0x0
	v_fmac_f32_e32 v28, v29, v30
.LBB7_434:                              ;   in Loop: Header=BB7_3 Depth=1
	s_or_b32 exec_lo, exec_lo, s10
	s_barrier_signal -1
	s_barrier_wait -1
	s_and_saveexec_b32 s10, s35
; %bb.435:                              ;   in Loop: Header=BB7_3 Depth=1
	ds_store_b32 v39, v28
; %bb.436:                              ;   in Loop: Header=BB7_3 Depth=1
	s_or_b32 exec_lo, exec_lo, s10
	s_wait_dscnt 0x0
	s_barrier_signal -1
	s_barrier_wait -1
	s_barrier_signal -1
	s_barrier_wait -1
	s_and_saveexec_b32 s10, s1
; %bb.437:                              ;   in Loop: Header=BB7_3 Depth=1
	v_xor_b32_e32 v28, 0x80000000, v28
	ds_store_b32 v40, v28 offset:6256
; %bb.438:                              ;   in Loop: Header=BB7_3 Depth=1
	s_or_b32 exec_lo, exec_lo, s10
	s_wait_dscnt 0x0
	s_barrier_signal -1
	s_barrier_wait -1
	s_barrier_signal -1
	s_barrier_wait -1
	s_and_saveexec_b32 s10, s11
; %bb.439:                              ;   in Loop: Header=BB7_3 Depth=1
	v_add_nc_u32_e64 v28, 0x1c00, 0
	ds_store_2addr_b32 v28, v64, v64 offset0:28 offset1:93
; %bb.440:                              ;   in Loop: Header=BB7_3 Depth=1
	s_or_b32 exec_lo, exec_lo, s10
	v_mov_b32_e32 v28, 0
	s_wait_dscnt 0x0
	s_barrier_signal -1
	s_barrier_wait -1
	s_and_saveexec_b32 s10, s0
	s_cbranch_execz .LBB7_444
; %bb.441:                              ;   in Loop: Header=BB7_3 Depth=1
	ds_load_b32 v28, v34 offset:7288
	ds_load_b32 v29, v35 offset:7280
	s_wait_dscnt 0x0
	v_fma_f32 v28, v28, v29, 0
	s_and_saveexec_b32 s20, s12
	s_cbranch_execz .LBB7_443
; %bb.442:                              ;   in Loop: Header=BB7_3 Depth=1
	ds_load_b32 v29, v38 offset:7544
	ds_load_b32 v30, v3 offset:7284
	s_wait_dscnt 0x0
	v_fmac_f32_e32 v28, v29, v30
.LBB7_443:                              ;   in Loop: Header=BB7_3 Depth=1
	s_or_b32 exec_lo, exec_lo, s20
	s_delay_alu instid0(VALU_DEP_1)
	v_xor_b32_e32 v28, 0x80000000, v28
.LBB7_444:                              ;   in Loop: Header=BB7_3 Depth=1
	s_or_b32 exec_lo, exec_lo, s10
	s_and_saveexec_b32 s10, s102
; %bb.445:                              ;   in Loop: Header=BB7_3 Depth=1
	ds_store_b32 v9, v28
; %bb.446:                              ;   in Loop: Header=BB7_3 Depth=1
	s_or_b32 exec_lo, exec_lo, s10
	s_wait_dscnt 0x0
	s_barrier_signal -1
	s_barrier_wait -1
	s_and_saveexec_b32 s10, s103
	s_cbranch_execz .LBB7_448
; %bb.447:                              ;   in Loop: Header=BB7_3 Depth=1
	ds_load_b32 v29, v3 offset:7804
	ds_load_b32 v30, v9
	s_wait_dscnt 0x0
	v_fmac_f32_e32 v28, v29, v30
.LBB7_448:                              ;   in Loop: Header=BB7_3 Depth=1
	s_or_b32 exec_lo, exec_lo, s10
	s_barrier_signal -1
	s_barrier_wait -1
	s_and_saveexec_b32 s10, s103
; %bb.449:                              ;   in Loop: Header=BB7_3 Depth=1
	ds_store_b32 v9, v28
; %bb.450:                              ;   in Loop: Header=BB7_3 Depth=1
	s_or_b32 exec_lo, exec_lo, s10
	s_wait_dscnt 0x0
	s_barrier_signal -1
	s_barrier_wait -1
	s_barrier_signal -1
	s_barrier_wait -1
	s_and_saveexec_b32 s10, s0
; %bb.451:                              ;   in Loop: Header=BB7_3 Depth=1
	v_xor_b32_e32 v28, 0x80000000, v28
	ds_store_b32 v34, v28 offset:7288
; %bb.452:                              ;   in Loop: Header=BB7_3 Depth=1
	s_or_b32 exec_lo, exec_lo, s10
	s_wait_dscnt 0x0
	s_barrier_signal -1
	s_barrier_wait -1
	s_barrier_signal -1
	s_barrier_wait -1
	s_and_saveexec_b32 s10, s11
; %bb.453:                              ;   in Loop: Header=BB7_3 Depth=1
	v_add_nc_u32_e64 v28, 0x1c00, 0
	ds_store_2addr_b32 v28, v64, v64 offset0:158 offset1:223
; %bb.454:                              ;   in Loop: Header=BB7_3 Depth=1
	s_or_b32 exec_lo, exec_lo, s10
	v_mov_b32_e32 v28, 0
	s_wait_dscnt 0x0
	s_barrier_signal -1
	s_barrier_wait -1
	s_and_saveexec_b32 s65, s4
	s_cbranch_execz .LBB7_516
; %bb.455:                              ;   in Loop: Header=BB7_3 Depth=1
	v_add_nc_u32_e32 v29, v50, v49
	ds_load_b32 v28, v56 offset:128
	ds_load_b32 v30, v29
	s_wait_dscnt 0x0
	v_fma_f32 v28, v28, v30, 0
	s_mov_b32 s10, exec_lo
	v_readlane_b32 s20, v75, 30
	s_and_b32 s20, s10, s20
	s_delay_alu instid0(SALU_CYCLE_1)
	s_mov_b32 exec_lo, s20
	s_cbranch_execz .LBB7_457
; %bb.456:                              ;   in Loop: Header=BB7_3 Depth=1
	ds_load_b32 v30, v56 offset:384
	ds_load_b32 v31, v29 offset:4
	s_wait_dscnt 0x0
	v_fmac_f32_e32 v28, v30, v31
.LBB7_457:                              ;   in Loop: Header=BB7_3 Depth=1
	s_or_b32 exec_lo, exec_lo, s10
	s_delay_alu instid0(SALU_CYCLE_1) | instskip(SKIP_2) | instid1(SALU_CYCLE_1)
	s_mov_b32 s10, exec_lo
	v_readlane_b32 s20, v75, 31
	s_and_b32 s20, s10, s20
	s_mov_b32 exec_lo, s20
	s_cbranch_execz .LBB7_459
; %bb.458:                              ;   in Loop: Header=BB7_3 Depth=1
	ds_load_b32 v30, v56 offset:640
	ds_load_b32 v31, v29 offset:8
	s_wait_dscnt 0x0
	v_fmac_f32_e32 v28, v30, v31
.LBB7_459:                              ;   in Loop: Header=BB7_3 Depth=1
	s_or_b32 exec_lo, exec_lo, s10
	s_delay_alu instid0(SALU_CYCLE_1) | instskip(SKIP_2) | instid1(SALU_CYCLE_1)
	s_mov_b32 s10, exec_lo
	v_readlane_b32 s20, v74, 0
	s_and_b32 s20, s10, s20
	;; [unrolled: 13-line block ×22, first 2 shown]
	s_mov_b32 exec_lo, s20
	s_cbranch_execz .LBB7_501
; %bb.500:                              ;   in Loop: Header=BB7_3 Depth=1
	ds_load_b32 v30, v56 offset:6016
	ds_load_b32 v31, v29 offset:92
	s_wait_dscnt 0x0
	v_fmac_f32_e32 v28, v30, v31
.LBB7_501:                              ;   in Loop: Header=BB7_3 Depth=1
	s_or_b32 exec_lo, exec_lo, s10
	s_and_saveexec_b32 s10, s3
	s_cbranch_execz .LBB7_503
; %bb.502:                              ;   in Loop: Header=BB7_3 Depth=1
	ds_load_b32 v30, v56 offset:6272
	ds_load_b32 v31, v29 offset:96
	s_wait_dscnt 0x0
	v_fmac_f32_e32 v28, v30, v31
.LBB7_503:                              ;   in Loop: Header=BB7_3 Depth=1
	s_or_b32 exec_lo, exec_lo, s10
	s_delay_alu instid0(SALU_CYCLE_1) | instskip(SKIP_2) | instid1(SALU_CYCLE_1)
	s_mov_b32 s10, exec_lo
	v_readlane_b32 s20, v75, 20
	s_and_b32 s20, s10, s20
	s_mov_b32 exec_lo, s20
	s_cbranch_execz .LBB7_505
; %bb.504:                              ;   in Loop: Header=BB7_3 Depth=1
	ds_load_b32 v30, v56 offset:6528
	ds_load_b32 v31, v29 offset:100
	s_wait_dscnt 0x0
	v_fmac_f32_e32 v28, v30, v31
.LBB7_505:                              ;   in Loop: Header=BB7_3 Depth=1
	s_or_b32 exec_lo, exec_lo, s10
	s_delay_alu instid0(SALU_CYCLE_1) | instskip(SKIP_2) | instid1(SALU_CYCLE_1)
	s_mov_b32 s10, exec_lo
	v_readlane_b32 s20, v75, 22
	s_and_b32 s20, s10, s20
	s_mov_b32 exec_lo, s20
	;; [unrolled: 13-line block ×5, first 2 shown]
	s_cbranch_execnz .LBB7_1137
; %bb.512:                              ;   in Loop: Header=BB7_3 Depth=1
	s_or_b32 exec_lo, exec_lo, s10
	s_and_saveexec_b32 s10, s2
	s_cbranch_execnz .LBB7_1138
.LBB7_513:                              ;   in Loop: Header=BB7_3 Depth=1
	s_or_b32 exec_lo, exec_lo, s10
	s_and_saveexec_b32 s10, s18
	s_cbranch_execz .LBB7_515
.LBB7_514:                              ;   in Loop: Header=BB7_3 Depth=1
	ds_load_b32 v29, v38 offset:8064
	ds_load_b32 v30, v3 offset:124
	s_wait_dscnt 0x0
	v_fmac_f32_e32 v28, v29, v30
.LBB7_515:                              ;   in Loop: Header=BB7_3 Depth=1
	s_or_b32 exec_lo, exec_lo, s10
	s_delay_alu instid0(VALU_DEP_1)
	v_xor_b32_e32 v28, 0x80000000, v28
.LBB7_516:                              ;   in Loop: Header=BB7_3 Depth=1
	s_or_b32 exec_lo, exec_lo, s65
	s_delay_alu instid0(SALU_CYCLE_1) | instskip(SKIP_2) | instid1(SALU_CYCLE_1)
	s_mov_b32 s10, exec_lo
	v_readlane_b32 s20, v77, 8
	s_and_b32 s20, s10, s20
	s_mov_b32 exec_lo, s20
; %bb.517:                              ;   in Loop: Header=BB7_3 Depth=1
	ds_store_b32 v55, v28
; %bb.518:                              ;   in Loop: Header=BB7_3 Depth=1
	s_or_b32 exec_lo, exec_lo, s10
	s_wait_dscnt 0x0
	s_barrier_signal -1
	s_barrier_wait -1
	s_mov_b32 s10, exec_lo
	v_readlane_b32 s20, v77, 9
	s_and_b32 s20, s10, s20
	s_delay_alu instid0(SALU_CYCLE_1)
	s_mov_b32 exec_lo, s20
	s_cbranch_execz .LBB7_520
; %bb.519:                              ;   in Loop: Header=BB7_3 Depth=1
	ds_load_b32 v29, v51 offset:8320
	ds_load_b32 v30, v55
	s_wait_dscnt 0x0
	v_fmac_f32_e32 v28, v29, v30
.LBB7_520:                              ;   in Loop: Header=BB7_3 Depth=1
	s_or_b32 exec_lo, exec_lo, s10
	s_barrier_signal -1
	s_barrier_wait -1
	s_mov_b32 s10, exec_lo
	v_readlane_b32 s20, v77, 10
	s_and_b32 s20, s10, s20
	s_delay_alu instid0(SALU_CYCLE_1)
	s_mov_b32 exec_lo, s20
; %bb.521:                              ;   in Loop: Header=BB7_3 Depth=1
	ds_store_b32 v55, v28
; %bb.522:                              ;   in Loop: Header=BB7_3 Depth=1
	s_or_b32 exec_lo, exec_lo, s10
	s_wait_dscnt 0x0
	s_barrier_signal -1
	s_barrier_wait -1
	s_mov_b32 s10, exec_lo
	v_readlane_b32 s20, v77, 11
	s_and_b32 s20, s10, s20
	s_delay_alu instid0(SALU_CYCLE_1)
	s_mov_b32 exec_lo, s20
	s_cbranch_execz .LBB7_524
; %bb.523:                              ;   in Loop: Header=BB7_3 Depth=1
	ds_load_b32 v29, v51 offset:8576
	ds_load_b32 v30, v55
	s_wait_dscnt 0x0
	v_fmac_f32_e32 v28, v29, v30
.LBB7_524:                              ;   in Loop: Header=BB7_3 Depth=1
	s_or_b32 exec_lo, exec_lo, s10
	s_barrier_signal -1
	s_barrier_wait -1
	s_mov_b32 s10, exec_lo
	v_readlane_b32 s20, v77, 12
	s_and_b32 s20, s10, s20
	s_delay_alu instid0(SALU_CYCLE_1)
	;; [unrolled: 27-line block ×30, first 2 shown]
	s_mov_b32 exec_lo, s20
; %bb.637:                              ;   in Loop: Header=BB7_3 Depth=1
	ds_store_b32 v55, v28
; %bb.638:                              ;   in Loop: Header=BB7_3 Depth=1
	s_or_b32 exec_lo, exec_lo, s10
	s_wait_dscnt 0x0
	s_barrier_signal -1
	s_barrier_wait -1
	s_and_saveexec_b32 s10, s8
	s_cbranch_execz .LBB7_640
; %bb.639:                              ;   in Loop: Header=BB7_3 Depth=1
	ds_load_b32 v29, v3 offset:16124
	ds_load_b32 v30, v55
	s_wait_dscnt 0x0
	v_fmac_f32_e32 v28, v29, v30
.LBB7_640:                              ;   in Loop: Header=BB7_3 Depth=1
	s_or_b32 exec_lo, exec_lo, s10
	s_barrier_signal -1
	s_barrier_wait -1
	s_and_saveexec_b32 s10, s8
; %bb.641:                              ;   in Loop: Header=BB7_3 Depth=1
	ds_store_b32 v55, v28
; %bb.642:                              ;   in Loop: Header=BB7_3 Depth=1
	s_or_b32 exec_lo, exec_lo, s10
	s_wait_dscnt 0x0
	s_barrier_signal -1
	s_barrier_wait -1
	s_barrier_signal -1
	s_barrier_wait -1
	s_and_saveexec_b32 s10, s4
; %bb.643:                              ;   in Loop: Header=BB7_3 Depth=1
	v_xor_b32_e32 v28, 0x80000000, v28
	ds_store_b32 v56, v28 offset:128
; %bb.644:                              ;   in Loop: Header=BB7_3 Depth=1
	s_or_b32 exec_lo, exec_lo, s10
	s_wait_dscnt 0x0
	s_barrier_signal -1
	s_barrier_wait -1
	s_barrier_signal -1
	s_barrier_wait -1
	s_and_saveexec_b32 s10, s11
; %bb.645:                              ;   in Loop: Header=BB7_3 Depth=1
	v_add_nc_u32_e64 v28, 0x2000, 0
	ds_store_2addr_b32 v28, v64, v64 offset0:32 offset1:97
; %bb.646:                              ;   in Loop: Header=BB7_3 Depth=1
	s_or_b32 exec_lo, exec_lo, s10
	v_mov_b32_e32 v28, 0
	s_wait_dscnt 0x0
	s_barrier_signal -1
	s_barrier_wait -1
	s_and_saveexec_b32 s10, s0
	s_cbranch_execz .LBB7_650
; %bb.647:                              ;   in Loop: Header=BB7_3 Depth=1
	ds_load_b32 v28, v34 offset:8328
	ds_load_b32 v29, v35 offset:8320
	s_wait_dscnt 0x0
	v_fma_f32 v28, v28, v29, 0
	s_and_saveexec_b32 s20, s12
	s_cbranch_execz .LBB7_649
; %bb.648:                              ;   in Loop: Header=BB7_3 Depth=1
	ds_load_b32 v29, v38 offset:8584
	ds_load_b32 v30, v3 offset:8324
	s_wait_dscnt 0x0
	v_fmac_f32_e32 v28, v29, v30
.LBB7_649:                              ;   in Loop: Header=BB7_3 Depth=1
	s_or_b32 exec_lo, exec_lo, s20
	s_delay_alu instid0(VALU_DEP_1)
	v_xor_b32_e32 v28, 0x80000000, v28
.LBB7_650:                              ;   in Loop: Header=BB7_3 Depth=1
	s_or_b32 exec_lo, exec_lo, s10
	s_and_saveexec_b32 s10, s102
; %bb.651:                              ;   in Loop: Header=BB7_3 Depth=1
	ds_store_b32 v9, v28
; %bb.652:                              ;   in Loop: Header=BB7_3 Depth=1
	s_or_b32 exec_lo, exec_lo, s10
	s_wait_dscnt 0x0
	s_barrier_signal -1
	s_barrier_wait -1
	s_and_saveexec_b32 s10, s103
	s_cbranch_execz .LBB7_654
; %bb.653:                              ;   in Loop: Header=BB7_3 Depth=1
	ds_load_b32 v29, v3 offset:8844
	ds_load_b32 v30, v9
	s_wait_dscnt 0x0
	v_fmac_f32_e32 v28, v29, v30
.LBB7_654:                              ;   in Loop: Header=BB7_3 Depth=1
	s_or_b32 exec_lo, exec_lo, s10
	s_barrier_signal -1
	s_barrier_wait -1
	s_and_saveexec_b32 s10, s103
; %bb.655:                              ;   in Loop: Header=BB7_3 Depth=1
	ds_store_b32 v9, v28
; %bb.656:                              ;   in Loop: Header=BB7_3 Depth=1
	s_or_b32 exec_lo, exec_lo, s10
	s_wait_dscnt 0x0
	s_barrier_signal -1
	s_barrier_wait -1
	s_barrier_signal -1
	s_barrier_wait -1
	s_and_saveexec_b32 s10, s0
; %bb.657:                              ;   in Loop: Header=BB7_3 Depth=1
	v_xor_b32_e32 v28, 0x80000000, v28
	ds_store_b32 v34, v28 offset:8328
; %bb.658:                              ;   in Loop: Header=BB7_3 Depth=1
	s_or_b32 exec_lo, exec_lo, s10
	s_wait_dscnt 0x0
	s_barrier_signal -1
	s_barrier_wait -1
	s_barrier_signal -1
	s_barrier_wait -1
	s_and_saveexec_b32 s10, s11
; %bb.659:                              ;   in Loop: Header=BB7_3 Depth=1
	v_add_nc_u32_e64 v28, 0x2000, 0
	ds_store_2addr_b32 v28, v64, v64 offset0:162 offset1:227
; %bb.660:                              ;   in Loop: Header=BB7_3 Depth=1
	s_or_b32 exec_lo, exec_lo, s10
	v_mov_b32_e32 v28, 0
	s_wait_dscnt 0x0
	s_barrier_signal -1
	s_barrier_wait -1
	s_and_saveexec_b32 s10, s1
	s_cbranch_execz .LBB7_666
; %bb.661:                              ;   in Loop: Header=BB7_3 Depth=1
	ds_load_b32 v28, v40 offset:8336
	ds_load_b32 v29, v36 offset:8320
	s_wait_dscnt 0x0
	v_fma_f32 v28, v28, v29, 0
	s_and_saveexec_b32 s20, s13
	s_cbranch_execnz .LBB7_1139
; %bb.662:                              ;   in Loop: Header=BB7_3 Depth=1
	s_or_b32 exec_lo, exec_lo, s20
	s_and_saveexec_b32 s20, s14
	s_cbranch_execnz .LBB7_1140
.LBB7_663:                              ;   in Loop: Header=BB7_3 Depth=1
	s_or_b32 exec_lo, exec_lo, s20
	s_and_saveexec_b32 s20, s0
	s_cbranch_execz .LBB7_665
.LBB7_664:                              ;   in Loop: Header=BB7_3 Depth=1
	ds_load_b32 v29, v38 offset:9104
	ds_load_b32 v30, v3 offset:8332
	s_wait_dscnt 0x0
	v_fmac_f32_e32 v28, v29, v30
.LBB7_665:                              ;   in Loop: Header=BB7_3 Depth=1
	s_or_b32 exec_lo, exec_lo, s20
	s_delay_alu instid0(VALU_DEP_1)
	v_xor_b32_e32 v28, 0x80000000, v28
.LBB7_666:                              ;   in Loop: Header=BB7_3 Depth=1
	s_or_b32 exec_lo, exec_lo, s10
	s_and_saveexec_b32 s10, s104
; %bb.667:                              ;   in Loop: Header=BB7_3 Depth=1
	ds_store_b32 v39, v28
; %bb.668:                              ;   in Loop: Header=BB7_3 Depth=1
	s_or_b32 exec_lo, exec_lo, s10
	s_wait_dscnt 0x0
	s_barrier_signal -1
	s_barrier_wait -1
	s_and_saveexec_b32 s10, vcc_hi
	s_cbranch_execz .LBB7_670
; %bb.669:                              ;   in Loop: Header=BB7_3 Depth=1
	ds_load_b32 v29, v37 offset:9360
	ds_load_b32 v30, v39
	s_wait_dscnt 0x0
	v_fmac_f32_e32 v28, v29, v30
.LBB7_670:                              ;   in Loop: Header=BB7_3 Depth=1
	s_or_b32 exec_lo, exec_lo, s10
	s_barrier_signal -1
	s_barrier_wait -1
	s_and_saveexec_b32 s10, s31
; %bb.671:                              ;   in Loop: Header=BB7_3 Depth=1
	ds_store_b32 v39, v28
; %bb.672:                              ;   in Loop: Header=BB7_3 Depth=1
	s_or_b32 exec_lo, exec_lo, s10
	s_wait_dscnt 0x0
	s_barrier_signal -1
	s_barrier_wait -1
	s_and_saveexec_b32 s10, s33
	s_cbranch_execz .LBB7_674
; %bb.673:                              ;   in Loop: Header=BB7_3 Depth=1
	ds_load_b32 v29, v37 offset:9616
	ds_load_b32 v30, v39
	s_wait_dscnt 0x0
	v_fmac_f32_e32 v28, v29, v30
.LBB7_674:                              ;   in Loop: Header=BB7_3 Depth=1
	s_or_b32 exec_lo, exec_lo, s10
	s_barrier_signal -1
	s_barrier_wait -1
	s_and_saveexec_b32 s10, s34
; %bb.675:                              ;   in Loop: Header=BB7_3 Depth=1
	ds_store_b32 v39, v28
; %bb.676:                              ;   in Loop: Header=BB7_3 Depth=1
	s_or_b32 exec_lo, exec_lo, s10
	s_wait_dscnt 0x0
	s_barrier_signal -1
	s_barrier_wait -1
	s_and_saveexec_b32 s10, s35
	s_cbranch_execz .LBB7_678
; %bb.677:                              ;   in Loop: Header=BB7_3 Depth=1
	ds_load_b32 v29, v3 offset:9884
	ds_load_b32 v30, v39
	s_wait_dscnt 0x0
	v_fmac_f32_e32 v28, v29, v30
.LBB7_678:                              ;   in Loop: Header=BB7_3 Depth=1
	s_or_b32 exec_lo, exec_lo, s10
	s_barrier_signal -1
	s_barrier_wait -1
	s_and_saveexec_b32 s10, s35
; %bb.679:                              ;   in Loop: Header=BB7_3 Depth=1
	ds_store_b32 v39, v28
; %bb.680:                              ;   in Loop: Header=BB7_3 Depth=1
	s_or_b32 exec_lo, exec_lo, s10
	s_wait_dscnt 0x0
	s_barrier_signal -1
	s_barrier_wait -1
	s_barrier_signal -1
	s_barrier_wait -1
	s_and_saveexec_b32 s10, s1
; %bb.681:                              ;   in Loop: Header=BB7_3 Depth=1
	v_xor_b32_e32 v28, 0x80000000, v28
	ds_store_b32 v40, v28 offset:8336
; %bb.682:                              ;   in Loop: Header=BB7_3 Depth=1
	s_or_b32 exec_lo, exec_lo, s10
	s_wait_dscnt 0x0
	s_barrier_signal -1
	s_barrier_wait -1
	s_barrier_signal -1
	s_barrier_wait -1
	s_and_saveexec_b32 s10, s11
; %bb.683:                              ;   in Loop: Header=BB7_3 Depth=1
	v_add_nc_u32_e64 v28, 0x2400, 0
	ds_store_2addr_b32 v28, v64, v64 offset0:36 offset1:101
; %bb.684:                              ;   in Loop: Header=BB7_3 Depth=1
	s_or_b32 exec_lo, exec_lo, s10
	v_mov_b32_e32 v28, 0
	s_wait_dscnt 0x0
	s_barrier_signal -1
	s_barrier_wait -1
	s_and_saveexec_b32 s10, s0
	s_cbranch_execz .LBB7_688
; %bb.685:                              ;   in Loop: Header=BB7_3 Depth=1
	ds_load_b32 v28, v34 offset:9368
	ds_load_b32 v29, v35 offset:9360
	s_wait_dscnt 0x0
	v_fma_f32 v28, v28, v29, 0
	s_and_saveexec_b32 s20, s12
	s_cbranch_execz .LBB7_687
; %bb.686:                              ;   in Loop: Header=BB7_3 Depth=1
	ds_load_b32 v29, v38 offset:9624
	ds_load_b32 v30, v3 offset:9364
	s_wait_dscnt 0x0
	v_fmac_f32_e32 v28, v29, v30
.LBB7_687:                              ;   in Loop: Header=BB7_3 Depth=1
	s_or_b32 exec_lo, exec_lo, s20
	s_delay_alu instid0(VALU_DEP_1)
	v_xor_b32_e32 v28, 0x80000000, v28
.LBB7_688:                              ;   in Loop: Header=BB7_3 Depth=1
	s_or_b32 exec_lo, exec_lo, s10
	s_and_saveexec_b32 s10, s102
; %bb.689:                              ;   in Loop: Header=BB7_3 Depth=1
	ds_store_b32 v9, v28
; %bb.690:                              ;   in Loop: Header=BB7_3 Depth=1
	s_or_b32 exec_lo, exec_lo, s10
	s_wait_dscnt 0x0
	s_barrier_signal -1
	s_barrier_wait -1
	s_and_saveexec_b32 s10, s103
	s_cbranch_execz .LBB7_692
; %bb.691:                              ;   in Loop: Header=BB7_3 Depth=1
	ds_load_b32 v29, v3 offset:9884
	ds_load_b32 v30, v9
	s_wait_dscnt 0x0
	v_fmac_f32_e32 v28, v29, v30
.LBB7_692:                              ;   in Loop: Header=BB7_3 Depth=1
	s_or_b32 exec_lo, exec_lo, s10
	s_barrier_signal -1
	s_barrier_wait -1
	s_and_saveexec_b32 s10, s103
; %bb.693:                              ;   in Loop: Header=BB7_3 Depth=1
	ds_store_b32 v9, v28
; %bb.694:                              ;   in Loop: Header=BB7_3 Depth=1
	s_or_b32 exec_lo, exec_lo, s10
	s_wait_dscnt 0x0
	s_barrier_signal -1
	s_barrier_wait -1
	s_barrier_signal -1
	s_barrier_wait -1
	s_and_saveexec_b32 s10, s0
; %bb.695:                              ;   in Loop: Header=BB7_3 Depth=1
	v_xor_b32_e32 v28, 0x80000000, v28
	ds_store_b32 v34, v28 offset:9368
; %bb.696:                              ;   in Loop: Header=BB7_3 Depth=1
	s_or_b32 exec_lo, exec_lo, s10
	s_wait_dscnt 0x0
	s_barrier_signal -1
	s_barrier_wait -1
	s_barrier_signal -1
	s_barrier_wait -1
	s_and_saveexec_b32 s10, s11
; %bb.697:                              ;   in Loop: Header=BB7_3 Depth=1
	v_add_nc_u32_e64 v28, 0x2400, 0
	ds_store_2addr_b32 v28, v64, v64 offset0:166 offset1:231
; %bb.698:                              ;   in Loop: Header=BB7_3 Depth=1
	s_or_b32 exec_lo, exec_lo, s10
	v_mov_b32_e32 v28, 0
	s_wait_dscnt 0x0
	s_barrier_signal -1
	s_barrier_wait -1
	s_and_saveexec_b32 s10, s2
	s_cbranch_execz .LBB7_708
; %bb.699:                              ;   in Loop: Header=BB7_3 Depth=1
	ds_load_b32 v28, v46 offset:8352
	ds_load_b32 v29, v41 offset:8320
	s_wait_dscnt 0x0
	v_fma_f32 v28, v28, v29, 0
	s_and_saveexec_b32 s20, s15
	s_cbranch_execnz .LBB7_1141
; %bb.700:                              ;   in Loop: Header=BB7_3 Depth=1
	s_or_b32 exec_lo, exec_lo, s20
	s_and_saveexec_b32 s20, s16
	s_cbranch_execnz .LBB7_1142
.LBB7_701:                              ;   in Loop: Header=BB7_3 Depth=1
	s_or_b32 exec_lo, exec_lo, s20
	s_and_saveexec_b32 s20, s17
	s_cbranch_execnz .LBB7_1143
.LBB7_702:                              ;   in Loop: Header=BB7_3 Depth=1
	s_or_b32 exec_lo, exec_lo, s20
	s_and_saveexec_b32 s20, s18
	s_cbranch_execnz .LBB7_1144
.LBB7_703:                              ;   in Loop: Header=BB7_3 Depth=1
	s_or_b32 exec_lo, exec_lo, s20
	s_and_saveexec_b32 s20, s19
	s_cbranch_execnz .LBB7_1145
.LBB7_704:                              ;   in Loop: Header=BB7_3 Depth=1
	s_or_b32 exec_lo, exec_lo, s20
	s_and_saveexec_b32 s20, s1
	s_cbranch_execnz .LBB7_1146
.LBB7_705:                              ;   in Loop: Header=BB7_3 Depth=1
	s_or_b32 exec_lo, exec_lo, s20
	s_and_saveexec_b32 s20, s14
	s_cbranch_execz .LBB7_707
.LBB7_706:                              ;   in Loop: Header=BB7_3 Depth=1
	ds_load_b32 v29, v38 offset:10144
	ds_load_b32 v30, v3 offset:8348
	s_wait_dscnt 0x0
	v_fmac_f32_e32 v28, v29, v30
.LBB7_707:                              ;   in Loop: Header=BB7_3 Depth=1
	s_or_b32 exec_lo, exec_lo, s20
	s_delay_alu instid0(VALU_DEP_1)
	v_xor_b32_e32 v28, 0x80000000, v28
.LBB7_708:                              ;   in Loop: Header=BB7_3 Depth=1
	s_or_b32 exec_lo, exec_lo, s10
	s_and_saveexec_b32 s10, s36
; %bb.709:                              ;   in Loop: Header=BB7_3 Depth=1
	ds_store_b32 v43, v28
; %bb.710:                              ;   in Loop: Header=BB7_3 Depth=1
	s_or_b32 exec_lo, exec_lo, s10
	s_wait_dscnt 0x0
	s_barrier_signal -1
	s_barrier_wait -1
	s_and_saveexec_b32 s10, s37
	s_cbranch_execz .LBB7_712
; %bb.711:                              ;   in Loop: Header=BB7_3 Depth=1
	ds_load_b32 v29, v44 offset:10400
	ds_load_b32 v30, v43
	s_wait_dscnt 0x0
	v_fmac_f32_e32 v28, v29, v30
.LBB7_712:                              ;   in Loop: Header=BB7_3 Depth=1
	s_or_b32 exec_lo, exec_lo, s10
	s_barrier_signal -1
	s_barrier_wait -1
	s_and_saveexec_b32 s10, s38
; %bb.713:                              ;   in Loop: Header=BB7_3 Depth=1
	ds_store_b32 v43, v28
; %bb.714:                              ;   in Loop: Header=BB7_3 Depth=1
	s_or_b32 exec_lo, exec_lo, s10
	s_wait_dscnt 0x0
	s_barrier_signal -1
	s_barrier_wait -1
	s_and_saveexec_b32 s10, s39
	s_cbranch_execz .LBB7_716
; %bb.715:                              ;   in Loop: Header=BB7_3 Depth=1
	ds_load_b32 v29, v44 offset:10656
	ds_load_b32 v30, v43
	s_wait_dscnt 0x0
	v_fmac_f32_e32 v28, v29, v30
.LBB7_716:                              ;   in Loop: Header=BB7_3 Depth=1
	s_or_b32 exec_lo, exec_lo, s10
	s_barrier_signal -1
	s_barrier_wait -1
	;; [unrolled: 19-line block ×7, first 2 shown]
	s_and_saveexec_b32 s10, s49
; %bb.737:                              ;   in Loop: Header=BB7_3 Depth=1
	ds_store_b32 v43, v28
; %bb.738:                              ;   in Loop: Header=BB7_3 Depth=1
	s_or_b32 exec_lo, exec_lo, s10
	s_wait_dscnt 0x0
	s_barrier_signal -1
	s_barrier_wait -1
	s_barrier_signal -1
	s_barrier_wait -1
	s_and_saveexec_b32 s10, s2
; %bb.739:                              ;   in Loop: Header=BB7_3 Depth=1
	v_xor_b32_e32 v28, 0x80000000, v28
	ds_store_b32 v46, v28 offset:8352
; %bb.740:                              ;   in Loop: Header=BB7_3 Depth=1
	s_or_b32 exec_lo, exec_lo, s10
	s_wait_dscnt 0x0
	s_barrier_signal -1
	s_barrier_wait -1
	s_barrier_signal -1
	s_barrier_wait -1
	s_and_saveexec_b32 s10, s11
; %bb.741:                              ;   in Loop: Header=BB7_3 Depth=1
	v_add_nc_u32_e64 v28, 0x2800, 0
	ds_store_2addr_b32 v28, v64, v64 offset0:40 offset1:105
; %bb.742:                              ;   in Loop: Header=BB7_3 Depth=1
	s_or_b32 exec_lo, exec_lo, s10
	v_mov_b32_e32 v28, 0
	s_wait_dscnt 0x0
	s_barrier_signal -1
	s_barrier_wait -1
	s_and_saveexec_b32 s10, s0
	s_cbranch_execz .LBB7_746
; %bb.743:                              ;   in Loop: Header=BB7_3 Depth=1
	ds_load_b32 v28, v34 offset:10408
	ds_load_b32 v29, v35 offset:10400
	s_wait_dscnt 0x0
	v_fma_f32 v28, v28, v29, 0
	s_and_saveexec_b32 s20, s12
	s_cbranch_execz .LBB7_745
; %bb.744:                              ;   in Loop: Header=BB7_3 Depth=1
	ds_load_b32 v29, v38 offset:10664
	ds_load_b32 v30, v3 offset:10404
	s_wait_dscnt 0x0
	v_fmac_f32_e32 v28, v29, v30
.LBB7_745:                              ;   in Loop: Header=BB7_3 Depth=1
	s_or_b32 exec_lo, exec_lo, s20
	s_delay_alu instid0(VALU_DEP_1)
	v_xor_b32_e32 v28, 0x80000000, v28
.LBB7_746:                              ;   in Loop: Header=BB7_3 Depth=1
	s_or_b32 exec_lo, exec_lo, s10
	s_and_saveexec_b32 s10, s102
; %bb.747:                              ;   in Loop: Header=BB7_3 Depth=1
	ds_store_b32 v9, v28
; %bb.748:                              ;   in Loop: Header=BB7_3 Depth=1
	s_or_b32 exec_lo, exec_lo, s10
	s_wait_dscnt 0x0
	s_barrier_signal -1
	s_barrier_wait -1
	s_and_saveexec_b32 s10, s103
	s_cbranch_execz .LBB7_750
; %bb.749:                              ;   in Loop: Header=BB7_3 Depth=1
	ds_load_b32 v29, v3 offset:10924
	ds_load_b32 v30, v9
	s_wait_dscnt 0x0
	v_fmac_f32_e32 v28, v29, v30
.LBB7_750:                              ;   in Loop: Header=BB7_3 Depth=1
	s_or_b32 exec_lo, exec_lo, s10
	s_barrier_signal -1
	s_barrier_wait -1
	s_and_saveexec_b32 s10, s103
; %bb.751:                              ;   in Loop: Header=BB7_3 Depth=1
	ds_store_b32 v9, v28
; %bb.752:                              ;   in Loop: Header=BB7_3 Depth=1
	s_or_b32 exec_lo, exec_lo, s10
	s_wait_dscnt 0x0
	s_barrier_signal -1
	s_barrier_wait -1
	s_barrier_signal -1
	s_barrier_wait -1
	s_and_saveexec_b32 s10, s0
; %bb.753:                              ;   in Loop: Header=BB7_3 Depth=1
	v_xor_b32_e32 v28, 0x80000000, v28
	ds_store_b32 v34, v28 offset:10408
; %bb.754:                              ;   in Loop: Header=BB7_3 Depth=1
	s_or_b32 exec_lo, exec_lo, s10
	s_wait_dscnt 0x0
	s_barrier_signal -1
	s_barrier_wait -1
	s_barrier_signal -1
	s_barrier_wait -1
	s_and_saveexec_b32 s10, s11
; %bb.755:                              ;   in Loop: Header=BB7_3 Depth=1
	v_add_nc_u32_e64 v28, 0x2800, 0
	ds_store_2addr_b32 v28, v64, v64 offset0:170 offset1:235
; %bb.756:                              ;   in Loop: Header=BB7_3 Depth=1
	s_or_b32 exec_lo, exec_lo, s10
	v_mov_b32_e32 v28, 0
	s_wait_dscnt 0x0
	s_barrier_signal -1
	s_barrier_wait -1
	s_and_saveexec_b32 s10, s1
	s_cbranch_execz .LBB7_762
; %bb.757:                              ;   in Loop: Header=BB7_3 Depth=1
	ds_load_b32 v28, v40 offset:10416
	ds_load_b32 v29, v36 offset:10400
	s_wait_dscnt 0x0
	v_fma_f32 v28, v28, v29, 0
	s_and_saveexec_b32 s20, s13
	s_cbranch_execnz .LBB7_1147
; %bb.758:                              ;   in Loop: Header=BB7_3 Depth=1
	s_or_b32 exec_lo, exec_lo, s20
	s_and_saveexec_b32 s20, s14
	s_cbranch_execnz .LBB7_1148
.LBB7_759:                              ;   in Loop: Header=BB7_3 Depth=1
	s_or_b32 exec_lo, exec_lo, s20
	s_and_saveexec_b32 s20, s0
	s_cbranch_execz .LBB7_761
.LBB7_760:                              ;   in Loop: Header=BB7_3 Depth=1
	ds_load_b32 v29, v38 offset:11184
	ds_load_b32 v30, v3 offset:10412
	s_wait_dscnt 0x0
	v_fmac_f32_e32 v28, v29, v30
.LBB7_761:                              ;   in Loop: Header=BB7_3 Depth=1
	s_or_b32 exec_lo, exec_lo, s20
	s_delay_alu instid0(VALU_DEP_1)
	v_xor_b32_e32 v28, 0x80000000, v28
.LBB7_762:                              ;   in Loop: Header=BB7_3 Depth=1
	s_or_b32 exec_lo, exec_lo, s10
	s_and_saveexec_b32 s10, s104
; %bb.763:                              ;   in Loop: Header=BB7_3 Depth=1
	ds_store_b32 v39, v28
; %bb.764:                              ;   in Loop: Header=BB7_3 Depth=1
	s_or_b32 exec_lo, exec_lo, s10
	s_wait_dscnt 0x0
	s_barrier_signal -1
	s_barrier_wait -1
	s_and_saveexec_b32 s10, vcc_hi
	s_cbranch_execz .LBB7_766
; %bb.765:                              ;   in Loop: Header=BB7_3 Depth=1
	ds_load_b32 v29, v37 offset:11440
	ds_load_b32 v30, v39
	s_wait_dscnt 0x0
	v_fmac_f32_e32 v28, v29, v30
.LBB7_766:                              ;   in Loop: Header=BB7_3 Depth=1
	s_or_b32 exec_lo, exec_lo, s10
	s_barrier_signal -1
	s_barrier_wait -1
	s_and_saveexec_b32 s10, s31
; %bb.767:                              ;   in Loop: Header=BB7_3 Depth=1
	ds_store_b32 v39, v28
; %bb.768:                              ;   in Loop: Header=BB7_3 Depth=1
	s_or_b32 exec_lo, exec_lo, s10
	s_wait_dscnt 0x0
	s_barrier_signal -1
	s_barrier_wait -1
	s_and_saveexec_b32 s10, s33
	s_cbranch_execz .LBB7_770
; %bb.769:                              ;   in Loop: Header=BB7_3 Depth=1
	ds_load_b32 v29, v37 offset:11696
	ds_load_b32 v30, v39
	s_wait_dscnt 0x0
	v_fmac_f32_e32 v28, v29, v30
.LBB7_770:                              ;   in Loop: Header=BB7_3 Depth=1
	s_or_b32 exec_lo, exec_lo, s10
	s_barrier_signal -1
	s_barrier_wait -1
	s_and_saveexec_b32 s10, s34
; %bb.771:                              ;   in Loop: Header=BB7_3 Depth=1
	ds_store_b32 v39, v28
; %bb.772:                              ;   in Loop: Header=BB7_3 Depth=1
	s_or_b32 exec_lo, exec_lo, s10
	s_wait_dscnt 0x0
	s_barrier_signal -1
	s_barrier_wait -1
	s_and_saveexec_b32 s10, s35
	s_cbranch_execz .LBB7_774
; %bb.773:                              ;   in Loop: Header=BB7_3 Depth=1
	ds_load_b32 v29, v3 offset:11964
	ds_load_b32 v30, v39
	s_wait_dscnt 0x0
	v_fmac_f32_e32 v28, v29, v30
.LBB7_774:                              ;   in Loop: Header=BB7_3 Depth=1
	s_or_b32 exec_lo, exec_lo, s10
	s_barrier_signal -1
	s_barrier_wait -1
	s_and_saveexec_b32 s10, s35
; %bb.775:                              ;   in Loop: Header=BB7_3 Depth=1
	ds_store_b32 v39, v28
; %bb.776:                              ;   in Loop: Header=BB7_3 Depth=1
	s_or_b32 exec_lo, exec_lo, s10
	s_wait_dscnt 0x0
	s_barrier_signal -1
	s_barrier_wait -1
	s_barrier_signal -1
	s_barrier_wait -1
	s_and_saveexec_b32 s10, s1
; %bb.777:                              ;   in Loop: Header=BB7_3 Depth=1
	v_xor_b32_e32 v28, 0x80000000, v28
	ds_store_b32 v40, v28 offset:10416
; %bb.778:                              ;   in Loop: Header=BB7_3 Depth=1
	s_or_b32 exec_lo, exec_lo, s10
	s_wait_dscnt 0x0
	s_barrier_signal -1
	s_barrier_wait -1
	s_barrier_signal -1
	s_barrier_wait -1
	s_and_saveexec_b32 s10, s11
; %bb.779:                              ;   in Loop: Header=BB7_3 Depth=1
	v_add_nc_u32_e64 v28, 0x2c00, 0
	ds_store_2addr_b32 v28, v64, v64 offset0:44 offset1:109
; %bb.780:                              ;   in Loop: Header=BB7_3 Depth=1
	s_or_b32 exec_lo, exec_lo, s10
	v_mov_b32_e32 v28, 0
	s_wait_dscnt 0x0
	s_barrier_signal -1
	s_barrier_wait -1
	s_and_saveexec_b32 s10, s0
	s_cbranch_execz .LBB7_784
; %bb.781:                              ;   in Loop: Header=BB7_3 Depth=1
	ds_load_b32 v28, v34 offset:11448
	ds_load_b32 v29, v35 offset:11440
	s_wait_dscnt 0x0
	v_fma_f32 v28, v28, v29, 0
	s_and_saveexec_b32 s20, s12
	s_cbranch_execz .LBB7_783
; %bb.782:                              ;   in Loop: Header=BB7_3 Depth=1
	ds_load_b32 v29, v38 offset:11704
	ds_load_b32 v30, v3 offset:11444
	s_wait_dscnt 0x0
	v_fmac_f32_e32 v28, v29, v30
.LBB7_783:                              ;   in Loop: Header=BB7_3 Depth=1
	s_or_b32 exec_lo, exec_lo, s20
	s_delay_alu instid0(VALU_DEP_1)
	v_xor_b32_e32 v28, 0x80000000, v28
.LBB7_784:                              ;   in Loop: Header=BB7_3 Depth=1
	s_or_b32 exec_lo, exec_lo, s10
	s_and_saveexec_b32 s10, s102
; %bb.785:                              ;   in Loop: Header=BB7_3 Depth=1
	ds_store_b32 v9, v28
; %bb.786:                              ;   in Loop: Header=BB7_3 Depth=1
	s_or_b32 exec_lo, exec_lo, s10
	s_wait_dscnt 0x0
	s_barrier_signal -1
	s_barrier_wait -1
	s_and_saveexec_b32 s10, s103
	s_cbranch_execz .LBB7_788
; %bb.787:                              ;   in Loop: Header=BB7_3 Depth=1
	ds_load_b32 v29, v3 offset:11964
	ds_load_b32 v30, v9
	s_wait_dscnt 0x0
	v_fmac_f32_e32 v28, v29, v30
.LBB7_788:                              ;   in Loop: Header=BB7_3 Depth=1
	s_or_b32 exec_lo, exec_lo, s10
	s_barrier_signal -1
	s_barrier_wait -1
	s_and_saveexec_b32 s10, s103
; %bb.789:                              ;   in Loop: Header=BB7_3 Depth=1
	ds_store_b32 v9, v28
; %bb.790:                              ;   in Loop: Header=BB7_3 Depth=1
	s_or_b32 exec_lo, exec_lo, s10
	s_wait_dscnt 0x0
	s_barrier_signal -1
	s_barrier_wait -1
	s_barrier_signal -1
	s_barrier_wait -1
	s_and_saveexec_b32 s10, s0
; %bb.791:                              ;   in Loop: Header=BB7_3 Depth=1
	v_xor_b32_e32 v28, 0x80000000, v28
	ds_store_b32 v34, v28 offset:11448
; %bb.792:                              ;   in Loop: Header=BB7_3 Depth=1
	s_or_b32 exec_lo, exec_lo, s10
	s_wait_dscnt 0x0
	s_barrier_signal -1
	s_barrier_wait -1
	s_barrier_signal -1
	s_barrier_wait -1
	s_and_saveexec_b32 s10, s11
; %bb.793:                              ;   in Loop: Header=BB7_3 Depth=1
	v_add_nc_u32_e64 v28, 0x2c00, 0
	ds_store_2addr_b32 v28, v64, v64 offset0:174 offset1:239
; %bb.794:                              ;   in Loop: Header=BB7_3 Depth=1
	s_or_b32 exec_lo, exec_lo, s10
	v_mov_b32_e32 v28, 0
	s_wait_dscnt 0x0
	s_barrier_signal -1
	s_barrier_wait -1
	s_and_saveexec_b32 s65, s3
	s_cbranch_execz .LBB7_822
; %bb.795:                              ;   in Loop: Header=BB7_3 Depth=1
	ds_load_b32 v28, v53 offset:8384
	ds_load_b32 v29, v45 offset:8320
	s_wait_dscnt 0x0
	v_fma_f32 v28, v28, v29, 0
	s_mov_b32 s10, exec_lo
	v_readlane_b32 s20, v75, 19
	s_and_b32 s20, s10, s20
	s_delay_alu instid0(SALU_CYCLE_1)
	s_mov_b32 exec_lo, s20
	s_cbranch_execz .LBB7_797
; %bb.796:                              ;   in Loop: Header=BB7_3 Depth=1
	ds_load_b32 v29, v54 offset:8640
	ds_load_b32 v30, v45 offset:8324
	s_wait_dscnt 0x0
	v_fmac_f32_e32 v28, v29, v30
.LBB7_797:                              ;   in Loop: Header=BB7_3 Depth=1
	s_or_b32 exec_lo, exec_lo, s10
	s_delay_alu instid0(SALU_CYCLE_1) | instskip(SKIP_2) | instid1(SALU_CYCLE_1)
	s_mov_b32 s10, exec_lo
	v_readlane_b32 s20, v75, 20
	s_and_b32 s20, s10, s20
	s_mov_b32 exec_lo, s20
	s_cbranch_execz .LBB7_799
; %bb.798:                              ;   in Loop: Header=BB7_3 Depth=1
	ds_load_b32 v29, v54 offset:8896
	ds_load_b32 v30, v45 offset:8328
	s_wait_dscnt 0x0
	v_fmac_f32_e32 v28, v29, v30
.LBB7_799:                              ;   in Loop: Header=BB7_3 Depth=1
	s_or_b32 exec_lo, exec_lo, s10
	s_delay_alu instid0(SALU_CYCLE_1) | instskip(SKIP_2) | instid1(SALU_CYCLE_1)
	s_mov_b32 s10, exec_lo
	v_readlane_b32 s20, v75, 21
	s_and_b32 s20, s10, s20
	s_mov_b32 exec_lo, s20
	s_cbranch_execz .LBB7_801
; %bb.800:                              ;   in Loop: Header=BB7_3 Depth=1
	ds_load_b32 v29, v54 offset:9152
	ds_load_b32 v30, v45 offset:8332
	s_wait_dscnt 0x0
	v_fmac_f32_e32 v28, v29, v30
.LBB7_801:                              ;   in Loop: Header=BB7_3 Depth=1
	s_or_b32 exec_lo, exec_lo, s10
	s_delay_alu instid0(SALU_CYCLE_1) | instskip(SKIP_2) | instid1(SALU_CYCLE_1)
	s_mov_b32 s10, exec_lo
	v_readlane_b32 s20, v75, 22
	s_and_b32 s20, s10, s20
	s_mov_b32 exec_lo, s20
	s_cbranch_execz .LBB7_803
; %bb.802:                              ;   in Loop: Header=BB7_3 Depth=1
	ds_load_b32 v29, v54 offset:9408
	ds_load_b32 v30, v45 offset:8336
	s_wait_dscnt 0x0
	v_fmac_f32_e32 v28, v29, v30
.LBB7_803:                              ;   in Loop: Header=BB7_3 Depth=1
	s_or_b32 exec_lo, exec_lo, s10
	s_delay_alu instid0(SALU_CYCLE_1) | instskip(SKIP_2) | instid1(SALU_CYCLE_1)
	s_mov_b32 s10, exec_lo
	v_readlane_b32 s20, v75, 23
	s_and_b32 s20, s10, s20
	s_mov_b32 exec_lo, s20
	s_cbranch_execz .LBB7_805
; %bb.804:                              ;   in Loop: Header=BB7_3 Depth=1
	ds_load_b32 v29, v54 offset:9664
	ds_load_b32 v30, v45 offset:8340
	s_wait_dscnt 0x0
	v_fmac_f32_e32 v28, v29, v30
.LBB7_805:                              ;   in Loop: Header=BB7_3 Depth=1
	s_or_b32 exec_lo, exec_lo, s10
	s_delay_alu instid0(SALU_CYCLE_1) | instskip(SKIP_2) | instid1(SALU_CYCLE_1)
	s_mov_b32 s10, exec_lo
	v_readlane_b32 s20, v75, 24
	s_and_b32 s20, s10, s20
	s_mov_b32 exec_lo, s20
	s_cbranch_execz .LBB7_807
; %bb.806:                              ;   in Loop: Header=BB7_3 Depth=1
	ds_load_b32 v29, v54 offset:9920
	ds_load_b32 v30, v45 offset:8344
	s_wait_dscnt 0x0
	v_fmac_f32_e32 v28, v29, v30
.LBB7_807:                              ;   in Loop: Header=BB7_3 Depth=1
	s_or_b32 exec_lo, exec_lo, s10
	s_delay_alu instid0(SALU_CYCLE_1) | instskip(SKIP_2) | instid1(SALU_CYCLE_1)
	s_mov_b32 s10, exec_lo
	v_readlane_b32 s20, v75, 25
	s_and_b32 s20, s10, s20
	s_mov_b32 exec_lo, s20
	s_cbranch_execz .LBB7_809
; %bb.808:                              ;   in Loop: Header=BB7_3 Depth=1
	ds_load_b32 v29, v54 offset:10176
	ds_load_b32 v30, v45 offset:8348
	s_wait_dscnt 0x0
	v_fmac_f32_e32 v28, v29, v30
.LBB7_809:                              ;   in Loop: Header=BB7_3 Depth=1
	s_or_b32 exec_lo, exec_lo, s10
	s_delay_alu instid0(SALU_CYCLE_1) | instskip(SKIP_2) | instid1(SALU_CYCLE_1)
	s_mov_b32 s10, exec_lo
	v_readlane_b32 s20, v75, 26
	s_and_b32 s20, s10, s20
	s_mov_b32 exec_lo, s20
	s_cbranch_execz .LBB7_811
; %bb.810:                              ;   in Loop: Header=BB7_3 Depth=1
	ds_load_b32 v29, v53 offset:10432
	ds_load_b32 v30, v45 offset:8352
	s_wait_dscnt 0x0
	v_fmac_f32_e32 v28, v29, v30
.LBB7_811:                              ;   in Loop: Header=BB7_3 Depth=1
	s_or_b32 exec_lo, exec_lo, s10
	s_delay_alu instid0(SALU_CYCLE_1) | instskip(SKIP_2) | instid1(SALU_CYCLE_1)
	s_mov_b32 s10, exec_lo
	v_readlane_b32 s20, v75, 27
	s_and_b32 s20, s10, s20
	s_mov_b32 exec_lo, s20
	s_cbranch_execz .LBB7_813
; %bb.812:                              ;   in Loop: Header=BB7_3 Depth=1
	ds_load_b32 v29, v54 offset:10688
	ds_load_b32 v30, v45 offset:8356
	s_wait_dscnt 0x0
	v_fmac_f32_e32 v28, v29, v30
.LBB7_813:                              ;   in Loop: Header=BB7_3 Depth=1
	s_or_b32 exec_lo, exec_lo, s10
	s_delay_alu instid0(SALU_CYCLE_1) | instskip(SKIP_2) | instid1(SALU_CYCLE_1)
	s_mov_b32 s10, exec_lo
	v_readlane_b32 s20, v75, 28
	s_and_b32 s20, s10, s20
	s_mov_b32 exec_lo, s20
	s_cbranch_execz .LBB7_815
; %bb.814:                              ;   in Loop: Header=BB7_3 Depth=1
	ds_load_b32 v29, v54 offset:10944
	ds_load_b32 v30, v45 offset:8360
	s_wait_dscnt 0x0
	v_fmac_f32_e32 v28, v29, v30
.LBB7_815:                              ;   in Loop: Header=BB7_3 Depth=1
	s_or_b32 exec_lo, exec_lo, s10
	s_delay_alu instid0(SALU_CYCLE_1) | instskip(SKIP_2) | instid1(SALU_CYCLE_1)
	s_mov_b32 s10, exec_lo
	v_readlane_b32 s20, v75, 29
	s_and_b32 s20, s10, s20
	s_mov_b32 exec_lo, s20
	s_cbranch_execnz .LBB7_1149
; %bb.816:                              ;   in Loop: Header=BB7_3 Depth=1
	s_or_b32 exec_lo, exec_lo, s10
	s_and_saveexec_b32 s10, s2
	s_cbranch_execnz .LBB7_1150
.LBB7_817:                              ;   in Loop: Header=BB7_3 Depth=1
	s_or_b32 exec_lo, exec_lo, s10
	s_and_saveexec_b32 s10, s16
	s_cbranch_execnz .LBB7_1151
.LBB7_818:                              ;   in Loop: Header=BB7_3 Depth=1
	s_or_b32 exec_lo, exec_lo, s10
	s_and_saveexec_b32 s10, s18
	s_cbranch_execnz .LBB7_1152
.LBB7_819:                              ;   in Loop: Header=BB7_3 Depth=1
	s_or_b32 exec_lo, exec_lo, s10
	s_and_saveexec_b32 s10, s1
	s_cbranch_execz .LBB7_821
.LBB7_820:                              ;   in Loop: Header=BB7_3 Depth=1
	ds_load_b32 v29, v38 offset:12224
	ds_load_b32 v30, v3 offset:8380
	s_wait_dscnt 0x0
	v_fmac_f32_e32 v28, v29, v30
.LBB7_821:                              ;   in Loop: Header=BB7_3 Depth=1
	s_or_b32 exec_lo, exec_lo, s10
	s_delay_alu instid0(VALU_DEP_1)
	v_xor_b32_e32 v28, 0x80000000, v28
.LBB7_822:                              ;   in Loop: Header=BB7_3 Depth=1
	s_or_b32 exec_lo, exec_lo, s65
	s_delay_alu instid0(SALU_CYCLE_1) | instskip(SKIP_2) | instid1(SALU_CYCLE_1)
	s_mov_b32 s10, exec_lo
	v_readlane_b32 s20, v77, 2
	s_and_b32 s20, s10, s20
	s_mov_b32 exec_lo, s20
; %bb.823:                              ;   in Loop: Header=BB7_3 Depth=1
	ds_store_b32 v52, v28
; %bb.824:                              ;   in Loop: Header=BB7_3 Depth=1
	s_or_b32 exec_lo, exec_lo, s10
	s_wait_dscnt 0x0
	s_barrier_signal -1
	s_barrier_wait -1
	s_mov_b32 s10, exec_lo
	v_readlane_b32 s20, v77, 3
	s_and_b32 s20, s10, s20
	s_delay_alu instid0(SALU_CYCLE_1)
	s_mov_b32 exec_lo, s20
	s_cbranch_execz .LBB7_826
; %bb.825:                              ;   in Loop: Header=BB7_3 Depth=1
	ds_load_b32 v29, v48 offset:12480
	ds_load_b32 v30, v52
	s_wait_dscnt 0x0
	v_fmac_f32_e32 v28, v29, v30
.LBB7_826:                              ;   in Loop: Header=BB7_3 Depth=1
	s_or_b32 exec_lo, exec_lo, s10
	s_barrier_signal -1
	s_barrier_wait -1
	s_mov_b32 s10, exec_lo
	v_readlane_b32 s20, v77, 4
	s_and_b32 s20, s10, s20
	s_delay_alu instid0(SALU_CYCLE_1)
	s_mov_b32 exec_lo, s20
; %bb.827:                              ;   in Loop: Header=BB7_3 Depth=1
	ds_store_b32 v52, v28
; %bb.828:                              ;   in Loop: Header=BB7_3 Depth=1
	s_or_b32 exec_lo, exec_lo, s10
	s_wait_dscnt 0x0
	s_barrier_signal -1
	s_barrier_wait -1
	s_mov_b32 s10, exec_lo
	v_readlane_b32 s20, v77, 5
	s_and_b32 s20, s10, s20
	s_delay_alu instid0(SALU_CYCLE_1)
	s_mov_b32 exec_lo, s20
	s_cbranch_execz .LBB7_830
; %bb.829:                              ;   in Loop: Header=BB7_3 Depth=1
	ds_load_b32 v29, v48 offset:12736
	ds_load_b32 v30, v52
	s_wait_dscnt 0x0
	v_fmac_f32_e32 v28, v29, v30
.LBB7_830:                              ;   in Loop: Header=BB7_3 Depth=1
	s_or_b32 exec_lo, exec_lo, s10
	s_barrier_signal -1
	s_barrier_wait -1
	s_mov_b32 s10, exec_lo
	v_readlane_b32 s20, v77, 6
	s_and_b32 s20, s10, s20
	s_delay_alu instid0(SALU_CYCLE_1)
	s_mov_b32 exec_lo, s20
; %bb.831:                              ;   in Loop: Header=BB7_3 Depth=1
	ds_store_b32 v52, v28
; %bb.832:                              ;   in Loop: Header=BB7_3 Depth=1
	s_or_b32 exec_lo, exec_lo, s10
	s_wait_dscnt 0x0
	s_barrier_signal -1
	s_barrier_wait -1
	s_mov_b32 s10, exec_lo
	v_readlane_b32 s20, v77, 7
	s_and_b32 s20, s10, s20
	s_delay_alu instid0(SALU_CYCLE_1)
	s_mov_b32 exec_lo, s20
	s_cbranch_execz .LBB7_834
; %bb.833:                              ;   in Loop: Header=BB7_3 Depth=1
	ds_load_b32 v29, v48 offset:12992
	ds_load_b32 v30, v52
	s_wait_dscnt 0x0
	v_fmac_f32_e32 v28, v29, v30
.LBB7_834:                              ;   in Loop: Header=BB7_3 Depth=1
	s_or_b32 exec_lo, exec_lo, s10
	s_barrier_signal -1
	s_barrier_wait -1
	s_and_saveexec_b32 s10, s22
; %bb.835:                              ;   in Loop: Header=BB7_3 Depth=1
	ds_store_b32 v52, v28
; %bb.836:                              ;   in Loop: Header=BB7_3 Depth=1
	s_or_b32 exec_lo, exec_lo, s10
	s_wait_dscnt 0x0
	s_barrier_signal -1
	s_barrier_wait -1
	s_and_saveexec_b32 s10, s24
	s_cbranch_execz .LBB7_838
; %bb.837:                              ;   in Loop: Header=BB7_3 Depth=1
	ds_load_b32 v29, v48 offset:13248
	ds_load_b32 v30, v52
	s_wait_dscnt 0x0
	v_fmac_f32_e32 v28, v29, v30
.LBB7_838:                              ;   in Loop: Header=BB7_3 Depth=1
	s_or_b32 exec_lo, exec_lo, s10
	s_barrier_signal -1
	s_barrier_wait -1
	s_and_saveexec_b32 s10, s26
; %bb.839:                              ;   in Loop: Header=BB7_3 Depth=1
	ds_store_b32 v52, v28
; %bb.840:                              ;   in Loop: Header=BB7_3 Depth=1
	s_or_b32 exec_lo, exec_lo, s10
	s_wait_dscnt 0x0
	s_barrier_signal -1
	s_barrier_wait -1
	s_and_saveexec_b32 s10, s28
	;; [unrolled: 19-line block ×12, first 2 shown]
	s_cbranch_execz .LBB7_882
; %bb.881:                              ;   in Loop: Header=BB7_3 Depth=1
	ds_load_b32 v29, v3 offset:16124
	ds_load_b32 v30, v52
	s_wait_dscnt 0x0
	v_fmac_f32_e32 v28, v29, v30
.LBB7_882:                              ;   in Loop: Header=BB7_3 Depth=1
	s_or_b32 exec_lo, exec_lo, s10
	s_barrier_signal -1
	s_barrier_wait -1
	s_and_saveexec_b32 s10, s53
; %bb.883:                              ;   in Loop: Header=BB7_3 Depth=1
	ds_store_b32 v52, v28
; %bb.884:                              ;   in Loop: Header=BB7_3 Depth=1
	s_or_b32 exec_lo, exec_lo, s10
	s_wait_dscnt 0x0
	s_barrier_signal -1
	s_barrier_wait -1
	s_barrier_signal -1
	s_barrier_wait -1
	s_and_saveexec_b32 s10, s3
; %bb.885:                              ;   in Loop: Header=BB7_3 Depth=1
	v_xor_b32_e32 v28, 0x80000000, v28
	ds_store_b32 v53, v28 offset:8384
; %bb.886:                              ;   in Loop: Header=BB7_3 Depth=1
	s_or_b32 exec_lo, exec_lo, s10
	s_wait_dscnt 0x0
	s_barrier_signal -1
	s_barrier_wait -1
	s_barrier_signal -1
	s_barrier_wait -1
	s_and_saveexec_b32 s10, s11
; %bb.887:                              ;   in Loop: Header=BB7_3 Depth=1
	v_add_nc_u32_e64 v28, 0x3000, 0
	ds_store_2addr_b32 v28, v64, v64 offset0:48 offset1:113
; %bb.888:                              ;   in Loop: Header=BB7_3 Depth=1
	s_or_b32 exec_lo, exec_lo, s10
	v_mov_b32_e32 v28, 0
	s_wait_dscnt 0x0
	s_barrier_signal -1
	s_barrier_wait -1
	s_and_saveexec_b32 s10, s0
	s_cbranch_execz .LBB7_892
; %bb.889:                              ;   in Loop: Header=BB7_3 Depth=1
	ds_load_b32 v28, v34 offset:12488
	ds_load_b32 v29, v35 offset:12480
	s_wait_dscnt 0x0
	v_fma_f32 v28, v28, v29, 0
	s_and_saveexec_b32 s20, s12
	s_cbranch_execz .LBB7_891
; %bb.890:                              ;   in Loop: Header=BB7_3 Depth=1
	ds_load_b32 v29, v38 offset:12744
	ds_load_b32 v30, v3 offset:12484
	s_wait_dscnt 0x0
	v_fmac_f32_e32 v28, v29, v30
.LBB7_891:                              ;   in Loop: Header=BB7_3 Depth=1
	s_or_b32 exec_lo, exec_lo, s20
	s_delay_alu instid0(VALU_DEP_1)
	v_xor_b32_e32 v28, 0x80000000, v28
.LBB7_892:                              ;   in Loop: Header=BB7_3 Depth=1
	s_or_b32 exec_lo, exec_lo, s10
	s_and_saveexec_b32 s10, s102
; %bb.893:                              ;   in Loop: Header=BB7_3 Depth=1
	ds_store_b32 v9, v28
; %bb.894:                              ;   in Loop: Header=BB7_3 Depth=1
	s_or_b32 exec_lo, exec_lo, s10
	s_wait_dscnt 0x0
	s_barrier_signal -1
	s_barrier_wait -1
	s_and_saveexec_b32 s10, s103
	s_cbranch_execz .LBB7_896
; %bb.895:                              ;   in Loop: Header=BB7_3 Depth=1
	ds_load_b32 v29, v3 offset:13004
	ds_load_b32 v30, v9
	s_wait_dscnt 0x0
	v_fmac_f32_e32 v28, v29, v30
.LBB7_896:                              ;   in Loop: Header=BB7_3 Depth=1
	s_or_b32 exec_lo, exec_lo, s10
	s_barrier_signal -1
	s_barrier_wait -1
	s_and_saveexec_b32 s10, s103
; %bb.897:                              ;   in Loop: Header=BB7_3 Depth=1
	ds_store_b32 v9, v28
; %bb.898:                              ;   in Loop: Header=BB7_3 Depth=1
	s_or_b32 exec_lo, exec_lo, s10
	s_wait_dscnt 0x0
	s_barrier_signal -1
	s_barrier_wait -1
	s_barrier_signal -1
	s_barrier_wait -1
	s_and_saveexec_b32 s10, s0
; %bb.899:                              ;   in Loop: Header=BB7_3 Depth=1
	v_xor_b32_e32 v28, 0x80000000, v28
	ds_store_b32 v34, v28 offset:12488
; %bb.900:                              ;   in Loop: Header=BB7_3 Depth=1
	s_or_b32 exec_lo, exec_lo, s10
	s_wait_dscnt 0x0
	s_barrier_signal -1
	s_barrier_wait -1
	s_barrier_signal -1
	s_barrier_wait -1
	s_and_saveexec_b32 s10, s11
; %bb.901:                              ;   in Loop: Header=BB7_3 Depth=1
	v_add_nc_u32_e64 v28, 0x3000, 0
	ds_store_2addr_b32 v28, v64, v64 offset0:178 offset1:243
; %bb.902:                              ;   in Loop: Header=BB7_3 Depth=1
	s_or_b32 exec_lo, exec_lo, s10
	v_mov_b32_e32 v28, 0
	s_wait_dscnt 0x0
	s_barrier_signal -1
	s_barrier_wait -1
	s_and_saveexec_b32 s10, s1
	s_cbranch_execz .LBB7_908
; %bb.903:                              ;   in Loop: Header=BB7_3 Depth=1
	ds_load_b32 v28, v40 offset:12496
	ds_load_b32 v29, v36 offset:12480
	s_wait_dscnt 0x0
	v_fma_f32 v28, v28, v29, 0
	s_and_saveexec_b32 s20, s13
	s_cbranch_execnz .LBB7_1153
; %bb.904:                              ;   in Loop: Header=BB7_3 Depth=1
	s_or_b32 exec_lo, exec_lo, s20
	s_and_saveexec_b32 s20, s14
	s_cbranch_execnz .LBB7_1154
.LBB7_905:                              ;   in Loop: Header=BB7_3 Depth=1
	s_or_b32 exec_lo, exec_lo, s20
	s_and_saveexec_b32 s20, s0
	s_cbranch_execz .LBB7_907
.LBB7_906:                              ;   in Loop: Header=BB7_3 Depth=1
	ds_load_b32 v29, v38 offset:13264
	ds_load_b32 v30, v3 offset:12492
	s_wait_dscnt 0x0
	v_fmac_f32_e32 v28, v29, v30
.LBB7_907:                              ;   in Loop: Header=BB7_3 Depth=1
	s_or_b32 exec_lo, exec_lo, s20
	s_delay_alu instid0(VALU_DEP_1)
	v_xor_b32_e32 v28, 0x80000000, v28
.LBB7_908:                              ;   in Loop: Header=BB7_3 Depth=1
	s_or_b32 exec_lo, exec_lo, s10
	s_and_saveexec_b32 s10, s104
; %bb.909:                              ;   in Loop: Header=BB7_3 Depth=1
	ds_store_b32 v39, v28
; %bb.910:                              ;   in Loop: Header=BB7_3 Depth=1
	s_or_b32 exec_lo, exec_lo, s10
	s_wait_dscnt 0x0
	s_barrier_signal -1
	s_barrier_wait -1
	s_and_saveexec_b32 s10, vcc_hi
	s_cbranch_execz .LBB7_912
; %bb.911:                              ;   in Loop: Header=BB7_3 Depth=1
	ds_load_b32 v29, v37 offset:13520
	ds_load_b32 v30, v39
	s_wait_dscnt 0x0
	v_fmac_f32_e32 v28, v29, v30
.LBB7_912:                              ;   in Loop: Header=BB7_3 Depth=1
	s_or_b32 exec_lo, exec_lo, s10
	s_barrier_signal -1
	s_barrier_wait -1
	s_and_saveexec_b32 s10, s31
; %bb.913:                              ;   in Loop: Header=BB7_3 Depth=1
	ds_store_b32 v39, v28
; %bb.914:                              ;   in Loop: Header=BB7_3 Depth=1
	s_or_b32 exec_lo, exec_lo, s10
	s_wait_dscnt 0x0
	s_barrier_signal -1
	s_barrier_wait -1
	s_and_saveexec_b32 s10, s33
	s_cbranch_execz .LBB7_916
; %bb.915:                              ;   in Loop: Header=BB7_3 Depth=1
	ds_load_b32 v29, v37 offset:13776
	ds_load_b32 v30, v39
	s_wait_dscnt 0x0
	v_fmac_f32_e32 v28, v29, v30
.LBB7_916:                              ;   in Loop: Header=BB7_3 Depth=1
	s_or_b32 exec_lo, exec_lo, s10
	s_barrier_signal -1
	s_barrier_wait -1
	s_and_saveexec_b32 s10, s34
; %bb.917:                              ;   in Loop: Header=BB7_3 Depth=1
	ds_store_b32 v39, v28
; %bb.918:                              ;   in Loop: Header=BB7_3 Depth=1
	s_or_b32 exec_lo, exec_lo, s10
	s_wait_dscnt 0x0
	s_barrier_signal -1
	s_barrier_wait -1
	s_and_saveexec_b32 s10, s35
	s_cbranch_execz .LBB7_920
; %bb.919:                              ;   in Loop: Header=BB7_3 Depth=1
	ds_load_b32 v29, v3 offset:14044
	ds_load_b32 v30, v39
	s_wait_dscnt 0x0
	v_fmac_f32_e32 v28, v29, v30
.LBB7_920:                              ;   in Loop: Header=BB7_3 Depth=1
	s_or_b32 exec_lo, exec_lo, s10
	s_barrier_signal -1
	s_barrier_wait -1
	s_and_saveexec_b32 s10, s35
; %bb.921:                              ;   in Loop: Header=BB7_3 Depth=1
	ds_store_b32 v39, v28
; %bb.922:                              ;   in Loop: Header=BB7_3 Depth=1
	s_or_b32 exec_lo, exec_lo, s10
	s_wait_dscnt 0x0
	s_barrier_signal -1
	s_barrier_wait -1
	s_barrier_signal -1
	s_barrier_wait -1
	s_and_saveexec_b32 s10, s1
; %bb.923:                              ;   in Loop: Header=BB7_3 Depth=1
	v_xor_b32_e32 v28, 0x80000000, v28
	ds_store_b32 v40, v28 offset:12496
; %bb.924:                              ;   in Loop: Header=BB7_3 Depth=1
	s_or_b32 exec_lo, exec_lo, s10
	s_wait_dscnt 0x0
	s_barrier_signal -1
	s_barrier_wait -1
	s_barrier_signal -1
	s_barrier_wait -1
	s_and_saveexec_b32 s10, s11
; %bb.925:                              ;   in Loop: Header=BB7_3 Depth=1
	v_add_nc_u32_e64 v28, 0x3400, 0
	ds_store_2addr_b32 v28, v64, v64 offset0:52 offset1:117
; %bb.926:                              ;   in Loop: Header=BB7_3 Depth=1
	s_or_b32 exec_lo, exec_lo, s10
	v_mov_b32_e32 v28, 0
	s_wait_dscnt 0x0
	s_barrier_signal -1
	s_barrier_wait -1
	s_and_saveexec_b32 s10, s0
	s_cbranch_execz .LBB7_930
; %bb.927:                              ;   in Loop: Header=BB7_3 Depth=1
	ds_load_b32 v28, v34 offset:13528
	ds_load_b32 v29, v35 offset:13520
	s_wait_dscnt 0x0
	v_fma_f32 v28, v28, v29, 0
	s_and_saveexec_b32 s20, s12
	s_cbranch_execz .LBB7_929
; %bb.928:                              ;   in Loop: Header=BB7_3 Depth=1
	ds_load_b32 v29, v38 offset:13784
	ds_load_b32 v30, v3 offset:13524
	s_wait_dscnt 0x0
	v_fmac_f32_e32 v28, v29, v30
.LBB7_929:                              ;   in Loop: Header=BB7_3 Depth=1
	s_or_b32 exec_lo, exec_lo, s20
	s_delay_alu instid0(VALU_DEP_1)
	v_xor_b32_e32 v28, 0x80000000, v28
.LBB7_930:                              ;   in Loop: Header=BB7_3 Depth=1
	s_or_b32 exec_lo, exec_lo, s10
	s_and_saveexec_b32 s10, s102
; %bb.931:                              ;   in Loop: Header=BB7_3 Depth=1
	ds_store_b32 v9, v28
; %bb.932:                              ;   in Loop: Header=BB7_3 Depth=1
	s_or_b32 exec_lo, exec_lo, s10
	s_wait_dscnt 0x0
	s_barrier_signal -1
	s_barrier_wait -1
	s_and_saveexec_b32 s10, s103
	s_cbranch_execz .LBB7_934
; %bb.933:                              ;   in Loop: Header=BB7_3 Depth=1
	ds_load_b32 v29, v3 offset:14044
	ds_load_b32 v30, v9
	s_wait_dscnt 0x0
	v_fmac_f32_e32 v28, v29, v30
.LBB7_934:                              ;   in Loop: Header=BB7_3 Depth=1
	s_or_b32 exec_lo, exec_lo, s10
	s_barrier_signal -1
	s_barrier_wait -1
	s_and_saveexec_b32 s10, s103
; %bb.935:                              ;   in Loop: Header=BB7_3 Depth=1
	ds_store_b32 v9, v28
; %bb.936:                              ;   in Loop: Header=BB7_3 Depth=1
	s_or_b32 exec_lo, exec_lo, s10
	s_wait_dscnt 0x0
	s_barrier_signal -1
	s_barrier_wait -1
	s_barrier_signal -1
	s_barrier_wait -1
	s_and_saveexec_b32 s10, s0
; %bb.937:                              ;   in Loop: Header=BB7_3 Depth=1
	v_xor_b32_e32 v28, 0x80000000, v28
	ds_store_b32 v34, v28 offset:13528
; %bb.938:                              ;   in Loop: Header=BB7_3 Depth=1
	s_or_b32 exec_lo, exec_lo, s10
	s_wait_dscnt 0x0
	s_barrier_signal -1
	s_barrier_wait -1
	s_barrier_signal -1
	s_barrier_wait -1
	s_and_saveexec_b32 s10, s11
; %bb.939:                              ;   in Loop: Header=BB7_3 Depth=1
	v_add_nc_u32_e64 v28, 0x3400, 0
	ds_store_2addr_b32 v28, v64, v64 offset0:182 offset1:247
; %bb.940:                              ;   in Loop: Header=BB7_3 Depth=1
	s_or_b32 exec_lo, exec_lo, s10
	v_mov_b32_e32 v28, 0
	s_wait_dscnt 0x0
	s_barrier_signal -1
	s_barrier_wait -1
	s_and_saveexec_b32 s10, s2
	s_cbranch_execz .LBB7_950
; %bb.941:                              ;   in Loop: Header=BB7_3 Depth=1
	ds_load_b32 v28, v46 offset:12512
	ds_load_b32 v29, v41 offset:12480
	s_wait_dscnt 0x0
	v_fma_f32 v28, v28, v29, 0
	s_and_saveexec_b32 s20, s15
	s_cbranch_execnz .LBB7_1155
; %bb.942:                              ;   in Loop: Header=BB7_3 Depth=1
	s_or_b32 exec_lo, exec_lo, s20
	s_and_saveexec_b32 s20, s16
	s_cbranch_execnz .LBB7_1156
.LBB7_943:                              ;   in Loop: Header=BB7_3 Depth=1
	s_or_b32 exec_lo, exec_lo, s20
	s_and_saveexec_b32 s20, s17
	s_cbranch_execnz .LBB7_1157
.LBB7_944:                              ;   in Loop: Header=BB7_3 Depth=1
	s_or_b32 exec_lo, exec_lo, s20
	s_and_saveexec_b32 s20, s18
	s_cbranch_execnz .LBB7_1158
.LBB7_945:                              ;   in Loop: Header=BB7_3 Depth=1
	s_or_b32 exec_lo, exec_lo, s20
	s_and_saveexec_b32 s20, s19
	s_cbranch_execnz .LBB7_1159
.LBB7_946:                              ;   in Loop: Header=BB7_3 Depth=1
	s_or_b32 exec_lo, exec_lo, s20
	s_and_saveexec_b32 s20, s1
	s_cbranch_execnz .LBB7_1160
.LBB7_947:                              ;   in Loop: Header=BB7_3 Depth=1
	s_or_b32 exec_lo, exec_lo, s20
	s_and_saveexec_b32 s20, s14
	s_cbranch_execz .LBB7_949
.LBB7_948:                              ;   in Loop: Header=BB7_3 Depth=1
	ds_load_b32 v29, v38 offset:14304
	ds_load_b32 v30, v3 offset:12508
	s_wait_dscnt 0x0
	v_fmac_f32_e32 v28, v29, v30
.LBB7_949:                              ;   in Loop: Header=BB7_3 Depth=1
	s_or_b32 exec_lo, exec_lo, s20
	s_delay_alu instid0(VALU_DEP_1)
	v_xor_b32_e32 v28, 0x80000000, v28
.LBB7_950:                              ;   in Loop: Header=BB7_3 Depth=1
	s_or_b32 exec_lo, exec_lo, s10
	s_and_saveexec_b32 s10, s36
; %bb.951:                              ;   in Loop: Header=BB7_3 Depth=1
	ds_store_b32 v43, v28
; %bb.952:                              ;   in Loop: Header=BB7_3 Depth=1
	s_or_b32 exec_lo, exec_lo, s10
	s_wait_dscnt 0x0
	s_barrier_signal -1
	s_barrier_wait -1
	s_and_saveexec_b32 s10, s37
	s_cbranch_execz .LBB7_954
; %bb.953:                              ;   in Loop: Header=BB7_3 Depth=1
	ds_load_b32 v29, v44 offset:14560
	ds_load_b32 v30, v43
	s_wait_dscnt 0x0
	v_fmac_f32_e32 v28, v29, v30
.LBB7_954:                              ;   in Loop: Header=BB7_3 Depth=1
	s_or_b32 exec_lo, exec_lo, s10
	s_barrier_signal -1
	s_barrier_wait -1
	s_and_saveexec_b32 s10, s38
; %bb.955:                              ;   in Loop: Header=BB7_3 Depth=1
	ds_store_b32 v43, v28
; %bb.956:                              ;   in Loop: Header=BB7_3 Depth=1
	s_or_b32 exec_lo, exec_lo, s10
	s_wait_dscnt 0x0
	s_barrier_signal -1
	s_barrier_wait -1
	s_and_saveexec_b32 s10, s39
	s_cbranch_execz .LBB7_958
; %bb.957:                              ;   in Loop: Header=BB7_3 Depth=1
	ds_load_b32 v29, v44 offset:14816
	ds_load_b32 v30, v43
	s_wait_dscnt 0x0
	v_fmac_f32_e32 v28, v29, v30
.LBB7_958:                              ;   in Loop: Header=BB7_3 Depth=1
	s_or_b32 exec_lo, exec_lo, s10
	s_barrier_signal -1
	s_barrier_wait -1
	;; [unrolled: 19-line block ×7, first 2 shown]
	s_and_saveexec_b32 s10, s49
; %bb.979:                              ;   in Loop: Header=BB7_3 Depth=1
	ds_store_b32 v43, v28
; %bb.980:                              ;   in Loop: Header=BB7_3 Depth=1
	s_or_b32 exec_lo, exec_lo, s10
	s_wait_dscnt 0x0
	s_barrier_signal -1
	s_barrier_wait -1
	s_barrier_signal -1
	s_barrier_wait -1
	s_and_saveexec_b32 s10, s2
; %bb.981:                              ;   in Loop: Header=BB7_3 Depth=1
	v_xor_b32_e32 v28, 0x80000000, v28
	ds_store_b32 v46, v28 offset:12512
; %bb.982:                              ;   in Loop: Header=BB7_3 Depth=1
	s_or_b32 exec_lo, exec_lo, s10
	s_wait_dscnt 0x0
	s_barrier_signal -1
	s_barrier_wait -1
	s_barrier_signal -1
	s_barrier_wait -1
	s_and_saveexec_b32 s10, s11
; %bb.983:                              ;   in Loop: Header=BB7_3 Depth=1
	v_add_nc_u32_e64 v28, 0x3800, 0
	ds_store_2addr_b32 v28, v64, v64 offset0:56 offset1:121
; %bb.984:                              ;   in Loop: Header=BB7_3 Depth=1
	s_or_b32 exec_lo, exec_lo, s10
	v_mov_b32_e32 v28, 0
	s_wait_dscnt 0x0
	s_barrier_signal -1
	s_barrier_wait -1
	s_and_saveexec_b32 s10, s0
	s_cbranch_execz .LBB7_988
; %bb.985:                              ;   in Loop: Header=BB7_3 Depth=1
	ds_load_b32 v28, v34 offset:14568
	ds_load_b32 v29, v35 offset:14560
	s_wait_dscnt 0x0
	v_fma_f32 v28, v28, v29, 0
	s_and_saveexec_b32 s20, s12
	s_cbranch_execz .LBB7_987
; %bb.986:                              ;   in Loop: Header=BB7_3 Depth=1
	ds_load_b32 v29, v38 offset:14824
	ds_load_b32 v30, v3 offset:14564
	s_wait_dscnt 0x0
	v_fmac_f32_e32 v28, v29, v30
.LBB7_987:                              ;   in Loop: Header=BB7_3 Depth=1
	s_or_b32 exec_lo, exec_lo, s20
	s_delay_alu instid0(VALU_DEP_1)
	v_xor_b32_e32 v28, 0x80000000, v28
.LBB7_988:                              ;   in Loop: Header=BB7_3 Depth=1
	s_or_b32 exec_lo, exec_lo, s10
	s_and_saveexec_b32 s10, s102
; %bb.989:                              ;   in Loop: Header=BB7_3 Depth=1
	ds_store_b32 v9, v28
; %bb.990:                              ;   in Loop: Header=BB7_3 Depth=1
	s_or_b32 exec_lo, exec_lo, s10
	s_wait_dscnt 0x0
	s_barrier_signal -1
	s_barrier_wait -1
	s_and_saveexec_b32 s10, s103
	s_cbranch_execz .LBB7_992
; %bb.991:                              ;   in Loop: Header=BB7_3 Depth=1
	ds_load_b32 v29, v3 offset:15084
	ds_load_b32 v30, v9
	s_wait_dscnt 0x0
	v_fmac_f32_e32 v28, v29, v30
.LBB7_992:                              ;   in Loop: Header=BB7_3 Depth=1
	s_or_b32 exec_lo, exec_lo, s10
	s_barrier_signal -1
	s_barrier_wait -1
	s_and_saveexec_b32 s10, s103
; %bb.993:                              ;   in Loop: Header=BB7_3 Depth=1
	ds_store_b32 v9, v28
; %bb.994:                              ;   in Loop: Header=BB7_3 Depth=1
	s_or_b32 exec_lo, exec_lo, s10
	s_wait_dscnt 0x0
	s_barrier_signal -1
	s_barrier_wait -1
	s_barrier_signal -1
	s_barrier_wait -1
	s_and_saveexec_b32 s10, s0
; %bb.995:                              ;   in Loop: Header=BB7_3 Depth=1
	v_xor_b32_e32 v28, 0x80000000, v28
	ds_store_b32 v34, v28 offset:14568
; %bb.996:                              ;   in Loop: Header=BB7_3 Depth=1
	s_or_b32 exec_lo, exec_lo, s10
	s_wait_dscnt 0x0
	s_barrier_signal -1
	s_barrier_wait -1
	s_barrier_signal -1
	s_barrier_wait -1
	s_and_saveexec_b32 s10, s11
; %bb.997:                              ;   in Loop: Header=BB7_3 Depth=1
	v_add_nc_u32_e64 v28, 0x3800, 0
	ds_store_2addr_b32 v28, v64, v64 offset0:186 offset1:251
; %bb.998:                              ;   in Loop: Header=BB7_3 Depth=1
	s_or_b32 exec_lo, exec_lo, s10
	v_mov_b32_e32 v28, 0
	s_wait_dscnt 0x0
	s_barrier_signal -1
	s_barrier_wait -1
	s_and_saveexec_b32 s10, s1
	s_cbranch_execz .LBB7_1004
; %bb.999:                              ;   in Loop: Header=BB7_3 Depth=1
	ds_load_b32 v28, v40 offset:14576
	ds_load_b32 v29, v36 offset:14560
	s_wait_dscnt 0x0
	v_fma_f32 v28, v28, v29, 0
	s_and_saveexec_b32 s20, s13
	s_cbranch_execnz .LBB7_1161
; %bb.1000:                             ;   in Loop: Header=BB7_3 Depth=1
	s_or_b32 exec_lo, exec_lo, s20
	s_and_saveexec_b32 s20, s14
	s_cbranch_execnz .LBB7_1162
.LBB7_1001:                             ;   in Loop: Header=BB7_3 Depth=1
	s_or_b32 exec_lo, exec_lo, s20
	s_and_saveexec_b32 s20, s0
	s_cbranch_execz .LBB7_1003
.LBB7_1002:                             ;   in Loop: Header=BB7_3 Depth=1
	ds_load_b32 v29, v38 offset:15344
	ds_load_b32 v30, v3 offset:14572
	s_wait_dscnt 0x0
	v_fmac_f32_e32 v28, v29, v30
.LBB7_1003:                             ;   in Loop: Header=BB7_3 Depth=1
	s_or_b32 exec_lo, exec_lo, s20
	s_delay_alu instid0(VALU_DEP_1)
	v_xor_b32_e32 v28, 0x80000000, v28
.LBB7_1004:                             ;   in Loop: Header=BB7_3 Depth=1
	s_or_b32 exec_lo, exec_lo, s10
	s_and_saveexec_b32 s10, s104
; %bb.1005:                             ;   in Loop: Header=BB7_3 Depth=1
	ds_store_b32 v39, v28
; %bb.1006:                             ;   in Loop: Header=BB7_3 Depth=1
	s_or_b32 exec_lo, exec_lo, s10
	s_wait_dscnt 0x0
	s_barrier_signal -1
	s_barrier_wait -1
	s_and_saveexec_b32 s10, vcc_hi
	s_cbranch_execz .LBB7_1008
; %bb.1007:                             ;   in Loop: Header=BB7_3 Depth=1
	ds_load_b32 v29, v37 offset:15600
	ds_load_b32 v30, v39
	s_wait_dscnt 0x0
	v_fmac_f32_e32 v28, v29, v30
.LBB7_1008:                             ;   in Loop: Header=BB7_3 Depth=1
	s_or_b32 exec_lo, exec_lo, s10
	s_barrier_signal -1
	s_barrier_wait -1
	s_and_saveexec_b32 s10, s31
; %bb.1009:                             ;   in Loop: Header=BB7_3 Depth=1
	ds_store_b32 v39, v28
; %bb.1010:                             ;   in Loop: Header=BB7_3 Depth=1
	s_or_b32 exec_lo, exec_lo, s10
	s_wait_dscnt 0x0
	s_barrier_signal -1
	s_barrier_wait -1
	s_and_saveexec_b32 s10, s33
	s_cbranch_execz .LBB7_1012
; %bb.1011:                             ;   in Loop: Header=BB7_3 Depth=1
	ds_load_b32 v29, v37 offset:15856
	ds_load_b32 v30, v39
	s_wait_dscnt 0x0
	v_fmac_f32_e32 v28, v29, v30
.LBB7_1012:                             ;   in Loop: Header=BB7_3 Depth=1
	s_or_b32 exec_lo, exec_lo, s10
	s_barrier_signal -1
	s_barrier_wait -1
	s_and_saveexec_b32 s10, s34
; %bb.1013:                             ;   in Loop: Header=BB7_3 Depth=1
	ds_store_b32 v39, v28
; %bb.1014:                             ;   in Loop: Header=BB7_3 Depth=1
	s_or_b32 exec_lo, exec_lo, s10
	s_wait_dscnt 0x0
	s_barrier_signal -1
	s_barrier_wait -1
	s_and_saveexec_b32 s10, s35
	s_cbranch_execz .LBB7_1016
; %bb.1015:                             ;   in Loop: Header=BB7_3 Depth=1
	ds_load_b32 v29, v3 offset:16124
	ds_load_b32 v30, v39
	s_wait_dscnt 0x0
	v_fmac_f32_e32 v28, v29, v30
.LBB7_1016:                             ;   in Loop: Header=BB7_3 Depth=1
	s_or_b32 exec_lo, exec_lo, s10
	s_barrier_signal -1
	s_barrier_wait -1
	s_and_saveexec_b32 s10, s35
; %bb.1017:                             ;   in Loop: Header=BB7_3 Depth=1
	ds_store_b32 v39, v28
; %bb.1018:                             ;   in Loop: Header=BB7_3 Depth=1
	s_or_b32 exec_lo, exec_lo, s10
	s_wait_dscnt 0x0
	s_barrier_signal -1
	s_barrier_wait -1
	s_barrier_signal -1
	s_barrier_wait -1
	s_and_saveexec_b32 s10, s1
; %bb.1019:                             ;   in Loop: Header=BB7_3 Depth=1
	v_xor_b32_e32 v28, 0x80000000, v28
	ds_store_b32 v40, v28 offset:14576
; %bb.1020:                             ;   in Loop: Header=BB7_3 Depth=1
	s_or_b32 exec_lo, exec_lo, s10
	s_wait_dscnt 0x0
	s_barrier_signal -1
	s_barrier_wait -1
	s_barrier_signal -1
	s_barrier_wait -1
	s_and_saveexec_b32 s10, s11
; %bb.1021:                             ;   in Loop: Header=BB7_3 Depth=1
	v_add_nc_u32_e64 v28, 0x3c00, 0
	ds_store_2addr_b32 v28, v64, v64 offset0:60 offset1:125
; %bb.1022:                             ;   in Loop: Header=BB7_3 Depth=1
	s_or_b32 exec_lo, exec_lo, s10
	v_mov_b32_e32 v28, 0
	s_wait_dscnt 0x0
	s_barrier_signal -1
	s_barrier_wait -1
	s_and_saveexec_b32 s10, s0
	s_cbranch_execz .LBB7_1026
; %bb.1023:                             ;   in Loop: Header=BB7_3 Depth=1
	ds_load_b32 v28, v34 offset:15608
	ds_load_b32 v29, v35 offset:15600
	s_wait_dscnt 0x0
	v_fma_f32 v28, v28, v29, 0
	s_and_saveexec_b32 s20, s12
	s_cbranch_execz .LBB7_1025
; %bb.1024:                             ;   in Loop: Header=BB7_3 Depth=1
	ds_load_b32 v29, v38 offset:15864
	ds_load_b32 v30, v3 offset:15604
	s_wait_dscnt 0x0
	v_fmac_f32_e32 v28, v29, v30
.LBB7_1025:                             ;   in Loop: Header=BB7_3 Depth=1
	s_or_b32 exec_lo, exec_lo, s20
	s_delay_alu instid0(VALU_DEP_1)
	v_xor_b32_e32 v28, 0x80000000, v28
.LBB7_1026:                             ;   in Loop: Header=BB7_3 Depth=1
	s_or_b32 exec_lo, exec_lo, s10
	s_and_saveexec_b32 s10, s102
; %bb.1027:                             ;   in Loop: Header=BB7_3 Depth=1
	ds_store_b32 v9, v28
; %bb.1028:                             ;   in Loop: Header=BB7_3 Depth=1
	s_or_b32 exec_lo, exec_lo, s10
	s_wait_dscnt 0x0
	s_barrier_signal -1
	s_barrier_wait -1
	s_and_saveexec_b32 s10, s103
	s_cbranch_execz .LBB7_1030
; %bb.1029:                             ;   in Loop: Header=BB7_3 Depth=1
	ds_load_b32 v29, v3 offset:16124
	ds_load_b32 v30, v9
	s_wait_dscnt 0x0
	v_fmac_f32_e32 v28, v29, v30
.LBB7_1030:                             ;   in Loop: Header=BB7_3 Depth=1
	s_or_b32 exec_lo, exec_lo, s10
	s_barrier_signal -1
	s_barrier_wait -1
	s_and_saveexec_b32 s10, s103
; %bb.1031:                             ;   in Loop: Header=BB7_3 Depth=1
	ds_store_b32 v9, v28
; %bb.1032:                             ;   in Loop: Header=BB7_3 Depth=1
	s_or_b32 exec_lo, exec_lo, s10
	s_wait_dscnt 0x0
	s_barrier_signal -1
	s_barrier_wait -1
	s_barrier_signal -1
	s_barrier_wait -1
	s_and_saveexec_b32 s10, s0
; %bb.1033:                             ;   in Loop: Header=BB7_3 Depth=1
	v_xor_b32_e32 v28, 0x80000000, v28
	ds_store_b32 v34, v28 offset:15608
; %bb.1034:                             ;   in Loop: Header=BB7_3 Depth=1
	s_or_b32 exec_lo, exec_lo, s10
	s_wait_dscnt 0x0
	s_barrier_signal -1
	s_barrier_wait -1
	s_barrier_signal -1
	s_barrier_wait -1
	s_and_saveexec_b32 s10, s11
; %bb.1035:                             ;   in Loop: Header=BB7_3 Depth=1
	v_add_nc_u32_e64 v28, 0x3c00, 0
	ds_store_2addr_b32 v28, v64, v64 offset0:190 offset1:255
; %bb.1036:                             ;   in Loop: Header=BB7_3 Depth=1
	s_or_b32 exec_lo, exec_lo, s10
.LBB7_1037:                             ;   in Loop: Header=BB7_3 Depth=1
	s_mul_u64 s[64:65], s[80:81], s[84:85]
	v_mov_b32_e32 v32, 0
	s_lshl_b64 s[64:65], s[64:65], 2
	s_wait_dscnt 0x0
	s_add_nc_u64 s[94:95], s[74:75], s[64:65]
	s_barrier_signal -1
	s_barrier_wait -1
	s_and_saveexec_b32 s10, s7
	s_cbranch_execz .LBB7_1039
; %bb.1038:                             ;   in Loop: Header=BB7_3 Depth=1
	v_lshl_add_u64 v[28:29], v[0:1], 2, s[94:95]
	global_load_b32 v28, v[28:29], off
	s_wait_loadcnt 0x0
	v_mul_f32_e64 v32, v28, -v2
.LBB7_1039:                             ;   in Loop: Header=BB7_3 Depth=1
	s_or_b32 exec_lo, exec_lo, s10
	s_delay_alu instid0(SALU_CYCLE_1)
	s_and_not1_b32 vcc_lo, exec_lo, s54
	s_cbranch_vccnz .LBB7_1065
; %bb.1040:                             ;   in Loop: Header=BB7_3 Depth=1
	v_lshl_add_u64 v[28:29], v[10:11], 2, s[92:93]
	v_mov_b32_e32 v69, -1
	s_lshl_b64 s[64:65], s[84:85], 2
	s_mov_b32 s10, 0
	s_add_nc_u64 s[92:93], s[82:83], s[64:65]
	s_branch .LBB7_1043
.LBB7_1041:                             ;   in Loop: Header=BB7_1043 Depth=2
	s_wait_xcnt 0x0
	ds_load_b32 v30, v57 offset:192
	s_wait_loadcnt_dscnt 0x0
	v_fmac_f32_e32 v32, v2, v30
.LBB7_1042:                             ;   in Loop: Header=BB7_1043 Depth=2
	s_or_b32 exec_lo, exec_lo, s64
	s_add_co_i32 s10, s10, 1
	s_delay_alu instid0(SALU_CYCLE_1)
	s_cmp_eq_u32 s10, s98
	s_cbranch_scc1 .LBB7_1065
.LBB7_1043:                             ;   Parent Loop BB7_3 Depth=1
                                        ; =>  This Loop Header: Depth=2
                                        ;       Child Loop BB7_1045 Depth 3
	v_cmp_gt_i32_e32 vcc_lo, s10, v69
	s_and_b32 s20, s55, vcc_lo
	s_delay_alu instid0(SALU_CYCLE_1)
	s_and_saveexec_b32 s64, s20
	s_cbranch_execz .LBB7_1046
; %bb.1044:                             ;   in Loop: Header=BB7_1043 Depth=2
	global_load_b32 v69, v3, s[92:93]
	s_wait_loadcnt 0x0
	v_cmp_le_i32_e32 vcc_lo, s10, v69
	s_cbranch_vccnz .LBB7_1046
.LBB7_1045:                             ;   Parent Loop BB7_3 Depth=1
                                        ;     Parent Loop BB7_1043 Depth=2
                                        ; =>    This Inner Loop Header: Depth=3
	global_wb scope:SCOPE_DEV
	s_wait_storecnt 0x0
	global_inv scope:SCOPE_DEV
	global_load_b32 v69, v3, s[92:93]
	s_wait_loadcnt 0x0
	v_cmp_gt_i32_e32 vcc_lo, s10, v69
	s_cbranch_vccnz .LBB7_1045
.LBB7_1046:                             ;   in Loop: Header=BB7_1043 Depth=2
	s_or_b32 exec_lo, exec_lo, s64
	s_lshl_b32 s65, s10, 6
	global_wb scope:SCOPE_DEV
	s_wait_storecnt 0x0
	global_inv scope:SCOPE_DEV
	s_wait_loadcnt 0x0
	s_barrier_signal -1
	s_barrier_wait -1
	s_and_saveexec_b32 s64, s56
	s_cbranch_execz .LBB7_1050
; %bb.1047:                             ;   in Loop: Header=BB7_1043 Depth=2
	v_dual_mov_b32 v30, 0 :: v_dual_bitop2_b32 v2, s65, v8 bitop3:0x54
	s_mov_b32 s20, exec_lo
	s_delay_alu instid0(VALU_DEP_1)
	v_cmpx_gt_i32_e64 s97, v2
	s_cbranch_execz .LBB7_1049
; %bb.1048:                             ;   in Loop: Header=BB7_1043 Depth=2
	v_mul_u64_e32 v[30:31], s[78:79], v[2:3]
	s_delay_alu instid0(VALU_DEP_1)
	v_lshl_add_u64 v[30:31], v[30:31], 2, s[94:95]
	global_load_b32 v30, v[30:31], off
.LBB7_1049:                             ;   in Loop: Header=BB7_1043 Depth=2
	s_wait_xcnt 0x0
	s_or_b32 exec_lo, exec_lo, s20
	s_wait_loadcnt 0x0
	ds_store_b32 v58, v30
.LBB7_1050:                             ;   in Loop: Header=BB7_1043 Depth=2
	s_or_b32 exec_lo, exec_lo, s64
	v_add_nc_u32_e32 v2, s65, v4
	v_cmp_ne_u32_e32 vcc_lo, s10, v7
	s_wait_dscnt 0x0
	s_barrier_signal -1
	s_barrier_wait -1
	v_mul_u64_e32 v[30:31], s[68:69], v[2:3]
	v_cmp_gt_i32_e64 s65, s97, v2
	v_cndmask_b32_e64 v70, 0, 1, vcc_lo
	s_and_b32 s20, s6, s65
	v_lshl_add_u64 v[30:31], v[30:31], 2, v[28:29]
	s_and_saveexec_b32 s64, s20
	s_cbranch_execz .LBB7_1054
; %bb.1051:                             ;   in Loop: Header=BB7_1043 Depth=2
	v_mov_b32_e32 v71, v65
	s_and_not1_b32 vcc_lo, exec_lo, vcc_lo
	s_cbranch_vccnz .LBB7_1053
; %bb.1052:                             ;   in Loop: Header=BB7_1043 Depth=2
	global_load_b32 v71, v[30:31], off
.LBB7_1053:                             ;   in Loop: Header=BB7_1043 Depth=2
	ds_load_b32 v72, v57
	s_wait_loadcnt_dscnt 0x0
	v_fmac_f32_e32 v32, v71, v72
.LBB7_1054:                             ;   in Loop: Header=BB7_1043 Depth=2
	s_or_b32 exec_lo, exec_lo, s64
	v_add_nc_u32_e32 v71, 16, v2
	s_delay_alu instid0(VALU_DEP_1) | instskip(SKIP_1) | instid1(SALU_CYCLE_1)
	v_cmp_gt_i32_e32 vcc_lo, s97, v71
	s_and_b32 s20, s6, vcc_lo
	s_and_saveexec_b32 s64, s20
	s_cbranch_execz .LBB7_1058
; %bb.1055:                             ;   in Loop: Header=BB7_1043 Depth=2
	v_cmp_ne_u32_e32 vcc_lo, 1, v70
	v_mov_b32_e32 v71, v66
	s_cbranch_vccnz .LBB7_1057
; %bb.1056:                             ;   in Loop: Header=BB7_1043 Depth=2
	v_add_nc_u64_e32 v[72:73], s[86:87], v[30:31]
	global_load_b32 v71, v[72:73], off
.LBB7_1057:                             ;   in Loop: Header=BB7_1043 Depth=2
	s_wait_xcnt 0x0
	ds_load_b32 v72, v57 offset:64
	s_wait_loadcnt_dscnt 0x0
	v_fmac_f32_e32 v32, v71, v72
.LBB7_1058:                             ;   in Loop: Header=BB7_1043 Depth=2
	s_or_b32 exec_lo, exec_lo, s64
	v_add_nc_u32_e32 v71, 32, v2
	s_delay_alu instid0(VALU_DEP_1) | instskip(SKIP_1) | instid1(SALU_CYCLE_1)
	v_cmp_gt_i32_e32 vcc_lo, s97, v71
	s_and_b32 s20, s6, vcc_lo
	s_and_saveexec_b32 s64, s20
	s_cbranch_execz .LBB7_1062
; %bb.1059:                             ;   in Loop: Header=BB7_1043 Depth=2
	v_cmp_ne_u32_e32 vcc_lo, 1, v70
	v_mov_b32_e32 v71, v67
	s_cbranch_vccnz .LBB7_1061
; %bb.1060:                             ;   in Loop: Header=BB7_1043 Depth=2
	v_add_nc_u64_e32 v[72:73], s[88:89], v[30:31]
	global_load_b32 v71, v[72:73], off
.LBB7_1061:                             ;   in Loop: Header=BB7_1043 Depth=2
	s_wait_xcnt 0x0
	ds_load_b32 v72, v57 offset:128
	s_wait_loadcnt_dscnt 0x0
	v_fmac_f32_e32 v32, v71, v72
.LBB7_1062:                             ;   in Loop: Header=BB7_1043 Depth=2
	s_or_b32 exec_lo, exec_lo, s64
	v_add_nc_u32_e32 v2, 48, v2
	s_delay_alu instid0(VALU_DEP_1) | instskip(SKIP_1) | instid1(SALU_CYCLE_1)
	v_cmp_gt_i32_e32 vcc_lo, s97, v2
	s_and_b32 s20, s6, vcc_lo
	s_and_saveexec_b32 s64, s20
	s_cbranch_execz .LBB7_1042
; %bb.1063:                             ;   in Loop: Header=BB7_1043 Depth=2
	v_cmp_ne_u32_e32 vcc_lo, 1, v70
	v_mov_b32_e32 v2, v68
	s_cbranch_vccnz .LBB7_1041
; %bb.1064:                             ;   in Loop: Header=BB7_1043 Depth=2
	v_add_nc_u64_e32 v[30:31], s[90:91], v[30:31]
	global_load_b32 v2, v[30:31], off
	s_branch .LBB7_1041
.LBB7_1065:                             ;   in Loop: Header=BB7_3 Depth=1
	ds_store_b32 v59, v32
	s_wait_dscnt 0x0
	s_barrier_signal -1
	s_barrier_wait -1
	s_and_saveexec_b32 s10, s5
	s_cbranch_execz .LBB7_1067
; %bb.1066:                             ;   in Loop: Header=BB7_3 Depth=1
	ds_load_2addr_stride64_b32 v[28:29], v60 offset0:1 offset1:2
	ds_load_2addr_stride64_b32 v[30:31], v60 offset0:3 offset1:4
	;; [unrolled: 1-line block ×4, first 2 shown]
	v_readlane_b32 s20, v75, 5
	s_wait_dscnt 0x3
	v_add_f32_e32 v2, v32, v28
	s_delay_alu instid0(VALU_DEP_1) | instskip(SKIP_3) | instid1(VALU_DEP_1)
	v_add_f32_e32 v2, v2, v29
	ds_load_2addr_stride64_b32 v[28:29], v60 offset0:9 offset1:10
	s_wait_dscnt 0x3
	v_add_f32_e32 v2, v2, v30
	v_add_f32_e32 v2, v2, v31
	ds_load_2addr_stride64_b32 v[30:31], v60 offset0:11 offset1:12
	s_wait_dscnt 0x3
	v_add_f32_e32 v2, v2, v70
	s_delay_alu instid0(VALU_DEP_1) | instskip(SKIP_4) | instid1(VALU_DEP_1)
	v_add_f32_e32 v2, v2, v71
	ds_load_2addr_stride64_b32 v[70:71], v60 offset0:13 offset1:14
	ds_load_b32 v32, v60 offset:3840
	s_wait_dscnt 0x4
	v_add_f32_e32 v2, v2, v72
	v_add_f32_e32 v2, v2, v73
	s_wait_dscnt 0x3
	s_delay_alu instid0(VALU_DEP_1) | instskip(NEXT) | instid1(VALU_DEP_1)
	v_add_f32_e32 v2, v2, v28
	v_add_f32_e32 v2, v2, v29
	s_wait_dscnt 0x2
	s_delay_alu instid0(VALU_DEP_1) | instskip(NEXT) | instid1(VALU_DEP_1)
	;; [unrolled: 4-line block ×4, first 2 shown]
	v_add_f32_e32 v2, v2, v32
	v_cndmask_b32_e64 v32, -v2, 0, s20
.LBB7_1067:                             ;   in Loop: Header=BB7_3 Depth=1
	s_or_b32 exec_lo, exec_lo, s10
	s_delay_alu instid0(SALU_CYCLE_1)
	s_and_not1_b32 vcc_lo, exec_lo, s101
	s_cbranch_vccnz .LBB7_1080
; %bb.1068:                             ;   in Loop: Header=BB7_3 Depth=1
	s_and_saveexec_b32 s10, s5
; %bb.1069:                             ;   in Loop: Header=BB7_3 Depth=1
	ds_store_b32 v62, v32
; %bb.1070:                             ;   in Loop: Header=BB7_3 Depth=1
	s_or_b32 exec_lo, exec_lo, s10
	v_mov_b32_e32 v2, 0
	s_wait_dscnt 0x0
	s_barrier_signal -1
	s_barrier_wait -1
	s_mov_b32 s10, exec_lo
	v_readlane_b32 s20, v74, 21
	s_and_b32 s20, s10, s20
	s_delay_alu instid0(SALU_CYCLE_1)
	s_mov_b32 exec_lo, s20
	s_cbranch_execz .LBB7_1072
; %bb.1071:                             ;   in Loop: Header=BB7_3 Depth=1
	ds_load_b32 v2, v61
	ds_load_b32 v28, v57
	s_wait_dscnt 0x0
	v_fma_f32 v2, v2, v28, 0
.LBB7_1072:                             ;   in Loop: Header=BB7_3 Depth=1
	s_or_b32 exec_lo, exec_lo, s10
	s_delay_alu instid0(SALU_CYCLE_1) | instskip(SKIP_2) | instid1(SALU_CYCLE_1)
	s_mov_b32 s10, exec_lo
	v_readlane_b32 s20, v74, 22
	s_and_b32 s20, s10, s20
	s_mov_b32 exec_lo, s20
	s_cbranch_execz .LBB7_1074
; %bb.1073:                             ;   in Loop: Header=BB7_3 Depth=1
	ds_load_b32 v28, v61 offset:4096
	ds_load_b32 v29, v57 offset:64
	s_wait_dscnt 0x0
	v_fmac_f32_e32 v2, v28, v29
.LBB7_1074:                             ;   in Loop: Header=BB7_3 Depth=1
	s_or_b32 exec_lo, exec_lo, s10
	s_delay_alu instid0(SALU_CYCLE_1) | instskip(SKIP_2) | instid1(SALU_CYCLE_1)
	s_mov_b32 s10, exec_lo
	v_readlane_b32 s20, v74, 23
	s_and_b32 s20, s10, s20
	s_mov_b32 exec_lo, s20
	s_cbranch_execz .LBB7_1076
; %bb.1075:                             ;   in Loop: Header=BB7_3 Depth=1
	ds_load_b32 v28, v61 offset:8192
	ds_load_b32 v29, v57 offset:128
	s_wait_dscnt 0x0
	v_fmac_f32_e32 v2, v28, v29
.LBB7_1076:                             ;   in Loop: Header=BB7_3 Depth=1
	;; [unrolled: 13-line block ×3, first 2 shown]
	s_or_b32 exec_lo, exec_lo, s10
	s_mov_b32 s10, 0
	s_mov_b32 s65, 0
	ds_store_b32 v59, v2
	s_wait_dscnt 0x0
	s_barrier_signal -1
	s_barrier_wait -1
                                        ; implicit-def: $vgpr28
	s_and_saveexec_b32 s92, s5
	s_cbranch_execz .LBB7_1108
; %bb.1079:                             ;   in Loop: Header=BB7_3 Depth=1
	ds_load_2addr_stride64_b32 v[28:29], v60 offset0:1 offset1:2
	ds_load_2addr_stride64_b32 v[30:31], v60 offset0:3 offset1:4
	;; [unrolled: 1-line block ×4, first 2 shown]
	s_mov_b32 s65, exec_lo
	s_wait_dscnt 0x3
	v_add_f32_e32 v2, v2, v28
	s_delay_alu instid0(VALU_DEP_1) | instskip(SKIP_3) | instid1(VALU_DEP_1)
	v_add_f32_e32 v2, v29, v2
	ds_load_2addr_stride64_b32 v[28:29], v60 offset0:9 offset1:10
	s_wait_dscnt 0x3
	v_add_f32_e32 v2, v30, v2
	v_add_f32_e32 v2, v31, v2
	ds_load_2addr_stride64_b32 v[30:31], v60 offset0:11 offset1:12
	s_wait_dscnt 0x3
	v_add_f32_e32 v2, v70, v2
	s_delay_alu instid0(VALU_DEP_1) | instskip(SKIP_4) | instid1(VALU_DEP_1)
	v_add_f32_e32 v2, v71, v2
	ds_load_2addr_stride64_b32 v[70:71], v60 offset0:13 offset1:14
	ds_load_b32 v69, v60 offset:3840
	s_wait_dscnt 0x4
	v_add_f32_e32 v2, v72, v2
	v_add_f32_e32 v2, v73, v2
	s_wait_dscnt 0x3
	s_delay_alu instid0(VALU_DEP_1) | instskip(NEXT) | instid1(VALU_DEP_1)
	v_add_f32_e32 v2, v28, v2
	v_add_f32_e32 v2, v29, v2
	s_wait_dscnt 0x2
	s_delay_alu instid0(VALU_DEP_1) | instskip(NEXT) | instid1(VALU_DEP_1)
	;; [unrolled: 4-line block ×3, first 2 shown]
	v_add_f32_e32 v2, v70, v2
	v_add_f32_e32 v2, v71, v2
	s_wait_dscnt 0x0
	s_delay_alu instid0(VALU_DEP_1) | instskip(SKIP_1) | instid1(SALU_CYCLE_1)
	v_add_f32_e32 v28, v69, v2
	s_or_b32 exec_lo, exec_lo, s92
	s_and_b32 vcc_lo, exec_lo, s10
	s_cbranch_vccnz .LBB7_1081
	s_branch .LBB7_1109
.LBB7_1080:                             ;   in Loop: Header=BB7_3 Depth=1
	s_mov_b32 s65, 0
                                        ; implicit-def: $vgpr28
	s_cbranch_execz .LBB7_1109
.LBB7_1081:                             ;   in Loop: Header=BB7_3 Depth=1
	v_dual_mov_b32 v2, v6 :: v_dual_mov_b32 v28, v38
	s_mov_b32 s10, 0
	s_branch .LBB7_1083
.LBB7_1082:                             ;   in Loop: Header=BB7_1083 Depth=2
	s_or_b32 exec_lo, exec_lo, s20
	v_add_nc_u32_e32 v28, 0x400, v28
	v_add_nc_u32_e32 v2, -4, v2
	s_add_co_i32 s10, s10, 4
	s_delay_alu instid0(SALU_CYCLE_1)
	s_cmp_lg_u32 s10, 64
	s_barrier_signal -1
	s_barrier_wait -1
	s_cbranch_scc0 .LBB7_1099
.LBB7_1083:                             ;   Parent Loop BB7_3 Depth=1
                                        ; =>  This Inner Loop Header: Depth=2
	s_delay_alu instid0(VALU_DEP_1) | instskip(SKIP_1) | instid1(SALU_CYCLE_1)
	v_cmp_eq_u32_e32 vcc_lo, 0, v2
	s_and_b32 s64, s5, vcc_lo
	s_and_saveexec_b32 s20, s64
; %bb.1084:                             ;   in Loop: Header=BB7_1083 Depth=2
	ds_store_b32 v3, v32 offset:20736
; %bb.1085:                             ;   in Loop: Header=BB7_1083 Depth=2
	s_or_b32 exec_lo, exec_lo, s20
	v_cmp_lt_u32_e32 vcc_lo, s10, v6
	s_wait_dscnt 0x0
	s_barrier_signal -1
	s_barrier_wait -1
	s_and_b32 s64, s5, vcc_lo
	s_delay_alu instid0(SALU_CYCLE_1)
	s_and_saveexec_b32 s20, s64
	s_cbranch_execz .LBB7_1087
; %bb.1086:                             ;   in Loop: Header=BB7_1083 Depth=2
	ds_load_b32 v29, v28
	ds_load_b32 v30, v3 offset:20736
	s_wait_dscnt 0x0
	v_fmac_f32_e32 v32, v29, v30
.LBB7_1087:                             ;   in Loop: Header=BB7_1083 Depth=2
	s_or_b32 exec_lo, exec_lo, s20
	s_or_b32 s64, s10, 1
	s_delay_alu instid0(SALU_CYCLE_1) | instskip(SKIP_3) | instid1(SALU_CYCLE_1)
	v_cmp_eq_u32_e32 vcc_lo, s64, v6
	s_barrier_signal -1
	s_barrier_wait -1
	s_and_b32 s92, s5, vcc_lo
	s_and_saveexec_b32 s20, s92
; %bb.1088:                             ;   in Loop: Header=BB7_1083 Depth=2
	ds_store_b32 v3, v32 offset:20736
; %bb.1089:                             ;   in Loop: Header=BB7_1083 Depth=2
	s_or_b32 exec_lo, exec_lo, s20
	v_cmp_lt_u32_e32 vcc_lo, s64, v6
	s_wait_dscnt 0x0
	s_barrier_signal -1
	s_barrier_wait -1
	s_and_b32 s64, s5, vcc_lo
	s_delay_alu instid0(SALU_CYCLE_1)
	s_and_saveexec_b32 s20, s64
	s_cbranch_execz .LBB7_1091
; %bb.1090:                             ;   in Loop: Header=BB7_1083 Depth=2
	ds_load_b32 v29, v28 offset:256
	ds_load_b32 v30, v3 offset:20736
	s_wait_dscnt 0x0
	v_fmac_f32_e32 v32, v29, v30
.LBB7_1091:                             ;   in Loop: Header=BB7_1083 Depth=2
	s_or_b32 exec_lo, exec_lo, s20
	s_or_b32 s64, s10, 2
	s_delay_alu instid0(SALU_CYCLE_1) | instskip(SKIP_3) | instid1(SALU_CYCLE_1)
	v_cmp_eq_u32_e32 vcc_lo, s64, v6
	s_barrier_signal -1
	s_barrier_wait -1
	s_and_b32 s92, s5, vcc_lo
	s_and_saveexec_b32 s20, s92
; %bb.1092:                             ;   in Loop: Header=BB7_1083 Depth=2
	ds_store_b32 v3, v32 offset:20736
; %bb.1093:                             ;   in Loop: Header=BB7_1083 Depth=2
	s_or_b32 exec_lo, exec_lo, s20
	v_cmp_lt_u32_e32 vcc_lo, s64, v6
	s_wait_dscnt 0x0
	s_barrier_signal -1
	s_barrier_wait -1
	s_and_b32 s64, s5, vcc_lo
	s_delay_alu instid0(SALU_CYCLE_1)
	s_and_saveexec_b32 s20, s64
	s_cbranch_execz .LBB7_1095
; %bb.1094:                             ;   in Loop: Header=BB7_1083 Depth=2
	ds_load_b32 v29, v28 offset:512
	ds_load_b32 v30, v3 offset:20736
	s_wait_dscnt 0x0
	v_fmac_f32_e32 v32, v29, v30
.LBB7_1095:                             ;   in Loop: Header=BB7_1083 Depth=2
	s_or_b32 exec_lo, exec_lo, s20
	s_or_b32 s64, s10, 3
	s_delay_alu instid0(SALU_CYCLE_1) | instskip(SKIP_3) | instid1(SALU_CYCLE_1)
	v_cmp_eq_u32_e32 vcc_lo, s64, v6
	s_barrier_signal -1
	s_barrier_wait -1
	s_and_b32 s92, s5, vcc_lo
	s_and_saveexec_b32 s20, s92
; %bb.1096:                             ;   in Loop: Header=BB7_1083 Depth=2
	ds_store_b32 v3, v32 offset:20736
; %bb.1097:                             ;   in Loop: Header=BB7_1083 Depth=2
	s_or_b32 exec_lo, exec_lo, s20
	v_cmp_lt_u32_e32 vcc_lo, s64, v6
	s_wait_dscnt 0x0
	s_barrier_signal -1
	s_barrier_wait -1
	s_and_b32 s64, s5, vcc_lo
	s_delay_alu instid0(SALU_CYCLE_1)
	s_and_saveexec_b32 s20, s64
	s_cbranch_execz .LBB7_1082
; %bb.1098:                             ;   in Loop: Header=BB7_1083 Depth=2
	ds_load_b32 v29, v28 offset:768
	ds_load_b32 v30, v3 offset:20736
	s_wait_dscnt 0x0
	v_fmac_f32_e32 v32, v29, v30
	s_branch .LBB7_1082
.LBB7_1099:                             ;   in Loop: Header=BB7_3 Depth=1
	s_and_b32 vcc_lo, exec_lo, s100
	s_mov_b32 s10, -1
	s_cbranch_vccz .LBB7_1101
; %bb.1100:                             ;   in Loop: Header=BB7_3 Depth=1
	s_and_not1_b32 s20, s65, exec_lo
	s_and_b32 s64, s5, exec_lo
	s_mov_b32 s10, 0
	s_or_b32 s65, s20, s64
.LBB7_1101:                             ;   in Loop: Header=BB7_3 Depth=1
	s_and_not1_b32 vcc_lo, exec_lo, s10
	s_cbranch_vccnz .LBB7_1103
; %bb.1102:                             ;   in Loop: Header=BB7_3 Depth=1
	v_readlane_b32 s20, v75, 6
	s_and_not1_b32 s10, s65, exec_lo
	s_and_b32 s20, s20, exec_lo
	s_delay_alu instid0(SALU_CYCLE_1)
	s_or_b32 s65, s10, s20
.LBB7_1103:                             ;   in Loop: Header=BB7_3 Depth=1
	v_mov_b64_e32 v[28:29], v[16:17]
	s_and_saveexec_b32 s10, s65
	s_cbranch_execnz .LBB7_1110
	s_branch .LBB7_1111
.LBB7_1104:                             ;   in Loop: Header=BB7_3 Depth=1
	v_readlane_b32 s10, v74, 25
	s_and_b32 s10, s10, exec_lo
	s_or_saveexec_b32 s64, s20
	v_mov_b32_e32 v30, 0
	s_xor_b32 exec_lo, exec_lo, s64
	s_cbranch_execz .LBB7_16
.LBB7_1105:                             ;   in Loop: Header=BB7_3 Depth=1
	v_lshl_add_u64 v[30:31], v[18:19], 2, v[28:29]
	s_or_b32 s10, s10, exec_lo
	global_load_b32 v30, v[30:31], off
	s_wait_loadcnt 0x0
	v_xor_b32_e32 v30, 0x80000000, v30
	s_or_b32 exec_lo, exec_lo, s64
	s_and_saveexec_b32 s20, s10
	s_cbranch_execnz .LBB7_17
	s_branch .LBB7_18
.LBB7_1106:                             ;   in Loop: Header=BB7_3 Depth=1
	v_readlane_b32 s10, v74, 25
	s_and_b32 s10, s10, exec_lo
	s_or_saveexec_b32 s64, s20
	v_mov_b32_e32 v30, 0
	s_xor_b32 exec_lo, exec_lo, s64
	s_cbranch_execz .LBB7_40
.LBB7_1107:                             ;   in Loop: Header=BB7_3 Depth=1
	v_lshl_add_u64 v[30:31], v[18:19], 2, v[28:29]
	s_or_b32 s10, s10, exec_lo
	global_load_b32 v30, v[30:31], off
	s_wait_loadcnt 0x0
	v_xor_b32_e32 v30, 0x80000000, v30
	s_or_b32 exec_lo, exec_lo, s64
	s_and_saveexec_b32 s20, s10
	s_cbranch_execnz .LBB7_41
	s_branch .LBB7_42
.LBB7_1108:                             ;   in Loop: Header=BB7_3 Depth=1
	s_or_b32 exec_lo, exec_lo, s92
	s_delay_alu instid0(SALU_CYCLE_1)
	s_and_b32 vcc_lo, exec_lo, s10
	s_cbranch_vccnz .LBB7_1081
.LBB7_1109:                             ;   in Loop: Header=BB7_3 Depth=1
	v_mov_b32_e32 v32, v28
	v_mov_b64_e32 v[28:29], v[14:15]
	s_and_saveexec_b32 s10, s65
	s_cbranch_execz .LBB7_1111
.LBB7_1110:                             ;   in Loop: Header=BB7_3 Depth=1
	s_delay_alu instid0(VALU_DEP_1)
	v_lshl_add_u64 v[28:29], v[28:29], 2, s[94:95]
	global_store_b32 v[28:29], v32, off
.LBB7_1111:                             ;   in Loop: Header=BB7_3 Depth=1
	s_wait_xcnt 0x0
	s_or_b32 exec_lo, exec_lo, s10
	global_wb scope:SCOPE_DEV
	s_wait_storecnt 0x0
	global_inv scope:SCOPE_DEV
	s_wait_loadcnt 0x0
	s_barrier_signal -1
	s_barrier_wait -1
	s_and_saveexec_b32 s10, s55
	s_cbranch_execz .LBB7_2
; %bb.1112:                             ;   in Loop: Header=BB7_3 Depth=1
	s_lshl_b64 s[64:65], s[84:85], 2
	s_delay_alu instid0(SALU_CYCLE_1)
	s_add_nc_u64 s[64:65], s[82:83], s[64:65]
	global_load_b32 v2, v3, s[64:65]
	s_wait_loadcnt 0x0
	v_add_nc_u32_e32 v2, 1, v2
	global_store_b32 v3, v2, s[64:65]
	s_branch .LBB7_2
.LBB7_1113:                             ;   in Loop: Header=BB7_3 Depth=1
	ds_load_b32 v29, v42 offset:272
	ds_load_b32 v30, v36 offset:4
	s_wait_dscnt 0x0
	v_fmac_f32_e32 v28, v29, v30
	s_or_b32 exec_lo, exec_lo, s20
	s_and_saveexec_b32 s20, s14
	s_cbranch_execz .LBB7_81
.LBB7_1114:                             ;   in Loop: Header=BB7_3 Depth=1
	ds_load_b32 v29, v40 offset:528
	ds_load_b32 v30, v36 offset:8
	s_wait_dscnt 0x0
	v_fmac_f32_e32 v28, v29, v30
	s_or_b32 exec_lo, exec_lo, s20
	s_and_saveexec_b32 s20, s0
	s_cbranch_execnz .LBB7_82
	s_branch .LBB7_83
.LBB7_1115:                             ;   in Loop: Header=BB7_3 Depth=1
	ds_load_b32 v29, v47 offset:288
	ds_load_b32 v30, v41 offset:4
	s_wait_dscnt 0x0
	v_fmac_f32_e32 v28, v29, v30
	s_or_b32 exec_lo, exec_lo, s20
	s_and_saveexec_b32 s20, s16
	s_cbranch_execz .LBB7_119
.LBB7_1116:                             ;   in Loop: Header=BB7_3 Depth=1
	ds_load_b32 v29, v47 offset:544
	ds_load_b32 v30, v41 offset:8
	s_wait_dscnt 0x0
	v_fmac_f32_e32 v28, v29, v30
	s_or_b32 exec_lo, exec_lo, s20
	s_and_saveexec_b32 s20, s17
	s_cbranch_execz .LBB7_120
.LBB7_1117:                             ;   in Loop: Header=BB7_3 Depth=1
	ds_load_b32 v29, v47 offset:800
	ds_load_b32 v30, v41 offset:12
	s_wait_dscnt 0x0
	v_fmac_f32_e32 v28, v29, v30
	s_or_b32 exec_lo, exec_lo, s20
	s_and_saveexec_b32 s20, s18
	s_cbranch_execz .LBB7_121
.LBB7_1118:                             ;   in Loop: Header=BB7_3 Depth=1
	ds_load_b32 v29, v46 offset:1056
	ds_load_b32 v30, v41 offset:16
	s_wait_dscnt 0x0
	v_fmac_f32_e32 v28, v29, v30
	s_or_b32 exec_lo, exec_lo, s20
	s_and_saveexec_b32 s20, s19
	s_cbranch_execz .LBB7_122
.LBB7_1119:                             ;   in Loop: Header=BB7_3 Depth=1
	ds_load_b32 v29, v47 offset:1312
	ds_load_b32 v30, v41 offset:20
	s_wait_dscnt 0x0
	v_fmac_f32_e32 v28, v29, v30
	s_or_b32 exec_lo, exec_lo, s20
	s_and_saveexec_b32 s20, s1
	s_cbranch_execz .LBB7_123
.LBB7_1120:                             ;   in Loop: Header=BB7_3 Depth=1
	ds_load_b32 v29, v46 offset:1568
	ds_load_b32 v30, v41 offset:24
	s_wait_dscnt 0x0
	v_fmac_f32_e32 v28, v29, v30
	s_or_b32 exec_lo, exec_lo, s20
	s_and_saveexec_b32 s20, s14
	s_cbranch_execnz .LBB7_124
	s_branch .LBB7_125
.LBB7_1121:                             ;   in Loop: Header=BB7_3 Depth=1
	ds_load_b32 v29, v42 offset:2352
	ds_load_b32 v30, v36 offset:2084
	s_wait_dscnt 0x0
	v_fmac_f32_e32 v28, v29, v30
	s_or_b32 exec_lo, exec_lo, s20
	s_and_saveexec_b32 s20, s14
	s_cbranch_execz .LBB7_177
.LBB7_1122:                             ;   in Loop: Header=BB7_3 Depth=1
	ds_load_b32 v29, v40 offset:2608
	ds_load_b32 v30, v36 offset:2088
	s_wait_dscnt 0x0
	v_fmac_f32_e32 v28, v29, v30
	s_or_b32 exec_lo, exec_lo, s20
	s_and_saveexec_b32 s20, s0
	s_cbranch_execnz .LBB7_178
	s_branch .LBB7_179
.LBB7_1123:                             ;   in Loop: Header=BB7_3 Depth=1
	ds_load_b32 v29, v54 offset:2880
	ds_load_b32 v30, v45 offset:44
	s_wait_dscnt 0x0
	v_fmac_f32_e32 v28, v29, v30
	s_or_b32 exec_lo, exec_lo, s10
	s_and_saveexec_b32 s10, s2
	s_cbranch_execz .LBB7_235
.LBB7_1124:                             ;   in Loop: Header=BB7_3 Depth=1
	ds_load_b32 v29, v53 offset:3136
	ds_load_b32 v30, v45 offset:48
	s_wait_dscnt 0x0
	v_fmac_f32_e32 v28, v29, v30
	s_or_b32 exec_lo, exec_lo, s10
	s_and_saveexec_b32 s10, s16
	s_cbranch_execz .LBB7_236
.LBB7_1125:                             ;   in Loop: Header=BB7_3 Depth=1
	ds_load_b32 v29, v54 offset:3392
	ds_load_b32 v30, v45 offset:52
	s_wait_dscnt 0x0
	v_fmac_f32_e32 v28, v29, v30
	s_or_b32 exec_lo, exec_lo, s10
	s_and_saveexec_b32 s10, s18
	s_cbranch_execz .LBB7_237
.LBB7_1126:                             ;   in Loop: Header=BB7_3 Depth=1
	ds_load_b32 v29, v53 offset:3648
	ds_load_b32 v30, v45 offset:56
	s_wait_dscnt 0x0
	v_fmac_f32_e32 v28, v29, v30
	s_or_b32 exec_lo, exec_lo, s10
	s_and_saveexec_b32 s10, s1
	s_cbranch_execnz .LBB7_238
	s_branch .LBB7_239
.LBB7_1127:                             ;   in Loop: Header=BB7_3 Depth=1
	ds_load_b32 v29, v42 offset:4432
	ds_load_b32 v30, v36 offset:4164
	s_wait_dscnt 0x0
	v_fmac_f32_e32 v28, v29, v30
	s_or_b32 exec_lo, exec_lo, s20
	s_and_saveexec_b32 s20, s14
	s_cbranch_execz .LBB7_323
.LBB7_1128:                             ;   in Loop: Header=BB7_3 Depth=1
	ds_load_b32 v29, v40 offset:4688
	ds_load_b32 v30, v36 offset:4168
	s_wait_dscnt 0x0
	v_fmac_f32_e32 v28, v29, v30
	s_or_b32 exec_lo, exec_lo, s20
	s_and_saveexec_b32 s20, s0
	s_cbranch_execnz .LBB7_324
	s_branch .LBB7_325
.LBB7_1129:                             ;   in Loop: Header=BB7_3 Depth=1
	ds_load_b32 v29, v47 offset:4448
	ds_load_b32 v30, v41 offset:4164
	s_wait_dscnt 0x0
	v_fmac_f32_e32 v28, v29, v30
	s_or_b32 exec_lo, exec_lo, s20
	s_and_saveexec_b32 s20, s16
	s_cbranch_execz .LBB7_361
.LBB7_1130:                             ;   in Loop: Header=BB7_3 Depth=1
	ds_load_b32 v29, v47 offset:4704
	ds_load_b32 v30, v41 offset:4168
	s_wait_dscnt 0x0
	v_fmac_f32_e32 v28, v29, v30
	s_or_b32 exec_lo, exec_lo, s20
	s_and_saveexec_b32 s20, s17
	s_cbranch_execz .LBB7_362
.LBB7_1131:                             ;   in Loop: Header=BB7_3 Depth=1
	ds_load_b32 v29, v47 offset:4960
	ds_load_b32 v30, v41 offset:4172
	s_wait_dscnt 0x0
	v_fmac_f32_e32 v28, v29, v30
	s_or_b32 exec_lo, exec_lo, s20
	s_and_saveexec_b32 s20, s18
	s_cbranch_execz .LBB7_363
.LBB7_1132:                             ;   in Loop: Header=BB7_3 Depth=1
	ds_load_b32 v29, v46 offset:5216
	ds_load_b32 v30, v41 offset:4176
	s_wait_dscnt 0x0
	v_fmac_f32_e32 v28, v29, v30
	s_or_b32 exec_lo, exec_lo, s20
	s_and_saveexec_b32 s20, s19
	s_cbranch_execz .LBB7_364
.LBB7_1133:                             ;   in Loop: Header=BB7_3 Depth=1
	ds_load_b32 v29, v47 offset:5472
	ds_load_b32 v30, v41 offset:4180
	s_wait_dscnt 0x0
	v_fmac_f32_e32 v28, v29, v30
	s_or_b32 exec_lo, exec_lo, s20
	s_and_saveexec_b32 s20, s1
	s_cbranch_execz .LBB7_365
.LBB7_1134:                             ;   in Loop: Header=BB7_3 Depth=1
	ds_load_b32 v29, v46 offset:5728
	ds_load_b32 v30, v41 offset:4184
	s_wait_dscnt 0x0
	v_fmac_f32_e32 v28, v29, v30
	s_or_b32 exec_lo, exec_lo, s20
	s_and_saveexec_b32 s20, s14
	s_cbranch_execnz .LBB7_366
	s_branch .LBB7_367
.LBB7_1135:                             ;   in Loop: Header=BB7_3 Depth=1
	ds_load_b32 v29, v42 offset:6512
	ds_load_b32 v30, v36 offset:6244
	s_wait_dscnt 0x0
	v_fmac_f32_e32 v28, v29, v30
	s_or_b32 exec_lo, exec_lo, s20
	s_and_saveexec_b32 s20, s14
	s_cbranch_execz .LBB7_419
.LBB7_1136:                             ;   in Loop: Header=BB7_3 Depth=1
	ds_load_b32 v29, v40 offset:6768
	ds_load_b32 v30, v36 offset:6248
	s_wait_dscnt 0x0
	v_fmac_f32_e32 v28, v29, v30
	s_or_b32 exec_lo, exec_lo, s20
	s_and_saveexec_b32 s20, s0
	s_cbranch_execnz .LBB7_420
	s_branch .LBB7_421
.LBB7_1137:                             ;   in Loop: Header=BB7_3 Depth=1
	ds_load_b32 v30, v56 offset:7552
	ds_load_b32 v31, v29 offset:116
	s_wait_dscnt 0x0
	v_fmac_f32_e32 v28, v30, v31
	s_or_b32 exec_lo, exec_lo, s10
	s_and_saveexec_b32 s10, s2
	s_cbranch_execz .LBB7_513
.LBB7_1138:                             ;   in Loop: Header=BB7_3 Depth=1
	ds_load_b32 v30, v56 offset:7808
	ds_load_b32 v29, v29 offset:120
	s_wait_dscnt 0x0
	v_fmac_f32_e32 v28, v30, v29
	s_or_b32 exec_lo, exec_lo, s10
	s_and_saveexec_b32 s10, s18
	s_cbranch_execnz .LBB7_514
	s_branch .LBB7_515
.LBB7_1139:                             ;   in Loop: Header=BB7_3 Depth=1
	ds_load_b32 v29, v42 offset:8592
	ds_load_b32 v30, v36 offset:8324
	s_wait_dscnt 0x0
	v_fmac_f32_e32 v28, v29, v30
	s_or_b32 exec_lo, exec_lo, s20
	s_and_saveexec_b32 s20, s14
	s_cbranch_execz .LBB7_663
.LBB7_1140:                             ;   in Loop: Header=BB7_3 Depth=1
	ds_load_b32 v29, v40 offset:8848
	ds_load_b32 v30, v36 offset:8328
	s_wait_dscnt 0x0
	v_fmac_f32_e32 v28, v29, v30
	s_or_b32 exec_lo, exec_lo, s20
	s_and_saveexec_b32 s20, s0
	s_cbranch_execnz .LBB7_664
	s_branch .LBB7_665
.LBB7_1141:                             ;   in Loop: Header=BB7_3 Depth=1
	ds_load_b32 v29, v47 offset:8608
	ds_load_b32 v30, v41 offset:8324
	s_wait_dscnt 0x0
	v_fmac_f32_e32 v28, v29, v30
	s_or_b32 exec_lo, exec_lo, s20
	s_and_saveexec_b32 s20, s16
	s_cbranch_execz .LBB7_701
.LBB7_1142:                             ;   in Loop: Header=BB7_3 Depth=1
	ds_load_b32 v29, v47 offset:8864
	ds_load_b32 v30, v41 offset:8328
	s_wait_dscnt 0x0
	v_fmac_f32_e32 v28, v29, v30
	s_or_b32 exec_lo, exec_lo, s20
	s_and_saveexec_b32 s20, s17
	s_cbranch_execz .LBB7_702
.LBB7_1143:                             ;   in Loop: Header=BB7_3 Depth=1
	ds_load_b32 v29, v47 offset:9120
	ds_load_b32 v30, v41 offset:8332
	s_wait_dscnt 0x0
	v_fmac_f32_e32 v28, v29, v30
	s_or_b32 exec_lo, exec_lo, s20
	s_and_saveexec_b32 s20, s18
	s_cbranch_execz .LBB7_703
.LBB7_1144:                             ;   in Loop: Header=BB7_3 Depth=1
	ds_load_b32 v29, v46 offset:9376
	ds_load_b32 v30, v41 offset:8336
	s_wait_dscnt 0x0
	v_fmac_f32_e32 v28, v29, v30
	s_or_b32 exec_lo, exec_lo, s20
	s_and_saveexec_b32 s20, s19
	s_cbranch_execz .LBB7_704
.LBB7_1145:                             ;   in Loop: Header=BB7_3 Depth=1
	ds_load_b32 v29, v47 offset:9632
	ds_load_b32 v30, v41 offset:8340
	s_wait_dscnt 0x0
	v_fmac_f32_e32 v28, v29, v30
	s_or_b32 exec_lo, exec_lo, s20
	s_and_saveexec_b32 s20, s1
	s_cbranch_execz .LBB7_705
.LBB7_1146:                             ;   in Loop: Header=BB7_3 Depth=1
	ds_load_b32 v29, v46 offset:9888
	ds_load_b32 v30, v41 offset:8344
	s_wait_dscnt 0x0
	v_fmac_f32_e32 v28, v29, v30
	s_or_b32 exec_lo, exec_lo, s20
	s_and_saveexec_b32 s20, s14
	s_cbranch_execnz .LBB7_706
	s_branch .LBB7_707
.LBB7_1147:                             ;   in Loop: Header=BB7_3 Depth=1
	ds_load_b32 v29, v42 offset:10672
	ds_load_b32 v30, v36 offset:10404
	s_wait_dscnt 0x0
	v_fmac_f32_e32 v28, v29, v30
	s_or_b32 exec_lo, exec_lo, s20
	s_and_saveexec_b32 s20, s14
	s_cbranch_execz .LBB7_759
.LBB7_1148:                             ;   in Loop: Header=BB7_3 Depth=1
	ds_load_b32 v29, v40 offset:10928
	ds_load_b32 v30, v36 offset:10408
	s_wait_dscnt 0x0
	v_fmac_f32_e32 v28, v29, v30
	s_or_b32 exec_lo, exec_lo, s20
	s_and_saveexec_b32 s20, s0
	s_cbranch_execnz .LBB7_760
	s_branch .LBB7_761
.LBB7_1149:                             ;   in Loop: Header=BB7_3 Depth=1
	ds_load_b32 v29, v54 offset:11200
	ds_load_b32 v30, v45 offset:8364
	s_wait_dscnt 0x0
	v_fmac_f32_e32 v28, v29, v30
	s_or_b32 exec_lo, exec_lo, s10
	s_and_saveexec_b32 s10, s2
	s_cbranch_execz .LBB7_817
.LBB7_1150:                             ;   in Loop: Header=BB7_3 Depth=1
	ds_load_b32 v29, v53 offset:11456
	ds_load_b32 v30, v45 offset:8368
	s_wait_dscnt 0x0
	v_fmac_f32_e32 v28, v29, v30
	s_or_b32 exec_lo, exec_lo, s10
	s_and_saveexec_b32 s10, s16
	s_cbranch_execz .LBB7_818
.LBB7_1151:                             ;   in Loop: Header=BB7_3 Depth=1
	ds_load_b32 v29, v54 offset:11712
	ds_load_b32 v30, v45 offset:8372
	s_wait_dscnt 0x0
	v_fmac_f32_e32 v28, v29, v30
	s_or_b32 exec_lo, exec_lo, s10
	s_and_saveexec_b32 s10, s18
	s_cbranch_execz .LBB7_819
.LBB7_1152:                             ;   in Loop: Header=BB7_3 Depth=1
	ds_load_b32 v29, v53 offset:11968
	ds_load_b32 v30, v45 offset:8376
	s_wait_dscnt 0x0
	v_fmac_f32_e32 v28, v29, v30
	s_or_b32 exec_lo, exec_lo, s10
	s_and_saveexec_b32 s10, s1
	s_cbranch_execnz .LBB7_820
	s_branch .LBB7_821
.LBB7_1153:                             ;   in Loop: Header=BB7_3 Depth=1
	ds_load_b32 v29, v42 offset:12752
	ds_load_b32 v30, v36 offset:12484
	s_wait_dscnt 0x0
	v_fmac_f32_e32 v28, v29, v30
	s_or_b32 exec_lo, exec_lo, s20
	s_and_saveexec_b32 s20, s14
	s_cbranch_execz .LBB7_905
.LBB7_1154:                             ;   in Loop: Header=BB7_3 Depth=1
	ds_load_b32 v29, v40 offset:13008
	ds_load_b32 v30, v36 offset:12488
	s_wait_dscnt 0x0
	v_fmac_f32_e32 v28, v29, v30
	s_or_b32 exec_lo, exec_lo, s20
	s_and_saveexec_b32 s20, s0
	s_cbranch_execnz .LBB7_906
	s_branch .LBB7_907
.LBB7_1155:                             ;   in Loop: Header=BB7_3 Depth=1
	ds_load_b32 v29, v47 offset:12768
	ds_load_b32 v30, v41 offset:12484
	s_wait_dscnt 0x0
	v_fmac_f32_e32 v28, v29, v30
	s_or_b32 exec_lo, exec_lo, s20
	s_and_saveexec_b32 s20, s16
	s_cbranch_execz .LBB7_943
.LBB7_1156:                             ;   in Loop: Header=BB7_3 Depth=1
	ds_load_b32 v29, v47 offset:13024
	ds_load_b32 v30, v41 offset:12488
	s_wait_dscnt 0x0
	v_fmac_f32_e32 v28, v29, v30
	s_or_b32 exec_lo, exec_lo, s20
	s_and_saveexec_b32 s20, s17
	s_cbranch_execz .LBB7_944
.LBB7_1157:                             ;   in Loop: Header=BB7_3 Depth=1
	ds_load_b32 v29, v47 offset:13280
	ds_load_b32 v30, v41 offset:12492
	s_wait_dscnt 0x0
	v_fmac_f32_e32 v28, v29, v30
	s_or_b32 exec_lo, exec_lo, s20
	s_and_saveexec_b32 s20, s18
	s_cbranch_execz .LBB7_945
.LBB7_1158:                             ;   in Loop: Header=BB7_3 Depth=1
	ds_load_b32 v29, v46 offset:13536
	ds_load_b32 v30, v41 offset:12496
	s_wait_dscnt 0x0
	v_fmac_f32_e32 v28, v29, v30
	s_or_b32 exec_lo, exec_lo, s20
	s_and_saveexec_b32 s20, s19
	s_cbranch_execz .LBB7_946
.LBB7_1159:                             ;   in Loop: Header=BB7_3 Depth=1
	ds_load_b32 v29, v47 offset:13792
	ds_load_b32 v30, v41 offset:12500
	s_wait_dscnt 0x0
	v_fmac_f32_e32 v28, v29, v30
	s_or_b32 exec_lo, exec_lo, s20
	s_and_saveexec_b32 s20, s1
	s_cbranch_execz .LBB7_947
.LBB7_1160:                             ;   in Loop: Header=BB7_3 Depth=1
	ds_load_b32 v29, v46 offset:14048
	ds_load_b32 v30, v41 offset:12504
	s_wait_dscnt 0x0
	v_fmac_f32_e32 v28, v29, v30
	s_or_b32 exec_lo, exec_lo, s20
	s_and_saveexec_b32 s20, s14
	s_cbranch_execnz .LBB7_948
	s_branch .LBB7_949
.LBB7_1161:                             ;   in Loop: Header=BB7_3 Depth=1
	ds_load_b32 v29, v42 offset:14832
	ds_load_b32 v30, v36 offset:14564
	s_wait_dscnt 0x0
	v_fmac_f32_e32 v28, v29, v30
	s_or_b32 exec_lo, exec_lo, s20
	s_and_saveexec_b32 s20, s14
	s_cbranch_execz .LBB7_1001
.LBB7_1162:                             ;   in Loop: Header=BB7_3 Depth=1
	ds_load_b32 v29, v40 offset:15088
	ds_load_b32 v30, v36 offset:14568
	s_wait_dscnt 0x0
	v_fmac_f32_e32 v28, v29, v30
	s_or_b32 exec_lo, exec_lo, s20
	s_and_saveexec_b32 s20, s0
	s_cbranch_execnz .LBB7_1002
	s_branch .LBB7_1003
.LBB7_1163:
	s_endpgm
	.section	.rodata,"a",@progbits
	.p2align	6, 0x0
	.amdhsa_kernel _ZL19rocblas_trsv_deviceILi64ELi16ELb1ELb0ELb0ELb1EfPKfS1_PfEviT7_lllT6_T8_lllPii
		.amdhsa_group_segment_fixed_size 20740
		.amdhsa_private_segment_fixed_size 0
		.amdhsa_kernarg_size 352
		.amdhsa_user_sgpr_count 2
		.amdhsa_user_sgpr_dispatch_ptr 0
		.amdhsa_user_sgpr_queue_ptr 0
		.amdhsa_user_sgpr_kernarg_segment_ptr 1
		.amdhsa_user_sgpr_dispatch_id 0
		.amdhsa_user_sgpr_kernarg_preload_length 0
		.amdhsa_user_sgpr_kernarg_preload_offset 0
		.amdhsa_user_sgpr_private_segment_size 0
		.amdhsa_wavefront_size32 1
		.amdhsa_uses_dynamic_stack 0
		.amdhsa_enable_private_segment 0
		.amdhsa_system_sgpr_workgroup_id_x 1
		.amdhsa_system_sgpr_workgroup_id_y 0
		.amdhsa_system_sgpr_workgroup_id_z 1
		.amdhsa_system_sgpr_workgroup_info 0
		.amdhsa_system_vgpr_workitem_id 1
		.amdhsa_next_free_vgpr 78
		.amdhsa_next_free_sgpr 105
		.amdhsa_named_barrier_count 0
		.amdhsa_reserve_vcc 1
		.amdhsa_float_round_mode_32 0
		.amdhsa_float_round_mode_16_64 0
		.amdhsa_float_denorm_mode_32 3
		.amdhsa_float_denorm_mode_16_64 3
		.amdhsa_fp16_overflow 0
		.amdhsa_memory_ordered 1
		.amdhsa_forward_progress 1
		.amdhsa_inst_pref_size 235
		.amdhsa_round_robin_scheduling 0
		.amdhsa_exception_fp_ieee_invalid_op 0
		.amdhsa_exception_fp_denorm_src 0
		.amdhsa_exception_fp_ieee_div_zero 0
		.amdhsa_exception_fp_ieee_overflow 0
		.amdhsa_exception_fp_ieee_underflow 0
		.amdhsa_exception_fp_ieee_inexact 0
		.amdhsa_exception_int_div_zero 0
	.end_amdhsa_kernel
	.section	.text._ZL19rocblas_trsv_deviceILi64ELi16ELb1ELb0ELb0ELb1EfPKfS1_PfEviT7_lllT6_T8_lllPii,"axG",@progbits,_ZL19rocblas_trsv_deviceILi64ELi16ELb1ELb0ELb0ELb1EfPKfS1_PfEviT7_lllT6_T8_lllPii,comdat
.Lfunc_end7:
	.size	_ZL19rocblas_trsv_deviceILi64ELi16ELb1ELb0ELb0ELb1EfPKfS1_PfEviT7_lllT6_T8_lllPii, .Lfunc_end7-_ZL19rocblas_trsv_deviceILi64ELi16ELb1ELb0ELb0ELb1EfPKfS1_PfEviT7_lllT6_T8_lllPii
                                        ; -- End function
	.set _ZL19rocblas_trsv_deviceILi64ELi16ELb1ELb0ELb0ELb1EfPKfS1_PfEviT7_lllT6_T8_lllPii.num_vgpr, 78
	.set _ZL19rocblas_trsv_deviceILi64ELi16ELb1ELb0ELb0ELb1EfPKfS1_PfEviT7_lllT6_T8_lllPii.num_agpr, 0
	.set _ZL19rocblas_trsv_deviceILi64ELi16ELb1ELb0ELb0ELb1EfPKfS1_PfEviT7_lllT6_T8_lllPii.numbered_sgpr, 105
	.set _ZL19rocblas_trsv_deviceILi64ELi16ELb1ELb0ELb0ELb1EfPKfS1_PfEviT7_lllT6_T8_lllPii.num_named_barrier, 0
	.set _ZL19rocblas_trsv_deviceILi64ELi16ELb1ELb0ELb0ELb1EfPKfS1_PfEviT7_lllT6_T8_lllPii.private_seg_size, 0
	.set _ZL19rocblas_trsv_deviceILi64ELi16ELb1ELb0ELb0ELb1EfPKfS1_PfEviT7_lllT6_T8_lllPii.uses_vcc, 1
	.set _ZL19rocblas_trsv_deviceILi64ELi16ELb1ELb0ELb0ELb1EfPKfS1_PfEviT7_lllT6_T8_lllPii.uses_flat_scratch, 0
	.set _ZL19rocblas_trsv_deviceILi64ELi16ELb1ELb0ELb0ELb1EfPKfS1_PfEviT7_lllT6_T8_lllPii.has_dyn_sized_stack, 0
	.set _ZL19rocblas_trsv_deviceILi64ELi16ELb1ELb0ELb0ELb1EfPKfS1_PfEviT7_lllT6_T8_lllPii.has_recursion, 0
	.set _ZL19rocblas_trsv_deviceILi64ELi16ELb1ELb0ELb0ELb1EfPKfS1_PfEviT7_lllT6_T8_lllPii.has_indirect_call, 0
	.section	.AMDGPU.csdata,"",@progbits
; Kernel info:
; codeLenInByte = 30048
; TotalNumSgprs: 107
; NumVgprs: 78
; ScratchSize: 0
; MemoryBound: 0
; FloatMode: 240
; IeeeMode: 1
; LDSByteSize: 20740 bytes/workgroup (compile time only)
; SGPRBlocks: 0
; VGPRBlocks: 4
; NumSGPRsForWavesPerEU: 107
; NumVGPRsForWavesPerEU: 78
; NamedBarCnt: 0
; Occupancy: 12
; WaveLimiterHint : 0
; COMPUTE_PGM_RSRC2:SCRATCH_EN: 0
; COMPUTE_PGM_RSRC2:USER_SGPR: 2
; COMPUTE_PGM_RSRC2:TRAP_HANDLER: 0
; COMPUTE_PGM_RSRC2:TGID_X_EN: 1
; COMPUTE_PGM_RSRC2:TGID_Y_EN: 0
; COMPUTE_PGM_RSRC2:TGID_Z_EN: 1
; COMPUTE_PGM_RSRC2:TIDIG_COMP_CNT: 1
	.section	.text._ZL19rocblas_trsv_deviceILi64ELi16ELb1ELb1ELb0ELb1EfPKfS1_PfEviT7_lllT6_T8_lllPii,"axG",@progbits,_ZL19rocblas_trsv_deviceILi64ELi16ELb1ELb1ELb0ELb1EfPKfS1_PfEviT7_lllT6_T8_lllPii,comdat
	.globl	_ZL19rocblas_trsv_deviceILi64ELi16ELb1ELb1ELb0ELb1EfPKfS1_PfEviT7_lllT6_T8_lllPii ; -- Begin function _ZL19rocblas_trsv_deviceILi64ELi16ELb1ELb1ELb0ELb1EfPKfS1_PfEviT7_lllT6_T8_lllPii
	.p2align	8
	.type	_ZL19rocblas_trsv_deviceILi64ELi16ELb1ELb1ELb0ELb1EfPKfS1_PfEviT7_lllT6_T8_lllPii,@function
_ZL19rocblas_trsv_deviceILi64ELi16ELb1ELb1ELb0ELb1EfPKfS1_PfEviT7_lllT6_T8_lllPii: ; @_ZL19rocblas_trsv_deviceILi64ELi16ELb1ELb1ELb0ELb1EfPKfS1_PfEviT7_lllT6_T8_lllPii
; %bb.0:
	s_load_b32 s6, s[0:1], 0x58
	s_bfe_u32 s2, ttmp6, 0x40014
	s_lshr_b32 s3, ttmp7, 16
	s_add_co_i32 s2, s2, 1
	s_bfe_u32 s5, ttmp6, 0x40008
	s_mul_i32 s2, s3, s2
	s_getreg_b32 s4, hwreg(HW_REG_IB_STS2, 6, 4)
	s_add_co_i32 s5, s5, s2
	s_cmp_eq_u32 s4, 0
	s_mov_b32 s77, 0
	s_cselect_b32 s76, s3, s5
                                        ; implicit-def: $vgpr93 : SGPR spill to VGPR lane
	s_wait_kmcnt 0x0
	s_cmp_ge_u32 s76, s6
	v_writelane_b32 v93, s6, 0
	s_cbranch_scc1 .LBB8_1225
; %bb.1:
	s_clause 0x3
	s_load_b512 s[56:71], s[0:1], 0x8
	s_load_b32 s2, s[0:1], 0x6c
	s_load_b32 s88, s[0:1], 0x60
	;; [unrolled: 1-line block ×3, first 2 shown]
	s_bfe_u32 s5, ttmp6, 0x4000c
	s_and_b32 s3, ttmp6, 15
	s_add_co_i32 s5, s5, 1
	s_load_b128 s[72:75], s[0:1], 0x48
	s_mul_i32 s5, ttmp9, s5
	v_and_b32_e32 v4, 0x3ff, v0
	s_add_co_i32 s3, s3, s5
	v_bfe_u32 v2, v0, 10, 10
	v_dual_mov_b32 v7, 0 :: v_dual_bitop2_b32 v1, 1, v0 bitop3:0x40
	s_delay_alu instid0(VALU_DEP_3) | instskip(NEXT) | instid1(VALU_DEP_3)
	v_lshlrev_b32_e32 v5, 6, v4
	v_dual_add_nc_u32 v26, 32, v2 :: v_dual_bitop2_b32 v18, 3, v0 bitop3:0x40
	v_lshl_add_u32 v28, v2, 6, v4
	v_add_nc_u32_e32 v22, 16, v2
	v_cmp_eq_u32_e32 vcc_lo, 1, v1
	s_wait_kmcnt 0x0
	s_lshl_b64 s[10:11], s[58:59], 2
	s_lshl_b64 s[12:13], s[68:69], 2
	s_cmp_eq_u32 s4, 0
	v_lshl_add_u32 v10, v22, 6, v4
	s_cselect_b32 s87, ttmp9, s3
	s_add_co_i32 s1, s78, -1
	s_ashr_i32 s79, s78, 31
	s_and_b32 s0, s2, 0xffff
	s_ashr_i32 s2, s1, 31
	s_lshr_b32 s3, s79, 26
	s_lshr_b32 s2, s2, 26
	s_add_co_i32 s3, s78, s3
	s_add_co_i32 s88, s88, -1
	s_add_co_i32 s1, s1, s2
	s_and_not1_b32 s3, s3, 63
	s_sub_co_i32 s18, s88, s87
	s_ashr_i32 s1, s1, 6
	s_sub_co_i32 s19, s78, s3
	s_cmp_eq_u32 s1, s18
	v_mad_u32_u24 v6, v2, s0, v4
	s_cselect_b32 s1, -1, 0
	s_cmp_lg_u32 s19, 0
	v_cmp_ne_u32_e64 s4, 0, v18
	s_cselect_b32 s2, -1, 0
	v_dual_add_nc_u32 v24, 48, v2 :: v_dual_bitop2_b32 v19, 7, v0 bitop3:0x40
	s_and_b32 s48, s2, s1
	v_add_nc_u32_e32 v9, v22, v5
	s_xor_b32 s89, s48, -1
	s_cmp_lg_u32 s87, 0
	s_add_nc_u64 s[2:3], s[60:61], 1
	s_cselect_b32 s0, -1, 0
	s_lshl_b32 s16, s18, 6
	s_delay_alu instid0(SALU_CYCLE_1)
	v_dual_add_nc_u32 v8, v2, v5 :: v_dual_add_nc_u32 v14, s16, v4
	s_cmp_lt_i32 s87, 5
	v_writelane_b32 v93, s0, 1
	s_cselect_b32 s0, -1, 0
	v_add_nc_u32_e32 v3, s16, v2
	s_or_b32 s5, s0, s48
	s_delay_alu instid0(SALU_CYCLE_1)
	v_dual_cndmask_b32 v17, v28, v8, s0 :: v_dual_cndmask_b32 v16, v10, v9, s5
	v_cmp_gt_u32_e64 s0, 4, v28
	s_ashr_i32 s17, s16, 31
	s_xor_b32 s1, vcc_lo, -1
	s_mul_u64 s[14:15], s[2:3], s[16:17]
	v_cmp_gt_u32_e64 s2, 16, v28
	s_and_b32 s92, s1, s0
	s_and_b32 s93, vcc_lo, s0
	v_cmp_eq_u32_e64 s1, 0, v2
	v_cmp_gt_u32_e32 vcc_lo, 2, v4
	v_cmp_eq_u32_e64 s3, 0, v18
	s_and_b32 s96, s4, s2
	v_cmp_eq_u32_e64 s4, 3, v18
	v_cmp_eq_u32_e64 s6, 1, v18
	s_and_b32 s94, s1, vcc_lo
	v_cmp_eq_u32_e32 vcc_lo, 2, v18
	s_and_b32 s95, s3, s2
	v_cmp_gt_u32_e64 s3, 64, v28
	s_and_b32 s100, s4, s2
	v_cmp_eq_u32_e64 s4, 1, v19
	s_and_b32 s99, vcc_lo, s2
	v_cmp_ne_u32_e32 vcc_lo, 0, v19
	v_cmp_lt_u32_e64 s7, 1, v18
	s_and_b32 s97, s6, s2
	v_cmp_gt_u32_e64 s6, 4, v4
	s_and_b32 s104, s4, s3
	s_and_b32 s103, vcc_lo, s3
	v_cmp_lt_u32_e32 vcc_lo, 2, v19
	v_cmp_eq_u32_e64 s4, 3, v19
	s_and_b32 s98, s7, s2
	v_cmp_eq_u32_e64 s7, 0, v19
	s_and_b32 s101, s1, s6
	v_cmp_lt_u32_e64 s6, 1, v19
	s_and_b32 s33, vcc_lo, s3
	v_cmp_lt_u32_e32 vcc_lo, 3, v19
	s_and_b32 s34, s4, s3
	v_cmp_eq_u32_e64 s4, 5, v19
	s_and_b32 s102, s7, s3
	v_cmp_eq_u32_e64 s7, 2, v19
	s_and_b32 vcc_hi, s6, s3
	v_cmp_eq_u32_e64 s6, 4, v19
	s_and_b32 s35, vcc_lo, s3
	v_cmp_lt_u32_e32 vcc_lo, 5, v19
	s_and_b32 s38, s4, s3
	v_cmp_eq_u32_e64 s4, 6, v19
	v_dual_add_nc_u32 v8, v26, v5 :: v_dual_bitop2_b32 v20, 15, v0 bitop3:0x40
	s_and_b32 s31, s7, s3
	v_cmp_lt_u32_e64 s7, 4, v19
	s_and_b32 s36, s6, s3
	v_cmp_eq_u32_e64 s6, 7, v19
	s_and_b32 s39, vcc_lo, s3
	s_and_b32 s40, s4, s3
	v_cmp_gt_u32_e64 s4, 0x100, v28
	v_cmp_eq_u32_e32 vcc_lo, 0, v20
	s_and_b32 s37, s7, s3
	v_cmp_gt_u32_e64 s7, 8, v4
	s_and_b32 s41, s6, s3
	v_cmp_ne_u32_e64 s6, 0, v20
	s_and_b32 s20, vcc_lo, s4
	v_cmp_lt_u32_e64 s8, 1, v20
	v_writelane_b32 v93, s20, 2
	s_and_b32 s42, s1, s7
	v_cmp_eq_u32_e64 s7, 1, v20
	s_and_b32 s6, s6, s4
	v_cmp_eq_u32_e64 s9, 2, v20
	v_writelane_b32 v93, s6, 3
	v_cmp_lt_u32_e32 vcc_lo, 2, v20
	s_and_b32 s6, s7, s4
	v_cmp_lt_u32_e64 s7, 3, v20
	v_lshl_add_u32 v9, v26, 6, v4
	v_writelane_b32 v93, s6, 4
	s_and_b32 s6, s8, s4
	s_and_b32 s20, vcc_lo, s4
	v_cmp_eq_u32_e64 s8, 4, v20
	v_cmp_eq_u32_e32 vcc_lo, 5, v20
	v_writelane_b32 v93, s6, 5
	s_and_b32 s6, s9, s4
	v_cmp_lt_u32_e64 s9, 4, v20
	v_dual_add_nc_u32 v5, v24, v5 :: v_dual_cndmask_b32 v29, v9, v8, s5
	v_writelane_b32 v93, s6, 6
	v_cmp_eq_u32_e64 s6, 3, v20
	s_and_b32 s53, vcc_lo, s4
	v_cmp_lt_u32_e32 vcc_lo, 7, v20
	v_lshl_add_u32 v10, v24, 6, v4
	v_writelane_b32 v93, s20, 7
	s_and_b32 s6, s6, s4
	v_and_b32_e32 v23, 31, v0
	s_and_b32 s26, vcc_lo, s4
	v_cmp_eq_u32_e32 vcc_lo, 10, v20
	v_writelane_b32 v93, s6, 8
	s_and_b32 s6, s7, s4
	v_cmp_eq_u32_e64 s7, 6, v20
	v_cndmask_b32_e64 v21, v10, v5, s5
	s_and_b32 s21, vcc_lo, s4
	v_writelane_b32 v93, s6, 9
	s_and_b32 s6, s8, s4
	s_and_b32 s20, s7, s4
	v_cmp_lt_u32_e64 s7, 8, v20
	v_cmp_lt_u32_e32 vcc_lo, 12, v20
	v_writelane_b32 v93, s6, 10
	s_and_b32 s6, s9, s4
	v_cmp_eq_u32_e64 s9, 7, v20
	s_and_b32 s30, s7, s4
	v_cmp_eq_u32_e64 s7, 11, v20
	v_writelane_b32 v93, s6, 11
	v_cmp_lt_u32_e64 s6, 5, v20
	s_and_b32 s24, s9, s4
	v_cmp_lt_u32_e64 s9, 9, v20
	s_and_b32 s25, s7, s4
	;; [unrolled: 2-line block ×3, first 2 shown]
	v_cmp_eq_u32_e64 s6, 8, v20
	s_xor_b32 s91, s5, -1
	s_and_b32 s59, s9, s4
	v_cmp_eq_u32_e64 s9, 12, v20
	s_and_b32 s43, s7, s4
	s_and_b32 s28, s6, s4
	v_cmp_lt_u32_e64 s6, 10, v20
	v_cmp_gt_u32_e64 s5, 0x400, v28
	v_cmp_eq_u32_e64 s7, 0, v23
	s_and_b32 s86, vcc_lo, s4
	v_cmp_eq_u32_e32 vcc_lo, 15, v20
	s_and_b32 s23, s6, s4
	v_cmp_eq_u32_e64 s6, 13, v20
	s_and_b32 s29, s9, s4
	v_cmp_ne_u32_e64 s9, 0, v23
	s_and_b32 s45, vcc_lo, s4
	v_cmp_eq_u32_e32 vcc_lo, 1, v23
	s_and_b32 s90, s6, s4
	v_cmp_gt_u32_e64 s6, 16, v4
                                        ; implicit-def: $vgpr92 : SGPR spill to VGPR lane
                                        ; implicit-def: $vgpr91 : SGPR spill to VGPR lane
	v_cmp_lt_u32_e64 s8, 6, v20
	v_dual_lshrrev_b32 v25, 10, v0 :: v_dual_lshlrev_b32 v1, 2, v1
	v_lshrrev_b32_e32 v27, 1, v28
	s_and_b32 s46, s1, s6
	s_and_b32 s6, s7, s5
	;; [unrolled: 1-line block ×3, first 2 shown]
	v_writelane_b32 v93, s6, 12
	s_and_b32 s6, s9, s5
	v_cmp_eq_u32_e64 s8, 9, v20
	v_bitop3_b32 v30, v0, v25, 0x3ff bitop3:0xa8
	v_lshrrev_b32_e32 v0, 2, v28
	v_writelane_b32 v93, s6, 13
	s_and_b32 s6, vcc_lo, s5
	v_cmp_lt_u32_e32 vcc_lo, 1, v23
	s_and_b32 s58, s8, s4
	v_cmp_lt_u32_e64 s8, 11, v20
	v_writelane_b32 v93, s6, 14
	v_lshl_or_b32 v39, v27, 8, v1
	s_and_b32 s6, vcc_lo, s5
	v_cmp_eq_u32_e32 vcc_lo, 2, v23
	s_and_b32 s27, s8, s4
	v_writelane_b32 v93, s6, 15
	v_cmp_eq_u32_e64 s8, 14, v20
	v_dual_lshlrev_b32 v45, 2, v18 :: v_dual_bitop2_b32 v1, -4, v28 bitop3:0x40
	s_and_b32 s6, vcc_lo, s5
	v_cmp_lt_u32_e32 vcc_lo, 2, v23
	v_writelane_b32 v93, s6, 16
	v_mul_u32_u24_e32 v41, 0x104, v0
	s_and_b32 s44, s8, s4
	v_lshlrev_b32_e32 v43, 8, v4
	s_and_b32 s6, vcc_lo, s5
	v_cmp_eq_u32_e32 vcc_lo, 3, v23
	v_writelane_b32 v93, s6, 17
	v_dual_sub_nc_u32 v18, v41, v1 :: v_dual_lshrrev_b32 v25, 3, v28
	v_lshl_or_b32 v48, v0, 8, v45
	s_and_b32 s6, vcc_lo, s5
	v_cmp_lt_u32_e32 vcc_lo, 3, v23
	v_writelane_b32 v93, s6, 18
	v_add_nc_u32_e32 v49, v18, v45
	v_dual_lshlrev_b32 v0, 2, v25 :: v_dual_lshlrev_b32 v52, 2, v19
	s_and_b32 s6, vcc_lo, s5
	v_cmp_eq_u32_e32 vcc_lo, 4, v23
	v_writelane_b32 v93, s6, 19
	v_mul_u32_u24_e32 v51, 0x104, v25
	v_add_nc_u32_e32 v47, 0x4000, v1
	v_lshrrev_b32_e32 v1, 4, v28
	s_and_b32 s6, vcc_lo, s5
	v_cmp_lt_u32_e32 vcc_lo, 4, v23
	v_writelane_b32 v93, s6, 20
	v_sub_nc_u32_e32 v18, v51, v0
	v_add_nc_u64_e32 v[12:13], s[16:17], v[6:7]
	v_add_nc_u32_e32 v54, 0x4000, v0
	s_and_b32 s6, vcc_lo, s5
	v_cmp_eq_u32_e32 vcc_lo, 5, v23
	v_writelane_b32 v93, s6, 21
	v_add_nc_u32_e32 v57, v18, v52
	v_dual_lshrrev_b32 v18, 5, v28 :: v_dual_lshlrev_b32 v0, 2, v1
	s_and_b32 s6, vcc_lo, s5
	v_cmp_lt_u32_e32 vcc_lo, 5, v23
	v_writelane_b32 v93, s6, 22
	v_mul_u32_u24_e32 v58, 0x104, v1
	v_dual_lshlrev_b32 v5, 2, v4 :: v_dual_add_nc_u32 v8, 64, v3
	s_and_b32 s6, vcc_lo, s5
	v_cmp_eq_u32_e32 vcc_lo, 6, v23
	v_writelane_b32 v93, s6, 23
	s_delay_alu instid0(VALU_DEP_3)
	v_dual_ashrrev_i32 v15, 31, v14 :: v_dual_ashrrev_i32 v9, 31, v8
	v_add_nc_u32_e32 v60, 0x4000, v0
	s_and_b32 s6, vcc_lo, s5
	v_cmp_lt_u32_e32 vcc_lo, 6, v23
	v_writelane_b32 v93, s6, 24
	v_dual_lshlrev_b32 v61, 2, v20 :: v_dual_lshlrev_b32 v63, 8, v18
	v_dual_sub_nc_u32 v0, v58, v0 :: v_dual_lshlrev_b32 v64, 2, v23
	s_and_b32 s6, vcc_lo, s5
	v_cmp_eq_u32_e32 vcc_lo, 7, v23
	v_writelane_b32 v93, s6, 25
	v_mul_u64_e32 v[10:11], s[60:61], v[14:15]
	v_lshl_or_b32 v65, v1, 8, v61
	v_dual_add_nc_u32 v66, v0, v61 :: v_dual_lshlrev_b32 v79, 2, v2
	s_and_b32 s6, vcc_lo, s5
	v_cmp_lt_u32_e32 vcc_lo, 7, v23
	v_writelane_b32 v93, s6, 26
	v_mul_u64_e32 v[0:1], s[70:71], v[14:15]
	v_add_nc_u32_e32 v15, 0x50, v3
	v_lshl_add_u32 v37, v27, 2, 0x4000
	s_and_b32 s6, vcc_lo, s5
	v_cmp_eq_u32_e32 vcc_lo, 8, v23
	v_writelane_b32 v93, s6, 27
	v_mul_u32_u24_e32 v40, 0x104, v27
	s_add_nc_u64 s[68:69], s[56:57], s[10:11]
	v_cmp_gt_u32_e64 s50, 0xf0, v28
	s_and_b32 s6, vcc_lo, s5
	v_cmp_lt_u32_e32 vcc_lo, 8, v23
	v_writelane_b32 v93, s6, 28
                                        ; implicit-def: $vgpr90 : SGPR spill to VGPR lane
	v_mad_u32_u24 v32, 0xfc, v4, v5
	v_lshl_or_b32 v55, v25, 8, v52
	v_lshlrev_b32_e32 v62, 2, v18
	s_and_b32 s6, vcc_lo, s5
	v_cmp_eq_u32_e32 vcc_lo, 9, v23
	v_writelane_b32 v93, s6, 29
	v_mad_i32_i24 v33, 0xffffff04, v4, v32
	v_dual_lshlrev_b32 v76, 2, v17 :: v_dual_bitop2_b32 v68, v63, v64 bitop3:0x54
	s_and_b32 s6, vcc_lo, s5
	v_cmp_lt_u32_e32 vcc_lo, 9, v23
	v_writelane_b32 v93, s6, 30
	v_mad_u32_u24 v34, 0xfc, v4, v33
	v_mul_u64_e32 v[12:13], s[70:71], v[12:13]
	v_mul_i32_i24_e32 v31, 0xffffff04, v4
	s_and_b32 s6, vcc_lo, s5
	v_cmp_eq_u32_e32 vcc_lo, 10, v23
	v_writelane_b32 v93, s6, 31
	v_mad_i32_i24 v35, 0xffffff04, v4, v34
	v_or_b32_e32 v71, 0x5000, v79
	v_or_b32_e32 v86, v22, v4
	s_and_b32 s6, vcc_lo, s5
	v_cmp_lt_u32_e32 vcc_lo, 10, v23
	v_writelane_b32 v92, s6, 0
	v_mad_u32_u24 v36, 0xfc, v4, v35
	v_dual_add_nc_u32 v75, v71, v5 :: v_dual_bitop2_b32 v87, v26, v4 bitop3:0x54
	v_lshlrev_b32_e32 v77, 2, v29
	s_and_b32 s6, vcc_lo, s5
	v_cmp_eq_u32_e32 vcc_lo, 11, v23
	v_writelane_b32 v92, s6, 1
	v_mad_i32_i24 v38, 0xffffff04, v4, v36
	v_mad_i32_i24 v69, 0xffffff04, v4, v43
	s_add_nc_u64 s[66:67], s[66:67], s[12:13]
	s_and_b32 s6, vcc_lo, s5
	v_cmp_lt_u32_e32 vcc_lo, 11, v23
	v_writelane_b32 v92, s6, 2
	v_mad_u32_u24 v42, 0xfc, v4, v38
	v_mul_u32_u24_e32 v44, 0xfc, v4
	v_add_nc_u32_e32 v67, 0x4000, v62
	s_and_b32 s6, vcc_lo, s5
	v_cmp_eq_u32_e32 vcc_lo, 12, v23
	v_writelane_b32 v92, s6, 3
	v_mad_i32_i24 v46, 0xffffff04, v4, v42
	v_lshl_add_u32 v70, v6, 2, 0x5000
	v_lshl_add_u32 v72, v28, 2, 0x4000
	s_and_b32 s6, vcc_lo, s5
	v_cmp_lt_u32_e32 vcc_lo, 12, v23
	v_writelane_b32 v92, s6, 4
	v_mad_u32_u24 v50, 0xfc, v4, v46
	v_add_nc_u32_e32 v73, 0x4000, v5
	v_lshl_add_u32 v74, v2, 8, v69
	s_and_b32 s6, vcc_lo, s5
	v_cmp_eq_u32_e32 vcc_lo, 13, v23
	v_writelane_b32 v92, s6, 5
	v_mad_i32_i24 v53, 0xffffff04, v4, v50
	v_add_nc_u32_e32 v79, v43, v79
	v_subrev_nc_u32_e32 v81, 63, v4
	s_and_b32 s6, vcc_lo, s5
	v_cmp_lt_u32_e32 vcc_lo, 13, v23
	v_writelane_b32 v92, s6, 6
	v_mad_u32_u24 v56, 0xfc, v4, v53
	v_cmp_gt_u32_e64 s12, 2, v28
	v_cmp_gt_u32_e64 s13, 12, v28
	s_and_b32 s6, vcc_lo, s5
	v_cmp_eq_u32_e32 vcc_lo, 14, v23
	v_writelane_b32 v92, s6, 7
	v_mad_i32_i24 v59, 0xffffff04, v4, v56
	v_cmp_eq_u32_e64 s55, 0, v6
	v_cmp_gt_u32_e64 s56, 64, v6
	s_and_b32 s6, vcc_lo, s5
	v_cmp_lt_u32_e32 vcc_lo, 14, v23
	v_writelane_b32 v92, s6, 8
                                        ; implicit-def: $vgpr82
                                        ; implicit-def: $vgpr83
                                        ; implicit-def: $vgpr84
                                        ; implicit-def: $vgpr85
	v_dual_mov_b32 v27, v7 :: v_dual_lshlrev_b32 v78, 2, v21
	v_mov_b32_e32 v25, v7
	s_and_b32 s6, vcc_lo, s5
	v_cmp_eq_u32_e32 vcc_lo, 15, v23
	v_writelane_b32 v92, s6, 9
	v_mul_u64_e32 v[18:19], s[60:61], v[26:27]
	v_or_b32_e32 v27, v24, v4
	v_mul_u64_e32 v[20:21], s[60:61], v[24:25]
	s_and_b32 s6, vcc_lo, s5
	v_cmp_lt_u32_e32 vcc_lo, 15, v23
	v_writelane_b32 v92, s6, 10
	v_mov_b32_e32 v25, 1.0
	s_and_b32 s6, vcc_lo, s5
	v_cmp_eq_u32_e32 vcc_lo, 16, v23
	v_writelane_b32 v92, s6, 11
	s_and_b32 s6, vcc_lo, s5
	v_cmp_lt_u32_e32 vcc_lo, 16, v23
	v_writelane_b32 v92, s6, 12
	s_and_b32 s6, vcc_lo, s5
	v_cmp_eq_u32_e32 vcc_lo, 17, v23
	v_writelane_b32 v92, s6, 13
	s_and_b32 s6, vcc_lo, s5
	v_cmp_lt_u32_e32 vcc_lo, 17, v23
	v_writelane_b32 v92, s6, 14
	;; [unrolled: 6-line block ×14, first 2 shown]
	s_and_b32 s6, vcc_lo, s5
	v_cmp_eq_u32_e32 vcc_lo, 30, v23
	v_writelane_b32 v91, s6, 7
	s_and_b32 s6, vcc_lo, s5
	v_cmp_eq_u32_e32 vcc_lo, 31, v23
	v_writelane_b32 v91, s6, 8
	v_cmp_gt_u32_e64 s6, 32, v4
	v_mov_b32_e32 v23, v7
	s_and_b32 s47, vcc_lo, s5
	v_cmp_le_i32_e32 vcc_lo, s19, v4
	s_and_b32 s6, s1, s6
	s_delay_alu instid0(SALU_CYCLE_1) | instskip(SKIP_1) | instid1(SALU_CYCLE_1)
	v_writelane_b32 v91, s6, 9
	s_and_b32 s7, vcc_lo, s48
	s_xor_b32 s6, s7, -1
	v_writelane_b32 v91, s7, 10
	s_and_b32 s48, s1, s6
	v_cmp_le_i32_e64 s6, s19, v2
	s_cmp_gt_i32 s87, 0
	s_cselect_b32 s49, -1, 0
	s_add_co_i32 s57, s18, 1
	s_or_b32 s8, s6, vcc_lo
	v_cmp_le_i32_e64 s6, s19, v22
	s_lshl_b64 s[80:81], s[14:15], 2
	v_cmp_gt_u32_e64 s14, 8, v28
	v_cmp_gt_u32_e64 s15, 56, v28
	;; [unrolled: 1-line block ×3, first 2 shown]
	s_or_b32 s9, s6, vcc_lo
	v_cmp_le_i32_e64 s6, s19, v26
	s_or_b32 s16, s6, vcc_lo
	v_cmp_le_i32_e64 s6, s19, v24
	s_or_b32 s17, s6, vcc_lo
	v_cmp_gt_i32_e32 vcc_lo, s19, v4
	v_cmp_gt_u32_e64 s19, 24, v28
	s_and_b32 s6, s1, vcc_lo
	v_cmp_gt_i32_e32 vcc_lo, s78, v8
	v_writelane_b32 v91, s6, 11
	v_cmp_gt_i32_e64 s6, s78, v14
	v_add_nc_u32_e32 v14, 0x60, v3
	s_and_b32 s7, vcc_lo, s6
	v_cmp_gt_i32_e32 vcc_lo, s78, v15
	v_writelane_b32 v91, s7, 12
	v_add_nc_u32_e32 v15, 0x70, v3
	v_mov_b32_e32 v3, v7
	s_and_b32 s7, vcc_lo, s6
	v_cmp_gt_i32_e32 vcc_lo, s78, v14
	v_writelane_b32 v91, s7, 13
	s_and_b32 s7, vcc_lo, s6
	v_cmp_gt_i32_e32 vcc_lo, s78, v15
	v_writelane_b32 v91, s7, 14
	v_mul_u64_e32 v[14:15], s[60:61], v[2:3]
	v_lshlrev_b32_e32 v3, 2, v16
	v_mul_u64_e32 v[16:17], s[60:61], v[22:23]
	s_and_b32 s7, vcc_lo, s6
	v_mad_u32_u24 v23, 0xfc, v4, v31
	v_writelane_b32 v91, s7, 15
	v_cmp_le_u32_e64 s7, v4, v2
	s_or_b32 s8, s8, s7
	s_delay_alu instid0(SALU_CYCLE_1) | instskip(SKIP_4) | instid1(SALU_CYCLE_1)
	v_writelane_b32 v91, s8, 16
	v_cmp_le_u32_e64 s8, v4, v22
	v_mul_lo_u32 v22, v23, 7
	v_mov_b32_e32 v23, v7
	s_or_b32 s9, s9, s8
	v_writelane_b32 v91, s9, 17
	v_cmp_le_u32_e64 s9, v4, v26
	s_delay_alu instid0(VALU_DEP_4)
	v_add3_u32 v80, v22, v5, 0x3c00
	s_or_b32 s10, s16, s9
	v_lshlrev_b32_e32 v22, 2, v4
	v_writelane_b32 v91, s10, 18
	v_cmp_le_u32_e64 s10, v4, v24
	v_cmp_gt_u32_e64 s16, 48, v28
	s_or_b32 s11, s17, s10
	v_cmp_gt_u32_e64 s17, 40, v28
	v_writelane_b32 v91, s11, 19
	v_cmp_eq_u32_e64 s11, 0, v30
	v_writelane_b32 v91, s50, 20
	v_cmp_gt_u32_e64 s50, 0xe0, v28
	s_delay_alu instid0(VALU_DEP_1) | instskip(SKIP_1) | instid1(VALU_DEP_1)
	v_writelane_b32 v91, s50, 21
	v_cmp_gt_u32_e64 s50, 0xd0, v28
	v_writelane_b32 v91, s50, 22
	v_cmp_gt_u32_e64 s50, 0xc0, v28
	s_delay_alu instid0(VALU_DEP_1) | instskip(SKIP_1) | instid1(VALU_DEP_1)
	v_writelane_b32 v91, s50, 23
	v_cmp_gt_u32_e64 s50, 0xb0, v28
	;; [unrolled: 5-line block ×18, first 2 shown]
	v_writelane_b32 v90, s50, 24
	v_cmp_gt_u32_e64 s50, 64, v27
	s_delay_alu instid0(VALU_DEP_1)
	v_writelane_b32 v90, s50, 25
	s_branch .LBB8_3
.LBB8_2:                                ;   in Loop: Header=BB8_3 Depth=1
	s_wait_xcnt 0x0
	s_or_b32 exec_lo, exec_lo, s50
	v_readlane_b32 s50, v93, 0
	s_add_co_i32 s76, s76, 0x10000
	global_wb scope:SCOPE_DEV
	s_wait_storecnt 0x0
	global_inv scope:SCOPE_DEV
	s_cmp_lt_u32 s76, s50
	s_cbranch_scc0 .LBB8_1225
.LBB8_3:                                ; =>This Loop Header: Depth=1
                                        ;     Child Loop BB8_1094 Depth 2
                                        ;       Child Loop BB8_1096 Depth 3
                                        ;     Child Loop BB8_1131 Depth 2
	global_load_b32 v30, v7, s[64:65]
	s_mul_u64 s[50:51], s[62:63], s[76:77]
	s_delay_alu instid0(SALU_CYCLE_1) | instskip(NEXT) | instid1(SALU_CYCLE_1)
	s_lshl_b64 s[50:51], s[50:51], 2
	s_add_nc_u64 s[82:83], s[68:69], s[50:51]
	v_readlane_b32 s50, v93, 1
	v_lshl_add_u64 v[26:27], v[10:11], 2, s[82:83]
	s_and_not1_b32 vcc_lo, exec_lo, s50
	s_cbranch_vccnz .LBB8_13
; %bb.4:                                ;   in Loop: Header=BB8_3 Depth=1
	s_delay_alu instid0(VALU_DEP_1)
	v_lshl_add_u64 v[28:29], v[8:9], 2, v[26:27]
	v_dual_mov_b32 v83, 0 :: v_dual_mov_b32 v82, 0
	s_wait_loadcnt 0x0
	s_barrier_signal -1
	s_barrier_wait -1
	s_wait_xcnt 0x0
	s_mov_b32 s50, exec_lo
	v_readlane_b32 s51, v91, 12
	s_and_b32 s51, s50, s51
	s_delay_alu instid0(SALU_CYCLE_1)
	s_mov_b32 exec_lo, s51
	s_cbranch_execz .LBB8_6
; %bb.5:                                ;   in Loop: Header=BB8_3 Depth=1
	global_load_b32 v82, v[28:29], off
.LBB8_6:                                ;   in Loop: Header=BB8_3 Depth=1
	s_wait_xcnt 0x0
	s_or_b32 exec_lo, exec_lo, s50
	s_wait_loadcnt 0x0
	s_barrier_signal -1
	s_barrier_wait -1
	s_mov_b32 s50, exec_lo
	v_readlane_b32 s51, v91, 13
	s_and_b32 s51, s50, s51
	s_delay_alu instid0(SALU_CYCLE_1)
	s_mov_b32 exec_lo, s51
	s_cbranch_execz .LBB8_8
; %bb.7:                                ;   in Loop: Header=BB8_3 Depth=1
	global_load_b32 v83, v[28:29], off offset:64
.LBB8_8:                                ;   in Loop: Header=BB8_3 Depth=1
	s_wait_xcnt 0x0
	s_or_b32 exec_lo, exec_lo, s50
	v_dual_mov_b32 v85, 0 :: v_dual_mov_b32 v84, 0
	s_wait_loadcnt 0x0
	s_barrier_signal -1
	s_barrier_wait -1
	s_mov_b32 s50, exec_lo
	v_readlane_b32 s51, v91, 14
	s_and_b32 s51, s50, s51
	s_delay_alu instid0(SALU_CYCLE_1)
	s_mov_b32 exec_lo, s51
	s_cbranch_execz .LBB8_10
; %bb.9:                                ;   in Loop: Header=BB8_3 Depth=1
	global_load_b32 v84, v[28:29], off offset:128
.LBB8_10:                               ;   in Loop: Header=BB8_3 Depth=1
	s_wait_xcnt 0x0
	s_or_b32 exec_lo, exec_lo, s50
	s_wait_loadcnt 0x0
	s_barrier_signal -1
	s_barrier_wait -1
	s_mov_b32 s50, exec_lo
	v_readlane_b32 s51, v91, 15
	s_and_b32 s51, s50, s51
	s_delay_alu instid0(SALU_CYCLE_1)
	s_mov_b32 exec_lo, s51
	s_cbranch_execz .LBB8_12
; %bb.11:                               ;   in Loop: Header=BB8_3 Depth=1
	global_load_b32 v85, v[28:29], off offset:192
.LBB8_12:                               ;   in Loop: Header=BB8_3 Depth=1
	s_wait_xcnt 0x0
	s_or_b32 exec_lo, exec_lo, s50
.LBB8_13:                               ;   in Loop: Header=BB8_3 Depth=1
	s_add_nc_u64 s[50:51], s[82:83], s[80:81]
	s_and_not1_b32 vcc_lo, exec_lo, s89
	v_add_nc_u64_e32 v[28:29], s[50:51], v[22:23]
	s_mov_b32 s50, -1
	s_cbranch_vccnz .LBB8_24
; %bb.14:                               ;   in Loop: Header=BB8_3 Depth=1
	s_wait_xcnt 0x0
	s_and_saveexec_b32 s50, s7
	s_delay_alu instid0(SALU_CYCLE_1)
	s_xor_b32 s50, exec_lo, s50
	s_cbranch_execnz .LBB8_1153
; %bb.15:                               ;   in Loop: Header=BB8_3 Depth=1
	s_and_not1_saveexec_b32 s50, s50
	s_cbranch_execnz .LBB8_1156
.LBB8_16:                               ;   in Loop: Header=BB8_3 Depth=1
	s_or_b32 exec_lo, exec_lo, s50
	s_and_saveexec_b32 s50, s8
	s_delay_alu instid0(SALU_CYCLE_1)
	s_xor_b32 s50, exec_lo, s50
	s_cbranch_execnz .LBB8_1157
.LBB8_17:                               ;   in Loop: Header=BB8_3 Depth=1
	s_and_not1_saveexec_b32 s50, s50
	s_cbranch_execnz .LBB8_1160
.LBB8_18:                               ;   in Loop: Header=BB8_3 Depth=1
	s_or_b32 exec_lo, exec_lo, s50
	s_and_saveexec_b32 s50, s9
	s_delay_alu instid0(SALU_CYCLE_1)
	s_xor_b32 s50, exec_lo, s50
	s_cbranch_execnz .LBB8_1161
.LBB8_19:                               ;   in Loop: Header=BB8_3 Depth=1
	s_and_not1_saveexec_b32 s50, s50
	s_cbranch_execnz .LBB8_1164
.LBB8_20:                               ;   in Loop: Header=BB8_3 Depth=1
	s_or_b32 exec_lo, exec_lo, s50
	s_and_saveexec_b32 s50, s10
	s_delay_alu instid0(SALU_CYCLE_1)
	s_xor_b32 s50, exec_lo, s50
	s_cbranch_execnz .LBB8_1165
.LBB8_21:                               ;   in Loop: Header=BB8_3 Depth=1
	s_and_not1_saveexec_b32 s50, s50
	s_cbranch_execz .LBB8_23
.LBB8_22:                               ;   in Loop: Header=BB8_3 Depth=1
	v_lshl_add_u64 v[86:87], v[20:21], 2, v[28:29]
	global_load_b32 v24, v[86:87], off
	s_wait_loadcnt 0x0
	v_xor_b32_e32 v24, 0x80000000, v24
	ds_store_b32 v78, v24
.LBB8_23:                               ;   in Loop: Header=BB8_3 Depth=1
	s_or_b32 exec_lo, exec_lo, s50
	s_mov_b32 s50, 0
.LBB8_24:                               ;   in Loop: Header=BB8_3 Depth=1
	s_delay_alu instid0(SALU_CYCLE_1)
	s_and_b32 vcc_lo, exec_lo, s50
	s_cbranch_vccz .LBB8_50
; %bb.25:                               ;   in Loop: Header=BB8_3 Depth=1
	s_wait_xcnt 0x0
	s_mov_b32 s50, exec_lo
	v_readlane_b32 s51, v91, 16
	s_and_b32 s51, s50, s51
	s_delay_alu instid0(SALU_CYCLE_1)
	s_xor_b32 s50, s51, s50
	s_mov_b32 exec_lo, s51
	s_cbranch_execz .LBB8_29
; %bb.26:                               ;   in Loop: Header=BB8_3 Depth=1
	s_mov_b32 s51, exec_lo
	v_readlane_b32 s52, v90, 22
	s_and_b32 s52, s51, s52
	s_delay_alu instid0(SALU_CYCLE_1)
	s_mov_b32 exec_lo, s52
; %bb.27:                               ;   in Loop: Header=BB8_3 Depth=1
	ds_store_b32 v79, v7
; %bb.28:                               ;   in Loop: Header=BB8_3 Depth=1
	s_or_b32 exec_lo, exec_lo, s51
.LBB8_29:                               ;   in Loop: Header=BB8_3 Depth=1
	s_and_not1_saveexec_b32 s50, s50
	s_cbranch_execz .LBB8_31
; %bb.30:                               ;   in Loop: Header=BB8_3 Depth=1
	v_lshl_add_u64 v[86:87], v[14:15], 2, v[28:29]
	global_load_b32 v24, v[86:87], off
	s_wait_loadcnt 0x0
	v_xor_b32_e32 v24, 0x80000000, v24
	ds_store_b32 v79, v24
.LBB8_31:                               ;   in Loop: Header=BB8_3 Depth=1
	s_or_b32 exec_lo, exec_lo, s50
	s_delay_alu instid0(SALU_CYCLE_1) | instskip(SKIP_2) | instid1(SALU_CYCLE_1)
	s_mov_b32 s50, exec_lo
	v_readlane_b32 s51, v91, 17
	s_and_b32 s51, s50, s51
	s_xor_b32 s50, s51, s50
	s_mov_b32 exec_lo, s51
	s_cbranch_execz .LBB8_35
; %bb.32:                               ;   in Loop: Header=BB8_3 Depth=1
	s_mov_b32 s51, exec_lo
	v_readlane_b32 s52, v90, 23
	s_and_b32 s52, s51, s52
	s_delay_alu instid0(SALU_CYCLE_1)
	s_mov_b32 exec_lo, s52
; %bb.33:                               ;   in Loop: Header=BB8_3 Depth=1
	ds_store_b32 v3, v7
; %bb.34:                               ;   in Loop: Header=BB8_3 Depth=1
	s_or_b32 exec_lo, exec_lo, s51
.LBB8_35:                               ;   in Loop: Header=BB8_3 Depth=1
	s_and_not1_saveexec_b32 s50, s50
	s_cbranch_execz .LBB8_37
; %bb.36:                               ;   in Loop: Header=BB8_3 Depth=1
	v_lshl_add_u64 v[86:87], v[16:17], 2, v[28:29]
	global_load_b32 v24, v[86:87], off
	s_wait_loadcnt 0x0
	v_xor_b32_e32 v24, 0x80000000, v24
	ds_store_b32 v3, v24
.LBB8_37:                               ;   in Loop: Header=BB8_3 Depth=1
	s_or_b32 exec_lo, exec_lo, s50
	s_delay_alu instid0(SALU_CYCLE_1) | instskip(SKIP_2) | instid1(SALU_CYCLE_1)
	s_mov_b32 s50, exec_lo
	v_readlane_b32 s51, v91, 18
	s_and_b32 s51, s50, s51
	s_xor_b32 s50, s51, s50
	s_mov_b32 exec_lo, s51
	s_cbranch_execz .LBB8_41
; %bb.38:                               ;   in Loop: Header=BB8_3 Depth=1
	s_mov_b32 s51, exec_lo
	v_readlane_b32 s52, v90, 24
	s_and_b32 s52, s51, s52
	s_delay_alu instid0(SALU_CYCLE_1)
	s_mov_b32 exec_lo, s52
; %bb.39:                               ;   in Loop: Header=BB8_3 Depth=1
	ds_store_b32 v77, v7
; %bb.40:                               ;   in Loop: Header=BB8_3 Depth=1
	s_or_b32 exec_lo, exec_lo, s51
.LBB8_41:                               ;   in Loop: Header=BB8_3 Depth=1
	s_and_not1_saveexec_b32 s50, s50
	s_cbranch_execz .LBB8_43
; %bb.42:                               ;   in Loop: Header=BB8_3 Depth=1
	v_lshl_add_u64 v[86:87], v[18:19], 2, v[28:29]
	global_load_b32 v24, v[86:87], off
	s_wait_loadcnt 0x0
	v_xor_b32_e32 v24, 0x80000000, v24
	ds_store_b32 v77, v24
.LBB8_43:                               ;   in Loop: Header=BB8_3 Depth=1
	s_or_b32 exec_lo, exec_lo, s50
	s_delay_alu instid0(SALU_CYCLE_1) | instskip(SKIP_2) | instid1(SALU_CYCLE_1)
	s_mov_b32 s50, exec_lo
	v_readlane_b32 s51, v91, 19
	s_and_b32 s51, s50, s51
	s_xor_b32 s50, s51, s50
	s_mov_b32 exec_lo, s51
	s_cbranch_execz .LBB8_47
; %bb.44:                               ;   in Loop: Header=BB8_3 Depth=1
	s_mov_b32 s51, exec_lo
	v_readlane_b32 s52, v90, 25
	s_and_b32 s52, s51, s52
	s_delay_alu instid0(SALU_CYCLE_1)
	s_mov_b32 exec_lo, s52
; %bb.45:                               ;   in Loop: Header=BB8_3 Depth=1
	ds_store_b32 v78, v7
; %bb.46:                               ;   in Loop: Header=BB8_3 Depth=1
	s_or_b32 exec_lo, exec_lo, s51
                                        ; implicit-def: $vgpr28_vgpr29
.LBB8_47:                               ;   in Loop: Header=BB8_3 Depth=1
	s_and_not1_saveexec_b32 s50, s50
	s_cbranch_execz .LBB8_49
; %bb.48:                               ;   in Loop: Header=BB8_3 Depth=1
	v_lshl_add_u64 v[28:29], v[20:21], 2, v[28:29]
	global_load_b32 v24, v[28:29], off
	s_wait_loadcnt 0x0
	v_xor_b32_e32 v24, 0x80000000, v24
	ds_store_b32 v78, v24
.LBB8_49:                               ;   in Loop: Header=BB8_3 Depth=1
	s_or_b32 exec_lo, exec_lo, s50
.LBB8_50:                               ;   in Loop: Header=BB8_3 Depth=1
	s_delay_alu instid0(SALU_CYCLE_1)
	s_and_not1_b32 vcc_lo, exec_lo, s91
	s_wait_loadcnt_dscnt 0x0
	s_barrier_signal -1
	s_barrier_wait -1
	s_cbranch_vccnz .LBB8_1088
; %bb.51:                               ;   in Loop: Header=BB8_3 Depth=1
	s_and_saveexec_b32 s50, s11
	s_cbranch_execz .LBB8_53
; %bb.52:                               ;   in Loop: Header=BB8_3 Depth=1
	ds_load_b32 v24, v7 offset:4
	ds_store_b32 v7, v25
	s_wait_dscnt 0x1
	ds_store_b64 v7, v[24:25] offset:256
.LBB8_53:                               ;   in Loop: Header=BB8_3 Depth=1
	s_or_b32 exec_lo, exec_lo, s50
	v_mov_b32_e32 v24, 0
	s_wait_dscnt 0x0
	s_barrier_signal -1
	s_barrier_wait -1
	s_and_saveexec_b32 s50, s0
	s_cbranch_execz .LBB8_57
; %bb.54:                               ;   in Loop: Header=BB8_3 Depth=1
	ds_load_b32 v24, v39 offset:8
	ds_load_b32 v28, v40
	s_wait_dscnt 0x0
	v_fma_f32 v24, v24, v28, 0
	s_and_saveexec_b32 s51, s12
	s_cbranch_execz .LBB8_56
; %bb.55:                               ;   in Loop: Header=BB8_3 Depth=1
	ds_load_b32 v28, v5 offset:264
	ds_load_b32 v29, v7 offset:4
	s_wait_dscnt 0x0
	v_fmac_f32_e32 v24, v28, v29
.LBB8_56:                               ;   in Loop: Header=BB8_3 Depth=1
	s_or_b32 exec_lo, exec_lo, s51
	s_delay_alu instid0(VALU_DEP_1)
	v_xor_b32_e32 v24, 0x80000000, v24
.LBB8_57:                               ;   in Loop: Header=BB8_3 Depth=1
	s_or_b32 exec_lo, exec_lo, s50
	s_and_saveexec_b32 s50, s92
; %bb.58:                               ;   in Loop: Header=BB8_3 Depth=1
	ds_store_b32 v37, v24
; %bb.59:                               ;   in Loop: Header=BB8_3 Depth=1
	s_or_b32 exec_lo, exec_lo, s50
	s_wait_dscnt 0x0
	s_barrier_signal -1
	s_barrier_wait -1
	s_and_saveexec_b32 s50, s93
	s_cbranch_execz .LBB8_61
; %bb.60:                               ;   in Loop: Header=BB8_3 Depth=1
	ds_load_b32 v28, v7 offset:524
	ds_load_b32 v29, v37
	s_wait_dscnt 0x0
	v_fmac_f32_e32 v24, v28, v29
.LBB8_61:                               ;   in Loop: Header=BB8_3 Depth=1
	s_or_b32 exec_lo, exec_lo, s50
	s_barrier_signal -1
	s_barrier_wait -1
	s_and_saveexec_b32 s50, s93
; %bb.62:                               ;   in Loop: Header=BB8_3 Depth=1
	ds_store_b32 v37, v24
; %bb.63:                               ;   in Loop: Header=BB8_3 Depth=1
	s_or_b32 exec_lo, exec_lo, s50
	s_wait_dscnt 0x0
	s_barrier_signal -1
	s_barrier_wait -1
	s_barrier_signal -1
	s_barrier_wait -1
	s_and_saveexec_b32 s50, s0
; %bb.64:                               ;   in Loop: Header=BB8_3 Depth=1
	v_xor_b32_e32 v24, 0x80000000, v24
	ds_store_b32 v39, v24 offset:8
; %bb.65:                               ;   in Loop: Header=BB8_3 Depth=1
	s_or_b32 exec_lo, exec_lo, s50
	s_wait_dscnt 0x0
	s_barrier_signal -1
	s_barrier_wait -1
	s_barrier_signal -1
	s_barrier_wait -1
	s_and_saveexec_b32 s50, s94
	s_cbranch_execz .LBB8_67
; %bb.66:                               ;   in Loop: Header=BB8_3 Depth=1
	ds_load_b32 v24, v32 offset:8
	s_wait_dscnt 0x0
	ds_store_b32 v5, v24 offset:512
	ds_load_b32 v24, v32 offset:12
	s_wait_dscnt 0x0
	ds_store_b32 v5, v24 offset:768
.LBB8_67:                               ;   in Loop: Header=BB8_3 Depth=1
	s_or_b32 exec_lo, exec_lo, s50
	s_wait_dscnt 0x0
	s_barrier_signal -1
	s_barrier_wait -1
	s_and_saveexec_b32 s50, s11
	s_cbranch_execz .LBB8_69
; %bb.68:                               ;   in Loop: Header=BB8_3 Depth=1
	ds_load_b32 v24, v7 offset:524
	ds_store_b32 v7, v25 offset:520
	s_wait_dscnt 0x1
	ds_store_b64 v7, v[24:25] offset:776
.LBB8_69:                               ;   in Loop: Header=BB8_3 Depth=1
	s_or_b32 exec_lo, exec_lo, s50
	v_mov_b32_e32 v24, 0
	s_wait_dscnt 0x0
	s_barrier_signal -1
	s_barrier_wait -1
	s_and_saveexec_b32 s61, s2
	s_cbranch_execz .LBB8_75
; %bb.70:                               ;   in Loop: Header=BB8_3 Depth=1
	ds_load_b32 v24, v48 offset:16
	ds_load_b32 v28, v41
	s_wait_dscnt 0x0
	v_fma_f32 v24, v24, v28, 0
	s_and_saveexec_b32 s50, s13
	s_cbranch_execnz .LBB8_1175
; %bb.71:                               ;   in Loop: Header=BB8_3 Depth=1
	s_or_b32 exec_lo, exec_lo, s50
	s_and_saveexec_b32 s50, s14
	s_cbranch_execnz .LBB8_1176
.LBB8_72:                               ;   in Loop: Header=BB8_3 Depth=1
	s_or_b32 exec_lo, exec_lo, s50
	s_and_saveexec_b32 s50, s0
	s_cbranch_execz .LBB8_74
.LBB8_73:                               ;   in Loop: Header=BB8_3 Depth=1
	ds_load_b32 v28, v33 offset:784
	ds_load_b32 v29, v7 offset:12
	s_wait_dscnt 0x0
	v_fmac_f32_e32 v24, v28, v29
.LBB8_74:                               ;   in Loop: Header=BB8_3 Depth=1
	s_or_b32 exec_lo, exec_lo, s50
	s_delay_alu instid0(VALU_DEP_1)
	v_xor_b32_e32 v24, 0x80000000, v24
.LBB8_75:                               ;   in Loop: Header=BB8_3 Depth=1
	s_or_b32 exec_lo, exec_lo, s61
	s_and_saveexec_b32 s50, s95
; %bb.76:                               ;   in Loop: Header=BB8_3 Depth=1
	ds_store_b32 v47, v24
; %bb.77:                               ;   in Loop: Header=BB8_3 Depth=1
	s_or_b32 exec_lo, exec_lo, s50
	s_wait_dscnt 0x0
	s_barrier_signal -1
	s_barrier_wait -1
	s_and_saveexec_b32 s50, s96
	s_cbranch_execz .LBB8_79
; %bb.78:                               ;   in Loop: Header=BB8_3 Depth=1
	ds_load_b32 v28, v45 offset:1040
	ds_load_b32 v29, v47
	s_wait_dscnt 0x0
	v_fmac_f32_e32 v24, v28, v29
.LBB8_79:                               ;   in Loop: Header=BB8_3 Depth=1
	s_or_b32 exec_lo, exec_lo, s50
	s_barrier_signal -1
	s_barrier_wait -1
	s_and_saveexec_b32 s50, s97
; %bb.80:                               ;   in Loop: Header=BB8_3 Depth=1
	ds_store_b32 v47, v24
; %bb.81:                               ;   in Loop: Header=BB8_3 Depth=1
	s_or_b32 exec_lo, exec_lo, s50
	s_wait_dscnt 0x0
	s_barrier_signal -1
	s_barrier_wait -1
	s_and_saveexec_b32 s50, s98
	s_cbranch_execz .LBB8_83
; %bb.82:                               ;   in Loop: Header=BB8_3 Depth=1
	ds_load_b32 v28, v45 offset:1296
	ds_load_b32 v29, v47
	s_wait_dscnt 0x0
	v_fmac_f32_e32 v24, v28, v29
.LBB8_83:                               ;   in Loop: Header=BB8_3 Depth=1
	s_or_b32 exec_lo, exec_lo, s50
	s_barrier_signal -1
	s_barrier_wait -1
	;; [unrolled: 19-line block ×3, first 2 shown]
	s_and_saveexec_b32 s50, s100
; %bb.88:                               ;   in Loop: Header=BB8_3 Depth=1
	ds_store_b32 v47, v24
; %bb.89:                               ;   in Loop: Header=BB8_3 Depth=1
	s_or_b32 exec_lo, exec_lo, s50
	s_wait_dscnt 0x0
	s_barrier_signal -1
	s_barrier_wait -1
	s_barrier_signal -1
	s_barrier_wait -1
	s_and_saveexec_b32 s50, s2
; %bb.90:                               ;   in Loop: Header=BB8_3 Depth=1
	v_xor_b32_e32 v24, 0x80000000, v24
	ds_store_b32 v48, v24 offset:16
; %bb.91:                               ;   in Loop: Header=BB8_3 Depth=1
	s_or_b32 exec_lo, exec_lo, s50
	s_wait_dscnt 0x0
	s_barrier_signal -1
	s_barrier_wait -1
	s_barrier_signal -1
	s_barrier_wait -1
	s_and_saveexec_b32 s50, s101
	s_cbranch_execz .LBB8_93
; %bb.92:                               ;   in Loop: Header=BB8_3 Depth=1
	ds_load_b32 v24, v34 offset:16
	s_wait_dscnt 0x0
	ds_store_b32 v35, v24 offset:1024
	ds_load_b32 v24, v34 offset:20
	s_wait_dscnt 0x0
	ds_store_b32 v35, v24 offset:1280
	;; [unrolled: 3-line block ×4, first 2 shown]
.LBB8_93:                               ;   in Loop: Header=BB8_3 Depth=1
	s_or_b32 exec_lo, exec_lo, s50
	s_wait_dscnt 0x0
	s_barrier_signal -1
	s_barrier_wait -1
	s_and_saveexec_b32 s50, s11
	s_cbranch_execz .LBB8_95
; %bb.94:                               ;   in Loop: Header=BB8_3 Depth=1
	ds_load_b32 v24, v7 offset:1044
	ds_store_b32 v7, v25 offset:1040
	s_wait_dscnt 0x1
	ds_store_b64 v7, v[24:25] offset:1296
.LBB8_95:                               ;   in Loop: Header=BB8_3 Depth=1
	s_or_b32 exec_lo, exec_lo, s50
	v_mov_b32_e32 v24, 0
	s_wait_dscnt 0x0
	s_barrier_signal -1
	s_barrier_wait -1
	s_and_saveexec_b32 s50, s0
	s_cbranch_execz .LBB8_99
; %bb.96:                               ;   in Loop: Header=BB8_3 Depth=1
	ds_load_b32 v24, v39 offset:1048
	ds_load_b32 v28, v40 offset:1040
	s_wait_dscnt 0x0
	v_fma_f32 v24, v24, v28, 0
	s_and_saveexec_b32 s51, s12
	s_cbranch_execz .LBB8_98
; %bb.97:                               ;   in Loop: Header=BB8_3 Depth=1
	ds_load_b32 v28, v35 offset:1304
	ds_load_b32 v29, v7 offset:1044
	s_wait_dscnt 0x0
	v_fmac_f32_e32 v24, v28, v29
.LBB8_98:                               ;   in Loop: Header=BB8_3 Depth=1
	s_or_b32 exec_lo, exec_lo, s51
	s_delay_alu instid0(VALU_DEP_1)
	v_xor_b32_e32 v24, 0x80000000, v24
.LBB8_99:                               ;   in Loop: Header=BB8_3 Depth=1
	s_or_b32 exec_lo, exec_lo, s50
	s_and_saveexec_b32 s50, s92
; %bb.100:                              ;   in Loop: Header=BB8_3 Depth=1
	ds_store_b32 v37, v24
; %bb.101:                              ;   in Loop: Header=BB8_3 Depth=1
	s_or_b32 exec_lo, exec_lo, s50
	s_wait_dscnt 0x0
	s_barrier_signal -1
	s_barrier_wait -1
	s_and_saveexec_b32 s50, s93
	s_cbranch_execz .LBB8_103
; %bb.102:                              ;   in Loop: Header=BB8_3 Depth=1
	ds_load_b32 v28, v7 offset:1564
	ds_load_b32 v29, v37
	s_wait_dscnt 0x0
	v_fmac_f32_e32 v24, v28, v29
.LBB8_103:                              ;   in Loop: Header=BB8_3 Depth=1
	s_or_b32 exec_lo, exec_lo, s50
	s_barrier_signal -1
	s_barrier_wait -1
	s_and_saveexec_b32 s50, s93
; %bb.104:                              ;   in Loop: Header=BB8_3 Depth=1
	ds_store_b32 v37, v24
; %bb.105:                              ;   in Loop: Header=BB8_3 Depth=1
	s_or_b32 exec_lo, exec_lo, s50
	s_wait_dscnt 0x0
	s_barrier_signal -1
	s_barrier_wait -1
	s_barrier_signal -1
	s_barrier_wait -1
	s_and_saveexec_b32 s50, s0
; %bb.106:                              ;   in Loop: Header=BB8_3 Depth=1
	v_xor_b32_e32 v24, 0x80000000, v24
	ds_store_b32 v39, v24 offset:1048
; %bb.107:                              ;   in Loop: Header=BB8_3 Depth=1
	s_or_b32 exec_lo, exec_lo, s50
	s_wait_dscnt 0x0
	s_barrier_signal -1
	s_barrier_wait -1
	s_barrier_signal -1
	s_barrier_wait -1
	s_and_saveexec_b32 s50, s94
	s_cbranch_execz .LBB8_109
; %bb.108:                              ;   in Loop: Header=BB8_3 Depth=1
	ds_load_b32 v24, v36 offset:1048
	s_wait_dscnt 0x0
	ds_store_b32 v35, v24 offset:1552
	ds_load_b32 v24, v36 offset:1052
	s_wait_dscnt 0x0
	ds_store_b32 v35, v24 offset:1808
.LBB8_109:                              ;   in Loop: Header=BB8_3 Depth=1
	s_or_b32 exec_lo, exec_lo, s50
	s_wait_dscnt 0x0
	s_barrier_signal -1
	s_barrier_wait -1
	s_and_saveexec_b32 s50, s11
	s_cbranch_execz .LBB8_111
; %bb.110:                              ;   in Loop: Header=BB8_3 Depth=1
	ds_load_b32 v24, v7 offset:1564
	ds_store_b32 v7, v25 offset:1560
	s_wait_dscnt 0x1
	ds_store_b64 v7, v[24:25] offset:1816
.LBB8_111:                              ;   in Loop: Header=BB8_3 Depth=1
	s_or_b32 exec_lo, exec_lo, s50
	v_mov_b32_e32 v24, 0
	s_wait_dscnt 0x0
	s_barrier_signal -1
	s_barrier_wait -1
	s_and_saveexec_b32 s61, s3
	s_cbranch_execz .LBB8_121
; %bb.112:                              ;   in Loop: Header=BB8_3 Depth=1
	ds_load_b32 v24, v55 offset:32
	ds_load_b32 v28, v51
	s_wait_dscnt 0x0
	v_fma_f32 v24, v24, v28, 0
	s_and_saveexec_b32 s50, s15
	s_cbranch_execnz .LBB8_1177
; %bb.113:                              ;   in Loop: Header=BB8_3 Depth=1
	s_or_b32 exec_lo, exec_lo, s50
	s_and_saveexec_b32 s50, s16
	s_cbranch_execnz .LBB8_1178
.LBB8_114:                              ;   in Loop: Header=BB8_3 Depth=1
	s_or_b32 exec_lo, exec_lo, s50
	s_and_saveexec_b32 s50, s17
	s_cbranch_execnz .LBB8_1179
.LBB8_115:                              ;   in Loop: Header=BB8_3 Depth=1
	s_or_b32 exec_lo, exec_lo, s50
	s_and_saveexec_b32 s50, s18
	s_cbranch_execnz .LBB8_1180
.LBB8_116:                              ;   in Loop: Header=BB8_3 Depth=1
	s_or_b32 exec_lo, exec_lo, s50
	s_and_saveexec_b32 s50, s19
	s_cbranch_execnz .LBB8_1181
.LBB8_117:                              ;   in Loop: Header=BB8_3 Depth=1
	s_or_b32 exec_lo, exec_lo, s50
	s_and_saveexec_b32 s50, s2
	s_cbranch_execnz .LBB8_1182
.LBB8_118:                              ;   in Loop: Header=BB8_3 Depth=1
	s_or_b32 exec_lo, exec_lo, s50
	s_and_saveexec_b32 s50, s14
	s_cbranch_execz .LBB8_120
.LBB8_119:                              ;   in Loop: Header=BB8_3 Depth=1
	ds_load_b32 v28, v38 offset:1824
	ds_load_b32 v29, v7 offset:28
	s_wait_dscnt 0x0
	v_fmac_f32_e32 v24, v28, v29
.LBB8_120:                              ;   in Loop: Header=BB8_3 Depth=1
	s_or_b32 exec_lo, exec_lo, s50
	s_delay_alu instid0(VALU_DEP_1)
	v_xor_b32_e32 v24, 0x80000000, v24
.LBB8_121:                              ;   in Loop: Header=BB8_3 Depth=1
	s_or_b32 exec_lo, exec_lo, s61
	s_and_saveexec_b32 s50, s102
; %bb.122:                              ;   in Loop: Header=BB8_3 Depth=1
	ds_store_b32 v54, v24
; %bb.123:                              ;   in Loop: Header=BB8_3 Depth=1
	s_or_b32 exec_lo, exec_lo, s50
	s_wait_dscnt 0x0
	s_barrier_signal -1
	s_barrier_wait -1
	s_and_saveexec_b32 s50, s103
	s_cbranch_execz .LBB8_125
; %bb.124:                              ;   in Loop: Header=BB8_3 Depth=1
	ds_load_b32 v28, v52 offset:2080
	ds_load_b32 v29, v54
	s_wait_dscnt 0x0
	v_fmac_f32_e32 v24, v28, v29
.LBB8_125:                              ;   in Loop: Header=BB8_3 Depth=1
	s_or_b32 exec_lo, exec_lo, s50
	s_barrier_signal -1
	s_barrier_wait -1
	s_and_saveexec_b32 s50, s104
; %bb.126:                              ;   in Loop: Header=BB8_3 Depth=1
	ds_store_b32 v54, v24
; %bb.127:                              ;   in Loop: Header=BB8_3 Depth=1
	s_or_b32 exec_lo, exec_lo, s50
	s_wait_dscnt 0x0
	s_barrier_signal -1
	s_barrier_wait -1
	s_and_saveexec_b32 s50, vcc_hi
	s_cbranch_execz .LBB8_129
; %bb.128:                              ;   in Loop: Header=BB8_3 Depth=1
	ds_load_b32 v28, v52 offset:2336
	ds_load_b32 v29, v54
	s_wait_dscnt 0x0
	v_fmac_f32_e32 v24, v28, v29
.LBB8_129:                              ;   in Loop: Header=BB8_3 Depth=1
	s_or_b32 exec_lo, exec_lo, s50
	s_barrier_signal -1
	s_barrier_wait -1
	s_and_saveexec_b32 s50, s31
; %bb.130:                              ;   in Loop: Header=BB8_3 Depth=1
	ds_store_b32 v54, v24
; %bb.131:                              ;   in Loop: Header=BB8_3 Depth=1
	s_or_b32 exec_lo, exec_lo, s50
	s_wait_dscnt 0x0
	s_barrier_signal -1
	s_barrier_wait -1
	s_and_saveexec_b32 s50, s33
	s_cbranch_execz .LBB8_133
; %bb.132:                              ;   in Loop: Header=BB8_3 Depth=1
	ds_load_b32 v28, v52 offset:2592
	ds_load_b32 v29, v54
	s_wait_dscnt 0x0
	v_fmac_f32_e32 v24, v28, v29
.LBB8_133:                              ;   in Loop: Header=BB8_3 Depth=1
	s_or_b32 exec_lo, exec_lo, s50
	s_barrier_signal -1
	s_barrier_wait -1
	s_and_saveexec_b32 s50, s34
; %bb.134:                              ;   in Loop: Header=BB8_3 Depth=1
	ds_store_b32 v54, v24
; %bb.135:                              ;   in Loop: Header=BB8_3 Depth=1
	s_or_b32 exec_lo, exec_lo, s50
	s_wait_dscnt 0x0
	s_barrier_signal -1
	s_barrier_wait -1
	s_and_saveexec_b32 s50, s35
	;; [unrolled: 19-line block ×5, first 2 shown]
	s_cbranch_execz .LBB8_149
; %bb.148:                              ;   in Loop: Header=BB8_3 Depth=1
	ds_load_b32 v28, v7 offset:3644
	ds_load_b32 v29, v54
	s_wait_dscnt 0x0
	v_fmac_f32_e32 v24, v28, v29
.LBB8_149:                              ;   in Loop: Header=BB8_3 Depth=1
	s_or_b32 exec_lo, exec_lo, s50
	s_barrier_signal -1
	s_barrier_wait -1
	s_and_saveexec_b32 s50, s41
; %bb.150:                              ;   in Loop: Header=BB8_3 Depth=1
	ds_store_b32 v54, v24
; %bb.151:                              ;   in Loop: Header=BB8_3 Depth=1
	s_or_b32 exec_lo, exec_lo, s50
	s_wait_dscnt 0x0
	s_barrier_signal -1
	s_barrier_wait -1
	s_barrier_signal -1
	s_barrier_wait -1
	s_and_saveexec_b32 s50, s3
; %bb.152:                              ;   in Loop: Header=BB8_3 Depth=1
	v_xor_b32_e32 v24, 0x80000000, v24
	ds_store_b32 v55, v24 offset:32
; %bb.153:                              ;   in Loop: Header=BB8_3 Depth=1
	s_or_b32 exec_lo, exec_lo, s50
	s_wait_dscnt 0x0
	s_barrier_signal -1
	s_barrier_wait -1
	s_barrier_signal -1
	s_barrier_wait -1
	s_and_saveexec_b32 s50, s42
	s_cbranch_execz .LBB8_155
; %bb.154:                              ;   in Loop: Header=BB8_3 Depth=1
	ds_load_b32 v24, v42 offset:32
	s_wait_dscnt 0x0
	ds_store_b32 v46, v24 offset:2048
	ds_load_b32 v24, v42 offset:36
	s_wait_dscnt 0x0
	ds_store_b32 v46, v24 offset:2304
	ds_load_b32 v24, v42 offset:40
	s_wait_dscnt 0x0
	ds_store_b32 v46, v24 offset:2560
	ds_load_b32 v24, v42 offset:44
	s_wait_dscnt 0x0
	ds_store_b32 v46, v24 offset:2816
	ds_load_b32 v24, v42 offset:48
	s_wait_dscnt 0x0
	ds_store_b32 v46, v24 offset:3072
	ds_load_b32 v24, v42 offset:52
	s_wait_dscnt 0x0
	ds_store_b32 v46, v24 offset:3328
	ds_load_b32 v24, v42 offset:56
	s_wait_dscnt 0x0
	ds_store_b32 v46, v24 offset:3584
	ds_load_b32 v24, v42 offset:60
	s_wait_dscnt 0x0
	ds_store_b32 v46, v24 offset:3840
.LBB8_155:                              ;   in Loop: Header=BB8_3 Depth=1
	s_or_b32 exec_lo, exec_lo, s50
	s_wait_dscnt 0x0
	s_barrier_signal -1
	s_barrier_wait -1
	s_and_saveexec_b32 s50, s11
	s_cbranch_execz .LBB8_157
; %bb.156:                              ;   in Loop: Header=BB8_3 Depth=1
	ds_load_b32 v24, v7 offset:2084
	ds_store_b32 v7, v25 offset:2080
	s_wait_dscnt 0x1
	ds_store_b64 v7, v[24:25] offset:2336
.LBB8_157:                              ;   in Loop: Header=BB8_3 Depth=1
	s_or_b32 exec_lo, exec_lo, s50
	v_mov_b32_e32 v24, 0
	s_wait_dscnt 0x0
	s_barrier_signal -1
	s_barrier_wait -1
	s_and_saveexec_b32 s50, s0
	s_cbranch_execz .LBB8_161
; %bb.158:                              ;   in Loop: Header=BB8_3 Depth=1
	ds_load_b32 v24, v39 offset:2088
	ds_load_b32 v28, v40 offset:2080
	s_wait_dscnt 0x0
	v_fma_f32 v24, v24, v28, 0
	s_and_saveexec_b32 s51, s12
	s_cbranch_execz .LBB8_160
; %bb.159:                              ;   in Loop: Header=BB8_3 Depth=1
	ds_load_b32 v28, v46 offset:2344
	ds_load_b32 v29, v7 offset:2084
	s_wait_dscnt 0x0
	v_fmac_f32_e32 v24, v28, v29
.LBB8_160:                              ;   in Loop: Header=BB8_3 Depth=1
	s_or_b32 exec_lo, exec_lo, s51
	s_delay_alu instid0(VALU_DEP_1)
	v_xor_b32_e32 v24, 0x80000000, v24
.LBB8_161:                              ;   in Loop: Header=BB8_3 Depth=1
	s_or_b32 exec_lo, exec_lo, s50
	s_and_saveexec_b32 s50, s92
; %bb.162:                              ;   in Loop: Header=BB8_3 Depth=1
	ds_store_b32 v37, v24
; %bb.163:                              ;   in Loop: Header=BB8_3 Depth=1
	s_or_b32 exec_lo, exec_lo, s50
	s_wait_dscnt 0x0
	s_barrier_signal -1
	s_barrier_wait -1
	s_and_saveexec_b32 s50, s93
	s_cbranch_execz .LBB8_165
; %bb.164:                              ;   in Loop: Header=BB8_3 Depth=1
	ds_load_b32 v28, v7 offset:2604
	ds_load_b32 v29, v37
	s_wait_dscnt 0x0
	v_fmac_f32_e32 v24, v28, v29
.LBB8_165:                              ;   in Loop: Header=BB8_3 Depth=1
	s_or_b32 exec_lo, exec_lo, s50
	s_barrier_signal -1
	s_barrier_wait -1
	s_and_saveexec_b32 s50, s93
; %bb.166:                              ;   in Loop: Header=BB8_3 Depth=1
	ds_store_b32 v37, v24
; %bb.167:                              ;   in Loop: Header=BB8_3 Depth=1
	s_or_b32 exec_lo, exec_lo, s50
	s_wait_dscnt 0x0
	s_barrier_signal -1
	s_barrier_wait -1
	s_barrier_signal -1
	s_barrier_wait -1
	s_and_saveexec_b32 s50, s0
; %bb.168:                              ;   in Loop: Header=BB8_3 Depth=1
	v_xor_b32_e32 v24, 0x80000000, v24
	ds_store_b32 v39, v24 offset:2088
; %bb.169:                              ;   in Loop: Header=BB8_3 Depth=1
	s_or_b32 exec_lo, exec_lo, s50
	s_wait_dscnt 0x0
	s_barrier_signal -1
	s_barrier_wait -1
	s_barrier_signal -1
	s_barrier_wait -1
	s_and_saveexec_b32 s50, s94
	s_cbranch_execz .LBB8_171
; %bb.170:                              ;   in Loop: Header=BB8_3 Depth=1
	ds_load_b32 v24, v50 offset:2088
	s_wait_dscnt 0x0
	ds_store_b32 v46, v24 offset:2592
	ds_load_b32 v24, v50 offset:2092
	s_wait_dscnt 0x0
	ds_store_b32 v46, v24 offset:2848
.LBB8_171:                              ;   in Loop: Header=BB8_3 Depth=1
	s_or_b32 exec_lo, exec_lo, s50
	s_wait_dscnt 0x0
	s_barrier_signal -1
	s_barrier_wait -1
	s_and_saveexec_b32 s50, s11
	s_cbranch_execz .LBB8_173
; %bb.172:                              ;   in Loop: Header=BB8_3 Depth=1
	ds_load_b32 v24, v7 offset:2604
	ds_store_b32 v7, v25 offset:2600
	s_wait_dscnt 0x1
	ds_store_b64 v7, v[24:25] offset:2856
.LBB8_173:                              ;   in Loop: Header=BB8_3 Depth=1
	s_or_b32 exec_lo, exec_lo, s50
	v_mov_b32_e32 v24, 0
	s_wait_dscnt 0x0
	s_barrier_signal -1
	s_barrier_wait -1
	s_and_saveexec_b32 s61, s2
	s_cbranch_execz .LBB8_179
; %bb.174:                              ;   in Loop: Header=BB8_3 Depth=1
	ds_load_b32 v24, v48 offset:2096
	ds_load_b32 v28, v41 offset:2080
	s_wait_dscnt 0x0
	v_fma_f32 v24, v24, v28, 0
	s_and_saveexec_b32 s50, s13
	s_cbranch_execnz .LBB8_1183
; %bb.175:                              ;   in Loop: Header=BB8_3 Depth=1
	s_or_b32 exec_lo, exec_lo, s50
	s_and_saveexec_b32 s50, s14
	s_cbranch_execnz .LBB8_1184
.LBB8_176:                              ;   in Loop: Header=BB8_3 Depth=1
	s_or_b32 exec_lo, exec_lo, s50
	s_and_saveexec_b32 s50, s0
	s_cbranch_execz .LBB8_178
.LBB8_177:                              ;   in Loop: Header=BB8_3 Depth=1
	ds_load_b32 v28, v53 offset:2864
	ds_load_b32 v29, v7 offset:2092
	s_wait_dscnt 0x0
	v_fmac_f32_e32 v24, v28, v29
.LBB8_178:                              ;   in Loop: Header=BB8_3 Depth=1
	s_or_b32 exec_lo, exec_lo, s50
	s_delay_alu instid0(VALU_DEP_1)
	v_xor_b32_e32 v24, 0x80000000, v24
.LBB8_179:                              ;   in Loop: Header=BB8_3 Depth=1
	s_or_b32 exec_lo, exec_lo, s61
	s_and_saveexec_b32 s50, s95
; %bb.180:                              ;   in Loop: Header=BB8_3 Depth=1
	ds_store_b32 v47, v24
; %bb.181:                              ;   in Loop: Header=BB8_3 Depth=1
	s_or_b32 exec_lo, exec_lo, s50
	s_wait_dscnt 0x0
	s_barrier_signal -1
	s_barrier_wait -1
	s_and_saveexec_b32 s50, s96
	s_cbranch_execz .LBB8_183
; %bb.182:                              ;   in Loop: Header=BB8_3 Depth=1
	ds_load_b32 v28, v45 offset:3120
	ds_load_b32 v29, v47
	s_wait_dscnt 0x0
	v_fmac_f32_e32 v24, v28, v29
.LBB8_183:                              ;   in Loop: Header=BB8_3 Depth=1
	s_or_b32 exec_lo, exec_lo, s50
	s_barrier_signal -1
	s_barrier_wait -1
	s_and_saveexec_b32 s50, s97
; %bb.184:                              ;   in Loop: Header=BB8_3 Depth=1
	ds_store_b32 v47, v24
; %bb.185:                              ;   in Loop: Header=BB8_3 Depth=1
	s_or_b32 exec_lo, exec_lo, s50
	s_wait_dscnt 0x0
	s_barrier_signal -1
	s_barrier_wait -1
	s_and_saveexec_b32 s50, s98
	s_cbranch_execz .LBB8_187
; %bb.186:                              ;   in Loop: Header=BB8_3 Depth=1
	ds_load_b32 v28, v45 offset:3376
	ds_load_b32 v29, v47
	s_wait_dscnt 0x0
	v_fmac_f32_e32 v24, v28, v29
.LBB8_187:                              ;   in Loop: Header=BB8_3 Depth=1
	s_or_b32 exec_lo, exec_lo, s50
	s_barrier_signal -1
	s_barrier_wait -1
	;; [unrolled: 19-line block ×3, first 2 shown]
	s_and_saveexec_b32 s50, s100
; %bb.192:                              ;   in Loop: Header=BB8_3 Depth=1
	ds_store_b32 v47, v24
; %bb.193:                              ;   in Loop: Header=BB8_3 Depth=1
	s_or_b32 exec_lo, exec_lo, s50
	s_wait_dscnt 0x0
	s_barrier_signal -1
	s_barrier_wait -1
	s_barrier_signal -1
	s_barrier_wait -1
	s_and_saveexec_b32 s50, s2
; %bb.194:                              ;   in Loop: Header=BB8_3 Depth=1
	v_xor_b32_e32 v24, 0x80000000, v24
	ds_store_b32 v48, v24 offset:2096
; %bb.195:                              ;   in Loop: Header=BB8_3 Depth=1
	s_or_b32 exec_lo, exec_lo, s50
	s_wait_dscnt 0x0
	s_barrier_signal -1
	s_barrier_wait -1
	s_barrier_signal -1
	s_barrier_wait -1
	s_and_saveexec_b32 s50, s101
	s_cbranch_execz .LBB8_197
; %bb.196:                              ;   in Loop: Header=BB8_3 Depth=1
	ds_load_b32 v24, v56 offset:2096
	s_wait_dscnt 0x0
	ds_store_b32 v59, v24 offset:3104
	ds_load_b32 v24, v56 offset:2100
	s_wait_dscnt 0x0
	ds_store_b32 v59, v24 offset:3360
	;; [unrolled: 3-line block ×4, first 2 shown]
.LBB8_197:                              ;   in Loop: Header=BB8_3 Depth=1
	s_or_b32 exec_lo, exec_lo, s50
	s_wait_dscnt 0x0
	s_barrier_signal -1
	s_barrier_wait -1
	s_and_saveexec_b32 s50, s11
	s_cbranch_execz .LBB8_199
; %bb.198:                              ;   in Loop: Header=BB8_3 Depth=1
	ds_load_b32 v24, v7 offset:3124
	ds_store_b32 v7, v25 offset:3120
	s_wait_dscnt 0x1
	ds_store_b64 v7, v[24:25] offset:3376
.LBB8_199:                              ;   in Loop: Header=BB8_3 Depth=1
	s_or_b32 exec_lo, exec_lo, s50
	v_mov_b32_e32 v24, 0
	s_wait_dscnt 0x0
	s_barrier_signal -1
	s_barrier_wait -1
	s_and_saveexec_b32 s50, s0
	s_cbranch_execz .LBB8_203
; %bb.200:                              ;   in Loop: Header=BB8_3 Depth=1
	ds_load_b32 v24, v39 offset:3128
	ds_load_b32 v28, v40 offset:3120
	s_wait_dscnt 0x0
	v_fma_f32 v24, v24, v28, 0
	s_and_saveexec_b32 s51, s12
	s_cbranch_execz .LBB8_202
; %bb.201:                              ;   in Loop: Header=BB8_3 Depth=1
	ds_load_b32 v28, v59 offset:3384
	ds_load_b32 v29, v7 offset:3124
	s_wait_dscnt 0x0
	v_fmac_f32_e32 v24, v28, v29
.LBB8_202:                              ;   in Loop: Header=BB8_3 Depth=1
	s_or_b32 exec_lo, exec_lo, s51
	s_delay_alu instid0(VALU_DEP_1)
	v_xor_b32_e32 v24, 0x80000000, v24
.LBB8_203:                              ;   in Loop: Header=BB8_3 Depth=1
	s_or_b32 exec_lo, exec_lo, s50
	s_and_saveexec_b32 s50, s92
; %bb.204:                              ;   in Loop: Header=BB8_3 Depth=1
	ds_store_b32 v37, v24
; %bb.205:                              ;   in Loop: Header=BB8_3 Depth=1
	s_or_b32 exec_lo, exec_lo, s50
	s_wait_dscnt 0x0
	s_barrier_signal -1
	s_barrier_wait -1
	s_and_saveexec_b32 s50, s93
	s_cbranch_execz .LBB8_207
; %bb.206:                              ;   in Loop: Header=BB8_3 Depth=1
	ds_load_b32 v28, v7 offset:3644
	ds_load_b32 v29, v37
	s_wait_dscnt 0x0
	v_fmac_f32_e32 v24, v28, v29
.LBB8_207:                              ;   in Loop: Header=BB8_3 Depth=1
	s_or_b32 exec_lo, exec_lo, s50
	s_barrier_signal -1
	s_barrier_wait -1
	s_and_saveexec_b32 s50, s93
; %bb.208:                              ;   in Loop: Header=BB8_3 Depth=1
	ds_store_b32 v37, v24
; %bb.209:                              ;   in Loop: Header=BB8_3 Depth=1
	s_or_b32 exec_lo, exec_lo, s50
	s_wait_dscnt 0x0
	s_barrier_signal -1
	s_barrier_wait -1
	s_barrier_signal -1
	s_barrier_wait -1
	s_and_saveexec_b32 s50, s0
; %bb.210:                              ;   in Loop: Header=BB8_3 Depth=1
	v_xor_b32_e32 v24, 0x80000000, v24
	ds_store_b32 v39, v24 offset:3128
; %bb.211:                              ;   in Loop: Header=BB8_3 Depth=1
	s_or_b32 exec_lo, exec_lo, s50
	s_wait_dscnt 0x0
	s_barrier_signal -1
	s_barrier_wait -1
	s_barrier_signal -1
	s_barrier_wait -1
	s_and_saveexec_b32 s50, s94
	s_cbranch_execz .LBB8_213
; %bb.212:                              ;   in Loop: Header=BB8_3 Depth=1
	v_add_nc_u32_e32 v24, v59, v44
	ds_load_b32 v28, v24 offset:3128
	s_wait_dscnt 0x0
	ds_store_b32 v59, v28 offset:3632
	ds_load_b32 v24, v24 offset:3132
	s_wait_dscnt 0x0
	ds_store_b32 v59, v24 offset:3888
.LBB8_213:                              ;   in Loop: Header=BB8_3 Depth=1
	s_or_b32 exec_lo, exec_lo, s50
	s_wait_dscnt 0x0
	s_barrier_signal -1
	s_barrier_wait -1
	s_and_saveexec_b32 s50, s11
	s_cbranch_execz .LBB8_215
; %bb.214:                              ;   in Loop: Header=BB8_3 Depth=1
	ds_load_b32 v24, v7 offset:3644
	ds_store_b32 v7, v25 offset:3640
	s_wait_dscnt 0x1
	ds_store_b64 v7, v[24:25] offset:3896
.LBB8_215:                              ;   in Loop: Header=BB8_3 Depth=1
	s_or_b32 exec_lo, exec_lo, s50
	v_mov_b32_e32 v24, 0
	s_wait_dscnt 0x0
	s_barrier_signal -1
	s_barrier_wait -1
	s_and_saveexec_b32 s61, s4
	s_cbranch_execz .LBB8_243
; %bb.216:                              ;   in Loop: Header=BB8_3 Depth=1
	ds_load_b32 v24, v65 offset:64
	ds_load_b32 v28, v58
	s_wait_dscnt 0x0
	v_fma_f32 v24, v24, v28, 0
	s_mov_b32 s50, exec_lo
	v_readlane_b32 s51, v91, 20
	s_and_b32 s51, s50, s51
	s_delay_alu instid0(SALU_CYCLE_1)
	s_mov_b32 exec_lo, s51
	s_cbranch_execz .LBB8_218
; %bb.217:                              ;   in Loop: Header=BB8_3 Depth=1
	ds_load_b32 v28, v66 offset:320
	ds_load_b32 v29, v58 offset:4
	s_wait_dscnt 0x0
	v_fmac_f32_e32 v24, v28, v29
.LBB8_218:                              ;   in Loop: Header=BB8_3 Depth=1
	s_or_b32 exec_lo, exec_lo, s50
	s_delay_alu instid0(SALU_CYCLE_1) | instskip(SKIP_2) | instid1(SALU_CYCLE_1)
	s_mov_b32 s50, exec_lo
	v_readlane_b32 s51, v91, 21
	s_and_b32 s51, s50, s51
	s_mov_b32 exec_lo, s51
	s_cbranch_execz .LBB8_220
; %bb.219:                              ;   in Loop: Header=BB8_3 Depth=1
	ds_load_b32 v28, v66 offset:576
	ds_load_b32 v29, v58 offset:8
	s_wait_dscnt 0x0
	v_fmac_f32_e32 v24, v28, v29
.LBB8_220:                              ;   in Loop: Header=BB8_3 Depth=1
	s_or_b32 exec_lo, exec_lo, s50
	s_delay_alu instid0(SALU_CYCLE_1) | instskip(SKIP_2) | instid1(SALU_CYCLE_1)
	s_mov_b32 s50, exec_lo
	v_readlane_b32 s51, v91, 22
	s_and_b32 s51, s50, s51
	;; [unrolled: 13-line block ×10, first 2 shown]
	s_mov_b32 exec_lo, s51
	s_cbranch_execnz .LBB8_1185
; %bb.237:                              ;   in Loop: Header=BB8_3 Depth=1
	s_or_b32 exec_lo, exec_lo, s50
	s_and_saveexec_b32 s50, s3
	s_cbranch_execnz .LBB8_1186
.LBB8_238:                              ;   in Loop: Header=BB8_3 Depth=1
	s_or_b32 exec_lo, exec_lo, s50
	s_and_saveexec_b32 s50, s16
	s_cbranch_execnz .LBB8_1187
.LBB8_239:                              ;   in Loop: Header=BB8_3 Depth=1
	s_or_b32 exec_lo, exec_lo, s50
	s_and_saveexec_b32 s50, s18
	s_cbranch_execnz .LBB8_1188
.LBB8_240:                              ;   in Loop: Header=BB8_3 Depth=1
	s_or_b32 exec_lo, exec_lo, s50
	s_and_saveexec_b32 s50, s2
	s_cbranch_execz .LBB8_242
.LBB8_241:                              ;   in Loop: Header=BB8_3 Depth=1
	ds_load_b32 v28, v5 offset:3904
	ds_load_b32 v29, v7 offset:60
	s_wait_dscnt 0x0
	v_fmac_f32_e32 v24, v28, v29
.LBB8_242:                              ;   in Loop: Header=BB8_3 Depth=1
	s_or_b32 exec_lo, exec_lo, s50
	s_delay_alu instid0(VALU_DEP_1)
	v_xor_b32_e32 v24, 0x80000000, v24
.LBB8_243:                              ;   in Loop: Header=BB8_3 Depth=1
	s_or_b32 exec_lo, exec_lo, s61
	s_delay_alu instid0(SALU_CYCLE_1) | instskip(SKIP_2) | instid1(SALU_CYCLE_1)
	s_mov_b32 s50, exec_lo
	v_readlane_b32 s51, v93, 2
	s_and_b32 s51, s50, s51
	s_mov_b32 exec_lo, s51
; %bb.244:                              ;   in Loop: Header=BB8_3 Depth=1
	ds_store_b32 v60, v24
; %bb.245:                              ;   in Loop: Header=BB8_3 Depth=1
	s_or_b32 exec_lo, exec_lo, s50
	s_wait_dscnt 0x0
	s_barrier_signal -1
	s_barrier_wait -1
	s_mov_b32 s50, exec_lo
	v_readlane_b32 s51, v93, 3
	s_and_b32 s51, s50, s51
	s_delay_alu instid0(SALU_CYCLE_1)
	s_mov_b32 exec_lo, s51
	s_cbranch_execz .LBB8_247
; %bb.246:                              ;   in Loop: Header=BB8_3 Depth=1
	ds_load_b32 v28, v61 offset:4160
	ds_load_b32 v29, v60
	s_wait_dscnt 0x0
	v_fmac_f32_e32 v24, v28, v29
.LBB8_247:                              ;   in Loop: Header=BB8_3 Depth=1
	s_or_b32 exec_lo, exec_lo, s50
	s_barrier_signal -1
	s_barrier_wait -1
	s_mov_b32 s50, exec_lo
	v_readlane_b32 s51, v93, 4
	s_and_b32 s51, s50, s51
	s_delay_alu instid0(SALU_CYCLE_1)
	s_mov_b32 exec_lo, s51
; %bb.248:                              ;   in Loop: Header=BB8_3 Depth=1
	ds_store_b32 v60, v24
; %bb.249:                              ;   in Loop: Header=BB8_3 Depth=1
	s_or_b32 exec_lo, exec_lo, s50
	s_wait_dscnt 0x0
	s_barrier_signal -1
	s_barrier_wait -1
	s_mov_b32 s50, exec_lo
	v_readlane_b32 s51, v93, 5
	s_and_b32 s51, s50, s51
	s_delay_alu instid0(SALU_CYCLE_1)
	s_mov_b32 exec_lo, s51
	s_cbranch_execz .LBB8_251
; %bb.250:                              ;   in Loop: Header=BB8_3 Depth=1
	ds_load_b32 v28, v61 offset:4416
	ds_load_b32 v29, v60
	s_wait_dscnt 0x0
	v_fmac_f32_e32 v24, v28, v29
.LBB8_251:                              ;   in Loop: Header=BB8_3 Depth=1
	s_or_b32 exec_lo, exec_lo, s50
	s_barrier_signal -1
	s_barrier_wait -1
	s_mov_b32 s50, exec_lo
	v_readlane_b32 s51, v93, 6
	s_and_b32 s51, s50, s51
	s_delay_alu instid0(SALU_CYCLE_1)
	;; [unrolled: 27-line block ×4, first 2 shown]
	s_mov_b32 exec_lo, s51
; %bb.260:                              ;   in Loop: Header=BB8_3 Depth=1
	ds_store_b32 v60, v24
; %bb.261:                              ;   in Loop: Header=BB8_3 Depth=1
	s_or_b32 exec_lo, exec_lo, s50
	s_wait_dscnt 0x0
	s_barrier_signal -1
	s_barrier_wait -1
	s_mov_b32 s50, exec_lo
	v_readlane_b32 s51, v93, 11
	s_and_b32 s51, s50, s51
	s_delay_alu instid0(SALU_CYCLE_1)
	s_mov_b32 exec_lo, s51
	s_cbranch_execz .LBB8_263
; %bb.262:                              ;   in Loop: Header=BB8_3 Depth=1
	ds_load_b32 v28, v61 offset:5184
	ds_load_b32 v29, v60
	s_wait_dscnt 0x0
	v_fmac_f32_e32 v24, v28, v29
.LBB8_263:                              ;   in Loop: Header=BB8_3 Depth=1
	s_or_b32 exec_lo, exec_lo, s50
	s_barrier_signal -1
	s_barrier_wait -1
	s_and_saveexec_b32 s50, s53
; %bb.264:                              ;   in Loop: Header=BB8_3 Depth=1
	ds_store_b32 v60, v24
; %bb.265:                              ;   in Loop: Header=BB8_3 Depth=1
	s_or_b32 exec_lo, exec_lo, s50
	s_wait_dscnt 0x0
	s_barrier_signal -1
	s_barrier_wait -1
	s_and_saveexec_b32 s50, s54
	s_cbranch_execz .LBB8_267
; %bb.266:                              ;   in Loop: Header=BB8_3 Depth=1
	ds_load_b32 v28, v61 offset:5440
	ds_load_b32 v29, v60
	s_wait_dscnt 0x0
	v_fmac_f32_e32 v24, v28, v29
.LBB8_267:                              ;   in Loop: Header=BB8_3 Depth=1
	s_or_b32 exec_lo, exec_lo, s50
	s_barrier_signal -1
	s_barrier_wait -1
	s_and_saveexec_b32 s50, s20
; %bb.268:                              ;   in Loop: Header=BB8_3 Depth=1
	ds_store_b32 v60, v24
; %bb.269:                              ;   in Loop: Header=BB8_3 Depth=1
	s_or_b32 exec_lo, exec_lo, s50
	s_wait_dscnt 0x0
	s_barrier_signal -1
	s_barrier_wait -1
	s_and_saveexec_b32 s50, s22
	;; [unrolled: 19-line block ×10, first 2 shown]
	s_cbranch_execz .LBB8_303
; %bb.302:                              ;   in Loop: Header=BB8_3 Depth=1
	ds_load_b32 v28, v7 offset:7804
	ds_load_b32 v29, v60
	s_wait_dscnt 0x0
	v_fmac_f32_e32 v24, v28, v29
.LBB8_303:                              ;   in Loop: Header=BB8_3 Depth=1
	s_or_b32 exec_lo, exec_lo, s50
	s_barrier_signal -1
	s_barrier_wait -1
	s_and_saveexec_b32 s50, s45
; %bb.304:                              ;   in Loop: Header=BB8_3 Depth=1
	ds_store_b32 v60, v24
; %bb.305:                              ;   in Loop: Header=BB8_3 Depth=1
	s_or_b32 exec_lo, exec_lo, s50
	s_wait_dscnt 0x0
	s_barrier_signal -1
	s_barrier_wait -1
	s_barrier_signal -1
	s_barrier_wait -1
	s_and_saveexec_b32 s50, s4
; %bb.306:                              ;   in Loop: Header=BB8_3 Depth=1
	v_xor_b32_e32 v24, 0x80000000, v24
	ds_store_b32 v65, v24 offset:64
; %bb.307:                              ;   in Loop: Header=BB8_3 Depth=1
	s_or_b32 exec_lo, exec_lo, s50
	s_wait_dscnt 0x0
	s_barrier_signal -1
	s_barrier_wait -1
	s_barrier_signal -1
	s_barrier_wait -1
	s_and_saveexec_b32 s60, s46
	s_cbranch_execz .LBB8_309
; %bb.308:                              ;   in Loop: Header=BB8_3 Depth=1
	ds_load_b32 v24, v32 offset:64
	s_wait_dscnt 0x0
	ds_store_b32 v33, v24 offset:4096
	ds_load_b32 v24, v32 offset:68
	s_wait_dscnt 0x0
	ds_store_b32 v33, v24 offset:4352
	;; [unrolled: 3-line block ×16, first 2 shown]
.LBB8_309:                              ;   in Loop: Header=BB8_3 Depth=1
	s_or_b32 exec_lo, exec_lo, s60
	s_wait_dscnt 0x0
	s_barrier_signal -1
	s_barrier_wait -1
	s_and_saveexec_b32 s50, s11
	s_cbranch_execz .LBB8_311
; %bb.310:                              ;   in Loop: Header=BB8_3 Depth=1
	ds_load_b32 v24, v7 offset:4164
	ds_store_b32 v7, v25 offset:4160
	s_wait_dscnt 0x1
	ds_store_b64 v7, v[24:25] offset:4416
.LBB8_311:                              ;   in Loop: Header=BB8_3 Depth=1
	s_or_b32 exec_lo, exec_lo, s50
	v_mov_b32_e32 v24, 0
	s_wait_dscnt 0x0
	s_barrier_signal -1
	s_barrier_wait -1
	s_and_saveexec_b32 s50, s0
	s_cbranch_execz .LBB8_315
; %bb.312:                              ;   in Loop: Header=BB8_3 Depth=1
	ds_load_b32 v24, v39 offset:4168
	ds_load_b32 v28, v40 offset:4160
	s_wait_dscnt 0x0
	v_fma_f32 v24, v24, v28, 0
	s_and_saveexec_b32 s51, s12
	s_cbranch_execz .LBB8_314
; %bb.313:                              ;   in Loop: Header=BB8_3 Depth=1
	ds_load_b32 v28, v5 offset:4424
	ds_load_b32 v29, v7 offset:4164
	s_wait_dscnt 0x0
	v_fmac_f32_e32 v24, v28, v29
.LBB8_314:                              ;   in Loop: Header=BB8_3 Depth=1
	s_or_b32 exec_lo, exec_lo, s51
	s_delay_alu instid0(VALU_DEP_1)
	v_xor_b32_e32 v24, 0x80000000, v24
.LBB8_315:                              ;   in Loop: Header=BB8_3 Depth=1
	s_or_b32 exec_lo, exec_lo, s50
	s_and_saveexec_b32 s50, s92
; %bb.316:                              ;   in Loop: Header=BB8_3 Depth=1
	ds_store_b32 v37, v24
; %bb.317:                              ;   in Loop: Header=BB8_3 Depth=1
	s_or_b32 exec_lo, exec_lo, s50
	s_wait_dscnt 0x0
	s_barrier_signal -1
	s_barrier_wait -1
	s_and_saveexec_b32 s50, s93
	s_cbranch_execz .LBB8_319
; %bb.318:                              ;   in Loop: Header=BB8_3 Depth=1
	ds_load_b32 v28, v7 offset:4684
	ds_load_b32 v29, v37
	s_wait_dscnt 0x0
	v_fmac_f32_e32 v24, v28, v29
.LBB8_319:                              ;   in Loop: Header=BB8_3 Depth=1
	s_or_b32 exec_lo, exec_lo, s50
	s_barrier_signal -1
	s_barrier_wait -1
	s_and_saveexec_b32 s50, s93
; %bb.320:                              ;   in Loop: Header=BB8_3 Depth=1
	ds_store_b32 v37, v24
; %bb.321:                              ;   in Loop: Header=BB8_3 Depth=1
	s_or_b32 exec_lo, exec_lo, s50
	s_wait_dscnt 0x0
	s_barrier_signal -1
	s_barrier_wait -1
	s_barrier_signal -1
	s_barrier_wait -1
	s_and_saveexec_b32 s50, s0
; %bb.322:                              ;   in Loop: Header=BB8_3 Depth=1
	v_xor_b32_e32 v24, 0x80000000, v24
	ds_store_b32 v39, v24 offset:4168
; %bb.323:                              ;   in Loop: Header=BB8_3 Depth=1
	s_or_b32 exec_lo, exec_lo, s50
	s_wait_dscnt 0x0
	s_barrier_signal -1
	s_barrier_wait -1
	s_barrier_signal -1
	s_barrier_wait -1
	s_and_saveexec_b32 s50, s94
	s_cbranch_execz .LBB8_325
; %bb.324:                              ;   in Loop: Header=BB8_3 Depth=1
	ds_load_b32 v24, v32 offset:4168
	s_wait_dscnt 0x0
	ds_store_b32 v5, v24 offset:4672
	ds_load_b32 v24, v32 offset:4172
	s_wait_dscnt 0x0
	ds_store_b32 v5, v24 offset:4928
.LBB8_325:                              ;   in Loop: Header=BB8_3 Depth=1
	s_or_b32 exec_lo, exec_lo, s50
	s_wait_dscnt 0x0
	s_barrier_signal -1
	s_barrier_wait -1
	s_and_saveexec_b32 s50, s11
	s_cbranch_execz .LBB8_327
; %bb.326:                              ;   in Loop: Header=BB8_3 Depth=1
	ds_load_b32 v24, v7 offset:4684
	ds_store_b32 v7, v25 offset:4680
	s_wait_dscnt 0x1
	ds_store_b64 v7, v[24:25] offset:4936
.LBB8_327:                              ;   in Loop: Header=BB8_3 Depth=1
	s_or_b32 exec_lo, exec_lo, s50
	v_mov_b32_e32 v24, 0
	s_wait_dscnt 0x0
	s_barrier_signal -1
	s_barrier_wait -1
	s_and_saveexec_b32 s61, s2
	s_cbranch_execz .LBB8_333
; %bb.328:                              ;   in Loop: Header=BB8_3 Depth=1
	ds_load_b32 v24, v48 offset:4176
	ds_load_b32 v28, v41 offset:4160
	s_wait_dscnt 0x0
	v_fma_f32 v24, v24, v28, 0
	s_and_saveexec_b32 s50, s13
	s_cbranch_execnz .LBB8_1189
; %bb.329:                              ;   in Loop: Header=BB8_3 Depth=1
	s_or_b32 exec_lo, exec_lo, s50
	s_and_saveexec_b32 s50, s14
	s_cbranch_execnz .LBB8_1190
.LBB8_330:                              ;   in Loop: Header=BB8_3 Depth=1
	s_or_b32 exec_lo, exec_lo, s50
	s_and_saveexec_b32 s50, s0
	s_cbranch_execz .LBB8_332
.LBB8_331:                              ;   in Loop: Header=BB8_3 Depth=1
	ds_load_b32 v28, v33 offset:4944
	ds_load_b32 v29, v7 offset:4172
	s_wait_dscnt 0x0
	v_fmac_f32_e32 v24, v28, v29
.LBB8_332:                              ;   in Loop: Header=BB8_3 Depth=1
	s_or_b32 exec_lo, exec_lo, s50
	s_delay_alu instid0(VALU_DEP_1)
	v_xor_b32_e32 v24, 0x80000000, v24
.LBB8_333:                              ;   in Loop: Header=BB8_3 Depth=1
	s_or_b32 exec_lo, exec_lo, s61
	s_and_saveexec_b32 s50, s95
; %bb.334:                              ;   in Loop: Header=BB8_3 Depth=1
	ds_store_b32 v47, v24
; %bb.335:                              ;   in Loop: Header=BB8_3 Depth=1
	s_or_b32 exec_lo, exec_lo, s50
	s_wait_dscnt 0x0
	s_barrier_signal -1
	s_barrier_wait -1
	s_and_saveexec_b32 s50, s96
	s_cbranch_execz .LBB8_337
; %bb.336:                              ;   in Loop: Header=BB8_3 Depth=1
	ds_load_b32 v28, v45 offset:5200
	ds_load_b32 v29, v47
	s_wait_dscnt 0x0
	v_fmac_f32_e32 v24, v28, v29
.LBB8_337:                              ;   in Loop: Header=BB8_3 Depth=1
	s_or_b32 exec_lo, exec_lo, s50
	s_barrier_signal -1
	s_barrier_wait -1
	s_and_saveexec_b32 s50, s97
; %bb.338:                              ;   in Loop: Header=BB8_3 Depth=1
	ds_store_b32 v47, v24
; %bb.339:                              ;   in Loop: Header=BB8_3 Depth=1
	s_or_b32 exec_lo, exec_lo, s50
	s_wait_dscnt 0x0
	s_barrier_signal -1
	s_barrier_wait -1
	s_and_saveexec_b32 s50, s98
	s_cbranch_execz .LBB8_341
; %bb.340:                              ;   in Loop: Header=BB8_3 Depth=1
	ds_load_b32 v28, v45 offset:5456
	ds_load_b32 v29, v47
	s_wait_dscnt 0x0
	v_fmac_f32_e32 v24, v28, v29
.LBB8_341:                              ;   in Loop: Header=BB8_3 Depth=1
	s_or_b32 exec_lo, exec_lo, s50
	s_barrier_signal -1
	s_barrier_wait -1
	;; [unrolled: 19-line block ×3, first 2 shown]
	s_and_saveexec_b32 s50, s100
; %bb.346:                              ;   in Loop: Header=BB8_3 Depth=1
	ds_store_b32 v47, v24
; %bb.347:                              ;   in Loop: Header=BB8_3 Depth=1
	s_or_b32 exec_lo, exec_lo, s50
	s_wait_dscnt 0x0
	s_barrier_signal -1
	s_barrier_wait -1
	s_barrier_signal -1
	s_barrier_wait -1
	s_and_saveexec_b32 s50, s2
; %bb.348:                              ;   in Loop: Header=BB8_3 Depth=1
	v_xor_b32_e32 v24, 0x80000000, v24
	ds_store_b32 v48, v24 offset:4176
; %bb.349:                              ;   in Loop: Header=BB8_3 Depth=1
	s_or_b32 exec_lo, exec_lo, s50
	s_wait_dscnt 0x0
	s_barrier_signal -1
	s_barrier_wait -1
	s_barrier_signal -1
	s_barrier_wait -1
	s_and_saveexec_b32 s50, s101
	s_cbranch_execz .LBB8_351
; %bb.350:                              ;   in Loop: Header=BB8_3 Depth=1
	ds_load_b32 v24, v34 offset:4176
	s_wait_dscnt 0x0
	ds_store_b32 v35, v24 offset:5184
	ds_load_b32 v24, v34 offset:4180
	s_wait_dscnt 0x0
	ds_store_b32 v35, v24 offset:5440
	;; [unrolled: 3-line block ×4, first 2 shown]
.LBB8_351:                              ;   in Loop: Header=BB8_3 Depth=1
	s_or_b32 exec_lo, exec_lo, s50
	s_wait_dscnt 0x0
	s_barrier_signal -1
	s_barrier_wait -1
	s_and_saveexec_b32 s50, s11
	s_cbranch_execz .LBB8_353
; %bb.352:                              ;   in Loop: Header=BB8_3 Depth=1
	ds_load_b32 v24, v7 offset:5204
	ds_store_b32 v7, v25 offset:5200
	s_wait_dscnt 0x1
	ds_store_b64 v7, v[24:25] offset:5456
.LBB8_353:                              ;   in Loop: Header=BB8_3 Depth=1
	s_or_b32 exec_lo, exec_lo, s50
	v_mov_b32_e32 v24, 0
	s_wait_dscnt 0x0
	s_barrier_signal -1
	s_barrier_wait -1
	s_and_saveexec_b32 s50, s0
	s_cbranch_execz .LBB8_357
; %bb.354:                              ;   in Loop: Header=BB8_3 Depth=1
	ds_load_b32 v24, v39 offset:5208
	ds_load_b32 v28, v40 offset:5200
	s_wait_dscnt 0x0
	v_fma_f32 v24, v24, v28, 0
	s_and_saveexec_b32 s51, s12
	s_cbranch_execz .LBB8_356
; %bb.355:                              ;   in Loop: Header=BB8_3 Depth=1
	ds_load_b32 v28, v35 offset:5464
	ds_load_b32 v29, v7 offset:5204
	s_wait_dscnt 0x0
	v_fmac_f32_e32 v24, v28, v29
.LBB8_356:                              ;   in Loop: Header=BB8_3 Depth=1
	s_or_b32 exec_lo, exec_lo, s51
	s_delay_alu instid0(VALU_DEP_1)
	v_xor_b32_e32 v24, 0x80000000, v24
.LBB8_357:                              ;   in Loop: Header=BB8_3 Depth=1
	s_or_b32 exec_lo, exec_lo, s50
	s_and_saveexec_b32 s50, s92
; %bb.358:                              ;   in Loop: Header=BB8_3 Depth=1
	ds_store_b32 v37, v24
; %bb.359:                              ;   in Loop: Header=BB8_3 Depth=1
	s_or_b32 exec_lo, exec_lo, s50
	s_wait_dscnt 0x0
	s_barrier_signal -1
	s_barrier_wait -1
	s_and_saveexec_b32 s50, s93
	s_cbranch_execz .LBB8_361
; %bb.360:                              ;   in Loop: Header=BB8_3 Depth=1
	ds_load_b32 v28, v7 offset:5724
	ds_load_b32 v29, v37
	s_wait_dscnt 0x0
	v_fmac_f32_e32 v24, v28, v29
.LBB8_361:                              ;   in Loop: Header=BB8_3 Depth=1
	s_or_b32 exec_lo, exec_lo, s50
	s_barrier_signal -1
	s_barrier_wait -1
	s_and_saveexec_b32 s50, s93
; %bb.362:                              ;   in Loop: Header=BB8_3 Depth=1
	ds_store_b32 v37, v24
; %bb.363:                              ;   in Loop: Header=BB8_3 Depth=1
	s_or_b32 exec_lo, exec_lo, s50
	s_wait_dscnt 0x0
	s_barrier_signal -1
	s_barrier_wait -1
	s_barrier_signal -1
	s_barrier_wait -1
	s_and_saveexec_b32 s50, s0
; %bb.364:                              ;   in Loop: Header=BB8_3 Depth=1
	v_xor_b32_e32 v24, 0x80000000, v24
	ds_store_b32 v39, v24 offset:5208
; %bb.365:                              ;   in Loop: Header=BB8_3 Depth=1
	s_or_b32 exec_lo, exec_lo, s50
	s_wait_dscnt 0x0
	s_barrier_signal -1
	s_barrier_wait -1
	s_barrier_signal -1
	s_barrier_wait -1
	s_and_saveexec_b32 s50, s94
	s_cbranch_execz .LBB8_367
; %bb.366:                              ;   in Loop: Header=BB8_3 Depth=1
	ds_load_b32 v24, v36 offset:5208
	s_wait_dscnt 0x0
	ds_store_b32 v35, v24 offset:5712
	ds_load_b32 v24, v36 offset:5212
	s_wait_dscnt 0x0
	ds_store_b32 v35, v24 offset:5968
.LBB8_367:                              ;   in Loop: Header=BB8_3 Depth=1
	s_or_b32 exec_lo, exec_lo, s50
	s_wait_dscnt 0x0
	s_barrier_signal -1
	s_barrier_wait -1
	s_and_saveexec_b32 s50, s11
	s_cbranch_execz .LBB8_369
; %bb.368:                              ;   in Loop: Header=BB8_3 Depth=1
	ds_load_b32 v24, v7 offset:5724
	ds_store_b32 v7, v25 offset:5720
	s_wait_dscnt 0x1
	ds_store_b64 v7, v[24:25] offset:5976
.LBB8_369:                              ;   in Loop: Header=BB8_3 Depth=1
	s_or_b32 exec_lo, exec_lo, s50
	v_mov_b32_e32 v24, 0
	s_wait_dscnt 0x0
	s_barrier_signal -1
	s_barrier_wait -1
	s_and_saveexec_b32 s61, s3
	s_cbranch_execz .LBB8_379
; %bb.370:                              ;   in Loop: Header=BB8_3 Depth=1
	ds_load_b32 v24, v55 offset:4192
	ds_load_b32 v28, v51 offset:4160
	s_wait_dscnt 0x0
	v_fma_f32 v24, v24, v28, 0
	s_and_saveexec_b32 s50, s15
	s_cbranch_execnz .LBB8_1191
; %bb.371:                              ;   in Loop: Header=BB8_3 Depth=1
	s_or_b32 exec_lo, exec_lo, s50
	s_and_saveexec_b32 s50, s16
	s_cbranch_execnz .LBB8_1192
.LBB8_372:                              ;   in Loop: Header=BB8_3 Depth=1
	s_or_b32 exec_lo, exec_lo, s50
	s_and_saveexec_b32 s50, s17
	s_cbranch_execnz .LBB8_1193
.LBB8_373:                              ;   in Loop: Header=BB8_3 Depth=1
	s_or_b32 exec_lo, exec_lo, s50
	s_and_saveexec_b32 s50, s18
	s_cbranch_execnz .LBB8_1194
.LBB8_374:                              ;   in Loop: Header=BB8_3 Depth=1
	s_or_b32 exec_lo, exec_lo, s50
	s_and_saveexec_b32 s50, s19
	s_cbranch_execnz .LBB8_1195
.LBB8_375:                              ;   in Loop: Header=BB8_3 Depth=1
	s_or_b32 exec_lo, exec_lo, s50
	s_and_saveexec_b32 s50, s2
	s_cbranch_execnz .LBB8_1196
.LBB8_376:                              ;   in Loop: Header=BB8_3 Depth=1
	s_or_b32 exec_lo, exec_lo, s50
	s_and_saveexec_b32 s50, s14
	s_cbranch_execz .LBB8_378
.LBB8_377:                              ;   in Loop: Header=BB8_3 Depth=1
	ds_load_b32 v28, v38 offset:5984
	ds_load_b32 v29, v7 offset:4188
	s_wait_dscnt 0x0
	v_fmac_f32_e32 v24, v28, v29
.LBB8_378:                              ;   in Loop: Header=BB8_3 Depth=1
	s_or_b32 exec_lo, exec_lo, s50
	s_delay_alu instid0(VALU_DEP_1)
	v_xor_b32_e32 v24, 0x80000000, v24
.LBB8_379:                              ;   in Loop: Header=BB8_3 Depth=1
	s_or_b32 exec_lo, exec_lo, s61
	s_and_saveexec_b32 s50, s102
; %bb.380:                              ;   in Loop: Header=BB8_3 Depth=1
	ds_store_b32 v54, v24
; %bb.381:                              ;   in Loop: Header=BB8_3 Depth=1
	s_or_b32 exec_lo, exec_lo, s50
	s_wait_dscnt 0x0
	s_barrier_signal -1
	s_barrier_wait -1
	s_and_saveexec_b32 s50, s103
	s_cbranch_execz .LBB8_383
; %bb.382:                              ;   in Loop: Header=BB8_3 Depth=1
	ds_load_b32 v28, v52 offset:6240
	ds_load_b32 v29, v54
	s_wait_dscnt 0x0
	v_fmac_f32_e32 v24, v28, v29
.LBB8_383:                              ;   in Loop: Header=BB8_3 Depth=1
	s_or_b32 exec_lo, exec_lo, s50
	s_barrier_signal -1
	s_barrier_wait -1
	s_and_saveexec_b32 s50, s104
; %bb.384:                              ;   in Loop: Header=BB8_3 Depth=1
	ds_store_b32 v54, v24
; %bb.385:                              ;   in Loop: Header=BB8_3 Depth=1
	s_or_b32 exec_lo, exec_lo, s50
	s_wait_dscnt 0x0
	s_barrier_signal -1
	s_barrier_wait -1
	s_and_saveexec_b32 s50, vcc_hi
	s_cbranch_execz .LBB8_387
; %bb.386:                              ;   in Loop: Header=BB8_3 Depth=1
	ds_load_b32 v28, v52 offset:6496
	ds_load_b32 v29, v54
	s_wait_dscnt 0x0
	v_fmac_f32_e32 v24, v28, v29
.LBB8_387:                              ;   in Loop: Header=BB8_3 Depth=1
	s_or_b32 exec_lo, exec_lo, s50
	s_barrier_signal -1
	s_barrier_wait -1
	s_and_saveexec_b32 s50, s31
; %bb.388:                              ;   in Loop: Header=BB8_3 Depth=1
	ds_store_b32 v54, v24
; %bb.389:                              ;   in Loop: Header=BB8_3 Depth=1
	s_or_b32 exec_lo, exec_lo, s50
	s_wait_dscnt 0x0
	s_barrier_signal -1
	s_barrier_wait -1
	s_and_saveexec_b32 s50, s33
	s_cbranch_execz .LBB8_391
; %bb.390:                              ;   in Loop: Header=BB8_3 Depth=1
	ds_load_b32 v28, v52 offset:6752
	ds_load_b32 v29, v54
	s_wait_dscnt 0x0
	v_fmac_f32_e32 v24, v28, v29
.LBB8_391:                              ;   in Loop: Header=BB8_3 Depth=1
	s_or_b32 exec_lo, exec_lo, s50
	s_barrier_signal -1
	s_barrier_wait -1
	s_and_saveexec_b32 s50, s34
; %bb.392:                              ;   in Loop: Header=BB8_3 Depth=1
	ds_store_b32 v54, v24
; %bb.393:                              ;   in Loop: Header=BB8_3 Depth=1
	s_or_b32 exec_lo, exec_lo, s50
	s_wait_dscnt 0x0
	s_barrier_signal -1
	s_barrier_wait -1
	s_and_saveexec_b32 s50, s35
	;; [unrolled: 19-line block ×5, first 2 shown]
	s_cbranch_execz .LBB8_407
; %bb.406:                              ;   in Loop: Header=BB8_3 Depth=1
	ds_load_b32 v28, v7 offset:7804
	ds_load_b32 v29, v54
	s_wait_dscnt 0x0
	v_fmac_f32_e32 v24, v28, v29
.LBB8_407:                              ;   in Loop: Header=BB8_3 Depth=1
	s_or_b32 exec_lo, exec_lo, s50
	s_barrier_signal -1
	s_barrier_wait -1
	s_and_saveexec_b32 s50, s41
; %bb.408:                              ;   in Loop: Header=BB8_3 Depth=1
	ds_store_b32 v54, v24
; %bb.409:                              ;   in Loop: Header=BB8_3 Depth=1
	s_or_b32 exec_lo, exec_lo, s50
	s_wait_dscnt 0x0
	s_barrier_signal -1
	s_barrier_wait -1
	s_barrier_signal -1
	s_barrier_wait -1
	s_and_saveexec_b32 s50, s3
; %bb.410:                              ;   in Loop: Header=BB8_3 Depth=1
	v_xor_b32_e32 v24, 0x80000000, v24
	ds_store_b32 v55, v24 offset:4192
; %bb.411:                              ;   in Loop: Header=BB8_3 Depth=1
	s_or_b32 exec_lo, exec_lo, s50
	s_wait_dscnt 0x0
	s_barrier_signal -1
	s_barrier_wait -1
	s_barrier_signal -1
	s_barrier_wait -1
	s_and_saveexec_b32 s50, s42
	s_cbranch_execz .LBB8_413
; %bb.412:                              ;   in Loop: Header=BB8_3 Depth=1
	ds_load_b32 v24, v42 offset:4192
	s_wait_dscnt 0x0
	ds_store_b32 v46, v24 offset:6208
	ds_load_b32 v24, v42 offset:4196
	s_wait_dscnt 0x0
	ds_store_b32 v46, v24 offset:6464
	;; [unrolled: 3-line block ×8, first 2 shown]
.LBB8_413:                              ;   in Loop: Header=BB8_3 Depth=1
	s_or_b32 exec_lo, exec_lo, s50
	s_wait_dscnt 0x0
	s_barrier_signal -1
	s_barrier_wait -1
	s_and_saveexec_b32 s50, s11
	s_cbranch_execz .LBB8_415
; %bb.414:                              ;   in Loop: Header=BB8_3 Depth=1
	ds_load_b32 v24, v7 offset:6244
	ds_store_b32 v7, v25 offset:6240
	s_wait_dscnt 0x1
	ds_store_b64 v7, v[24:25] offset:6496
.LBB8_415:                              ;   in Loop: Header=BB8_3 Depth=1
	s_or_b32 exec_lo, exec_lo, s50
	v_mov_b32_e32 v24, 0
	s_wait_dscnt 0x0
	s_barrier_signal -1
	s_barrier_wait -1
	s_and_saveexec_b32 s50, s0
	s_cbranch_execz .LBB8_419
; %bb.416:                              ;   in Loop: Header=BB8_3 Depth=1
	ds_load_b32 v24, v39 offset:6248
	ds_load_b32 v28, v40 offset:6240
	s_wait_dscnt 0x0
	v_fma_f32 v24, v24, v28, 0
	s_and_saveexec_b32 s51, s12
	s_cbranch_execz .LBB8_418
; %bb.417:                              ;   in Loop: Header=BB8_3 Depth=1
	ds_load_b32 v28, v46 offset:6504
	ds_load_b32 v29, v7 offset:6244
	s_wait_dscnt 0x0
	v_fmac_f32_e32 v24, v28, v29
.LBB8_418:                              ;   in Loop: Header=BB8_3 Depth=1
	s_or_b32 exec_lo, exec_lo, s51
	s_delay_alu instid0(VALU_DEP_1)
	v_xor_b32_e32 v24, 0x80000000, v24
.LBB8_419:                              ;   in Loop: Header=BB8_3 Depth=1
	s_or_b32 exec_lo, exec_lo, s50
	s_and_saveexec_b32 s50, s92
; %bb.420:                              ;   in Loop: Header=BB8_3 Depth=1
	ds_store_b32 v37, v24
; %bb.421:                              ;   in Loop: Header=BB8_3 Depth=1
	s_or_b32 exec_lo, exec_lo, s50
	s_wait_dscnt 0x0
	s_barrier_signal -1
	s_barrier_wait -1
	s_and_saveexec_b32 s50, s93
	s_cbranch_execz .LBB8_423
; %bb.422:                              ;   in Loop: Header=BB8_3 Depth=1
	ds_load_b32 v28, v7 offset:6764
	ds_load_b32 v29, v37
	s_wait_dscnt 0x0
	v_fmac_f32_e32 v24, v28, v29
.LBB8_423:                              ;   in Loop: Header=BB8_3 Depth=1
	s_or_b32 exec_lo, exec_lo, s50
	s_barrier_signal -1
	s_barrier_wait -1
	s_and_saveexec_b32 s50, s93
; %bb.424:                              ;   in Loop: Header=BB8_3 Depth=1
	ds_store_b32 v37, v24
; %bb.425:                              ;   in Loop: Header=BB8_3 Depth=1
	s_or_b32 exec_lo, exec_lo, s50
	s_wait_dscnt 0x0
	s_barrier_signal -1
	s_barrier_wait -1
	s_barrier_signal -1
	s_barrier_wait -1
	s_and_saveexec_b32 s50, s0
; %bb.426:                              ;   in Loop: Header=BB8_3 Depth=1
	v_xor_b32_e32 v24, 0x80000000, v24
	ds_store_b32 v39, v24 offset:6248
; %bb.427:                              ;   in Loop: Header=BB8_3 Depth=1
	s_or_b32 exec_lo, exec_lo, s50
	s_wait_dscnt 0x0
	s_barrier_signal -1
	s_barrier_wait -1
	s_barrier_signal -1
	s_barrier_wait -1
	s_and_saveexec_b32 s50, s94
	s_cbranch_execz .LBB8_429
; %bb.428:                              ;   in Loop: Header=BB8_3 Depth=1
	ds_load_b32 v24, v50 offset:6248
	s_wait_dscnt 0x0
	ds_store_b32 v46, v24 offset:6752
	ds_load_b32 v24, v50 offset:6252
	s_wait_dscnt 0x0
	ds_store_b32 v46, v24 offset:7008
.LBB8_429:                              ;   in Loop: Header=BB8_3 Depth=1
	s_or_b32 exec_lo, exec_lo, s50
	s_wait_dscnt 0x0
	s_barrier_signal -1
	s_barrier_wait -1
	s_and_saveexec_b32 s50, s11
	s_cbranch_execz .LBB8_431
; %bb.430:                              ;   in Loop: Header=BB8_3 Depth=1
	ds_load_b32 v24, v7 offset:6764
	ds_store_b32 v7, v25 offset:6760
	s_wait_dscnt 0x1
	ds_store_b64 v7, v[24:25] offset:7016
.LBB8_431:                              ;   in Loop: Header=BB8_3 Depth=1
	s_or_b32 exec_lo, exec_lo, s50
	v_mov_b32_e32 v24, 0
	s_wait_dscnt 0x0
	s_barrier_signal -1
	s_barrier_wait -1
	s_and_saveexec_b32 s61, s2
	s_cbranch_execz .LBB8_437
; %bb.432:                              ;   in Loop: Header=BB8_3 Depth=1
	ds_load_b32 v24, v48 offset:6256
	ds_load_b32 v28, v41 offset:6240
	s_wait_dscnt 0x0
	v_fma_f32 v24, v24, v28, 0
	s_and_saveexec_b32 s50, s13
	s_cbranch_execnz .LBB8_1197
; %bb.433:                              ;   in Loop: Header=BB8_3 Depth=1
	s_or_b32 exec_lo, exec_lo, s50
	s_and_saveexec_b32 s50, s14
	s_cbranch_execnz .LBB8_1198
.LBB8_434:                              ;   in Loop: Header=BB8_3 Depth=1
	s_or_b32 exec_lo, exec_lo, s50
	s_and_saveexec_b32 s50, s0
	s_cbranch_execz .LBB8_436
.LBB8_435:                              ;   in Loop: Header=BB8_3 Depth=1
	ds_load_b32 v28, v53 offset:7024
	ds_load_b32 v29, v7 offset:6252
	s_wait_dscnt 0x0
	v_fmac_f32_e32 v24, v28, v29
.LBB8_436:                              ;   in Loop: Header=BB8_3 Depth=1
	s_or_b32 exec_lo, exec_lo, s50
	s_delay_alu instid0(VALU_DEP_1)
	v_xor_b32_e32 v24, 0x80000000, v24
.LBB8_437:                              ;   in Loop: Header=BB8_3 Depth=1
	s_or_b32 exec_lo, exec_lo, s61
	s_and_saveexec_b32 s50, s95
; %bb.438:                              ;   in Loop: Header=BB8_3 Depth=1
	ds_store_b32 v47, v24
; %bb.439:                              ;   in Loop: Header=BB8_3 Depth=1
	s_or_b32 exec_lo, exec_lo, s50
	s_wait_dscnt 0x0
	s_barrier_signal -1
	s_barrier_wait -1
	s_and_saveexec_b32 s50, s96
	s_cbranch_execz .LBB8_441
; %bb.440:                              ;   in Loop: Header=BB8_3 Depth=1
	ds_load_b32 v28, v45 offset:7280
	ds_load_b32 v29, v47
	s_wait_dscnt 0x0
	v_fmac_f32_e32 v24, v28, v29
.LBB8_441:                              ;   in Loop: Header=BB8_3 Depth=1
	s_or_b32 exec_lo, exec_lo, s50
	s_barrier_signal -1
	s_barrier_wait -1
	s_and_saveexec_b32 s50, s97
; %bb.442:                              ;   in Loop: Header=BB8_3 Depth=1
	ds_store_b32 v47, v24
; %bb.443:                              ;   in Loop: Header=BB8_3 Depth=1
	s_or_b32 exec_lo, exec_lo, s50
	s_wait_dscnt 0x0
	s_barrier_signal -1
	s_barrier_wait -1
	s_and_saveexec_b32 s50, s98
	s_cbranch_execz .LBB8_445
; %bb.444:                              ;   in Loop: Header=BB8_3 Depth=1
	ds_load_b32 v28, v45 offset:7536
	ds_load_b32 v29, v47
	s_wait_dscnt 0x0
	v_fmac_f32_e32 v24, v28, v29
.LBB8_445:                              ;   in Loop: Header=BB8_3 Depth=1
	s_or_b32 exec_lo, exec_lo, s50
	s_barrier_signal -1
	s_barrier_wait -1
	;; [unrolled: 19-line block ×3, first 2 shown]
	s_and_saveexec_b32 s50, s100
; %bb.450:                              ;   in Loop: Header=BB8_3 Depth=1
	ds_store_b32 v47, v24
; %bb.451:                              ;   in Loop: Header=BB8_3 Depth=1
	s_or_b32 exec_lo, exec_lo, s50
	s_wait_dscnt 0x0
	s_barrier_signal -1
	s_barrier_wait -1
	s_barrier_signal -1
	s_barrier_wait -1
	s_and_saveexec_b32 s50, s2
; %bb.452:                              ;   in Loop: Header=BB8_3 Depth=1
	v_xor_b32_e32 v24, 0x80000000, v24
	ds_store_b32 v48, v24 offset:6256
; %bb.453:                              ;   in Loop: Header=BB8_3 Depth=1
	s_or_b32 exec_lo, exec_lo, s50
	s_wait_dscnt 0x0
	s_barrier_signal -1
	s_barrier_wait -1
	s_barrier_signal -1
	s_barrier_wait -1
	s_and_saveexec_b32 s50, s101
	s_cbranch_execz .LBB8_455
; %bb.454:                              ;   in Loop: Header=BB8_3 Depth=1
	ds_load_b32 v24, v56 offset:6256
	s_wait_dscnt 0x0
	ds_store_b32 v59, v24 offset:7264
	ds_load_b32 v24, v56 offset:6260
	s_wait_dscnt 0x0
	ds_store_b32 v59, v24 offset:7520
	;; [unrolled: 3-line block ×4, first 2 shown]
.LBB8_455:                              ;   in Loop: Header=BB8_3 Depth=1
	s_or_b32 exec_lo, exec_lo, s50
	s_wait_dscnt 0x0
	s_barrier_signal -1
	s_barrier_wait -1
	s_and_saveexec_b32 s50, s11
	s_cbranch_execz .LBB8_457
; %bb.456:                              ;   in Loop: Header=BB8_3 Depth=1
	ds_load_b32 v24, v7 offset:7284
	ds_store_b32 v7, v25 offset:7280
	s_wait_dscnt 0x1
	ds_store_b64 v7, v[24:25] offset:7536
.LBB8_457:                              ;   in Loop: Header=BB8_3 Depth=1
	s_or_b32 exec_lo, exec_lo, s50
	v_mov_b32_e32 v24, 0
	s_wait_dscnt 0x0
	s_barrier_signal -1
	s_barrier_wait -1
	s_and_saveexec_b32 s50, s0
	s_cbranch_execz .LBB8_461
; %bb.458:                              ;   in Loop: Header=BB8_3 Depth=1
	ds_load_b32 v24, v39 offset:7288
	ds_load_b32 v28, v40 offset:7280
	s_wait_dscnt 0x0
	v_fma_f32 v24, v24, v28, 0
	s_and_saveexec_b32 s51, s12
	s_cbranch_execz .LBB8_460
; %bb.459:                              ;   in Loop: Header=BB8_3 Depth=1
	ds_load_b32 v28, v59 offset:7544
	ds_load_b32 v29, v7 offset:7284
	s_wait_dscnt 0x0
	v_fmac_f32_e32 v24, v28, v29
.LBB8_460:                              ;   in Loop: Header=BB8_3 Depth=1
	s_or_b32 exec_lo, exec_lo, s51
	s_delay_alu instid0(VALU_DEP_1)
	v_xor_b32_e32 v24, 0x80000000, v24
.LBB8_461:                              ;   in Loop: Header=BB8_3 Depth=1
	s_or_b32 exec_lo, exec_lo, s50
	s_and_saveexec_b32 s50, s92
; %bb.462:                              ;   in Loop: Header=BB8_3 Depth=1
	ds_store_b32 v37, v24
; %bb.463:                              ;   in Loop: Header=BB8_3 Depth=1
	s_or_b32 exec_lo, exec_lo, s50
	s_wait_dscnt 0x0
	s_barrier_signal -1
	s_barrier_wait -1
	s_and_saveexec_b32 s50, s93
	s_cbranch_execz .LBB8_465
; %bb.464:                              ;   in Loop: Header=BB8_3 Depth=1
	ds_load_b32 v28, v7 offset:7804
	ds_load_b32 v29, v37
	s_wait_dscnt 0x0
	v_fmac_f32_e32 v24, v28, v29
.LBB8_465:                              ;   in Loop: Header=BB8_3 Depth=1
	s_or_b32 exec_lo, exec_lo, s50
	s_barrier_signal -1
	s_barrier_wait -1
	s_and_saveexec_b32 s50, s93
; %bb.466:                              ;   in Loop: Header=BB8_3 Depth=1
	ds_store_b32 v37, v24
; %bb.467:                              ;   in Loop: Header=BB8_3 Depth=1
	s_or_b32 exec_lo, exec_lo, s50
	s_wait_dscnt 0x0
	s_barrier_signal -1
	s_barrier_wait -1
	s_barrier_signal -1
	s_barrier_wait -1
	s_and_saveexec_b32 s50, s0
; %bb.468:                              ;   in Loop: Header=BB8_3 Depth=1
	v_xor_b32_e32 v24, 0x80000000, v24
	ds_store_b32 v39, v24 offset:7288
; %bb.469:                              ;   in Loop: Header=BB8_3 Depth=1
	s_or_b32 exec_lo, exec_lo, s50
	s_wait_dscnt 0x0
	s_barrier_signal -1
	s_barrier_wait -1
	s_barrier_signal -1
	s_barrier_wait -1
	s_and_saveexec_b32 s50, s94
	s_cbranch_execz .LBB8_471
; %bb.470:                              ;   in Loop: Header=BB8_3 Depth=1
	v_add_nc_u32_e32 v24, v59, v44
	ds_load_b32 v28, v24 offset:7288
	s_wait_dscnt 0x0
	ds_store_b32 v59, v28 offset:7792
	ds_load_b32 v24, v24 offset:7292
	s_wait_dscnt 0x0
	ds_store_b32 v59, v24 offset:8048
.LBB8_471:                              ;   in Loop: Header=BB8_3 Depth=1
	s_or_b32 exec_lo, exec_lo, s50
	s_wait_dscnt 0x0
	s_barrier_signal -1
	s_barrier_wait -1
	s_and_saveexec_b32 s50, s11
	s_cbranch_execz .LBB8_473
; %bb.472:                              ;   in Loop: Header=BB8_3 Depth=1
	ds_load_b32 v24, v7 offset:7804
	ds_store_b32 v7, v25 offset:7800
	s_wait_dscnt 0x1
	ds_store_b64 v7, v[24:25] offset:8056
.LBB8_473:                              ;   in Loop: Header=BB8_3 Depth=1
	s_or_b32 exec_lo, exec_lo, s50
	v_mov_b32_e32 v24, 0
	s_wait_dscnt 0x0
	s_barrier_signal -1
	s_barrier_wait -1
	s_and_saveexec_b32 s82, s5
	s_cbranch_execz .LBB8_535
; %bb.474:                              ;   in Loop: Header=BB8_3 Depth=1
	v_add_nc_u32_e32 v28, v63, v62
	ds_load_b32 v24, v68 offset:128
	ds_load_b32 v29, v28
	s_wait_dscnt 0x0
	v_fma_f32 v24, v24, v29, 0
	s_mov_b32 s50, exec_lo
	v_readlane_b32 s51, v91, 31
	s_and_b32 s51, s50, s51
	s_delay_alu instid0(SALU_CYCLE_1)
	s_mov_b32 exec_lo, s51
	s_cbranch_execz .LBB8_476
; %bb.475:                              ;   in Loop: Header=BB8_3 Depth=1
	ds_load_b32 v29, v68 offset:384
	ds_load_b32 v31, v28 offset:4
	s_wait_dscnt 0x0
	v_fmac_f32_e32 v24, v29, v31
.LBB8_476:                              ;   in Loop: Header=BB8_3 Depth=1
	s_or_b32 exec_lo, exec_lo, s50
	s_delay_alu instid0(SALU_CYCLE_1) | instskip(SKIP_2) | instid1(SALU_CYCLE_1)
	s_mov_b32 s50, exec_lo
	v_readlane_b32 s51, v90, 0
	s_and_b32 s51, s50, s51
	s_mov_b32 exec_lo, s51
	s_cbranch_execz .LBB8_478
; %bb.477:                              ;   in Loop: Header=BB8_3 Depth=1
	ds_load_b32 v29, v68 offset:640
	ds_load_b32 v31, v28 offset:8
	s_wait_dscnt 0x0
	v_fmac_f32_e32 v24, v29, v31
.LBB8_478:                              ;   in Loop: Header=BB8_3 Depth=1
	s_or_b32 exec_lo, exec_lo, s50
	s_delay_alu instid0(SALU_CYCLE_1) | instskip(SKIP_2) | instid1(SALU_CYCLE_1)
	s_mov_b32 s50, exec_lo
	v_readlane_b32 s51, v90, 1
	s_and_b32 s51, s50, s51
	;; [unrolled: 13-line block ×22, first 2 shown]
	s_mov_b32 exec_lo, s51
	s_cbranch_execz .LBB8_520
; %bb.519:                              ;   in Loop: Header=BB8_3 Depth=1
	ds_load_b32 v29, v68 offset:6016
	ds_load_b32 v31, v28 offset:92
	s_wait_dscnt 0x0
	v_fmac_f32_e32 v24, v29, v31
.LBB8_520:                              ;   in Loop: Header=BB8_3 Depth=1
	s_or_b32 exec_lo, exec_lo, s50
	s_and_saveexec_b32 s50, s4
	s_cbranch_execz .LBB8_522
; %bb.521:                              ;   in Loop: Header=BB8_3 Depth=1
	ds_load_b32 v29, v68 offset:6272
	ds_load_b32 v31, v28 offset:96
	s_wait_dscnt 0x0
	v_fmac_f32_e32 v24, v29, v31
.LBB8_522:                              ;   in Loop: Header=BB8_3 Depth=1
	s_or_b32 exec_lo, exec_lo, s50
	s_delay_alu instid0(SALU_CYCLE_1) | instskip(SKIP_2) | instid1(SALU_CYCLE_1)
	s_mov_b32 s50, exec_lo
	v_readlane_b32 s51, v91, 21
	s_and_b32 s51, s50, s51
	s_mov_b32 exec_lo, s51
	s_cbranch_execz .LBB8_524
; %bb.523:                              ;   in Loop: Header=BB8_3 Depth=1
	ds_load_b32 v29, v68 offset:6528
	ds_load_b32 v31, v28 offset:100
	s_wait_dscnt 0x0
	v_fmac_f32_e32 v24, v29, v31
.LBB8_524:                              ;   in Loop: Header=BB8_3 Depth=1
	s_or_b32 exec_lo, exec_lo, s50
	s_delay_alu instid0(SALU_CYCLE_1) | instskip(SKIP_2) | instid1(SALU_CYCLE_1)
	s_mov_b32 s50, exec_lo
	v_readlane_b32 s51, v91, 23
	s_and_b32 s51, s50, s51
	s_mov_b32 exec_lo, s51
	;; [unrolled: 13-line block ×5, first 2 shown]
	s_cbranch_execnz .LBB8_1199
; %bb.531:                              ;   in Loop: Header=BB8_3 Depth=1
	s_or_b32 exec_lo, exec_lo, s50
	s_and_saveexec_b32 s50, s3
	s_cbranch_execnz .LBB8_1200
.LBB8_532:                              ;   in Loop: Header=BB8_3 Depth=1
	s_or_b32 exec_lo, exec_lo, s50
	s_and_saveexec_b32 s50, s18
	s_cbranch_execz .LBB8_534
.LBB8_533:                              ;   in Loop: Header=BB8_3 Depth=1
	ds_load_b32 v28, v5 offset:8064
	ds_load_b32 v29, v7 offset:124
	s_wait_dscnt 0x0
	v_fmac_f32_e32 v24, v28, v29
.LBB8_534:                              ;   in Loop: Header=BB8_3 Depth=1
	s_or_b32 exec_lo, exec_lo, s50
	s_delay_alu instid0(VALU_DEP_1)
	v_xor_b32_e32 v24, 0x80000000, v24
.LBB8_535:                              ;   in Loop: Header=BB8_3 Depth=1
	s_or_b32 exec_lo, exec_lo, s82
	s_delay_alu instid0(SALU_CYCLE_1) | instskip(SKIP_2) | instid1(SALU_CYCLE_1)
	s_mov_b32 s50, exec_lo
	v_readlane_b32 s51, v93, 12
	s_and_b32 s51, s50, s51
	s_mov_b32 exec_lo, s51
; %bb.536:                              ;   in Loop: Header=BB8_3 Depth=1
	ds_store_b32 v67, v24
; %bb.537:                              ;   in Loop: Header=BB8_3 Depth=1
	s_or_b32 exec_lo, exec_lo, s50
	s_wait_dscnt 0x0
	s_barrier_signal -1
	s_barrier_wait -1
	s_mov_b32 s50, exec_lo
	v_readlane_b32 s51, v93, 13
	s_and_b32 s51, s50, s51
	s_delay_alu instid0(SALU_CYCLE_1)
	s_mov_b32 exec_lo, s51
	s_cbranch_execz .LBB8_539
; %bb.538:                              ;   in Loop: Header=BB8_3 Depth=1
	ds_load_b32 v28, v64 offset:8320
	ds_load_b32 v29, v67
	s_wait_dscnt 0x0
	v_fmac_f32_e32 v24, v28, v29
.LBB8_539:                              ;   in Loop: Header=BB8_3 Depth=1
	s_or_b32 exec_lo, exec_lo, s50
	s_barrier_signal -1
	s_barrier_wait -1
	s_mov_b32 s50, exec_lo
	v_readlane_b32 s51, v93, 14
	s_and_b32 s51, s50, s51
	s_delay_alu instid0(SALU_CYCLE_1)
	s_mov_b32 exec_lo, s51
; %bb.540:                              ;   in Loop: Header=BB8_3 Depth=1
	ds_store_b32 v67, v24
; %bb.541:                              ;   in Loop: Header=BB8_3 Depth=1
	s_or_b32 exec_lo, exec_lo, s50
	s_wait_dscnt 0x0
	s_barrier_signal -1
	s_barrier_wait -1
	s_mov_b32 s50, exec_lo
	v_readlane_b32 s51, v93, 15
	s_and_b32 s51, s50, s51
	s_delay_alu instid0(SALU_CYCLE_1)
	s_mov_b32 exec_lo, s51
	s_cbranch_execz .LBB8_543
; %bb.542:                              ;   in Loop: Header=BB8_3 Depth=1
	ds_load_b32 v28, v64 offset:8576
	ds_load_b32 v29, v67
	s_wait_dscnt 0x0
	v_fmac_f32_e32 v24, v28, v29
.LBB8_543:                              ;   in Loop: Header=BB8_3 Depth=1
	s_or_b32 exec_lo, exec_lo, s50
	s_barrier_signal -1
	s_barrier_wait -1
	s_mov_b32 s50, exec_lo
	v_readlane_b32 s51, v93, 16
	s_and_b32 s51, s50, s51
	s_delay_alu instid0(SALU_CYCLE_1)
	;; [unrolled: 27-line block ×30, first 2 shown]
	s_mov_b32 exec_lo, s51
; %bb.656:                              ;   in Loop: Header=BB8_3 Depth=1
	ds_store_b32 v67, v24
; %bb.657:                              ;   in Loop: Header=BB8_3 Depth=1
	s_or_b32 exec_lo, exec_lo, s50
	s_wait_dscnt 0x0
	s_barrier_signal -1
	s_barrier_wait -1
	s_and_saveexec_b32 s50, s47
	s_cbranch_execz .LBB8_659
; %bb.658:                              ;   in Loop: Header=BB8_3 Depth=1
	ds_load_b32 v28, v7 offset:16124
	ds_load_b32 v29, v67
	s_wait_dscnt 0x0
	v_fmac_f32_e32 v24, v28, v29
.LBB8_659:                              ;   in Loop: Header=BB8_3 Depth=1
	s_or_b32 exec_lo, exec_lo, s50
	s_barrier_signal -1
	s_barrier_wait -1
	s_and_saveexec_b32 s50, s47
; %bb.660:                              ;   in Loop: Header=BB8_3 Depth=1
	ds_store_b32 v67, v24
; %bb.661:                              ;   in Loop: Header=BB8_3 Depth=1
	s_or_b32 exec_lo, exec_lo, s50
	s_wait_dscnt 0x0
	s_barrier_signal -1
	s_barrier_wait -1
	s_barrier_signal -1
	s_barrier_wait -1
	s_and_saveexec_b32 s50, s5
; %bb.662:                              ;   in Loop: Header=BB8_3 Depth=1
	v_xor_b32_e32 v24, 0x80000000, v24
	ds_store_b32 v68, v24 offset:128
; %bb.663:                              ;   in Loop: Header=BB8_3 Depth=1
	s_or_b32 exec_lo, exec_lo, s50
	s_wait_dscnt 0x0
	s_barrier_signal -1
	s_barrier_wait -1
	s_barrier_signal -1
	s_barrier_wait -1
	s_mov_b32 s61, exec_lo
	v_readlane_b32 s50, v91, 9
	s_and_b32 s50, s61, s50
	s_delay_alu instid0(SALU_CYCLE_1)
	s_mov_b32 exec_lo, s50
	s_cbranch_execz .LBB8_665
; %bb.664:                              ;   in Loop: Header=BB8_3 Depth=1
	ds_load_b32 v24, v43 offset:128
	s_wait_dscnt 0x0
	ds_store_b32 v69, v24 offset:8192
	ds_load_b32 v24, v43 offset:132
	s_wait_dscnt 0x0
	ds_store_b32 v69, v24 offset:8448
	;; [unrolled: 3-line block ×32, first 2 shown]
.LBB8_665:                              ;   in Loop: Header=BB8_3 Depth=1
	s_or_b32 exec_lo, exec_lo, s61
	s_wait_dscnt 0x0
	s_barrier_signal -1
	s_barrier_wait -1
	s_and_saveexec_b32 s50, s11
	s_cbranch_execz .LBB8_667
; %bb.666:                              ;   in Loop: Header=BB8_3 Depth=1
	ds_load_b32 v24, v7 offset:8324
	ds_store_b32 v7, v25 offset:8320
	s_wait_dscnt 0x1
	ds_store_b64 v7, v[24:25] offset:8576
.LBB8_667:                              ;   in Loop: Header=BB8_3 Depth=1
	s_or_b32 exec_lo, exec_lo, s50
	v_mov_b32_e32 v24, 0
	s_wait_dscnt 0x0
	s_barrier_signal -1
	s_barrier_wait -1
	s_and_saveexec_b32 s50, s0
	s_cbranch_execz .LBB8_671
; %bb.668:                              ;   in Loop: Header=BB8_3 Depth=1
	ds_load_b32 v24, v39 offset:8328
	ds_load_b32 v28, v40 offset:8320
	s_wait_dscnt 0x0
	v_fma_f32 v24, v24, v28, 0
	s_and_saveexec_b32 s51, s12
	s_cbranch_execz .LBB8_670
; %bb.669:                              ;   in Loop: Header=BB8_3 Depth=1
	ds_load_b32 v28, v5 offset:8584
	ds_load_b32 v29, v7 offset:8324
	s_wait_dscnt 0x0
	v_fmac_f32_e32 v24, v28, v29
.LBB8_670:                              ;   in Loop: Header=BB8_3 Depth=1
	s_or_b32 exec_lo, exec_lo, s51
	s_delay_alu instid0(VALU_DEP_1)
	v_xor_b32_e32 v24, 0x80000000, v24
.LBB8_671:                              ;   in Loop: Header=BB8_3 Depth=1
	s_or_b32 exec_lo, exec_lo, s50
	s_and_saveexec_b32 s50, s92
; %bb.672:                              ;   in Loop: Header=BB8_3 Depth=1
	ds_store_b32 v37, v24
; %bb.673:                              ;   in Loop: Header=BB8_3 Depth=1
	s_or_b32 exec_lo, exec_lo, s50
	s_wait_dscnt 0x0
	s_barrier_signal -1
	s_barrier_wait -1
	s_and_saveexec_b32 s50, s93
	s_cbranch_execz .LBB8_675
; %bb.674:                              ;   in Loop: Header=BB8_3 Depth=1
	ds_load_b32 v28, v7 offset:8844
	ds_load_b32 v29, v37
	s_wait_dscnt 0x0
	v_fmac_f32_e32 v24, v28, v29
.LBB8_675:                              ;   in Loop: Header=BB8_3 Depth=1
	s_or_b32 exec_lo, exec_lo, s50
	s_barrier_signal -1
	s_barrier_wait -1
	s_and_saveexec_b32 s50, s93
; %bb.676:                              ;   in Loop: Header=BB8_3 Depth=1
	ds_store_b32 v37, v24
; %bb.677:                              ;   in Loop: Header=BB8_3 Depth=1
	s_or_b32 exec_lo, exec_lo, s50
	s_wait_dscnt 0x0
	s_barrier_signal -1
	s_barrier_wait -1
	s_barrier_signal -1
	s_barrier_wait -1
	s_and_saveexec_b32 s50, s0
; %bb.678:                              ;   in Loop: Header=BB8_3 Depth=1
	v_xor_b32_e32 v24, 0x80000000, v24
	ds_store_b32 v39, v24 offset:8328
; %bb.679:                              ;   in Loop: Header=BB8_3 Depth=1
	s_or_b32 exec_lo, exec_lo, s50
	s_wait_dscnt 0x0
	s_barrier_signal -1
	s_barrier_wait -1
	s_barrier_signal -1
	s_barrier_wait -1
	s_and_saveexec_b32 s50, s94
	s_cbranch_execz .LBB8_681
; %bb.680:                              ;   in Loop: Header=BB8_3 Depth=1
	ds_load_b32 v24, v32 offset:8328
	s_wait_dscnt 0x0
	ds_store_b32 v5, v24 offset:8832
	ds_load_b32 v24, v32 offset:8332
	s_wait_dscnt 0x0
	ds_store_b32 v5, v24 offset:9088
.LBB8_681:                              ;   in Loop: Header=BB8_3 Depth=1
	s_or_b32 exec_lo, exec_lo, s50
	s_wait_dscnt 0x0
	s_barrier_signal -1
	s_barrier_wait -1
	s_and_saveexec_b32 s50, s11
	s_cbranch_execz .LBB8_683
; %bb.682:                              ;   in Loop: Header=BB8_3 Depth=1
	ds_load_b32 v24, v7 offset:8844
	ds_store_b32 v7, v25 offset:8840
	s_wait_dscnt 0x1
	ds_store_b64 v7, v[24:25] offset:9096
.LBB8_683:                              ;   in Loop: Header=BB8_3 Depth=1
	s_or_b32 exec_lo, exec_lo, s50
	v_mov_b32_e32 v24, 0
	s_wait_dscnt 0x0
	s_barrier_signal -1
	s_barrier_wait -1
	s_and_saveexec_b32 s61, s2
	s_cbranch_execz .LBB8_689
; %bb.684:                              ;   in Loop: Header=BB8_3 Depth=1
	ds_load_b32 v24, v48 offset:8336
	ds_load_b32 v28, v41 offset:8320
	s_wait_dscnt 0x0
	v_fma_f32 v24, v24, v28, 0
	s_and_saveexec_b32 s50, s13
	s_cbranch_execnz .LBB8_1201
; %bb.685:                              ;   in Loop: Header=BB8_3 Depth=1
	s_or_b32 exec_lo, exec_lo, s50
	s_and_saveexec_b32 s50, s14
	s_cbranch_execnz .LBB8_1202
.LBB8_686:                              ;   in Loop: Header=BB8_3 Depth=1
	s_or_b32 exec_lo, exec_lo, s50
	s_and_saveexec_b32 s50, s0
	s_cbranch_execz .LBB8_688
.LBB8_687:                              ;   in Loop: Header=BB8_3 Depth=1
	ds_load_b32 v28, v33 offset:9104
	ds_load_b32 v29, v7 offset:8332
	s_wait_dscnt 0x0
	v_fmac_f32_e32 v24, v28, v29
.LBB8_688:                              ;   in Loop: Header=BB8_3 Depth=1
	s_or_b32 exec_lo, exec_lo, s50
	s_delay_alu instid0(VALU_DEP_1)
	v_xor_b32_e32 v24, 0x80000000, v24
.LBB8_689:                              ;   in Loop: Header=BB8_3 Depth=1
	s_or_b32 exec_lo, exec_lo, s61
	s_and_saveexec_b32 s50, s95
; %bb.690:                              ;   in Loop: Header=BB8_3 Depth=1
	ds_store_b32 v47, v24
; %bb.691:                              ;   in Loop: Header=BB8_3 Depth=1
	s_or_b32 exec_lo, exec_lo, s50
	s_wait_dscnt 0x0
	s_barrier_signal -1
	s_barrier_wait -1
	s_and_saveexec_b32 s50, s96
	s_cbranch_execz .LBB8_693
; %bb.692:                              ;   in Loop: Header=BB8_3 Depth=1
	ds_load_b32 v28, v45 offset:9360
	ds_load_b32 v29, v47
	s_wait_dscnt 0x0
	v_fmac_f32_e32 v24, v28, v29
.LBB8_693:                              ;   in Loop: Header=BB8_3 Depth=1
	s_or_b32 exec_lo, exec_lo, s50
	s_barrier_signal -1
	s_barrier_wait -1
	s_and_saveexec_b32 s50, s97
; %bb.694:                              ;   in Loop: Header=BB8_3 Depth=1
	ds_store_b32 v47, v24
; %bb.695:                              ;   in Loop: Header=BB8_3 Depth=1
	s_or_b32 exec_lo, exec_lo, s50
	s_wait_dscnt 0x0
	s_barrier_signal -1
	s_barrier_wait -1
	s_and_saveexec_b32 s50, s98
	s_cbranch_execz .LBB8_697
; %bb.696:                              ;   in Loop: Header=BB8_3 Depth=1
	ds_load_b32 v28, v45 offset:9616
	ds_load_b32 v29, v47
	s_wait_dscnt 0x0
	v_fmac_f32_e32 v24, v28, v29
.LBB8_697:                              ;   in Loop: Header=BB8_3 Depth=1
	s_or_b32 exec_lo, exec_lo, s50
	s_barrier_signal -1
	s_barrier_wait -1
	s_and_saveexec_b32 s50, s99
; %bb.698:                              ;   in Loop: Header=BB8_3 Depth=1
	ds_store_b32 v47, v24
; %bb.699:                              ;   in Loop: Header=BB8_3 Depth=1
	s_or_b32 exec_lo, exec_lo, s50
	s_wait_dscnt 0x0
	s_barrier_signal -1
	s_barrier_wait -1
	s_and_saveexec_b32 s50, s100
	s_cbranch_execz .LBB8_701
; %bb.700:                              ;   in Loop: Header=BB8_3 Depth=1
	ds_load_b32 v28, v7 offset:9884
	ds_load_b32 v29, v47
	s_wait_dscnt 0x0
	v_fmac_f32_e32 v24, v28, v29
.LBB8_701:                              ;   in Loop: Header=BB8_3 Depth=1
	s_or_b32 exec_lo, exec_lo, s50
	s_barrier_signal -1
	s_barrier_wait -1
	s_and_saveexec_b32 s50, s100
; %bb.702:                              ;   in Loop: Header=BB8_3 Depth=1
	ds_store_b32 v47, v24
; %bb.703:                              ;   in Loop: Header=BB8_3 Depth=1
	s_or_b32 exec_lo, exec_lo, s50
	s_wait_dscnt 0x0
	s_barrier_signal -1
	s_barrier_wait -1
	s_barrier_signal -1
	s_barrier_wait -1
	s_and_saveexec_b32 s50, s2
; %bb.704:                              ;   in Loop: Header=BB8_3 Depth=1
	v_xor_b32_e32 v24, 0x80000000, v24
	ds_store_b32 v48, v24 offset:8336
; %bb.705:                              ;   in Loop: Header=BB8_3 Depth=1
	s_or_b32 exec_lo, exec_lo, s50
	s_wait_dscnt 0x0
	s_barrier_signal -1
	s_barrier_wait -1
	s_barrier_signal -1
	s_barrier_wait -1
	s_and_saveexec_b32 s50, s101
	s_cbranch_execz .LBB8_707
; %bb.706:                              ;   in Loop: Header=BB8_3 Depth=1
	ds_load_b32 v24, v34 offset:8336
	s_wait_dscnt 0x0
	ds_store_b32 v35, v24 offset:9344
	ds_load_b32 v24, v34 offset:8340
	s_wait_dscnt 0x0
	ds_store_b32 v35, v24 offset:9600
	;; [unrolled: 3-line block ×4, first 2 shown]
.LBB8_707:                              ;   in Loop: Header=BB8_3 Depth=1
	s_or_b32 exec_lo, exec_lo, s50
	s_wait_dscnt 0x0
	s_barrier_signal -1
	s_barrier_wait -1
	s_and_saveexec_b32 s50, s11
	s_cbranch_execz .LBB8_709
; %bb.708:                              ;   in Loop: Header=BB8_3 Depth=1
	ds_load_b32 v24, v7 offset:9364
	ds_store_b32 v7, v25 offset:9360
	s_wait_dscnt 0x1
	ds_store_b64 v7, v[24:25] offset:9616
.LBB8_709:                              ;   in Loop: Header=BB8_3 Depth=1
	s_or_b32 exec_lo, exec_lo, s50
	v_mov_b32_e32 v24, 0
	s_wait_dscnt 0x0
	s_barrier_signal -1
	s_barrier_wait -1
	s_and_saveexec_b32 s50, s0
	s_cbranch_execz .LBB8_713
; %bb.710:                              ;   in Loop: Header=BB8_3 Depth=1
	ds_load_b32 v24, v39 offset:9368
	ds_load_b32 v28, v40 offset:9360
	s_wait_dscnt 0x0
	v_fma_f32 v24, v24, v28, 0
	s_and_saveexec_b32 s51, s12
	s_cbranch_execz .LBB8_712
; %bb.711:                              ;   in Loop: Header=BB8_3 Depth=1
	ds_load_b32 v28, v35 offset:9624
	ds_load_b32 v29, v7 offset:9364
	s_wait_dscnt 0x0
	v_fmac_f32_e32 v24, v28, v29
.LBB8_712:                              ;   in Loop: Header=BB8_3 Depth=1
	s_or_b32 exec_lo, exec_lo, s51
	s_delay_alu instid0(VALU_DEP_1)
	v_xor_b32_e32 v24, 0x80000000, v24
.LBB8_713:                              ;   in Loop: Header=BB8_3 Depth=1
	s_or_b32 exec_lo, exec_lo, s50
	s_and_saveexec_b32 s50, s92
; %bb.714:                              ;   in Loop: Header=BB8_3 Depth=1
	ds_store_b32 v37, v24
; %bb.715:                              ;   in Loop: Header=BB8_3 Depth=1
	s_or_b32 exec_lo, exec_lo, s50
	s_wait_dscnt 0x0
	s_barrier_signal -1
	s_barrier_wait -1
	s_and_saveexec_b32 s50, s93
	s_cbranch_execz .LBB8_717
; %bb.716:                              ;   in Loop: Header=BB8_3 Depth=1
	ds_load_b32 v28, v7 offset:9884
	ds_load_b32 v29, v37
	s_wait_dscnt 0x0
	v_fmac_f32_e32 v24, v28, v29
.LBB8_717:                              ;   in Loop: Header=BB8_3 Depth=1
	s_or_b32 exec_lo, exec_lo, s50
	s_barrier_signal -1
	s_barrier_wait -1
	s_and_saveexec_b32 s50, s93
; %bb.718:                              ;   in Loop: Header=BB8_3 Depth=1
	ds_store_b32 v37, v24
; %bb.719:                              ;   in Loop: Header=BB8_3 Depth=1
	s_or_b32 exec_lo, exec_lo, s50
	s_wait_dscnt 0x0
	s_barrier_signal -1
	s_barrier_wait -1
	s_barrier_signal -1
	s_barrier_wait -1
	s_and_saveexec_b32 s50, s0
; %bb.720:                              ;   in Loop: Header=BB8_3 Depth=1
	v_xor_b32_e32 v24, 0x80000000, v24
	ds_store_b32 v39, v24 offset:9368
; %bb.721:                              ;   in Loop: Header=BB8_3 Depth=1
	s_or_b32 exec_lo, exec_lo, s50
	s_wait_dscnt 0x0
	s_barrier_signal -1
	s_barrier_wait -1
	s_barrier_signal -1
	s_barrier_wait -1
	s_and_saveexec_b32 s50, s94
	s_cbranch_execz .LBB8_723
; %bb.722:                              ;   in Loop: Header=BB8_3 Depth=1
	ds_load_b32 v24, v36 offset:9368
	s_wait_dscnt 0x0
	ds_store_b32 v35, v24 offset:9872
	ds_load_b32 v24, v36 offset:9372
	s_wait_dscnt 0x0
	ds_store_b32 v35, v24 offset:10128
.LBB8_723:                              ;   in Loop: Header=BB8_3 Depth=1
	s_or_b32 exec_lo, exec_lo, s50
	s_wait_dscnt 0x0
	s_barrier_signal -1
	s_barrier_wait -1
	s_and_saveexec_b32 s50, s11
	s_cbranch_execz .LBB8_725
; %bb.724:                              ;   in Loop: Header=BB8_3 Depth=1
	ds_load_b32 v24, v7 offset:9884
	ds_store_b32 v7, v25 offset:9880
	s_wait_dscnt 0x1
	ds_store_b64 v7, v[24:25] offset:10136
.LBB8_725:                              ;   in Loop: Header=BB8_3 Depth=1
	s_or_b32 exec_lo, exec_lo, s50
	v_mov_b32_e32 v24, 0
	s_wait_dscnt 0x0
	s_barrier_signal -1
	s_barrier_wait -1
	s_and_saveexec_b32 s61, s3
	s_cbranch_execz .LBB8_735
; %bb.726:                              ;   in Loop: Header=BB8_3 Depth=1
	ds_load_b32 v24, v55 offset:8352
	ds_load_b32 v28, v51 offset:8320
	s_wait_dscnt 0x0
	v_fma_f32 v24, v24, v28, 0
	s_and_saveexec_b32 s50, s15
	s_cbranch_execnz .LBB8_1203
; %bb.727:                              ;   in Loop: Header=BB8_3 Depth=1
	s_or_b32 exec_lo, exec_lo, s50
	s_and_saveexec_b32 s50, s16
	s_cbranch_execnz .LBB8_1204
.LBB8_728:                              ;   in Loop: Header=BB8_3 Depth=1
	s_or_b32 exec_lo, exec_lo, s50
	s_and_saveexec_b32 s50, s17
	s_cbranch_execnz .LBB8_1205
.LBB8_729:                              ;   in Loop: Header=BB8_3 Depth=1
	s_or_b32 exec_lo, exec_lo, s50
	s_and_saveexec_b32 s50, s18
	s_cbranch_execnz .LBB8_1206
.LBB8_730:                              ;   in Loop: Header=BB8_3 Depth=1
	s_or_b32 exec_lo, exec_lo, s50
	s_and_saveexec_b32 s50, s19
	s_cbranch_execnz .LBB8_1207
.LBB8_731:                              ;   in Loop: Header=BB8_3 Depth=1
	s_or_b32 exec_lo, exec_lo, s50
	s_and_saveexec_b32 s50, s2
	s_cbranch_execnz .LBB8_1208
.LBB8_732:                              ;   in Loop: Header=BB8_3 Depth=1
	s_or_b32 exec_lo, exec_lo, s50
	s_and_saveexec_b32 s50, s14
	s_cbranch_execz .LBB8_734
.LBB8_733:                              ;   in Loop: Header=BB8_3 Depth=1
	ds_load_b32 v28, v38 offset:10144
	ds_load_b32 v29, v7 offset:8348
	s_wait_dscnt 0x0
	v_fmac_f32_e32 v24, v28, v29
.LBB8_734:                              ;   in Loop: Header=BB8_3 Depth=1
	s_or_b32 exec_lo, exec_lo, s50
	s_delay_alu instid0(VALU_DEP_1)
	v_xor_b32_e32 v24, 0x80000000, v24
.LBB8_735:                              ;   in Loop: Header=BB8_3 Depth=1
	s_or_b32 exec_lo, exec_lo, s61
	s_and_saveexec_b32 s50, s102
; %bb.736:                              ;   in Loop: Header=BB8_3 Depth=1
	ds_store_b32 v54, v24
; %bb.737:                              ;   in Loop: Header=BB8_3 Depth=1
	s_or_b32 exec_lo, exec_lo, s50
	s_wait_dscnt 0x0
	s_barrier_signal -1
	s_barrier_wait -1
	s_and_saveexec_b32 s50, s103
	s_cbranch_execz .LBB8_739
; %bb.738:                              ;   in Loop: Header=BB8_3 Depth=1
	ds_load_b32 v28, v52 offset:10400
	ds_load_b32 v29, v54
	s_wait_dscnt 0x0
	v_fmac_f32_e32 v24, v28, v29
.LBB8_739:                              ;   in Loop: Header=BB8_3 Depth=1
	s_or_b32 exec_lo, exec_lo, s50
	s_barrier_signal -1
	s_barrier_wait -1
	s_and_saveexec_b32 s50, s104
; %bb.740:                              ;   in Loop: Header=BB8_3 Depth=1
	ds_store_b32 v54, v24
; %bb.741:                              ;   in Loop: Header=BB8_3 Depth=1
	s_or_b32 exec_lo, exec_lo, s50
	s_wait_dscnt 0x0
	s_barrier_signal -1
	s_barrier_wait -1
	s_and_saveexec_b32 s50, vcc_hi
	s_cbranch_execz .LBB8_743
; %bb.742:                              ;   in Loop: Header=BB8_3 Depth=1
	ds_load_b32 v28, v52 offset:10656
	ds_load_b32 v29, v54
	s_wait_dscnt 0x0
	v_fmac_f32_e32 v24, v28, v29
.LBB8_743:                              ;   in Loop: Header=BB8_3 Depth=1
	s_or_b32 exec_lo, exec_lo, s50
	s_barrier_signal -1
	s_barrier_wait -1
	s_and_saveexec_b32 s50, s31
; %bb.744:                              ;   in Loop: Header=BB8_3 Depth=1
	ds_store_b32 v54, v24
; %bb.745:                              ;   in Loop: Header=BB8_3 Depth=1
	s_or_b32 exec_lo, exec_lo, s50
	s_wait_dscnt 0x0
	s_barrier_signal -1
	s_barrier_wait -1
	s_and_saveexec_b32 s50, s33
	s_cbranch_execz .LBB8_747
; %bb.746:                              ;   in Loop: Header=BB8_3 Depth=1
	ds_load_b32 v28, v52 offset:10912
	ds_load_b32 v29, v54
	s_wait_dscnt 0x0
	v_fmac_f32_e32 v24, v28, v29
.LBB8_747:                              ;   in Loop: Header=BB8_3 Depth=1
	s_or_b32 exec_lo, exec_lo, s50
	s_barrier_signal -1
	s_barrier_wait -1
	s_and_saveexec_b32 s50, s34
; %bb.748:                              ;   in Loop: Header=BB8_3 Depth=1
	ds_store_b32 v54, v24
; %bb.749:                              ;   in Loop: Header=BB8_3 Depth=1
	s_or_b32 exec_lo, exec_lo, s50
	s_wait_dscnt 0x0
	s_barrier_signal -1
	s_barrier_wait -1
	s_and_saveexec_b32 s50, s35
	s_cbranch_execz .LBB8_751
; %bb.750:                              ;   in Loop: Header=BB8_3 Depth=1
	ds_load_b32 v28, v52 offset:11168
	ds_load_b32 v29, v54
	s_wait_dscnt 0x0
	v_fmac_f32_e32 v24, v28, v29
.LBB8_751:                              ;   in Loop: Header=BB8_3 Depth=1
	s_or_b32 exec_lo, exec_lo, s50
	s_barrier_signal -1
	s_barrier_wait -1
	s_and_saveexec_b32 s50, s36
; %bb.752:                              ;   in Loop: Header=BB8_3 Depth=1
	ds_store_b32 v54, v24
; %bb.753:                              ;   in Loop: Header=BB8_3 Depth=1
	s_or_b32 exec_lo, exec_lo, s50
	s_wait_dscnt 0x0
	s_barrier_signal -1
	s_barrier_wait -1
	s_and_saveexec_b32 s50, s37
	s_cbranch_execz .LBB8_755
; %bb.754:                              ;   in Loop: Header=BB8_3 Depth=1
	ds_load_b32 v28, v52 offset:11424
	ds_load_b32 v29, v54
	s_wait_dscnt 0x0
	v_fmac_f32_e32 v24, v28, v29
.LBB8_755:                              ;   in Loop: Header=BB8_3 Depth=1
	s_or_b32 exec_lo, exec_lo, s50
	s_barrier_signal -1
	s_barrier_wait -1
	s_and_saveexec_b32 s50, s38
; %bb.756:                              ;   in Loop: Header=BB8_3 Depth=1
	ds_store_b32 v54, v24
; %bb.757:                              ;   in Loop: Header=BB8_3 Depth=1
	s_or_b32 exec_lo, exec_lo, s50
	s_wait_dscnt 0x0
	s_barrier_signal -1
	s_barrier_wait -1
	s_and_saveexec_b32 s50, s39
	s_cbranch_execz .LBB8_759
; %bb.758:                              ;   in Loop: Header=BB8_3 Depth=1
	ds_load_b32 v28, v52 offset:11680
	ds_load_b32 v29, v54
	s_wait_dscnt 0x0
	v_fmac_f32_e32 v24, v28, v29
.LBB8_759:                              ;   in Loop: Header=BB8_3 Depth=1
	s_or_b32 exec_lo, exec_lo, s50
	s_barrier_signal -1
	s_barrier_wait -1
	s_and_saveexec_b32 s50, s40
; %bb.760:                              ;   in Loop: Header=BB8_3 Depth=1
	ds_store_b32 v54, v24
; %bb.761:                              ;   in Loop: Header=BB8_3 Depth=1
	s_or_b32 exec_lo, exec_lo, s50
	s_wait_dscnt 0x0
	s_barrier_signal -1
	s_barrier_wait -1
	s_and_saveexec_b32 s50, s41
	s_cbranch_execz .LBB8_763
; %bb.762:                              ;   in Loop: Header=BB8_3 Depth=1
	ds_load_b32 v28, v7 offset:11964
	ds_load_b32 v29, v54
	s_wait_dscnt 0x0
	v_fmac_f32_e32 v24, v28, v29
.LBB8_763:                              ;   in Loop: Header=BB8_3 Depth=1
	s_or_b32 exec_lo, exec_lo, s50
	s_barrier_signal -1
	s_barrier_wait -1
	s_and_saveexec_b32 s50, s41
; %bb.764:                              ;   in Loop: Header=BB8_3 Depth=1
	ds_store_b32 v54, v24
; %bb.765:                              ;   in Loop: Header=BB8_3 Depth=1
	s_or_b32 exec_lo, exec_lo, s50
	s_wait_dscnt 0x0
	s_barrier_signal -1
	s_barrier_wait -1
	s_barrier_signal -1
	s_barrier_wait -1
	s_and_saveexec_b32 s50, s3
; %bb.766:                              ;   in Loop: Header=BB8_3 Depth=1
	v_xor_b32_e32 v24, 0x80000000, v24
	ds_store_b32 v55, v24 offset:8352
; %bb.767:                              ;   in Loop: Header=BB8_3 Depth=1
	s_or_b32 exec_lo, exec_lo, s50
	s_wait_dscnt 0x0
	s_barrier_signal -1
	s_barrier_wait -1
	s_barrier_signal -1
	s_barrier_wait -1
	s_and_saveexec_b32 s50, s42
	s_cbranch_execz .LBB8_769
; %bb.768:                              ;   in Loop: Header=BB8_3 Depth=1
	ds_load_b32 v24, v42 offset:8352
	s_wait_dscnt 0x0
	ds_store_b32 v46, v24 offset:10368
	ds_load_b32 v24, v42 offset:8356
	s_wait_dscnt 0x0
	ds_store_b32 v46, v24 offset:10624
	;; [unrolled: 3-line block ×8, first 2 shown]
.LBB8_769:                              ;   in Loop: Header=BB8_3 Depth=1
	s_or_b32 exec_lo, exec_lo, s50
	s_wait_dscnt 0x0
	s_barrier_signal -1
	s_barrier_wait -1
	s_and_saveexec_b32 s50, s11
	s_cbranch_execz .LBB8_771
; %bb.770:                              ;   in Loop: Header=BB8_3 Depth=1
	ds_load_b32 v24, v7 offset:10404
	ds_store_b32 v7, v25 offset:10400
	s_wait_dscnt 0x1
	ds_store_b64 v7, v[24:25] offset:10656
.LBB8_771:                              ;   in Loop: Header=BB8_3 Depth=1
	s_or_b32 exec_lo, exec_lo, s50
	v_mov_b32_e32 v24, 0
	s_wait_dscnt 0x0
	s_barrier_signal -1
	s_barrier_wait -1
	s_and_saveexec_b32 s50, s0
	s_cbranch_execz .LBB8_775
; %bb.772:                              ;   in Loop: Header=BB8_3 Depth=1
	ds_load_b32 v24, v39 offset:10408
	ds_load_b32 v28, v40 offset:10400
	s_wait_dscnt 0x0
	v_fma_f32 v24, v24, v28, 0
	s_and_saveexec_b32 s51, s12
	s_cbranch_execz .LBB8_774
; %bb.773:                              ;   in Loop: Header=BB8_3 Depth=1
	ds_load_b32 v28, v46 offset:10664
	ds_load_b32 v29, v7 offset:10404
	s_wait_dscnt 0x0
	v_fmac_f32_e32 v24, v28, v29
.LBB8_774:                              ;   in Loop: Header=BB8_3 Depth=1
	s_or_b32 exec_lo, exec_lo, s51
	s_delay_alu instid0(VALU_DEP_1)
	v_xor_b32_e32 v24, 0x80000000, v24
.LBB8_775:                              ;   in Loop: Header=BB8_3 Depth=1
	s_or_b32 exec_lo, exec_lo, s50
	s_and_saveexec_b32 s50, s92
; %bb.776:                              ;   in Loop: Header=BB8_3 Depth=1
	ds_store_b32 v37, v24
; %bb.777:                              ;   in Loop: Header=BB8_3 Depth=1
	s_or_b32 exec_lo, exec_lo, s50
	s_wait_dscnt 0x0
	s_barrier_signal -1
	s_barrier_wait -1
	s_and_saveexec_b32 s50, s93
	s_cbranch_execz .LBB8_779
; %bb.778:                              ;   in Loop: Header=BB8_3 Depth=1
	ds_load_b32 v28, v7 offset:10924
	ds_load_b32 v29, v37
	s_wait_dscnt 0x0
	v_fmac_f32_e32 v24, v28, v29
.LBB8_779:                              ;   in Loop: Header=BB8_3 Depth=1
	s_or_b32 exec_lo, exec_lo, s50
	s_barrier_signal -1
	s_barrier_wait -1
	s_and_saveexec_b32 s50, s93
; %bb.780:                              ;   in Loop: Header=BB8_3 Depth=1
	ds_store_b32 v37, v24
; %bb.781:                              ;   in Loop: Header=BB8_3 Depth=1
	s_or_b32 exec_lo, exec_lo, s50
	s_wait_dscnt 0x0
	s_barrier_signal -1
	s_barrier_wait -1
	s_barrier_signal -1
	s_barrier_wait -1
	s_and_saveexec_b32 s50, s0
; %bb.782:                              ;   in Loop: Header=BB8_3 Depth=1
	v_xor_b32_e32 v24, 0x80000000, v24
	ds_store_b32 v39, v24 offset:10408
; %bb.783:                              ;   in Loop: Header=BB8_3 Depth=1
	s_or_b32 exec_lo, exec_lo, s50
	s_wait_dscnt 0x0
	s_barrier_signal -1
	s_barrier_wait -1
	s_barrier_signal -1
	s_barrier_wait -1
	s_and_saveexec_b32 s50, s94
	s_cbranch_execz .LBB8_785
; %bb.784:                              ;   in Loop: Header=BB8_3 Depth=1
	ds_load_b32 v24, v50 offset:10408
	s_wait_dscnt 0x0
	ds_store_b32 v46, v24 offset:10912
	ds_load_b32 v24, v50 offset:10412
	s_wait_dscnt 0x0
	ds_store_b32 v46, v24 offset:11168
.LBB8_785:                              ;   in Loop: Header=BB8_3 Depth=1
	s_or_b32 exec_lo, exec_lo, s50
	s_wait_dscnt 0x0
	s_barrier_signal -1
	s_barrier_wait -1
	s_and_saveexec_b32 s50, s11
	s_cbranch_execz .LBB8_787
; %bb.786:                              ;   in Loop: Header=BB8_3 Depth=1
	ds_load_b32 v24, v7 offset:10924
	ds_store_b32 v7, v25 offset:10920
	s_wait_dscnt 0x1
	ds_store_b64 v7, v[24:25] offset:11176
.LBB8_787:                              ;   in Loop: Header=BB8_3 Depth=1
	s_or_b32 exec_lo, exec_lo, s50
	v_mov_b32_e32 v24, 0
	s_wait_dscnt 0x0
	s_barrier_signal -1
	s_barrier_wait -1
	s_and_saveexec_b32 s61, s2
	s_cbranch_execz .LBB8_793
; %bb.788:                              ;   in Loop: Header=BB8_3 Depth=1
	ds_load_b32 v24, v48 offset:10416
	ds_load_b32 v28, v41 offset:10400
	s_wait_dscnt 0x0
	v_fma_f32 v24, v24, v28, 0
	s_and_saveexec_b32 s50, s13
	s_cbranch_execnz .LBB8_1209
; %bb.789:                              ;   in Loop: Header=BB8_3 Depth=1
	s_or_b32 exec_lo, exec_lo, s50
	s_and_saveexec_b32 s50, s14
	s_cbranch_execnz .LBB8_1210
.LBB8_790:                              ;   in Loop: Header=BB8_3 Depth=1
	s_or_b32 exec_lo, exec_lo, s50
	s_and_saveexec_b32 s50, s0
	s_cbranch_execz .LBB8_792
.LBB8_791:                              ;   in Loop: Header=BB8_3 Depth=1
	ds_load_b32 v28, v53 offset:11184
	ds_load_b32 v29, v7 offset:10412
	s_wait_dscnt 0x0
	v_fmac_f32_e32 v24, v28, v29
.LBB8_792:                              ;   in Loop: Header=BB8_3 Depth=1
	s_or_b32 exec_lo, exec_lo, s50
	s_delay_alu instid0(VALU_DEP_1)
	v_xor_b32_e32 v24, 0x80000000, v24
.LBB8_793:                              ;   in Loop: Header=BB8_3 Depth=1
	s_or_b32 exec_lo, exec_lo, s61
	s_and_saveexec_b32 s50, s95
; %bb.794:                              ;   in Loop: Header=BB8_3 Depth=1
	ds_store_b32 v47, v24
; %bb.795:                              ;   in Loop: Header=BB8_3 Depth=1
	s_or_b32 exec_lo, exec_lo, s50
	s_wait_dscnt 0x0
	s_barrier_signal -1
	s_barrier_wait -1
	s_and_saveexec_b32 s50, s96
	s_cbranch_execz .LBB8_797
; %bb.796:                              ;   in Loop: Header=BB8_3 Depth=1
	ds_load_b32 v28, v45 offset:11440
	ds_load_b32 v29, v47
	s_wait_dscnt 0x0
	v_fmac_f32_e32 v24, v28, v29
.LBB8_797:                              ;   in Loop: Header=BB8_3 Depth=1
	s_or_b32 exec_lo, exec_lo, s50
	s_barrier_signal -1
	s_barrier_wait -1
	s_and_saveexec_b32 s50, s97
; %bb.798:                              ;   in Loop: Header=BB8_3 Depth=1
	ds_store_b32 v47, v24
; %bb.799:                              ;   in Loop: Header=BB8_3 Depth=1
	s_or_b32 exec_lo, exec_lo, s50
	s_wait_dscnt 0x0
	s_barrier_signal -1
	s_barrier_wait -1
	s_and_saveexec_b32 s50, s98
	s_cbranch_execz .LBB8_801
; %bb.800:                              ;   in Loop: Header=BB8_3 Depth=1
	ds_load_b32 v28, v45 offset:11696
	ds_load_b32 v29, v47
	s_wait_dscnt 0x0
	v_fmac_f32_e32 v24, v28, v29
.LBB8_801:                              ;   in Loop: Header=BB8_3 Depth=1
	s_or_b32 exec_lo, exec_lo, s50
	s_barrier_signal -1
	s_barrier_wait -1
	;; [unrolled: 19-line block ×3, first 2 shown]
	s_and_saveexec_b32 s50, s100
; %bb.806:                              ;   in Loop: Header=BB8_3 Depth=1
	ds_store_b32 v47, v24
; %bb.807:                              ;   in Loop: Header=BB8_3 Depth=1
	s_or_b32 exec_lo, exec_lo, s50
	s_wait_dscnt 0x0
	s_barrier_signal -1
	s_barrier_wait -1
	s_barrier_signal -1
	s_barrier_wait -1
	s_and_saveexec_b32 s50, s2
; %bb.808:                              ;   in Loop: Header=BB8_3 Depth=1
	v_xor_b32_e32 v24, 0x80000000, v24
	ds_store_b32 v48, v24 offset:10416
; %bb.809:                              ;   in Loop: Header=BB8_3 Depth=1
	s_or_b32 exec_lo, exec_lo, s50
	s_wait_dscnt 0x0
	s_barrier_signal -1
	s_barrier_wait -1
	s_barrier_signal -1
	s_barrier_wait -1
	s_and_saveexec_b32 s50, s101
	s_cbranch_execz .LBB8_811
; %bb.810:                              ;   in Loop: Header=BB8_3 Depth=1
	ds_load_b32 v24, v56 offset:10416
	s_wait_dscnt 0x0
	ds_store_b32 v59, v24 offset:11424
	ds_load_b32 v24, v56 offset:10420
	s_wait_dscnt 0x0
	ds_store_b32 v59, v24 offset:11680
	;; [unrolled: 3-line block ×4, first 2 shown]
.LBB8_811:                              ;   in Loop: Header=BB8_3 Depth=1
	s_or_b32 exec_lo, exec_lo, s50
	s_wait_dscnt 0x0
	s_barrier_signal -1
	s_barrier_wait -1
	s_and_saveexec_b32 s50, s11
	s_cbranch_execz .LBB8_813
; %bb.812:                              ;   in Loop: Header=BB8_3 Depth=1
	ds_load_b32 v24, v7 offset:11444
	ds_store_b32 v7, v25 offset:11440
	s_wait_dscnt 0x1
	ds_store_b64 v7, v[24:25] offset:11696
.LBB8_813:                              ;   in Loop: Header=BB8_3 Depth=1
	s_or_b32 exec_lo, exec_lo, s50
	v_mov_b32_e32 v24, 0
	s_wait_dscnt 0x0
	s_barrier_signal -1
	s_barrier_wait -1
	s_and_saveexec_b32 s50, s0
	s_cbranch_execz .LBB8_817
; %bb.814:                              ;   in Loop: Header=BB8_3 Depth=1
	ds_load_b32 v24, v39 offset:11448
	ds_load_b32 v28, v40 offset:11440
	s_wait_dscnt 0x0
	v_fma_f32 v24, v24, v28, 0
	s_and_saveexec_b32 s51, s12
	s_cbranch_execz .LBB8_816
; %bb.815:                              ;   in Loop: Header=BB8_3 Depth=1
	ds_load_b32 v28, v59 offset:11704
	ds_load_b32 v29, v7 offset:11444
	s_wait_dscnt 0x0
	v_fmac_f32_e32 v24, v28, v29
.LBB8_816:                              ;   in Loop: Header=BB8_3 Depth=1
	s_or_b32 exec_lo, exec_lo, s51
	s_delay_alu instid0(VALU_DEP_1)
	v_xor_b32_e32 v24, 0x80000000, v24
.LBB8_817:                              ;   in Loop: Header=BB8_3 Depth=1
	s_or_b32 exec_lo, exec_lo, s50
	s_and_saveexec_b32 s50, s92
; %bb.818:                              ;   in Loop: Header=BB8_3 Depth=1
	ds_store_b32 v37, v24
; %bb.819:                              ;   in Loop: Header=BB8_3 Depth=1
	s_or_b32 exec_lo, exec_lo, s50
	s_wait_dscnt 0x0
	s_barrier_signal -1
	s_barrier_wait -1
	s_and_saveexec_b32 s50, s93
	s_cbranch_execz .LBB8_821
; %bb.820:                              ;   in Loop: Header=BB8_3 Depth=1
	ds_load_b32 v28, v7 offset:11964
	ds_load_b32 v29, v37
	s_wait_dscnt 0x0
	v_fmac_f32_e32 v24, v28, v29
.LBB8_821:                              ;   in Loop: Header=BB8_3 Depth=1
	s_or_b32 exec_lo, exec_lo, s50
	s_barrier_signal -1
	s_barrier_wait -1
	s_and_saveexec_b32 s50, s93
; %bb.822:                              ;   in Loop: Header=BB8_3 Depth=1
	ds_store_b32 v37, v24
; %bb.823:                              ;   in Loop: Header=BB8_3 Depth=1
	s_or_b32 exec_lo, exec_lo, s50
	s_wait_dscnt 0x0
	s_barrier_signal -1
	s_barrier_wait -1
	s_barrier_signal -1
	s_barrier_wait -1
	s_and_saveexec_b32 s50, s0
; %bb.824:                              ;   in Loop: Header=BB8_3 Depth=1
	v_xor_b32_e32 v24, 0x80000000, v24
	ds_store_b32 v39, v24 offset:11448
; %bb.825:                              ;   in Loop: Header=BB8_3 Depth=1
	s_or_b32 exec_lo, exec_lo, s50
	s_wait_dscnt 0x0
	s_barrier_signal -1
	s_barrier_wait -1
	s_barrier_signal -1
	s_barrier_wait -1
	s_and_saveexec_b32 s50, s94
	s_cbranch_execz .LBB8_827
; %bb.826:                              ;   in Loop: Header=BB8_3 Depth=1
	v_add_nc_u32_e32 v24, v59, v44
	ds_load_b32 v28, v24 offset:11448
	s_wait_dscnt 0x0
	ds_store_b32 v59, v28 offset:11952
	ds_load_b32 v24, v24 offset:11452
	s_wait_dscnt 0x0
	ds_store_b32 v59, v24 offset:12208
.LBB8_827:                              ;   in Loop: Header=BB8_3 Depth=1
	s_or_b32 exec_lo, exec_lo, s50
	s_wait_dscnt 0x0
	s_barrier_signal -1
	s_barrier_wait -1
	s_and_saveexec_b32 s50, s11
	s_cbranch_execz .LBB8_829
; %bb.828:                              ;   in Loop: Header=BB8_3 Depth=1
	ds_load_b32 v24, v7 offset:11964
	ds_store_b32 v7, v25 offset:11960
	s_wait_dscnt 0x1
	ds_store_b64 v7, v[24:25] offset:12216
.LBB8_829:                              ;   in Loop: Header=BB8_3 Depth=1
	s_or_b32 exec_lo, exec_lo, s50
	v_mov_b32_e32 v24, 0
	s_wait_dscnt 0x0
	s_barrier_signal -1
	s_barrier_wait -1
	s_and_saveexec_b32 s61, s4
	s_cbranch_execz .LBB8_857
; %bb.830:                              ;   in Loop: Header=BB8_3 Depth=1
	ds_load_b32 v24, v65 offset:8384
	ds_load_b32 v28, v58 offset:8320
	s_wait_dscnt 0x0
	v_fma_f32 v24, v24, v28, 0
	s_mov_b32 s50, exec_lo
	v_readlane_b32 s51, v91, 20
	s_and_b32 s51, s50, s51
	s_delay_alu instid0(SALU_CYCLE_1)
	s_mov_b32 exec_lo, s51
	s_cbranch_execz .LBB8_832
; %bb.831:                              ;   in Loop: Header=BB8_3 Depth=1
	ds_load_b32 v28, v66 offset:8640
	ds_load_b32 v29, v58 offset:8324
	s_wait_dscnt 0x0
	v_fmac_f32_e32 v24, v28, v29
.LBB8_832:                              ;   in Loop: Header=BB8_3 Depth=1
	s_or_b32 exec_lo, exec_lo, s50
	s_delay_alu instid0(SALU_CYCLE_1) | instskip(SKIP_2) | instid1(SALU_CYCLE_1)
	s_mov_b32 s50, exec_lo
	v_readlane_b32 s51, v91, 21
	s_and_b32 s51, s50, s51
	s_mov_b32 exec_lo, s51
	s_cbranch_execz .LBB8_834
; %bb.833:                              ;   in Loop: Header=BB8_3 Depth=1
	ds_load_b32 v28, v66 offset:8896
	ds_load_b32 v29, v58 offset:8328
	s_wait_dscnt 0x0
	v_fmac_f32_e32 v24, v28, v29
.LBB8_834:                              ;   in Loop: Header=BB8_3 Depth=1
	s_or_b32 exec_lo, exec_lo, s50
	s_delay_alu instid0(SALU_CYCLE_1) | instskip(SKIP_2) | instid1(SALU_CYCLE_1)
	s_mov_b32 s50, exec_lo
	v_readlane_b32 s51, v91, 22
	s_and_b32 s51, s50, s51
	;; [unrolled: 13-line block ×10, first 2 shown]
	s_mov_b32 exec_lo, s51
	s_cbranch_execnz .LBB8_1211
; %bb.851:                              ;   in Loop: Header=BB8_3 Depth=1
	s_or_b32 exec_lo, exec_lo, s50
	s_and_saveexec_b32 s50, s3
	s_cbranch_execnz .LBB8_1212
.LBB8_852:                              ;   in Loop: Header=BB8_3 Depth=1
	s_or_b32 exec_lo, exec_lo, s50
	s_and_saveexec_b32 s50, s16
	s_cbranch_execnz .LBB8_1213
.LBB8_853:                              ;   in Loop: Header=BB8_3 Depth=1
	s_or_b32 exec_lo, exec_lo, s50
	s_and_saveexec_b32 s50, s18
	s_cbranch_execnz .LBB8_1214
.LBB8_854:                              ;   in Loop: Header=BB8_3 Depth=1
	s_or_b32 exec_lo, exec_lo, s50
	s_and_saveexec_b32 s50, s2
	s_cbranch_execz .LBB8_856
.LBB8_855:                              ;   in Loop: Header=BB8_3 Depth=1
	ds_load_b32 v28, v5 offset:12224
	ds_load_b32 v29, v7 offset:8380
	s_wait_dscnt 0x0
	v_fmac_f32_e32 v24, v28, v29
.LBB8_856:                              ;   in Loop: Header=BB8_3 Depth=1
	s_or_b32 exec_lo, exec_lo, s50
	s_delay_alu instid0(VALU_DEP_1)
	v_xor_b32_e32 v24, 0x80000000, v24
.LBB8_857:                              ;   in Loop: Header=BB8_3 Depth=1
	s_or_b32 exec_lo, exec_lo, s61
	s_delay_alu instid0(SALU_CYCLE_1) | instskip(SKIP_2) | instid1(SALU_CYCLE_1)
	s_mov_b32 s50, exec_lo
	v_readlane_b32 s51, v93, 2
	s_and_b32 s51, s50, s51
	s_mov_b32 exec_lo, s51
; %bb.858:                              ;   in Loop: Header=BB8_3 Depth=1
	ds_store_b32 v60, v24
; %bb.859:                              ;   in Loop: Header=BB8_3 Depth=1
	s_or_b32 exec_lo, exec_lo, s50
	s_wait_dscnt 0x0
	s_barrier_signal -1
	s_barrier_wait -1
	s_mov_b32 s50, exec_lo
	v_readlane_b32 s51, v93, 3
	s_and_b32 s51, s50, s51
	s_delay_alu instid0(SALU_CYCLE_1)
	s_mov_b32 exec_lo, s51
	s_cbranch_execz .LBB8_861
; %bb.860:                              ;   in Loop: Header=BB8_3 Depth=1
	ds_load_b32 v28, v61 offset:12480
	ds_load_b32 v29, v60
	s_wait_dscnt 0x0
	v_fmac_f32_e32 v24, v28, v29
.LBB8_861:                              ;   in Loop: Header=BB8_3 Depth=1
	s_or_b32 exec_lo, exec_lo, s50
	s_barrier_signal -1
	s_barrier_wait -1
	s_mov_b32 s50, exec_lo
	v_readlane_b32 s51, v93, 4
	s_and_b32 s51, s50, s51
	s_delay_alu instid0(SALU_CYCLE_1)
	s_mov_b32 exec_lo, s51
; %bb.862:                              ;   in Loop: Header=BB8_3 Depth=1
	ds_store_b32 v60, v24
; %bb.863:                              ;   in Loop: Header=BB8_3 Depth=1
	s_or_b32 exec_lo, exec_lo, s50
	s_wait_dscnt 0x0
	s_barrier_signal -1
	s_barrier_wait -1
	s_mov_b32 s50, exec_lo
	v_readlane_b32 s51, v93, 5
	s_and_b32 s51, s50, s51
	s_delay_alu instid0(SALU_CYCLE_1)
	s_mov_b32 exec_lo, s51
	s_cbranch_execz .LBB8_865
; %bb.864:                              ;   in Loop: Header=BB8_3 Depth=1
	ds_load_b32 v28, v61 offset:12736
	ds_load_b32 v29, v60
	s_wait_dscnt 0x0
	v_fmac_f32_e32 v24, v28, v29
.LBB8_865:                              ;   in Loop: Header=BB8_3 Depth=1
	s_or_b32 exec_lo, exec_lo, s50
	s_barrier_signal -1
	s_barrier_wait -1
	s_mov_b32 s50, exec_lo
	v_readlane_b32 s51, v93, 6
	s_and_b32 s51, s50, s51
	s_delay_alu instid0(SALU_CYCLE_1)
	;; [unrolled: 27-line block ×4, first 2 shown]
	s_mov_b32 exec_lo, s51
; %bb.874:                              ;   in Loop: Header=BB8_3 Depth=1
	ds_store_b32 v60, v24
; %bb.875:                              ;   in Loop: Header=BB8_3 Depth=1
	s_or_b32 exec_lo, exec_lo, s50
	s_wait_dscnt 0x0
	s_barrier_signal -1
	s_barrier_wait -1
	s_mov_b32 s50, exec_lo
	v_readlane_b32 s51, v93, 11
	s_and_b32 s51, s50, s51
	s_delay_alu instid0(SALU_CYCLE_1)
	s_mov_b32 exec_lo, s51
	s_cbranch_execz .LBB8_877
; %bb.876:                              ;   in Loop: Header=BB8_3 Depth=1
	ds_load_b32 v28, v61 offset:13504
	ds_load_b32 v29, v60
	s_wait_dscnt 0x0
	v_fmac_f32_e32 v24, v28, v29
.LBB8_877:                              ;   in Loop: Header=BB8_3 Depth=1
	s_or_b32 exec_lo, exec_lo, s50
	s_barrier_signal -1
	s_barrier_wait -1
	s_and_saveexec_b32 s50, s53
; %bb.878:                              ;   in Loop: Header=BB8_3 Depth=1
	ds_store_b32 v60, v24
; %bb.879:                              ;   in Loop: Header=BB8_3 Depth=1
	s_or_b32 exec_lo, exec_lo, s50
	s_wait_dscnt 0x0
	s_barrier_signal -1
	s_barrier_wait -1
	s_and_saveexec_b32 s50, s54
	s_cbranch_execz .LBB8_881
; %bb.880:                              ;   in Loop: Header=BB8_3 Depth=1
	ds_load_b32 v28, v61 offset:13760
	ds_load_b32 v29, v60
	s_wait_dscnt 0x0
	v_fmac_f32_e32 v24, v28, v29
.LBB8_881:                              ;   in Loop: Header=BB8_3 Depth=1
	s_or_b32 exec_lo, exec_lo, s50
	s_barrier_signal -1
	s_barrier_wait -1
	s_and_saveexec_b32 s50, s20
; %bb.882:                              ;   in Loop: Header=BB8_3 Depth=1
	ds_store_b32 v60, v24
; %bb.883:                              ;   in Loop: Header=BB8_3 Depth=1
	s_or_b32 exec_lo, exec_lo, s50
	s_wait_dscnt 0x0
	s_barrier_signal -1
	s_barrier_wait -1
	s_and_saveexec_b32 s50, s22
	;; [unrolled: 19-line block ×10, first 2 shown]
	s_cbranch_execz .LBB8_917
; %bb.916:                              ;   in Loop: Header=BB8_3 Depth=1
	ds_load_b32 v28, v7 offset:16124
	ds_load_b32 v29, v60
	s_wait_dscnt 0x0
	v_fmac_f32_e32 v24, v28, v29
.LBB8_917:                              ;   in Loop: Header=BB8_3 Depth=1
	s_or_b32 exec_lo, exec_lo, s50
	s_barrier_signal -1
	s_barrier_wait -1
	s_and_saveexec_b32 s50, s45
; %bb.918:                              ;   in Loop: Header=BB8_3 Depth=1
	ds_store_b32 v60, v24
; %bb.919:                              ;   in Loop: Header=BB8_3 Depth=1
	s_or_b32 exec_lo, exec_lo, s50
	s_wait_dscnt 0x0
	s_barrier_signal -1
	s_barrier_wait -1
	s_barrier_signal -1
	s_barrier_wait -1
	s_and_saveexec_b32 s50, s4
; %bb.920:                              ;   in Loop: Header=BB8_3 Depth=1
	v_xor_b32_e32 v24, 0x80000000, v24
	ds_store_b32 v65, v24 offset:8384
; %bb.921:                              ;   in Loop: Header=BB8_3 Depth=1
	s_or_b32 exec_lo, exec_lo, s50
	s_wait_dscnt 0x0
	s_barrier_signal -1
	s_barrier_wait -1
	s_barrier_signal -1
	s_barrier_wait -1
	s_and_saveexec_b32 s60, s46
	s_cbranch_execz .LBB8_923
; %bb.922:                              ;   in Loop: Header=BB8_3 Depth=1
	ds_load_b32 v24, v32 offset:8384
	s_wait_dscnt 0x0
	ds_store_b32 v33, v24 offset:12416
	ds_load_b32 v24, v32 offset:8388
	s_wait_dscnt 0x0
	ds_store_b32 v33, v24 offset:12672
	;; [unrolled: 3-line block ×16, first 2 shown]
.LBB8_923:                              ;   in Loop: Header=BB8_3 Depth=1
	s_or_b32 exec_lo, exec_lo, s60
	s_wait_dscnt 0x0
	s_barrier_signal -1
	s_barrier_wait -1
	s_and_saveexec_b32 s50, s11
	s_cbranch_execz .LBB8_925
; %bb.924:                              ;   in Loop: Header=BB8_3 Depth=1
	ds_load_b32 v24, v7 offset:12484
	ds_store_b32 v7, v25 offset:12480
	s_wait_dscnt 0x1
	ds_store_b64 v7, v[24:25] offset:12736
.LBB8_925:                              ;   in Loop: Header=BB8_3 Depth=1
	s_or_b32 exec_lo, exec_lo, s50
	v_mov_b32_e32 v24, 0
	s_wait_dscnt 0x0
	s_barrier_signal -1
	s_barrier_wait -1
	s_and_saveexec_b32 s50, s0
	s_cbranch_execz .LBB8_929
; %bb.926:                              ;   in Loop: Header=BB8_3 Depth=1
	ds_load_b32 v24, v39 offset:12488
	ds_load_b32 v28, v40 offset:12480
	s_wait_dscnt 0x0
	v_fma_f32 v24, v24, v28, 0
	s_and_saveexec_b32 s51, s12
	s_cbranch_execz .LBB8_928
; %bb.927:                              ;   in Loop: Header=BB8_3 Depth=1
	ds_load_b32 v28, v5 offset:12744
	ds_load_b32 v29, v7 offset:12484
	s_wait_dscnt 0x0
	v_fmac_f32_e32 v24, v28, v29
.LBB8_928:                              ;   in Loop: Header=BB8_3 Depth=1
	s_or_b32 exec_lo, exec_lo, s51
	s_delay_alu instid0(VALU_DEP_1)
	v_xor_b32_e32 v24, 0x80000000, v24
.LBB8_929:                              ;   in Loop: Header=BB8_3 Depth=1
	s_or_b32 exec_lo, exec_lo, s50
	s_and_saveexec_b32 s50, s92
; %bb.930:                              ;   in Loop: Header=BB8_3 Depth=1
	ds_store_b32 v37, v24
; %bb.931:                              ;   in Loop: Header=BB8_3 Depth=1
	s_or_b32 exec_lo, exec_lo, s50
	s_wait_dscnt 0x0
	s_barrier_signal -1
	s_barrier_wait -1
	s_and_saveexec_b32 s50, s93
	s_cbranch_execz .LBB8_933
; %bb.932:                              ;   in Loop: Header=BB8_3 Depth=1
	ds_load_b32 v28, v7 offset:13004
	ds_load_b32 v29, v37
	s_wait_dscnt 0x0
	v_fmac_f32_e32 v24, v28, v29
.LBB8_933:                              ;   in Loop: Header=BB8_3 Depth=1
	s_or_b32 exec_lo, exec_lo, s50
	s_barrier_signal -1
	s_barrier_wait -1
	s_and_saveexec_b32 s50, s93
; %bb.934:                              ;   in Loop: Header=BB8_3 Depth=1
	ds_store_b32 v37, v24
; %bb.935:                              ;   in Loop: Header=BB8_3 Depth=1
	s_or_b32 exec_lo, exec_lo, s50
	s_wait_dscnt 0x0
	s_barrier_signal -1
	s_barrier_wait -1
	s_barrier_signal -1
	s_barrier_wait -1
	s_and_saveexec_b32 s50, s0
; %bb.936:                              ;   in Loop: Header=BB8_3 Depth=1
	v_xor_b32_e32 v24, 0x80000000, v24
	ds_store_b32 v39, v24 offset:12488
; %bb.937:                              ;   in Loop: Header=BB8_3 Depth=1
	s_or_b32 exec_lo, exec_lo, s50
	s_wait_dscnt 0x0
	s_barrier_signal -1
	s_barrier_wait -1
	s_barrier_signal -1
	s_barrier_wait -1
	s_and_saveexec_b32 s50, s94
	s_cbranch_execz .LBB8_939
; %bb.938:                              ;   in Loop: Header=BB8_3 Depth=1
	ds_load_b32 v24, v32 offset:12488
	s_wait_dscnt 0x0
	ds_store_b32 v5, v24 offset:12992
	ds_load_b32 v24, v32 offset:12492
	s_wait_dscnt 0x0
	ds_store_b32 v5, v24 offset:13248
.LBB8_939:                              ;   in Loop: Header=BB8_3 Depth=1
	s_or_b32 exec_lo, exec_lo, s50
	s_wait_dscnt 0x0
	s_barrier_signal -1
	s_barrier_wait -1
	s_and_saveexec_b32 s50, s11
	s_cbranch_execz .LBB8_941
; %bb.940:                              ;   in Loop: Header=BB8_3 Depth=1
	ds_load_b32 v24, v7 offset:13004
	ds_store_b32 v7, v25 offset:13000
	s_wait_dscnt 0x1
	ds_store_b64 v7, v[24:25] offset:13256
.LBB8_941:                              ;   in Loop: Header=BB8_3 Depth=1
	s_or_b32 exec_lo, exec_lo, s50
	v_mov_b32_e32 v24, 0
	s_wait_dscnt 0x0
	s_barrier_signal -1
	s_barrier_wait -1
	s_and_saveexec_b32 s61, s2
	s_cbranch_execz .LBB8_947
; %bb.942:                              ;   in Loop: Header=BB8_3 Depth=1
	ds_load_b32 v24, v48 offset:12496
	ds_load_b32 v28, v41 offset:12480
	s_wait_dscnt 0x0
	v_fma_f32 v24, v24, v28, 0
	s_and_saveexec_b32 s50, s13
	s_cbranch_execnz .LBB8_1215
; %bb.943:                              ;   in Loop: Header=BB8_3 Depth=1
	s_or_b32 exec_lo, exec_lo, s50
	s_and_saveexec_b32 s50, s14
	s_cbranch_execnz .LBB8_1216
.LBB8_944:                              ;   in Loop: Header=BB8_3 Depth=1
	s_or_b32 exec_lo, exec_lo, s50
	s_and_saveexec_b32 s50, s0
	s_cbranch_execz .LBB8_946
.LBB8_945:                              ;   in Loop: Header=BB8_3 Depth=1
	ds_load_b32 v28, v33 offset:13264
	ds_load_b32 v29, v7 offset:12492
	s_wait_dscnt 0x0
	v_fmac_f32_e32 v24, v28, v29
.LBB8_946:                              ;   in Loop: Header=BB8_3 Depth=1
	s_or_b32 exec_lo, exec_lo, s50
	s_delay_alu instid0(VALU_DEP_1)
	v_xor_b32_e32 v24, 0x80000000, v24
.LBB8_947:                              ;   in Loop: Header=BB8_3 Depth=1
	s_or_b32 exec_lo, exec_lo, s61
	s_and_saveexec_b32 s50, s95
; %bb.948:                              ;   in Loop: Header=BB8_3 Depth=1
	ds_store_b32 v47, v24
; %bb.949:                              ;   in Loop: Header=BB8_3 Depth=1
	s_or_b32 exec_lo, exec_lo, s50
	s_wait_dscnt 0x0
	s_barrier_signal -1
	s_barrier_wait -1
	s_and_saveexec_b32 s50, s96
	s_cbranch_execz .LBB8_951
; %bb.950:                              ;   in Loop: Header=BB8_3 Depth=1
	ds_load_b32 v28, v45 offset:13520
	ds_load_b32 v29, v47
	s_wait_dscnt 0x0
	v_fmac_f32_e32 v24, v28, v29
.LBB8_951:                              ;   in Loop: Header=BB8_3 Depth=1
	s_or_b32 exec_lo, exec_lo, s50
	s_barrier_signal -1
	s_barrier_wait -1
	s_and_saveexec_b32 s50, s97
; %bb.952:                              ;   in Loop: Header=BB8_3 Depth=1
	ds_store_b32 v47, v24
; %bb.953:                              ;   in Loop: Header=BB8_3 Depth=1
	s_or_b32 exec_lo, exec_lo, s50
	s_wait_dscnt 0x0
	s_barrier_signal -1
	s_barrier_wait -1
	s_and_saveexec_b32 s50, s98
	s_cbranch_execz .LBB8_955
; %bb.954:                              ;   in Loop: Header=BB8_3 Depth=1
	ds_load_b32 v28, v45 offset:13776
	ds_load_b32 v29, v47
	s_wait_dscnt 0x0
	v_fmac_f32_e32 v24, v28, v29
.LBB8_955:                              ;   in Loop: Header=BB8_3 Depth=1
	s_or_b32 exec_lo, exec_lo, s50
	s_barrier_signal -1
	s_barrier_wait -1
	;; [unrolled: 19-line block ×3, first 2 shown]
	s_and_saveexec_b32 s50, s100
; %bb.960:                              ;   in Loop: Header=BB8_3 Depth=1
	ds_store_b32 v47, v24
; %bb.961:                              ;   in Loop: Header=BB8_3 Depth=1
	s_or_b32 exec_lo, exec_lo, s50
	s_wait_dscnt 0x0
	s_barrier_signal -1
	s_barrier_wait -1
	s_barrier_signal -1
	s_barrier_wait -1
	s_and_saveexec_b32 s50, s2
; %bb.962:                              ;   in Loop: Header=BB8_3 Depth=1
	v_xor_b32_e32 v24, 0x80000000, v24
	ds_store_b32 v48, v24 offset:12496
; %bb.963:                              ;   in Loop: Header=BB8_3 Depth=1
	s_or_b32 exec_lo, exec_lo, s50
	s_wait_dscnt 0x0
	s_barrier_signal -1
	s_barrier_wait -1
	s_barrier_signal -1
	s_barrier_wait -1
	s_and_saveexec_b32 s50, s101
	s_cbranch_execz .LBB8_965
; %bb.964:                              ;   in Loop: Header=BB8_3 Depth=1
	ds_load_b32 v24, v34 offset:12496
	s_wait_dscnt 0x0
	ds_store_b32 v35, v24 offset:13504
	ds_load_b32 v24, v34 offset:12500
	s_wait_dscnt 0x0
	ds_store_b32 v35, v24 offset:13760
	;; [unrolled: 3-line block ×4, first 2 shown]
.LBB8_965:                              ;   in Loop: Header=BB8_3 Depth=1
	s_or_b32 exec_lo, exec_lo, s50
	s_wait_dscnt 0x0
	s_barrier_signal -1
	s_barrier_wait -1
	s_and_saveexec_b32 s50, s11
	s_cbranch_execz .LBB8_967
; %bb.966:                              ;   in Loop: Header=BB8_3 Depth=1
	ds_load_b32 v24, v7 offset:13524
	ds_store_b32 v7, v25 offset:13520
	s_wait_dscnt 0x1
	ds_store_b64 v7, v[24:25] offset:13776
.LBB8_967:                              ;   in Loop: Header=BB8_3 Depth=1
	s_or_b32 exec_lo, exec_lo, s50
	v_mov_b32_e32 v24, 0
	s_wait_dscnt 0x0
	s_barrier_signal -1
	s_barrier_wait -1
	s_and_saveexec_b32 s50, s0
	s_cbranch_execz .LBB8_971
; %bb.968:                              ;   in Loop: Header=BB8_3 Depth=1
	ds_load_b32 v24, v39 offset:13528
	ds_load_b32 v28, v40 offset:13520
	s_wait_dscnt 0x0
	v_fma_f32 v24, v24, v28, 0
	s_and_saveexec_b32 s51, s12
	s_cbranch_execz .LBB8_970
; %bb.969:                              ;   in Loop: Header=BB8_3 Depth=1
	ds_load_b32 v28, v35 offset:13784
	ds_load_b32 v29, v7 offset:13524
	s_wait_dscnt 0x0
	v_fmac_f32_e32 v24, v28, v29
.LBB8_970:                              ;   in Loop: Header=BB8_3 Depth=1
	s_or_b32 exec_lo, exec_lo, s51
	s_delay_alu instid0(VALU_DEP_1)
	v_xor_b32_e32 v24, 0x80000000, v24
.LBB8_971:                              ;   in Loop: Header=BB8_3 Depth=1
	s_or_b32 exec_lo, exec_lo, s50
	s_and_saveexec_b32 s50, s92
; %bb.972:                              ;   in Loop: Header=BB8_3 Depth=1
	ds_store_b32 v37, v24
; %bb.973:                              ;   in Loop: Header=BB8_3 Depth=1
	s_or_b32 exec_lo, exec_lo, s50
	s_wait_dscnt 0x0
	s_barrier_signal -1
	s_barrier_wait -1
	s_and_saveexec_b32 s50, s93
	s_cbranch_execz .LBB8_975
; %bb.974:                              ;   in Loop: Header=BB8_3 Depth=1
	ds_load_b32 v28, v7 offset:14044
	ds_load_b32 v29, v37
	s_wait_dscnt 0x0
	v_fmac_f32_e32 v24, v28, v29
.LBB8_975:                              ;   in Loop: Header=BB8_3 Depth=1
	s_or_b32 exec_lo, exec_lo, s50
	s_barrier_signal -1
	s_barrier_wait -1
	s_and_saveexec_b32 s50, s93
; %bb.976:                              ;   in Loop: Header=BB8_3 Depth=1
	ds_store_b32 v37, v24
; %bb.977:                              ;   in Loop: Header=BB8_3 Depth=1
	s_or_b32 exec_lo, exec_lo, s50
	s_wait_dscnt 0x0
	s_barrier_signal -1
	s_barrier_wait -1
	s_barrier_signal -1
	s_barrier_wait -1
	s_and_saveexec_b32 s50, s0
; %bb.978:                              ;   in Loop: Header=BB8_3 Depth=1
	v_xor_b32_e32 v24, 0x80000000, v24
	ds_store_b32 v39, v24 offset:13528
; %bb.979:                              ;   in Loop: Header=BB8_3 Depth=1
	s_or_b32 exec_lo, exec_lo, s50
	s_wait_dscnt 0x0
	s_barrier_signal -1
	s_barrier_wait -1
	s_barrier_signal -1
	s_barrier_wait -1
	s_and_saveexec_b32 s50, s94
	s_cbranch_execz .LBB8_981
; %bb.980:                              ;   in Loop: Header=BB8_3 Depth=1
	ds_load_b32 v24, v36 offset:13528
	s_wait_dscnt 0x0
	ds_store_b32 v35, v24 offset:14032
	ds_load_b32 v24, v36 offset:13532
	s_wait_dscnt 0x0
	ds_store_b32 v35, v24 offset:14288
.LBB8_981:                              ;   in Loop: Header=BB8_3 Depth=1
	s_or_b32 exec_lo, exec_lo, s50
	s_wait_dscnt 0x0
	s_barrier_signal -1
	s_barrier_wait -1
	s_and_saveexec_b32 s50, s11
	s_cbranch_execz .LBB8_983
; %bb.982:                              ;   in Loop: Header=BB8_3 Depth=1
	ds_load_b32 v24, v7 offset:14044
	ds_store_b32 v7, v25 offset:14040
	s_wait_dscnt 0x1
	ds_store_b64 v7, v[24:25] offset:14296
.LBB8_983:                              ;   in Loop: Header=BB8_3 Depth=1
	s_or_b32 exec_lo, exec_lo, s50
	v_mov_b32_e32 v24, 0
	s_wait_dscnt 0x0
	s_barrier_signal -1
	s_barrier_wait -1
	s_and_saveexec_b32 s61, s3
	s_cbranch_execz .LBB8_993
; %bb.984:                              ;   in Loop: Header=BB8_3 Depth=1
	ds_load_b32 v24, v55 offset:12512
	ds_load_b32 v28, v51 offset:12480
	s_wait_dscnt 0x0
	v_fma_f32 v24, v24, v28, 0
	s_and_saveexec_b32 s50, s15
	s_cbranch_execnz .LBB8_1217
; %bb.985:                              ;   in Loop: Header=BB8_3 Depth=1
	s_or_b32 exec_lo, exec_lo, s50
	s_and_saveexec_b32 s50, s16
	s_cbranch_execnz .LBB8_1218
.LBB8_986:                              ;   in Loop: Header=BB8_3 Depth=1
	s_or_b32 exec_lo, exec_lo, s50
	s_and_saveexec_b32 s50, s17
	s_cbranch_execnz .LBB8_1219
.LBB8_987:                              ;   in Loop: Header=BB8_3 Depth=1
	s_or_b32 exec_lo, exec_lo, s50
	s_and_saveexec_b32 s50, s18
	s_cbranch_execnz .LBB8_1220
.LBB8_988:                              ;   in Loop: Header=BB8_3 Depth=1
	s_or_b32 exec_lo, exec_lo, s50
	s_and_saveexec_b32 s50, s19
	s_cbranch_execnz .LBB8_1221
.LBB8_989:                              ;   in Loop: Header=BB8_3 Depth=1
	s_or_b32 exec_lo, exec_lo, s50
	s_and_saveexec_b32 s50, s2
	s_cbranch_execnz .LBB8_1222
.LBB8_990:                              ;   in Loop: Header=BB8_3 Depth=1
	s_or_b32 exec_lo, exec_lo, s50
	s_and_saveexec_b32 s50, s14
	s_cbranch_execz .LBB8_992
.LBB8_991:                              ;   in Loop: Header=BB8_3 Depth=1
	ds_load_b32 v28, v38 offset:14304
	ds_load_b32 v29, v7 offset:12508
	s_wait_dscnt 0x0
	v_fmac_f32_e32 v24, v28, v29
.LBB8_992:                              ;   in Loop: Header=BB8_3 Depth=1
	s_or_b32 exec_lo, exec_lo, s50
	s_delay_alu instid0(VALU_DEP_1)
	v_xor_b32_e32 v24, 0x80000000, v24
.LBB8_993:                              ;   in Loop: Header=BB8_3 Depth=1
	s_or_b32 exec_lo, exec_lo, s61
	s_and_saveexec_b32 s50, s102
; %bb.994:                              ;   in Loop: Header=BB8_3 Depth=1
	ds_store_b32 v54, v24
; %bb.995:                              ;   in Loop: Header=BB8_3 Depth=1
	s_or_b32 exec_lo, exec_lo, s50
	s_wait_dscnt 0x0
	s_barrier_signal -1
	s_barrier_wait -1
	s_and_saveexec_b32 s50, s103
	s_cbranch_execz .LBB8_997
; %bb.996:                              ;   in Loop: Header=BB8_3 Depth=1
	ds_load_b32 v28, v52 offset:14560
	ds_load_b32 v29, v54
	s_wait_dscnt 0x0
	v_fmac_f32_e32 v24, v28, v29
.LBB8_997:                              ;   in Loop: Header=BB8_3 Depth=1
	s_or_b32 exec_lo, exec_lo, s50
	s_barrier_signal -1
	s_barrier_wait -1
	s_and_saveexec_b32 s50, s104
; %bb.998:                              ;   in Loop: Header=BB8_3 Depth=1
	ds_store_b32 v54, v24
; %bb.999:                              ;   in Loop: Header=BB8_3 Depth=1
	s_or_b32 exec_lo, exec_lo, s50
	s_wait_dscnt 0x0
	s_barrier_signal -1
	s_barrier_wait -1
	s_and_saveexec_b32 s50, vcc_hi
	s_cbranch_execz .LBB8_1001
; %bb.1000:                             ;   in Loop: Header=BB8_3 Depth=1
	ds_load_b32 v28, v52 offset:14816
	ds_load_b32 v29, v54
	s_wait_dscnt 0x0
	v_fmac_f32_e32 v24, v28, v29
.LBB8_1001:                             ;   in Loop: Header=BB8_3 Depth=1
	s_or_b32 exec_lo, exec_lo, s50
	s_barrier_signal -1
	s_barrier_wait -1
	s_and_saveexec_b32 s50, s31
; %bb.1002:                             ;   in Loop: Header=BB8_3 Depth=1
	ds_store_b32 v54, v24
; %bb.1003:                             ;   in Loop: Header=BB8_3 Depth=1
	s_or_b32 exec_lo, exec_lo, s50
	s_wait_dscnt 0x0
	s_barrier_signal -1
	s_barrier_wait -1
	s_and_saveexec_b32 s50, s33
	s_cbranch_execz .LBB8_1005
; %bb.1004:                             ;   in Loop: Header=BB8_3 Depth=1
	ds_load_b32 v28, v52 offset:15072
	ds_load_b32 v29, v54
	s_wait_dscnt 0x0
	v_fmac_f32_e32 v24, v28, v29
.LBB8_1005:                             ;   in Loop: Header=BB8_3 Depth=1
	s_or_b32 exec_lo, exec_lo, s50
	s_barrier_signal -1
	s_barrier_wait -1
	s_and_saveexec_b32 s50, s34
; %bb.1006:                             ;   in Loop: Header=BB8_3 Depth=1
	ds_store_b32 v54, v24
; %bb.1007:                             ;   in Loop: Header=BB8_3 Depth=1
	s_or_b32 exec_lo, exec_lo, s50
	s_wait_dscnt 0x0
	s_barrier_signal -1
	s_barrier_wait -1
	s_and_saveexec_b32 s50, s35
	;; [unrolled: 19-line block ×5, first 2 shown]
	s_cbranch_execz .LBB8_1021
; %bb.1020:                             ;   in Loop: Header=BB8_3 Depth=1
	ds_load_b32 v28, v7 offset:16124
	ds_load_b32 v29, v54
	s_wait_dscnt 0x0
	v_fmac_f32_e32 v24, v28, v29
.LBB8_1021:                             ;   in Loop: Header=BB8_3 Depth=1
	s_or_b32 exec_lo, exec_lo, s50
	s_barrier_signal -1
	s_barrier_wait -1
	s_and_saveexec_b32 s50, s41
; %bb.1022:                             ;   in Loop: Header=BB8_3 Depth=1
	ds_store_b32 v54, v24
; %bb.1023:                             ;   in Loop: Header=BB8_3 Depth=1
	s_or_b32 exec_lo, exec_lo, s50
	s_wait_dscnt 0x0
	s_barrier_signal -1
	s_barrier_wait -1
	s_barrier_signal -1
	s_barrier_wait -1
	s_and_saveexec_b32 s50, s3
; %bb.1024:                             ;   in Loop: Header=BB8_3 Depth=1
	v_xor_b32_e32 v24, 0x80000000, v24
	ds_store_b32 v55, v24 offset:12512
; %bb.1025:                             ;   in Loop: Header=BB8_3 Depth=1
	s_or_b32 exec_lo, exec_lo, s50
	s_wait_dscnt 0x0
	s_barrier_signal -1
	s_barrier_wait -1
	s_barrier_signal -1
	s_barrier_wait -1
	s_and_saveexec_b32 s50, s42
	s_cbranch_execz .LBB8_1027
; %bb.1026:                             ;   in Loop: Header=BB8_3 Depth=1
	ds_load_b32 v24, v42 offset:12512
	s_wait_dscnt 0x0
	ds_store_b32 v46, v24 offset:14528
	ds_load_b32 v24, v42 offset:12516
	s_wait_dscnt 0x0
	ds_store_b32 v46, v24 offset:14784
	;; [unrolled: 3-line block ×8, first 2 shown]
.LBB8_1027:                             ;   in Loop: Header=BB8_3 Depth=1
	s_or_b32 exec_lo, exec_lo, s50
	s_wait_dscnt 0x0
	s_barrier_signal -1
	s_barrier_wait -1
	s_and_saveexec_b32 s50, s11
	s_cbranch_execz .LBB8_1029
; %bb.1028:                             ;   in Loop: Header=BB8_3 Depth=1
	ds_load_b32 v24, v7 offset:14564
	ds_store_b32 v7, v25 offset:14560
	s_wait_dscnt 0x1
	ds_store_b64 v7, v[24:25] offset:14816
.LBB8_1029:                             ;   in Loop: Header=BB8_3 Depth=1
	s_or_b32 exec_lo, exec_lo, s50
	v_mov_b32_e32 v24, 0
	s_wait_dscnt 0x0
	s_barrier_signal -1
	s_barrier_wait -1
	s_and_saveexec_b32 s50, s0
	s_cbranch_execz .LBB8_1033
; %bb.1030:                             ;   in Loop: Header=BB8_3 Depth=1
	ds_load_b32 v24, v39 offset:14568
	ds_load_b32 v28, v40 offset:14560
	s_wait_dscnt 0x0
	v_fma_f32 v24, v24, v28, 0
	s_and_saveexec_b32 s51, s12
	s_cbranch_execz .LBB8_1032
; %bb.1031:                             ;   in Loop: Header=BB8_3 Depth=1
	ds_load_b32 v28, v46 offset:14824
	ds_load_b32 v29, v7 offset:14564
	s_wait_dscnt 0x0
	v_fmac_f32_e32 v24, v28, v29
.LBB8_1032:                             ;   in Loop: Header=BB8_3 Depth=1
	s_or_b32 exec_lo, exec_lo, s51
	s_delay_alu instid0(VALU_DEP_1)
	v_xor_b32_e32 v24, 0x80000000, v24
.LBB8_1033:                             ;   in Loop: Header=BB8_3 Depth=1
	s_or_b32 exec_lo, exec_lo, s50
	s_and_saveexec_b32 s50, s92
; %bb.1034:                             ;   in Loop: Header=BB8_3 Depth=1
	ds_store_b32 v37, v24
; %bb.1035:                             ;   in Loop: Header=BB8_3 Depth=1
	s_or_b32 exec_lo, exec_lo, s50
	s_wait_dscnt 0x0
	s_barrier_signal -1
	s_barrier_wait -1
	s_and_saveexec_b32 s50, s93
	s_cbranch_execz .LBB8_1037
; %bb.1036:                             ;   in Loop: Header=BB8_3 Depth=1
	ds_load_b32 v28, v7 offset:15084
	ds_load_b32 v29, v37
	s_wait_dscnt 0x0
	v_fmac_f32_e32 v24, v28, v29
.LBB8_1037:                             ;   in Loop: Header=BB8_3 Depth=1
	s_or_b32 exec_lo, exec_lo, s50
	s_barrier_signal -1
	s_barrier_wait -1
	s_and_saveexec_b32 s50, s93
; %bb.1038:                             ;   in Loop: Header=BB8_3 Depth=1
	ds_store_b32 v37, v24
; %bb.1039:                             ;   in Loop: Header=BB8_3 Depth=1
	s_or_b32 exec_lo, exec_lo, s50
	s_wait_dscnt 0x0
	s_barrier_signal -1
	s_barrier_wait -1
	s_barrier_signal -1
	s_barrier_wait -1
	s_and_saveexec_b32 s50, s0
; %bb.1040:                             ;   in Loop: Header=BB8_3 Depth=1
	v_xor_b32_e32 v24, 0x80000000, v24
	ds_store_b32 v39, v24 offset:14568
; %bb.1041:                             ;   in Loop: Header=BB8_3 Depth=1
	s_or_b32 exec_lo, exec_lo, s50
	s_wait_dscnt 0x0
	s_barrier_signal -1
	s_barrier_wait -1
	s_barrier_signal -1
	s_barrier_wait -1
	s_and_saveexec_b32 s50, s94
	s_cbranch_execz .LBB8_1043
; %bb.1042:                             ;   in Loop: Header=BB8_3 Depth=1
	ds_load_b32 v24, v50 offset:14568
	s_wait_dscnt 0x0
	ds_store_b32 v46, v24 offset:15072
	ds_load_b32 v24, v50 offset:14572
	s_wait_dscnt 0x0
	ds_store_b32 v46, v24 offset:15328
.LBB8_1043:                             ;   in Loop: Header=BB8_3 Depth=1
	s_or_b32 exec_lo, exec_lo, s50
	s_wait_dscnt 0x0
	s_barrier_signal -1
	s_barrier_wait -1
	s_and_saveexec_b32 s50, s11
	s_cbranch_execz .LBB8_1045
; %bb.1044:                             ;   in Loop: Header=BB8_3 Depth=1
	ds_load_b32 v24, v7 offset:15084
	ds_store_b32 v7, v25 offset:15080
	s_wait_dscnt 0x1
	ds_store_b64 v7, v[24:25] offset:15336
.LBB8_1045:                             ;   in Loop: Header=BB8_3 Depth=1
	s_or_b32 exec_lo, exec_lo, s50
	v_mov_b32_e32 v24, 0
	s_wait_dscnt 0x0
	s_barrier_signal -1
	s_barrier_wait -1
	s_and_saveexec_b32 s61, s2
	s_cbranch_execz .LBB8_1051
; %bb.1046:                             ;   in Loop: Header=BB8_3 Depth=1
	ds_load_b32 v24, v48 offset:14576
	ds_load_b32 v28, v41 offset:14560
	s_wait_dscnt 0x0
	v_fma_f32 v24, v24, v28, 0
	s_and_saveexec_b32 s50, s13
	s_cbranch_execnz .LBB8_1223
; %bb.1047:                             ;   in Loop: Header=BB8_3 Depth=1
	s_or_b32 exec_lo, exec_lo, s50
	s_and_saveexec_b32 s50, s14
	s_cbranch_execnz .LBB8_1224
.LBB8_1048:                             ;   in Loop: Header=BB8_3 Depth=1
	s_or_b32 exec_lo, exec_lo, s50
	s_and_saveexec_b32 s50, s0
	s_cbranch_execz .LBB8_1050
.LBB8_1049:                             ;   in Loop: Header=BB8_3 Depth=1
	ds_load_b32 v28, v53 offset:15344
	ds_load_b32 v29, v7 offset:14572
	s_wait_dscnt 0x0
	v_fmac_f32_e32 v24, v28, v29
.LBB8_1050:                             ;   in Loop: Header=BB8_3 Depth=1
	s_or_b32 exec_lo, exec_lo, s50
	s_delay_alu instid0(VALU_DEP_1)
	v_xor_b32_e32 v24, 0x80000000, v24
.LBB8_1051:                             ;   in Loop: Header=BB8_3 Depth=1
	s_or_b32 exec_lo, exec_lo, s61
	s_and_saveexec_b32 s50, s95
; %bb.1052:                             ;   in Loop: Header=BB8_3 Depth=1
	ds_store_b32 v47, v24
; %bb.1053:                             ;   in Loop: Header=BB8_3 Depth=1
	s_or_b32 exec_lo, exec_lo, s50
	s_wait_dscnt 0x0
	s_barrier_signal -1
	s_barrier_wait -1
	s_and_saveexec_b32 s50, s96
	s_cbranch_execz .LBB8_1055
; %bb.1054:                             ;   in Loop: Header=BB8_3 Depth=1
	ds_load_b32 v28, v45 offset:15600
	ds_load_b32 v29, v47
	s_wait_dscnt 0x0
	v_fmac_f32_e32 v24, v28, v29
.LBB8_1055:                             ;   in Loop: Header=BB8_3 Depth=1
	s_or_b32 exec_lo, exec_lo, s50
	s_barrier_signal -1
	s_barrier_wait -1
	s_and_saveexec_b32 s50, s97
; %bb.1056:                             ;   in Loop: Header=BB8_3 Depth=1
	ds_store_b32 v47, v24
; %bb.1057:                             ;   in Loop: Header=BB8_3 Depth=1
	s_or_b32 exec_lo, exec_lo, s50
	s_wait_dscnt 0x0
	s_barrier_signal -1
	s_barrier_wait -1
	s_and_saveexec_b32 s50, s98
	s_cbranch_execz .LBB8_1059
; %bb.1058:                             ;   in Loop: Header=BB8_3 Depth=1
	ds_load_b32 v28, v45 offset:15856
	ds_load_b32 v29, v47
	s_wait_dscnt 0x0
	v_fmac_f32_e32 v24, v28, v29
.LBB8_1059:                             ;   in Loop: Header=BB8_3 Depth=1
	s_or_b32 exec_lo, exec_lo, s50
	s_barrier_signal -1
	s_barrier_wait -1
	;; [unrolled: 19-line block ×3, first 2 shown]
	s_and_saveexec_b32 s50, s100
; %bb.1064:                             ;   in Loop: Header=BB8_3 Depth=1
	ds_store_b32 v47, v24
; %bb.1065:                             ;   in Loop: Header=BB8_3 Depth=1
	s_or_b32 exec_lo, exec_lo, s50
	s_wait_dscnt 0x0
	s_barrier_signal -1
	s_barrier_wait -1
	s_barrier_signal -1
	s_barrier_wait -1
	s_and_saveexec_b32 s50, s2
; %bb.1066:                             ;   in Loop: Header=BB8_3 Depth=1
	v_xor_b32_e32 v24, 0x80000000, v24
	ds_store_b32 v48, v24 offset:14576
; %bb.1067:                             ;   in Loop: Header=BB8_3 Depth=1
	s_or_b32 exec_lo, exec_lo, s50
	s_wait_dscnt 0x0
	s_barrier_signal -1
	s_barrier_wait -1
	s_barrier_signal -1
	s_barrier_wait -1
	s_and_saveexec_b32 s50, s101
	s_cbranch_execz .LBB8_1069
; %bb.1068:                             ;   in Loop: Header=BB8_3 Depth=1
	ds_load_b32 v24, v56 offset:14576
	s_wait_dscnt 0x0
	ds_store_b32 v59, v24 offset:15584
	ds_load_b32 v24, v56 offset:14580
	s_wait_dscnt 0x0
	ds_store_b32 v59, v24 offset:15840
	;; [unrolled: 3-line block ×4, first 2 shown]
.LBB8_1069:                             ;   in Loop: Header=BB8_3 Depth=1
	s_or_b32 exec_lo, exec_lo, s50
	s_wait_dscnt 0x0
	s_barrier_signal -1
	s_barrier_wait -1
	s_and_saveexec_b32 s50, s11
	s_cbranch_execz .LBB8_1071
; %bb.1070:                             ;   in Loop: Header=BB8_3 Depth=1
	ds_load_b32 v24, v7 offset:15604
	ds_store_b32 v7, v25 offset:15600
	s_wait_dscnt 0x1
	ds_store_b64 v7, v[24:25] offset:15856
.LBB8_1071:                             ;   in Loop: Header=BB8_3 Depth=1
	s_or_b32 exec_lo, exec_lo, s50
	v_mov_b32_e32 v24, 0
	s_wait_dscnt 0x0
	s_barrier_signal -1
	s_barrier_wait -1
	s_and_saveexec_b32 s50, s0
	s_cbranch_execz .LBB8_1075
; %bb.1072:                             ;   in Loop: Header=BB8_3 Depth=1
	ds_load_b32 v24, v39 offset:15608
	ds_load_b32 v28, v40 offset:15600
	s_wait_dscnt 0x0
	v_fma_f32 v24, v24, v28, 0
	s_and_saveexec_b32 s51, s12
	s_cbranch_execz .LBB8_1074
; %bb.1073:                             ;   in Loop: Header=BB8_3 Depth=1
	ds_load_b32 v28, v59 offset:15864
	ds_load_b32 v29, v7 offset:15604
	s_wait_dscnt 0x0
	v_fmac_f32_e32 v24, v28, v29
.LBB8_1074:                             ;   in Loop: Header=BB8_3 Depth=1
	s_or_b32 exec_lo, exec_lo, s51
	s_delay_alu instid0(VALU_DEP_1)
	v_xor_b32_e32 v24, 0x80000000, v24
.LBB8_1075:                             ;   in Loop: Header=BB8_3 Depth=1
	s_or_b32 exec_lo, exec_lo, s50
	s_and_saveexec_b32 s50, s92
; %bb.1076:                             ;   in Loop: Header=BB8_3 Depth=1
	ds_store_b32 v37, v24
; %bb.1077:                             ;   in Loop: Header=BB8_3 Depth=1
	s_or_b32 exec_lo, exec_lo, s50
	s_wait_dscnt 0x0
	s_barrier_signal -1
	s_barrier_wait -1
	s_and_saveexec_b32 s50, s93
	s_cbranch_execz .LBB8_1079
; %bb.1078:                             ;   in Loop: Header=BB8_3 Depth=1
	ds_load_b32 v28, v7 offset:16124
	ds_load_b32 v29, v37
	s_wait_dscnt 0x0
	v_fmac_f32_e32 v24, v28, v29
.LBB8_1079:                             ;   in Loop: Header=BB8_3 Depth=1
	s_or_b32 exec_lo, exec_lo, s50
	s_barrier_signal -1
	s_barrier_wait -1
	s_and_saveexec_b32 s50, s93
; %bb.1080:                             ;   in Loop: Header=BB8_3 Depth=1
	ds_store_b32 v37, v24
; %bb.1081:                             ;   in Loop: Header=BB8_3 Depth=1
	s_or_b32 exec_lo, exec_lo, s50
	s_wait_dscnt 0x0
	s_barrier_signal -1
	s_barrier_wait -1
	s_barrier_signal -1
	s_barrier_wait -1
	s_and_saveexec_b32 s50, s0
; %bb.1082:                             ;   in Loop: Header=BB8_3 Depth=1
	v_xor_b32_e32 v24, 0x80000000, v24
	ds_store_b32 v39, v24 offset:15608
; %bb.1083:                             ;   in Loop: Header=BB8_3 Depth=1
	s_or_b32 exec_lo, exec_lo, s50
	s_wait_dscnt 0x0
	s_barrier_signal -1
	s_barrier_wait -1
	s_barrier_signal -1
	s_barrier_wait -1
	s_and_saveexec_b32 s50, s94
	s_cbranch_execz .LBB8_1085
; %bb.1084:                             ;   in Loop: Header=BB8_3 Depth=1
	v_add_nc_u32_e32 v24, v59, v44
	ds_load_b32 v28, v24 offset:15608
	s_wait_dscnt 0x0
	ds_store_b32 v59, v28 offset:16112
	ds_load_b32 v24, v24 offset:15612
	s_wait_dscnt 0x0
	ds_store_b32 v59, v24 offset:16368
.LBB8_1085:                             ;   in Loop: Header=BB8_3 Depth=1
	s_or_b32 exec_lo, exec_lo, s50
	s_wait_dscnt 0x0
	s_barrier_signal -1
	s_barrier_wait -1
	s_and_saveexec_b32 s50, s11
	s_cbranch_execz .LBB8_1087
; %bb.1086:                             ;   in Loop: Header=BB8_3 Depth=1
	ds_load_b32 v24, v7 offset:16124
	ds_store_b32 v7, v25 offset:16120
	s_wait_dscnt 0x1
	ds_store_b64 v7, v[24:25] offset:16376
.LBB8_1087:                             ;   in Loop: Header=BB8_3 Depth=1
	s_or_b32 exec_lo, exec_lo, s50
.LBB8_1088:                             ;   in Loop: Header=BB8_3 Depth=1
	s_mul_u64 s[50:51], s[72:73], s[76:77]
	v_mov_b32_e32 v24, 0
	s_lshl_b64 s[50:51], s[50:51], 2
	s_wait_dscnt 0x0
	s_add_nc_u64 s[82:83], s[66:67], s[50:51]
	s_barrier_signal -1
	s_barrier_wait -1
	s_and_saveexec_b32 s50, s48
	s_cbranch_execz .LBB8_1090
; %bb.1089:                             ;   in Loop: Header=BB8_3 Depth=1
	v_lshl_add_u64 v[28:29], v[0:1], 2, s[82:83]
	global_load_b32 v24, v[28:29], off
	s_wait_loadcnt 0x0
	v_mul_f32_e64 v24, v24, -v30
.LBB8_1090:                             ;   in Loop: Header=BB8_3 Depth=1
	s_or_b32 exec_lo, exec_lo, s50
	s_delay_alu instid0(SALU_CYCLE_1)
	s_and_not1_b32 vcc_lo, exec_lo, s49
	s_cbranch_vccnz .LBB8_1116
; %bb.1091:                             ;   in Loop: Header=BB8_3 Depth=1
	v_mov_b32_e32 v86, -1
	s_lshl_b64 s[50:51], s[76:77], 2
	s_mov_b32 s61, 0
	s_add_nc_u64 s[84:85], s[74:75], s[50:51]
	s_branch .LBB8_1094
.LBB8_1092:                             ;   in Loop: Header=BB8_1094 Depth=2
	s_wait_xcnt 0x0
	ds_load_b32 v28, v71 offset:192
	s_wait_loadcnt_dscnt 0x0
	v_fmac_f32_e32 v24, v30, v28
.LBB8_1093:                             ;   in Loop: Header=BB8_1094 Depth=2
	s_or_b32 exec_lo, exec_lo, s50
	s_add_co_i32 s61, s61, 1
	s_delay_alu instid0(SALU_CYCLE_1)
	s_cmp_eq_u32 s61, s87
	s_cbranch_scc1 .LBB8_1116
.LBB8_1094:                             ;   Parent Loop BB8_3 Depth=1
                                        ; =>  This Loop Header: Depth=2
                                        ;       Child Loop BB8_1096 Depth 3
	v_cmp_gt_i32_e32 vcc_lo, s61, v86
	s_and_b32 s51, s55, vcc_lo
	s_delay_alu instid0(SALU_CYCLE_1)
	s_and_saveexec_b32 s50, s51
	s_cbranch_execz .LBB8_1097
; %bb.1095:                             ;   in Loop: Header=BB8_1094 Depth=2
	global_load_b32 v86, v7, s[84:85]
	s_wait_loadcnt 0x0
	v_cmp_le_i32_e32 vcc_lo, s61, v86
	s_cbranch_vccnz .LBB8_1097
.LBB8_1096:                             ;   Parent Loop BB8_3 Depth=1
                                        ;     Parent Loop BB8_1094 Depth=2
                                        ; =>    This Inner Loop Header: Depth=3
	global_wb scope:SCOPE_DEV
	s_wait_storecnt 0x0
	global_inv scope:SCOPE_DEV
	global_load_b32 v86, v7, s[84:85]
	s_wait_loadcnt 0x0
	v_cmp_gt_i32_e32 vcc_lo, s61, v86
	s_cbranch_vccnz .LBB8_1096
.LBB8_1097:                             ;   in Loop: Header=BB8_1094 Depth=2
	s_or_b32 exec_lo, exec_lo, s50
	s_sub_co_i32 s60, s88, s61
	global_wb scope:SCOPE_DEV
	s_wait_storecnt 0x0
	global_inv scope:SCOPE_DEV
	s_lshl_b32 s50, s60, 6
	s_wait_loadcnt 0x0
	s_barrier_signal -1
	s_barrier_wait -1
	s_and_saveexec_b32 s51, s56
	s_cbranch_execz .LBB8_1101
; %bb.1098:                             ;   in Loop: Header=BB8_1094 Depth=2
	s_ashr_i32 s52, s50, 31
	s_delay_alu instid0(SALU_CYCLE_1) | instskip(SKIP_2) | instid1(VALU_DEP_1)
	v_dual_mov_b32 v30, 0 :: v_dual_mov_b32 v29, s52
	v_or_b32_e32 v28, s50, v6
	s_mov_b32 s52, exec_lo
	v_cmpx_gt_i64_e64 s[78:79], v[28:29]
	s_cbranch_execz .LBB8_1100
; %bb.1099:                             ;   in Loop: Header=BB8_1094 Depth=2
	v_mul_u64_e32 v[28:29], s[70:71], v[28:29]
	s_delay_alu instid0(VALU_DEP_1)
	v_lshl_add_u64 v[28:29], v[28:29], 2, s[82:83]
	global_load_b32 v30, v[28:29], off
.LBB8_1100:                             ;   in Loop: Header=BB8_1094 Depth=2
	s_wait_xcnt 0x0
	s_or_b32 exec_lo, exec_lo, s52
	s_wait_loadcnt 0x0
	ds_store_b32 v70, v30
.LBB8_1101:                             ;   in Loop: Header=BB8_1094 Depth=2
	s_or_b32 exec_lo, exec_lo, s51
	v_add_nc_u32_e32 v30, s50, v2
	s_cmp_lg_u32 s60, s57
	s_wait_dscnt 0x0
	s_cselect_b32 s51, -1, 0
	s_barrier_signal -1
	v_ashrrev_i32_e32 v31, 31, v30
	v_cmp_gt_i32_e32 vcc_lo, s78, v30
	s_barrier_wait -1
	s_delay_alu instid0(VALU_DEP_2) | instskip(SKIP_2) | instid1(SALU_CYCLE_1)
	v_lshl_add_u64 v[28:29], v[30:31], 2, v[26:27]
	v_cndmask_b32_e64 v31, 0, 1, s51
	s_and_b32 s52, vcc_lo, s6
	s_and_saveexec_b32 s50, s52
	s_cbranch_execz .LBB8_1105
; %bb.1102:                             ;   in Loop: Header=BB8_1094 Depth=2
	v_mov_b32_e32 v87, v82
	s_and_not1_b32 vcc_lo, exec_lo, s51
	s_cbranch_vccnz .LBB8_1104
; %bb.1103:                             ;   in Loop: Header=BB8_1094 Depth=2
	global_load_b32 v87, v[28:29], off
.LBB8_1104:                             ;   in Loop: Header=BB8_1094 Depth=2
	ds_load_b32 v88, v71
	s_wait_loadcnt_dscnt 0x0
	v_fmac_f32_e32 v24, v87, v88
.LBB8_1105:                             ;   in Loop: Header=BB8_1094 Depth=2
	s_or_b32 exec_lo, exec_lo, s50
	v_add_nc_u32_e32 v87, 16, v30
	s_delay_alu instid0(VALU_DEP_1) | instskip(SKIP_1) | instid1(SALU_CYCLE_1)
	v_cmp_gt_i32_e32 vcc_lo, s78, v87
	s_and_b32 s51, vcc_lo, s6
	s_and_saveexec_b32 s50, s51
	s_cbranch_execz .LBB8_1109
; %bb.1106:                             ;   in Loop: Header=BB8_1094 Depth=2
	v_cmp_ne_u32_e32 vcc_lo, 1, v31
	v_mov_b32_e32 v87, v83
	s_cbranch_vccnz .LBB8_1108
; %bb.1107:                             ;   in Loop: Header=BB8_1094 Depth=2
	global_load_b32 v87, v[28:29], off offset:64
.LBB8_1108:                             ;   in Loop: Header=BB8_1094 Depth=2
	ds_load_b32 v88, v71 offset:64
	s_wait_loadcnt_dscnt 0x0
	v_fmac_f32_e32 v24, v87, v88
.LBB8_1109:                             ;   in Loop: Header=BB8_1094 Depth=2
	s_or_b32 exec_lo, exec_lo, s50
	v_add_nc_u32_e32 v87, 32, v30
	s_delay_alu instid0(VALU_DEP_1) | instskip(SKIP_1) | instid1(SALU_CYCLE_1)
	v_cmp_gt_i32_e32 vcc_lo, s78, v87
	s_and_b32 s51, vcc_lo, s6
	s_and_saveexec_b32 s50, s51
	s_cbranch_execz .LBB8_1113
; %bb.1110:                             ;   in Loop: Header=BB8_1094 Depth=2
	v_cmp_ne_u32_e32 vcc_lo, 1, v31
	v_mov_b32_e32 v87, v84
	s_cbranch_vccnz .LBB8_1112
; %bb.1111:                             ;   in Loop: Header=BB8_1094 Depth=2
	global_load_b32 v87, v[28:29], off offset:128
.LBB8_1112:                             ;   in Loop: Header=BB8_1094 Depth=2
	ds_load_b32 v88, v71 offset:128
	s_wait_loadcnt_dscnt 0x0
	v_fmac_f32_e32 v24, v87, v88
.LBB8_1113:                             ;   in Loop: Header=BB8_1094 Depth=2
	s_or_b32 exec_lo, exec_lo, s50
	v_add_nc_u32_e32 v30, 48, v30
	s_delay_alu instid0(VALU_DEP_1) | instskip(SKIP_1) | instid1(SALU_CYCLE_1)
	v_cmp_gt_i32_e32 vcc_lo, s78, v30
	s_and_b32 s51, vcc_lo, s6
	s_and_saveexec_b32 s50, s51
	s_cbranch_execz .LBB8_1093
; %bb.1114:                             ;   in Loop: Header=BB8_1094 Depth=2
	v_cmp_ne_u32_e32 vcc_lo, 1, v31
	v_mov_b32_e32 v30, v85
	s_cbranch_vccnz .LBB8_1092
; %bb.1115:                             ;   in Loop: Header=BB8_1094 Depth=2
	global_load_b32 v30, v[28:29], off offset:192
	s_branch .LBB8_1092
.LBB8_1116:                             ;   in Loop: Header=BB8_3 Depth=1
	ds_store_b32 v72, v24
	s_wait_dscnt 0x0
	s_barrier_signal -1
	s_barrier_wait -1
	s_and_saveexec_b32 s61, s1
	s_cbranch_execz .LBB8_1118
; %bb.1117:                             ;   in Loop: Header=BB8_3 Depth=1
	ds_load_2addr_stride64_b32 v[26:27], v73 offset0:1 offset1:2
	ds_load_2addr_stride64_b32 v[28:29], v73 offset0:3 offset1:4
	;; [unrolled: 1-line block ×4, first 2 shown]
	v_readlane_b32 s50, v91, 10
	s_wait_dscnt 0x3
	v_add_f32_e32 v24, v24, v26
	s_delay_alu instid0(VALU_DEP_1) | instskip(SKIP_3) | instid1(VALU_DEP_1)
	v_add_f32_e32 v24, v24, v27
	ds_load_2addr_stride64_b32 v[26:27], v73 offset0:9 offset1:10
	s_wait_dscnt 0x3
	v_add_f32_e32 v24, v24, v28
	v_add_f32_e32 v24, v24, v29
	ds_load_2addr_stride64_b32 v[28:29], v73 offset0:11 offset1:12
	s_wait_dscnt 0x3
	v_add_f32_e32 v24, v24, v30
	s_delay_alu instid0(VALU_DEP_1) | instskip(SKIP_1) | instid1(VALU_DEP_1)
	v_add_f32_e32 v24, v24, v31
	s_wait_dscnt 0x2
	v_add_f32_e32 v24, v24, v86
	ds_load_2addr_stride64_b32 v[30:31], v73 offset0:13 offset1:14
	ds_load_b32 v86, v73 offset:3840
	v_add_f32_e32 v24, v24, v87
	s_wait_dscnt 0x3
	s_delay_alu instid0(VALU_DEP_1) | instskip(NEXT) | instid1(VALU_DEP_1)
	v_add_f32_e32 v24, v24, v26
	v_add_f32_e32 v24, v24, v27
	s_wait_dscnt 0x2
	s_delay_alu instid0(VALU_DEP_1) | instskip(NEXT) | instid1(VALU_DEP_1)
	v_add_f32_e32 v24, v24, v28
	;; [unrolled: 4-line block ×4, first 2 shown]
	v_cndmask_b32_e64 v24, -v24, 0, s50
.LBB8_1118:                             ;   in Loop: Header=BB8_3 Depth=1
	s_or_b32 exec_lo, exec_lo, s61
	s_delay_alu instid0(SALU_CYCLE_1)
	s_and_not1_b32 vcc_lo, exec_lo, s91
	s_cbranch_vccnz .LBB8_1128
; %bb.1119:                             ;   in Loop: Header=BB8_3 Depth=1
	s_and_saveexec_b32 s50, s1
; %bb.1120:                             ;   in Loop: Header=BB8_3 Depth=1
	ds_store_b32 v75, v24
; %bb.1121:                             ;   in Loop: Header=BB8_3 Depth=1
	s_or_b32 exec_lo, exec_lo, s50
	v_mov_b32_e32 v26, 0
	s_wait_dscnt 0x0
	s_barrier_signal -1
	s_barrier_wait -1
	s_and_saveexec_b32 s50, s7
	s_cbranch_execnz .LBB8_1168
; %bb.1122:                             ;   in Loop: Header=BB8_3 Depth=1
	s_or_b32 exec_lo, exec_lo, s50
	s_and_saveexec_b32 s50, s8
	s_cbranch_execnz .LBB8_1169
.LBB8_1123:                             ;   in Loop: Header=BB8_3 Depth=1
	s_or_b32 exec_lo, exec_lo, s50
	s_and_saveexec_b32 s50, s9
	s_cbranch_execnz .LBB8_1170
.LBB8_1124:                             ;   in Loop: Header=BB8_3 Depth=1
	s_or_b32 exec_lo, exec_lo, s50
	s_and_saveexec_b32 s50, s10
	s_cbranch_execz .LBB8_1126
.LBB8_1125:                             ;   in Loop: Header=BB8_3 Depth=1
	ds_load_b32 v27, v74 offset:12288
	ds_load_b32 v28, v71 offset:192
	s_wait_dscnt 0x0
	v_fmac_f32_e32 v26, v27, v28
.LBB8_1126:                             ;   in Loop: Header=BB8_3 Depth=1
	s_or_b32 exec_lo, exec_lo, s50
	s_mov_b32 s61, 0
	s_mov_b32 s84, 0
	ds_store_b32 v72, v26
	s_wait_dscnt 0x0
	s_barrier_signal -1
	s_barrier_wait -1
                                        ; implicit-def: $vgpr27
	s_and_saveexec_b32 s85, s1
	s_cbranch_execz .LBB8_1171
; %bb.1127:                             ;   in Loop: Header=BB8_3 Depth=1
	ds_load_2addr_stride64_b32 v[28:29], v73 offset0:1 offset1:2
	ds_load_2addr_stride64_b32 v[30:31], v73 offset0:3 offset1:4
	;; [unrolled: 1-line block ×4, first 2 shown]
	s_mov_b32 s84, exec_lo
	s_wait_dscnt 0x3
	v_add_f32_e32 v26, v26, v28
	s_delay_alu instid0(VALU_DEP_1) | instskip(SKIP_1) | instid1(VALU_DEP_1)
	v_add_f32_e32 v26, v29, v26
	s_wait_dscnt 0x2
	v_add_f32_e32 v26, v30, v26
	s_delay_alu instid0(VALU_DEP_1) | instskip(SKIP_1) | instid1(VALU_DEP_1)
	v_add_f32_e32 v26, v31, v26
	s_wait_dscnt 0x1
	v_add_f32_e32 v28, v86, v26
	ds_load_2addr_stride64_b32 v[26:27], v73 offset0:9 offset1:10
	v_add_f32_e32 v28, v87, v28
	s_wait_dscnt 0x1
	s_delay_alu instid0(VALU_DEP_1)
	v_add_f32_e32 v30, v88, v28
	ds_load_2addr_stride64_b32 v[28:29], v73 offset0:11 offset1:12
	v_add_f32_e32 v86, v89, v30
	ds_load_2addr_stride64_b32 v[30:31], v73 offset0:13 offset1:14
	ds_load_b32 v87, v73 offset:3840
	s_wait_dscnt 0x3
	v_add_f32_e32 v26, v26, v86
	s_delay_alu instid0(VALU_DEP_1) | instskip(SKIP_1) | instid1(VALU_DEP_1)
	v_add_f32_e32 v26, v27, v26
	s_wait_dscnt 0x2
	v_add_f32_e32 v26, v28, v26
	s_delay_alu instid0(VALU_DEP_1) | instskip(SKIP_1) | instid1(VALU_DEP_1)
	v_add_f32_e32 v26, v29, v26
	;; [unrolled: 4-line block ×3, first 2 shown]
	s_wait_dscnt 0x0
	v_add_f32_e32 v27, v87, v26
	s_or_b32 exec_lo, exec_lo, s85
	s_delay_alu instid0(SALU_CYCLE_1)
	s_and_b32 vcc_lo, exec_lo, s61
	s_cbranch_vccnz .LBB8_1129
	s_branch .LBB8_1172
.LBB8_1128:                             ;   in Loop: Header=BB8_3 Depth=1
	s_mov_b32 s84, 0
                                        ; implicit-def: $vgpr27
	s_cbranch_execz .LBB8_1172
.LBB8_1129:                             ;   in Loop: Header=BB8_3 Depth=1
	v_dual_mov_b32 v26, v81 :: v_dual_mov_b32 v27, v80
	s_mov_b32 s61, 63
	s_branch .LBB8_1131
.LBB8_1130:                             ;   in Loop: Header=BB8_1131 Depth=2
	s_or_b32 exec_lo, exec_lo, s50
	v_add_nc_u32_e32 v27, 0xfffffc00, v27
	v_add_nc_u32_e32 v26, 4, v26
	s_add_co_i32 s61, s61, -4
	s_cmp_lg_u32 s60, 0
	s_barrier_signal -1
	s_barrier_wait -1
	s_cbranch_scc0 .LBB8_1147
.LBB8_1131:                             ;   Parent Loop BB8_3 Depth=1
                                        ; =>  This Inner Loop Header: Depth=2
	s_delay_alu instid0(VALU_DEP_1) | instskip(SKIP_1) | instid1(SALU_CYCLE_1)
	v_cmp_eq_u32_e32 vcc_lo, 0, v26
	s_and_b32 s51, s1, vcc_lo
	s_and_saveexec_b32 s50, s51
; %bb.1132:                             ;   in Loop: Header=BB8_1131 Depth=2
	ds_store_b32 v7, v24 offset:20736
; %bb.1133:                             ;   in Loop: Header=BB8_1131 Depth=2
	s_or_b32 exec_lo, exec_lo, s50
	v_cmp_gt_u32_e32 vcc_lo, s61, v4
	s_wait_dscnt 0x0
	s_barrier_signal -1
	s_barrier_wait -1
	s_and_b32 s51, s1, vcc_lo
	s_delay_alu instid0(SALU_CYCLE_1)
	s_and_saveexec_b32 s50, s51
	s_cbranch_execz .LBB8_1135
; %bb.1134:                             ;   in Loop: Header=BB8_1131 Depth=2
	ds_load_b32 v28, v27 offset:768
	ds_load_b32 v29, v7 offset:20736
	s_wait_dscnt 0x0
	v_fmac_f32_e32 v24, v28, v29
.LBB8_1135:                             ;   in Loop: Header=BB8_1131 Depth=2
	s_or_b32 exec_lo, exec_lo, s50
	s_add_co_i32 s50, s61, -1
	s_delay_alu instid0(SALU_CYCLE_1) | instskip(SKIP_3) | instid1(SALU_CYCLE_1)
	v_cmp_eq_u32_e32 vcc_lo, s50, v4
	s_barrier_signal -1
	s_barrier_wait -1
	s_and_b32 s52, s1, vcc_lo
	s_and_saveexec_b32 s51, s52
; %bb.1136:                             ;   in Loop: Header=BB8_1131 Depth=2
	ds_store_b32 v7, v24 offset:20736
; %bb.1137:                             ;   in Loop: Header=BB8_1131 Depth=2
	s_or_b32 exec_lo, exec_lo, s51
	v_cmp_gt_u32_e32 vcc_lo, s50, v4
	s_wait_dscnt 0x0
	s_barrier_signal -1
	s_barrier_wait -1
	s_and_b32 s51, s1, vcc_lo
	s_delay_alu instid0(SALU_CYCLE_1)
	s_and_saveexec_b32 s50, s51
	s_cbranch_execz .LBB8_1139
; %bb.1138:                             ;   in Loop: Header=BB8_1131 Depth=2
	ds_load_b32 v28, v27 offset:512
	ds_load_b32 v29, v7 offset:20736
	s_wait_dscnt 0x0
	v_fmac_f32_e32 v24, v28, v29
.LBB8_1139:                             ;   in Loop: Header=BB8_1131 Depth=2
	s_or_b32 exec_lo, exec_lo, s50
	s_add_co_i32 s50, s61, -2
	s_delay_alu instid0(SALU_CYCLE_1) | instskip(SKIP_3) | instid1(SALU_CYCLE_1)
	v_cmp_eq_u32_e32 vcc_lo, s50, v4
	s_barrier_signal -1
	s_barrier_wait -1
	;; [unrolled: 26-line block ×3, first 2 shown]
	s_and_b32 s51, s1, vcc_lo
	s_and_saveexec_b32 s50, s51
; %bb.1144:                             ;   in Loop: Header=BB8_1131 Depth=2
	ds_store_b32 v7, v24 offset:20736
; %bb.1145:                             ;   in Loop: Header=BB8_1131 Depth=2
	s_or_b32 exec_lo, exec_lo, s50
	v_cmp_gt_u32_e32 vcc_lo, s60, v4
	s_wait_dscnt 0x0
	s_barrier_signal -1
	s_barrier_wait -1
	s_and_b32 s51, s1, vcc_lo
	s_delay_alu instid0(SALU_CYCLE_1)
	s_and_saveexec_b32 s50, s51
	s_cbranch_execz .LBB8_1130
; %bb.1146:                             ;   in Loop: Header=BB8_1131 Depth=2
	ds_load_b32 v28, v27
	ds_load_b32 v29, v7 offset:20736
	s_wait_dscnt 0x0
	v_fmac_f32_e32 v24, v28, v29
	s_branch .LBB8_1130
.LBB8_1147:                             ;   in Loop: Header=BB8_3 Depth=1
	s_and_b32 vcc_lo, exec_lo, s89
	s_mov_b32 s50, -1
	s_cbranch_vccnz .LBB8_1173
; %bb.1148:                             ;   in Loop: Header=BB8_3 Depth=1
	s_and_not1_b32 vcc_lo, exec_lo, s50
	s_cbranch_vccz .LBB8_1174
.LBB8_1149:                             ;   in Loop: Header=BB8_3 Depth=1
	s_and_saveexec_b32 s50, s84
	s_cbranch_execz .LBB8_1151
.LBB8_1150:                             ;   in Loop: Header=BB8_3 Depth=1
	v_lshl_add_u64 v[26:27], v[12:13], 2, s[82:83]
	global_store_b32 v[26:27], v24, off
.LBB8_1151:                             ;   in Loop: Header=BB8_3 Depth=1
	s_wait_xcnt 0x0
	s_or_b32 exec_lo, exec_lo, s50
	global_wb scope:SCOPE_DEV
	s_wait_storecnt 0x0
	global_inv scope:SCOPE_DEV
	s_wait_loadcnt 0x0
	s_barrier_signal -1
	s_barrier_wait -1
	s_and_saveexec_b32 s50, s55
	s_cbranch_execz .LBB8_2
; %bb.1152:                             ;   in Loop: Header=BB8_3 Depth=1
	s_lshl_b64 s[60:61], s[76:77], 2
	s_delay_alu instid0(SALU_CYCLE_1)
	s_add_nc_u64 s[60:61], s[74:75], s[60:61]
	global_load_b32 v24, v7, s[60:61]
	s_wait_loadcnt 0x0
	v_add_nc_u32_e32 v24, 1, v24
	global_store_b32 v7, v24, s[60:61]
	s_branch .LBB8_2
.LBB8_1153:                             ;   in Loop: Header=BB8_3 Depth=1
	s_mov_b32 s51, exec_lo
	v_readlane_b32 s52, v90, 22
	s_and_b32 s52, s51, s52
	s_delay_alu instid0(SALU_CYCLE_1)
	s_mov_b32 exec_lo, s52
; %bb.1154:                             ;   in Loop: Header=BB8_3 Depth=1
	ds_store_b32 v76, v7
; %bb.1155:                             ;   in Loop: Header=BB8_3 Depth=1
	s_or_b32 exec_lo, exec_lo, s51
	s_and_not1_saveexec_b32 s50, s50
	s_cbranch_execz .LBB8_16
.LBB8_1156:                             ;   in Loop: Header=BB8_3 Depth=1
	v_lshl_add_u64 v[86:87], v[14:15], 2, v[28:29]
	global_load_b32 v24, v[86:87], off
	s_wait_loadcnt 0x0
	v_xor_b32_e32 v24, 0x80000000, v24
	ds_store_b32 v76, v24
	s_or_b32 exec_lo, exec_lo, s50
	s_and_saveexec_b32 s50, s8
	s_delay_alu instid0(SALU_CYCLE_1)
	s_xor_b32 s50, exec_lo, s50
	s_cbranch_execz .LBB8_17
.LBB8_1157:                             ;   in Loop: Header=BB8_3 Depth=1
	s_mov_b32 s51, exec_lo
	v_readlane_b32 s52, v90, 23
	s_and_b32 s52, s51, s52
	s_delay_alu instid0(SALU_CYCLE_1)
	s_mov_b32 exec_lo, s52
; %bb.1158:                             ;   in Loop: Header=BB8_3 Depth=1
	ds_store_b32 v3, v7
; %bb.1159:                             ;   in Loop: Header=BB8_3 Depth=1
	s_or_b32 exec_lo, exec_lo, s51
	s_and_not1_saveexec_b32 s50, s50
	s_cbranch_execz .LBB8_18
.LBB8_1160:                             ;   in Loop: Header=BB8_3 Depth=1
	v_lshl_add_u64 v[86:87], v[16:17], 2, v[28:29]
	global_load_b32 v24, v[86:87], off
	s_wait_loadcnt 0x0
	v_xor_b32_e32 v24, 0x80000000, v24
	ds_store_b32 v3, v24
	s_or_b32 exec_lo, exec_lo, s50
	s_and_saveexec_b32 s50, s9
	s_delay_alu instid0(SALU_CYCLE_1)
	s_xor_b32 s50, exec_lo, s50
	s_cbranch_execz .LBB8_19
.LBB8_1161:                             ;   in Loop: Header=BB8_3 Depth=1
	s_mov_b32 s51, exec_lo
	v_readlane_b32 s52, v90, 24
	s_and_b32 s52, s51, s52
	s_delay_alu instid0(SALU_CYCLE_1)
	s_mov_b32 exec_lo, s52
; %bb.1162:                             ;   in Loop: Header=BB8_3 Depth=1
	ds_store_b32 v77, v7
; %bb.1163:                             ;   in Loop: Header=BB8_3 Depth=1
	s_or_b32 exec_lo, exec_lo, s51
	s_and_not1_saveexec_b32 s50, s50
	s_cbranch_execz .LBB8_20
.LBB8_1164:                             ;   in Loop: Header=BB8_3 Depth=1
	v_lshl_add_u64 v[86:87], v[18:19], 2, v[28:29]
	global_load_b32 v24, v[86:87], off
	s_wait_loadcnt 0x0
	v_xor_b32_e32 v24, 0x80000000, v24
	ds_store_b32 v77, v24
	s_or_b32 exec_lo, exec_lo, s50
	s_and_saveexec_b32 s50, s10
	s_delay_alu instid0(SALU_CYCLE_1)
	s_xor_b32 s50, exec_lo, s50
	s_cbranch_execz .LBB8_21
.LBB8_1165:                             ;   in Loop: Header=BB8_3 Depth=1
	s_mov_b32 s51, exec_lo
	v_readlane_b32 s52, v90, 25
	s_and_b32 s52, s51, s52
	s_delay_alu instid0(SALU_CYCLE_1)
	s_mov_b32 exec_lo, s52
; %bb.1166:                             ;   in Loop: Header=BB8_3 Depth=1
	ds_store_b32 v78, v7
; %bb.1167:                             ;   in Loop: Header=BB8_3 Depth=1
	s_or_b32 exec_lo, exec_lo, s51
	s_and_not1_saveexec_b32 s50, s50
	s_cbranch_execnz .LBB8_22
	s_branch .LBB8_23
.LBB8_1168:                             ;   in Loop: Header=BB8_3 Depth=1
	ds_load_b32 v26, v74
	ds_load_b32 v27, v71
	s_wait_dscnt 0x0
	v_fma_f32 v26, v26, v27, 0
	s_or_b32 exec_lo, exec_lo, s50
	s_and_saveexec_b32 s50, s8
	s_cbranch_execz .LBB8_1123
.LBB8_1169:                             ;   in Loop: Header=BB8_3 Depth=1
	ds_load_b32 v27, v74 offset:4096
	ds_load_b32 v28, v71 offset:64
	s_wait_dscnt 0x0
	v_fmac_f32_e32 v26, v27, v28
	s_or_b32 exec_lo, exec_lo, s50
	s_and_saveexec_b32 s50, s9
	s_cbranch_execz .LBB8_1124
.LBB8_1170:                             ;   in Loop: Header=BB8_3 Depth=1
	ds_load_b32 v27, v74 offset:8192
	ds_load_b32 v28, v71 offset:128
	s_wait_dscnt 0x0
	v_fmac_f32_e32 v26, v27, v28
	s_or_b32 exec_lo, exec_lo, s50
	s_and_saveexec_b32 s50, s10
	s_cbranch_execnz .LBB8_1125
	s_branch .LBB8_1126
.LBB8_1171:                             ;   in Loop: Header=BB8_3 Depth=1
	s_or_b32 exec_lo, exec_lo, s85
	s_delay_alu instid0(SALU_CYCLE_1)
	s_and_b32 vcc_lo, exec_lo, s61
	s_cbranch_vccnz .LBB8_1129
.LBB8_1172:                             ;   in Loop: Header=BB8_3 Depth=1
	v_mov_b32_e32 v24, v27
	s_and_saveexec_b32 s50, s84
	s_cbranch_execnz .LBB8_1150
	s_branch .LBB8_1151
.LBB8_1173:                             ;   in Loop: Header=BB8_3 Depth=1
	s_and_not1_b32 s51, s84, exec_lo
	s_and_b32 s52, s1, exec_lo
	s_delay_alu instid0(SALU_CYCLE_1)
	s_or_b32 s84, s51, s52
	s_cbranch_execnz .LBB8_1149
.LBB8_1174:                             ;   in Loop: Header=BB8_3 Depth=1
	v_readlane_b32 s51, v91, 11
	s_and_not1_b32 s50, s84, exec_lo
	s_and_b32 s51, s51, exec_lo
	s_delay_alu instid0(SALU_CYCLE_1) | instskip(NEXT) | instid1(SALU_CYCLE_1)
	s_or_b32 s84, s50, s51
	s_and_saveexec_b32 s50, s84
	s_cbranch_execnz .LBB8_1150
	s_branch .LBB8_1151
.LBB8_1175:                             ;   in Loop: Header=BB8_3 Depth=1
	ds_load_b32 v28, v49 offset:272
	ds_load_b32 v29, v41 offset:4
	s_wait_dscnt 0x0
	v_fmac_f32_e32 v24, v28, v29
	s_or_b32 exec_lo, exec_lo, s50
	s_and_saveexec_b32 s50, s14
	s_cbranch_execz .LBB8_72
.LBB8_1176:                             ;   in Loop: Header=BB8_3 Depth=1
	ds_load_b32 v28, v48 offset:528
	ds_load_b32 v29, v41 offset:8
	s_wait_dscnt 0x0
	v_fmac_f32_e32 v24, v28, v29
	s_or_b32 exec_lo, exec_lo, s50
	s_and_saveexec_b32 s50, s0
	s_cbranch_execnz .LBB8_73
	s_branch .LBB8_74
.LBB8_1177:                             ;   in Loop: Header=BB8_3 Depth=1
	ds_load_b32 v28, v57 offset:288
	ds_load_b32 v29, v51 offset:4
	s_wait_dscnt 0x0
	v_fmac_f32_e32 v24, v28, v29
	s_or_b32 exec_lo, exec_lo, s50
	s_and_saveexec_b32 s50, s16
	s_cbranch_execz .LBB8_114
.LBB8_1178:                             ;   in Loop: Header=BB8_3 Depth=1
	ds_load_b32 v28, v57 offset:544
	ds_load_b32 v29, v51 offset:8
	s_wait_dscnt 0x0
	v_fmac_f32_e32 v24, v28, v29
	s_or_b32 exec_lo, exec_lo, s50
	s_and_saveexec_b32 s50, s17
	s_cbranch_execz .LBB8_115
.LBB8_1179:                             ;   in Loop: Header=BB8_3 Depth=1
	ds_load_b32 v28, v57 offset:800
	ds_load_b32 v29, v51 offset:12
	s_wait_dscnt 0x0
	v_fmac_f32_e32 v24, v28, v29
	s_or_b32 exec_lo, exec_lo, s50
	s_and_saveexec_b32 s50, s18
	s_cbranch_execz .LBB8_116
.LBB8_1180:                             ;   in Loop: Header=BB8_3 Depth=1
	ds_load_b32 v28, v55 offset:1056
	ds_load_b32 v29, v51 offset:16
	s_wait_dscnt 0x0
	v_fmac_f32_e32 v24, v28, v29
	s_or_b32 exec_lo, exec_lo, s50
	s_and_saveexec_b32 s50, s19
	s_cbranch_execz .LBB8_117
.LBB8_1181:                             ;   in Loop: Header=BB8_3 Depth=1
	ds_load_b32 v28, v57 offset:1312
	ds_load_b32 v29, v51 offset:20
	s_wait_dscnt 0x0
	v_fmac_f32_e32 v24, v28, v29
	s_or_b32 exec_lo, exec_lo, s50
	s_and_saveexec_b32 s50, s2
	s_cbranch_execz .LBB8_118
.LBB8_1182:                             ;   in Loop: Header=BB8_3 Depth=1
	ds_load_b32 v28, v55 offset:1568
	ds_load_b32 v29, v51 offset:24
	s_wait_dscnt 0x0
	v_fmac_f32_e32 v24, v28, v29
	s_or_b32 exec_lo, exec_lo, s50
	s_and_saveexec_b32 s50, s14
	s_cbranch_execnz .LBB8_119
	s_branch .LBB8_120
.LBB8_1183:                             ;   in Loop: Header=BB8_3 Depth=1
	ds_load_b32 v28, v49 offset:2352
	ds_load_b32 v29, v41 offset:2084
	s_wait_dscnt 0x0
	v_fmac_f32_e32 v24, v28, v29
	s_or_b32 exec_lo, exec_lo, s50
	s_and_saveexec_b32 s50, s14
	s_cbranch_execz .LBB8_176
.LBB8_1184:                             ;   in Loop: Header=BB8_3 Depth=1
	ds_load_b32 v28, v48 offset:2608
	ds_load_b32 v29, v41 offset:2088
	s_wait_dscnt 0x0
	v_fmac_f32_e32 v24, v28, v29
	s_or_b32 exec_lo, exec_lo, s50
	s_and_saveexec_b32 s50, s0
	s_cbranch_execnz .LBB8_177
	s_branch .LBB8_178
.LBB8_1185:                             ;   in Loop: Header=BB8_3 Depth=1
	ds_load_b32 v28, v66 offset:2880
	ds_load_b32 v29, v58 offset:44
	s_wait_dscnt 0x0
	v_fmac_f32_e32 v24, v28, v29
	s_or_b32 exec_lo, exec_lo, s50
	s_and_saveexec_b32 s50, s3
	s_cbranch_execz .LBB8_238
.LBB8_1186:                             ;   in Loop: Header=BB8_3 Depth=1
	ds_load_b32 v28, v65 offset:3136
	ds_load_b32 v29, v58 offset:48
	s_wait_dscnt 0x0
	v_fmac_f32_e32 v24, v28, v29
	s_or_b32 exec_lo, exec_lo, s50
	s_and_saveexec_b32 s50, s16
	s_cbranch_execz .LBB8_239
.LBB8_1187:                             ;   in Loop: Header=BB8_3 Depth=1
	ds_load_b32 v28, v66 offset:3392
	ds_load_b32 v29, v58 offset:52
	s_wait_dscnt 0x0
	v_fmac_f32_e32 v24, v28, v29
	s_or_b32 exec_lo, exec_lo, s50
	s_and_saveexec_b32 s50, s18
	s_cbranch_execz .LBB8_240
.LBB8_1188:                             ;   in Loop: Header=BB8_3 Depth=1
	ds_load_b32 v28, v65 offset:3648
	ds_load_b32 v29, v58 offset:56
	s_wait_dscnt 0x0
	v_fmac_f32_e32 v24, v28, v29
	s_or_b32 exec_lo, exec_lo, s50
	s_and_saveexec_b32 s50, s2
	s_cbranch_execnz .LBB8_241
	s_branch .LBB8_242
.LBB8_1189:                             ;   in Loop: Header=BB8_3 Depth=1
	ds_load_b32 v28, v49 offset:4432
	ds_load_b32 v29, v41 offset:4164
	s_wait_dscnt 0x0
	v_fmac_f32_e32 v24, v28, v29
	s_or_b32 exec_lo, exec_lo, s50
	s_and_saveexec_b32 s50, s14
	s_cbranch_execz .LBB8_330
.LBB8_1190:                             ;   in Loop: Header=BB8_3 Depth=1
	ds_load_b32 v28, v48 offset:4688
	ds_load_b32 v29, v41 offset:4168
	s_wait_dscnt 0x0
	v_fmac_f32_e32 v24, v28, v29
	s_or_b32 exec_lo, exec_lo, s50
	s_and_saveexec_b32 s50, s0
	s_cbranch_execnz .LBB8_331
	s_branch .LBB8_332
.LBB8_1191:                             ;   in Loop: Header=BB8_3 Depth=1
	ds_load_b32 v28, v57 offset:4448
	ds_load_b32 v29, v51 offset:4164
	s_wait_dscnt 0x0
	v_fmac_f32_e32 v24, v28, v29
	s_or_b32 exec_lo, exec_lo, s50
	s_and_saveexec_b32 s50, s16
	s_cbranch_execz .LBB8_372
.LBB8_1192:                             ;   in Loop: Header=BB8_3 Depth=1
	ds_load_b32 v28, v57 offset:4704
	ds_load_b32 v29, v51 offset:4168
	s_wait_dscnt 0x0
	v_fmac_f32_e32 v24, v28, v29
	s_or_b32 exec_lo, exec_lo, s50
	s_and_saveexec_b32 s50, s17
	s_cbranch_execz .LBB8_373
.LBB8_1193:                             ;   in Loop: Header=BB8_3 Depth=1
	ds_load_b32 v28, v57 offset:4960
	ds_load_b32 v29, v51 offset:4172
	s_wait_dscnt 0x0
	v_fmac_f32_e32 v24, v28, v29
	s_or_b32 exec_lo, exec_lo, s50
	s_and_saveexec_b32 s50, s18
	s_cbranch_execz .LBB8_374
.LBB8_1194:                             ;   in Loop: Header=BB8_3 Depth=1
	ds_load_b32 v28, v55 offset:5216
	ds_load_b32 v29, v51 offset:4176
	s_wait_dscnt 0x0
	v_fmac_f32_e32 v24, v28, v29
	s_or_b32 exec_lo, exec_lo, s50
	s_and_saveexec_b32 s50, s19
	s_cbranch_execz .LBB8_375
.LBB8_1195:                             ;   in Loop: Header=BB8_3 Depth=1
	ds_load_b32 v28, v57 offset:5472
	ds_load_b32 v29, v51 offset:4180
	s_wait_dscnt 0x0
	v_fmac_f32_e32 v24, v28, v29
	s_or_b32 exec_lo, exec_lo, s50
	s_and_saveexec_b32 s50, s2
	s_cbranch_execz .LBB8_376
.LBB8_1196:                             ;   in Loop: Header=BB8_3 Depth=1
	ds_load_b32 v28, v55 offset:5728
	ds_load_b32 v29, v51 offset:4184
	s_wait_dscnt 0x0
	v_fmac_f32_e32 v24, v28, v29
	s_or_b32 exec_lo, exec_lo, s50
	s_and_saveexec_b32 s50, s14
	s_cbranch_execnz .LBB8_377
	s_branch .LBB8_378
.LBB8_1197:                             ;   in Loop: Header=BB8_3 Depth=1
	ds_load_b32 v28, v49 offset:6512
	ds_load_b32 v29, v41 offset:6244
	s_wait_dscnt 0x0
	v_fmac_f32_e32 v24, v28, v29
	s_or_b32 exec_lo, exec_lo, s50
	s_and_saveexec_b32 s50, s14
	s_cbranch_execz .LBB8_434
.LBB8_1198:                             ;   in Loop: Header=BB8_3 Depth=1
	ds_load_b32 v28, v48 offset:6768
	ds_load_b32 v29, v41 offset:6248
	s_wait_dscnt 0x0
	v_fmac_f32_e32 v24, v28, v29
	s_or_b32 exec_lo, exec_lo, s50
	s_and_saveexec_b32 s50, s0
	s_cbranch_execnz .LBB8_435
	s_branch .LBB8_436
.LBB8_1199:                             ;   in Loop: Header=BB8_3 Depth=1
	ds_load_b32 v29, v68 offset:7552
	ds_load_b32 v31, v28 offset:116
	s_wait_dscnt 0x0
	v_fmac_f32_e32 v24, v29, v31
	s_or_b32 exec_lo, exec_lo, s50
	s_and_saveexec_b32 s50, s3
	s_cbranch_execz .LBB8_532
.LBB8_1200:                             ;   in Loop: Header=BB8_3 Depth=1
	ds_load_b32 v29, v68 offset:7808
	ds_load_b32 v28, v28 offset:120
	s_wait_dscnt 0x0
	v_fmac_f32_e32 v24, v29, v28
	s_or_b32 exec_lo, exec_lo, s50
	s_and_saveexec_b32 s50, s18
	s_cbranch_execnz .LBB8_533
	s_branch .LBB8_534
.LBB8_1201:                             ;   in Loop: Header=BB8_3 Depth=1
	ds_load_b32 v28, v49 offset:8592
	ds_load_b32 v29, v41 offset:8324
	s_wait_dscnt 0x0
	v_fmac_f32_e32 v24, v28, v29
	s_or_b32 exec_lo, exec_lo, s50
	s_and_saveexec_b32 s50, s14
	s_cbranch_execz .LBB8_686
.LBB8_1202:                             ;   in Loop: Header=BB8_3 Depth=1
	ds_load_b32 v28, v48 offset:8848
	ds_load_b32 v29, v41 offset:8328
	s_wait_dscnt 0x0
	v_fmac_f32_e32 v24, v28, v29
	s_or_b32 exec_lo, exec_lo, s50
	s_and_saveexec_b32 s50, s0
	s_cbranch_execnz .LBB8_687
	s_branch .LBB8_688
.LBB8_1203:                             ;   in Loop: Header=BB8_3 Depth=1
	ds_load_b32 v28, v57 offset:8608
	ds_load_b32 v29, v51 offset:8324
	s_wait_dscnt 0x0
	v_fmac_f32_e32 v24, v28, v29
	s_or_b32 exec_lo, exec_lo, s50
	s_and_saveexec_b32 s50, s16
	s_cbranch_execz .LBB8_728
.LBB8_1204:                             ;   in Loop: Header=BB8_3 Depth=1
	ds_load_b32 v28, v57 offset:8864
	ds_load_b32 v29, v51 offset:8328
	s_wait_dscnt 0x0
	v_fmac_f32_e32 v24, v28, v29
	s_or_b32 exec_lo, exec_lo, s50
	s_and_saveexec_b32 s50, s17
	s_cbranch_execz .LBB8_729
.LBB8_1205:                             ;   in Loop: Header=BB8_3 Depth=1
	ds_load_b32 v28, v57 offset:9120
	ds_load_b32 v29, v51 offset:8332
	s_wait_dscnt 0x0
	v_fmac_f32_e32 v24, v28, v29
	s_or_b32 exec_lo, exec_lo, s50
	s_and_saveexec_b32 s50, s18
	s_cbranch_execz .LBB8_730
.LBB8_1206:                             ;   in Loop: Header=BB8_3 Depth=1
	ds_load_b32 v28, v55 offset:9376
	ds_load_b32 v29, v51 offset:8336
	s_wait_dscnt 0x0
	v_fmac_f32_e32 v24, v28, v29
	s_or_b32 exec_lo, exec_lo, s50
	s_and_saveexec_b32 s50, s19
	s_cbranch_execz .LBB8_731
.LBB8_1207:                             ;   in Loop: Header=BB8_3 Depth=1
	ds_load_b32 v28, v57 offset:9632
	ds_load_b32 v29, v51 offset:8340
	s_wait_dscnt 0x0
	v_fmac_f32_e32 v24, v28, v29
	s_or_b32 exec_lo, exec_lo, s50
	s_and_saveexec_b32 s50, s2
	s_cbranch_execz .LBB8_732
.LBB8_1208:                             ;   in Loop: Header=BB8_3 Depth=1
	ds_load_b32 v28, v55 offset:9888
	ds_load_b32 v29, v51 offset:8344
	s_wait_dscnt 0x0
	v_fmac_f32_e32 v24, v28, v29
	s_or_b32 exec_lo, exec_lo, s50
	s_and_saveexec_b32 s50, s14
	s_cbranch_execnz .LBB8_733
	s_branch .LBB8_734
.LBB8_1209:                             ;   in Loop: Header=BB8_3 Depth=1
	ds_load_b32 v28, v49 offset:10672
	ds_load_b32 v29, v41 offset:10404
	s_wait_dscnt 0x0
	v_fmac_f32_e32 v24, v28, v29
	s_or_b32 exec_lo, exec_lo, s50
	s_and_saveexec_b32 s50, s14
	s_cbranch_execz .LBB8_790
.LBB8_1210:                             ;   in Loop: Header=BB8_3 Depth=1
	ds_load_b32 v28, v48 offset:10928
	ds_load_b32 v29, v41 offset:10408
	s_wait_dscnt 0x0
	v_fmac_f32_e32 v24, v28, v29
	s_or_b32 exec_lo, exec_lo, s50
	s_and_saveexec_b32 s50, s0
	s_cbranch_execnz .LBB8_791
	s_branch .LBB8_792
.LBB8_1211:                             ;   in Loop: Header=BB8_3 Depth=1
	ds_load_b32 v28, v66 offset:11200
	ds_load_b32 v29, v58 offset:8364
	s_wait_dscnt 0x0
	v_fmac_f32_e32 v24, v28, v29
	s_or_b32 exec_lo, exec_lo, s50
	s_and_saveexec_b32 s50, s3
	s_cbranch_execz .LBB8_852
.LBB8_1212:                             ;   in Loop: Header=BB8_3 Depth=1
	ds_load_b32 v28, v65 offset:11456
	ds_load_b32 v29, v58 offset:8368
	s_wait_dscnt 0x0
	v_fmac_f32_e32 v24, v28, v29
	s_or_b32 exec_lo, exec_lo, s50
	s_and_saveexec_b32 s50, s16
	s_cbranch_execz .LBB8_853
.LBB8_1213:                             ;   in Loop: Header=BB8_3 Depth=1
	ds_load_b32 v28, v66 offset:11712
	ds_load_b32 v29, v58 offset:8372
	s_wait_dscnt 0x0
	v_fmac_f32_e32 v24, v28, v29
	s_or_b32 exec_lo, exec_lo, s50
	s_and_saveexec_b32 s50, s18
	s_cbranch_execz .LBB8_854
.LBB8_1214:                             ;   in Loop: Header=BB8_3 Depth=1
	ds_load_b32 v28, v65 offset:11968
	ds_load_b32 v29, v58 offset:8376
	s_wait_dscnt 0x0
	v_fmac_f32_e32 v24, v28, v29
	s_or_b32 exec_lo, exec_lo, s50
	s_and_saveexec_b32 s50, s2
	s_cbranch_execnz .LBB8_855
	s_branch .LBB8_856
.LBB8_1215:                             ;   in Loop: Header=BB8_3 Depth=1
	ds_load_b32 v28, v49 offset:12752
	ds_load_b32 v29, v41 offset:12484
	s_wait_dscnt 0x0
	v_fmac_f32_e32 v24, v28, v29
	s_or_b32 exec_lo, exec_lo, s50
	s_and_saveexec_b32 s50, s14
	s_cbranch_execz .LBB8_944
.LBB8_1216:                             ;   in Loop: Header=BB8_3 Depth=1
	ds_load_b32 v28, v48 offset:13008
	ds_load_b32 v29, v41 offset:12488
	s_wait_dscnt 0x0
	v_fmac_f32_e32 v24, v28, v29
	s_or_b32 exec_lo, exec_lo, s50
	s_and_saveexec_b32 s50, s0
	s_cbranch_execnz .LBB8_945
	s_branch .LBB8_946
.LBB8_1217:                             ;   in Loop: Header=BB8_3 Depth=1
	ds_load_b32 v28, v57 offset:12768
	ds_load_b32 v29, v51 offset:12484
	s_wait_dscnt 0x0
	v_fmac_f32_e32 v24, v28, v29
	s_or_b32 exec_lo, exec_lo, s50
	s_and_saveexec_b32 s50, s16
	s_cbranch_execz .LBB8_986
.LBB8_1218:                             ;   in Loop: Header=BB8_3 Depth=1
	ds_load_b32 v28, v57 offset:13024
	ds_load_b32 v29, v51 offset:12488
	s_wait_dscnt 0x0
	v_fmac_f32_e32 v24, v28, v29
	s_or_b32 exec_lo, exec_lo, s50
	s_and_saveexec_b32 s50, s17
	s_cbranch_execz .LBB8_987
.LBB8_1219:                             ;   in Loop: Header=BB8_3 Depth=1
	ds_load_b32 v28, v57 offset:13280
	ds_load_b32 v29, v51 offset:12492
	s_wait_dscnt 0x0
	v_fmac_f32_e32 v24, v28, v29
	s_or_b32 exec_lo, exec_lo, s50
	s_and_saveexec_b32 s50, s18
	s_cbranch_execz .LBB8_988
.LBB8_1220:                             ;   in Loop: Header=BB8_3 Depth=1
	ds_load_b32 v28, v55 offset:13536
	ds_load_b32 v29, v51 offset:12496
	s_wait_dscnt 0x0
	v_fmac_f32_e32 v24, v28, v29
	s_or_b32 exec_lo, exec_lo, s50
	s_and_saveexec_b32 s50, s19
	s_cbranch_execz .LBB8_989
.LBB8_1221:                             ;   in Loop: Header=BB8_3 Depth=1
	ds_load_b32 v28, v57 offset:13792
	ds_load_b32 v29, v51 offset:12500
	s_wait_dscnt 0x0
	v_fmac_f32_e32 v24, v28, v29
	s_or_b32 exec_lo, exec_lo, s50
	s_and_saveexec_b32 s50, s2
	s_cbranch_execz .LBB8_990
.LBB8_1222:                             ;   in Loop: Header=BB8_3 Depth=1
	ds_load_b32 v28, v55 offset:14048
	ds_load_b32 v29, v51 offset:12504
	s_wait_dscnt 0x0
	v_fmac_f32_e32 v24, v28, v29
	s_or_b32 exec_lo, exec_lo, s50
	s_and_saveexec_b32 s50, s14
	s_cbranch_execnz .LBB8_991
	s_branch .LBB8_992
.LBB8_1223:                             ;   in Loop: Header=BB8_3 Depth=1
	ds_load_b32 v28, v49 offset:14832
	ds_load_b32 v29, v41 offset:14564
	s_wait_dscnt 0x0
	v_fmac_f32_e32 v24, v28, v29
	s_or_b32 exec_lo, exec_lo, s50
	s_and_saveexec_b32 s50, s14
	s_cbranch_execz .LBB8_1048
.LBB8_1224:                             ;   in Loop: Header=BB8_3 Depth=1
	ds_load_b32 v28, v48 offset:15088
	ds_load_b32 v29, v41 offset:14568
	s_wait_dscnt 0x0
	v_fmac_f32_e32 v24, v28, v29
	s_or_b32 exec_lo, exec_lo, s50
	s_and_saveexec_b32 s50, s0
	s_cbranch_execnz .LBB8_1049
	s_branch .LBB8_1050
.LBB8_1225:
	s_endpgm
	.section	.rodata,"a",@progbits
	.p2align	6, 0x0
	.amdhsa_kernel _ZL19rocblas_trsv_deviceILi64ELi16ELb1ELb1ELb0ELb1EfPKfS1_PfEviT7_lllT6_T8_lllPii
		.amdhsa_group_segment_fixed_size 20740
		.amdhsa_private_segment_fixed_size 0
		.amdhsa_kernarg_size 352
		.amdhsa_user_sgpr_count 2
		.amdhsa_user_sgpr_dispatch_ptr 0
		.amdhsa_user_sgpr_queue_ptr 0
		.amdhsa_user_sgpr_kernarg_segment_ptr 1
		.amdhsa_user_sgpr_dispatch_id 0
		.amdhsa_user_sgpr_kernarg_preload_length 0
		.amdhsa_user_sgpr_kernarg_preload_offset 0
		.amdhsa_user_sgpr_private_segment_size 0
		.amdhsa_wavefront_size32 1
		.amdhsa_uses_dynamic_stack 0
		.amdhsa_enable_private_segment 0
		.amdhsa_system_sgpr_workgroup_id_x 1
		.amdhsa_system_sgpr_workgroup_id_y 0
		.amdhsa_system_sgpr_workgroup_id_z 1
		.amdhsa_system_sgpr_workgroup_info 0
		.amdhsa_system_vgpr_workitem_id 1
		.amdhsa_next_free_vgpr 94
		.amdhsa_next_free_sgpr 105
		.amdhsa_named_barrier_count 0
		.amdhsa_reserve_vcc 1
		.amdhsa_float_round_mode_32 0
		.amdhsa_float_round_mode_16_64 0
		.amdhsa_float_denorm_mode_32 3
		.amdhsa_float_denorm_mode_16_64 3
		.amdhsa_fp16_overflow 0
		.amdhsa_memory_ordered 1
		.amdhsa_forward_progress 1
		.amdhsa_inst_pref_size 255
		.amdhsa_round_robin_scheduling 0
		.amdhsa_exception_fp_ieee_invalid_op 0
		.amdhsa_exception_fp_denorm_src 0
		.amdhsa_exception_fp_ieee_div_zero 0
		.amdhsa_exception_fp_ieee_overflow 0
		.amdhsa_exception_fp_ieee_underflow 0
		.amdhsa_exception_fp_ieee_inexact 0
		.amdhsa_exception_int_div_zero 0
	.end_amdhsa_kernel
	.section	.text._ZL19rocblas_trsv_deviceILi64ELi16ELb1ELb1ELb0ELb1EfPKfS1_PfEviT7_lllT6_T8_lllPii,"axG",@progbits,_ZL19rocblas_trsv_deviceILi64ELi16ELb1ELb1ELb0ELb1EfPKfS1_PfEviT7_lllT6_T8_lllPii,comdat
.Lfunc_end8:
	.size	_ZL19rocblas_trsv_deviceILi64ELi16ELb1ELb1ELb0ELb1EfPKfS1_PfEviT7_lllT6_T8_lllPii, .Lfunc_end8-_ZL19rocblas_trsv_deviceILi64ELi16ELb1ELb1ELb0ELb1EfPKfS1_PfEviT7_lllT6_T8_lllPii
                                        ; -- End function
	.set _ZL19rocblas_trsv_deviceILi64ELi16ELb1ELb1ELb0ELb1EfPKfS1_PfEviT7_lllT6_T8_lllPii.num_vgpr, 94
	.set _ZL19rocblas_trsv_deviceILi64ELi16ELb1ELb1ELb0ELb1EfPKfS1_PfEviT7_lllT6_T8_lllPii.num_agpr, 0
	.set _ZL19rocblas_trsv_deviceILi64ELi16ELb1ELb1ELb0ELb1EfPKfS1_PfEviT7_lllT6_T8_lllPii.numbered_sgpr, 105
	.set _ZL19rocblas_trsv_deviceILi64ELi16ELb1ELb1ELb0ELb1EfPKfS1_PfEviT7_lllT6_T8_lllPii.num_named_barrier, 0
	.set _ZL19rocblas_trsv_deviceILi64ELi16ELb1ELb1ELb0ELb1EfPKfS1_PfEviT7_lllT6_T8_lllPii.private_seg_size, 0
	.set _ZL19rocblas_trsv_deviceILi64ELi16ELb1ELb1ELb0ELb1EfPKfS1_PfEviT7_lllT6_T8_lllPii.uses_vcc, 1
	.set _ZL19rocblas_trsv_deviceILi64ELi16ELb1ELb1ELb0ELb1EfPKfS1_PfEviT7_lllT6_T8_lllPii.uses_flat_scratch, 0
	.set _ZL19rocblas_trsv_deviceILi64ELi16ELb1ELb1ELb0ELb1EfPKfS1_PfEviT7_lllT6_T8_lllPii.has_dyn_sized_stack, 0
	.set _ZL19rocblas_trsv_deviceILi64ELi16ELb1ELb1ELb0ELb1EfPKfS1_PfEviT7_lllT6_T8_lllPii.has_recursion, 0
	.set _ZL19rocblas_trsv_deviceILi64ELi16ELb1ELb1ELb0ELb1EfPKfS1_PfEviT7_lllT6_T8_lllPii.has_indirect_call, 0
	.section	.AMDGPU.csdata,"",@progbits
; Kernel info:
; codeLenInByte = 34668
; TotalNumSgprs: 107
; NumVgprs: 94
; ScratchSize: 0
; MemoryBound: 0
; FloatMode: 240
; IeeeMode: 1
; LDSByteSize: 20740 bytes/workgroup (compile time only)
; SGPRBlocks: 0
; VGPRBlocks: 5
; NumSGPRsForWavesPerEU: 107
; NumVGPRsForWavesPerEU: 94
; NamedBarCnt: 0
; Occupancy: 10
; WaveLimiterHint : 0
; COMPUTE_PGM_RSRC2:SCRATCH_EN: 0
; COMPUTE_PGM_RSRC2:USER_SGPR: 2
; COMPUTE_PGM_RSRC2:TRAP_HANDLER: 0
; COMPUTE_PGM_RSRC2:TGID_X_EN: 1
; COMPUTE_PGM_RSRC2:TGID_Y_EN: 0
; COMPUTE_PGM_RSRC2:TGID_Z_EN: 1
; COMPUTE_PGM_RSRC2:TIDIG_COMP_CNT: 1
	.section	.text._ZL19rocblas_trsv_deviceILi64ELi16ELb1ELb1ELb1ELb1EfPKfS1_PfEviT7_lllT6_T8_lllPii,"axG",@progbits,_ZL19rocblas_trsv_deviceILi64ELi16ELb1ELb1ELb1ELb1EfPKfS1_PfEviT7_lllT6_T8_lllPii,comdat
	.globl	_ZL19rocblas_trsv_deviceILi64ELi16ELb1ELb1ELb1ELb1EfPKfS1_PfEviT7_lllT6_T8_lllPii ; -- Begin function _ZL19rocblas_trsv_deviceILi64ELi16ELb1ELb1ELb1ELb1EfPKfS1_PfEviT7_lllT6_T8_lllPii
	.p2align	8
	.type	_ZL19rocblas_trsv_deviceILi64ELi16ELb1ELb1ELb1ELb1EfPKfS1_PfEviT7_lllT6_T8_lllPii,@function
_ZL19rocblas_trsv_deviceILi64ELi16ELb1ELb1ELb1ELb1EfPKfS1_PfEviT7_lllT6_T8_lllPii: ; @_ZL19rocblas_trsv_deviceILi64ELi16ELb1ELb1ELb1ELb1EfPKfS1_PfEviT7_lllT6_T8_lllPii
; %bb.0:
	s_load_b32 s6, s[0:1], 0x58
	s_bfe_u32 s2, ttmp6, 0x40014
	s_lshr_b32 s3, ttmp7, 16
	s_add_co_i32 s2, s2, 1
	s_bfe_u32 s5, ttmp6, 0x40008
	s_mul_i32 s2, s3, s2
	s_getreg_b32 s4, hwreg(HW_REG_IB_STS2, 6, 4)
	s_add_co_i32 s5, s5, s2
	s_cmp_eq_u32 s4, 0
	s_mov_b32 s77, 0
	s_cselect_b32 s76, s3, s5
                                        ; implicit-def: $vgpr93 : SGPR spill to VGPR lane
	s_wait_kmcnt 0x0
	s_cmp_ge_u32 s76, s6
	v_writelane_b32 v93, s6, 0
	s_cbranch_scc1 .LBB9_1225
; %bb.1:
	s_clause 0x3
	s_load_b512 s[56:71], s[0:1], 0x8
	s_load_b32 s2, s[0:1], 0x6c
	s_load_b32 s88, s[0:1], 0x60
	;; [unrolled: 1-line block ×3, first 2 shown]
	s_bfe_u32 s5, ttmp6, 0x4000c
	s_and_b32 s3, ttmp6, 15
	s_add_co_i32 s5, s5, 1
	s_load_b128 s[72:75], s[0:1], 0x48
	s_mul_i32 s5, ttmp9, s5
	v_and_b32_e32 v4, 0x3ff, v0
	s_add_co_i32 s3, s3, s5
	v_bfe_u32 v2, v0, 10, 10
	v_dual_mov_b32 v7, 0 :: v_dual_bitop2_b32 v1, 1, v0 bitop3:0x40
	s_delay_alu instid0(VALU_DEP_3) | instskip(NEXT) | instid1(VALU_DEP_3)
	v_lshlrev_b32_e32 v5, 6, v4
	v_dual_add_nc_u32 v26, 32, v2 :: v_dual_bitop2_b32 v18, 3, v0 bitop3:0x40
	v_lshl_add_u32 v28, v2, 6, v4
	v_add_nc_u32_e32 v22, 16, v2
	v_cmp_eq_u32_e32 vcc_lo, 1, v1
	s_wait_kmcnt 0x0
	s_lshl_b64 s[10:11], s[58:59], 2
	s_lshl_b64 s[12:13], s[68:69], 2
	s_cmp_eq_u32 s4, 0
	v_lshl_add_u32 v10, v22, 6, v4
	s_cselect_b32 s87, ttmp9, s3
	s_add_co_i32 s1, s78, -1
	s_ashr_i32 s79, s78, 31
	s_and_b32 s0, s2, 0xffff
	s_ashr_i32 s2, s1, 31
	s_lshr_b32 s3, s79, 26
	s_lshr_b32 s2, s2, 26
	s_add_co_i32 s3, s78, s3
	s_add_co_i32 s88, s88, -1
	s_add_co_i32 s1, s1, s2
	s_and_not1_b32 s3, s3, 63
	s_sub_co_i32 s18, s88, s87
	s_ashr_i32 s1, s1, 6
	s_sub_co_i32 s19, s78, s3
	s_cmp_eq_u32 s1, s18
	v_mad_u32_u24 v6, v2, s0, v4
	s_cselect_b32 s1, -1, 0
	s_cmp_lg_u32 s19, 0
	v_cmp_ne_u32_e64 s4, 0, v18
	s_cselect_b32 s2, -1, 0
	v_dual_add_nc_u32 v24, 48, v2 :: v_dual_bitop2_b32 v19, 7, v0 bitop3:0x40
	s_and_b32 s48, s2, s1
	v_add_nc_u32_e32 v9, v22, v5
	s_xor_b32 s89, s48, -1
	s_cmp_lg_u32 s87, 0
	s_add_nc_u64 s[2:3], s[60:61], 1
	s_cselect_b32 s0, -1, 0
	s_lshl_b32 s16, s18, 6
	s_delay_alu instid0(SALU_CYCLE_1)
	v_dual_add_nc_u32 v8, v2, v5 :: v_dual_add_nc_u32 v14, s16, v4
	s_cmp_lt_i32 s87, 5
	v_writelane_b32 v93, s0, 1
	s_cselect_b32 s0, -1, 0
	v_add_nc_u32_e32 v3, s16, v2
	s_or_b32 s5, s0, s48
	s_delay_alu instid0(SALU_CYCLE_1)
	v_dual_cndmask_b32 v17, v28, v8, s0 :: v_dual_cndmask_b32 v16, v10, v9, s5
	v_cmp_gt_u32_e64 s0, 4, v28
	s_ashr_i32 s17, s16, 31
	s_xor_b32 s1, vcc_lo, -1
	s_mul_u64 s[14:15], s[2:3], s[16:17]
	v_cmp_gt_u32_e64 s2, 16, v28
	s_and_b32 s92, s1, s0
	s_and_b32 s93, vcc_lo, s0
	v_cmp_eq_u32_e64 s1, 0, v2
	v_cmp_gt_u32_e32 vcc_lo, 2, v4
	v_cmp_eq_u32_e64 s3, 0, v18
	s_and_b32 s96, s4, s2
	v_cmp_eq_u32_e64 s4, 3, v18
	v_cmp_eq_u32_e64 s6, 1, v18
	s_and_b32 s94, s1, vcc_lo
	v_cmp_eq_u32_e32 vcc_lo, 2, v18
	s_and_b32 s95, s3, s2
	v_cmp_gt_u32_e64 s3, 64, v28
	s_and_b32 s100, s4, s2
	v_cmp_eq_u32_e64 s4, 1, v19
	s_and_b32 s99, vcc_lo, s2
	v_cmp_ne_u32_e32 vcc_lo, 0, v19
	v_cmp_lt_u32_e64 s7, 1, v18
	s_and_b32 s97, s6, s2
	v_cmp_gt_u32_e64 s6, 4, v4
	s_and_b32 s104, s4, s3
	s_and_b32 s103, vcc_lo, s3
	v_cmp_lt_u32_e32 vcc_lo, 2, v19
	v_cmp_eq_u32_e64 s4, 3, v19
	s_and_b32 s98, s7, s2
	v_cmp_eq_u32_e64 s7, 0, v19
	s_and_b32 s101, s1, s6
	v_cmp_lt_u32_e64 s6, 1, v19
	s_and_b32 s33, vcc_lo, s3
	v_cmp_lt_u32_e32 vcc_lo, 3, v19
	s_and_b32 s34, s4, s3
	v_cmp_eq_u32_e64 s4, 5, v19
	s_and_b32 s102, s7, s3
	v_cmp_eq_u32_e64 s7, 2, v19
	s_and_b32 vcc_hi, s6, s3
	v_cmp_eq_u32_e64 s6, 4, v19
	s_and_b32 s35, vcc_lo, s3
	v_cmp_lt_u32_e32 vcc_lo, 5, v19
	s_and_b32 s38, s4, s3
	v_cmp_eq_u32_e64 s4, 6, v19
	v_dual_add_nc_u32 v8, v26, v5 :: v_dual_bitop2_b32 v20, 15, v0 bitop3:0x40
	s_and_b32 s31, s7, s3
	v_cmp_lt_u32_e64 s7, 4, v19
	s_and_b32 s36, s6, s3
	v_cmp_eq_u32_e64 s6, 7, v19
	s_and_b32 s39, vcc_lo, s3
	s_and_b32 s40, s4, s3
	v_cmp_gt_u32_e64 s4, 0x100, v28
	v_cmp_eq_u32_e32 vcc_lo, 0, v20
	s_and_b32 s37, s7, s3
	v_cmp_gt_u32_e64 s7, 8, v4
	s_and_b32 s41, s6, s3
	v_cmp_ne_u32_e64 s6, 0, v20
	s_and_b32 s20, vcc_lo, s4
	v_cmp_lt_u32_e64 s8, 1, v20
	v_writelane_b32 v93, s20, 2
	s_and_b32 s42, s1, s7
	v_cmp_eq_u32_e64 s7, 1, v20
	s_and_b32 s6, s6, s4
	v_cmp_eq_u32_e64 s9, 2, v20
	v_writelane_b32 v93, s6, 3
	v_cmp_lt_u32_e32 vcc_lo, 2, v20
	s_and_b32 s6, s7, s4
	v_cmp_lt_u32_e64 s7, 3, v20
	v_lshl_add_u32 v9, v26, 6, v4
	v_writelane_b32 v93, s6, 4
	s_and_b32 s6, s8, s4
	s_and_b32 s20, vcc_lo, s4
	v_cmp_eq_u32_e64 s8, 4, v20
	v_cmp_eq_u32_e32 vcc_lo, 5, v20
	v_writelane_b32 v93, s6, 5
	s_and_b32 s6, s9, s4
	v_cmp_lt_u32_e64 s9, 4, v20
	v_dual_add_nc_u32 v5, v24, v5 :: v_dual_cndmask_b32 v29, v9, v8, s5
	v_writelane_b32 v93, s6, 6
	v_cmp_eq_u32_e64 s6, 3, v20
	s_and_b32 s53, vcc_lo, s4
	v_cmp_lt_u32_e32 vcc_lo, 7, v20
	v_lshl_add_u32 v10, v24, 6, v4
	v_writelane_b32 v93, s20, 7
	s_and_b32 s6, s6, s4
	v_and_b32_e32 v23, 31, v0
	s_and_b32 s26, vcc_lo, s4
	v_cmp_eq_u32_e32 vcc_lo, 10, v20
	v_writelane_b32 v93, s6, 8
	s_and_b32 s6, s7, s4
	v_cmp_eq_u32_e64 s7, 6, v20
	v_cndmask_b32_e64 v21, v10, v5, s5
	s_and_b32 s21, vcc_lo, s4
	v_writelane_b32 v93, s6, 9
	s_and_b32 s6, s8, s4
	s_and_b32 s20, s7, s4
	v_cmp_lt_u32_e64 s7, 8, v20
	v_cmp_lt_u32_e32 vcc_lo, 12, v20
	v_writelane_b32 v93, s6, 10
	s_and_b32 s6, s9, s4
	v_cmp_eq_u32_e64 s9, 7, v20
	s_and_b32 s30, s7, s4
	v_cmp_eq_u32_e64 s7, 11, v20
	v_writelane_b32 v93, s6, 11
	v_cmp_lt_u32_e64 s6, 5, v20
	s_and_b32 s24, s9, s4
	v_cmp_lt_u32_e64 s9, 9, v20
	s_and_b32 s25, s7, s4
	;; [unrolled: 2-line block ×3, first 2 shown]
	v_cmp_eq_u32_e64 s6, 8, v20
	s_xor_b32 s91, s5, -1
	s_and_b32 s59, s9, s4
	v_cmp_eq_u32_e64 s9, 12, v20
	s_and_b32 s43, s7, s4
	s_and_b32 s28, s6, s4
	v_cmp_lt_u32_e64 s6, 10, v20
	v_cmp_gt_u32_e64 s5, 0x400, v28
	v_cmp_eq_u32_e64 s7, 0, v23
	s_and_b32 s86, vcc_lo, s4
	v_cmp_eq_u32_e32 vcc_lo, 15, v20
	s_and_b32 s23, s6, s4
	v_cmp_eq_u32_e64 s6, 13, v20
	s_and_b32 s29, s9, s4
	v_cmp_ne_u32_e64 s9, 0, v23
	s_and_b32 s45, vcc_lo, s4
	v_cmp_eq_u32_e32 vcc_lo, 1, v23
	s_and_b32 s90, s6, s4
	v_cmp_gt_u32_e64 s6, 16, v4
                                        ; implicit-def: $vgpr92 : SGPR spill to VGPR lane
                                        ; implicit-def: $vgpr91 : SGPR spill to VGPR lane
	v_cmp_lt_u32_e64 s8, 6, v20
	v_dual_lshrrev_b32 v25, 10, v0 :: v_dual_lshlrev_b32 v1, 2, v1
	v_lshrrev_b32_e32 v27, 1, v28
	s_and_b32 s46, s1, s6
	s_and_b32 s6, s7, s5
	;; [unrolled: 1-line block ×3, first 2 shown]
	v_writelane_b32 v93, s6, 12
	s_and_b32 s6, s9, s5
	v_cmp_eq_u32_e64 s8, 9, v20
	v_bitop3_b32 v30, v0, v25, 0x3ff bitop3:0xa8
	v_lshrrev_b32_e32 v0, 2, v28
	v_writelane_b32 v93, s6, 13
	s_and_b32 s6, vcc_lo, s5
	v_cmp_lt_u32_e32 vcc_lo, 1, v23
	s_and_b32 s58, s8, s4
	v_cmp_lt_u32_e64 s8, 11, v20
	v_writelane_b32 v93, s6, 14
	v_lshl_or_b32 v39, v27, 8, v1
	s_and_b32 s6, vcc_lo, s5
	v_cmp_eq_u32_e32 vcc_lo, 2, v23
	s_and_b32 s27, s8, s4
	v_writelane_b32 v93, s6, 15
	v_cmp_eq_u32_e64 s8, 14, v20
	v_dual_lshlrev_b32 v45, 2, v18 :: v_dual_bitop2_b32 v1, -4, v28 bitop3:0x40
	s_and_b32 s6, vcc_lo, s5
	v_cmp_lt_u32_e32 vcc_lo, 2, v23
	v_writelane_b32 v93, s6, 16
	v_mul_u32_u24_e32 v41, 0x104, v0
	s_and_b32 s44, s8, s4
	v_lshlrev_b32_e32 v43, 8, v4
	s_and_b32 s6, vcc_lo, s5
	v_cmp_eq_u32_e32 vcc_lo, 3, v23
	v_writelane_b32 v93, s6, 17
	v_dual_sub_nc_u32 v18, v41, v1 :: v_dual_lshrrev_b32 v25, 3, v28
	v_lshl_or_b32 v48, v0, 8, v45
	s_and_b32 s6, vcc_lo, s5
	v_cmp_lt_u32_e32 vcc_lo, 3, v23
	v_writelane_b32 v93, s6, 18
	v_add_nc_u32_e32 v49, v18, v45
	v_dual_lshlrev_b32 v0, 2, v25 :: v_dual_lshlrev_b32 v52, 2, v19
	s_and_b32 s6, vcc_lo, s5
	v_cmp_eq_u32_e32 vcc_lo, 4, v23
	v_writelane_b32 v93, s6, 19
	v_mul_u32_u24_e32 v51, 0x104, v25
	v_add_nc_u32_e32 v47, 0x4000, v1
	v_lshrrev_b32_e32 v1, 4, v28
	s_and_b32 s6, vcc_lo, s5
	v_cmp_lt_u32_e32 vcc_lo, 4, v23
	v_writelane_b32 v93, s6, 20
	v_sub_nc_u32_e32 v18, v51, v0
	v_add_nc_u64_e32 v[12:13], s[16:17], v[6:7]
	v_add_nc_u32_e32 v54, 0x4000, v0
	s_and_b32 s6, vcc_lo, s5
	v_cmp_eq_u32_e32 vcc_lo, 5, v23
	v_writelane_b32 v93, s6, 21
	v_add_nc_u32_e32 v57, v18, v52
	v_dual_lshrrev_b32 v18, 5, v28 :: v_dual_lshlrev_b32 v0, 2, v1
	s_and_b32 s6, vcc_lo, s5
	v_cmp_lt_u32_e32 vcc_lo, 5, v23
	v_writelane_b32 v93, s6, 22
	v_mul_u32_u24_e32 v58, 0x104, v1
	v_dual_lshlrev_b32 v5, 2, v4 :: v_dual_add_nc_u32 v8, 64, v3
	s_and_b32 s6, vcc_lo, s5
	v_cmp_eq_u32_e32 vcc_lo, 6, v23
	v_writelane_b32 v93, s6, 23
	s_delay_alu instid0(VALU_DEP_3)
	v_dual_ashrrev_i32 v15, 31, v14 :: v_dual_ashrrev_i32 v9, 31, v8
	v_add_nc_u32_e32 v60, 0x4000, v0
	s_and_b32 s6, vcc_lo, s5
	v_cmp_lt_u32_e32 vcc_lo, 6, v23
	v_writelane_b32 v93, s6, 24
	v_dual_lshlrev_b32 v61, 2, v20 :: v_dual_lshlrev_b32 v63, 8, v18
	v_dual_sub_nc_u32 v0, v58, v0 :: v_dual_lshlrev_b32 v64, 2, v23
	s_and_b32 s6, vcc_lo, s5
	v_cmp_eq_u32_e32 vcc_lo, 7, v23
	v_writelane_b32 v93, s6, 25
	v_mul_u64_e32 v[10:11], s[60:61], v[14:15]
	v_lshl_or_b32 v65, v1, 8, v61
	v_dual_add_nc_u32 v66, v0, v61 :: v_dual_lshlrev_b32 v79, 2, v2
	s_and_b32 s6, vcc_lo, s5
	v_cmp_lt_u32_e32 vcc_lo, 7, v23
	v_writelane_b32 v93, s6, 26
	v_mul_u64_e32 v[0:1], s[70:71], v[14:15]
	v_add_nc_u32_e32 v15, 0x50, v3
	v_lshl_add_u32 v37, v27, 2, 0x4000
	s_and_b32 s6, vcc_lo, s5
	v_cmp_eq_u32_e32 vcc_lo, 8, v23
	v_writelane_b32 v93, s6, 27
	v_mul_u32_u24_e32 v40, 0x104, v27
	s_add_nc_u64 s[68:69], s[56:57], s[10:11]
	v_cmp_gt_u32_e64 s50, 0xf0, v28
	s_and_b32 s6, vcc_lo, s5
	v_cmp_lt_u32_e32 vcc_lo, 8, v23
	v_writelane_b32 v93, s6, 28
                                        ; implicit-def: $vgpr90 : SGPR spill to VGPR lane
	v_mad_u32_u24 v32, 0xfc, v4, v5
	v_lshl_or_b32 v55, v25, 8, v52
	v_lshlrev_b32_e32 v62, 2, v18
	s_and_b32 s6, vcc_lo, s5
	v_cmp_eq_u32_e32 vcc_lo, 9, v23
	v_writelane_b32 v93, s6, 29
	v_mad_i32_i24 v33, 0xffffff04, v4, v32
	v_dual_lshlrev_b32 v76, 2, v17 :: v_dual_bitop2_b32 v68, v63, v64 bitop3:0x54
	s_and_b32 s6, vcc_lo, s5
	v_cmp_lt_u32_e32 vcc_lo, 9, v23
	v_writelane_b32 v93, s6, 30
	v_mad_u32_u24 v34, 0xfc, v4, v33
	v_mul_u64_e32 v[12:13], s[70:71], v[12:13]
	v_mul_i32_i24_e32 v31, 0xffffff04, v4
	s_and_b32 s6, vcc_lo, s5
	v_cmp_eq_u32_e32 vcc_lo, 10, v23
	v_writelane_b32 v93, s6, 31
	v_mad_i32_i24 v35, 0xffffff04, v4, v34
	v_or_b32_e32 v71, 0x5000, v79
	v_or_b32_e32 v86, v22, v4
	s_and_b32 s6, vcc_lo, s5
	v_cmp_lt_u32_e32 vcc_lo, 10, v23
	v_writelane_b32 v92, s6, 0
	v_mad_u32_u24 v36, 0xfc, v4, v35
	v_dual_add_nc_u32 v75, v71, v5 :: v_dual_bitop2_b32 v87, v26, v4 bitop3:0x54
	v_lshlrev_b32_e32 v77, 2, v29
	s_and_b32 s6, vcc_lo, s5
	v_cmp_eq_u32_e32 vcc_lo, 11, v23
	v_writelane_b32 v92, s6, 1
	v_mad_i32_i24 v38, 0xffffff04, v4, v36
	v_mad_i32_i24 v69, 0xffffff04, v4, v43
	s_add_nc_u64 s[66:67], s[66:67], s[12:13]
	s_and_b32 s6, vcc_lo, s5
	v_cmp_lt_u32_e32 vcc_lo, 11, v23
	v_writelane_b32 v92, s6, 2
	v_mad_u32_u24 v42, 0xfc, v4, v38
	v_mul_u32_u24_e32 v44, 0xfc, v4
	v_add_nc_u32_e32 v67, 0x4000, v62
	s_and_b32 s6, vcc_lo, s5
	v_cmp_eq_u32_e32 vcc_lo, 12, v23
	v_writelane_b32 v92, s6, 3
	v_mad_i32_i24 v46, 0xffffff04, v4, v42
	v_lshl_add_u32 v70, v6, 2, 0x5000
	v_lshl_add_u32 v72, v28, 2, 0x4000
	s_and_b32 s6, vcc_lo, s5
	v_cmp_lt_u32_e32 vcc_lo, 12, v23
	v_writelane_b32 v92, s6, 4
	v_mad_u32_u24 v50, 0xfc, v4, v46
	v_add_nc_u32_e32 v73, 0x4000, v5
	v_lshl_add_u32 v74, v2, 8, v69
	s_and_b32 s6, vcc_lo, s5
	v_cmp_eq_u32_e32 vcc_lo, 13, v23
	v_writelane_b32 v92, s6, 5
	v_mad_i32_i24 v53, 0xffffff04, v4, v50
	v_add_nc_u32_e32 v79, v43, v79
	v_subrev_nc_u32_e32 v81, 63, v4
	s_and_b32 s6, vcc_lo, s5
	v_cmp_lt_u32_e32 vcc_lo, 13, v23
	v_writelane_b32 v92, s6, 6
	v_mad_u32_u24 v56, 0xfc, v4, v53
	v_cmp_gt_u32_e64 s12, 2, v28
	v_cmp_gt_u32_e64 s13, 12, v28
	s_and_b32 s6, vcc_lo, s5
	v_cmp_eq_u32_e32 vcc_lo, 14, v23
	v_writelane_b32 v92, s6, 7
	v_mad_i32_i24 v59, 0xffffff04, v4, v56
	v_cmp_eq_u32_e64 s55, 0, v6
	v_cmp_gt_u32_e64 s56, 64, v6
	s_and_b32 s6, vcc_lo, s5
	v_cmp_lt_u32_e32 vcc_lo, 14, v23
	v_writelane_b32 v92, s6, 8
                                        ; implicit-def: $vgpr82
                                        ; implicit-def: $vgpr83
                                        ; implicit-def: $vgpr84
                                        ; implicit-def: $vgpr85
	v_dual_mov_b32 v27, v7 :: v_dual_lshlrev_b32 v78, 2, v21
	v_mov_b32_e32 v25, v7
	s_and_b32 s6, vcc_lo, s5
	v_cmp_eq_u32_e32 vcc_lo, 15, v23
	v_writelane_b32 v92, s6, 9
	v_mul_u64_e32 v[18:19], s[60:61], v[26:27]
	v_or_b32_e32 v27, v24, v4
	v_mul_u64_e32 v[20:21], s[60:61], v[24:25]
	s_and_b32 s6, vcc_lo, s5
	v_cmp_lt_u32_e32 vcc_lo, 15, v23
	v_writelane_b32 v92, s6, 10
	v_mov_b32_e32 v25, 1.0
	s_and_b32 s6, vcc_lo, s5
	v_cmp_eq_u32_e32 vcc_lo, 16, v23
	v_writelane_b32 v92, s6, 11
	s_and_b32 s6, vcc_lo, s5
	v_cmp_lt_u32_e32 vcc_lo, 16, v23
	v_writelane_b32 v92, s6, 12
	s_and_b32 s6, vcc_lo, s5
	v_cmp_eq_u32_e32 vcc_lo, 17, v23
	v_writelane_b32 v92, s6, 13
	s_and_b32 s6, vcc_lo, s5
	v_cmp_lt_u32_e32 vcc_lo, 17, v23
	v_writelane_b32 v92, s6, 14
	;; [unrolled: 6-line block ×14, first 2 shown]
	s_and_b32 s6, vcc_lo, s5
	v_cmp_eq_u32_e32 vcc_lo, 30, v23
	v_writelane_b32 v91, s6, 7
	s_and_b32 s6, vcc_lo, s5
	v_cmp_eq_u32_e32 vcc_lo, 31, v23
	v_writelane_b32 v91, s6, 8
	v_cmp_gt_u32_e64 s6, 32, v4
	v_mov_b32_e32 v23, v7
	s_and_b32 s47, vcc_lo, s5
	v_cmp_le_i32_e32 vcc_lo, s19, v4
	s_and_b32 s6, s1, s6
	s_delay_alu instid0(SALU_CYCLE_1) | instskip(SKIP_1) | instid1(SALU_CYCLE_1)
	v_writelane_b32 v91, s6, 9
	s_and_b32 s7, vcc_lo, s48
	s_xor_b32 s6, s7, -1
	v_writelane_b32 v91, s7, 10
	s_and_b32 s48, s1, s6
	v_cmp_le_i32_e64 s6, s19, v2
	s_cmp_gt_i32 s87, 0
	s_cselect_b32 s49, -1, 0
	s_add_co_i32 s57, s18, 1
	s_or_b32 s8, s6, vcc_lo
	v_cmp_le_i32_e64 s6, s19, v22
	s_lshl_b64 s[80:81], s[14:15], 2
	v_cmp_gt_u32_e64 s14, 8, v28
	v_cmp_gt_u32_e64 s15, 56, v28
	;; [unrolled: 1-line block ×3, first 2 shown]
	s_or_b32 s9, s6, vcc_lo
	v_cmp_le_i32_e64 s6, s19, v26
	s_or_b32 s16, s6, vcc_lo
	v_cmp_le_i32_e64 s6, s19, v24
	s_or_b32 s17, s6, vcc_lo
	v_cmp_gt_i32_e32 vcc_lo, s19, v4
	v_cmp_gt_u32_e64 s19, 24, v28
	s_and_b32 s6, s1, vcc_lo
	v_cmp_gt_i32_e32 vcc_lo, s78, v8
	v_writelane_b32 v91, s6, 11
	v_cmp_gt_i32_e64 s6, s78, v14
	v_add_nc_u32_e32 v14, 0x60, v3
	s_and_b32 s7, vcc_lo, s6
	v_cmp_gt_i32_e32 vcc_lo, s78, v15
	v_writelane_b32 v91, s7, 12
	v_add_nc_u32_e32 v15, 0x70, v3
	v_mov_b32_e32 v3, v7
	s_and_b32 s7, vcc_lo, s6
	v_cmp_gt_i32_e32 vcc_lo, s78, v14
	v_writelane_b32 v91, s7, 13
	s_and_b32 s7, vcc_lo, s6
	v_cmp_gt_i32_e32 vcc_lo, s78, v15
	v_writelane_b32 v91, s7, 14
	v_mul_u64_e32 v[14:15], s[60:61], v[2:3]
	v_lshlrev_b32_e32 v3, 2, v16
	v_mul_u64_e32 v[16:17], s[60:61], v[22:23]
	s_and_b32 s7, vcc_lo, s6
	v_mad_u32_u24 v23, 0xfc, v4, v31
	v_writelane_b32 v91, s7, 15
	v_cmp_le_u32_e64 s7, v4, v2
	s_or_b32 s8, s8, s7
	s_delay_alu instid0(SALU_CYCLE_1) | instskip(SKIP_4) | instid1(SALU_CYCLE_1)
	v_writelane_b32 v91, s8, 16
	v_cmp_le_u32_e64 s8, v4, v22
	v_mul_lo_u32 v22, v23, 7
	v_mov_b32_e32 v23, v7
	s_or_b32 s9, s9, s8
	v_writelane_b32 v91, s9, 17
	v_cmp_le_u32_e64 s9, v4, v26
	s_delay_alu instid0(VALU_DEP_4)
	v_add3_u32 v80, v22, v5, 0x3c00
	s_or_b32 s10, s16, s9
	v_lshlrev_b32_e32 v22, 2, v4
	v_writelane_b32 v91, s10, 18
	v_cmp_le_u32_e64 s10, v4, v24
	v_cmp_gt_u32_e64 s16, 48, v28
	s_or_b32 s11, s17, s10
	v_cmp_gt_u32_e64 s17, 40, v28
	v_writelane_b32 v91, s11, 19
	v_cmp_eq_u32_e64 s11, 0, v30
	v_writelane_b32 v91, s50, 20
	v_cmp_gt_u32_e64 s50, 0xe0, v28
	s_delay_alu instid0(VALU_DEP_1) | instskip(SKIP_1) | instid1(VALU_DEP_1)
	v_writelane_b32 v91, s50, 21
	v_cmp_gt_u32_e64 s50, 0xd0, v28
	v_writelane_b32 v91, s50, 22
	v_cmp_gt_u32_e64 s50, 0xc0, v28
	s_delay_alu instid0(VALU_DEP_1) | instskip(SKIP_1) | instid1(VALU_DEP_1)
	v_writelane_b32 v91, s50, 23
	v_cmp_gt_u32_e64 s50, 0xb0, v28
	;; [unrolled: 5-line block ×18, first 2 shown]
	v_writelane_b32 v90, s50, 24
	v_cmp_gt_u32_e64 s50, 64, v27
	s_delay_alu instid0(VALU_DEP_1)
	v_writelane_b32 v90, s50, 25
	s_branch .LBB9_3
.LBB9_2:                                ;   in Loop: Header=BB9_3 Depth=1
	s_wait_xcnt 0x0
	s_or_b32 exec_lo, exec_lo, s50
	v_readlane_b32 s50, v93, 0
	s_add_co_i32 s76, s76, 0x10000
	global_wb scope:SCOPE_DEV
	s_wait_storecnt 0x0
	global_inv scope:SCOPE_DEV
	s_cmp_lt_u32 s76, s50
	s_cbranch_scc0 .LBB9_1225
.LBB9_3:                                ; =>This Loop Header: Depth=1
                                        ;     Child Loop BB9_1094 Depth 2
                                        ;       Child Loop BB9_1096 Depth 3
                                        ;     Child Loop BB9_1131 Depth 2
	global_load_b32 v30, v7, s[64:65]
	s_mul_u64 s[50:51], s[62:63], s[76:77]
	s_delay_alu instid0(SALU_CYCLE_1) | instskip(NEXT) | instid1(SALU_CYCLE_1)
	s_lshl_b64 s[50:51], s[50:51], 2
	s_add_nc_u64 s[82:83], s[68:69], s[50:51]
	v_readlane_b32 s50, v93, 1
	v_lshl_add_u64 v[26:27], v[10:11], 2, s[82:83]
	s_and_not1_b32 vcc_lo, exec_lo, s50
	s_cbranch_vccnz .LBB9_13
; %bb.4:                                ;   in Loop: Header=BB9_3 Depth=1
	s_delay_alu instid0(VALU_DEP_1)
	v_lshl_add_u64 v[28:29], v[8:9], 2, v[26:27]
	v_dual_mov_b32 v83, 0 :: v_dual_mov_b32 v82, 0
	s_wait_loadcnt 0x0
	s_barrier_signal -1
	s_barrier_wait -1
	s_wait_xcnt 0x0
	s_mov_b32 s50, exec_lo
	v_readlane_b32 s51, v91, 12
	s_and_b32 s51, s50, s51
	s_delay_alu instid0(SALU_CYCLE_1)
	s_mov_b32 exec_lo, s51
	s_cbranch_execz .LBB9_6
; %bb.5:                                ;   in Loop: Header=BB9_3 Depth=1
	global_load_b32 v82, v[28:29], off
.LBB9_6:                                ;   in Loop: Header=BB9_3 Depth=1
	s_wait_xcnt 0x0
	s_or_b32 exec_lo, exec_lo, s50
	s_wait_loadcnt 0x0
	s_barrier_signal -1
	s_barrier_wait -1
	s_mov_b32 s50, exec_lo
	v_readlane_b32 s51, v91, 13
	s_and_b32 s51, s50, s51
	s_delay_alu instid0(SALU_CYCLE_1)
	s_mov_b32 exec_lo, s51
	s_cbranch_execz .LBB9_8
; %bb.7:                                ;   in Loop: Header=BB9_3 Depth=1
	global_load_b32 v83, v[28:29], off offset:64
.LBB9_8:                                ;   in Loop: Header=BB9_3 Depth=1
	s_wait_xcnt 0x0
	s_or_b32 exec_lo, exec_lo, s50
	v_dual_mov_b32 v85, 0 :: v_dual_mov_b32 v84, 0
	s_wait_loadcnt 0x0
	s_barrier_signal -1
	s_barrier_wait -1
	s_mov_b32 s50, exec_lo
	v_readlane_b32 s51, v91, 14
	s_and_b32 s51, s50, s51
	s_delay_alu instid0(SALU_CYCLE_1)
	s_mov_b32 exec_lo, s51
	s_cbranch_execz .LBB9_10
; %bb.9:                                ;   in Loop: Header=BB9_3 Depth=1
	global_load_b32 v84, v[28:29], off offset:128
.LBB9_10:                               ;   in Loop: Header=BB9_3 Depth=1
	s_wait_xcnt 0x0
	s_or_b32 exec_lo, exec_lo, s50
	s_wait_loadcnt 0x0
	s_barrier_signal -1
	s_barrier_wait -1
	s_mov_b32 s50, exec_lo
	v_readlane_b32 s51, v91, 15
	s_and_b32 s51, s50, s51
	s_delay_alu instid0(SALU_CYCLE_1)
	s_mov_b32 exec_lo, s51
	s_cbranch_execz .LBB9_12
; %bb.11:                               ;   in Loop: Header=BB9_3 Depth=1
	global_load_b32 v85, v[28:29], off offset:192
.LBB9_12:                               ;   in Loop: Header=BB9_3 Depth=1
	s_wait_xcnt 0x0
	s_or_b32 exec_lo, exec_lo, s50
.LBB9_13:                               ;   in Loop: Header=BB9_3 Depth=1
	s_add_nc_u64 s[50:51], s[82:83], s[80:81]
	s_and_not1_b32 vcc_lo, exec_lo, s89
	v_add_nc_u64_e32 v[28:29], s[50:51], v[22:23]
	s_mov_b32 s50, -1
	s_cbranch_vccnz .LBB9_24
; %bb.14:                               ;   in Loop: Header=BB9_3 Depth=1
	s_wait_xcnt 0x0
	s_and_saveexec_b32 s50, s7
	s_delay_alu instid0(SALU_CYCLE_1)
	s_xor_b32 s50, exec_lo, s50
	s_cbranch_execnz .LBB9_1153
; %bb.15:                               ;   in Loop: Header=BB9_3 Depth=1
	s_and_not1_saveexec_b32 s50, s50
	s_cbranch_execnz .LBB9_1156
.LBB9_16:                               ;   in Loop: Header=BB9_3 Depth=1
	s_or_b32 exec_lo, exec_lo, s50
	s_and_saveexec_b32 s50, s8
	s_delay_alu instid0(SALU_CYCLE_1)
	s_xor_b32 s50, exec_lo, s50
	s_cbranch_execnz .LBB9_1157
.LBB9_17:                               ;   in Loop: Header=BB9_3 Depth=1
	s_and_not1_saveexec_b32 s50, s50
	s_cbranch_execnz .LBB9_1160
.LBB9_18:                               ;   in Loop: Header=BB9_3 Depth=1
	s_or_b32 exec_lo, exec_lo, s50
	s_and_saveexec_b32 s50, s9
	s_delay_alu instid0(SALU_CYCLE_1)
	s_xor_b32 s50, exec_lo, s50
	s_cbranch_execnz .LBB9_1161
.LBB9_19:                               ;   in Loop: Header=BB9_3 Depth=1
	s_and_not1_saveexec_b32 s50, s50
	s_cbranch_execnz .LBB9_1164
.LBB9_20:                               ;   in Loop: Header=BB9_3 Depth=1
	s_or_b32 exec_lo, exec_lo, s50
	s_and_saveexec_b32 s50, s10
	s_delay_alu instid0(SALU_CYCLE_1)
	s_xor_b32 s50, exec_lo, s50
	s_cbranch_execnz .LBB9_1165
.LBB9_21:                               ;   in Loop: Header=BB9_3 Depth=1
	s_and_not1_saveexec_b32 s50, s50
	s_cbranch_execz .LBB9_23
.LBB9_22:                               ;   in Loop: Header=BB9_3 Depth=1
	v_lshl_add_u64 v[86:87], v[20:21], 2, v[28:29]
	global_load_b32 v24, v[86:87], off
	s_wait_loadcnt 0x0
	v_xor_b32_e32 v24, 0x80000000, v24
	ds_store_b32 v78, v24
.LBB9_23:                               ;   in Loop: Header=BB9_3 Depth=1
	s_or_b32 exec_lo, exec_lo, s50
	s_mov_b32 s50, 0
.LBB9_24:                               ;   in Loop: Header=BB9_3 Depth=1
	s_delay_alu instid0(SALU_CYCLE_1)
	s_and_b32 vcc_lo, exec_lo, s50
	s_cbranch_vccz .LBB9_50
; %bb.25:                               ;   in Loop: Header=BB9_3 Depth=1
	s_wait_xcnt 0x0
	s_mov_b32 s50, exec_lo
	v_readlane_b32 s51, v91, 16
	s_and_b32 s51, s50, s51
	s_delay_alu instid0(SALU_CYCLE_1)
	s_xor_b32 s50, s51, s50
	s_mov_b32 exec_lo, s51
	s_cbranch_execz .LBB9_29
; %bb.26:                               ;   in Loop: Header=BB9_3 Depth=1
	s_mov_b32 s51, exec_lo
	v_readlane_b32 s52, v90, 22
	s_and_b32 s52, s51, s52
	s_delay_alu instid0(SALU_CYCLE_1)
	s_mov_b32 exec_lo, s52
; %bb.27:                               ;   in Loop: Header=BB9_3 Depth=1
	ds_store_b32 v79, v7
; %bb.28:                               ;   in Loop: Header=BB9_3 Depth=1
	s_or_b32 exec_lo, exec_lo, s51
.LBB9_29:                               ;   in Loop: Header=BB9_3 Depth=1
	s_and_not1_saveexec_b32 s50, s50
	s_cbranch_execz .LBB9_31
; %bb.30:                               ;   in Loop: Header=BB9_3 Depth=1
	v_lshl_add_u64 v[86:87], v[14:15], 2, v[28:29]
	global_load_b32 v24, v[86:87], off
	s_wait_loadcnt 0x0
	v_xor_b32_e32 v24, 0x80000000, v24
	ds_store_b32 v79, v24
.LBB9_31:                               ;   in Loop: Header=BB9_3 Depth=1
	s_or_b32 exec_lo, exec_lo, s50
	s_delay_alu instid0(SALU_CYCLE_1) | instskip(SKIP_2) | instid1(SALU_CYCLE_1)
	s_mov_b32 s50, exec_lo
	v_readlane_b32 s51, v91, 17
	s_and_b32 s51, s50, s51
	s_xor_b32 s50, s51, s50
	s_mov_b32 exec_lo, s51
	s_cbranch_execz .LBB9_35
; %bb.32:                               ;   in Loop: Header=BB9_3 Depth=1
	s_mov_b32 s51, exec_lo
	v_readlane_b32 s52, v90, 23
	s_and_b32 s52, s51, s52
	s_delay_alu instid0(SALU_CYCLE_1)
	s_mov_b32 exec_lo, s52
; %bb.33:                               ;   in Loop: Header=BB9_3 Depth=1
	ds_store_b32 v3, v7
; %bb.34:                               ;   in Loop: Header=BB9_3 Depth=1
	s_or_b32 exec_lo, exec_lo, s51
.LBB9_35:                               ;   in Loop: Header=BB9_3 Depth=1
	s_and_not1_saveexec_b32 s50, s50
	s_cbranch_execz .LBB9_37
; %bb.36:                               ;   in Loop: Header=BB9_3 Depth=1
	v_lshl_add_u64 v[86:87], v[16:17], 2, v[28:29]
	global_load_b32 v24, v[86:87], off
	s_wait_loadcnt 0x0
	v_xor_b32_e32 v24, 0x80000000, v24
	ds_store_b32 v3, v24
.LBB9_37:                               ;   in Loop: Header=BB9_3 Depth=1
	s_or_b32 exec_lo, exec_lo, s50
	s_delay_alu instid0(SALU_CYCLE_1) | instskip(SKIP_2) | instid1(SALU_CYCLE_1)
	s_mov_b32 s50, exec_lo
	v_readlane_b32 s51, v91, 18
	s_and_b32 s51, s50, s51
	;; [unrolled: 28-line block ×3, first 2 shown]
	s_xor_b32 s50, s51, s50
	s_mov_b32 exec_lo, s51
	s_cbranch_execz .LBB9_47
; %bb.44:                               ;   in Loop: Header=BB9_3 Depth=1
	s_mov_b32 s51, exec_lo
	v_readlane_b32 s52, v90, 25
	s_and_b32 s52, s51, s52
	s_delay_alu instid0(SALU_CYCLE_1)
	s_mov_b32 exec_lo, s52
; %bb.45:                               ;   in Loop: Header=BB9_3 Depth=1
	ds_store_b32 v78, v7
; %bb.46:                               ;   in Loop: Header=BB9_3 Depth=1
	s_or_b32 exec_lo, exec_lo, s51
                                        ; implicit-def: $vgpr28_vgpr29
.LBB9_47:                               ;   in Loop: Header=BB9_3 Depth=1
	s_and_not1_saveexec_b32 s50, s50
	s_cbranch_execz .LBB9_49
; %bb.48:                               ;   in Loop: Header=BB9_3 Depth=1
	v_lshl_add_u64 v[28:29], v[20:21], 2, v[28:29]
	global_load_b32 v24, v[28:29], off
	s_wait_loadcnt 0x0
	v_xor_b32_e32 v24, 0x80000000, v24
	ds_store_b32 v78, v24
.LBB9_49:                               ;   in Loop: Header=BB9_3 Depth=1
	s_or_b32 exec_lo, exec_lo, s50
.LBB9_50:                               ;   in Loop: Header=BB9_3 Depth=1
	s_delay_alu instid0(SALU_CYCLE_1)
	s_and_not1_b32 vcc_lo, exec_lo, s91
	s_wait_loadcnt_dscnt 0x0
	s_barrier_signal -1
	s_barrier_wait -1
	s_cbranch_vccnz .LBB9_1088
; %bb.51:                               ;   in Loop: Header=BB9_3 Depth=1
	s_and_saveexec_b32 s50, s11
	s_cbranch_execz .LBB9_53
; %bb.52:                               ;   in Loop: Header=BB9_3 Depth=1
	ds_load_b32 v24, v7 offset:4
	ds_store_b32 v7, v25
	s_wait_dscnt 0x1
	ds_store_b64 v7, v[24:25] offset:256
.LBB9_53:                               ;   in Loop: Header=BB9_3 Depth=1
	s_or_b32 exec_lo, exec_lo, s50
	v_mov_b32_e32 v24, 0
	s_wait_dscnt 0x0
	s_barrier_signal -1
	s_barrier_wait -1
	s_and_saveexec_b32 s50, s0
	s_cbranch_execz .LBB9_57
; %bb.54:                               ;   in Loop: Header=BB9_3 Depth=1
	ds_load_b32 v24, v39 offset:8
	ds_load_b32 v28, v40
	s_wait_dscnt 0x0
	v_fma_f32 v24, v24, v28, 0
	s_and_saveexec_b32 s51, s12
	s_cbranch_execz .LBB9_56
; %bb.55:                               ;   in Loop: Header=BB9_3 Depth=1
	ds_load_b32 v28, v5 offset:264
	ds_load_b32 v29, v7 offset:4
	s_wait_dscnt 0x0
	v_fmac_f32_e32 v24, v28, v29
.LBB9_56:                               ;   in Loop: Header=BB9_3 Depth=1
	s_or_b32 exec_lo, exec_lo, s51
	s_delay_alu instid0(VALU_DEP_1)
	v_xor_b32_e32 v24, 0x80000000, v24
.LBB9_57:                               ;   in Loop: Header=BB9_3 Depth=1
	s_or_b32 exec_lo, exec_lo, s50
	s_and_saveexec_b32 s50, s92
; %bb.58:                               ;   in Loop: Header=BB9_3 Depth=1
	ds_store_b32 v37, v24
; %bb.59:                               ;   in Loop: Header=BB9_3 Depth=1
	s_or_b32 exec_lo, exec_lo, s50
	s_wait_dscnt 0x0
	s_barrier_signal -1
	s_barrier_wait -1
	s_and_saveexec_b32 s50, s93
	s_cbranch_execz .LBB9_61
; %bb.60:                               ;   in Loop: Header=BB9_3 Depth=1
	ds_load_b32 v28, v7 offset:524
	ds_load_b32 v29, v37
	s_wait_dscnt 0x0
	v_fmac_f32_e32 v24, v28, v29
.LBB9_61:                               ;   in Loop: Header=BB9_3 Depth=1
	s_or_b32 exec_lo, exec_lo, s50
	s_barrier_signal -1
	s_barrier_wait -1
	s_and_saveexec_b32 s50, s93
; %bb.62:                               ;   in Loop: Header=BB9_3 Depth=1
	ds_store_b32 v37, v24
; %bb.63:                               ;   in Loop: Header=BB9_3 Depth=1
	s_or_b32 exec_lo, exec_lo, s50
	s_wait_dscnt 0x0
	s_barrier_signal -1
	s_barrier_wait -1
	s_barrier_signal -1
	s_barrier_wait -1
	s_and_saveexec_b32 s50, s0
; %bb.64:                               ;   in Loop: Header=BB9_3 Depth=1
	v_xor_b32_e32 v24, 0x80000000, v24
	ds_store_b32 v39, v24 offset:8
; %bb.65:                               ;   in Loop: Header=BB9_3 Depth=1
	s_or_b32 exec_lo, exec_lo, s50
	s_wait_dscnt 0x0
	s_barrier_signal -1
	s_barrier_wait -1
	s_barrier_signal -1
	s_barrier_wait -1
	s_and_saveexec_b32 s50, s94
	s_cbranch_execz .LBB9_67
; %bb.66:                               ;   in Loop: Header=BB9_3 Depth=1
	ds_load_b32 v24, v32 offset:8
	s_wait_dscnt 0x0
	ds_store_b32 v5, v24 offset:512
	ds_load_b32 v24, v32 offset:12
	s_wait_dscnt 0x0
	ds_store_b32 v5, v24 offset:768
.LBB9_67:                               ;   in Loop: Header=BB9_3 Depth=1
	s_or_b32 exec_lo, exec_lo, s50
	s_wait_dscnt 0x0
	s_barrier_signal -1
	s_barrier_wait -1
	s_and_saveexec_b32 s50, s11
	s_cbranch_execz .LBB9_69
; %bb.68:                               ;   in Loop: Header=BB9_3 Depth=1
	ds_load_b32 v24, v7 offset:524
	ds_store_b32 v7, v25 offset:520
	s_wait_dscnt 0x1
	ds_store_b64 v7, v[24:25] offset:776
.LBB9_69:                               ;   in Loop: Header=BB9_3 Depth=1
	s_or_b32 exec_lo, exec_lo, s50
	v_mov_b32_e32 v24, 0
	s_wait_dscnt 0x0
	s_barrier_signal -1
	s_barrier_wait -1
	s_and_saveexec_b32 s61, s2
	s_cbranch_execz .LBB9_75
; %bb.70:                               ;   in Loop: Header=BB9_3 Depth=1
	ds_load_b32 v24, v48 offset:16
	ds_load_b32 v28, v41
	s_wait_dscnt 0x0
	v_fma_f32 v24, v24, v28, 0
	s_and_saveexec_b32 s50, s13
	s_cbranch_execnz .LBB9_1175
; %bb.71:                               ;   in Loop: Header=BB9_3 Depth=1
	s_or_b32 exec_lo, exec_lo, s50
	s_and_saveexec_b32 s50, s14
	s_cbranch_execnz .LBB9_1176
.LBB9_72:                               ;   in Loop: Header=BB9_3 Depth=1
	s_or_b32 exec_lo, exec_lo, s50
	s_and_saveexec_b32 s50, s0
	s_cbranch_execz .LBB9_74
.LBB9_73:                               ;   in Loop: Header=BB9_3 Depth=1
	ds_load_b32 v28, v33 offset:784
	ds_load_b32 v29, v7 offset:12
	s_wait_dscnt 0x0
	v_fmac_f32_e32 v24, v28, v29
.LBB9_74:                               ;   in Loop: Header=BB9_3 Depth=1
	s_or_b32 exec_lo, exec_lo, s50
	s_delay_alu instid0(VALU_DEP_1)
	v_xor_b32_e32 v24, 0x80000000, v24
.LBB9_75:                               ;   in Loop: Header=BB9_3 Depth=1
	s_or_b32 exec_lo, exec_lo, s61
	s_and_saveexec_b32 s50, s95
; %bb.76:                               ;   in Loop: Header=BB9_3 Depth=1
	ds_store_b32 v47, v24
; %bb.77:                               ;   in Loop: Header=BB9_3 Depth=1
	s_or_b32 exec_lo, exec_lo, s50
	s_wait_dscnt 0x0
	s_barrier_signal -1
	s_barrier_wait -1
	s_and_saveexec_b32 s50, s96
	s_cbranch_execz .LBB9_79
; %bb.78:                               ;   in Loop: Header=BB9_3 Depth=1
	ds_load_b32 v28, v45 offset:1040
	ds_load_b32 v29, v47
	s_wait_dscnt 0x0
	v_fmac_f32_e32 v24, v28, v29
.LBB9_79:                               ;   in Loop: Header=BB9_3 Depth=1
	s_or_b32 exec_lo, exec_lo, s50
	s_barrier_signal -1
	s_barrier_wait -1
	s_and_saveexec_b32 s50, s97
; %bb.80:                               ;   in Loop: Header=BB9_3 Depth=1
	ds_store_b32 v47, v24
; %bb.81:                               ;   in Loop: Header=BB9_3 Depth=1
	s_or_b32 exec_lo, exec_lo, s50
	s_wait_dscnt 0x0
	s_barrier_signal -1
	s_barrier_wait -1
	s_and_saveexec_b32 s50, s98
	s_cbranch_execz .LBB9_83
; %bb.82:                               ;   in Loop: Header=BB9_3 Depth=1
	ds_load_b32 v28, v45 offset:1296
	ds_load_b32 v29, v47
	s_wait_dscnt 0x0
	v_fmac_f32_e32 v24, v28, v29
.LBB9_83:                               ;   in Loop: Header=BB9_3 Depth=1
	s_or_b32 exec_lo, exec_lo, s50
	s_barrier_signal -1
	s_barrier_wait -1
	;; [unrolled: 19-line block ×3, first 2 shown]
	s_and_saveexec_b32 s50, s100
; %bb.88:                               ;   in Loop: Header=BB9_3 Depth=1
	ds_store_b32 v47, v24
; %bb.89:                               ;   in Loop: Header=BB9_3 Depth=1
	s_or_b32 exec_lo, exec_lo, s50
	s_wait_dscnt 0x0
	s_barrier_signal -1
	s_barrier_wait -1
	s_barrier_signal -1
	s_barrier_wait -1
	s_and_saveexec_b32 s50, s2
; %bb.90:                               ;   in Loop: Header=BB9_3 Depth=1
	v_xor_b32_e32 v24, 0x80000000, v24
	ds_store_b32 v48, v24 offset:16
; %bb.91:                               ;   in Loop: Header=BB9_3 Depth=1
	s_or_b32 exec_lo, exec_lo, s50
	s_wait_dscnt 0x0
	s_barrier_signal -1
	s_barrier_wait -1
	s_barrier_signal -1
	s_barrier_wait -1
	s_and_saveexec_b32 s50, s101
	s_cbranch_execz .LBB9_93
; %bb.92:                               ;   in Loop: Header=BB9_3 Depth=1
	ds_load_b32 v24, v34 offset:16
	s_wait_dscnt 0x0
	ds_store_b32 v35, v24 offset:1024
	ds_load_b32 v24, v34 offset:20
	s_wait_dscnt 0x0
	ds_store_b32 v35, v24 offset:1280
	;; [unrolled: 3-line block ×4, first 2 shown]
.LBB9_93:                               ;   in Loop: Header=BB9_3 Depth=1
	s_or_b32 exec_lo, exec_lo, s50
	s_wait_dscnt 0x0
	s_barrier_signal -1
	s_barrier_wait -1
	s_and_saveexec_b32 s50, s11
	s_cbranch_execz .LBB9_95
; %bb.94:                               ;   in Loop: Header=BB9_3 Depth=1
	ds_load_b32 v24, v7 offset:1044
	ds_store_b32 v7, v25 offset:1040
	s_wait_dscnt 0x1
	ds_store_b64 v7, v[24:25] offset:1296
.LBB9_95:                               ;   in Loop: Header=BB9_3 Depth=1
	s_or_b32 exec_lo, exec_lo, s50
	v_mov_b32_e32 v24, 0
	s_wait_dscnt 0x0
	s_barrier_signal -1
	s_barrier_wait -1
	s_and_saveexec_b32 s50, s0
	s_cbranch_execz .LBB9_99
; %bb.96:                               ;   in Loop: Header=BB9_3 Depth=1
	ds_load_b32 v24, v39 offset:1048
	ds_load_b32 v28, v40 offset:1040
	s_wait_dscnt 0x0
	v_fma_f32 v24, v24, v28, 0
	s_and_saveexec_b32 s51, s12
	s_cbranch_execz .LBB9_98
; %bb.97:                               ;   in Loop: Header=BB9_3 Depth=1
	ds_load_b32 v28, v35 offset:1304
	ds_load_b32 v29, v7 offset:1044
	s_wait_dscnt 0x0
	v_fmac_f32_e32 v24, v28, v29
.LBB9_98:                               ;   in Loop: Header=BB9_3 Depth=1
	s_or_b32 exec_lo, exec_lo, s51
	s_delay_alu instid0(VALU_DEP_1)
	v_xor_b32_e32 v24, 0x80000000, v24
.LBB9_99:                               ;   in Loop: Header=BB9_3 Depth=1
	s_or_b32 exec_lo, exec_lo, s50
	s_and_saveexec_b32 s50, s92
; %bb.100:                              ;   in Loop: Header=BB9_3 Depth=1
	ds_store_b32 v37, v24
; %bb.101:                              ;   in Loop: Header=BB9_3 Depth=1
	s_or_b32 exec_lo, exec_lo, s50
	s_wait_dscnt 0x0
	s_barrier_signal -1
	s_barrier_wait -1
	s_and_saveexec_b32 s50, s93
	s_cbranch_execz .LBB9_103
; %bb.102:                              ;   in Loop: Header=BB9_3 Depth=1
	ds_load_b32 v28, v7 offset:1564
	ds_load_b32 v29, v37
	s_wait_dscnt 0x0
	v_fmac_f32_e32 v24, v28, v29
.LBB9_103:                              ;   in Loop: Header=BB9_3 Depth=1
	s_or_b32 exec_lo, exec_lo, s50
	s_barrier_signal -1
	s_barrier_wait -1
	s_and_saveexec_b32 s50, s93
; %bb.104:                              ;   in Loop: Header=BB9_3 Depth=1
	ds_store_b32 v37, v24
; %bb.105:                              ;   in Loop: Header=BB9_3 Depth=1
	s_or_b32 exec_lo, exec_lo, s50
	s_wait_dscnt 0x0
	s_barrier_signal -1
	s_barrier_wait -1
	s_barrier_signal -1
	s_barrier_wait -1
	s_and_saveexec_b32 s50, s0
; %bb.106:                              ;   in Loop: Header=BB9_3 Depth=1
	v_xor_b32_e32 v24, 0x80000000, v24
	ds_store_b32 v39, v24 offset:1048
; %bb.107:                              ;   in Loop: Header=BB9_3 Depth=1
	s_or_b32 exec_lo, exec_lo, s50
	s_wait_dscnt 0x0
	s_barrier_signal -1
	s_barrier_wait -1
	s_barrier_signal -1
	s_barrier_wait -1
	s_and_saveexec_b32 s50, s94
	s_cbranch_execz .LBB9_109
; %bb.108:                              ;   in Loop: Header=BB9_3 Depth=1
	ds_load_b32 v24, v36 offset:1048
	s_wait_dscnt 0x0
	ds_store_b32 v35, v24 offset:1552
	ds_load_b32 v24, v36 offset:1052
	s_wait_dscnt 0x0
	ds_store_b32 v35, v24 offset:1808
.LBB9_109:                              ;   in Loop: Header=BB9_3 Depth=1
	s_or_b32 exec_lo, exec_lo, s50
	s_wait_dscnt 0x0
	s_barrier_signal -1
	s_barrier_wait -1
	s_and_saveexec_b32 s50, s11
	s_cbranch_execz .LBB9_111
; %bb.110:                              ;   in Loop: Header=BB9_3 Depth=1
	ds_load_b32 v24, v7 offset:1564
	ds_store_b32 v7, v25 offset:1560
	s_wait_dscnt 0x1
	ds_store_b64 v7, v[24:25] offset:1816
.LBB9_111:                              ;   in Loop: Header=BB9_3 Depth=1
	s_or_b32 exec_lo, exec_lo, s50
	v_mov_b32_e32 v24, 0
	s_wait_dscnt 0x0
	s_barrier_signal -1
	s_barrier_wait -1
	s_and_saveexec_b32 s61, s3
	s_cbranch_execz .LBB9_121
; %bb.112:                              ;   in Loop: Header=BB9_3 Depth=1
	ds_load_b32 v24, v55 offset:32
	ds_load_b32 v28, v51
	s_wait_dscnt 0x0
	v_fma_f32 v24, v24, v28, 0
	s_and_saveexec_b32 s50, s15
	s_cbranch_execnz .LBB9_1177
; %bb.113:                              ;   in Loop: Header=BB9_3 Depth=1
	s_or_b32 exec_lo, exec_lo, s50
	s_and_saveexec_b32 s50, s16
	s_cbranch_execnz .LBB9_1178
.LBB9_114:                              ;   in Loop: Header=BB9_3 Depth=1
	s_or_b32 exec_lo, exec_lo, s50
	s_and_saveexec_b32 s50, s17
	s_cbranch_execnz .LBB9_1179
.LBB9_115:                              ;   in Loop: Header=BB9_3 Depth=1
	s_or_b32 exec_lo, exec_lo, s50
	s_and_saveexec_b32 s50, s18
	s_cbranch_execnz .LBB9_1180
.LBB9_116:                              ;   in Loop: Header=BB9_3 Depth=1
	s_or_b32 exec_lo, exec_lo, s50
	s_and_saveexec_b32 s50, s19
	s_cbranch_execnz .LBB9_1181
.LBB9_117:                              ;   in Loop: Header=BB9_3 Depth=1
	s_or_b32 exec_lo, exec_lo, s50
	s_and_saveexec_b32 s50, s2
	s_cbranch_execnz .LBB9_1182
.LBB9_118:                              ;   in Loop: Header=BB9_3 Depth=1
	s_or_b32 exec_lo, exec_lo, s50
	s_and_saveexec_b32 s50, s14
	s_cbranch_execz .LBB9_120
.LBB9_119:                              ;   in Loop: Header=BB9_3 Depth=1
	ds_load_b32 v28, v38 offset:1824
	ds_load_b32 v29, v7 offset:28
	s_wait_dscnt 0x0
	v_fmac_f32_e32 v24, v28, v29
.LBB9_120:                              ;   in Loop: Header=BB9_3 Depth=1
	s_or_b32 exec_lo, exec_lo, s50
	s_delay_alu instid0(VALU_DEP_1)
	v_xor_b32_e32 v24, 0x80000000, v24
.LBB9_121:                              ;   in Loop: Header=BB9_3 Depth=1
	s_or_b32 exec_lo, exec_lo, s61
	s_and_saveexec_b32 s50, s102
; %bb.122:                              ;   in Loop: Header=BB9_3 Depth=1
	ds_store_b32 v54, v24
; %bb.123:                              ;   in Loop: Header=BB9_3 Depth=1
	s_or_b32 exec_lo, exec_lo, s50
	s_wait_dscnt 0x0
	s_barrier_signal -1
	s_barrier_wait -1
	s_and_saveexec_b32 s50, s103
	s_cbranch_execz .LBB9_125
; %bb.124:                              ;   in Loop: Header=BB9_3 Depth=1
	ds_load_b32 v28, v52 offset:2080
	ds_load_b32 v29, v54
	s_wait_dscnt 0x0
	v_fmac_f32_e32 v24, v28, v29
.LBB9_125:                              ;   in Loop: Header=BB9_3 Depth=1
	s_or_b32 exec_lo, exec_lo, s50
	s_barrier_signal -1
	s_barrier_wait -1
	s_and_saveexec_b32 s50, s104
; %bb.126:                              ;   in Loop: Header=BB9_3 Depth=1
	ds_store_b32 v54, v24
; %bb.127:                              ;   in Loop: Header=BB9_3 Depth=1
	s_or_b32 exec_lo, exec_lo, s50
	s_wait_dscnt 0x0
	s_barrier_signal -1
	s_barrier_wait -1
	s_and_saveexec_b32 s50, vcc_hi
	s_cbranch_execz .LBB9_129
; %bb.128:                              ;   in Loop: Header=BB9_3 Depth=1
	ds_load_b32 v28, v52 offset:2336
	ds_load_b32 v29, v54
	s_wait_dscnt 0x0
	v_fmac_f32_e32 v24, v28, v29
.LBB9_129:                              ;   in Loop: Header=BB9_3 Depth=1
	s_or_b32 exec_lo, exec_lo, s50
	s_barrier_signal -1
	s_barrier_wait -1
	s_and_saveexec_b32 s50, s31
; %bb.130:                              ;   in Loop: Header=BB9_3 Depth=1
	ds_store_b32 v54, v24
; %bb.131:                              ;   in Loop: Header=BB9_3 Depth=1
	s_or_b32 exec_lo, exec_lo, s50
	s_wait_dscnt 0x0
	s_barrier_signal -1
	s_barrier_wait -1
	s_and_saveexec_b32 s50, s33
	s_cbranch_execz .LBB9_133
; %bb.132:                              ;   in Loop: Header=BB9_3 Depth=1
	ds_load_b32 v28, v52 offset:2592
	ds_load_b32 v29, v54
	s_wait_dscnt 0x0
	v_fmac_f32_e32 v24, v28, v29
.LBB9_133:                              ;   in Loop: Header=BB9_3 Depth=1
	s_or_b32 exec_lo, exec_lo, s50
	s_barrier_signal -1
	s_barrier_wait -1
	s_and_saveexec_b32 s50, s34
; %bb.134:                              ;   in Loop: Header=BB9_3 Depth=1
	ds_store_b32 v54, v24
; %bb.135:                              ;   in Loop: Header=BB9_3 Depth=1
	s_or_b32 exec_lo, exec_lo, s50
	s_wait_dscnt 0x0
	s_barrier_signal -1
	s_barrier_wait -1
	s_and_saveexec_b32 s50, s35
	;; [unrolled: 19-line block ×5, first 2 shown]
	s_cbranch_execz .LBB9_149
; %bb.148:                              ;   in Loop: Header=BB9_3 Depth=1
	ds_load_b32 v28, v7 offset:3644
	ds_load_b32 v29, v54
	s_wait_dscnt 0x0
	v_fmac_f32_e32 v24, v28, v29
.LBB9_149:                              ;   in Loop: Header=BB9_3 Depth=1
	s_or_b32 exec_lo, exec_lo, s50
	s_barrier_signal -1
	s_barrier_wait -1
	s_and_saveexec_b32 s50, s41
; %bb.150:                              ;   in Loop: Header=BB9_3 Depth=1
	ds_store_b32 v54, v24
; %bb.151:                              ;   in Loop: Header=BB9_3 Depth=1
	s_or_b32 exec_lo, exec_lo, s50
	s_wait_dscnt 0x0
	s_barrier_signal -1
	s_barrier_wait -1
	s_barrier_signal -1
	s_barrier_wait -1
	s_and_saveexec_b32 s50, s3
; %bb.152:                              ;   in Loop: Header=BB9_3 Depth=1
	v_xor_b32_e32 v24, 0x80000000, v24
	ds_store_b32 v55, v24 offset:32
; %bb.153:                              ;   in Loop: Header=BB9_3 Depth=1
	s_or_b32 exec_lo, exec_lo, s50
	s_wait_dscnt 0x0
	s_barrier_signal -1
	s_barrier_wait -1
	s_barrier_signal -1
	s_barrier_wait -1
	s_and_saveexec_b32 s50, s42
	s_cbranch_execz .LBB9_155
; %bb.154:                              ;   in Loop: Header=BB9_3 Depth=1
	ds_load_b32 v24, v42 offset:32
	s_wait_dscnt 0x0
	ds_store_b32 v46, v24 offset:2048
	ds_load_b32 v24, v42 offset:36
	s_wait_dscnt 0x0
	ds_store_b32 v46, v24 offset:2304
	ds_load_b32 v24, v42 offset:40
	s_wait_dscnt 0x0
	ds_store_b32 v46, v24 offset:2560
	ds_load_b32 v24, v42 offset:44
	s_wait_dscnt 0x0
	ds_store_b32 v46, v24 offset:2816
	ds_load_b32 v24, v42 offset:48
	s_wait_dscnt 0x0
	ds_store_b32 v46, v24 offset:3072
	ds_load_b32 v24, v42 offset:52
	s_wait_dscnt 0x0
	ds_store_b32 v46, v24 offset:3328
	ds_load_b32 v24, v42 offset:56
	s_wait_dscnt 0x0
	ds_store_b32 v46, v24 offset:3584
	ds_load_b32 v24, v42 offset:60
	s_wait_dscnt 0x0
	ds_store_b32 v46, v24 offset:3840
.LBB9_155:                              ;   in Loop: Header=BB9_3 Depth=1
	s_or_b32 exec_lo, exec_lo, s50
	s_wait_dscnt 0x0
	s_barrier_signal -1
	s_barrier_wait -1
	s_and_saveexec_b32 s50, s11
	s_cbranch_execz .LBB9_157
; %bb.156:                              ;   in Loop: Header=BB9_3 Depth=1
	ds_load_b32 v24, v7 offset:2084
	ds_store_b32 v7, v25 offset:2080
	s_wait_dscnt 0x1
	ds_store_b64 v7, v[24:25] offset:2336
.LBB9_157:                              ;   in Loop: Header=BB9_3 Depth=1
	s_or_b32 exec_lo, exec_lo, s50
	v_mov_b32_e32 v24, 0
	s_wait_dscnt 0x0
	s_barrier_signal -1
	s_barrier_wait -1
	s_and_saveexec_b32 s50, s0
	s_cbranch_execz .LBB9_161
; %bb.158:                              ;   in Loop: Header=BB9_3 Depth=1
	ds_load_b32 v24, v39 offset:2088
	ds_load_b32 v28, v40 offset:2080
	s_wait_dscnt 0x0
	v_fma_f32 v24, v24, v28, 0
	s_and_saveexec_b32 s51, s12
	s_cbranch_execz .LBB9_160
; %bb.159:                              ;   in Loop: Header=BB9_3 Depth=1
	ds_load_b32 v28, v46 offset:2344
	ds_load_b32 v29, v7 offset:2084
	s_wait_dscnt 0x0
	v_fmac_f32_e32 v24, v28, v29
.LBB9_160:                              ;   in Loop: Header=BB9_3 Depth=1
	s_or_b32 exec_lo, exec_lo, s51
	s_delay_alu instid0(VALU_DEP_1)
	v_xor_b32_e32 v24, 0x80000000, v24
.LBB9_161:                              ;   in Loop: Header=BB9_3 Depth=1
	s_or_b32 exec_lo, exec_lo, s50
	s_and_saveexec_b32 s50, s92
; %bb.162:                              ;   in Loop: Header=BB9_3 Depth=1
	ds_store_b32 v37, v24
; %bb.163:                              ;   in Loop: Header=BB9_3 Depth=1
	s_or_b32 exec_lo, exec_lo, s50
	s_wait_dscnt 0x0
	s_barrier_signal -1
	s_barrier_wait -1
	s_and_saveexec_b32 s50, s93
	s_cbranch_execz .LBB9_165
; %bb.164:                              ;   in Loop: Header=BB9_3 Depth=1
	ds_load_b32 v28, v7 offset:2604
	ds_load_b32 v29, v37
	s_wait_dscnt 0x0
	v_fmac_f32_e32 v24, v28, v29
.LBB9_165:                              ;   in Loop: Header=BB9_3 Depth=1
	s_or_b32 exec_lo, exec_lo, s50
	s_barrier_signal -1
	s_barrier_wait -1
	s_and_saveexec_b32 s50, s93
; %bb.166:                              ;   in Loop: Header=BB9_3 Depth=1
	ds_store_b32 v37, v24
; %bb.167:                              ;   in Loop: Header=BB9_3 Depth=1
	s_or_b32 exec_lo, exec_lo, s50
	s_wait_dscnt 0x0
	s_barrier_signal -1
	s_barrier_wait -1
	s_barrier_signal -1
	s_barrier_wait -1
	s_and_saveexec_b32 s50, s0
; %bb.168:                              ;   in Loop: Header=BB9_3 Depth=1
	v_xor_b32_e32 v24, 0x80000000, v24
	ds_store_b32 v39, v24 offset:2088
; %bb.169:                              ;   in Loop: Header=BB9_3 Depth=1
	s_or_b32 exec_lo, exec_lo, s50
	s_wait_dscnt 0x0
	s_barrier_signal -1
	s_barrier_wait -1
	s_barrier_signal -1
	s_barrier_wait -1
	s_and_saveexec_b32 s50, s94
	s_cbranch_execz .LBB9_171
; %bb.170:                              ;   in Loop: Header=BB9_3 Depth=1
	ds_load_b32 v24, v50 offset:2088
	s_wait_dscnt 0x0
	ds_store_b32 v46, v24 offset:2592
	ds_load_b32 v24, v50 offset:2092
	s_wait_dscnt 0x0
	ds_store_b32 v46, v24 offset:2848
.LBB9_171:                              ;   in Loop: Header=BB9_3 Depth=1
	s_or_b32 exec_lo, exec_lo, s50
	s_wait_dscnt 0x0
	s_barrier_signal -1
	s_barrier_wait -1
	s_and_saveexec_b32 s50, s11
	s_cbranch_execz .LBB9_173
; %bb.172:                              ;   in Loop: Header=BB9_3 Depth=1
	ds_load_b32 v24, v7 offset:2604
	ds_store_b32 v7, v25 offset:2600
	s_wait_dscnt 0x1
	ds_store_b64 v7, v[24:25] offset:2856
.LBB9_173:                              ;   in Loop: Header=BB9_3 Depth=1
	s_or_b32 exec_lo, exec_lo, s50
	v_mov_b32_e32 v24, 0
	s_wait_dscnt 0x0
	s_barrier_signal -1
	s_barrier_wait -1
	s_and_saveexec_b32 s61, s2
	s_cbranch_execz .LBB9_179
; %bb.174:                              ;   in Loop: Header=BB9_3 Depth=1
	ds_load_b32 v24, v48 offset:2096
	ds_load_b32 v28, v41 offset:2080
	s_wait_dscnt 0x0
	v_fma_f32 v24, v24, v28, 0
	s_and_saveexec_b32 s50, s13
	s_cbranch_execnz .LBB9_1183
; %bb.175:                              ;   in Loop: Header=BB9_3 Depth=1
	s_or_b32 exec_lo, exec_lo, s50
	s_and_saveexec_b32 s50, s14
	s_cbranch_execnz .LBB9_1184
.LBB9_176:                              ;   in Loop: Header=BB9_3 Depth=1
	s_or_b32 exec_lo, exec_lo, s50
	s_and_saveexec_b32 s50, s0
	s_cbranch_execz .LBB9_178
.LBB9_177:                              ;   in Loop: Header=BB9_3 Depth=1
	ds_load_b32 v28, v53 offset:2864
	ds_load_b32 v29, v7 offset:2092
	s_wait_dscnt 0x0
	v_fmac_f32_e32 v24, v28, v29
.LBB9_178:                              ;   in Loop: Header=BB9_3 Depth=1
	s_or_b32 exec_lo, exec_lo, s50
	s_delay_alu instid0(VALU_DEP_1)
	v_xor_b32_e32 v24, 0x80000000, v24
.LBB9_179:                              ;   in Loop: Header=BB9_3 Depth=1
	s_or_b32 exec_lo, exec_lo, s61
	s_and_saveexec_b32 s50, s95
; %bb.180:                              ;   in Loop: Header=BB9_3 Depth=1
	ds_store_b32 v47, v24
; %bb.181:                              ;   in Loop: Header=BB9_3 Depth=1
	s_or_b32 exec_lo, exec_lo, s50
	s_wait_dscnt 0x0
	s_barrier_signal -1
	s_barrier_wait -1
	s_and_saveexec_b32 s50, s96
	s_cbranch_execz .LBB9_183
; %bb.182:                              ;   in Loop: Header=BB9_3 Depth=1
	ds_load_b32 v28, v45 offset:3120
	ds_load_b32 v29, v47
	s_wait_dscnt 0x0
	v_fmac_f32_e32 v24, v28, v29
.LBB9_183:                              ;   in Loop: Header=BB9_3 Depth=1
	s_or_b32 exec_lo, exec_lo, s50
	s_barrier_signal -1
	s_barrier_wait -1
	s_and_saveexec_b32 s50, s97
; %bb.184:                              ;   in Loop: Header=BB9_3 Depth=1
	ds_store_b32 v47, v24
; %bb.185:                              ;   in Loop: Header=BB9_3 Depth=1
	s_or_b32 exec_lo, exec_lo, s50
	s_wait_dscnt 0x0
	s_barrier_signal -1
	s_barrier_wait -1
	s_and_saveexec_b32 s50, s98
	s_cbranch_execz .LBB9_187
; %bb.186:                              ;   in Loop: Header=BB9_3 Depth=1
	ds_load_b32 v28, v45 offset:3376
	ds_load_b32 v29, v47
	s_wait_dscnt 0x0
	v_fmac_f32_e32 v24, v28, v29
.LBB9_187:                              ;   in Loop: Header=BB9_3 Depth=1
	s_or_b32 exec_lo, exec_lo, s50
	s_barrier_signal -1
	s_barrier_wait -1
	s_and_saveexec_b32 s50, s99
; %bb.188:                              ;   in Loop: Header=BB9_3 Depth=1
	ds_store_b32 v47, v24
; %bb.189:                              ;   in Loop: Header=BB9_3 Depth=1
	s_or_b32 exec_lo, exec_lo, s50
	s_wait_dscnt 0x0
	s_barrier_signal -1
	s_barrier_wait -1
	s_and_saveexec_b32 s50, s100
	s_cbranch_execz .LBB9_191
; %bb.190:                              ;   in Loop: Header=BB9_3 Depth=1
	ds_load_b32 v28, v7 offset:3644
	ds_load_b32 v29, v47
	s_wait_dscnt 0x0
	v_fmac_f32_e32 v24, v28, v29
.LBB9_191:                              ;   in Loop: Header=BB9_3 Depth=1
	s_or_b32 exec_lo, exec_lo, s50
	s_barrier_signal -1
	s_barrier_wait -1
	s_and_saveexec_b32 s50, s100
; %bb.192:                              ;   in Loop: Header=BB9_3 Depth=1
	ds_store_b32 v47, v24
; %bb.193:                              ;   in Loop: Header=BB9_3 Depth=1
	s_or_b32 exec_lo, exec_lo, s50
	s_wait_dscnt 0x0
	s_barrier_signal -1
	s_barrier_wait -1
	s_barrier_signal -1
	s_barrier_wait -1
	s_and_saveexec_b32 s50, s2
; %bb.194:                              ;   in Loop: Header=BB9_3 Depth=1
	v_xor_b32_e32 v24, 0x80000000, v24
	ds_store_b32 v48, v24 offset:2096
; %bb.195:                              ;   in Loop: Header=BB9_3 Depth=1
	s_or_b32 exec_lo, exec_lo, s50
	s_wait_dscnt 0x0
	s_barrier_signal -1
	s_barrier_wait -1
	s_barrier_signal -1
	s_barrier_wait -1
	s_and_saveexec_b32 s50, s101
	s_cbranch_execz .LBB9_197
; %bb.196:                              ;   in Loop: Header=BB9_3 Depth=1
	ds_load_b32 v24, v56 offset:2096
	s_wait_dscnt 0x0
	ds_store_b32 v59, v24 offset:3104
	ds_load_b32 v24, v56 offset:2100
	s_wait_dscnt 0x0
	ds_store_b32 v59, v24 offset:3360
	;; [unrolled: 3-line block ×4, first 2 shown]
.LBB9_197:                              ;   in Loop: Header=BB9_3 Depth=1
	s_or_b32 exec_lo, exec_lo, s50
	s_wait_dscnt 0x0
	s_barrier_signal -1
	s_barrier_wait -1
	s_and_saveexec_b32 s50, s11
	s_cbranch_execz .LBB9_199
; %bb.198:                              ;   in Loop: Header=BB9_3 Depth=1
	ds_load_b32 v24, v7 offset:3124
	ds_store_b32 v7, v25 offset:3120
	s_wait_dscnt 0x1
	ds_store_b64 v7, v[24:25] offset:3376
.LBB9_199:                              ;   in Loop: Header=BB9_3 Depth=1
	s_or_b32 exec_lo, exec_lo, s50
	v_mov_b32_e32 v24, 0
	s_wait_dscnt 0x0
	s_barrier_signal -1
	s_barrier_wait -1
	s_and_saveexec_b32 s50, s0
	s_cbranch_execz .LBB9_203
; %bb.200:                              ;   in Loop: Header=BB9_3 Depth=1
	ds_load_b32 v24, v39 offset:3128
	ds_load_b32 v28, v40 offset:3120
	s_wait_dscnt 0x0
	v_fma_f32 v24, v24, v28, 0
	s_and_saveexec_b32 s51, s12
	s_cbranch_execz .LBB9_202
; %bb.201:                              ;   in Loop: Header=BB9_3 Depth=1
	ds_load_b32 v28, v59 offset:3384
	ds_load_b32 v29, v7 offset:3124
	s_wait_dscnt 0x0
	v_fmac_f32_e32 v24, v28, v29
.LBB9_202:                              ;   in Loop: Header=BB9_3 Depth=1
	s_or_b32 exec_lo, exec_lo, s51
	s_delay_alu instid0(VALU_DEP_1)
	v_xor_b32_e32 v24, 0x80000000, v24
.LBB9_203:                              ;   in Loop: Header=BB9_3 Depth=1
	s_or_b32 exec_lo, exec_lo, s50
	s_and_saveexec_b32 s50, s92
; %bb.204:                              ;   in Loop: Header=BB9_3 Depth=1
	ds_store_b32 v37, v24
; %bb.205:                              ;   in Loop: Header=BB9_3 Depth=1
	s_or_b32 exec_lo, exec_lo, s50
	s_wait_dscnt 0x0
	s_barrier_signal -1
	s_barrier_wait -1
	s_and_saveexec_b32 s50, s93
	s_cbranch_execz .LBB9_207
; %bb.206:                              ;   in Loop: Header=BB9_3 Depth=1
	ds_load_b32 v28, v7 offset:3644
	ds_load_b32 v29, v37
	s_wait_dscnt 0x0
	v_fmac_f32_e32 v24, v28, v29
.LBB9_207:                              ;   in Loop: Header=BB9_3 Depth=1
	s_or_b32 exec_lo, exec_lo, s50
	s_barrier_signal -1
	s_barrier_wait -1
	s_and_saveexec_b32 s50, s93
; %bb.208:                              ;   in Loop: Header=BB9_3 Depth=1
	ds_store_b32 v37, v24
; %bb.209:                              ;   in Loop: Header=BB9_3 Depth=1
	s_or_b32 exec_lo, exec_lo, s50
	s_wait_dscnt 0x0
	s_barrier_signal -1
	s_barrier_wait -1
	s_barrier_signal -1
	s_barrier_wait -1
	s_and_saveexec_b32 s50, s0
; %bb.210:                              ;   in Loop: Header=BB9_3 Depth=1
	v_xor_b32_e32 v24, 0x80000000, v24
	ds_store_b32 v39, v24 offset:3128
; %bb.211:                              ;   in Loop: Header=BB9_3 Depth=1
	s_or_b32 exec_lo, exec_lo, s50
	s_wait_dscnt 0x0
	s_barrier_signal -1
	s_barrier_wait -1
	s_barrier_signal -1
	s_barrier_wait -1
	s_and_saveexec_b32 s50, s94
	s_cbranch_execz .LBB9_213
; %bb.212:                              ;   in Loop: Header=BB9_3 Depth=1
	v_add_nc_u32_e32 v24, v59, v44
	ds_load_b32 v28, v24 offset:3128
	s_wait_dscnt 0x0
	ds_store_b32 v59, v28 offset:3632
	ds_load_b32 v24, v24 offset:3132
	s_wait_dscnt 0x0
	ds_store_b32 v59, v24 offset:3888
.LBB9_213:                              ;   in Loop: Header=BB9_3 Depth=1
	s_or_b32 exec_lo, exec_lo, s50
	s_wait_dscnt 0x0
	s_barrier_signal -1
	s_barrier_wait -1
	s_and_saveexec_b32 s50, s11
	s_cbranch_execz .LBB9_215
; %bb.214:                              ;   in Loop: Header=BB9_3 Depth=1
	ds_load_b32 v24, v7 offset:3644
	ds_store_b32 v7, v25 offset:3640
	s_wait_dscnt 0x1
	ds_store_b64 v7, v[24:25] offset:3896
.LBB9_215:                              ;   in Loop: Header=BB9_3 Depth=1
	s_or_b32 exec_lo, exec_lo, s50
	v_mov_b32_e32 v24, 0
	s_wait_dscnt 0x0
	s_barrier_signal -1
	s_barrier_wait -1
	s_and_saveexec_b32 s61, s4
	s_cbranch_execz .LBB9_243
; %bb.216:                              ;   in Loop: Header=BB9_3 Depth=1
	ds_load_b32 v24, v65 offset:64
	ds_load_b32 v28, v58
	s_wait_dscnt 0x0
	v_fma_f32 v24, v24, v28, 0
	s_mov_b32 s50, exec_lo
	v_readlane_b32 s51, v91, 20
	s_and_b32 s51, s50, s51
	s_delay_alu instid0(SALU_CYCLE_1)
	s_mov_b32 exec_lo, s51
	s_cbranch_execz .LBB9_218
; %bb.217:                              ;   in Loop: Header=BB9_3 Depth=1
	ds_load_b32 v28, v66 offset:320
	ds_load_b32 v29, v58 offset:4
	s_wait_dscnt 0x0
	v_fmac_f32_e32 v24, v28, v29
.LBB9_218:                              ;   in Loop: Header=BB9_3 Depth=1
	s_or_b32 exec_lo, exec_lo, s50
	s_delay_alu instid0(SALU_CYCLE_1) | instskip(SKIP_2) | instid1(SALU_CYCLE_1)
	s_mov_b32 s50, exec_lo
	v_readlane_b32 s51, v91, 21
	s_and_b32 s51, s50, s51
	s_mov_b32 exec_lo, s51
	s_cbranch_execz .LBB9_220
; %bb.219:                              ;   in Loop: Header=BB9_3 Depth=1
	ds_load_b32 v28, v66 offset:576
	ds_load_b32 v29, v58 offset:8
	s_wait_dscnt 0x0
	v_fmac_f32_e32 v24, v28, v29
.LBB9_220:                              ;   in Loop: Header=BB9_3 Depth=1
	s_or_b32 exec_lo, exec_lo, s50
	s_delay_alu instid0(SALU_CYCLE_1) | instskip(SKIP_2) | instid1(SALU_CYCLE_1)
	s_mov_b32 s50, exec_lo
	v_readlane_b32 s51, v91, 22
	s_and_b32 s51, s50, s51
	;; [unrolled: 13-line block ×10, first 2 shown]
	s_mov_b32 exec_lo, s51
	s_cbranch_execnz .LBB9_1185
; %bb.237:                              ;   in Loop: Header=BB9_3 Depth=1
	s_or_b32 exec_lo, exec_lo, s50
	s_and_saveexec_b32 s50, s3
	s_cbranch_execnz .LBB9_1186
.LBB9_238:                              ;   in Loop: Header=BB9_3 Depth=1
	s_or_b32 exec_lo, exec_lo, s50
	s_and_saveexec_b32 s50, s16
	s_cbranch_execnz .LBB9_1187
.LBB9_239:                              ;   in Loop: Header=BB9_3 Depth=1
	s_or_b32 exec_lo, exec_lo, s50
	s_and_saveexec_b32 s50, s18
	s_cbranch_execnz .LBB9_1188
.LBB9_240:                              ;   in Loop: Header=BB9_3 Depth=1
	s_or_b32 exec_lo, exec_lo, s50
	s_and_saveexec_b32 s50, s2
	s_cbranch_execz .LBB9_242
.LBB9_241:                              ;   in Loop: Header=BB9_3 Depth=1
	ds_load_b32 v28, v5 offset:3904
	ds_load_b32 v29, v7 offset:60
	s_wait_dscnt 0x0
	v_fmac_f32_e32 v24, v28, v29
.LBB9_242:                              ;   in Loop: Header=BB9_3 Depth=1
	s_or_b32 exec_lo, exec_lo, s50
	s_delay_alu instid0(VALU_DEP_1)
	v_xor_b32_e32 v24, 0x80000000, v24
.LBB9_243:                              ;   in Loop: Header=BB9_3 Depth=1
	s_or_b32 exec_lo, exec_lo, s61
	s_delay_alu instid0(SALU_CYCLE_1) | instskip(SKIP_2) | instid1(SALU_CYCLE_1)
	s_mov_b32 s50, exec_lo
	v_readlane_b32 s51, v93, 2
	s_and_b32 s51, s50, s51
	s_mov_b32 exec_lo, s51
; %bb.244:                              ;   in Loop: Header=BB9_3 Depth=1
	ds_store_b32 v60, v24
; %bb.245:                              ;   in Loop: Header=BB9_3 Depth=1
	s_or_b32 exec_lo, exec_lo, s50
	s_wait_dscnt 0x0
	s_barrier_signal -1
	s_barrier_wait -1
	s_mov_b32 s50, exec_lo
	v_readlane_b32 s51, v93, 3
	s_and_b32 s51, s50, s51
	s_delay_alu instid0(SALU_CYCLE_1)
	s_mov_b32 exec_lo, s51
	s_cbranch_execz .LBB9_247
; %bb.246:                              ;   in Loop: Header=BB9_3 Depth=1
	ds_load_b32 v28, v61 offset:4160
	ds_load_b32 v29, v60
	s_wait_dscnt 0x0
	v_fmac_f32_e32 v24, v28, v29
.LBB9_247:                              ;   in Loop: Header=BB9_3 Depth=1
	s_or_b32 exec_lo, exec_lo, s50
	s_barrier_signal -1
	s_barrier_wait -1
	s_mov_b32 s50, exec_lo
	v_readlane_b32 s51, v93, 4
	s_and_b32 s51, s50, s51
	s_delay_alu instid0(SALU_CYCLE_1)
	s_mov_b32 exec_lo, s51
; %bb.248:                              ;   in Loop: Header=BB9_3 Depth=1
	ds_store_b32 v60, v24
; %bb.249:                              ;   in Loop: Header=BB9_3 Depth=1
	s_or_b32 exec_lo, exec_lo, s50
	s_wait_dscnt 0x0
	s_barrier_signal -1
	s_barrier_wait -1
	s_mov_b32 s50, exec_lo
	v_readlane_b32 s51, v93, 5
	s_and_b32 s51, s50, s51
	s_delay_alu instid0(SALU_CYCLE_1)
	s_mov_b32 exec_lo, s51
	s_cbranch_execz .LBB9_251
; %bb.250:                              ;   in Loop: Header=BB9_3 Depth=1
	ds_load_b32 v28, v61 offset:4416
	ds_load_b32 v29, v60
	s_wait_dscnt 0x0
	v_fmac_f32_e32 v24, v28, v29
.LBB9_251:                              ;   in Loop: Header=BB9_3 Depth=1
	s_or_b32 exec_lo, exec_lo, s50
	s_barrier_signal -1
	s_barrier_wait -1
	s_mov_b32 s50, exec_lo
	v_readlane_b32 s51, v93, 6
	s_and_b32 s51, s50, s51
	s_delay_alu instid0(SALU_CYCLE_1)
	;; [unrolled: 27-line block ×4, first 2 shown]
	s_mov_b32 exec_lo, s51
; %bb.260:                              ;   in Loop: Header=BB9_3 Depth=1
	ds_store_b32 v60, v24
; %bb.261:                              ;   in Loop: Header=BB9_3 Depth=1
	s_or_b32 exec_lo, exec_lo, s50
	s_wait_dscnt 0x0
	s_barrier_signal -1
	s_barrier_wait -1
	s_mov_b32 s50, exec_lo
	v_readlane_b32 s51, v93, 11
	s_and_b32 s51, s50, s51
	s_delay_alu instid0(SALU_CYCLE_1)
	s_mov_b32 exec_lo, s51
	s_cbranch_execz .LBB9_263
; %bb.262:                              ;   in Loop: Header=BB9_3 Depth=1
	ds_load_b32 v28, v61 offset:5184
	ds_load_b32 v29, v60
	s_wait_dscnt 0x0
	v_fmac_f32_e32 v24, v28, v29
.LBB9_263:                              ;   in Loop: Header=BB9_3 Depth=1
	s_or_b32 exec_lo, exec_lo, s50
	s_barrier_signal -1
	s_barrier_wait -1
	s_and_saveexec_b32 s50, s53
; %bb.264:                              ;   in Loop: Header=BB9_3 Depth=1
	ds_store_b32 v60, v24
; %bb.265:                              ;   in Loop: Header=BB9_3 Depth=1
	s_or_b32 exec_lo, exec_lo, s50
	s_wait_dscnt 0x0
	s_barrier_signal -1
	s_barrier_wait -1
	s_and_saveexec_b32 s50, s54
	s_cbranch_execz .LBB9_267
; %bb.266:                              ;   in Loop: Header=BB9_3 Depth=1
	ds_load_b32 v28, v61 offset:5440
	ds_load_b32 v29, v60
	s_wait_dscnt 0x0
	v_fmac_f32_e32 v24, v28, v29
.LBB9_267:                              ;   in Loop: Header=BB9_3 Depth=1
	s_or_b32 exec_lo, exec_lo, s50
	s_barrier_signal -1
	s_barrier_wait -1
	s_and_saveexec_b32 s50, s20
; %bb.268:                              ;   in Loop: Header=BB9_3 Depth=1
	ds_store_b32 v60, v24
; %bb.269:                              ;   in Loop: Header=BB9_3 Depth=1
	s_or_b32 exec_lo, exec_lo, s50
	s_wait_dscnt 0x0
	s_barrier_signal -1
	s_barrier_wait -1
	s_and_saveexec_b32 s50, s22
	;; [unrolled: 19-line block ×10, first 2 shown]
	s_cbranch_execz .LBB9_303
; %bb.302:                              ;   in Loop: Header=BB9_3 Depth=1
	ds_load_b32 v28, v7 offset:7804
	ds_load_b32 v29, v60
	s_wait_dscnt 0x0
	v_fmac_f32_e32 v24, v28, v29
.LBB9_303:                              ;   in Loop: Header=BB9_3 Depth=1
	s_or_b32 exec_lo, exec_lo, s50
	s_barrier_signal -1
	s_barrier_wait -1
	s_and_saveexec_b32 s50, s45
; %bb.304:                              ;   in Loop: Header=BB9_3 Depth=1
	ds_store_b32 v60, v24
; %bb.305:                              ;   in Loop: Header=BB9_3 Depth=1
	s_or_b32 exec_lo, exec_lo, s50
	s_wait_dscnt 0x0
	s_barrier_signal -1
	s_barrier_wait -1
	s_barrier_signal -1
	s_barrier_wait -1
	s_and_saveexec_b32 s50, s4
; %bb.306:                              ;   in Loop: Header=BB9_3 Depth=1
	v_xor_b32_e32 v24, 0x80000000, v24
	ds_store_b32 v65, v24 offset:64
; %bb.307:                              ;   in Loop: Header=BB9_3 Depth=1
	s_or_b32 exec_lo, exec_lo, s50
	s_wait_dscnt 0x0
	s_barrier_signal -1
	s_barrier_wait -1
	s_barrier_signal -1
	s_barrier_wait -1
	s_and_saveexec_b32 s60, s46
	s_cbranch_execz .LBB9_309
; %bb.308:                              ;   in Loop: Header=BB9_3 Depth=1
	ds_load_b32 v24, v32 offset:64
	s_wait_dscnt 0x0
	ds_store_b32 v33, v24 offset:4096
	ds_load_b32 v24, v32 offset:68
	s_wait_dscnt 0x0
	ds_store_b32 v33, v24 offset:4352
	;; [unrolled: 3-line block ×16, first 2 shown]
.LBB9_309:                              ;   in Loop: Header=BB9_3 Depth=1
	s_or_b32 exec_lo, exec_lo, s60
	s_wait_dscnt 0x0
	s_barrier_signal -1
	s_barrier_wait -1
	s_and_saveexec_b32 s50, s11
	s_cbranch_execz .LBB9_311
; %bb.310:                              ;   in Loop: Header=BB9_3 Depth=1
	ds_load_b32 v24, v7 offset:4164
	ds_store_b32 v7, v25 offset:4160
	s_wait_dscnt 0x1
	ds_store_b64 v7, v[24:25] offset:4416
.LBB9_311:                              ;   in Loop: Header=BB9_3 Depth=1
	s_or_b32 exec_lo, exec_lo, s50
	v_mov_b32_e32 v24, 0
	s_wait_dscnt 0x0
	s_barrier_signal -1
	s_barrier_wait -1
	s_and_saveexec_b32 s50, s0
	s_cbranch_execz .LBB9_315
; %bb.312:                              ;   in Loop: Header=BB9_3 Depth=1
	ds_load_b32 v24, v39 offset:4168
	ds_load_b32 v28, v40 offset:4160
	s_wait_dscnt 0x0
	v_fma_f32 v24, v24, v28, 0
	s_and_saveexec_b32 s51, s12
	s_cbranch_execz .LBB9_314
; %bb.313:                              ;   in Loop: Header=BB9_3 Depth=1
	ds_load_b32 v28, v5 offset:4424
	ds_load_b32 v29, v7 offset:4164
	s_wait_dscnt 0x0
	v_fmac_f32_e32 v24, v28, v29
.LBB9_314:                              ;   in Loop: Header=BB9_3 Depth=1
	s_or_b32 exec_lo, exec_lo, s51
	s_delay_alu instid0(VALU_DEP_1)
	v_xor_b32_e32 v24, 0x80000000, v24
.LBB9_315:                              ;   in Loop: Header=BB9_3 Depth=1
	s_or_b32 exec_lo, exec_lo, s50
	s_and_saveexec_b32 s50, s92
; %bb.316:                              ;   in Loop: Header=BB9_3 Depth=1
	ds_store_b32 v37, v24
; %bb.317:                              ;   in Loop: Header=BB9_3 Depth=1
	s_or_b32 exec_lo, exec_lo, s50
	s_wait_dscnt 0x0
	s_barrier_signal -1
	s_barrier_wait -1
	s_and_saveexec_b32 s50, s93
	s_cbranch_execz .LBB9_319
; %bb.318:                              ;   in Loop: Header=BB9_3 Depth=1
	ds_load_b32 v28, v7 offset:4684
	ds_load_b32 v29, v37
	s_wait_dscnt 0x0
	v_fmac_f32_e32 v24, v28, v29
.LBB9_319:                              ;   in Loop: Header=BB9_3 Depth=1
	s_or_b32 exec_lo, exec_lo, s50
	s_barrier_signal -1
	s_barrier_wait -1
	s_and_saveexec_b32 s50, s93
; %bb.320:                              ;   in Loop: Header=BB9_3 Depth=1
	ds_store_b32 v37, v24
; %bb.321:                              ;   in Loop: Header=BB9_3 Depth=1
	s_or_b32 exec_lo, exec_lo, s50
	s_wait_dscnt 0x0
	s_barrier_signal -1
	s_barrier_wait -1
	s_barrier_signal -1
	s_barrier_wait -1
	s_and_saveexec_b32 s50, s0
; %bb.322:                              ;   in Loop: Header=BB9_3 Depth=1
	v_xor_b32_e32 v24, 0x80000000, v24
	ds_store_b32 v39, v24 offset:4168
; %bb.323:                              ;   in Loop: Header=BB9_3 Depth=1
	s_or_b32 exec_lo, exec_lo, s50
	s_wait_dscnt 0x0
	s_barrier_signal -1
	s_barrier_wait -1
	s_barrier_signal -1
	s_barrier_wait -1
	s_and_saveexec_b32 s50, s94
	s_cbranch_execz .LBB9_325
; %bb.324:                              ;   in Loop: Header=BB9_3 Depth=1
	ds_load_b32 v24, v32 offset:4168
	s_wait_dscnt 0x0
	ds_store_b32 v5, v24 offset:4672
	ds_load_b32 v24, v32 offset:4172
	s_wait_dscnt 0x0
	ds_store_b32 v5, v24 offset:4928
.LBB9_325:                              ;   in Loop: Header=BB9_3 Depth=1
	s_or_b32 exec_lo, exec_lo, s50
	s_wait_dscnt 0x0
	s_barrier_signal -1
	s_barrier_wait -1
	s_and_saveexec_b32 s50, s11
	s_cbranch_execz .LBB9_327
; %bb.326:                              ;   in Loop: Header=BB9_3 Depth=1
	ds_load_b32 v24, v7 offset:4684
	ds_store_b32 v7, v25 offset:4680
	s_wait_dscnt 0x1
	ds_store_b64 v7, v[24:25] offset:4936
.LBB9_327:                              ;   in Loop: Header=BB9_3 Depth=1
	s_or_b32 exec_lo, exec_lo, s50
	v_mov_b32_e32 v24, 0
	s_wait_dscnt 0x0
	s_barrier_signal -1
	s_barrier_wait -1
	s_and_saveexec_b32 s61, s2
	s_cbranch_execz .LBB9_333
; %bb.328:                              ;   in Loop: Header=BB9_3 Depth=1
	ds_load_b32 v24, v48 offset:4176
	ds_load_b32 v28, v41 offset:4160
	s_wait_dscnt 0x0
	v_fma_f32 v24, v24, v28, 0
	s_and_saveexec_b32 s50, s13
	s_cbranch_execnz .LBB9_1189
; %bb.329:                              ;   in Loop: Header=BB9_3 Depth=1
	s_or_b32 exec_lo, exec_lo, s50
	s_and_saveexec_b32 s50, s14
	s_cbranch_execnz .LBB9_1190
.LBB9_330:                              ;   in Loop: Header=BB9_3 Depth=1
	s_or_b32 exec_lo, exec_lo, s50
	s_and_saveexec_b32 s50, s0
	s_cbranch_execz .LBB9_332
.LBB9_331:                              ;   in Loop: Header=BB9_3 Depth=1
	ds_load_b32 v28, v33 offset:4944
	ds_load_b32 v29, v7 offset:4172
	s_wait_dscnt 0x0
	v_fmac_f32_e32 v24, v28, v29
.LBB9_332:                              ;   in Loop: Header=BB9_3 Depth=1
	s_or_b32 exec_lo, exec_lo, s50
	s_delay_alu instid0(VALU_DEP_1)
	v_xor_b32_e32 v24, 0x80000000, v24
.LBB9_333:                              ;   in Loop: Header=BB9_3 Depth=1
	s_or_b32 exec_lo, exec_lo, s61
	s_and_saveexec_b32 s50, s95
; %bb.334:                              ;   in Loop: Header=BB9_3 Depth=1
	ds_store_b32 v47, v24
; %bb.335:                              ;   in Loop: Header=BB9_3 Depth=1
	s_or_b32 exec_lo, exec_lo, s50
	s_wait_dscnt 0x0
	s_barrier_signal -1
	s_barrier_wait -1
	s_and_saveexec_b32 s50, s96
	s_cbranch_execz .LBB9_337
; %bb.336:                              ;   in Loop: Header=BB9_3 Depth=1
	ds_load_b32 v28, v45 offset:5200
	ds_load_b32 v29, v47
	s_wait_dscnt 0x0
	v_fmac_f32_e32 v24, v28, v29
.LBB9_337:                              ;   in Loop: Header=BB9_3 Depth=1
	s_or_b32 exec_lo, exec_lo, s50
	s_barrier_signal -1
	s_barrier_wait -1
	s_and_saveexec_b32 s50, s97
; %bb.338:                              ;   in Loop: Header=BB9_3 Depth=1
	ds_store_b32 v47, v24
; %bb.339:                              ;   in Loop: Header=BB9_3 Depth=1
	s_or_b32 exec_lo, exec_lo, s50
	s_wait_dscnt 0x0
	s_barrier_signal -1
	s_barrier_wait -1
	s_and_saveexec_b32 s50, s98
	s_cbranch_execz .LBB9_341
; %bb.340:                              ;   in Loop: Header=BB9_3 Depth=1
	ds_load_b32 v28, v45 offset:5456
	ds_load_b32 v29, v47
	s_wait_dscnt 0x0
	v_fmac_f32_e32 v24, v28, v29
.LBB9_341:                              ;   in Loop: Header=BB9_3 Depth=1
	s_or_b32 exec_lo, exec_lo, s50
	s_barrier_signal -1
	s_barrier_wait -1
	;; [unrolled: 19-line block ×3, first 2 shown]
	s_and_saveexec_b32 s50, s100
; %bb.346:                              ;   in Loop: Header=BB9_3 Depth=1
	ds_store_b32 v47, v24
; %bb.347:                              ;   in Loop: Header=BB9_3 Depth=1
	s_or_b32 exec_lo, exec_lo, s50
	s_wait_dscnt 0x0
	s_barrier_signal -1
	s_barrier_wait -1
	s_barrier_signal -1
	s_barrier_wait -1
	s_and_saveexec_b32 s50, s2
; %bb.348:                              ;   in Loop: Header=BB9_3 Depth=1
	v_xor_b32_e32 v24, 0x80000000, v24
	ds_store_b32 v48, v24 offset:4176
; %bb.349:                              ;   in Loop: Header=BB9_3 Depth=1
	s_or_b32 exec_lo, exec_lo, s50
	s_wait_dscnt 0x0
	s_barrier_signal -1
	s_barrier_wait -1
	s_barrier_signal -1
	s_barrier_wait -1
	s_and_saveexec_b32 s50, s101
	s_cbranch_execz .LBB9_351
; %bb.350:                              ;   in Loop: Header=BB9_3 Depth=1
	ds_load_b32 v24, v34 offset:4176
	s_wait_dscnt 0x0
	ds_store_b32 v35, v24 offset:5184
	ds_load_b32 v24, v34 offset:4180
	s_wait_dscnt 0x0
	ds_store_b32 v35, v24 offset:5440
	;; [unrolled: 3-line block ×4, first 2 shown]
.LBB9_351:                              ;   in Loop: Header=BB9_3 Depth=1
	s_or_b32 exec_lo, exec_lo, s50
	s_wait_dscnt 0x0
	s_barrier_signal -1
	s_barrier_wait -1
	s_and_saveexec_b32 s50, s11
	s_cbranch_execz .LBB9_353
; %bb.352:                              ;   in Loop: Header=BB9_3 Depth=1
	ds_load_b32 v24, v7 offset:5204
	ds_store_b32 v7, v25 offset:5200
	s_wait_dscnt 0x1
	ds_store_b64 v7, v[24:25] offset:5456
.LBB9_353:                              ;   in Loop: Header=BB9_3 Depth=1
	s_or_b32 exec_lo, exec_lo, s50
	v_mov_b32_e32 v24, 0
	s_wait_dscnt 0x0
	s_barrier_signal -1
	s_barrier_wait -1
	s_and_saveexec_b32 s50, s0
	s_cbranch_execz .LBB9_357
; %bb.354:                              ;   in Loop: Header=BB9_3 Depth=1
	ds_load_b32 v24, v39 offset:5208
	ds_load_b32 v28, v40 offset:5200
	s_wait_dscnt 0x0
	v_fma_f32 v24, v24, v28, 0
	s_and_saveexec_b32 s51, s12
	s_cbranch_execz .LBB9_356
; %bb.355:                              ;   in Loop: Header=BB9_3 Depth=1
	ds_load_b32 v28, v35 offset:5464
	ds_load_b32 v29, v7 offset:5204
	s_wait_dscnt 0x0
	v_fmac_f32_e32 v24, v28, v29
.LBB9_356:                              ;   in Loop: Header=BB9_3 Depth=1
	s_or_b32 exec_lo, exec_lo, s51
	s_delay_alu instid0(VALU_DEP_1)
	v_xor_b32_e32 v24, 0x80000000, v24
.LBB9_357:                              ;   in Loop: Header=BB9_3 Depth=1
	s_or_b32 exec_lo, exec_lo, s50
	s_and_saveexec_b32 s50, s92
; %bb.358:                              ;   in Loop: Header=BB9_3 Depth=1
	ds_store_b32 v37, v24
; %bb.359:                              ;   in Loop: Header=BB9_3 Depth=1
	s_or_b32 exec_lo, exec_lo, s50
	s_wait_dscnt 0x0
	s_barrier_signal -1
	s_barrier_wait -1
	s_and_saveexec_b32 s50, s93
	s_cbranch_execz .LBB9_361
; %bb.360:                              ;   in Loop: Header=BB9_3 Depth=1
	ds_load_b32 v28, v7 offset:5724
	ds_load_b32 v29, v37
	s_wait_dscnt 0x0
	v_fmac_f32_e32 v24, v28, v29
.LBB9_361:                              ;   in Loop: Header=BB9_3 Depth=1
	s_or_b32 exec_lo, exec_lo, s50
	s_barrier_signal -1
	s_barrier_wait -1
	s_and_saveexec_b32 s50, s93
; %bb.362:                              ;   in Loop: Header=BB9_3 Depth=1
	ds_store_b32 v37, v24
; %bb.363:                              ;   in Loop: Header=BB9_3 Depth=1
	s_or_b32 exec_lo, exec_lo, s50
	s_wait_dscnt 0x0
	s_barrier_signal -1
	s_barrier_wait -1
	s_barrier_signal -1
	s_barrier_wait -1
	s_and_saveexec_b32 s50, s0
; %bb.364:                              ;   in Loop: Header=BB9_3 Depth=1
	v_xor_b32_e32 v24, 0x80000000, v24
	ds_store_b32 v39, v24 offset:5208
; %bb.365:                              ;   in Loop: Header=BB9_3 Depth=1
	s_or_b32 exec_lo, exec_lo, s50
	s_wait_dscnt 0x0
	s_barrier_signal -1
	s_barrier_wait -1
	s_barrier_signal -1
	s_barrier_wait -1
	s_and_saveexec_b32 s50, s94
	s_cbranch_execz .LBB9_367
; %bb.366:                              ;   in Loop: Header=BB9_3 Depth=1
	ds_load_b32 v24, v36 offset:5208
	s_wait_dscnt 0x0
	ds_store_b32 v35, v24 offset:5712
	ds_load_b32 v24, v36 offset:5212
	s_wait_dscnt 0x0
	ds_store_b32 v35, v24 offset:5968
.LBB9_367:                              ;   in Loop: Header=BB9_3 Depth=1
	s_or_b32 exec_lo, exec_lo, s50
	s_wait_dscnt 0x0
	s_barrier_signal -1
	s_barrier_wait -1
	s_and_saveexec_b32 s50, s11
	s_cbranch_execz .LBB9_369
; %bb.368:                              ;   in Loop: Header=BB9_3 Depth=1
	ds_load_b32 v24, v7 offset:5724
	ds_store_b32 v7, v25 offset:5720
	s_wait_dscnt 0x1
	ds_store_b64 v7, v[24:25] offset:5976
.LBB9_369:                              ;   in Loop: Header=BB9_3 Depth=1
	s_or_b32 exec_lo, exec_lo, s50
	v_mov_b32_e32 v24, 0
	s_wait_dscnt 0x0
	s_barrier_signal -1
	s_barrier_wait -1
	s_and_saveexec_b32 s61, s3
	s_cbranch_execz .LBB9_379
; %bb.370:                              ;   in Loop: Header=BB9_3 Depth=1
	ds_load_b32 v24, v55 offset:4192
	ds_load_b32 v28, v51 offset:4160
	s_wait_dscnt 0x0
	v_fma_f32 v24, v24, v28, 0
	s_and_saveexec_b32 s50, s15
	s_cbranch_execnz .LBB9_1191
; %bb.371:                              ;   in Loop: Header=BB9_3 Depth=1
	s_or_b32 exec_lo, exec_lo, s50
	s_and_saveexec_b32 s50, s16
	s_cbranch_execnz .LBB9_1192
.LBB9_372:                              ;   in Loop: Header=BB9_3 Depth=1
	s_or_b32 exec_lo, exec_lo, s50
	s_and_saveexec_b32 s50, s17
	s_cbranch_execnz .LBB9_1193
.LBB9_373:                              ;   in Loop: Header=BB9_3 Depth=1
	s_or_b32 exec_lo, exec_lo, s50
	s_and_saveexec_b32 s50, s18
	s_cbranch_execnz .LBB9_1194
.LBB9_374:                              ;   in Loop: Header=BB9_3 Depth=1
	s_or_b32 exec_lo, exec_lo, s50
	s_and_saveexec_b32 s50, s19
	s_cbranch_execnz .LBB9_1195
.LBB9_375:                              ;   in Loop: Header=BB9_3 Depth=1
	s_or_b32 exec_lo, exec_lo, s50
	s_and_saveexec_b32 s50, s2
	s_cbranch_execnz .LBB9_1196
.LBB9_376:                              ;   in Loop: Header=BB9_3 Depth=1
	s_or_b32 exec_lo, exec_lo, s50
	s_and_saveexec_b32 s50, s14
	s_cbranch_execz .LBB9_378
.LBB9_377:                              ;   in Loop: Header=BB9_3 Depth=1
	ds_load_b32 v28, v38 offset:5984
	ds_load_b32 v29, v7 offset:4188
	s_wait_dscnt 0x0
	v_fmac_f32_e32 v24, v28, v29
.LBB9_378:                              ;   in Loop: Header=BB9_3 Depth=1
	s_or_b32 exec_lo, exec_lo, s50
	s_delay_alu instid0(VALU_DEP_1)
	v_xor_b32_e32 v24, 0x80000000, v24
.LBB9_379:                              ;   in Loop: Header=BB9_3 Depth=1
	s_or_b32 exec_lo, exec_lo, s61
	s_and_saveexec_b32 s50, s102
; %bb.380:                              ;   in Loop: Header=BB9_3 Depth=1
	ds_store_b32 v54, v24
; %bb.381:                              ;   in Loop: Header=BB9_3 Depth=1
	s_or_b32 exec_lo, exec_lo, s50
	s_wait_dscnt 0x0
	s_barrier_signal -1
	s_barrier_wait -1
	s_and_saveexec_b32 s50, s103
	s_cbranch_execz .LBB9_383
; %bb.382:                              ;   in Loop: Header=BB9_3 Depth=1
	ds_load_b32 v28, v52 offset:6240
	ds_load_b32 v29, v54
	s_wait_dscnt 0x0
	v_fmac_f32_e32 v24, v28, v29
.LBB9_383:                              ;   in Loop: Header=BB9_3 Depth=1
	s_or_b32 exec_lo, exec_lo, s50
	s_barrier_signal -1
	s_barrier_wait -1
	s_and_saveexec_b32 s50, s104
; %bb.384:                              ;   in Loop: Header=BB9_3 Depth=1
	ds_store_b32 v54, v24
; %bb.385:                              ;   in Loop: Header=BB9_3 Depth=1
	s_or_b32 exec_lo, exec_lo, s50
	s_wait_dscnt 0x0
	s_barrier_signal -1
	s_barrier_wait -1
	s_and_saveexec_b32 s50, vcc_hi
	s_cbranch_execz .LBB9_387
; %bb.386:                              ;   in Loop: Header=BB9_3 Depth=1
	ds_load_b32 v28, v52 offset:6496
	ds_load_b32 v29, v54
	s_wait_dscnt 0x0
	v_fmac_f32_e32 v24, v28, v29
.LBB9_387:                              ;   in Loop: Header=BB9_3 Depth=1
	s_or_b32 exec_lo, exec_lo, s50
	s_barrier_signal -1
	s_barrier_wait -1
	s_and_saveexec_b32 s50, s31
; %bb.388:                              ;   in Loop: Header=BB9_3 Depth=1
	ds_store_b32 v54, v24
; %bb.389:                              ;   in Loop: Header=BB9_3 Depth=1
	s_or_b32 exec_lo, exec_lo, s50
	s_wait_dscnt 0x0
	s_barrier_signal -1
	s_barrier_wait -1
	s_and_saveexec_b32 s50, s33
	s_cbranch_execz .LBB9_391
; %bb.390:                              ;   in Loop: Header=BB9_3 Depth=1
	ds_load_b32 v28, v52 offset:6752
	ds_load_b32 v29, v54
	s_wait_dscnt 0x0
	v_fmac_f32_e32 v24, v28, v29
.LBB9_391:                              ;   in Loop: Header=BB9_3 Depth=1
	s_or_b32 exec_lo, exec_lo, s50
	s_barrier_signal -1
	s_barrier_wait -1
	s_and_saveexec_b32 s50, s34
; %bb.392:                              ;   in Loop: Header=BB9_3 Depth=1
	ds_store_b32 v54, v24
; %bb.393:                              ;   in Loop: Header=BB9_3 Depth=1
	s_or_b32 exec_lo, exec_lo, s50
	s_wait_dscnt 0x0
	s_barrier_signal -1
	s_barrier_wait -1
	s_and_saveexec_b32 s50, s35
	;; [unrolled: 19-line block ×5, first 2 shown]
	s_cbranch_execz .LBB9_407
; %bb.406:                              ;   in Loop: Header=BB9_3 Depth=1
	ds_load_b32 v28, v7 offset:7804
	ds_load_b32 v29, v54
	s_wait_dscnt 0x0
	v_fmac_f32_e32 v24, v28, v29
.LBB9_407:                              ;   in Loop: Header=BB9_3 Depth=1
	s_or_b32 exec_lo, exec_lo, s50
	s_barrier_signal -1
	s_barrier_wait -1
	s_and_saveexec_b32 s50, s41
; %bb.408:                              ;   in Loop: Header=BB9_3 Depth=1
	ds_store_b32 v54, v24
; %bb.409:                              ;   in Loop: Header=BB9_3 Depth=1
	s_or_b32 exec_lo, exec_lo, s50
	s_wait_dscnt 0x0
	s_barrier_signal -1
	s_barrier_wait -1
	s_barrier_signal -1
	s_barrier_wait -1
	s_and_saveexec_b32 s50, s3
; %bb.410:                              ;   in Loop: Header=BB9_3 Depth=1
	v_xor_b32_e32 v24, 0x80000000, v24
	ds_store_b32 v55, v24 offset:4192
; %bb.411:                              ;   in Loop: Header=BB9_3 Depth=1
	s_or_b32 exec_lo, exec_lo, s50
	s_wait_dscnt 0x0
	s_barrier_signal -1
	s_barrier_wait -1
	s_barrier_signal -1
	s_barrier_wait -1
	s_and_saveexec_b32 s50, s42
	s_cbranch_execz .LBB9_413
; %bb.412:                              ;   in Loop: Header=BB9_3 Depth=1
	ds_load_b32 v24, v42 offset:4192
	s_wait_dscnt 0x0
	ds_store_b32 v46, v24 offset:6208
	ds_load_b32 v24, v42 offset:4196
	s_wait_dscnt 0x0
	ds_store_b32 v46, v24 offset:6464
	;; [unrolled: 3-line block ×8, first 2 shown]
.LBB9_413:                              ;   in Loop: Header=BB9_3 Depth=1
	s_or_b32 exec_lo, exec_lo, s50
	s_wait_dscnt 0x0
	s_barrier_signal -1
	s_barrier_wait -1
	s_and_saveexec_b32 s50, s11
	s_cbranch_execz .LBB9_415
; %bb.414:                              ;   in Loop: Header=BB9_3 Depth=1
	ds_load_b32 v24, v7 offset:6244
	ds_store_b32 v7, v25 offset:6240
	s_wait_dscnt 0x1
	ds_store_b64 v7, v[24:25] offset:6496
.LBB9_415:                              ;   in Loop: Header=BB9_3 Depth=1
	s_or_b32 exec_lo, exec_lo, s50
	v_mov_b32_e32 v24, 0
	s_wait_dscnt 0x0
	s_barrier_signal -1
	s_barrier_wait -1
	s_and_saveexec_b32 s50, s0
	s_cbranch_execz .LBB9_419
; %bb.416:                              ;   in Loop: Header=BB9_3 Depth=1
	ds_load_b32 v24, v39 offset:6248
	ds_load_b32 v28, v40 offset:6240
	s_wait_dscnt 0x0
	v_fma_f32 v24, v24, v28, 0
	s_and_saveexec_b32 s51, s12
	s_cbranch_execz .LBB9_418
; %bb.417:                              ;   in Loop: Header=BB9_3 Depth=1
	ds_load_b32 v28, v46 offset:6504
	ds_load_b32 v29, v7 offset:6244
	s_wait_dscnt 0x0
	v_fmac_f32_e32 v24, v28, v29
.LBB9_418:                              ;   in Loop: Header=BB9_3 Depth=1
	s_or_b32 exec_lo, exec_lo, s51
	s_delay_alu instid0(VALU_DEP_1)
	v_xor_b32_e32 v24, 0x80000000, v24
.LBB9_419:                              ;   in Loop: Header=BB9_3 Depth=1
	s_or_b32 exec_lo, exec_lo, s50
	s_and_saveexec_b32 s50, s92
; %bb.420:                              ;   in Loop: Header=BB9_3 Depth=1
	ds_store_b32 v37, v24
; %bb.421:                              ;   in Loop: Header=BB9_3 Depth=1
	s_or_b32 exec_lo, exec_lo, s50
	s_wait_dscnt 0x0
	s_barrier_signal -1
	s_barrier_wait -1
	s_and_saveexec_b32 s50, s93
	s_cbranch_execz .LBB9_423
; %bb.422:                              ;   in Loop: Header=BB9_3 Depth=1
	ds_load_b32 v28, v7 offset:6764
	ds_load_b32 v29, v37
	s_wait_dscnt 0x0
	v_fmac_f32_e32 v24, v28, v29
.LBB9_423:                              ;   in Loop: Header=BB9_3 Depth=1
	s_or_b32 exec_lo, exec_lo, s50
	s_barrier_signal -1
	s_barrier_wait -1
	s_and_saveexec_b32 s50, s93
; %bb.424:                              ;   in Loop: Header=BB9_3 Depth=1
	ds_store_b32 v37, v24
; %bb.425:                              ;   in Loop: Header=BB9_3 Depth=1
	s_or_b32 exec_lo, exec_lo, s50
	s_wait_dscnt 0x0
	s_barrier_signal -1
	s_barrier_wait -1
	s_barrier_signal -1
	s_barrier_wait -1
	s_and_saveexec_b32 s50, s0
; %bb.426:                              ;   in Loop: Header=BB9_3 Depth=1
	v_xor_b32_e32 v24, 0x80000000, v24
	ds_store_b32 v39, v24 offset:6248
; %bb.427:                              ;   in Loop: Header=BB9_3 Depth=1
	s_or_b32 exec_lo, exec_lo, s50
	s_wait_dscnt 0x0
	s_barrier_signal -1
	s_barrier_wait -1
	s_barrier_signal -1
	s_barrier_wait -1
	s_and_saveexec_b32 s50, s94
	s_cbranch_execz .LBB9_429
; %bb.428:                              ;   in Loop: Header=BB9_3 Depth=1
	ds_load_b32 v24, v50 offset:6248
	s_wait_dscnt 0x0
	ds_store_b32 v46, v24 offset:6752
	ds_load_b32 v24, v50 offset:6252
	s_wait_dscnt 0x0
	ds_store_b32 v46, v24 offset:7008
.LBB9_429:                              ;   in Loop: Header=BB9_3 Depth=1
	s_or_b32 exec_lo, exec_lo, s50
	s_wait_dscnt 0x0
	s_barrier_signal -1
	s_barrier_wait -1
	s_and_saveexec_b32 s50, s11
	s_cbranch_execz .LBB9_431
; %bb.430:                              ;   in Loop: Header=BB9_3 Depth=1
	ds_load_b32 v24, v7 offset:6764
	ds_store_b32 v7, v25 offset:6760
	s_wait_dscnt 0x1
	ds_store_b64 v7, v[24:25] offset:7016
.LBB9_431:                              ;   in Loop: Header=BB9_3 Depth=1
	s_or_b32 exec_lo, exec_lo, s50
	v_mov_b32_e32 v24, 0
	s_wait_dscnt 0x0
	s_barrier_signal -1
	s_barrier_wait -1
	s_and_saveexec_b32 s61, s2
	s_cbranch_execz .LBB9_437
; %bb.432:                              ;   in Loop: Header=BB9_3 Depth=1
	ds_load_b32 v24, v48 offset:6256
	ds_load_b32 v28, v41 offset:6240
	s_wait_dscnt 0x0
	v_fma_f32 v24, v24, v28, 0
	s_and_saveexec_b32 s50, s13
	s_cbranch_execnz .LBB9_1197
; %bb.433:                              ;   in Loop: Header=BB9_3 Depth=1
	s_or_b32 exec_lo, exec_lo, s50
	s_and_saveexec_b32 s50, s14
	s_cbranch_execnz .LBB9_1198
.LBB9_434:                              ;   in Loop: Header=BB9_3 Depth=1
	s_or_b32 exec_lo, exec_lo, s50
	s_and_saveexec_b32 s50, s0
	s_cbranch_execz .LBB9_436
.LBB9_435:                              ;   in Loop: Header=BB9_3 Depth=1
	ds_load_b32 v28, v53 offset:7024
	ds_load_b32 v29, v7 offset:6252
	s_wait_dscnt 0x0
	v_fmac_f32_e32 v24, v28, v29
.LBB9_436:                              ;   in Loop: Header=BB9_3 Depth=1
	s_or_b32 exec_lo, exec_lo, s50
	s_delay_alu instid0(VALU_DEP_1)
	v_xor_b32_e32 v24, 0x80000000, v24
.LBB9_437:                              ;   in Loop: Header=BB9_3 Depth=1
	s_or_b32 exec_lo, exec_lo, s61
	s_and_saveexec_b32 s50, s95
; %bb.438:                              ;   in Loop: Header=BB9_3 Depth=1
	ds_store_b32 v47, v24
; %bb.439:                              ;   in Loop: Header=BB9_3 Depth=1
	s_or_b32 exec_lo, exec_lo, s50
	s_wait_dscnt 0x0
	s_barrier_signal -1
	s_barrier_wait -1
	s_and_saveexec_b32 s50, s96
	s_cbranch_execz .LBB9_441
; %bb.440:                              ;   in Loop: Header=BB9_3 Depth=1
	ds_load_b32 v28, v45 offset:7280
	ds_load_b32 v29, v47
	s_wait_dscnt 0x0
	v_fmac_f32_e32 v24, v28, v29
.LBB9_441:                              ;   in Loop: Header=BB9_3 Depth=1
	s_or_b32 exec_lo, exec_lo, s50
	s_barrier_signal -1
	s_barrier_wait -1
	s_and_saveexec_b32 s50, s97
; %bb.442:                              ;   in Loop: Header=BB9_3 Depth=1
	ds_store_b32 v47, v24
; %bb.443:                              ;   in Loop: Header=BB9_3 Depth=1
	s_or_b32 exec_lo, exec_lo, s50
	s_wait_dscnt 0x0
	s_barrier_signal -1
	s_barrier_wait -1
	s_and_saveexec_b32 s50, s98
	s_cbranch_execz .LBB9_445
; %bb.444:                              ;   in Loop: Header=BB9_3 Depth=1
	ds_load_b32 v28, v45 offset:7536
	ds_load_b32 v29, v47
	s_wait_dscnt 0x0
	v_fmac_f32_e32 v24, v28, v29
.LBB9_445:                              ;   in Loop: Header=BB9_3 Depth=1
	s_or_b32 exec_lo, exec_lo, s50
	s_barrier_signal -1
	s_barrier_wait -1
	;; [unrolled: 19-line block ×3, first 2 shown]
	s_and_saveexec_b32 s50, s100
; %bb.450:                              ;   in Loop: Header=BB9_3 Depth=1
	ds_store_b32 v47, v24
; %bb.451:                              ;   in Loop: Header=BB9_3 Depth=1
	s_or_b32 exec_lo, exec_lo, s50
	s_wait_dscnt 0x0
	s_barrier_signal -1
	s_barrier_wait -1
	s_barrier_signal -1
	s_barrier_wait -1
	s_and_saveexec_b32 s50, s2
; %bb.452:                              ;   in Loop: Header=BB9_3 Depth=1
	v_xor_b32_e32 v24, 0x80000000, v24
	ds_store_b32 v48, v24 offset:6256
; %bb.453:                              ;   in Loop: Header=BB9_3 Depth=1
	s_or_b32 exec_lo, exec_lo, s50
	s_wait_dscnt 0x0
	s_barrier_signal -1
	s_barrier_wait -1
	s_barrier_signal -1
	s_barrier_wait -1
	s_and_saveexec_b32 s50, s101
	s_cbranch_execz .LBB9_455
; %bb.454:                              ;   in Loop: Header=BB9_3 Depth=1
	ds_load_b32 v24, v56 offset:6256
	s_wait_dscnt 0x0
	ds_store_b32 v59, v24 offset:7264
	ds_load_b32 v24, v56 offset:6260
	s_wait_dscnt 0x0
	ds_store_b32 v59, v24 offset:7520
	;; [unrolled: 3-line block ×4, first 2 shown]
.LBB9_455:                              ;   in Loop: Header=BB9_3 Depth=1
	s_or_b32 exec_lo, exec_lo, s50
	s_wait_dscnt 0x0
	s_barrier_signal -1
	s_barrier_wait -1
	s_and_saveexec_b32 s50, s11
	s_cbranch_execz .LBB9_457
; %bb.456:                              ;   in Loop: Header=BB9_3 Depth=1
	ds_load_b32 v24, v7 offset:7284
	ds_store_b32 v7, v25 offset:7280
	s_wait_dscnt 0x1
	ds_store_b64 v7, v[24:25] offset:7536
.LBB9_457:                              ;   in Loop: Header=BB9_3 Depth=1
	s_or_b32 exec_lo, exec_lo, s50
	v_mov_b32_e32 v24, 0
	s_wait_dscnt 0x0
	s_barrier_signal -1
	s_barrier_wait -1
	s_and_saveexec_b32 s50, s0
	s_cbranch_execz .LBB9_461
; %bb.458:                              ;   in Loop: Header=BB9_3 Depth=1
	ds_load_b32 v24, v39 offset:7288
	ds_load_b32 v28, v40 offset:7280
	s_wait_dscnt 0x0
	v_fma_f32 v24, v24, v28, 0
	s_and_saveexec_b32 s51, s12
	s_cbranch_execz .LBB9_460
; %bb.459:                              ;   in Loop: Header=BB9_3 Depth=1
	ds_load_b32 v28, v59 offset:7544
	ds_load_b32 v29, v7 offset:7284
	s_wait_dscnt 0x0
	v_fmac_f32_e32 v24, v28, v29
.LBB9_460:                              ;   in Loop: Header=BB9_3 Depth=1
	s_or_b32 exec_lo, exec_lo, s51
	s_delay_alu instid0(VALU_DEP_1)
	v_xor_b32_e32 v24, 0x80000000, v24
.LBB9_461:                              ;   in Loop: Header=BB9_3 Depth=1
	s_or_b32 exec_lo, exec_lo, s50
	s_and_saveexec_b32 s50, s92
; %bb.462:                              ;   in Loop: Header=BB9_3 Depth=1
	ds_store_b32 v37, v24
; %bb.463:                              ;   in Loop: Header=BB9_3 Depth=1
	s_or_b32 exec_lo, exec_lo, s50
	s_wait_dscnt 0x0
	s_barrier_signal -1
	s_barrier_wait -1
	s_and_saveexec_b32 s50, s93
	s_cbranch_execz .LBB9_465
; %bb.464:                              ;   in Loop: Header=BB9_3 Depth=1
	ds_load_b32 v28, v7 offset:7804
	ds_load_b32 v29, v37
	s_wait_dscnt 0x0
	v_fmac_f32_e32 v24, v28, v29
.LBB9_465:                              ;   in Loop: Header=BB9_3 Depth=1
	s_or_b32 exec_lo, exec_lo, s50
	s_barrier_signal -1
	s_barrier_wait -1
	s_and_saveexec_b32 s50, s93
; %bb.466:                              ;   in Loop: Header=BB9_3 Depth=1
	ds_store_b32 v37, v24
; %bb.467:                              ;   in Loop: Header=BB9_3 Depth=1
	s_or_b32 exec_lo, exec_lo, s50
	s_wait_dscnt 0x0
	s_barrier_signal -1
	s_barrier_wait -1
	s_barrier_signal -1
	s_barrier_wait -1
	s_and_saveexec_b32 s50, s0
; %bb.468:                              ;   in Loop: Header=BB9_3 Depth=1
	v_xor_b32_e32 v24, 0x80000000, v24
	ds_store_b32 v39, v24 offset:7288
; %bb.469:                              ;   in Loop: Header=BB9_3 Depth=1
	s_or_b32 exec_lo, exec_lo, s50
	s_wait_dscnt 0x0
	s_barrier_signal -1
	s_barrier_wait -1
	s_barrier_signal -1
	s_barrier_wait -1
	s_and_saveexec_b32 s50, s94
	s_cbranch_execz .LBB9_471
; %bb.470:                              ;   in Loop: Header=BB9_3 Depth=1
	v_add_nc_u32_e32 v24, v59, v44
	ds_load_b32 v28, v24 offset:7288
	s_wait_dscnt 0x0
	ds_store_b32 v59, v28 offset:7792
	ds_load_b32 v24, v24 offset:7292
	s_wait_dscnt 0x0
	ds_store_b32 v59, v24 offset:8048
.LBB9_471:                              ;   in Loop: Header=BB9_3 Depth=1
	s_or_b32 exec_lo, exec_lo, s50
	s_wait_dscnt 0x0
	s_barrier_signal -1
	s_barrier_wait -1
	s_and_saveexec_b32 s50, s11
	s_cbranch_execz .LBB9_473
; %bb.472:                              ;   in Loop: Header=BB9_3 Depth=1
	ds_load_b32 v24, v7 offset:7804
	ds_store_b32 v7, v25 offset:7800
	s_wait_dscnt 0x1
	ds_store_b64 v7, v[24:25] offset:8056
.LBB9_473:                              ;   in Loop: Header=BB9_3 Depth=1
	s_or_b32 exec_lo, exec_lo, s50
	v_mov_b32_e32 v24, 0
	s_wait_dscnt 0x0
	s_barrier_signal -1
	s_barrier_wait -1
	s_and_saveexec_b32 s82, s5
	s_cbranch_execz .LBB9_535
; %bb.474:                              ;   in Loop: Header=BB9_3 Depth=1
	v_add_nc_u32_e32 v28, v63, v62
	ds_load_b32 v24, v68 offset:128
	ds_load_b32 v29, v28
	s_wait_dscnt 0x0
	v_fma_f32 v24, v24, v29, 0
	s_mov_b32 s50, exec_lo
	v_readlane_b32 s51, v91, 31
	s_and_b32 s51, s50, s51
	s_delay_alu instid0(SALU_CYCLE_1)
	s_mov_b32 exec_lo, s51
	s_cbranch_execz .LBB9_476
; %bb.475:                              ;   in Loop: Header=BB9_3 Depth=1
	ds_load_b32 v29, v68 offset:384
	ds_load_b32 v31, v28 offset:4
	s_wait_dscnt 0x0
	v_fmac_f32_e32 v24, v29, v31
.LBB9_476:                              ;   in Loop: Header=BB9_3 Depth=1
	s_or_b32 exec_lo, exec_lo, s50
	s_delay_alu instid0(SALU_CYCLE_1) | instskip(SKIP_2) | instid1(SALU_CYCLE_1)
	s_mov_b32 s50, exec_lo
	v_readlane_b32 s51, v90, 0
	s_and_b32 s51, s50, s51
	s_mov_b32 exec_lo, s51
	s_cbranch_execz .LBB9_478
; %bb.477:                              ;   in Loop: Header=BB9_3 Depth=1
	ds_load_b32 v29, v68 offset:640
	ds_load_b32 v31, v28 offset:8
	s_wait_dscnt 0x0
	v_fmac_f32_e32 v24, v29, v31
.LBB9_478:                              ;   in Loop: Header=BB9_3 Depth=1
	s_or_b32 exec_lo, exec_lo, s50
	s_delay_alu instid0(SALU_CYCLE_1) | instskip(SKIP_2) | instid1(SALU_CYCLE_1)
	s_mov_b32 s50, exec_lo
	v_readlane_b32 s51, v90, 1
	s_and_b32 s51, s50, s51
	;; [unrolled: 13-line block ×22, first 2 shown]
	s_mov_b32 exec_lo, s51
	s_cbranch_execz .LBB9_520
; %bb.519:                              ;   in Loop: Header=BB9_3 Depth=1
	ds_load_b32 v29, v68 offset:6016
	ds_load_b32 v31, v28 offset:92
	s_wait_dscnt 0x0
	v_fmac_f32_e32 v24, v29, v31
.LBB9_520:                              ;   in Loop: Header=BB9_3 Depth=1
	s_or_b32 exec_lo, exec_lo, s50
	s_and_saveexec_b32 s50, s4
	s_cbranch_execz .LBB9_522
; %bb.521:                              ;   in Loop: Header=BB9_3 Depth=1
	ds_load_b32 v29, v68 offset:6272
	ds_load_b32 v31, v28 offset:96
	s_wait_dscnt 0x0
	v_fmac_f32_e32 v24, v29, v31
.LBB9_522:                              ;   in Loop: Header=BB9_3 Depth=1
	s_or_b32 exec_lo, exec_lo, s50
	s_delay_alu instid0(SALU_CYCLE_1) | instskip(SKIP_2) | instid1(SALU_CYCLE_1)
	s_mov_b32 s50, exec_lo
	v_readlane_b32 s51, v91, 21
	s_and_b32 s51, s50, s51
	s_mov_b32 exec_lo, s51
	s_cbranch_execz .LBB9_524
; %bb.523:                              ;   in Loop: Header=BB9_3 Depth=1
	ds_load_b32 v29, v68 offset:6528
	ds_load_b32 v31, v28 offset:100
	s_wait_dscnt 0x0
	v_fmac_f32_e32 v24, v29, v31
.LBB9_524:                              ;   in Loop: Header=BB9_3 Depth=1
	s_or_b32 exec_lo, exec_lo, s50
	s_delay_alu instid0(SALU_CYCLE_1) | instskip(SKIP_2) | instid1(SALU_CYCLE_1)
	s_mov_b32 s50, exec_lo
	v_readlane_b32 s51, v91, 23
	s_and_b32 s51, s50, s51
	s_mov_b32 exec_lo, s51
	;; [unrolled: 13-line block ×5, first 2 shown]
	s_cbranch_execnz .LBB9_1199
; %bb.531:                              ;   in Loop: Header=BB9_3 Depth=1
	s_or_b32 exec_lo, exec_lo, s50
	s_and_saveexec_b32 s50, s3
	s_cbranch_execnz .LBB9_1200
.LBB9_532:                              ;   in Loop: Header=BB9_3 Depth=1
	s_or_b32 exec_lo, exec_lo, s50
	s_and_saveexec_b32 s50, s18
	s_cbranch_execz .LBB9_534
.LBB9_533:                              ;   in Loop: Header=BB9_3 Depth=1
	ds_load_b32 v28, v5 offset:8064
	ds_load_b32 v29, v7 offset:124
	s_wait_dscnt 0x0
	v_fmac_f32_e32 v24, v28, v29
.LBB9_534:                              ;   in Loop: Header=BB9_3 Depth=1
	s_or_b32 exec_lo, exec_lo, s50
	s_delay_alu instid0(VALU_DEP_1)
	v_xor_b32_e32 v24, 0x80000000, v24
.LBB9_535:                              ;   in Loop: Header=BB9_3 Depth=1
	s_or_b32 exec_lo, exec_lo, s82
	s_delay_alu instid0(SALU_CYCLE_1) | instskip(SKIP_2) | instid1(SALU_CYCLE_1)
	s_mov_b32 s50, exec_lo
	v_readlane_b32 s51, v93, 12
	s_and_b32 s51, s50, s51
	s_mov_b32 exec_lo, s51
; %bb.536:                              ;   in Loop: Header=BB9_3 Depth=1
	ds_store_b32 v67, v24
; %bb.537:                              ;   in Loop: Header=BB9_3 Depth=1
	s_or_b32 exec_lo, exec_lo, s50
	s_wait_dscnt 0x0
	s_barrier_signal -1
	s_barrier_wait -1
	s_mov_b32 s50, exec_lo
	v_readlane_b32 s51, v93, 13
	s_and_b32 s51, s50, s51
	s_delay_alu instid0(SALU_CYCLE_1)
	s_mov_b32 exec_lo, s51
	s_cbranch_execz .LBB9_539
; %bb.538:                              ;   in Loop: Header=BB9_3 Depth=1
	ds_load_b32 v28, v64 offset:8320
	ds_load_b32 v29, v67
	s_wait_dscnt 0x0
	v_fmac_f32_e32 v24, v28, v29
.LBB9_539:                              ;   in Loop: Header=BB9_3 Depth=1
	s_or_b32 exec_lo, exec_lo, s50
	s_barrier_signal -1
	s_barrier_wait -1
	s_mov_b32 s50, exec_lo
	v_readlane_b32 s51, v93, 14
	s_and_b32 s51, s50, s51
	s_delay_alu instid0(SALU_CYCLE_1)
	s_mov_b32 exec_lo, s51
; %bb.540:                              ;   in Loop: Header=BB9_3 Depth=1
	ds_store_b32 v67, v24
; %bb.541:                              ;   in Loop: Header=BB9_3 Depth=1
	s_or_b32 exec_lo, exec_lo, s50
	s_wait_dscnt 0x0
	s_barrier_signal -1
	s_barrier_wait -1
	s_mov_b32 s50, exec_lo
	v_readlane_b32 s51, v93, 15
	s_and_b32 s51, s50, s51
	s_delay_alu instid0(SALU_CYCLE_1)
	s_mov_b32 exec_lo, s51
	s_cbranch_execz .LBB9_543
; %bb.542:                              ;   in Loop: Header=BB9_3 Depth=1
	ds_load_b32 v28, v64 offset:8576
	ds_load_b32 v29, v67
	s_wait_dscnt 0x0
	v_fmac_f32_e32 v24, v28, v29
.LBB9_543:                              ;   in Loop: Header=BB9_3 Depth=1
	s_or_b32 exec_lo, exec_lo, s50
	s_barrier_signal -1
	s_barrier_wait -1
	s_mov_b32 s50, exec_lo
	v_readlane_b32 s51, v93, 16
	s_and_b32 s51, s50, s51
	s_delay_alu instid0(SALU_CYCLE_1)
	s_mov_b32 exec_lo, s51
; %bb.544:                              ;   in Loop: Header=BB9_3 Depth=1
	ds_store_b32 v67, v24
; %bb.545:                              ;   in Loop: Header=BB9_3 Depth=1
	s_or_b32 exec_lo, exec_lo, s50
	s_wait_dscnt 0x0
	s_barrier_signal -1
	s_barrier_wait -1
	s_mov_b32 s50, exec_lo
	v_readlane_b32 s51, v93, 17
	s_and_b32 s51, s50, s51
	s_delay_alu instid0(SALU_CYCLE_1)
	s_mov_b32 exec_lo, s51
	s_cbranch_execz .LBB9_547
; %bb.546:                              ;   in Loop: Header=BB9_3 Depth=1
	ds_load_b32 v28, v64 offset:8832
	ds_load_b32 v29, v67
	s_wait_dscnt 0x0
	v_fmac_f32_e32 v24, v28, v29
.LBB9_547:                              ;   in Loop: Header=BB9_3 Depth=1
	s_or_b32 exec_lo, exec_lo, s50
	s_barrier_signal -1
	s_barrier_wait -1
	s_mov_b32 s50, exec_lo
	v_readlane_b32 s51, v93, 18
	s_and_b32 s51, s50, s51
	s_delay_alu instid0(SALU_CYCLE_1)
	s_mov_b32 exec_lo, s51
; %bb.548:                              ;   in Loop: Header=BB9_3 Depth=1
	ds_store_b32 v67, v24
; %bb.549:                              ;   in Loop: Header=BB9_3 Depth=1
	s_or_b32 exec_lo, exec_lo, s50
	s_wait_dscnt 0x0
	s_barrier_signal -1
	s_barrier_wait -1
	s_mov_b32 s50, exec_lo
	v_readlane_b32 s51, v93, 19
	s_and_b32 s51, s50, s51
	s_delay_alu instid0(SALU_CYCLE_1)
	s_mov_b32 exec_lo, s51
	s_cbranch_execz .LBB9_551
; %bb.550:                              ;   in Loop: Header=BB9_3 Depth=1
	ds_load_b32 v28, v64 offset:9088
	ds_load_b32 v29, v67
	s_wait_dscnt 0x0
	v_fmac_f32_e32 v24, v28, v29
.LBB9_551:                              ;   in Loop: Header=BB9_3 Depth=1
	s_or_b32 exec_lo, exec_lo, s50
	s_barrier_signal -1
	s_barrier_wait -1
	s_mov_b32 s50, exec_lo
	v_readlane_b32 s51, v93, 20
	s_and_b32 s51, s50, s51
	s_delay_alu instid0(SALU_CYCLE_1)
	s_mov_b32 exec_lo, s51
; %bb.552:                              ;   in Loop: Header=BB9_3 Depth=1
	ds_store_b32 v67, v24
; %bb.553:                              ;   in Loop: Header=BB9_3 Depth=1
	s_or_b32 exec_lo, exec_lo, s50
	s_wait_dscnt 0x0
	s_barrier_signal -1
	s_barrier_wait -1
	s_mov_b32 s50, exec_lo
	v_readlane_b32 s51, v93, 21
	s_and_b32 s51, s50, s51
	s_delay_alu instid0(SALU_CYCLE_1)
	s_mov_b32 exec_lo, s51
	s_cbranch_execz .LBB9_555
; %bb.554:                              ;   in Loop: Header=BB9_3 Depth=1
	ds_load_b32 v28, v64 offset:9344
	ds_load_b32 v29, v67
	s_wait_dscnt 0x0
	v_fmac_f32_e32 v24, v28, v29
.LBB9_555:                              ;   in Loop: Header=BB9_3 Depth=1
	s_or_b32 exec_lo, exec_lo, s50
	s_barrier_signal -1
	s_barrier_wait -1
	s_mov_b32 s50, exec_lo
	v_readlane_b32 s51, v93, 22
	s_and_b32 s51, s50, s51
	s_delay_alu instid0(SALU_CYCLE_1)
	s_mov_b32 exec_lo, s51
; %bb.556:                              ;   in Loop: Header=BB9_3 Depth=1
	ds_store_b32 v67, v24
; %bb.557:                              ;   in Loop: Header=BB9_3 Depth=1
	s_or_b32 exec_lo, exec_lo, s50
	s_wait_dscnt 0x0
	s_barrier_signal -1
	s_barrier_wait -1
	s_mov_b32 s50, exec_lo
	v_readlane_b32 s51, v93, 23
	s_and_b32 s51, s50, s51
	s_delay_alu instid0(SALU_CYCLE_1)
	s_mov_b32 exec_lo, s51
	s_cbranch_execz .LBB9_559
; %bb.558:                              ;   in Loop: Header=BB9_3 Depth=1
	ds_load_b32 v28, v64 offset:9600
	ds_load_b32 v29, v67
	s_wait_dscnt 0x0
	v_fmac_f32_e32 v24, v28, v29
.LBB9_559:                              ;   in Loop: Header=BB9_3 Depth=1
	s_or_b32 exec_lo, exec_lo, s50
	s_barrier_signal -1
	s_barrier_wait -1
	s_mov_b32 s50, exec_lo
	v_readlane_b32 s51, v93, 24
	s_and_b32 s51, s50, s51
	s_delay_alu instid0(SALU_CYCLE_1)
	s_mov_b32 exec_lo, s51
; %bb.560:                              ;   in Loop: Header=BB9_3 Depth=1
	ds_store_b32 v67, v24
; %bb.561:                              ;   in Loop: Header=BB9_3 Depth=1
	s_or_b32 exec_lo, exec_lo, s50
	s_wait_dscnt 0x0
	s_barrier_signal -1
	s_barrier_wait -1
	s_mov_b32 s50, exec_lo
	v_readlane_b32 s51, v93, 25
	s_and_b32 s51, s50, s51
	s_delay_alu instid0(SALU_CYCLE_1)
	s_mov_b32 exec_lo, s51
	s_cbranch_execz .LBB9_563
; %bb.562:                              ;   in Loop: Header=BB9_3 Depth=1
	ds_load_b32 v28, v64 offset:9856
	ds_load_b32 v29, v67
	s_wait_dscnt 0x0
	v_fmac_f32_e32 v24, v28, v29
.LBB9_563:                              ;   in Loop: Header=BB9_3 Depth=1
	s_or_b32 exec_lo, exec_lo, s50
	s_barrier_signal -1
	s_barrier_wait -1
	s_mov_b32 s50, exec_lo
	v_readlane_b32 s51, v93, 26
	s_and_b32 s51, s50, s51
	s_delay_alu instid0(SALU_CYCLE_1)
	s_mov_b32 exec_lo, s51
; %bb.564:                              ;   in Loop: Header=BB9_3 Depth=1
	ds_store_b32 v67, v24
; %bb.565:                              ;   in Loop: Header=BB9_3 Depth=1
	s_or_b32 exec_lo, exec_lo, s50
	s_wait_dscnt 0x0
	s_barrier_signal -1
	s_barrier_wait -1
	s_mov_b32 s50, exec_lo
	v_readlane_b32 s51, v93, 27
	s_and_b32 s51, s50, s51
	s_delay_alu instid0(SALU_CYCLE_1)
	s_mov_b32 exec_lo, s51
	s_cbranch_execz .LBB9_567
; %bb.566:                              ;   in Loop: Header=BB9_3 Depth=1
	ds_load_b32 v28, v64 offset:10112
	ds_load_b32 v29, v67
	s_wait_dscnt 0x0
	v_fmac_f32_e32 v24, v28, v29
.LBB9_567:                              ;   in Loop: Header=BB9_3 Depth=1
	s_or_b32 exec_lo, exec_lo, s50
	s_barrier_signal -1
	s_barrier_wait -1
	s_mov_b32 s50, exec_lo
	v_readlane_b32 s51, v93, 28
	s_and_b32 s51, s50, s51
	s_delay_alu instid0(SALU_CYCLE_1)
	s_mov_b32 exec_lo, s51
; %bb.568:                              ;   in Loop: Header=BB9_3 Depth=1
	ds_store_b32 v67, v24
; %bb.569:                              ;   in Loop: Header=BB9_3 Depth=1
	s_or_b32 exec_lo, exec_lo, s50
	s_wait_dscnt 0x0
	s_barrier_signal -1
	s_barrier_wait -1
	s_mov_b32 s50, exec_lo
	v_readlane_b32 s51, v93, 29
	s_and_b32 s51, s50, s51
	s_delay_alu instid0(SALU_CYCLE_1)
	s_mov_b32 exec_lo, s51
	s_cbranch_execz .LBB9_571
; %bb.570:                              ;   in Loop: Header=BB9_3 Depth=1
	ds_load_b32 v28, v64 offset:10368
	ds_load_b32 v29, v67
	s_wait_dscnt 0x0
	v_fmac_f32_e32 v24, v28, v29
.LBB9_571:                              ;   in Loop: Header=BB9_3 Depth=1
	s_or_b32 exec_lo, exec_lo, s50
	s_barrier_signal -1
	s_barrier_wait -1
	s_mov_b32 s50, exec_lo
	v_readlane_b32 s51, v93, 30
	s_and_b32 s51, s50, s51
	s_delay_alu instid0(SALU_CYCLE_1)
	s_mov_b32 exec_lo, s51
; %bb.572:                              ;   in Loop: Header=BB9_3 Depth=1
	ds_store_b32 v67, v24
; %bb.573:                              ;   in Loop: Header=BB9_3 Depth=1
	s_or_b32 exec_lo, exec_lo, s50
	s_wait_dscnt 0x0
	s_barrier_signal -1
	s_barrier_wait -1
	s_mov_b32 s50, exec_lo
	v_readlane_b32 s51, v93, 31
	s_and_b32 s51, s50, s51
	s_delay_alu instid0(SALU_CYCLE_1)
	s_mov_b32 exec_lo, s51
	s_cbranch_execz .LBB9_575
; %bb.574:                              ;   in Loop: Header=BB9_3 Depth=1
	ds_load_b32 v28, v64 offset:10624
	ds_load_b32 v29, v67
	s_wait_dscnt 0x0
	v_fmac_f32_e32 v24, v28, v29
.LBB9_575:                              ;   in Loop: Header=BB9_3 Depth=1
	s_or_b32 exec_lo, exec_lo, s50
	s_barrier_signal -1
	s_barrier_wait -1
	s_mov_b32 s50, exec_lo
	v_readlane_b32 s51, v92, 0
	s_and_b32 s51, s50, s51
	s_delay_alu instid0(SALU_CYCLE_1)
	s_mov_b32 exec_lo, s51
; %bb.576:                              ;   in Loop: Header=BB9_3 Depth=1
	ds_store_b32 v67, v24
; %bb.577:                              ;   in Loop: Header=BB9_3 Depth=1
	s_or_b32 exec_lo, exec_lo, s50
	s_wait_dscnt 0x0
	s_barrier_signal -1
	s_barrier_wait -1
	s_mov_b32 s50, exec_lo
	v_readlane_b32 s51, v92, 1
	s_and_b32 s51, s50, s51
	s_delay_alu instid0(SALU_CYCLE_1)
	s_mov_b32 exec_lo, s51
	s_cbranch_execz .LBB9_579
; %bb.578:                              ;   in Loop: Header=BB9_3 Depth=1
	ds_load_b32 v28, v64 offset:10880
	ds_load_b32 v29, v67
	s_wait_dscnt 0x0
	v_fmac_f32_e32 v24, v28, v29
.LBB9_579:                              ;   in Loop: Header=BB9_3 Depth=1
	s_or_b32 exec_lo, exec_lo, s50
	s_barrier_signal -1
	s_barrier_wait -1
	s_mov_b32 s50, exec_lo
	v_readlane_b32 s51, v92, 2
	s_and_b32 s51, s50, s51
	s_delay_alu instid0(SALU_CYCLE_1)
	s_mov_b32 exec_lo, s51
; %bb.580:                              ;   in Loop: Header=BB9_3 Depth=1
	ds_store_b32 v67, v24
; %bb.581:                              ;   in Loop: Header=BB9_3 Depth=1
	s_or_b32 exec_lo, exec_lo, s50
	s_wait_dscnt 0x0
	s_barrier_signal -1
	s_barrier_wait -1
	s_mov_b32 s50, exec_lo
	v_readlane_b32 s51, v92, 3
	s_and_b32 s51, s50, s51
	s_delay_alu instid0(SALU_CYCLE_1)
	s_mov_b32 exec_lo, s51
	s_cbranch_execz .LBB9_583
; %bb.582:                              ;   in Loop: Header=BB9_3 Depth=1
	ds_load_b32 v28, v64 offset:11136
	ds_load_b32 v29, v67
	s_wait_dscnt 0x0
	v_fmac_f32_e32 v24, v28, v29
.LBB9_583:                              ;   in Loop: Header=BB9_3 Depth=1
	s_or_b32 exec_lo, exec_lo, s50
	s_barrier_signal -1
	s_barrier_wait -1
	s_mov_b32 s50, exec_lo
	v_readlane_b32 s51, v92, 4
	s_and_b32 s51, s50, s51
	s_delay_alu instid0(SALU_CYCLE_1)
	s_mov_b32 exec_lo, s51
; %bb.584:                              ;   in Loop: Header=BB9_3 Depth=1
	ds_store_b32 v67, v24
; %bb.585:                              ;   in Loop: Header=BB9_3 Depth=1
	s_or_b32 exec_lo, exec_lo, s50
	s_wait_dscnt 0x0
	s_barrier_signal -1
	s_barrier_wait -1
	s_mov_b32 s50, exec_lo
	v_readlane_b32 s51, v92, 5
	s_and_b32 s51, s50, s51
	s_delay_alu instid0(SALU_CYCLE_1)
	s_mov_b32 exec_lo, s51
	s_cbranch_execz .LBB9_587
; %bb.586:                              ;   in Loop: Header=BB9_3 Depth=1
	ds_load_b32 v28, v64 offset:11392
	ds_load_b32 v29, v67
	s_wait_dscnt 0x0
	v_fmac_f32_e32 v24, v28, v29
.LBB9_587:                              ;   in Loop: Header=BB9_3 Depth=1
	s_or_b32 exec_lo, exec_lo, s50
	s_barrier_signal -1
	s_barrier_wait -1
	s_mov_b32 s50, exec_lo
	v_readlane_b32 s51, v92, 6
	s_and_b32 s51, s50, s51
	s_delay_alu instid0(SALU_CYCLE_1)
	s_mov_b32 exec_lo, s51
; %bb.588:                              ;   in Loop: Header=BB9_3 Depth=1
	ds_store_b32 v67, v24
; %bb.589:                              ;   in Loop: Header=BB9_3 Depth=1
	s_or_b32 exec_lo, exec_lo, s50
	s_wait_dscnt 0x0
	s_barrier_signal -1
	s_barrier_wait -1
	s_mov_b32 s50, exec_lo
	v_readlane_b32 s51, v92, 7
	s_and_b32 s51, s50, s51
	s_delay_alu instid0(SALU_CYCLE_1)
	s_mov_b32 exec_lo, s51
	s_cbranch_execz .LBB9_591
; %bb.590:                              ;   in Loop: Header=BB9_3 Depth=1
	ds_load_b32 v28, v64 offset:11648
	ds_load_b32 v29, v67
	s_wait_dscnt 0x0
	v_fmac_f32_e32 v24, v28, v29
.LBB9_591:                              ;   in Loop: Header=BB9_3 Depth=1
	s_or_b32 exec_lo, exec_lo, s50
	s_barrier_signal -1
	s_barrier_wait -1
	s_mov_b32 s50, exec_lo
	v_readlane_b32 s51, v92, 8
	s_and_b32 s51, s50, s51
	s_delay_alu instid0(SALU_CYCLE_1)
	s_mov_b32 exec_lo, s51
; %bb.592:                              ;   in Loop: Header=BB9_3 Depth=1
	ds_store_b32 v67, v24
; %bb.593:                              ;   in Loop: Header=BB9_3 Depth=1
	s_or_b32 exec_lo, exec_lo, s50
	s_wait_dscnt 0x0
	s_barrier_signal -1
	s_barrier_wait -1
	s_mov_b32 s50, exec_lo
	v_readlane_b32 s51, v92, 9
	s_and_b32 s51, s50, s51
	s_delay_alu instid0(SALU_CYCLE_1)
	s_mov_b32 exec_lo, s51
	s_cbranch_execz .LBB9_595
; %bb.594:                              ;   in Loop: Header=BB9_3 Depth=1
	ds_load_b32 v28, v64 offset:11904
	ds_load_b32 v29, v67
	s_wait_dscnt 0x0
	v_fmac_f32_e32 v24, v28, v29
.LBB9_595:                              ;   in Loop: Header=BB9_3 Depth=1
	s_or_b32 exec_lo, exec_lo, s50
	s_barrier_signal -1
	s_barrier_wait -1
	s_mov_b32 s50, exec_lo
	v_readlane_b32 s51, v92, 10
	s_and_b32 s51, s50, s51
	s_delay_alu instid0(SALU_CYCLE_1)
	s_mov_b32 exec_lo, s51
; %bb.596:                              ;   in Loop: Header=BB9_3 Depth=1
	ds_store_b32 v67, v24
; %bb.597:                              ;   in Loop: Header=BB9_3 Depth=1
	s_or_b32 exec_lo, exec_lo, s50
	s_wait_dscnt 0x0
	s_barrier_signal -1
	s_barrier_wait -1
	s_mov_b32 s50, exec_lo
	v_readlane_b32 s51, v92, 11
	s_and_b32 s51, s50, s51
	s_delay_alu instid0(SALU_CYCLE_1)
	s_mov_b32 exec_lo, s51
	s_cbranch_execz .LBB9_599
; %bb.598:                              ;   in Loop: Header=BB9_3 Depth=1
	ds_load_b32 v28, v64 offset:12160
	ds_load_b32 v29, v67
	s_wait_dscnt 0x0
	v_fmac_f32_e32 v24, v28, v29
.LBB9_599:                              ;   in Loop: Header=BB9_3 Depth=1
	s_or_b32 exec_lo, exec_lo, s50
	s_barrier_signal -1
	s_barrier_wait -1
	s_mov_b32 s50, exec_lo
	v_readlane_b32 s51, v92, 12
	s_and_b32 s51, s50, s51
	s_delay_alu instid0(SALU_CYCLE_1)
	s_mov_b32 exec_lo, s51
; %bb.600:                              ;   in Loop: Header=BB9_3 Depth=1
	ds_store_b32 v67, v24
; %bb.601:                              ;   in Loop: Header=BB9_3 Depth=1
	s_or_b32 exec_lo, exec_lo, s50
	s_wait_dscnt 0x0
	s_barrier_signal -1
	s_barrier_wait -1
	s_mov_b32 s50, exec_lo
	v_readlane_b32 s51, v92, 13
	s_and_b32 s51, s50, s51
	s_delay_alu instid0(SALU_CYCLE_1)
	s_mov_b32 exec_lo, s51
	s_cbranch_execz .LBB9_603
; %bb.602:                              ;   in Loop: Header=BB9_3 Depth=1
	ds_load_b32 v28, v64 offset:12416
	ds_load_b32 v29, v67
	s_wait_dscnt 0x0
	v_fmac_f32_e32 v24, v28, v29
.LBB9_603:                              ;   in Loop: Header=BB9_3 Depth=1
	s_or_b32 exec_lo, exec_lo, s50
	s_barrier_signal -1
	s_barrier_wait -1
	s_mov_b32 s50, exec_lo
	v_readlane_b32 s51, v92, 14
	s_and_b32 s51, s50, s51
	s_delay_alu instid0(SALU_CYCLE_1)
	s_mov_b32 exec_lo, s51
; %bb.604:                              ;   in Loop: Header=BB9_3 Depth=1
	ds_store_b32 v67, v24
; %bb.605:                              ;   in Loop: Header=BB9_3 Depth=1
	s_or_b32 exec_lo, exec_lo, s50
	s_wait_dscnt 0x0
	s_barrier_signal -1
	s_barrier_wait -1
	s_mov_b32 s50, exec_lo
	v_readlane_b32 s51, v92, 15
	s_and_b32 s51, s50, s51
	s_delay_alu instid0(SALU_CYCLE_1)
	s_mov_b32 exec_lo, s51
	s_cbranch_execz .LBB9_607
; %bb.606:                              ;   in Loop: Header=BB9_3 Depth=1
	ds_load_b32 v28, v64 offset:12672
	ds_load_b32 v29, v67
	s_wait_dscnt 0x0
	v_fmac_f32_e32 v24, v28, v29
.LBB9_607:                              ;   in Loop: Header=BB9_3 Depth=1
	s_or_b32 exec_lo, exec_lo, s50
	s_barrier_signal -1
	s_barrier_wait -1
	s_mov_b32 s50, exec_lo
	v_readlane_b32 s51, v92, 16
	s_and_b32 s51, s50, s51
	s_delay_alu instid0(SALU_CYCLE_1)
	s_mov_b32 exec_lo, s51
; %bb.608:                              ;   in Loop: Header=BB9_3 Depth=1
	ds_store_b32 v67, v24
; %bb.609:                              ;   in Loop: Header=BB9_3 Depth=1
	s_or_b32 exec_lo, exec_lo, s50
	s_wait_dscnt 0x0
	s_barrier_signal -1
	s_barrier_wait -1
	s_mov_b32 s50, exec_lo
	v_readlane_b32 s51, v92, 17
	s_and_b32 s51, s50, s51
	s_delay_alu instid0(SALU_CYCLE_1)
	s_mov_b32 exec_lo, s51
	s_cbranch_execz .LBB9_611
; %bb.610:                              ;   in Loop: Header=BB9_3 Depth=1
	ds_load_b32 v28, v64 offset:12928
	ds_load_b32 v29, v67
	s_wait_dscnt 0x0
	v_fmac_f32_e32 v24, v28, v29
.LBB9_611:                              ;   in Loop: Header=BB9_3 Depth=1
	s_or_b32 exec_lo, exec_lo, s50
	s_barrier_signal -1
	s_barrier_wait -1
	s_mov_b32 s50, exec_lo
	v_readlane_b32 s51, v92, 18
	s_and_b32 s51, s50, s51
	s_delay_alu instid0(SALU_CYCLE_1)
	s_mov_b32 exec_lo, s51
; %bb.612:                              ;   in Loop: Header=BB9_3 Depth=1
	ds_store_b32 v67, v24
; %bb.613:                              ;   in Loop: Header=BB9_3 Depth=1
	s_or_b32 exec_lo, exec_lo, s50
	s_wait_dscnt 0x0
	s_barrier_signal -1
	s_barrier_wait -1
	s_mov_b32 s50, exec_lo
	v_readlane_b32 s51, v92, 19
	s_and_b32 s51, s50, s51
	s_delay_alu instid0(SALU_CYCLE_1)
	s_mov_b32 exec_lo, s51
	s_cbranch_execz .LBB9_615
; %bb.614:                              ;   in Loop: Header=BB9_3 Depth=1
	ds_load_b32 v28, v64 offset:13184
	ds_load_b32 v29, v67
	s_wait_dscnt 0x0
	v_fmac_f32_e32 v24, v28, v29
.LBB9_615:                              ;   in Loop: Header=BB9_3 Depth=1
	s_or_b32 exec_lo, exec_lo, s50
	s_barrier_signal -1
	s_barrier_wait -1
	s_mov_b32 s50, exec_lo
	v_readlane_b32 s51, v92, 20
	s_and_b32 s51, s50, s51
	s_delay_alu instid0(SALU_CYCLE_1)
	s_mov_b32 exec_lo, s51
; %bb.616:                              ;   in Loop: Header=BB9_3 Depth=1
	ds_store_b32 v67, v24
; %bb.617:                              ;   in Loop: Header=BB9_3 Depth=1
	s_or_b32 exec_lo, exec_lo, s50
	s_wait_dscnt 0x0
	s_barrier_signal -1
	s_barrier_wait -1
	s_mov_b32 s50, exec_lo
	v_readlane_b32 s51, v92, 21
	s_and_b32 s51, s50, s51
	s_delay_alu instid0(SALU_CYCLE_1)
	s_mov_b32 exec_lo, s51
	s_cbranch_execz .LBB9_619
; %bb.618:                              ;   in Loop: Header=BB9_3 Depth=1
	ds_load_b32 v28, v64 offset:13440
	ds_load_b32 v29, v67
	s_wait_dscnt 0x0
	v_fmac_f32_e32 v24, v28, v29
.LBB9_619:                              ;   in Loop: Header=BB9_3 Depth=1
	s_or_b32 exec_lo, exec_lo, s50
	s_barrier_signal -1
	s_barrier_wait -1
	s_mov_b32 s50, exec_lo
	v_readlane_b32 s51, v92, 22
	s_and_b32 s51, s50, s51
	s_delay_alu instid0(SALU_CYCLE_1)
	s_mov_b32 exec_lo, s51
; %bb.620:                              ;   in Loop: Header=BB9_3 Depth=1
	ds_store_b32 v67, v24
; %bb.621:                              ;   in Loop: Header=BB9_3 Depth=1
	s_or_b32 exec_lo, exec_lo, s50
	s_wait_dscnt 0x0
	s_barrier_signal -1
	s_barrier_wait -1
	s_mov_b32 s50, exec_lo
	v_readlane_b32 s51, v92, 23
	s_and_b32 s51, s50, s51
	s_delay_alu instid0(SALU_CYCLE_1)
	s_mov_b32 exec_lo, s51
	s_cbranch_execz .LBB9_623
; %bb.622:                              ;   in Loop: Header=BB9_3 Depth=1
	ds_load_b32 v28, v64 offset:13696
	ds_load_b32 v29, v67
	s_wait_dscnt 0x0
	v_fmac_f32_e32 v24, v28, v29
.LBB9_623:                              ;   in Loop: Header=BB9_3 Depth=1
	s_or_b32 exec_lo, exec_lo, s50
	s_barrier_signal -1
	s_barrier_wait -1
	s_mov_b32 s50, exec_lo
	v_readlane_b32 s51, v92, 24
	s_and_b32 s51, s50, s51
	s_delay_alu instid0(SALU_CYCLE_1)
	s_mov_b32 exec_lo, s51
; %bb.624:                              ;   in Loop: Header=BB9_3 Depth=1
	ds_store_b32 v67, v24
; %bb.625:                              ;   in Loop: Header=BB9_3 Depth=1
	s_or_b32 exec_lo, exec_lo, s50
	s_wait_dscnt 0x0
	s_barrier_signal -1
	s_barrier_wait -1
	s_mov_b32 s50, exec_lo
	v_readlane_b32 s51, v92, 25
	s_and_b32 s51, s50, s51
	s_delay_alu instid0(SALU_CYCLE_1)
	s_mov_b32 exec_lo, s51
	s_cbranch_execz .LBB9_627
; %bb.626:                              ;   in Loop: Header=BB9_3 Depth=1
	ds_load_b32 v28, v64 offset:13952
	ds_load_b32 v29, v67
	s_wait_dscnt 0x0
	v_fmac_f32_e32 v24, v28, v29
.LBB9_627:                              ;   in Loop: Header=BB9_3 Depth=1
	s_or_b32 exec_lo, exec_lo, s50
	s_barrier_signal -1
	s_barrier_wait -1
	s_mov_b32 s50, exec_lo
	v_readlane_b32 s51, v92, 26
	s_and_b32 s51, s50, s51
	s_delay_alu instid0(SALU_CYCLE_1)
	s_mov_b32 exec_lo, s51
; %bb.628:                              ;   in Loop: Header=BB9_3 Depth=1
	ds_store_b32 v67, v24
; %bb.629:                              ;   in Loop: Header=BB9_3 Depth=1
	s_or_b32 exec_lo, exec_lo, s50
	s_wait_dscnt 0x0
	s_barrier_signal -1
	s_barrier_wait -1
	s_mov_b32 s50, exec_lo
	v_readlane_b32 s51, v92, 27
	s_and_b32 s51, s50, s51
	s_delay_alu instid0(SALU_CYCLE_1)
	s_mov_b32 exec_lo, s51
	s_cbranch_execz .LBB9_631
; %bb.630:                              ;   in Loop: Header=BB9_3 Depth=1
	ds_load_b32 v28, v64 offset:14208
	ds_load_b32 v29, v67
	s_wait_dscnt 0x0
	v_fmac_f32_e32 v24, v28, v29
.LBB9_631:                              ;   in Loop: Header=BB9_3 Depth=1
	s_or_b32 exec_lo, exec_lo, s50
	s_barrier_signal -1
	s_barrier_wait -1
	s_mov_b32 s50, exec_lo
	v_readlane_b32 s51, v92, 28
	s_and_b32 s51, s50, s51
	s_delay_alu instid0(SALU_CYCLE_1)
	s_mov_b32 exec_lo, s51
; %bb.632:                              ;   in Loop: Header=BB9_3 Depth=1
	ds_store_b32 v67, v24
; %bb.633:                              ;   in Loop: Header=BB9_3 Depth=1
	s_or_b32 exec_lo, exec_lo, s50
	s_wait_dscnt 0x0
	s_barrier_signal -1
	s_barrier_wait -1
	s_mov_b32 s50, exec_lo
	v_readlane_b32 s51, v92, 29
	s_and_b32 s51, s50, s51
	s_delay_alu instid0(SALU_CYCLE_1)
	s_mov_b32 exec_lo, s51
	s_cbranch_execz .LBB9_635
; %bb.634:                              ;   in Loop: Header=BB9_3 Depth=1
	ds_load_b32 v28, v64 offset:14464
	ds_load_b32 v29, v67
	s_wait_dscnt 0x0
	v_fmac_f32_e32 v24, v28, v29
.LBB9_635:                              ;   in Loop: Header=BB9_3 Depth=1
	s_or_b32 exec_lo, exec_lo, s50
	s_barrier_signal -1
	s_barrier_wait -1
	s_mov_b32 s50, exec_lo
	v_readlane_b32 s51, v92, 30
	s_and_b32 s51, s50, s51
	s_delay_alu instid0(SALU_CYCLE_1)
	s_mov_b32 exec_lo, s51
; %bb.636:                              ;   in Loop: Header=BB9_3 Depth=1
	ds_store_b32 v67, v24
; %bb.637:                              ;   in Loop: Header=BB9_3 Depth=1
	s_or_b32 exec_lo, exec_lo, s50
	s_wait_dscnt 0x0
	s_barrier_signal -1
	s_barrier_wait -1
	s_mov_b32 s50, exec_lo
	v_readlane_b32 s51, v92, 31
	s_and_b32 s51, s50, s51
	s_delay_alu instid0(SALU_CYCLE_1)
	s_mov_b32 exec_lo, s51
	s_cbranch_execz .LBB9_639
; %bb.638:                              ;   in Loop: Header=BB9_3 Depth=1
	ds_load_b32 v28, v64 offset:14720
	ds_load_b32 v29, v67
	s_wait_dscnt 0x0
	v_fmac_f32_e32 v24, v28, v29
.LBB9_639:                              ;   in Loop: Header=BB9_3 Depth=1
	s_or_b32 exec_lo, exec_lo, s50
	s_barrier_signal -1
	s_barrier_wait -1
	s_mov_b32 s50, exec_lo
	v_readlane_b32 s51, v91, 0
	s_and_b32 s51, s50, s51
	s_delay_alu instid0(SALU_CYCLE_1)
	s_mov_b32 exec_lo, s51
; %bb.640:                              ;   in Loop: Header=BB9_3 Depth=1
	ds_store_b32 v67, v24
; %bb.641:                              ;   in Loop: Header=BB9_3 Depth=1
	s_or_b32 exec_lo, exec_lo, s50
	s_wait_dscnt 0x0
	s_barrier_signal -1
	s_barrier_wait -1
	s_mov_b32 s50, exec_lo
	v_readlane_b32 s51, v91, 1
	s_and_b32 s51, s50, s51
	s_delay_alu instid0(SALU_CYCLE_1)
	s_mov_b32 exec_lo, s51
	s_cbranch_execz .LBB9_643
; %bb.642:                              ;   in Loop: Header=BB9_3 Depth=1
	ds_load_b32 v28, v64 offset:14976
	ds_load_b32 v29, v67
	s_wait_dscnt 0x0
	v_fmac_f32_e32 v24, v28, v29
.LBB9_643:                              ;   in Loop: Header=BB9_3 Depth=1
	s_or_b32 exec_lo, exec_lo, s50
	s_barrier_signal -1
	s_barrier_wait -1
	s_mov_b32 s50, exec_lo
	v_readlane_b32 s51, v91, 2
	s_and_b32 s51, s50, s51
	s_delay_alu instid0(SALU_CYCLE_1)
	s_mov_b32 exec_lo, s51
; %bb.644:                              ;   in Loop: Header=BB9_3 Depth=1
	ds_store_b32 v67, v24
; %bb.645:                              ;   in Loop: Header=BB9_3 Depth=1
	s_or_b32 exec_lo, exec_lo, s50
	s_wait_dscnt 0x0
	s_barrier_signal -1
	s_barrier_wait -1
	s_mov_b32 s50, exec_lo
	v_readlane_b32 s51, v91, 3
	s_and_b32 s51, s50, s51
	s_delay_alu instid0(SALU_CYCLE_1)
	s_mov_b32 exec_lo, s51
	s_cbranch_execz .LBB9_647
; %bb.646:                              ;   in Loop: Header=BB9_3 Depth=1
	ds_load_b32 v28, v64 offset:15232
	ds_load_b32 v29, v67
	s_wait_dscnt 0x0
	v_fmac_f32_e32 v24, v28, v29
.LBB9_647:                              ;   in Loop: Header=BB9_3 Depth=1
	s_or_b32 exec_lo, exec_lo, s50
	s_barrier_signal -1
	s_barrier_wait -1
	s_mov_b32 s50, exec_lo
	v_readlane_b32 s51, v91, 4
	s_and_b32 s51, s50, s51
	s_delay_alu instid0(SALU_CYCLE_1)
	s_mov_b32 exec_lo, s51
; %bb.648:                              ;   in Loop: Header=BB9_3 Depth=1
	ds_store_b32 v67, v24
; %bb.649:                              ;   in Loop: Header=BB9_3 Depth=1
	s_or_b32 exec_lo, exec_lo, s50
	s_wait_dscnt 0x0
	s_barrier_signal -1
	s_barrier_wait -1
	s_mov_b32 s50, exec_lo
	v_readlane_b32 s51, v91, 5
	s_and_b32 s51, s50, s51
	s_delay_alu instid0(SALU_CYCLE_1)
	s_mov_b32 exec_lo, s51
	s_cbranch_execz .LBB9_651
; %bb.650:                              ;   in Loop: Header=BB9_3 Depth=1
	ds_load_b32 v28, v64 offset:15488
	ds_load_b32 v29, v67
	s_wait_dscnt 0x0
	v_fmac_f32_e32 v24, v28, v29
.LBB9_651:                              ;   in Loop: Header=BB9_3 Depth=1
	s_or_b32 exec_lo, exec_lo, s50
	s_barrier_signal -1
	s_barrier_wait -1
	s_mov_b32 s50, exec_lo
	v_readlane_b32 s51, v91, 6
	s_and_b32 s51, s50, s51
	s_delay_alu instid0(SALU_CYCLE_1)
	s_mov_b32 exec_lo, s51
; %bb.652:                              ;   in Loop: Header=BB9_3 Depth=1
	ds_store_b32 v67, v24
; %bb.653:                              ;   in Loop: Header=BB9_3 Depth=1
	s_or_b32 exec_lo, exec_lo, s50
	s_wait_dscnt 0x0
	s_barrier_signal -1
	s_barrier_wait -1
	s_mov_b32 s50, exec_lo
	v_readlane_b32 s51, v91, 7
	s_and_b32 s51, s50, s51
	s_delay_alu instid0(SALU_CYCLE_1)
	s_mov_b32 exec_lo, s51
	s_cbranch_execz .LBB9_655
; %bb.654:                              ;   in Loop: Header=BB9_3 Depth=1
	ds_load_b32 v28, v64 offset:15744
	ds_load_b32 v29, v67
	s_wait_dscnt 0x0
	v_fmac_f32_e32 v24, v28, v29
.LBB9_655:                              ;   in Loop: Header=BB9_3 Depth=1
	s_or_b32 exec_lo, exec_lo, s50
	s_barrier_signal -1
	s_barrier_wait -1
	s_mov_b32 s50, exec_lo
	v_readlane_b32 s51, v91, 8
	s_and_b32 s51, s50, s51
	s_delay_alu instid0(SALU_CYCLE_1)
	s_mov_b32 exec_lo, s51
; %bb.656:                              ;   in Loop: Header=BB9_3 Depth=1
	ds_store_b32 v67, v24
; %bb.657:                              ;   in Loop: Header=BB9_3 Depth=1
	s_or_b32 exec_lo, exec_lo, s50
	s_wait_dscnt 0x0
	s_barrier_signal -1
	s_barrier_wait -1
	s_and_saveexec_b32 s50, s47
	s_cbranch_execz .LBB9_659
; %bb.658:                              ;   in Loop: Header=BB9_3 Depth=1
	ds_load_b32 v28, v7 offset:16124
	ds_load_b32 v29, v67
	s_wait_dscnt 0x0
	v_fmac_f32_e32 v24, v28, v29
.LBB9_659:                              ;   in Loop: Header=BB9_3 Depth=1
	s_or_b32 exec_lo, exec_lo, s50
	s_barrier_signal -1
	s_barrier_wait -1
	s_and_saveexec_b32 s50, s47
; %bb.660:                              ;   in Loop: Header=BB9_3 Depth=1
	ds_store_b32 v67, v24
; %bb.661:                              ;   in Loop: Header=BB9_3 Depth=1
	s_or_b32 exec_lo, exec_lo, s50
	s_wait_dscnt 0x0
	s_barrier_signal -1
	s_barrier_wait -1
	s_barrier_signal -1
	s_barrier_wait -1
	s_and_saveexec_b32 s50, s5
; %bb.662:                              ;   in Loop: Header=BB9_3 Depth=1
	v_xor_b32_e32 v24, 0x80000000, v24
	ds_store_b32 v68, v24 offset:128
; %bb.663:                              ;   in Loop: Header=BB9_3 Depth=1
	s_or_b32 exec_lo, exec_lo, s50
	s_wait_dscnt 0x0
	s_barrier_signal -1
	s_barrier_wait -1
	s_barrier_signal -1
	s_barrier_wait -1
	s_mov_b32 s61, exec_lo
	v_readlane_b32 s50, v91, 9
	s_and_b32 s50, s61, s50
	s_delay_alu instid0(SALU_CYCLE_1)
	s_mov_b32 exec_lo, s50
	s_cbranch_execz .LBB9_665
; %bb.664:                              ;   in Loop: Header=BB9_3 Depth=1
	ds_load_b32 v24, v43 offset:128
	s_wait_dscnt 0x0
	ds_store_b32 v69, v24 offset:8192
	ds_load_b32 v24, v43 offset:132
	s_wait_dscnt 0x0
	ds_store_b32 v69, v24 offset:8448
	;; [unrolled: 3-line block ×32, first 2 shown]
.LBB9_665:                              ;   in Loop: Header=BB9_3 Depth=1
	s_or_b32 exec_lo, exec_lo, s61
	s_wait_dscnt 0x0
	s_barrier_signal -1
	s_barrier_wait -1
	s_and_saveexec_b32 s50, s11
	s_cbranch_execz .LBB9_667
; %bb.666:                              ;   in Loop: Header=BB9_3 Depth=1
	ds_load_b32 v24, v7 offset:8324
	ds_store_b32 v7, v25 offset:8320
	s_wait_dscnt 0x1
	ds_store_b64 v7, v[24:25] offset:8576
.LBB9_667:                              ;   in Loop: Header=BB9_3 Depth=1
	s_or_b32 exec_lo, exec_lo, s50
	v_mov_b32_e32 v24, 0
	s_wait_dscnt 0x0
	s_barrier_signal -1
	s_barrier_wait -1
	s_and_saveexec_b32 s50, s0
	s_cbranch_execz .LBB9_671
; %bb.668:                              ;   in Loop: Header=BB9_3 Depth=1
	ds_load_b32 v24, v39 offset:8328
	ds_load_b32 v28, v40 offset:8320
	s_wait_dscnt 0x0
	v_fma_f32 v24, v24, v28, 0
	s_and_saveexec_b32 s51, s12
	s_cbranch_execz .LBB9_670
; %bb.669:                              ;   in Loop: Header=BB9_3 Depth=1
	ds_load_b32 v28, v5 offset:8584
	ds_load_b32 v29, v7 offset:8324
	s_wait_dscnt 0x0
	v_fmac_f32_e32 v24, v28, v29
.LBB9_670:                              ;   in Loop: Header=BB9_3 Depth=1
	s_or_b32 exec_lo, exec_lo, s51
	s_delay_alu instid0(VALU_DEP_1)
	v_xor_b32_e32 v24, 0x80000000, v24
.LBB9_671:                              ;   in Loop: Header=BB9_3 Depth=1
	s_or_b32 exec_lo, exec_lo, s50
	s_and_saveexec_b32 s50, s92
; %bb.672:                              ;   in Loop: Header=BB9_3 Depth=1
	ds_store_b32 v37, v24
; %bb.673:                              ;   in Loop: Header=BB9_3 Depth=1
	s_or_b32 exec_lo, exec_lo, s50
	s_wait_dscnt 0x0
	s_barrier_signal -1
	s_barrier_wait -1
	s_and_saveexec_b32 s50, s93
	s_cbranch_execz .LBB9_675
; %bb.674:                              ;   in Loop: Header=BB9_3 Depth=1
	ds_load_b32 v28, v7 offset:8844
	ds_load_b32 v29, v37
	s_wait_dscnt 0x0
	v_fmac_f32_e32 v24, v28, v29
.LBB9_675:                              ;   in Loop: Header=BB9_3 Depth=1
	s_or_b32 exec_lo, exec_lo, s50
	s_barrier_signal -1
	s_barrier_wait -1
	s_and_saveexec_b32 s50, s93
; %bb.676:                              ;   in Loop: Header=BB9_3 Depth=1
	ds_store_b32 v37, v24
; %bb.677:                              ;   in Loop: Header=BB9_3 Depth=1
	s_or_b32 exec_lo, exec_lo, s50
	s_wait_dscnt 0x0
	s_barrier_signal -1
	s_barrier_wait -1
	s_barrier_signal -1
	s_barrier_wait -1
	s_and_saveexec_b32 s50, s0
; %bb.678:                              ;   in Loop: Header=BB9_3 Depth=1
	v_xor_b32_e32 v24, 0x80000000, v24
	ds_store_b32 v39, v24 offset:8328
; %bb.679:                              ;   in Loop: Header=BB9_3 Depth=1
	s_or_b32 exec_lo, exec_lo, s50
	s_wait_dscnt 0x0
	s_barrier_signal -1
	s_barrier_wait -1
	s_barrier_signal -1
	s_barrier_wait -1
	s_and_saveexec_b32 s50, s94
	s_cbranch_execz .LBB9_681
; %bb.680:                              ;   in Loop: Header=BB9_3 Depth=1
	ds_load_b32 v24, v32 offset:8328
	s_wait_dscnt 0x0
	ds_store_b32 v5, v24 offset:8832
	ds_load_b32 v24, v32 offset:8332
	s_wait_dscnt 0x0
	ds_store_b32 v5, v24 offset:9088
.LBB9_681:                              ;   in Loop: Header=BB9_3 Depth=1
	s_or_b32 exec_lo, exec_lo, s50
	s_wait_dscnt 0x0
	s_barrier_signal -1
	s_barrier_wait -1
	s_and_saveexec_b32 s50, s11
	s_cbranch_execz .LBB9_683
; %bb.682:                              ;   in Loop: Header=BB9_3 Depth=1
	ds_load_b32 v24, v7 offset:8844
	ds_store_b32 v7, v25 offset:8840
	s_wait_dscnt 0x1
	ds_store_b64 v7, v[24:25] offset:9096
.LBB9_683:                              ;   in Loop: Header=BB9_3 Depth=1
	s_or_b32 exec_lo, exec_lo, s50
	v_mov_b32_e32 v24, 0
	s_wait_dscnt 0x0
	s_barrier_signal -1
	s_barrier_wait -1
	s_and_saveexec_b32 s61, s2
	s_cbranch_execz .LBB9_689
; %bb.684:                              ;   in Loop: Header=BB9_3 Depth=1
	ds_load_b32 v24, v48 offset:8336
	ds_load_b32 v28, v41 offset:8320
	s_wait_dscnt 0x0
	v_fma_f32 v24, v24, v28, 0
	s_and_saveexec_b32 s50, s13
	s_cbranch_execnz .LBB9_1201
; %bb.685:                              ;   in Loop: Header=BB9_3 Depth=1
	s_or_b32 exec_lo, exec_lo, s50
	s_and_saveexec_b32 s50, s14
	s_cbranch_execnz .LBB9_1202
.LBB9_686:                              ;   in Loop: Header=BB9_3 Depth=1
	s_or_b32 exec_lo, exec_lo, s50
	s_and_saveexec_b32 s50, s0
	s_cbranch_execz .LBB9_688
.LBB9_687:                              ;   in Loop: Header=BB9_3 Depth=1
	ds_load_b32 v28, v33 offset:9104
	ds_load_b32 v29, v7 offset:8332
	s_wait_dscnt 0x0
	v_fmac_f32_e32 v24, v28, v29
.LBB9_688:                              ;   in Loop: Header=BB9_3 Depth=1
	s_or_b32 exec_lo, exec_lo, s50
	s_delay_alu instid0(VALU_DEP_1)
	v_xor_b32_e32 v24, 0x80000000, v24
.LBB9_689:                              ;   in Loop: Header=BB9_3 Depth=1
	s_or_b32 exec_lo, exec_lo, s61
	s_and_saveexec_b32 s50, s95
; %bb.690:                              ;   in Loop: Header=BB9_3 Depth=1
	ds_store_b32 v47, v24
; %bb.691:                              ;   in Loop: Header=BB9_3 Depth=1
	s_or_b32 exec_lo, exec_lo, s50
	s_wait_dscnt 0x0
	s_barrier_signal -1
	s_barrier_wait -1
	s_and_saveexec_b32 s50, s96
	s_cbranch_execz .LBB9_693
; %bb.692:                              ;   in Loop: Header=BB9_3 Depth=1
	ds_load_b32 v28, v45 offset:9360
	ds_load_b32 v29, v47
	s_wait_dscnt 0x0
	v_fmac_f32_e32 v24, v28, v29
.LBB9_693:                              ;   in Loop: Header=BB9_3 Depth=1
	s_or_b32 exec_lo, exec_lo, s50
	s_barrier_signal -1
	s_barrier_wait -1
	s_and_saveexec_b32 s50, s97
; %bb.694:                              ;   in Loop: Header=BB9_3 Depth=1
	ds_store_b32 v47, v24
; %bb.695:                              ;   in Loop: Header=BB9_3 Depth=1
	s_or_b32 exec_lo, exec_lo, s50
	s_wait_dscnt 0x0
	s_barrier_signal -1
	s_barrier_wait -1
	s_and_saveexec_b32 s50, s98
	s_cbranch_execz .LBB9_697
; %bb.696:                              ;   in Loop: Header=BB9_3 Depth=1
	ds_load_b32 v28, v45 offset:9616
	ds_load_b32 v29, v47
	s_wait_dscnt 0x0
	v_fmac_f32_e32 v24, v28, v29
.LBB9_697:                              ;   in Loop: Header=BB9_3 Depth=1
	s_or_b32 exec_lo, exec_lo, s50
	s_barrier_signal -1
	s_barrier_wait -1
	;; [unrolled: 19-line block ×3, first 2 shown]
	s_and_saveexec_b32 s50, s100
; %bb.702:                              ;   in Loop: Header=BB9_3 Depth=1
	ds_store_b32 v47, v24
; %bb.703:                              ;   in Loop: Header=BB9_3 Depth=1
	s_or_b32 exec_lo, exec_lo, s50
	s_wait_dscnt 0x0
	s_barrier_signal -1
	s_barrier_wait -1
	s_barrier_signal -1
	s_barrier_wait -1
	s_and_saveexec_b32 s50, s2
; %bb.704:                              ;   in Loop: Header=BB9_3 Depth=1
	v_xor_b32_e32 v24, 0x80000000, v24
	ds_store_b32 v48, v24 offset:8336
; %bb.705:                              ;   in Loop: Header=BB9_3 Depth=1
	s_or_b32 exec_lo, exec_lo, s50
	s_wait_dscnt 0x0
	s_barrier_signal -1
	s_barrier_wait -1
	s_barrier_signal -1
	s_barrier_wait -1
	s_and_saveexec_b32 s50, s101
	s_cbranch_execz .LBB9_707
; %bb.706:                              ;   in Loop: Header=BB9_3 Depth=1
	ds_load_b32 v24, v34 offset:8336
	s_wait_dscnt 0x0
	ds_store_b32 v35, v24 offset:9344
	ds_load_b32 v24, v34 offset:8340
	s_wait_dscnt 0x0
	ds_store_b32 v35, v24 offset:9600
	;; [unrolled: 3-line block ×4, first 2 shown]
.LBB9_707:                              ;   in Loop: Header=BB9_3 Depth=1
	s_or_b32 exec_lo, exec_lo, s50
	s_wait_dscnt 0x0
	s_barrier_signal -1
	s_barrier_wait -1
	s_and_saveexec_b32 s50, s11
	s_cbranch_execz .LBB9_709
; %bb.708:                              ;   in Loop: Header=BB9_3 Depth=1
	ds_load_b32 v24, v7 offset:9364
	ds_store_b32 v7, v25 offset:9360
	s_wait_dscnt 0x1
	ds_store_b64 v7, v[24:25] offset:9616
.LBB9_709:                              ;   in Loop: Header=BB9_3 Depth=1
	s_or_b32 exec_lo, exec_lo, s50
	v_mov_b32_e32 v24, 0
	s_wait_dscnt 0x0
	s_barrier_signal -1
	s_barrier_wait -1
	s_and_saveexec_b32 s50, s0
	s_cbranch_execz .LBB9_713
; %bb.710:                              ;   in Loop: Header=BB9_3 Depth=1
	ds_load_b32 v24, v39 offset:9368
	ds_load_b32 v28, v40 offset:9360
	s_wait_dscnt 0x0
	v_fma_f32 v24, v24, v28, 0
	s_and_saveexec_b32 s51, s12
	s_cbranch_execz .LBB9_712
; %bb.711:                              ;   in Loop: Header=BB9_3 Depth=1
	ds_load_b32 v28, v35 offset:9624
	ds_load_b32 v29, v7 offset:9364
	s_wait_dscnt 0x0
	v_fmac_f32_e32 v24, v28, v29
.LBB9_712:                              ;   in Loop: Header=BB9_3 Depth=1
	s_or_b32 exec_lo, exec_lo, s51
	s_delay_alu instid0(VALU_DEP_1)
	v_xor_b32_e32 v24, 0x80000000, v24
.LBB9_713:                              ;   in Loop: Header=BB9_3 Depth=1
	s_or_b32 exec_lo, exec_lo, s50
	s_and_saveexec_b32 s50, s92
; %bb.714:                              ;   in Loop: Header=BB9_3 Depth=1
	ds_store_b32 v37, v24
; %bb.715:                              ;   in Loop: Header=BB9_3 Depth=1
	s_or_b32 exec_lo, exec_lo, s50
	s_wait_dscnt 0x0
	s_barrier_signal -1
	s_barrier_wait -1
	s_and_saveexec_b32 s50, s93
	s_cbranch_execz .LBB9_717
; %bb.716:                              ;   in Loop: Header=BB9_3 Depth=1
	ds_load_b32 v28, v7 offset:9884
	ds_load_b32 v29, v37
	s_wait_dscnt 0x0
	v_fmac_f32_e32 v24, v28, v29
.LBB9_717:                              ;   in Loop: Header=BB9_3 Depth=1
	s_or_b32 exec_lo, exec_lo, s50
	s_barrier_signal -1
	s_barrier_wait -1
	s_and_saveexec_b32 s50, s93
; %bb.718:                              ;   in Loop: Header=BB9_3 Depth=1
	ds_store_b32 v37, v24
; %bb.719:                              ;   in Loop: Header=BB9_3 Depth=1
	s_or_b32 exec_lo, exec_lo, s50
	s_wait_dscnt 0x0
	s_barrier_signal -1
	s_barrier_wait -1
	s_barrier_signal -1
	s_barrier_wait -1
	s_and_saveexec_b32 s50, s0
; %bb.720:                              ;   in Loop: Header=BB9_3 Depth=1
	v_xor_b32_e32 v24, 0x80000000, v24
	ds_store_b32 v39, v24 offset:9368
; %bb.721:                              ;   in Loop: Header=BB9_3 Depth=1
	s_or_b32 exec_lo, exec_lo, s50
	s_wait_dscnt 0x0
	s_barrier_signal -1
	s_barrier_wait -1
	s_barrier_signal -1
	s_barrier_wait -1
	s_and_saveexec_b32 s50, s94
	s_cbranch_execz .LBB9_723
; %bb.722:                              ;   in Loop: Header=BB9_3 Depth=1
	ds_load_b32 v24, v36 offset:9368
	s_wait_dscnt 0x0
	ds_store_b32 v35, v24 offset:9872
	ds_load_b32 v24, v36 offset:9372
	s_wait_dscnt 0x0
	ds_store_b32 v35, v24 offset:10128
.LBB9_723:                              ;   in Loop: Header=BB9_3 Depth=1
	s_or_b32 exec_lo, exec_lo, s50
	s_wait_dscnt 0x0
	s_barrier_signal -1
	s_barrier_wait -1
	s_and_saveexec_b32 s50, s11
	s_cbranch_execz .LBB9_725
; %bb.724:                              ;   in Loop: Header=BB9_3 Depth=1
	ds_load_b32 v24, v7 offset:9884
	ds_store_b32 v7, v25 offset:9880
	s_wait_dscnt 0x1
	ds_store_b64 v7, v[24:25] offset:10136
.LBB9_725:                              ;   in Loop: Header=BB9_3 Depth=1
	s_or_b32 exec_lo, exec_lo, s50
	v_mov_b32_e32 v24, 0
	s_wait_dscnt 0x0
	s_barrier_signal -1
	s_barrier_wait -1
	s_and_saveexec_b32 s61, s3
	s_cbranch_execz .LBB9_735
; %bb.726:                              ;   in Loop: Header=BB9_3 Depth=1
	ds_load_b32 v24, v55 offset:8352
	ds_load_b32 v28, v51 offset:8320
	s_wait_dscnt 0x0
	v_fma_f32 v24, v24, v28, 0
	s_and_saveexec_b32 s50, s15
	s_cbranch_execnz .LBB9_1203
; %bb.727:                              ;   in Loop: Header=BB9_3 Depth=1
	s_or_b32 exec_lo, exec_lo, s50
	s_and_saveexec_b32 s50, s16
	s_cbranch_execnz .LBB9_1204
.LBB9_728:                              ;   in Loop: Header=BB9_3 Depth=1
	s_or_b32 exec_lo, exec_lo, s50
	s_and_saveexec_b32 s50, s17
	s_cbranch_execnz .LBB9_1205
.LBB9_729:                              ;   in Loop: Header=BB9_3 Depth=1
	s_or_b32 exec_lo, exec_lo, s50
	s_and_saveexec_b32 s50, s18
	s_cbranch_execnz .LBB9_1206
.LBB9_730:                              ;   in Loop: Header=BB9_3 Depth=1
	s_or_b32 exec_lo, exec_lo, s50
	s_and_saveexec_b32 s50, s19
	s_cbranch_execnz .LBB9_1207
.LBB9_731:                              ;   in Loop: Header=BB9_3 Depth=1
	s_or_b32 exec_lo, exec_lo, s50
	s_and_saveexec_b32 s50, s2
	s_cbranch_execnz .LBB9_1208
.LBB9_732:                              ;   in Loop: Header=BB9_3 Depth=1
	s_or_b32 exec_lo, exec_lo, s50
	s_and_saveexec_b32 s50, s14
	s_cbranch_execz .LBB9_734
.LBB9_733:                              ;   in Loop: Header=BB9_3 Depth=1
	ds_load_b32 v28, v38 offset:10144
	ds_load_b32 v29, v7 offset:8348
	s_wait_dscnt 0x0
	v_fmac_f32_e32 v24, v28, v29
.LBB9_734:                              ;   in Loop: Header=BB9_3 Depth=1
	s_or_b32 exec_lo, exec_lo, s50
	s_delay_alu instid0(VALU_DEP_1)
	v_xor_b32_e32 v24, 0x80000000, v24
.LBB9_735:                              ;   in Loop: Header=BB9_3 Depth=1
	s_or_b32 exec_lo, exec_lo, s61
	s_and_saveexec_b32 s50, s102
; %bb.736:                              ;   in Loop: Header=BB9_3 Depth=1
	ds_store_b32 v54, v24
; %bb.737:                              ;   in Loop: Header=BB9_3 Depth=1
	s_or_b32 exec_lo, exec_lo, s50
	s_wait_dscnt 0x0
	s_barrier_signal -1
	s_barrier_wait -1
	s_and_saveexec_b32 s50, s103
	s_cbranch_execz .LBB9_739
; %bb.738:                              ;   in Loop: Header=BB9_3 Depth=1
	ds_load_b32 v28, v52 offset:10400
	ds_load_b32 v29, v54
	s_wait_dscnt 0x0
	v_fmac_f32_e32 v24, v28, v29
.LBB9_739:                              ;   in Loop: Header=BB9_3 Depth=1
	s_or_b32 exec_lo, exec_lo, s50
	s_barrier_signal -1
	s_barrier_wait -1
	s_and_saveexec_b32 s50, s104
; %bb.740:                              ;   in Loop: Header=BB9_3 Depth=1
	ds_store_b32 v54, v24
; %bb.741:                              ;   in Loop: Header=BB9_3 Depth=1
	s_or_b32 exec_lo, exec_lo, s50
	s_wait_dscnt 0x0
	s_barrier_signal -1
	s_barrier_wait -1
	s_and_saveexec_b32 s50, vcc_hi
	s_cbranch_execz .LBB9_743
; %bb.742:                              ;   in Loop: Header=BB9_3 Depth=1
	ds_load_b32 v28, v52 offset:10656
	ds_load_b32 v29, v54
	s_wait_dscnt 0x0
	v_fmac_f32_e32 v24, v28, v29
.LBB9_743:                              ;   in Loop: Header=BB9_3 Depth=1
	s_or_b32 exec_lo, exec_lo, s50
	s_barrier_signal -1
	s_barrier_wait -1
	s_and_saveexec_b32 s50, s31
; %bb.744:                              ;   in Loop: Header=BB9_3 Depth=1
	ds_store_b32 v54, v24
; %bb.745:                              ;   in Loop: Header=BB9_3 Depth=1
	s_or_b32 exec_lo, exec_lo, s50
	s_wait_dscnt 0x0
	s_barrier_signal -1
	s_barrier_wait -1
	s_and_saveexec_b32 s50, s33
	s_cbranch_execz .LBB9_747
; %bb.746:                              ;   in Loop: Header=BB9_3 Depth=1
	ds_load_b32 v28, v52 offset:10912
	ds_load_b32 v29, v54
	s_wait_dscnt 0x0
	v_fmac_f32_e32 v24, v28, v29
.LBB9_747:                              ;   in Loop: Header=BB9_3 Depth=1
	s_or_b32 exec_lo, exec_lo, s50
	s_barrier_signal -1
	s_barrier_wait -1
	s_and_saveexec_b32 s50, s34
; %bb.748:                              ;   in Loop: Header=BB9_3 Depth=1
	ds_store_b32 v54, v24
; %bb.749:                              ;   in Loop: Header=BB9_3 Depth=1
	s_or_b32 exec_lo, exec_lo, s50
	s_wait_dscnt 0x0
	s_barrier_signal -1
	s_barrier_wait -1
	s_and_saveexec_b32 s50, s35
	;; [unrolled: 19-line block ×5, first 2 shown]
	s_cbranch_execz .LBB9_763
; %bb.762:                              ;   in Loop: Header=BB9_3 Depth=1
	ds_load_b32 v28, v7 offset:11964
	ds_load_b32 v29, v54
	s_wait_dscnt 0x0
	v_fmac_f32_e32 v24, v28, v29
.LBB9_763:                              ;   in Loop: Header=BB9_3 Depth=1
	s_or_b32 exec_lo, exec_lo, s50
	s_barrier_signal -1
	s_barrier_wait -1
	s_and_saveexec_b32 s50, s41
; %bb.764:                              ;   in Loop: Header=BB9_3 Depth=1
	ds_store_b32 v54, v24
; %bb.765:                              ;   in Loop: Header=BB9_3 Depth=1
	s_or_b32 exec_lo, exec_lo, s50
	s_wait_dscnt 0x0
	s_barrier_signal -1
	s_barrier_wait -1
	s_barrier_signal -1
	s_barrier_wait -1
	s_and_saveexec_b32 s50, s3
; %bb.766:                              ;   in Loop: Header=BB9_3 Depth=1
	v_xor_b32_e32 v24, 0x80000000, v24
	ds_store_b32 v55, v24 offset:8352
; %bb.767:                              ;   in Loop: Header=BB9_3 Depth=1
	s_or_b32 exec_lo, exec_lo, s50
	s_wait_dscnt 0x0
	s_barrier_signal -1
	s_barrier_wait -1
	s_barrier_signal -1
	s_barrier_wait -1
	s_and_saveexec_b32 s50, s42
	s_cbranch_execz .LBB9_769
; %bb.768:                              ;   in Loop: Header=BB9_3 Depth=1
	ds_load_b32 v24, v42 offset:8352
	s_wait_dscnt 0x0
	ds_store_b32 v46, v24 offset:10368
	ds_load_b32 v24, v42 offset:8356
	s_wait_dscnt 0x0
	ds_store_b32 v46, v24 offset:10624
	;; [unrolled: 3-line block ×8, first 2 shown]
.LBB9_769:                              ;   in Loop: Header=BB9_3 Depth=1
	s_or_b32 exec_lo, exec_lo, s50
	s_wait_dscnt 0x0
	s_barrier_signal -1
	s_barrier_wait -1
	s_and_saveexec_b32 s50, s11
	s_cbranch_execz .LBB9_771
; %bb.770:                              ;   in Loop: Header=BB9_3 Depth=1
	ds_load_b32 v24, v7 offset:10404
	ds_store_b32 v7, v25 offset:10400
	s_wait_dscnt 0x1
	ds_store_b64 v7, v[24:25] offset:10656
.LBB9_771:                              ;   in Loop: Header=BB9_3 Depth=1
	s_or_b32 exec_lo, exec_lo, s50
	v_mov_b32_e32 v24, 0
	s_wait_dscnt 0x0
	s_barrier_signal -1
	s_barrier_wait -1
	s_and_saveexec_b32 s50, s0
	s_cbranch_execz .LBB9_775
; %bb.772:                              ;   in Loop: Header=BB9_3 Depth=1
	ds_load_b32 v24, v39 offset:10408
	ds_load_b32 v28, v40 offset:10400
	s_wait_dscnt 0x0
	v_fma_f32 v24, v24, v28, 0
	s_and_saveexec_b32 s51, s12
	s_cbranch_execz .LBB9_774
; %bb.773:                              ;   in Loop: Header=BB9_3 Depth=1
	ds_load_b32 v28, v46 offset:10664
	ds_load_b32 v29, v7 offset:10404
	s_wait_dscnt 0x0
	v_fmac_f32_e32 v24, v28, v29
.LBB9_774:                              ;   in Loop: Header=BB9_3 Depth=1
	s_or_b32 exec_lo, exec_lo, s51
	s_delay_alu instid0(VALU_DEP_1)
	v_xor_b32_e32 v24, 0x80000000, v24
.LBB9_775:                              ;   in Loop: Header=BB9_3 Depth=1
	s_or_b32 exec_lo, exec_lo, s50
	s_and_saveexec_b32 s50, s92
; %bb.776:                              ;   in Loop: Header=BB9_3 Depth=1
	ds_store_b32 v37, v24
; %bb.777:                              ;   in Loop: Header=BB9_3 Depth=1
	s_or_b32 exec_lo, exec_lo, s50
	s_wait_dscnt 0x0
	s_barrier_signal -1
	s_barrier_wait -1
	s_and_saveexec_b32 s50, s93
	s_cbranch_execz .LBB9_779
; %bb.778:                              ;   in Loop: Header=BB9_3 Depth=1
	ds_load_b32 v28, v7 offset:10924
	ds_load_b32 v29, v37
	s_wait_dscnt 0x0
	v_fmac_f32_e32 v24, v28, v29
.LBB9_779:                              ;   in Loop: Header=BB9_3 Depth=1
	s_or_b32 exec_lo, exec_lo, s50
	s_barrier_signal -1
	s_barrier_wait -1
	s_and_saveexec_b32 s50, s93
; %bb.780:                              ;   in Loop: Header=BB9_3 Depth=1
	ds_store_b32 v37, v24
; %bb.781:                              ;   in Loop: Header=BB9_3 Depth=1
	s_or_b32 exec_lo, exec_lo, s50
	s_wait_dscnt 0x0
	s_barrier_signal -1
	s_barrier_wait -1
	s_barrier_signal -1
	s_barrier_wait -1
	s_and_saveexec_b32 s50, s0
; %bb.782:                              ;   in Loop: Header=BB9_3 Depth=1
	v_xor_b32_e32 v24, 0x80000000, v24
	ds_store_b32 v39, v24 offset:10408
; %bb.783:                              ;   in Loop: Header=BB9_3 Depth=1
	s_or_b32 exec_lo, exec_lo, s50
	s_wait_dscnt 0x0
	s_barrier_signal -1
	s_barrier_wait -1
	s_barrier_signal -1
	s_barrier_wait -1
	s_and_saveexec_b32 s50, s94
	s_cbranch_execz .LBB9_785
; %bb.784:                              ;   in Loop: Header=BB9_3 Depth=1
	ds_load_b32 v24, v50 offset:10408
	s_wait_dscnt 0x0
	ds_store_b32 v46, v24 offset:10912
	ds_load_b32 v24, v50 offset:10412
	s_wait_dscnt 0x0
	ds_store_b32 v46, v24 offset:11168
.LBB9_785:                              ;   in Loop: Header=BB9_3 Depth=1
	s_or_b32 exec_lo, exec_lo, s50
	s_wait_dscnt 0x0
	s_barrier_signal -1
	s_barrier_wait -1
	s_and_saveexec_b32 s50, s11
	s_cbranch_execz .LBB9_787
; %bb.786:                              ;   in Loop: Header=BB9_3 Depth=1
	ds_load_b32 v24, v7 offset:10924
	ds_store_b32 v7, v25 offset:10920
	s_wait_dscnt 0x1
	ds_store_b64 v7, v[24:25] offset:11176
.LBB9_787:                              ;   in Loop: Header=BB9_3 Depth=1
	s_or_b32 exec_lo, exec_lo, s50
	v_mov_b32_e32 v24, 0
	s_wait_dscnt 0x0
	s_barrier_signal -1
	s_barrier_wait -1
	s_and_saveexec_b32 s61, s2
	s_cbranch_execz .LBB9_793
; %bb.788:                              ;   in Loop: Header=BB9_3 Depth=1
	ds_load_b32 v24, v48 offset:10416
	ds_load_b32 v28, v41 offset:10400
	s_wait_dscnt 0x0
	v_fma_f32 v24, v24, v28, 0
	s_and_saveexec_b32 s50, s13
	s_cbranch_execnz .LBB9_1209
; %bb.789:                              ;   in Loop: Header=BB9_3 Depth=1
	s_or_b32 exec_lo, exec_lo, s50
	s_and_saveexec_b32 s50, s14
	s_cbranch_execnz .LBB9_1210
.LBB9_790:                              ;   in Loop: Header=BB9_3 Depth=1
	s_or_b32 exec_lo, exec_lo, s50
	s_and_saveexec_b32 s50, s0
	s_cbranch_execz .LBB9_792
.LBB9_791:                              ;   in Loop: Header=BB9_3 Depth=1
	ds_load_b32 v28, v53 offset:11184
	ds_load_b32 v29, v7 offset:10412
	s_wait_dscnt 0x0
	v_fmac_f32_e32 v24, v28, v29
.LBB9_792:                              ;   in Loop: Header=BB9_3 Depth=1
	s_or_b32 exec_lo, exec_lo, s50
	s_delay_alu instid0(VALU_DEP_1)
	v_xor_b32_e32 v24, 0x80000000, v24
.LBB9_793:                              ;   in Loop: Header=BB9_3 Depth=1
	s_or_b32 exec_lo, exec_lo, s61
	s_and_saveexec_b32 s50, s95
; %bb.794:                              ;   in Loop: Header=BB9_3 Depth=1
	ds_store_b32 v47, v24
; %bb.795:                              ;   in Loop: Header=BB9_3 Depth=1
	s_or_b32 exec_lo, exec_lo, s50
	s_wait_dscnt 0x0
	s_barrier_signal -1
	s_barrier_wait -1
	s_and_saveexec_b32 s50, s96
	s_cbranch_execz .LBB9_797
; %bb.796:                              ;   in Loop: Header=BB9_3 Depth=1
	ds_load_b32 v28, v45 offset:11440
	ds_load_b32 v29, v47
	s_wait_dscnt 0x0
	v_fmac_f32_e32 v24, v28, v29
.LBB9_797:                              ;   in Loop: Header=BB9_3 Depth=1
	s_or_b32 exec_lo, exec_lo, s50
	s_barrier_signal -1
	s_barrier_wait -1
	s_and_saveexec_b32 s50, s97
; %bb.798:                              ;   in Loop: Header=BB9_3 Depth=1
	ds_store_b32 v47, v24
; %bb.799:                              ;   in Loop: Header=BB9_3 Depth=1
	s_or_b32 exec_lo, exec_lo, s50
	s_wait_dscnt 0x0
	s_barrier_signal -1
	s_barrier_wait -1
	s_and_saveexec_b32 s50, s98
	s_cbranch_execz .LBB9_801
; %bb.800:                              ;   in Loop: Header=BB9_3 Depth=1
	ds_load_b32 v28, v45 offset:11696
	ds_load_b32 v29, v47
	s_wait_dscnt 0x0
	v_fmac_f32_e32 v24, v28, v29
.LBB9_801:                              ;   in Loop: Header=BB9_3 Depth=1
	s_or_b32 exec_lo, exec_lo, s50
	s_barrier_signal -1
	s_barrier_wait -1
	;; [unrolled: 19-line block ×3, first 2 shown]
	s_and_saveexec_b32 s50, s100
; %bb.806:                              ;   in Loop: Header=BB9_3 Depth=1
	ds_store_b32 v47, v24
; %bb.807:                              ;   in Loop: Header=BB9_3 Depth=1
	s_or_b32 exec_lo, exec_lo, s50
	s_wait_dscnt 0x0
	s_barrier_signal -1
	s_barrier_wait -1
	s_barrier_signal -1
	s_barrier_wait -1
	s_and_saveexec_b32 s50, s2
; %bb.808:                              ;   in Loop: Header=BB9_3 Depth=1
	v_xor_b32_e32 v24, 0x80000000, v24
	ds_store_b32 v48, v24 offset:10416
; %bb.809:                              ;   in Loop: Header=BB9_3 Depth=1
	s_or_b32 exec_lo, exec_lo, s50
	s_wait_dscnt 0x0
	s_barrier_signal -1
	s_barrier_wait -1
	s_barrier_signal -1
	s_barrier_wait -1
	s_and_saveexec_b32 s50, s101
	s_cbranch_execz .LBB9_811
; %bb.810:                              ;   in Loop: Header=BB9_3 Depth=1
	ds_load_b32 v24, v56 offset:10416
	s_wait_dscnt 0x0
	ds_store_b32 v59, v24 offset:11424
	ds_load_b32 v24, v56 offset:10420
	s_wait_dscnt 0x0
	ds_store_b32 v59, v24 offset:11680
	;; [unrolled: 3-line block ×4, first 2 shown]
.LBB9_811:                              ;   in Loop: Header=BB9_3 Depth=1
	s_or_b32 exec_lo, exec_lo, s50
	s_wait_dscnt 0x0
	s_barrier_signal -1
	s_barrier_wait -1
	s_and_saveexec_b32 s50, s11
	s_cbranch_execz .LBB9_813
; %bb.812:                              ;   in Loop: Header=BB9_3 Depth=1
	ds_load_b32 v24, v7 offset:11444
	ds_store_b32 v7, v25 offset:11440
	s_wait_dscnt 0x1
	ds_store_b64 v7, v[24:25] offset:11696
.LBB9_813:                              ;   in Loop: Header=BB9_3 Depth=1
	s_or_b32 exec_lo, exec_lo, s50
	v_mov_b32_e32 v24, 0
	s_wait_dscnt 0x0
	s_barrier_signal -1
	s_barrier_wait -1
	s_and_saveexec_b32 s50, s0
	s_cbranch_execz .LBB9_817
; %bb.814:                              ;   in Loop: Header=BB9_3 Depth=1
	ds_load_b32 v24, v39 offset:11448
	ds_load_b32 v28, v40 offset:11440
	s_wait_dscnt 0x0
	v_fma_f32 v24, v24, v28, 0
	s_and_saveexec_b32 s51, s12
	s_cbranch_execz .LBB9_816
; %bb.815:                              ;   in Loop: Header=BB9_3 Depth=1
	ds_load_b32 v28, v59 offset:11704
	ds_load_b32 v29, v7 offset:11444
	s_wait_dscnt 0x0
	v_fmac_f32_e32 v24, v28, v29
.LBB9_816:                              ;   in Loop: Header=BB9_3 Depth=1
	s_or_b32 exec_lo, exec_lo, s51
	s_delay_alu instid0(VALU_DEP_1)
	v_xor_b32_e32 v24, 0x80000000, v24
.LBB9_817:                              ;   in Loop: Header=BB9_3 Depth=1
	s_or_b32 exec_lo, exec_lo, s50
	s_and_saveexec_b32 s50, s92
; %bb.818:                              ;   in Loop: Header=BB9_3 Depth=1
	ds_store_b32 v37, v24
; %bb.819:                              ;   in Loop: Header=BB9_3 Depth=1
	s_or_b32 exec_lo, exec_lo, s50
	s_wait_dscnt 0x0
	s_barrier_signal -1
	s_barrier_wait -1
	s_and_saveexec_b32 s50, s93
	s_cbranch_execz .LBB9_821
; %bb.820:                              ;   in Loop: Header=BB9_3 Depth=1
	ds_load_b32 v28, v7 offset:11964
	ds_load_b32 v29, v37
	s_wait_dscnt 0x0
	v_fmac_f32_e32 v24, v28, v29
.LBB9_821:                              ;   in Loop: Header=BB9_3 Depth=1
	s_or_b32 exec_lo, exec_lo, s50
	s_barrier_signal -1
	s_barrier_wait -1
	s_and_saveexec_b32 s50, s93
; %bb.822:                              ;   in Loop: Header=BB9_3 Depth=1
	ds_store_b32 v37, v24
; %bb.823:                              ;   in Loop: Header=BB9_3 Depth=1
	s_or_b32 exec_lo, exec_lo, s50
	s_wait_dscnt 0x0
	s_barrier_signal -1
	s_barrier_wait -1
	s_barrier_signal -1
	s_barrier_wait -1
	s_and_saveexec_b32 s50, s0
; %bb.824:                              ;   in Loop: Header=BB9_3 Depth=1
	v_xor_b32_e32 v24, 0x80000000, v24
	ds_store_b32 v39, v24 offset:11448
; %bb.825:                              ;   in Loop: Header=BB9_3 Depth=1
	s_or_b32 exec_lo, exec_lo, s50
	s_wait_dscnt 0x0
	s_barrier_signal -1
	s_barrier_wait -1
	s_barrier_signal -1
	s_barrier_wait -1
	s_and_saveexec_b32 s50, s94
	s_cbranch_execz .LBB9_827
; %bb.826:                              ;   in Loop: Header=BB9_3 Depth=1
	v_add_nc_u32_e32 v24, v59, v44
	ds_load_b32 v28, v24 offset:11448
	s_wait_dscnt 0x0
	ds_store_b32 v59, v28 offset:11952
	ds_load_b32 v24, v24 offset:11452
	s_wait_dscnt 0x0
	ds_store_b32 v59, v24 offset:12208
.LBB9_827:                              ;   in Loop: Header=BB9_3 Depth=1
	s_or_b32 exec_lo, exec_lo, s50
	s_wait_dscnt 0x0
	s_barrier_signal -1
	s_barrier_wait -1
	s_and_saveexec_b32 s50, s11
	s_cbranch_execz .LBB9_829
; %bb.828:                              ;   in Loop: Header=BB9_3 Depth=1
	ds_load_b32 v24, v7 offset:11964
	ds_store_b32 v7, v25 offset:11960
	s_wait_dscnt 0x1
	ds_store_b64 v7, v[24:25] offset:12216
.LBB9_829:                              ;   in Loop: Header=BB9_3 Depth=1
	s_or_b32 exec_lo, exec_lo, s50
	v_mov_b32_e32 v24, 0
	s_wait_dscnt 0x0
	s_barrier_signal -1
	s_barrier_wait -1
	s_and_saveexec_b32 s61, s4
	s_cbranch_execz .LBB9_857
; %bb.830:                              ;   in Loop: Header=BB9_3 Depth=1
	ds_load_b32 v24, v65 offset:8384
	ds_load_b32 v28, v58 offset:8320
	s_wait_dscnt 0x0
	v_fma_f32 v24, v24, v28, 0
	s_mov_b32 s50, exec_lo
	v_readlane_b32 s51, v91, 20
	s_and_b32 s51, s50, s51
	s_delay_alu instid0(SALU_CYCLE_1)
	s_mov_b32 exec_lo, s51
	s_cbranch_execz .LBB9_832
; %bb.831:                              ;   in Loop: Header=BB9_3 Depth=1
	ds_load_b32 v28, v66 offset:8640
	ds_load_b32 v29, v58 offset:8324
	s_wait_dscnt 0x0
	v_fmac_f32_e32 v24, v28, v29
.LBB9_832:                              ;   in Loop: Header=BB9_3 Depth=1
	s_or_b32 exec_lo, exec_lo, s50
	s_delay_alu instid0(SALU_CYCLE_1) | instskip(SKIP_2) | instid1(SALU_CYCLE_1)
	s_mov_b32 s50, exec_lo
	v_readlane_b32 s51, v91, 21
	s_and_b32 s51, s50, s51
	s_mov_b32 exec_lo, s51
	s_cbranch_execz .LBB9_834
; %bb.833:                              ;   in Loop: Header=BB9_3 Depth=1
	ds_load_b32 v28, v66 offset:8896
	ds_load_b32 v29, v58 offset:8328
	s_wait_dscnt 0x0
	v_fmac_f32_e32 v24, v28, v29
.LBB9_834:                              ;   in Loop: Header=BB9_3 Depth=1
	s_or_b32 exec_lo, exec_lo, s50
	s_delay_alu instid0(SALU_CYCLE_1) | instskip(SKIP_2) | instid1(SALU_CYCLE_1)
	s_mov_b32 s50, exec_lo
	v_readlane_b32 s51, v91, 22
	s_and_b32 s51, s50, s51
	s_mov_b32 exec_lo, s51
	s_cbranch_execz .LBB9_836
; %bb.835:                              ;   in Loop: Header=BB9_3 Depth=1
	ds_load_b32 v28, v66 offset:9152
	ds_load_b32 v29, v58 offset:8332
	s_wait_dscnt 0x0
	v_fmac_f32_e32 v24, v28, v29
.LBB9_836:                              ;   in Loop: Header=BB9_3 Depth=1
	s_or_b32 exec_lo, exec_lo, s50
	s_delay_alu instid0(SALU_CYCLE_1) | instskip(SKIP_2) | instid1(SALU_CYCLE_1)
	s_mov_b32 s50, exec_lo
	v_readlane_b32 s51, v91, 23
	s_and_b32 s51, s50, s51
	s_mov_b32 exec_lo, s51
	s_cbranch_execz .LBB9_838
; %bb.837:                              ;   in Loop: Header=BB9_3 Depth=1
	ds_load_b32 v28, v66 offset:9408
	ds_load_b32 v29, v58 offset:8336
	s_wait_dscnt 0x0
	v_fmac_f32_e32 v24, v28, v29
.LBB9_838:                              ;   in Loop: Header=BB9_3 Depth=1
	s_or_b32 exec_lo, exec_lo, s50
	s_delay_alu instid0(SALU_CYCLE_1) | instskip(SKIP_2) | instid1(SALU_CYCLE_1)
	s_mov_b32 s50, exec_lo
	v_readlane_b32 s51, v91, 24
	s_and_b32 s51, s50, s51
	s_mov_b32 exec_lo, s51
	s_cbranch_execz .LBB9_840
; %bb.839:                              ;   in Loop: Header=BB9_3 Depth=1
	ds_load_b32 v28, v66 offset:9664
	ds_load_b32 v29, v58 offset:8340
	s_wait_dscnt 0x0
	v_fmac_f32_e32 v24, v28, v29
.LBB9_840:                              ;   in Loop: Header=BB9_3 Depth=1
	s_or_b32 exec_lo, exec_lo, s50
	s_delay_alu instid0(SALU_CYCLE_1) | instskip(SKIP_2) | instid1(SALU_CYCLE_1)
	s_mov_b32 s50, exec_lo
	v_readlane_b32 s51, v91, 25
	s_and_b32 s51, s50, s51
	s_mov_b32 exec_lo, s51
	s_cbranch_execz .LBB9_842
; %bb.841:                              ;   in Loop: Header=BB9_3 Depth=1
	ds_load_b32 v28, v66 offset:9920
	ds_load_b32 v29, v58 offset:8344
	s_wait_dscnt 0x0
	v_fmac_f32_e32 v24, v28, v29
.LBB9_842:                              ;   in Loop: Header=BB9_3 Depth=1
	s_or_b32 exec_lo, exec_lo, s50
	s_delay_alu instid0(SALU_CYCLE_1) | instskip(SKIP_2) | instid1(SALU_CYCLE_1)
	s_mov_b32 s50, exec_lo
	v_readlane_b32 s51, v91, 26
	s_and_b32 s51, s50, s51
	s_mov_b32 exec_lo, s51
	s_cbranch_execz .LBB9_844
; %bb.843:                              ;   in Loop: Header=BB9_3 Depth=1
	ds_load_b32 v28, v66 offset:10176
	ds_load_b32 v29, v58 offset:8348
	s_wait_dscnt 0x0
	v_fmac_f32_e32 v24, v28, v29
.LBB9_844:                              ;   in Loop: Header=BB9_3 Depth=1
	s_or_b32 exec_lo, exec_lo, s50
	s_delay_alu instid0(SALU_CYCLE_1) | instskip(SKIP_2) | instid1(SALU_CYCLE_1)
	s_mov_b32 s50, exec_lo
	v_readlane_b32 s51, v91, 27
	s_and_b32 s51, s50, s51
	s_mov_b32 exec_lo, s51
	s_cbranch_execz .LBB9_846
; %bb.845:                              ;   in Loop: Header=BB9_3 Depth=1
	ds_load_b32 v28, v65 offset:10432
	ds_load_b32 v29, v58 offset:8352
	s_wait_dscnt 0x0
	v_fmac_f32_e32 v24, v28, v29
.LBB9_846:                              ;   in Loop: Header=BB9_3 Depth=1
	s_or_b32 exec_lo, exec_lo, s50
	s_delay_alu instid0(SALU_CYCLE_1) | instskip(SKIP_2) | instid1(SALU_CYCLE_1)
	s_mov_b32 s50, exec_lo
	v_readlane_b32 s51, v91, 28
	s_and_b32 s51, s50, s51
	s_mov_b32 exec_lo, s51
	s_cbranch_execz .LBB9_848
; %bb.847:                              ;   in Loop: Header=BB9_3 Depth=1
	ds_load_b32 v28, v66 offset:10688
	ds_load_b32 v29, v58 offset:8356
	s_wait_dscnt 0x0
	v_fmac_f32_e32 v24, v28, v29
.LBB9_848:                              ;   in Loop: Header=BB9_3 Depth=1
	s_or_b32 exec_lo, exec_lo, s50
	s_delay_alu instid0(SALU_CYCLE_1) | instskip(SKIP_2) | instid1(SALU_CYCLE_1)
	s_mov_b32 s50, exec_lo
	v_readlane_b32 s51, v91, 29
	s_and_b32 s51, s50, s51
	s_mov_b32 exec_lo, s51
	s_cbranch_execz .LBB9_850
; %bb.849:                              ;   in Loop: Header=BB9_3 Depth=1
	ds_load_b32 v28, v66 offset:10944
	ds_load_b32 v29, v58 offset:8360
	s_wait_dscnt 0x0
	v_fmac_f32_e32 v24, v28, v29
.LBB9_850:                              ;   in Loop: Header=BB9_3 Depth=1
	s_or_b32 exec_lo, exec_lo, s50
	s_delay_alu instid0(SALU_CYCLE_1) | instskip(SKIP_2) | instid1(SALU_CYCLE_1)
	s_mov_b32 s50, exec_lo
	v_readlane_b32 s51, v91, 30
	s_and_b32 s51, s50, s51
	s_mov_b32 exec_lo, s51
	s_cbranch_execnz .LBB9_1211
; %bb.851:                              ;   in Loop: Header=BB9_3 Depth=1
	s_or_b32 exec_lo, exec_lo, s50
	s_and_saveexec_b32 s50, s3
	s_cbranch_execnz .LBB9_1212
.LBB9_852:                              ;   in Loop: Header=BB9_3 Depth=1
	s_or_b32 exec_lo, exec_lo, s50
	s_and_saveexec_b32 s50, s16
	s_cbranch_execnz .LBB9_1213
.LBB9_853:                              ;   in Loop: Header=BB9_3 Depth=1
	s_or_b32 exec_lo, exec_lo, s50
	s_and_saveexec_b32 s50, s18
	s_cbranch_execnz .LBB9_1214
.LBB9_854:                              ;   in Loop: Header=BB9_3 Depth=1
	s_or_b32 exec_lo, exec_lo, s50
	s_and_saveexec_b32 s50, s2
	s_cbranch_execz .LBB9_856
.LBB9_855:                              ;   in Loop: Header=BB9_3 Depth=1
	ds_load_b32 v28, v5 offset:12224
	ds_load_b32 v29, v7 offset:8380
	s_wait_dscnt 0x0
	v_fmac_f32_e32 v24, v28, v29
.LBB9_856:                              ;   in Loop: Header=BB9_3 Depth=1
	s_or_b32 exec_lo, exec_lo, s50
	s_delay_alu instid0(VALU_DEP_1)
	v_xor_b32_e32 v24, 0x80000000, v24
.LBB9_857:                              ;   in Loop: Header=BB9_3 Depth=1
	s_or_b32 exec_lo, exec_lo, s61
	s_delay_alu instid0(SALU_CYCLE_1) | instskip(SKIP_2) | instid1(SALU_CYCLE_1)
	s_mov_b32 s50, exec_lo
	v_readlane_b32 s51, v93, 2
	s_and_b32 s51, s50, s51
	s_mov_b32 exec_lo, s51
; %bb.858:                              ;   in Loop: Header=BB9_3 Depth=1
	ds_store_b32 v60, v24
; %bb.859:                              ;   in Loop: Header=BB9_3 Depth=1
	s_or_b32 exec_lo, exec_lo, s50
	s_wait_dscnt 0x0
	s_barrier_signal -1
	s_barrier_wait -1
	s_mov_b32 s50, exec_lo
	v_readlane_b32 s51, v93, 3
	s_and_b32 s51, s50, s51
	s_delay_alu instid0(SALU_CYCLE_1)
	s_mov_b32 exec_lo, s51
	s_cbranch_execz .LBB9_861
; %bb.860:                              ;   in Loop: Header=BB9_3 Depth=1
	ds_load_b32 v28, v61 offset:12480
	ds_load_b32 v29, v60
	s_wait_dscnt 0x0
	v_fmac_f32_e32 v24, v28, v29
.LBB9_861:                              ;   in Loop: Header=BB9_3 Depth=1
	s_or_b32 exec_lo, exec_lo, s50
	s_barrier_signal -1
	s_barrier_wait -1
	s_mov_b32 s50, exec_lo
	v_readlane_b32 s51, v93, 4
	s_and_b32 s51, s50, s51
	s_delay_alu instid0(SALU_CYCLE_1)
	s_mov_b32 exec_lo, s51
; %bb.862:                              ;   in Loop: Header=BB9_3 Depth=1
	ds_store_b32 v60, v24
; %bb.863:                              ;   in Loop: Header=BB9_3 Depth=1
	s_or_b32 exec_lo, exec_lo, s50
	s_wait_dscnt 0x0
	s_barrier_signal -1
	s_barrier_wait -1
	s_mov_b32 s50, exec_lo
	v_readlane_b32 s51, v93, 5
	s_and_b32 s51, s50, s51
	s_delay_alu instid0(SALU_CYCLE_1)
	s_mov_b32 exec_lo, s51
	s_cbranch_execz .LBB9_865
; %bb.864:                              ;   in Loop: Header=BB9_3 Depth=1
	ds_load_b32 v28, v61 offset:12736
	ds_load_b32 v29, v60
	s_wait_dscnt 0x0
	v_fmac_f32_e32 v24, v28, v29
.LBB9_865:                              ;   in Loop: Header=BB9_3 Depth=1
	s_or_b32 exec_lo, exec_lo, s50
	s_barrier_signal -1
	s_barrier_wait -1
	s_mov_b32 s50, exec_lo
	v_readlane_b32 s51, v93, 6
	s_and_b32 s51, s50, s51
	s_delay_alu instid0(SALU_CYCLE_1)
	;; [unrolled: 27-line block ×4, first 2 shown]
	s_mov_b32 exec_lo, s51
; %bb.874:                              ;   in Loop: Header=BB9_3 Depth=1
	ds_store_b32 v60, v24
; %bb.875:                              ;   in Loop: Header=BB9_3 Depth=1
	s_or_b32 exec_lo, exec_lo, s50
	s_wait_dscnt 0x0
	s_barrier_signal -1
	s_barrier_wait -1
	s_mov_b32 s50, exec_lo
	v_readlane_b32 s51, v93, 11
	s_and_b32 s51, s50, s51
	s_delay_alu instid0(SALU_CYCLE_1)
	s_mov_b32 exec_lo, s51
	s_cbranch_execz .LBB9_877
; %bb.876:                              ;   in Loop: Header=BB9_3 Depth=1
	ds_load_b32 v28, v61 offset:13504
	ds_load_b32 v29, v60
	s_wait_dscnt 0x0
	v_fmac_f32_e32 v24, v28, v29
.LBB9_877:                              ;   in Loop: Header=BB9_3 Depth=1
	s_or_b32 exec_lo, exec_lo, s50
	s_barrier_signal -1
	s_barrier_wait -1
	s_and_saveexec_b32 s50, s53
; %bb.878:                              ;   in Loop: Header=BB9_3 Depth=1
	ds_store_b32 v60, v24
; %bb.879:                              ;   in Loop: Header=BB9_3 Depth=1
	s_or_b32 exec_lo, exec_lo, s50
	s_wait_dscnt 0x0
	s_barrier_signal -1
	s_barrier_wait -1
	s_and_saveexec_b32 s50, s54
	s_cbranch_execz .LBB9_881
; %bb.880:                              ;   in Loop: Header=BB9_3 Depth=1
	ds_load_b32 v28, v61 offset:13760
	ds_load_b32 v29, v60
	s_wait_dscnt 0x0
	v_fmac_f32_e32 v24, v28, v29
.LBB9_881:                              ;   in Loop: Header=BB9_3 Depth=1
	s_or_b32 exec_lo, exec_lo, s50
	s_barrier_signal -1
	s_barrier_wait -1
	s_and_saveexec_b32 s50, s20
; %bb.882:                              ;   in Loop: Header=BB9_3 Depth=1
	ds_store_b32 v60, v24
; %bb.883:                              ;   in Loop: Header=BB9_3 Depth=1
	s_or_b32 exec_lo, exec_lo, s50
	s_wait_dscnt 0x0
	s_barrier_signal -1
	s_barrier_wait -1
	s_and_saveexec_b32 s50, s22
	;; [unrolled: 19-line block ×10, first 2 shown]
	s_cbranch_execz .LBB9_917
; %bb.916:                              ;   in Loop: Header=BB9_3 Depth=1
	ds_load_b32 v28, v7 offset:16124
	ds_load_b32 v29, v60
	s_wait_dscnt 0x0
	v_fmac_f32_e32 v24, v28, v29
.LBB9_917:                              ;   in Loop: Header=BB9_3 Depth=1
	s_or_b32 exec_lo, exec_lo, s50
	s_barrier_signal -1
	s_barrier_wait -1
	s_and_saveexec_b32 s50, s45
; %bb.918:                              ;   in Loop: Header=BB9_3 Depth=1
	ds_store_b32 v60, v24
; %bb.919:                              ;   in Loop: Header=BB9_3 Depth=1
	s_or_b32 exec_lo, exec_lo, s50
	s_wait_dscnt 0x0
	s_barrier_signal -1
	s_barrier_wait -1
	s_barrier_signal -1
	s_barrier_wait -1
	s_and_saveexec_b32 s50, s4
; %bb.920:                              ;   in Loop: Header=BB9_3 Depth=1
	v_xor_b32_e32 v24, 0x80000000, v24
	ds_store_b32 v65, v24 offset:8384
; %bb.921:                              ;   in Loop: Header=BB9_3 Depth=1
	s_or_b32 exec_lo, exec_lo, s50
	s_wait_dscnt 0x0
	s_barrier_signal -1
	s_barrier_wait -1
	s_barrier_signal -1
	s_barrier_wait -1
	s_and_saveexec_b32 s60, s46
	s_cbranch_execz .LBB9_923
; %bb.922:                              ;   in Loop: Header=BB9_3 Depth=1
	ds_load_b32 v24, v32 offset:8384
	s_wait_dscnt 0x0
	ds_store_b32 v33, v24 offset:12416
	ds_load_b32 v24, v32 offset:8388
	s_wait_dscnt 0x0
	ds_store_b32 v33, v24 offset:12672
	;; [unrolled: 3-line block ×16, first 2 shown]
.LBB9_923:                              ;   in Loop: Header=BB9_3 Depth=1
	s_or_b32 exec_lo, exec_lo, s60
	s_wait_dscnt 0x0
	s_barrier_signal -1
	s_barrier_wait -1
	s_and_saveexec_b32 s50, s11
	s_cbranch_execz .LBB9_925
; %bb.924:                              ;   in Loop: Header=BB9_3 Depth=1
	ds_load_b32 v24, v7 offset:12484
	ds_store_b32 v7, v25 offset:12480
	s_wait_dscnt 0x1
	ds_store_b64 v7, v[24:25] offset:12736
.LBB9_925:                              ;   in Loop: Header=BB9_3 Depth=1
	s_or_b32 exec_lo, exec_lo, s50
	v_mov_b32_e32 v24, 0
	s_wait_dscnt 0x0
	s_barrier_signal -1
	s_barrier_wait -1
	s_and_saveexec_b32 s50, s0
	s_cbranch_execz .LBB9_929
; %bb.926:                              ;   in Loop: Header=BB9_3 Depth=1
	ds_load_b32 v24, v39 offset:12488
	ds_load_b32 v28, v40 offset:12480
	s_wait_dscnt 0x0
	v_fma_f32 v24, v24, v28, 0
	s_and_saveexec_b32 s51, s12
	s_cbranch_execz .LBB9_928
; %bb.927:                              ;   in Loop: Header=BB9_3 Depth=1
	ds_load_b32 v28, v5 offset:12744
	ds_load_b32 v29, v7 offset:12484
	s_wait_dscnt 0x0
	v_fmac_f32_e32 v24, v28, v29
.LBB9_928:                              ;   in Loop: Header=BB9_3 Depth=1
	s_or_b32 exec_lo, exec_lo, s51
	s_delay_alu instid0(VALU_DEP_1)
	v_xor_b32_e32 v24, 0x80000000, v24
.LBB9_929:                              ;   in Loop: Header=BB9_3 Depth=1
	s_or_b32 exec_lo, exec_lo, s50
	s_and_saveexec_b32 s50, s92
; %bb.930:                              ;   in Loop: Header=BB9_3 Depth=1
	ds_store_b32 v37, v24
; %bb.931:                              ;   in Loop: Header=BB9_3 Depth=1
	s_or_b32 exec_lo, exec_lo, s50
	s_wait_dscnt 0x0
	s_barrier_signal -1
	s_barrier_wait -1
	s_and_saveexec_b32 s50, s93
	s_cbranch_execz .LBB9_933
; %bb.932:                              ;   in Loop: Header=BB9_3 Depth=1
	ds_load_b32 v28, v7 offset:13004
	ds_load_b32 v29, v37
	s_wait_dscnt 0x0
	v_fmac_f32_e32 v24, v28, v29
.LBB9_933:                              ;   in Loop: Header=BB9_3 Depth=1
	s_or_b32 exec_lo, exec_lo, s50
	s_barrier_signal -1
	s_barrier_wait -1
	s_and_saveexec_b32 s50, s93
; %bb.934:                              ;   in Loop: Header=BB9_3 Depth=1
	ds_store_b32 v37, v24
; %bb.935:                              ;   in Loop: Header=BB9_3 Depth=1
	s_or_b32 exec_lo, exec_lo, s50
	s_wait_dscnt 0x0
	s_barrier_signal -1
	s_barrier_wait -1
	s_barrier_signal -1
	s_barrier_wait -1
	s_and_saveexec_b32 s50, s0
; %bb.936:                              ;   in Loop: Header=BB9_3 Depth=1
	v_xor_b32_e32 v24, 0x80000000, v24
	ds_store_b32 v39, v24 offset:12488
; %bb.937:                              ;   in Loop: Header=BB9_3 Depth=1
	s_or_b32 exec_lo, exec_lo, s50
	s_wait_dscnt 0x0
	s_barrier_signal -1
	s_barrier_wait -1
	s_barrier_signal -1
	s_barrier_wait -1
	s_and_saveexec_b32 s50, s94
	s_cbranch_execz .LBB9_939
; %bb.938:                              ;   in Loop: Header=BB9_3 Depth=1
	ds_load_b32 v24, v32 offset:12488
	s_wait_dscnt 0x0
	ds_store_b32 v5, v24 offset:12992
	ds_load_b32 v24, v32 offset:12492
	s_wait_dscnt 0x0
	ds_store_b32 v5, v24 offset:13248
.LBB9_939:                              ;   in Loop: Header=BB9_3 Depth=1
	s_or_b32 exec_lo, exec_lo, s50
	s_wait_dscnt 0x0
	s_barrier_signal -1
	s_barrier_wait -1
	s_and_saveexec_b32 s50, s11
	s_cbranch_execz .LBB9_941
; %bb.940:                              ;   in Loop: Header=BB9_3 Depth=1
	ds_load_b32 v24, v7 offset:13004
	ds_store_b32 v7, v25 offset:13000
	s_wait_dscnt 0x1
	ds_store_b64 v7, v[24:25] offset:13256
.LBB9_941:                              ;   in Loop: Header=BB9_3 Depth=1
	s_or_b32 exec_lo, exec_lo, s50
	v_mov_b32_e32 v24, 0
	s_wait_dscnt 0x0
	s_barrier_signal -1
	s_barrier_wait -1
	s_and_saveexec_b32 s61, s2
	s_cbranch_execz .LBB9_947
; %bb.942:                              ;   in Loop: Header=BB9_3 Depth=1
	ds_load_b32 v24, v48 offset:12496
	ds_load_b32 v28, v41 offset:12480
	s_wait_dscnt 0x0
	v_fma_f32 v24, v24, v28, 0
	s_and_saveexec_b32 s50, s13
	s_cbranch_execnz .LBB9_1215
; %bb.943:                              ;   in Loop: Header=BB9_3 Depth=1
	s_or_b32 exec_lo, exec_lo, s50
	s_and_saveexec_b32 s50, s14
	s_cbranch_execnz .LBB9_1216
.LBB9_944:                              ;   in Loop: Header=BB9_3 Depth=1
	s_or_b32 exec_lo, exec_lo, s50
	s_and_saveexec_b32 s50, s0
	s_cbranch_execz .LBB9_946
.LBB9_945:                              ;   in Loop: Header=BB9_3 Depth=1
	ds_load_b32 v28, v33 offset:13264
	ds_load_b32 v29, v7 offset:12492
	s_wait_dscnt 0x0
	v_fmac_f32_e32 v24, v28, v29
.LBB9_946:                              ;   in Loop: Header=BB9_3 Depth=1
	s_or_b32 exec_lo, exec_lo, s50
	s_delay_alu instid0(VALU_DEP_1)
	v_xor_b32_e32 v24, 0x80000000, v24
.LBB9_947:                              ;   in Loop: Header=BB9_3 Depth=1
	s_or_b32 exec_lo, exec_lo, s61
	s_and_saveexec_b32 s50, s95
; %bb.948:                              ;   in Loop: Header=BB9_3 Depth=1
	ds_store_b32 v47, v24
; %bb.949:                              ;   in Loop: Header=BB9_3 Depth=1
	s_or_b32 exec_lo, exec_lo, s50
	s_wait_dscnt 0x0
	s_barrier_signal -1
	s_barrier_wait -1
	s_and_saveexec_b32 s50, s96
	s_cbranch_execz .LBB9_951
; %bb.950:                              ;   in Loop: Header=BB9_3 Depth=1
	ds_load_b32 v28, v45 offset:13520
	ds_load_b32 v29, v47
	s_wait_dscnt 0x0
	v_fmac_f32_e32 v24, v28, v29
.LBB9_951:                              ;   in Loop: Header=BB9_3 Depth=1
	s_or_b32 exec_lo, exec_lo, s50
	s_barrier_signal -1
	s_barrier_wait -1
	s_and_saveexec_b32 s50, s97
; %bb.952:                              ;   in Loop: Header=BB9_3 Depth=1
	ds_store_b32 v47, v24
; %bb.953:                              ;   in Loop: Header=BB9_3 Depth=1
	s_or_b32 exec_lo, exec_lo, s50
	s_wait_dscnt 0x0
	s_barrier_signal -1
	s_barrier_wait -1
	s_and_saveexec_b32 s50, s98
	s_cbranch_execz .LBB9_955
; %bb.954:                              ;   in Loop: Header=BB9_3 Depth=1
	ds_load_b32 v28, v45 offset:13776
	ds_load_b32 v29, v47
	s_wait_dscnt 0x0
	v_fmac_f32_e32 v24, v28, v29
.LBB9_955:                              ;   in Loop: Header=BB9_3 Depth=1
	s_or_b32 exec_lo, exec_lo, s50
	s_barrier_signal -1
	s_barrier_wait -1
	;; [unrolled: 19-line block ×3, first 2 shown]
	s_and_saveexec_b32 s50, s100
; %bb.960:                              ;   in Loop: Header=BB9_3 Depth=1
	ds_store_b32 v47, v24
; %bb.961:                              ;   in Loop: Header=BB9_3 Depth=1
	s_or_b32 exec_lo, exec_lo, s50
	s_wait_dscnt 0x0
	s_barrier_signal -1
	s_barrier_wait -1
	s_barrier_signal -1
	s_barrier_wait -1
	s_and_saveexec_b32 s50, s2
; %bb.962:                              ;   in Loop: Header=BB9_3 Depth=1
	v_xor_b32_e32 v24, 0x80000000, v24
	ds_store_b32 v48, v24 offset:12496
; %bb.963:                              ;   in Loop: Header=BB9_3 Depth=1
	s_or_b32 exec_lo, exec_lo, s50
	s_wait_dscnt 0x0
	s_barrier_signal -1
	s_barrier_wait -1
	s_barrier_signal -1
	s_barrier_wait -1
	s_and_saveexec_b32 s50, s101
	s_cbranch_execz .LBB9_965
; %bb.964:                              ;   in Loop: Header=BB9_3 Depth=1
	ds_load_b32 v24, v34 offset:12496
	s_wait_dscnt 0x0
	ds_store_b32 v35, v24 offset:13504
	ds_load_b32 v24, v34 offset:12500
	s_wait_dscnt 0x0
	ds_store_b32 v35, v24 offset:13760
	;; [unrolled: 3-line block ×4, first 2 shown]
.LBB9_965:                              ;   in Loop: Header=BB9_3 Depth=1
	s_or_b32 exec_lo, exec_lo, s50
	s_wait_dscnt 0x0
	s_barrier_signal -1
	s_barrier_wait -1
	s_and_saveexec_b32 s50, s11
	s_cbranch_execz .LBB9_967
; %bb.966:                              ;   in Loop: Header=BB9_3 Depth=1
	ds_load_b32 v24, v7 offset:13524
	ds_store_b32 v7, v25 offset:13520
	s_wait_dscnt 0x1
	ds_store_b64 v7, v[24:25] offset:13776
.LBB9_967:                              ;   in Loop: Header=BB9_3 Depth=1
	s_or_b32 exec_lo, exec_lo, s50
	v_mov_b32_e32 v24, 0
	s_wait_dscnt 0x0
	s_barrier_signal -1
	s_barrier_wait -1
	s_and_saveexec_b32 s50, s0
	s_cbranch_execz .LBB9_971
; %bb.968:                              ;   in Loop: Header=BB9_3 Depth=1
	ds_load_b32 v24, v39 offset:13528
	ds_load_b32 v28, v40 offset:13520
	s_wait_dscnt 0x0
	v_fma_f32 v24, v24, v28, 0
	s_and_saveexec_b32 s51, s12
	s_cbranch_execz .LBB9_970
; %bb.969:                              ;   in Loop: Header=BB9_3 Depth=1
	ds_load_b32 v28, v35 offset:13784
	ds_load_b32 v29, v7 offset:13524
	s_wait_dscnt 0x0
	v_fmac_f32_e32 v24, v28, v29
.LBB9_970:                              ;   in Loop: Header=BB9_3 Depth=1
	s_or_b32 exec_lo, exec_lo, s51
	s_delay_alu instid0(VALU_DEP_1)
	v_xor_b32_e32 v24, 0x80000000, v24
.LBB9_971:                              ;   in Loop: Header=BB9_3 Depth=1
	s_or_b32 exec_lo, exec_lo, s50
	s_and_saveexec_b32 s50, s92
; %bb.972:                              ;   in Loop: Header=BB9_3 Depth=1
	ds_store_b32 v37, v24
; %bb.973:                              ;   in Loop: Header=BB9_3 Depth=1
	s_or_b32 exec_lo, exec_lo, s50
	s_wait_dscnt 0x0
	s_barrier_signal -1
	s_barrier_wait -1
	s_and_saveexec_b32 s50, s93
	s_cbranch_execz .LBB9_975
; %bb.974:                              ;   in Loop: Header=BB9_3 Depth=1
	ds_load_b32 v28, v7 offset:14044
	ds_load_b32 v29, v37
	s_wait_dscnt 0x0
	v_fmac_f32_e32 v24, v28, v29
.LBB9_975:                              ;   in Loop: Header=BB9_3 Depth=1
	s_or_b32 exec_lo, exec_lo, s50
	s_barrier_signal -1
	s_barrier_wait -1
	s_and_saveexec_b32 s50, s93
; %bb.976:                              ;   in Loop: Header=BB9_3 Depth=1
	ds_store_b32 v37, v24
; %bb.977:                              ;   in Loop: Header=BB9_3 Depth=1
	s_or_b32 exec_lo, exec_lo, s50
	s_wait_dscnt 0x0
	s_barrier_signal -1
	s_barrier_wait -1
	s_barrier_signal -1
	s_barrier_wait -1
	s_and_saveexec_b32 s50, s0
; %bb.978:                              ;   in Loop: Header=BB9_3 Depth=1
	v_xor_b32_e32 v24, 0x80000000, v24
	ds_store_b32 v39, v24 offset:13528
; %bb.979:                              ;   in Loop: Header=BB9_3 Depth=1
	s_or_b32 exec_lo, exec_lo, s50
	s_wait_dscnt 0x0
	s_barrier_signal -1
	s_barrier_wait -1
	s_barrier_signal -1
	s_barrier_wait -1
	s_and_saveexec_b32 s50, s94
	s_cbranch_execz .LBB9_981
; %bb.980:                              ;   in Loop: Header=BB9_3 Depth=1
	ds_load_b32 v24, v36 offset:13528
	s_wait_dscnt 0x0
	ds_store_b32 v35, v24 offset:14032
	ds_load_b32 v24, v36 offset:13532
	s_wait_dscnt 0x0
	ds_store_b32 v35, v24 offset:14288
.LBB9_981:                              ;   in Loop: Header=BB9_3 Depth=1
	s_or_b32 exec_lo, exec_lo, s50
	s_wait_dscnt 0x0
	s_barrier_signal -1
	s_barrier_wait -1
	s_and_saveexec_b32 s50, s11
	s_cbranch_execz .LBB9_983
; %bb.982:                              ;   in Loop: Header=BB9_3 Depth=1
	ds_load_b32 v24, v7 offset:14044
	ds_store_b32 v7, v25 offset:14040
	s_wait_dscnt 0x1
	ds_store_b64 v7, v[24:25] offset:14296
.LBB9_983:                              ;   in Loop: Header=BB9_3 Depth=1
	s_or_b32 exec_lo, exec_lo, s50
	v_mov_b32_e32 v24, 0
	s_wait_dscnt 0x0
	s_barrier_signal -1
	s_barrier_wait -1
	s_and_saveexec_b32 s61, s3
	s_cbranch_execz .LBB9_993
; %bb.984:                              ;   in Loop: Header=BB9_3 Depth=1
	ds_load_b32 v24, v55 offset:12512
	ds_load_b32 v28, v51 offset:12480
	s_wait_dscnt 0x0
	v_fma_f32 v24, v24, v28, 0
	s_and_saveexec_b32 s50, s15
	s_cbranch_execnz .LBB9_1217
; %bb.985:                              ;   in Loop: Header=BB9_3 Depth=1
	s_or_b32 exec_lo, exec_lo, s50
	s_and_saveexec_b32 s50, s16
	s_cbranch_execnz .LBB9_1218
.LBB9_986:                              ;   in Loop: Header=BB9_3 Depth=1
	s_or_b32 exec_lo, exec_lo, s50
	s_and_saveexec_b32 s50, s17
	s_cbranch_execnz .LBB9_1219
.LBB9_987:                              ;   in Loop: Header=BB9_3 Depth=1
	s_or_b32 exec_lo, exec_lo, s50
	s_and_saveexec_b32 s50, s18
	s_cbranch_execnz .LBB9_1220
.LBB9_988:                              ;   in Loop: Header=BB9_3 Depth=1
	s_or_b32 exec_lo, exec_lo, s50
	s_and_saveexec_b32 s50, s19
	s_cbranch_execnz .LBB9_1221
.LBB9_989:                              ;   in Loop: Header=BB9_3 Depth=1
	s_or_b32 exec_lo, exec_lo, s50
	s_and_saveexec_b32 s50, s2
	s_cbranch_execnz .LBB9_1222
.LBB9_990:                              ;   in Loop: Header=BB9_3 Depth=1
	s_or_b32 exec_lo, exec_lo, s50
	s_and_saveexec_b32 s50, s14
	s_cbranch_execz .LBB9_992
.LBB9_991:                              ;   in Loop: Header=BB9_3 Depth=1
	ds_load_b32 v28, v38 offset:14304
	ds_load_b32 v29, v7 offset:12508
	s_wait_dscnt 0x0
	v_fmac_f32_e32 v24, v28, v29
.LBB9_992:                              ;   in Loop: Header=BB9_3 Depth=1
	s_or_b32 exec_lo, exec_lo, s50
	s_delay_alu instid0(VALU_DEP_1)
	v_xor_b32_e32 v24, 0x80000000, v24
.LBB9_993:                              ;   in Loop: Header=BB9_3 Depth=1
	s_or_b32 exec_lo, exec_lo, s61
	s_and_saveexec_b32 s50, s102
; %bb.994:                              ;   in Loop: Header=BB9_3 Depth=1
	ds_store_b32 v54, v24
; %bb.995:                              ;   in Loop: Header=BB9_3 Depth=1
	s_or_b32 exec_lo, exec_lo, s50
	s_wait_dscnt 0x0
	s_barrier_signal -1
	s_barrier_wait -1
	s_and_saveexec_b32 s50, s103
	s_cbranch_execz .LBB9_997
; %bb.996:                              ;   in Loop: Header=BB9_3 Depth=1
	ds_load_b32 v28, v52 offset:14560
	ds_load_b32 v29, v54
	s_wait_dscnt 0x0
	v_fmac_f32_e32 v24, v28, v29
.LBB9_997:                              ;   in Loop: Header=BB9_3 Depth=1
	s_or_b32 exec_lo, exec_lo, s50
	s_barrier_signal -1
	s_barrier_wait -1
	s_and_saveexec_b32 s50, s104
; %bb.998:                              ;   in Loop: Header=BB9_3 Depth=1
	ds_store_b32 v54, v24
; %bb.999:                              ;   in Loop: Header=BB9_3 Depth=1
	s_or_b32 exec_lo, exec_lo, s50
	s_wait_dscnt 0x0
	s_barrier_signal -1
	s_barrier_wait -1
	s_and_saveexec_b32 s50, vcc_hi
	s_cbranch_execz .LBB9_1001
; %bb.1000:                             ;   in Loop: Header=BB9_3 Depth=1
	ds_load_b32 v28, v52 offset:14816
	ds_load_b32 v29, v54
	s_wait_dscnt 0x0
	v_fmac_f32_e32 v24, v28, v29
.LBB9_1001:                             ;   in Loop: Header=BB9_3 Depth=1
	s_or_b32 exec_lo, exec_lo, s50
	s_barrier_signal -1
	s_barrier_wait -1
	s_and_saveexec_b32 s50, s31
; %bb.1002:                             ;   in Loop: Header=BB9_3 Depth=1
	ds_store_b32 v54, v24
; %bb.1003:                             ;   in Loop: Header=BB9_3 Depth=1
	s_or_b32 exec_lo, exec_lo, s50
	s_wait_dscnt 0x0
	s_barrier_signal -1
	s_barrier_wait -1
	s_and_saveexec_b32 s50, s33
	s_cbranch_execz .LBB9_1005
; %bb.1004:                             ;   in Loop: Header=BB9_3 Depth=1
	ds_load_b32 v28, v52 offset:15072
	ds_load_b32 v29, v54
	s_wait_dscnt 0x0
	v_fmac_f32_e32 v24, v28, v29
.LBB9_1005:                             ;   in Loop: Header=BB9_3 Depth=1
	s_or_b32 exec_lo, exec_lo, s50
	s_barrier_signal -1
	s_barrier_wait -1
	s_and_saveexec_b32 s50, s34
; %bb.1006:                             ;   in Loop: Header=BB9_3 Depth=1
	ds_store_b32 v54, v24
; %bb.1007:                             ;   in Loop: Header=BB9_3 Depth=1
	s_or_b32 exec_lo, exec_lo, s50
	s_wait_dscnt 0x0
	s_barrier_signal -1
	s_barrier_wait -1
	s_and_saveexec_b32 s50, s35
	;; [unrolled: 19-line block ×5, first 2 shown]
	s_cbranch_execz .LBB9_1021
; %bb.1020:                             ;   in Loop: Header=BB9_3 Depth=1
	ds_load_b32 v28, v7 offset:16124
	ds_load_b32 v29, v54
	s_wait_dscnt 0x0
	v_fmac_f32_e32 v24, v28, v29
.LBB9_1021:                             ;   in Loop: Header=BB9_3 Depth=1
	s_or_b32 exec_lo, exec_lo, s50
	s_barrier_signal -1
	s_barrier_wait -1
	s_and_saveexec_b32 s50, s41
; %bb.1022:                             ;   in Loop: Header=BB9_3 Depth=1
	ds_store_b32 v54, v24
; %bb.1023:                             ;   in Loop: Header=BB9_3 Depth=1
	s_or_b32 exec_lo, exec_lo, s50
	s_wait_dscnt 0x0
	s_barrier_signal -1
	s_barrier_wait -1
	s_barrier_signal -1
	s_barrier_wait -1
	s_and_saveexec_b32 s50, s3
; %bb.1024:                             ;   in Loop: Header=BB9_3 Depth=1
	v_xor_b32_e32 v24, 0x80000000, v24
	ds_store_b32 v55, v24 offset:12512
; %bb.1025:                             ;   in Loop: Header=BB9_3 Depth=1
	s_or_b32 exec_lo, exec_lo, s50
	s_wait_dscnt 0x0
	s_barrier_signal -1
	s_barrier_wait -1
	s_barrier_signal -1
	s_barrier_wait -1
	s_and_saveexec_b32 s50, s42
	s_cbranch_execz .LBB9_1027
; %bb.1026:                             ;   in Loop: Header=BB9_3 Depth=1
	ds_load_b32 v24, v42 offset:12512
	s_wait_dscnt 0x0
	ds_store_b32 v46, v24 offset:14528
	ds_load_b32 v24, v42 offset:12516
	s_wait_dscnt 0x0
	ds_store_b32 v46, v24 offset:14784
	;; [unrolled: 3-line block ×8, first 2 shown]
.LBB9_1027:                             ;   in Loop: Header=BB9_3 Depth=1
	s_or_b32 exec_lo, exec_lo, s50
	s_wait_dscnt 0x0
	s_barrier_signal -1
	s_barrier_wait -1
	s_and_saveexec_b32 s50, s11
	s_cbranch_execz .LBB9_1029
; %bb.1028:                             ;   in Loop: Header=BB9_3 Depth=1
	ds_load_b32 v24, v7 offset:14564
	ds_store_b32 v7, v25 offset:14560
	s_wait_dscnt 0x1
	ds_store_b64 v7, v[24:25] offset:14816
.LBB9_1029:                             ;   in Loop: Header=BB9_3 Depth=1
	s_or_b32 exec_lo, exec_lo, s50
	v_mov_b32_e32 v24, 0
	s_wait_dscnt 0x0
	s_barrier_signal -1
	s_barrier_wait -1
	s_and_saveexec_b32 s50, s0
	s_cbranch_execz .LBB9_1033
; %bb.1030:                             ;   in Loop: Header=BB9_3 Depth=1
	ds_load_b32 v24, v39 offset:14568
	ds_load_b32 v28, v40 offset:14560
	s_wait_dscnt 0x0
	v_fma_f32 v24, v24, v28, 0
	s_and_saveexec_b32 s51, s12
	s_cbranch_execz .LBB9_1032
; %bb.1031:                             ;   in Loop: Header=BB9_3 Depth=1
	ds_load_b32 v28, v46 offset:14824
	ds_load_b32 v29, v7 offset:14564
	s_wait_dscnt 0x0
	v_fmac_f32_e32 v24, v28, v29
.LBB9_1032:                             ;   in Loop: Header=BB9_3 Depth=1
	s_or_b32 exec_lo, exec_lo, s51
	s_delay_alu instid0(VALU_DEP_1)
	v_xor_b32_e32 v24, 0x80000000, v24
.LBB9_1033:                             ;   in Loop: Header=BB9_3 Depth=1
	s_or_b32 exec_lo, exec_lo, s50
	s_and_saveexec_b32 s50, s92
; %bb.1034:                             ;   in Loop: Header=BB9_3 Depth=1
	ds_store_b32 v37, v24
; %bb.1035:                             ;   in Loop: Header=BB9_3 Depth=1
	s_or_b32 exec_lo, exec_lo, s50
	s_wait_dscnt 0x0
	s_barrier_signal -1
	s_barrier_wait -1
	s_and_saveexec_b32 s50, s93
	s_cbranch_execz .LBB9_1037
; %bb.1036:                             ;   in Loop: Header=BB9_3 Depth=1
	ds_load_b32 v28, v7 offset:15084
	ds_load_b32 v29, v37
	s_wait_dscnt 0x0
	v_fmac_f32_e32 v24, v28, v29
.LBB9_1037:                             ;   in Loop: Header=BB9_3 Depth=1
	s_or_b32 exec_lo, exec_lo, s50
	s_barrier_signal -1
	s_barrier_wait -1
	s_and_saveexec_b32 s50, s93
; %bb.1038:                             ;   in Loop: Header=BB9_3 Depth=1
	ds_store_b32 v37, v24
; %bb.1039:                             ;   in Loop: Header=BB9_3 Depth=1
	s_or_b32 exec_lo, exec_lo, s50
	s_wait_dscnt 0x0
	s_barrier_signal -1
	s_barrier_wait -1
	s_barrier_signal -1
	s_barrier_wait -1
	s_and_saveexec_b32 s50, s0
; %bb.1040:                             ;   in Loop: Header=BB9_3 Depth=1
	v_xor_b32_e32 v24, 0x80000000, v24
	ds_store_b32 v39, v24 offset:14568
; %bb.1041:                             ;   in Loop: Header=BB9_3 Depth=1
	s_or_b32 exec_lo, exec_lo, s50
	s_wait_dscnt 0x0
	s_barrier_signal -1
	s_barrier_wait -1
	s_barrier_signal -1
	s_barrier_wait -1
	s_and_saveexec_b32 s50, s94
	s_cbranch_execz .LBB9_1043
; %bb.1042:                             ;   in Loop: Header=BB9_3 Depth=1
	ds_load_b32 v24, v50 offset:14568
	s_wait_dscnt 0x0
	ds_store_b32 v46, v24 offset:15072
	ds_load_b32 v24, v50 offset:14572
	s_wait_dscnt 0x0
	ds_store_b32 v46, v24 offset:15328
.LBB9_1043:                             ;   in Loop: Header=BB9_3 Depth=1
	s_or_b32 exec_lo, exec_lo, s50
	s_wait_dscnt 0x0
	s_barrier_signal -1
	s_barrier_wait -1
	s_and_saveexec_b32 s50, s11
	s_cbranch_execz .LBB9_1045
; %bb.1044:                             ;   in Loop: Header=BB9_3 Depth=1
	ds_load_b32 v24, v7 offset:15084
	ds_store_b32 v7, v25 offset:15080
	s_wait_dscnt 0x1
	ds_store_b64 v7, v[24:25] offset:15336
.LBB9_1045:                             ;   in Loop: Header=BB9_3 Depth=1
	s_or_b32 exec_lo, exec_lo, s50
	v_mov_b32_e32 v24, 0
	s_wait_dscnt 0x0
	s_barrier_signal -1
	s_barrier_wait -1
	s_and_saveexec_b32 s61, s2
	s_cbranch_execz .LBB9_1051
; %bb.1046:                             ;   in Loop: Header=BB9_3 Depth=1
	ds_load_b32 v24, v48 offset:14576
	ds_load_b32 v28, v41 offset:14560
	s_wait_dscnt 0x0
	v_fma_f32 v24, v24, v28, 0
	s_and_saveexec_b32 s50, s13
	s_cbranch_execnz .LBB9_1223
; %bb.1047:                             ;   in Loop: Header=BB9_3 Depth=1
	s_or_b32 exec_lo, exec_lo, s50
	s_and_saveexec_b32 s50, s14
	s_cbranch_execnz .LBB9_1224
.LBB9_1048:                             ;   in Loop: Header=BB9_3 Depth=1
	s_or_b32 exec_lo, exec_lo, s50
	s_and_saveexec_b32 s50, s0
	s_cbranch_execz .LBB9_1050
.LBB9_1049:                             ;   in Loop: Header=BB9_3 Depth=1
	ds_load_b32 v28, v53 offset:15344
	ds_load_b32 v29, v7 offset:14572
	s_wait_dscnt 0x0
	v_fmac_f32_e32 v24, v28, v29
.LBB9_1050:                             ;   in Loop: Header=BB9_3 Depth=1
	s_or_b32 exec_lo, exec_lo, s50
	s_delay_alu instid0(VALU_DEP_1)
	v_xor_b32_e32 v24, 0x80000000, v24
.LBB9_1051:                             ;   in Loop: Header=BB9_3 Depth=1
	s_or_b32 exec_lo, exec_lo, s61
	s_and_saveexec_b32 s50, s95
; %bb.1052:                             ;   in Loop: Header=BB9_3 Depth=1
	ds_store_b32 v47, v24
; %bb.1053:                             ;   in Loop: Header=BB9_3 Depth=1
	s_or_b32 exec_lo, exec_lo, s50
	s_wait_dscnt 0x0
	s_barrier_signal -1
	s_barrier_wait -1
	s_and_saveexec_b32 s50, s96
	s_cbranch_execz .LBB9_1055
; %bb.1054:                             ;   in Loop: Header=BB9_3 Depth=1
	ds_load_b32 v28, v45 offset:15600
	ds_load_b32 v29, v47
	s_wait_dscnt 0x0
	v_fmac_f32_e32 v24, v28, v29
.LBB9_1055:                             ;   in Loop: Header=BB9_3 Depth=1
	s_or_b32 exec_lo, exec_lo, s50
	s_barrier_signal -1
	s_barrier_wait -1
	s_and_saveexec_b32 s50, s97
; %bb.1056:                             ;   in Loop: Header=BB9_3 Depth=1
	ds_store_b32 v47, v24
; %bb.1057:                             ;   in Loop: Header=BB9_3 Depth=1
	s_or_b32 exec_lo, exec_lo, s50
	s_wait_dscnt 0x0
	s_barrier_signal -1
	s_barrier_wait -1
	s_and_saveexec_b32 s50, s98
	s_cbranch_execz .LBB9_1059
; %bb.1058:                             ;   in Loop: Header=BB9_3 Depth=1
	ds_load_b32 v28, v45 offset:15856
	ds_load_b32 v29, v47
	s_wait_dscnt 0x0
	v_fmac_f32_e32 v24, v28, v29
.LBB9_1059:                             ;   in Loop: Header=BB9_3 Depth=1
	s_or_b32 exec_lo, exec_lo, s50
	s_barrier_signal -1
	s_barrier_wait -1
	;; [unrolled: 19-line block ×3, first 2 shown]
	s_and_saveexec_b32 s50, s100
; %bb.1064:                             ;   in Loop: Header=BB9_3 Depth=1
	ds_store_b32 v47, v24
; %bb.1065:                             ;   in Loop: Header=BB9_3 Depth=1
	s_or_b32 exec_lo, exec_lo, s50
	s_wait_dscnt 0x0
	s_barrier_signal -1
	s_barrier_wait -1
	s_barrier_signal -1
	s_barrier_wait -1
	s_and_saveexec_b32 s50, s2
; %bb.1066:                             ;   in Loop: Header=BB9_3 Depth=1
	v_xor_b32_e32 v24, 0x80000000, v24
	ds_store_b32 v48, v24 offset:14576
; %bb.1067:                             ;   in Loop: Header=BB9_3 Depth=1
	s_or_b32 exec_lo, exec_lo, s50
	s_wait_dscnt 0x0
	s_barrier_signal -1
	s_barrier_wait -1
	s_barrier_signal -1
	s_barrier_wait -1
	s_and_saveexec_b32 s50, s101
	s_cbranch_execz .LBB9_1069
; %bb.1068:                             ;   in Loop: Header=BB9_3 Depth=1
	ds_load_b32 v24, v56 offset:14576
	s_wait_dscnt 0x0
	ds_store_b32 v59, v24 offset:15584
	ds_load_b32 v24, v56 offset:14580
	s_wait_dscnt 0x0
	ds_store_b32 v59, v24 offset:15840
	;; [unrolled: 3-line block ×4, first 2 shown]
.LBB9_1069:                             ;   in Loop: Header=BB9_3 Depth=1
	s_or_b32 exec_lo, exec_lo, s50
	s_wait_dscnt 0x0
	s_barrier_signal -1
	s_barrier_wait -1
	s_and_saveexec_b32 s50, s11
	s_cbranch_execz .LBB9_1071
; %bb.1070:                             ;   in Loop: Header=BB9_3 Depth=1
	ds_load_b32 v24, v7 offset:15604
	ds_store_b32 v7, v25 offset:15600
	s_wait_dscnt 0x1
	ds_store_b64 v7, v[24:25] offset:15856
.LBB9_1071:                             ;   in Loop: Header=BB9_3 Depth=1
	s_or_b32 exec_lo, exec_lo, s50
	v_mov_b32_e32 v24, 0
	s_wait_dscnt 0x0
	s_barrier_signal -1
	s_barrier_wait -1
	s_and_saveexec_b32 s50, s0
	s_cbranch_execz .LBB9_1075
; %bb.1072:                             ;   in Loop: Header=BB9_3 Depth=1
	ds_load_b32 v24, v39 offset:15608
	ds_load_b32 v28, v40 offset:15600
	s_wait_dscnt 0x0
	v_fma_f32 v24, v24, v28, 0
	s_and_saveexec_b32 s51, s12
	s_cbranch_execz .LBB9_1074
; %bb.1073:                             ;   in Loop: Header=BB9_3 Depth=1
	ds_load_b32 v28, v59 offset:15864
	ds_load_b32 v29, v7 offset:15604
	s_wait_dscnt 0x0
	v_fmac_f32_e32 v24, v28, v29
.LBB9_1074:                             ;   in Loop: Header=BB9_3 Depth=1
	s_or_b32 exec_lo, exec_lo, s51
	s_delay_alu instid0(VALU_DEP_1)
	v_xor_b32_e32 v24, 0x80000000, v24
.LBB9_1075:                             ;   in Loop: Header=BB9_3 Depth=1
	s_or_b32 exec_lo, exec_lo, s50
	s_and_saveexec_b32 s50, s92
; %bb.1076:                             ;   in Loop: Header=BB9_3 Depth=1
	ds_store_b32 v37, v24
; %bb.1077:                             ;   in Loop: Header=BB9_3 Depth=1
	s_or_b32 exec_lo, exec_lo, s50
	s_wait_dscnt 0x0
	s_barrier_signal -1
	s_barrier_wait -1
	s_and_saveexec_b32 s50, s93
	s_cbranch_execz .LBB9_1079
; %bb.1078:                             ;   in Loop: Header=BB9_3 Depth=1
	ds_load_b32 v28, v7 offset:16124
	ds_load_b32 v29, v37
	s_wait_dscnt 0x0
	v_fmac_f32_e32 v24, v28, v29
.LBB9_1079:                             ;   in Loop: Header=BB9_3 Depth=1
	s_or_b32 exec_lo, exec_lo, s50
	s_barrier_signal -1
	s_barrier_wait -1
	s_and_saveexec_b32 s50, s93
; %bb.1080:                             ;   in Loop: Header=BB9_3 Depth=1
	ds_store_b32 v37, v24
; %bb.1081:                             ;   in Loop: Header=BB9_3 Depth=1
	s_or_b32 exec_lo, exec_lo, s50
	s_wait_dscnt 0x0
	s_barrier_signal -1
	s_barrier_wait -1
	s_barrier_signal -1
	s_barrier_wait -1
	s_and_saveexec_b32 s50, s0
; %bb.1082:                             ;   in Loop: Header=BB9_3 Depth=1
	v_xor_b32_e32 v24, 0x80000000, v24
	ds_store_b32 v39, v24 offset:15608
; %bb.1083:                             ;   in Loop: Header=BB9_3 Depth=1
	s_or_b32 exec_lo, exec_lo, s50
	s_wait_dscnt 0x0
	s_barrier_signal -1
	s_barrier_wait -1
	s_barrier_signal -1
	s_barrier_wait -1
	s_and_saveexec_b32 s50, s94
	s_cbranch_execz .LBB9_1085
; %bb.1084:                             ;   in Loop: Header=BB9_3 Depth=1
	v_add_nc_u32_e32 v24, v59, v44
	ds_load_b32 v28, v24 offset:15608
	s_wait_dscnt 0x0
	ds_store_b32 v59, v28 offset:16112
	ds_load_b32 v24, v24 offset:15612
	s_wait_dscnt 0x0
	ds_store_b32 v59, v24 offset:16368
.LBB9_1085:                             ;   in Loop: Header=BB9_3 Depth=1
	s_or_b32 exec_lo, exec_lo, s50
	s_wait_dscnt 0x0
	s_barrier_signal -1
	s_barrier_wait -1
	s_and_saveexec_b32 s50, s11
	s_cbranch_execz .LBB9_1087
; %bb.1086:                             ;   in Loop: Header=BB9_3 Depth=1
	ds_load_b32 v24, v7 offset:16124
	ds_store_b32 v7, v25 offset:16120
	s_wait_dscnt 0x1
	ds_store_b64 v7, v[24:25] offset:16376
.LBB9_1087:                             ;   in Loop: Header=BB9_3 Depth=1
	s_or_b32 exec_lo, exec_lo, s50
.LBB9_1088:                             ;   in Loop: Header=BB9_3 Depth=1
	s_mul_u64 s[50:51], s[72:73], s[76:77]
	v_mov_b32_e32 v24, 0
	s_lshl_b64 s[50:51], s[50:51], 2
	s_wait_dscnt 0x0
	s_add_nc_u64 s[82:83], s[66:67], s[50:51]
	s_barrier_signal -1
	s_barrier_wait -1
	s_and_saveexec_b32 s50, s48
	s_cbranch_execz .LBB9_1090
; %bb.1089:                             ;   in Loop: Header=BB9_3 Depth=1
	v_lshl_add_u64 v[28:29], v[0:1], 2, s[82:83]
	global_load_b32 v24, v[28:29], off
	s_wait_loadcnt 0x0
	v_mul_f32_e64 v24, v24, -v30
.LBB9_1090:                             ;   in Loop: Header=BB9_3 Depth=1
	s_or_b32 exec_lo, exec_lo, s50
	s_delay_alu instid0(SALU_CYCLE_1)
	s_and_not1_b32 vcc_lo, exec_lo, s49
	s_cbranch_vccnz .LBB9_1116
; %bb.1091:                             ;   in Loop: Header=BB9_3 Depth=1
	v_mov_b32_e32 v86, -1
	s_lshl_b64 s[50:51], s[76:77], 2
	s_mov_b32 s61, 0
	s_add_nc_u64 s[84:85], s[74:75], s[50:51]
	s_branch .LBB9_1094
.LBB9_1092:                             ;   in Loop: Header=BB9_1094 Depth=2
	s_wait_xcnt 0x0
	ds_load_b32 v28, v71 offset:192
	s_wait_loadcnt_dscnt 0x0
	v_fmac_f32_e32 v24, v30, v28
.LBB9_1093:                             ;   in Loop: Header=BB9_1094 Depth=2
	s_or_b32 exec_lo, exec_lo, s50
	s_add_co_i32 s61, s61, 1
	s_delay_alu instid0(SALU_CYCLE_1)
	s_cmp_eq_u32 s61, s87
	s_cbranch_scc1 .LBB9_1116
.LBB9_1094:                             ;   Parent Loop BB9_3 Depth=1
                                        ; =>  This Loop Header: Depth=2
                                        ;       Child Loop BB9_1096 Depth 3
	v_cmp_gt_i32_e32 vcc_lo, s61, v86
	s_and_b32 s51, s55, vcc_lo
	s_delay_alu instid0(SALU_CYCLE_1)
	s_and_saveexec_b32 s50, s51
	s_cbranch_execz .LBB9_1097
; %bb.1095:                             ;   in Loop: Header=BB9_1094 Depth=2
	global_load_b32 v86, v7, s[84:85]
	s_wait_loadcnt 0x0
	v_cmp_le_i32_e32 vcc_lo, s61, v86
	s_cbranch_vccnz .LBB9_1097
.LBB9_1096:                             ;   Parent Loop BB9_3 Depth=1
                                        ;     Parent Loop BB9_1094 Depth=2
                                        ; =>    This Inner Loop Header: Depth=3
	global_wb scope:SCOPE_DEV
	s_wait_storecnt 0x0
	global_inv scope:SCOPE_DEV
	global_load_b32 v86, v7, s[84:85]
	s_wait_loadcnt 0x0
	v_cmp_gt_i32_e32 vcc_lo, s61, v86
	s_cbranch_vccnz .LBB9_1096
.LBB9_1097:                             ;   in Loop: Header=BB9_1094 Depth=2
	s_or_b32 exec_lo, exec_lo, s50
	s_sub_co_i32 s60, s88, s61
	global_wb scope:SCOPE_DEV
	s_wait_storecnt 0x0
	global_inv scope:SCOPE_DEV
	s_lshl_b32 s50, s60, 6
	s_wait_loadcnt 0x0
	s_barrier_signal -1
	s_barrier_wait -1
	s_and_saveexec_b32 s51, s56
	s_cbranch_execz .LBB9_1101
; %bb.1098:                             ;   in Loop: Header=BB9_1094 Depth=2
	s_ashr_i32 s52, s50, 31
	s_delay_alu instid0(SALU_CYCLE_1) | instskip(SKIP_2) | instid1(VALU_DEP_1)
	v_dual_mov_b32 v30, 0 :: v_dual_mov_b32 v29, s52
	v_or_b32_e32 v28, s50, v6
	s_mov_b32 s52, exec_lo
	v_cmpx_gt_i64_e64 s[78:79], v[28:29]
	s_cbranch_execz .LBB9_1100
; %bb.1099:                             ;   in Loop: Header=BB9_1094 Depth=2
	v_mul_u64_e32 v[28:29], s[70:71], v[28:29]
	s_delay_alu instid0(VALU_DEP_1)
	v_lshl_add_u64 v[28:29], v[28:29], 2, s[82:83]
	global_load_b32 v30, v[28:29], off
.LBB9_1100:                             ;   in Loop: Header=BB9_1094 Depth=2
	s_wait_xcnt 0x0
	s_or_b32 exec_lo, exec_lo, s52
	s_wait_loadcnt 0x0
	ds_store_b32 v70, v30
.LBB9_1101:                             ;   in Loop: Header=BB9_1094 Depth=2
	s_or_b32 exec_lo, exec_lo, s51
	v_add_nc_u32_e32 v30, s50, v2
	s_cmp_lg_u32 s60, s57
	s_wait_dscnt 0x0
	s_cselect_b32 s51, -1, 0
	s_barrier_signal -1
	v_ashrrev_i32_e32 v31, 31, v30
	v_cmp_gt_i32_e32 vcc_lo, s78, v30
	s_barrier_wait -1
	s_delay_alu instid0(VALU_DEP_2) | instskip(SKIP_2) | instid1(SALU_CYCLE_1)
	v_lshl_add_u64 v[28:29], v[30:31], 2, v[26:27]
	v_cndmask_b32_e64 v31, 0, 1, s51
	s_and_b32 s52, vcc_lo, s6
	s_and_saveexec_b32 s50, s52
	s_cbranch_execz .LBB9_1105
; %bb.1102:                             ;   in Loop: Header=BB9_1094 Depth=2
	v_mov_b32_e32 v87, v82
	s_and_not1_b32 vcc_lo, exec_lo, s51
	s_cbranch_vccnz .LBB9_1104
; %bb.1103:                             ;   in Loop: Header=BB9_1094 Depth=2
	global_load_b32 v87, v[28:29], off
.LBB9_1104:                             ;   in Loop: Header=BB9_1094 Depth=2
	ds_load_b32 v88, v71
	s_wait_loadcnt_dscnt 0x0
	v_fmac_f32_e32 v24, v87, v88
.LBB9_1105:                             ;   in Loop: Header=BB9_1094 Depth=2
	s_or_b32 exec_lo, exec_lo, s50
	v_add_nc_u32_e32 v87, 16, v30
	s_delay_alu instid0(VALU_DEP_1) | instskip(SKIP_1) | instid1(SALU_CYCLE_1)
	v_cmp_gt_i32_e32 vcc_lo, s78, v87
	s_and_b32 s51, vcc_lo, s6
	s_and_saveexec_b32 s50, s51
	s_cbranch_execz .LBB9_1109
; %bb.1106:                             ;   in Loop: Header=BB9_1094 Depth=2
	v_cmp_ne_u32_e32 vcc_lo, 1, v31
	v_mov_b32_e32 v87, v83
	s_cbranch_vccnz .LBB9_1108
; %bb.1107:                             ;   in Loop: Header=BB9_1094 Depth=2
	global_load_b32 v87, v[28:29], off offset:64
.LBB9_1108:                             ;   in Loop: Header=BB9_1094 Depth=2
	ds_load_b32 v88, v71 offset:64
	s_wait_loadcnt_dscnt 0x0
	v_fmac_f32_e32 v24, v87, v88
.LBB9_1109:                             ;   in Loop: Header=BB9_1094 Depth=2
	s_or_b32 exec_lo, exec_lo, s50
	v_add_nc_u32_e32 v87, 32, v30
	s_delay_alu instid0(VALU_DEP_1) | instskip(SKIP_1) | instid1(SALU_CYCLE_1)
	v_cmp_gt_i32_e32 vcc_lo, s78, v87
	s_and_b32 s51, vcc_lo, s6
	s_and_saveexec_b32 s50, s51
	s_cbranch_execz .LBB9_1113
; %bb.1110:                             ;   in Loop: Header=BB9_1094 Depth=2
	v_cmp_ne_u32_e32 vcc_lo, 1, v31
	v_mov_b32_e32 v87, v84
	s_cbranch_vccnz .LBB9_1112
; %bb.1111:                             ;   in Loop: Header=BB9_1094 Depth=2
	global_load_b32 v87, v[28:29], off offset:128
.LBB9_1112:                             ;   in Loop: Header=BB9_1094 Depth=2
	ds_load_b32 v88, v71 offset:128
	s_wait_loadcnt_dscnt 0x0
	v_fmac_f32_e32 v24, v87, v88
.LBB9_1113:                             ;   in Loop: Header=BB9_1094 Depth=2
	s_or_b32 exec_lo, exec_lo, s50
	v_add_nc_u32_e32 v30, 48, v30
	s_delay_alu instid0(VALU_DEP_1) | instskip(SKIP_1) | instid1(SALU_CYCLE_1)
	v_cmp_gt_i32_e32 vcc_lo, s78, v30
	s_and_b32 s51, vcc_lo, s6
	s_and_saveexec_b32 s50, s51
	s_cbranch_execz .LBB9_1093
; %bb.1114:                             ;   in Loop: Header=BB9_1094 Depth=2
	v_cmp_ne_u32_e32 vcc_lo, 1, v31
	v_mov_b32_e32 v30, v85
	s_cbranch_vccnz .LBB9_1092
; %bb.1115:                             ;   in Loop: Header=BB9_1094 Depth=2
	global_load_b32 v30, v[28:29], off offset:192
	s_branch .LBB9_1092
.LBB9_1116:                             ;   in Loop: Header=BB9_3 Depth=1
	ds_store_b32 v72, v24
	s_wait_dscnt 0x0
	s_barrier_signal -1
	s_barrier_wait -1
	s_and_saveexec_b32 s61, s1
	s_cbranch_execz .LBB9_1118
; %bb.1117:                             ;   in Loop: Header=BB9_3 Depth=1
	ds_load_2addr_stride64_b32 v[26:27], v73 offset0:1 offset1:2
	ds_load_2addr_stride64_b32 v[28:29], v73 offset0:3 offset1:4
	;; [unrolled: 1-line block ×4, first 2 shown]
	v_readlane_b32 s50, v91, 10
	s_wait_dscnt 0x3
	v_add_f32_e32 v24, v24, v26
	s_delay_alu instid0(VALU_DEP_1) | instskip(SKIP_3) | instid1(VALU_DEP_1)
	v_add_f32_e32 v24, v24, v27
	ds_load_2addr_stride64_b32 v[26:27], v73 offset0:9 offset1:10
	s_wait_dscnt 0x3
	v_add_f32_e32 v24, v24, v28
	v_add_f32_e32 v24, v24, v29
	ds_load_2addr_stride64_b32 v[28:29], v73 offset0:11 offset1:12
	s_wait_dscnt 0x3
	v_add_f32_e32 v24, v24, v30
	s_delay_alu instid0(VALU_DEP_1) | instskip(SKIP_1) | instid1(VALU_DEP_1)
	v_add_f32_e32 v24, v24, v31
	s_wait_dscnt 0x2
	v_add_f32_e32 v24, v24, v86
	ds_load_2addr_stride64_b32 v[30:31], v73 offset0:13 offset1:14
	ds_load_b32 v86, v73 offset:3840
	v_add_f32_e32 v24, v24, v87
	s_wait_dscnt 0x3
	s_delay_alu instid0(VALU_DEP_1) | instskip(NEXT) | instid1(VALU_DEP_1)
	v_add_f32_e32 v24, v24, v26
	v_add_f32_e32 v24, v24, v27
	s_wait_dscnt 0x2
	s_delay_alu instid0(VALU_DEP_1) | instskip(NEXT) | instid1(VALU_DEP_1)
	v_add_f32_e32 v24, v24, v28
	;; [unrolled: 4-line block ×4, first 2 shown]
	v_cndmask_b32_e64 v24, -v24, 0, s50
.LBB9_1118:                             ;   in Loop: Header=BB9_3 Depth=1
	s_or_b32 exec_lo, exec_lo, s61
	s_delay_alu instid0(SALU_CYCLE_1)
	s_and_not1_b32 vcc_lo, exec_lo, s91
	s_cbranch_vccnz .LBB9_1128
; %bb.1119:                             ;   in Loop: Header=BB9_3 Depth=1
	s_and_saveexec_b32 s50, s1
; %bb.1120:                             ;   in Loop: Header=BB9_3 Depth=1
	ds_store_b32 v75, v24
; %bb.1121:                             ;   in Loop: Header=BB9_3 Depth=1
	s_or_b32 exec_lo, exec_lo, s50
	v_mov_b32_e32 v26, 0
	s_wait_dscnt 0x0
	s_barrier_signal -1
	s_barrier_wait -1
	s_and_saveexec_b32 s50, s7
	s_cbranch_execnz .LBB9_1168
; %bb.1122:                             ;   in Loop: Header=BB9_3 Depth=1
	s_or_b32 exec_lo, exec_lo, s50
	s_and_saveexec_b32 s50, s8
	s_cbranch_execnz .LBB9_1169
.LBB9_1123:                             ;   in Loop: Header=BB9_3 Depth=1
	s_or_b32 exec_lo, exec_lo, s50
	s_and_saveexec_b32 s50, s9
	s_cbranch_execnz .LBB9_1170
.LBB9_1124:                             ;   in Loop: Header=BB9_3 Depth=1
	s_or_b32 exec_lo, exec_lo, s50
	s_and_saveexec_b32 s50, s10
	s_cbranch_execz .LBB9_1126
.LBB9_1125:                             ;   in Loop: Header=BB9_3 Depth=1
	ds_load_b32 v27, v74 offset:12288
	ds_load_b32 v28, v71 offset:192
	s_wait_dscnt 0x0
	v_fmac_f32_e32 v26, v27, v28
.LBB9_1126:                             ;   in Loop: Header=BB9_3 Depth=1
	s_or_b32 exec_lo, exec_lo, s50
	s_mov_b32 s61, 0
	s_mov_b32 s84, 0
	ds_store_b32 v72, v26
	s_wait_dscnt 0x0
	s_barrier_signal -1
	s_barrier_wait -1
                                        ; implicit-def: $vgpr27
	s_and_saveexec_b32 s85, s1
	s_cbranch_execz .LBB9_1171
; %bb.1127:                             ;   in Loop: Header=BB9_3 Depth=1
	ds_load_2addr_stride64_b32 v[28:29], v73 offset0:1 offset1:2
	ds_load_2addr_stride64_b32 v[30:31], v73 offset0:3 offset1:4
	;; [unrolled: 1-line block ×4, first 2 shown]
	s_mov_b32 s84, exec_lo
	s_wait_dscnt 0x3
	v_add_f32_e32 v26, v26, v28
	s_delay_alu instid0(VALU_DEP_1) | instskip(SKIP_1) | instid1(VALU_DEP_1)
	v_add_f32_e32 v26, v29, v26
	s_wait_dscnt 0x2
	v_add_f32_e32 v26, v30, v26
	s_delay_alu instid0(VALU_DEP_1) | instskip(SKIP_1) | instid1(VALU_DEP_1)
	v_add_f32_e32 v26, v31, v26
	s_wait_dscnt 0x1
	v_add_f32_e32 v28, v86, v26
	ds_load_2addr_stride64_b32 v[26:27], v73 offset0:9 offset1:10
	v_add_f32_e32 v28, v87, v28
	s_wait_dscnt 0x1
	s_delay_alu instid0(VALU_DEP_1)
	v_add_f32_e32 v30, v88, v28
	ds_load_2addr_stride64_b32 v[28:29], v73 offset0:11 offset1:12
	v_add_f32_e32 v86, v89, v30
	ds_load_2addr_stride64_b32 v[30:31], v73 offset0:13 offset1:14
	ds_load_b32 v87, v73 offset:3840
	s_wait_dscnt 0x3
	v_add_f32_e32 v26, v26, v86
	s_delay_alu instid0(VALU_DEP_1) | instskip(SKIP_1) | instid1(VALU_DEP_1)
	v_add_f32_e32 v26, v27, v26
	s_wait_dscnt 0x2
	v_add_f32_e32 v26, v28, v26
	s_delay_alu instid0(VALU_DEP_1) | instskip(SKIP_1) | instid1(VALU_DEP_1)
	v_add_f32_e32 v26, v29, v26
	s_wait_dscnt 0x1
	v_add_f32_e32 v26, v30, v26
	s_delay_alu instid0(VALU_DEP_1) | instskip(SKIP_1) | instid1(VALU_DEP_1)
	v_add_f32_e32 v26, v31, v26
	s_wait_dscnt 0x0
	v_add_f32_e32 v27, v87, v26
	s_or_b32 exec_lo, exec_lo, s85
	s_delay_alu instid0(SALU_CYCLE_1)
	s_and_b32 vcc_lo, exec_lo, s61
	s_cbranch_vccnz .LBB9_1129
	s_branch .LBB9_1172
.LBB9_1128:                             ;   in Loop: Header=BB9_3 Depth=1
	s_mov_b32 s84, 0
                                        ; implicit-def: $vgpr27
	s_cbranch_execz .LBB9_1172
.LBB9_1129:                             ;   in Loop: Header=BB9_3 Depth=1
	v_dual_mov_b32 v26, v81 :: v_dual_mov_b32 v27, v80
	s_mov_b32 s61, 63
	s_branch .LBB9_1131
.LBB9_1130:                             ;   in Loop: Header=BB9_1131 Depth=2
	s_or_b32 exec_lo, exec_lo, s50
	v_add_nc_u32_e32 v27, 0xfffffc00, v27
	v_add_nc_u32_e32 v26, 4, v26
	s_add_co_i32 s61, s61, -4
	s_cmp_lg_u32 s60, 0
	s_barrier_signal -1
	s_barrier_wait -1
	s_cbranch_scc0 .LBB9_1147
.LBB9_1131:                             ;   Parent Loop BB9_3 Depth=1
                                        ; =>  This Inner Loop Header: Depth=2
	s_delay_alu instid0(VALU_DEP_1) | instskip(SKIP_1) | instid1(SALU_CYCLE_1)
	v_cmp_eq_u32_e32 vcc_lo, 0, v26
	s_and_b32 s51, s1, vcc_lo
	s_and_saveexec_b32 s50, s51
; %bb.1132:                             ;   in Loop: Header=BB9_1131 Depth=2
	ds_store_b32 v7, v24 offset:20736
; %bb.1133:                             ;   in Loop: Header=BB9_1131 Depth=2
	s_or_b32 exec_lo, exec_lo, s50
	v_cmp_gt_u32_e32 vcc_lo, s61, v4
	s_wait_dscnt 0x0
	s_barrier_signal -1
	s_barrier_wait -1
	s_and_b32 s51, s1, vcc_lo
	s_delay_alu instid0(SALU_CYCLE_1)
	s_and_saveexec_b32 s50, s51
	s_cbranch_execz .LBB9_1135
; %bb.1134:                             ;   in Loop: Header=BB9_1131 Depth=2
	ds_load_b32 v28, v27 offset:768
	ds_load_b32 v29, v7 offset:20736
	s_wait_dscnt 0x0
	v_fmac_f32_e32 v24, v28, v29
.LBB9_1135:                             ;   in Loop: Header=BB9_1131 Depth=2
	s_or_b32 exec_lo, exec_lo, s50
	s_add_co_i32 s50, s61, -1
	s_delay_alu instid0(SALU_CYCLE_1) | instskip(SKIP_3) | instid1(SALU_CYCLE_1)
	v_cmp_eq_u32_e32 vcc_lo, s50, v4
	s_barrier_signal -1
	s_barrier_wait -1
	s_and_b32 s52, s1, vcc_lo
	s_and_saveexec_b32 s51, s52
; %bb.1136:                             ;   in Loop: Header=BB9_1131 Depth=2
	ds_store_b32 v7, v24 offset:20736
; %bb.1137:                             ;   in Loop: Header=BB9_1131 Depth=2
	s_or_b32 exec_lo, exec_lo, s51
	v_cmp_gt_u32_e32 vcc_lo, s50, v4
	s_wait_dscnt 0x0
	s_barrier_signal -1
	s_barrier_wait -1
	s_and_b32 s51, s1, vcc_lo
	s_delay_alu instid0(SALU_CYCLE_1)
	s_and_saveexec_b32 s50, s51
	s_cbranch_execz .LBB9_1139
; %bb.1138:                             ;   in Loop: Header=BB9_1131 Depth=2
	ds_load_b32 v28, v27 offset:512
	ds_load_b32 v29, v7 offset:20736
	s_wait_dscnt 0x0
	v_fmac_f32_e32 v24, v28, v29
.LBB9_1139:                             ;   in Loop: Header=BB9_1131 Depth=2
	s_or_b32 exec_lo, exec_lo, s50
	s_add_co_i32 s50, s61, -2
	s_delay_alu instid0(SALU_CYCLE_1) | instskip(SKIP_3) | instid1(SALU_CYCLE_1)
	v_cmp_eq_u32_e32 vcc_lo, s50, v4
	s_barrier_signal -1
	s_barrier_wait -1
	;; [unrolled: 26-line block ×3, first 2 shown]
	s_and_b32 s51, s1, vcc_lo
	s_and_saveexec_b32 s50, s51
; %bb.1144:                             ;   in Loop: Header=BB9_1131 Depth=2
	ds_store_b32 v7, v24 offset:20736
; %bb.1145:                             ;   in Loop: Header=BB9_1131 Depth=2
	s_or_b32 exec_lo, exec_lo, s50
	v_cmp_gt_u32_e32 vcc_lo, s60, v4
	s_wait_dscnt 0x0
	s_barrier_signal -1
	s_barrier_wait -1
	s_and_b32 s51, s1, vcc_lo
	s_delay_alu instid0(SALU_CYCLE_1)
	s_and_saveexec_b32 s50, s51
	s_cbranch_execz .LBB9_1130
; %bb.1146:                             ;   in Loop: Header=BB9_1131 Depth=2
	ds_load_b32 v28, v27
	ds_load_b32 v29, v7 offset:20736
	s_wait_dscnt 0x0
	v_fmac_f32_e32 v24, v28, v29
	s_branch .LBB9_1130
.LBB9_1147:                             ;   in Loop: Header=BB9_3 Depth=1
	s_and_b32 vcc_lo, exec_lo, s89
	s_mov_b32 s50, -1
	s_cbranch_vccnz .LBB9_1173
; %bb.1148:                             ;   in Loop: Header=BB9_3 Depth=1
	s_and_not1_b32 vcc_lo, exec_lo, s50
	s_cbranch_vccz .LBB9_1174
.LBB9_1149:                             ;   in Loop: Header=BB9_3 Depth=1
	s_and_saveexec_b32 s50, s84
	s_cbranch_execz .LBB9_1151
.LBB9_1150:                             ;   in Loop: Header=BB9_3 Depth=1
	v_lshl_add_u64 v[26:27], v[12:13], 2, s[82:83]
	global_store_b32 v[26:27], v24, off
.LBB9_1151:                             ;   in Loop: Header=BB9_3 Depth=1
	s_wait_xcnt 0x0
	s_or_b32 exec_lo, exec_lo, s50
	global_wb scope:SCOPE_DEV
	s_wait_storecnt 0x0
	global_inv scope:SCOPE_DEV
	s_wait_loadcnt 0x0
	s_barrier_signal -1
	s_barrier_wait -1
	s_and_saveexec_b32 s50, s55
	s_cbranch_execz .LBB9_2
; %bb.1152:                             ;   in Loop: Header=BB9_3 Depth=1
	s_lshl_b64 s[60:61], s[76:77], 2
	s_delay_alu instid0(SALU_CYCLE_1)
	s_add_nc_u64 s[60:61], s[74:75], s[60:61]
	global_load_b32 v24, v7, s[60:61]
	s_wait_loadcnt 0x0
	v_add_nc_u32_e32 v24, 1, v24
	global_store_b32 v7, v24, s[60:61]
	s_branch .LBB9_2
.LBB9_1153:                             ;   in Loop: Header=BB9_3 Depth=1
	s_mov_b32 s51, exec_lo
	v_readlane_b32 s52, v90, 22
	s_and_b32 s52, s51, s52
	s_delay_alu instid0(SALU_CYCLE_1)
	s_mov_b32 exec_lo, s52
; %bb.1154:                             ;   in Loop: Header=BB9_3 Depth=1
	ds_store_b32 v76, v7
; %bb.1155:                             ;   in Loop: Header=BB9_3 Depth=1
	s_or_b32 exec_lo, exec_lo, s51
	s_and_not1_saveexec_b32 s50, s50
	s_cbranch_execz .LBB9_16
.LBB9_1156:                             ;   in Loop: Header=BB9_3 Depth=1
	v_lshl_add_u64 v[86:87], v[14:15], 2, v[28:29]
	global_load_b32 v24, v[86:87], off
	s_wait_loadcnt 0x0
	v_xor_b32_e32 v24, 0x80000000, v24
	ds_store_b32 v76, v24
	s_or_b32 exec_lo, exec_lo, s50
	s_and_saveexec_b32 s50, s8
	s_delay_alu instid0(SALU_CYCLE_1)
	s_xor_b32 s50, exec_lo, s50
	s_cbranch_execz .LBB9_17
.LBB9_1157:                             ;   in Loop: Header=BB9_3 Depth=1
	s_mov_b32 s51, exec_lo
	v_readlane_b32 s52, v90, 23
	s_and_b32 s52, s51, s52
	s_delay_alu instid0(SALU_CYCLE_1)
	s_mov_b32 exec_lo, s52
; %bb.1158:                             ;   in Loop: Header=BB9_3 Depth=1
	ds_store_b32 v3, v7
; %bb.1159:                             ;   in Loop: Header=BB9_3 Depth=1
	s_or_b32 exec_lo, exec_lo, s51
	s_and_not1_saveexec_b32 s50, s50
	s_cbranch_execz .LBB9_18
.LBB9_1160:                             ;   in Loop: Header=BB9_3 Depth=1
	v_lshl_add_u64 v[86:87], v[16:17], 2, v[28:29]
	global_load_b32 v24, v[86:87], off
	s_wait_loadcnt 0x0
	v_xor_b32_e32 v24, 0x80000000, v24
	ds_store_b32 v3, v24
	s_or_b32 exec_lo, exec_lo, s50
	s_and_saveexec_b32 s50, s9
	s_delay_alu instid0(SALU_CYCLE_1)
	s_xor_b32 s50, exec_lo, s50
	s_cbranch_execz .LBB9_19
.LBB9_1161:                             ;   in Loop: Header=BB9_3 Depth=1
	s_mov_b32 s51, exec_lo
	v_readlane_b32 s52, v90, 24
	s_and_b32 s52, s51, s52
	s_delay_alu instid0(SALU_CYCLE_1)
	s_mov_b32 exec_lo, s52
; %bb.1162:                             ;   in Loop: Header=BB9_3 Depth=1
	ds_store_b32 v77, v7
; %bb.1163:                             ;   in Loop: Header=BB9_3 Depth=1
	s_or_b32 exec_lo, exec_lo, s51
	s_and_not1_saveexec_b32 s50, s50
	s_cbranch_execz .LBB9_20
.LBB9_1164:                             ;   in Loop: Header=BB9_3 Depth=1
	v_lshl_add_u64 v[86:87], v[18:19], 2, v[28:29]
	global_load_b32 v24, v[86:87], off
	s_wait_loadcnt 0x0
	v_xor_b32_e32 v24, 0x80000000, v24
	ds_store_b32 v77, v24
	s_or_b32 exec_lo, exec_lo, s50
	s_and_saveexec_b32 s50, s10
	s_delay_alu instid0(SALU_CYCLE_1)
	s_xor_b32 s50, exec_lo, s50
	s_cbranch_execz .LBB9_21
.LBB9_1165:                             ;   in Loop: Header=BB9_3 Depth=1
	s_mov_b32 s51, exec_lo
	v_readlane_b32 s52, v90, 25
	s_and_b32 s52, s51, s52
	s_delay_alu instid0(SALU_CYCLE_1)
	s_mov_b32 exec_lo, s52
; %bb.1166:                             ;   in Loop: Header=BB9_3 Depth=1
	ds_store_b32 v78, v7
; %bb.1167:                             ;   in Loop: Header=BB9_3 Depth=1
	s_or_b32 exec_lo, exec_lo, s51
	s_and_not1_saveexec_b32 s50, s50
	s_cbranch_execnz .LBB9_22
	s_branch .LBB9_23
.LBB9_1168:                             ;   in Loop: Header=BB9_3 Depth=1
	ds_load_b32 v26, v74
	ds_load_b32 v27, v71
	s_wait_dscnt 0x0
	v_fma_f32 v26, v26, v27, 0
	s_or_b32 exec_lo, exec_lo, s50
	s_and_saveexec_b32 s50, s8
	s_cbranch_execz .LBB9_1123
.LBB9_1169:                             ;   in Loop: Header=BB9_3 Depth=1
	ds_load_b32 v27, v74 offset:4096
	ds_load_b32 v28, v71 offset:64
	s_wait_dscnt 0x0
	v_fmac_f32_e32 v26, v27, v28
	s_or_b32 exec_lo, exec_lo, s50
	s_and_saveexec_b32 s50, s9
	s_cbranch_execz .LBB9_1124
.LBB9_1170:                             ;   in Loop: Header=BB9_3 Depth=1
	ds_load_b32 v27, v74 offset:8192
	ds_load_b32 v28, v71 offset:128
	s_wait_dscnt 0x0
	v_fmac_f32_e32 v26, v27, v28
	s_or_b32 exec_lo, exec_lo, s50
	s_and_saveexec_b32 s50, s10
	s_cbranch_execnz .LBB9_1125
	s_branch .LBB9_1126
.LBB9_1171:                             ;   in Loop: Header=BB9_3 Depth=1
	s_or_b32 exec_lo, exec_lo, s85
	s_delay_alu instid0(SALU_CYCLE_1)
	s_and_b32 vcc_lo, exec_lo, s61
	s_cbranch_vccnz .LBB9_1129
.LBB9_1172:                             ;   in Loop: Header=BB9_3 Depth=1
	v_mov_b32_e32 v24, v27
	s_and_saveexec_b32 s50, s84
	s_cbranch_execnz .LBB9_1150
	s_branch .LBB9_1151
.LBB9_1173:                             ;   in Loop: Header=BB9_3 Depth=1
	s_and_not1_b32 s51, s84, exec_lo
	s_and_b32 s52, s1, exec_lo
	s_delay_alu instid0(SALU_CYCLE_1)
	s_or_b32 s84, s51, s52
	s_cbranch_execnz .LBB9_1149
.LBB9_1174:                             ;   in Loop: Header=BB9_3 Depth=1
	v_readlane_b32 s51, v91, 11
	s_and_not1_b32 s50, s84, exec_lo
	s_and_b32 s51, s51, exec_lo
	s_delay_alu instid0(SALU_CYCLE_1) | instskip(NEXT) | instid1(SALU_CYCLE_1)
	s_or_b32 s84, s50, s51
	s_and_saveexec_b32 s50, s84
	s_cbranch_execnz .LBB9_1150
	s_branch .LBB9_1151
.LBB9_1175:                             ;   in Loop: Header=BB9_3 Depth=1
	ds_load_b32 v28, v49 offset:272
	ds_load_b32 v29, v41 offset:4
	s_wait_dscnt 0x0
	v_fmac_f32_e32 v24, v28, v29
	s_or_b32 exec_lo, exec_lo, s50
	s_and_saveexec_b32 s50, s14
	s_cbranch_execz .LBB9_72
.LBB9_1176:                             ;   in Loop: Header=BB9_3 Depth=1
	ds_load_b32 v28, v48 offset:528
	ds_load_b32 v29, v41 offset:8
	s_wait_dscnt 0x0
	v_fmac_f32_e32 v24, v28, v29
	s_or_b32 exec_lo, exec_lo, s50
	s_and_saveexec_b32 s50, s0
	s_cbranch_execnz .LBB9_73
	s_branch .LBB9_74
.LBB9_1177:                             ;   in Loop: Header=BB9_3 Depth=1
	ds_load_b32 v28, v57 offset:288
	ds_load_b32 v29, v51 offset:4
	s_wait_dscnt 0x0
	v_fmac_f32_e32 v24, v28, v29
	s_or_b32 exec_lo, exec_lo, s50
	s_and_saveexec_b32 s50, s16
	s_cbranch_execz .LBB9_114
.LBB9_1178:                             ;   in Loop: Header=BB9_3 Depth=1
	ds_load_b32 v28, v57 offset:544
	ds_load_b32 v29, v51 offset:8
	s_wait_dscnt 0x0
	v_fmac_f32_e32 v24, v28, v29
	s_or_b32 exec_lo, exec_lo, s50
	s_and_saveexec_b32 s50, s17
	s_cbranch_execz .LBB9_115
.LBB9_1179:                             ;   in Loop: Header=BB9_3 Depth=1
	ds_load_b32 v28, v57 offset:800
	ds_load_b32 v29, v51 offset:12
	s_wait_dscnt 0x0
	v_fmac_f32_e32 v24, v28, v29
	s_or_b32 exec_lo, exec_lo, s50
	s_and_saveexec_b32 s50, s18
	s_cbranch_execz .LBB9_116
.LBB9_1180:                             ;   in Loop: Header=BB9_3 Depth=1
	ds_load_b32 v28, v55 offset:1056
	ds_load_b32 v29, v51 offset:16
	s_wait_dscnt 0x0
	v_fmac_f32_e32 v24, v28, v29
	s_or_b32 exec_lo, exec_lo, s50
	s_and_saveexec_b32 s50, s19
	s_cbranch_execz .LBB9_117
.LBB9_1181:                             ;   in Loop: Header=BB9_3 Depth=1
	ds_load_b32 v28, v57 offset:1312
	ds_load_b32 v29, v51 offset:20
	s_wait_dscnt 0x0
	v_fmac_f32_e32 v24, v28, v29
	s_or_b32 exec_lo, exec_lo, s50
	s_and_saveexec_b32 s50, s2
	s_cbranch_execz .LBB9_118
.LBB9_1182:                             ;   in Loop: Header=BB9_3 Depth=1
	ds_load_b32 v28, v55 offset:1568
	ds_load_b32 v29, v51 offset:24
	s_wait_dscnt 0x0
	v_fmac_f32_e32 v24, v28, v29
	s_or_b32 exec_lo, exec_lo, s50
	s_and_saveexec_b32 s50, s14
	s_cbranch_execnz .LBB9_119
	s_branch .LBB9_120
.LBB9_1183:                             ;   in Loop: Header=BB9_3 Depth=1
	ds_load_b32 v28, v49 offset:2352
	ds_load_b32 v29, v41 offset:2084
	s_wait_dscnt 0x0
	v_fmac_f32_e32 v24, v28, v29
	s_or_b32 exec_lo, exec_lo, s50
	s_and_saveexec_b32 s50, s14
	s_cbranch_execz .LBB9_176
.LBB9_1184:                             ;   in Loop: Header=BB9_3 Depth=1
	ds_load_b32 v28, v48 offset:2608
	ds_load_b32 v29, v41 offset:2088
	s_wait_dscnt 0x0
	v_fmac_f32_e32 v24, v28, v29
	s_or_b32 exec_lo, exec_lo, s50
	s_and_saveexec_b32 s50, s0
	s_cbranch_execnz .LBB9_177
	s_branch .LBB9_178
.LBB9_1185:                             ;   in Loop: Header=BB9_3 Depth=1
	ds_load_b32 v28, v66 offset:2880
	ds_load_b32 v29, v58 offset:44
	s_wait_dscnt 0x0
	v_fmac_f32_e32 v24, v28, v29
	s_or_b32 exec_lo, exec_lo, s50
	s_and_saveexec_b32 s50, s3
	s_cbranch_execz .LBB9_238
.LBB9_1186:                             ;   in Loop: Header=BB9_3 Depth=1
	ds_load_b32 v28, v65 offset:3136
	ds_load_b32 v29, v58 offset:48
	s_wait_dscnt 0x0
	v_fmac_f32_e32 v24, v28, v29
	s_or_b32 exec_lo, exec_lo, s50
	s_and_saveexec_b32 s50, s16
	s_cbranch_execz .LBB9_239
.LBB9_1187:                             ;   in Loop: Header=BB9_3 Depth=1
	ds_load_b32 v28, v66 offset:3392
	ds_load_b32 v29, v58 offset:52
	s_wait_dscnt 0x0
	v_fmac_f32_e32 v24, v28, v29
	s_or_b32 exec_lo, exec_lo, s50
	s_and_saveexec_b32 s50, s18
	s_cbranch_execz .LBB9_240
.LBB9_1188:                             ;   in Loop: Header=BB9_3 Depth=1
	ds_load_b32 v28, v65 offset:3648
	ds_load_b32 v29, v58 offset:56
	s_wait_dscnt 0x0
	v_fmac_f32_e32 v24, v28, v29
	s_or_b32 exec_lo, exec_lo, s50
	s_and_saveexec_b32 s50, s2
	s_cbranch_execnz .LBB9_241
	s_branch .LBB9_242
.LBB9_1189:                             ;   in Loop: Header=BB9_3 Depth=1
	ds_load_b32 v28, v49 offset:4432
	ds_load_b32 v29, v41 offset:4164
	s_wait_dscnt 0x0
	v_fmac_f32_e32 v24, v28, v29
	s_or_b32 exec_lo, exec_lo, s50
	s_and_saveexec_b32 s50, s14
	s_cbranch_execz .LBB9_330
.LBB9_1190:                             ;   in Loop: Header=BB9_3 Depth=1
	ds_load_b32 v28, v48 offset:4688
	ds_load_b32 v29, v41 offset:4168
	s_wait_dscnt 0x0
	v_fmac_f32_e32 v24, v28, v29
	s_or_b32 exec_lo, exec_lo, s50
	s_and_saveexec_b32 s50, s0
	s_cbranch_execnz .LBB9_331
	s_branch .LBB9_332
.LBB9_1191:                             ;   in Loop: Header=BB9_3 Depth=1
	ds_load_b32 v28, v57 offset:4448
	ds_load_b32 v29, v51 offset:4164
	s_wait_dscnt 0x0
	v_fmac_f32_e32 v24, v28, v29
	s_or_b32 exec_lo, exec_lo, s50
	s_and_saveexec_b32 s50, s16
	s_cbranch_execz .LBB9_372
.LBB9_1192:                             ;   in Loop: Header=BB9_3 Depth=1
	ds_load_b32 v28, v57 offset:4704
	ds_load_b32 v29, v51 offset:4168
	s_wait_dscnt 0x0
	v_fmac_f32_e32 v24, v28, v29
	s_or_b32 exec_lo, exec_lo, s50
	s_and_saveexec_b32 s50, s17
	s_cbranch_execz .LBB9_373
.LBB9_1193:                             ;   in Loop: Header=BB9_3 Depth=1
	ds_load_b32 v28, v57 offset:4960
	ds_load_b32 v29, v51 offset:4172
	s_wait_dscnt 0x0
	v_fmac_f32_e32 v24, v28, v29
	s_or_b32 exec_lo, exec_lo, s50
	s_and_saveexec_b32 s50, s18
	s_cbranch_execz .LBB9_374
.LBB9_1194:                             ;   in Loop: Header=BB9_3 Depth=1
	ds_load_b32 v28, v55 offset:5216
	ds_load_b32 v29, v51 offset:4176
	s_wait_dscnt 0x0
	v_fmac_f32_e32 v24, v28, v29
	s_or_b32 exec_lo, exec_lo, s50
	s_and_saveexec_b32 s50, s19
	s_cbranch_execz .LBB9_375
.LBB9_1195:                             ;   in Loop: Header=BB9_3 Depth=1
	ds_load_b32 v28, v57 offset:5472
	ds_load_b32 v29, v51 offset:4180
	s_wait_dscnt 0x0
	v_fmac_f32_e32 v24, v28, v29
	s_or_b32 exec_lo, exec_lo, s50
	s_and_saveexec_b32 s50, s2
	s_cbranch_execz .LBB9_376
.LBB9_1196:                             ;   in Loop: Header=BB9_3 Depth=1
	ds_load_b32 v28, v55 offset:5728
	ds_load_b32 v29, v51 offset:4184
	s_wait_dscnt 0x0
	v_fmac_f32_e32 v24, v28, v29
	s_or_b32 exec_lo, exec_lo, s50
	s_and_saveexec_b32 s50, s14
	s_cbranch_execnz .LBB9_377
	s_branch .LBB9_378
.LBB9_1197:                             ;   in Loop: Header=BB9_3 Depth=1
	ds_load_b32 v28, v49 offset:6512
	ds_load_b32 v29, v41 offset:6244
	s_wait_dscnt 0x0
	v_fmac_f32_e32 v24, v28, v29
	s_or_b32 exec_lo, exec_lo, s50
	s_and_saveexec_b32 s50, s14
	s_cbranch_execz .LBB9_434
.LBB9_1198:                             ;   in Loop: Header=BB9_3 Depth=1
	ds_load_b32 v28, v48 offset:6768
	ds_load_b32 v29, v41 offset:6248
	s_wait_dscnt 0x0
	v_fmac_f32_e32 v24, v28, v29
	s_or_b32 exec_lo, exec_lo, s50
	s_and_saveexec_b32 s50, s0
	s_cbranch_execnz .LBB9_435
	s_branch .LBB9_436
.LBB9_1199:                             ;   in Loop: Header=BB9_3 Depth=1
	ds_load_b32 v29, v68 offset:7552
	ds_load_b32 v31, v28 offset:116
	s_wait_dscnt 0x0
	v_fmac_f32_e32 v24, v29, v31
	s_or_b32 exec_lo, exec_lo, s50
	s_and_saveexec_b32 s50, s3
	s_cbranch_execz .LBB9_532
.LBB9_1200:                             ;   in Loop: Header=BB9_3 Depth=1
	ds_load_b32 v29, v68 offset:7808
	ds_load_b32 v28, v28 offset:120
	s_wait_dscnt 0x0
	v_fmac_f32_e32 v24, v29, v28
	s_or_b32 exec_lo, exec_lo, s50
	s_and_saveexec_b32 s50, s18
	s_cbranch_execnz .LBB9_533
	s_branch .LBB9_534
.LBB9_1201:                             ;   in Loop: Header=BB9_3 Depth=1
	ds_load_b32 v28, v49 offset:8592
	ds_load_b32 v29, v41 offset:8324
	s_wait_dscnt 0x0
	v_fmac_f32_e32 v24, v28, v29
	s_or_b32 exec_lo, exec_lo, s50
	s_and_saveexec_b32 s50, s14
	s_cbranch_execz .LBB9_686
.LBB9_1202:                             ;   in Loop: Header=BB9_3 Depth=1
	ds_load_b32 v28, v48 offset:8848
	ds_load_b32 v29, v41 offset:8328
	s_wait_dscnt 0x0
	v_fmac_f32_e32 v24, v28, v29
	s_or_b32 exec_lo, exec_lo, s50
	s_and_saveexec_b32 s50, s0
	s_cbranch_execnz .LBB9_687
	s_branch .LBB9_688
.LBB9_1203:                             ;   in Loop: Header=BB9_3 Depth=1
	ds_load_b32 v28, v57 offset:8608
	ds_load_b32 v29, v51 offset:8324
	s_wait_dscnt 0x0
	v_fmac_f32_e32 v24, v28, v29
	s_or_b32 exec_lo, exec_lo, s50
	s_and_saveexec_b32 s50, s16
	s_cbranch_execz .LBB9_728
.LBB9_1204:                             ;   in Loop: Header=BB9_3 Depth=1
	ds_load_b32 v28, v57 offset:8864
	ds_load_b32 v29, v51 offset:8328
	s_wait_dscnt 0x0
	v_fmac_f32_e32 v24, v28, v29
	s_or_b32 exec_lo, exec_lo, s50
	s_and_saveexec_b32 s50, s17
	s_cbranch_execz .LBB9_729
.LBB9_1205:                             ;   in Loop: Header=BB9_3 Depth=1
	ds_load_b32 v28, v57 offset:9120
	ds_load_b32 v29, v51 offset:8332
	s_wait_dscnt 0x0
	v_fmac_f32_e32 v24, v28, v29
	s_or_b32 exec_lo, exec_lo, s50
	s_and_saveexec_b32 s50, s18
	s_cbranch_execz .LBB9_730
.LBB9_1206:                             ;   in Loop: Header=BB9_3 Depth=1
	ds_load_b32 v28, v55 offset:9376
	ds_load_b32 v29, v51 offset:8336
	s_wait_dscnt 0x0
	v_fmac_f32_e32 v24, v28, v29
	s_or_b32 exec_lo, exec_lo, s50
	s_and_saveexec_b32 s50, s19
	s_cbranch_execz .LBB9_731
.LBB9_1207:                             ;   in Loop: Header=BB9_3 Depth=1
	ds_load_b32 v28, v57 offset:9632
	ds_load_b32 v29, v51 offset:8340
	s_wait_dscnt 0x0
	v_fmac_f32_e32 v24, v28, v29
	s_or_b32 exec_lo, exec_lo, s50
	s_and_saveexec_b32 s50, s2
	s_cbranch_execz .LBB9_732
.LBB9_1208:                             ;   in Loop: Header=BB9_3 Depth=1
	ds_load_b32 v28, v55 offset:9888
	ds_load_b32 v29, v51 offset:8344
	s_wait_dscnt 0x0
	v_fmac_f32_e32 v24, v28, v29
	s_or_b32 exec_lo, exec_lo, s50
	s_and_saveexec_b32 s50, s14
	s_cbranch_execnz .LBB9_733
	s_branch .LBB9_734
.LBB9_1209:                             ;   in Loop: Header=BB9_3 Depth=1
	ds_load_b32 v28, v49 offset:10672
	ds_load_b32 v29, v41 offset:10404
	s_wait_dscnt 0x0
	v_fmac_f32_e32 v24, v28, v29
	s_or_b32 exec_lo, exec_lo, s50
	s_and_saveexec_b32 s50, s14
	s_cbranch_execz .LBB9_790
.LBB9_1210:                             ;   in Loop: Header=BB9_3 Depth=1
	ds_load_b32 v28, v48 offset:10928
	ds_load_b32 v29, v41 offset:10408
	s_wait_dscnt 0x0
	v_fmac_f32_e32 v24, v28, v29
	s_or_b32 exec_lo, exec_lo, s50
	s_and_saveexec_b32 s50, s0
	s_cbranch_execnz .LBB9_791
	s_branch .LBB9_792
.LBB9_1211:                             ;   in Loop: Header=BB9_3 Depth=1
	ds_load_b32 v28, v66 offset:11200
	ds_load_b32 v29, v58 offset:8364
	s_wait_dscnt 0x0
	v_fmac_f32_e32 v24, v28, v29
	s_or_b32 exec_lo, exec_lo, s50
	s_and_saveexec_b32 s50, s3
	s_cbranch_execz .LBB9_852
.LBB9_1212:                             ;   in Loop: Header=BB9_3 Depth=1
	ds_load_b32 v28, v65 offset:11456
	ds_load_b32 v29, v58 offset:8368
	s_wait_dscnt 0x0
	v_fmac_f32_e32 v24, v28, v29
	s_or_b32 exec_lo, exec_lo, s50
	s_and_saveexec_b32 s50, s16
	s_cbranch_execz .LBB9_853
.LBB9_1213:                             ;   in Loop: Header=BB9_3 Depth=1
	ds_load_b32 v28, v66 offset:11712
	ds_load_b32 v29, v58 offset:8372
	s_wait_dscnt 0x0
	v_fmac_f32_e32 v24, v28, v29
	s_or_b32 exec_lo, exec_lo, s50
	s_and_saveexec_b32 s50, s18
	s_cbranch_execz .LBB9_854
.LBB9_1214:                             ;   in Loop: Header=BB9_3 Depth=1
	ds_load_b32 v28, v65 offset:11968
	ds_load_b32 v29, v58 offset:8376
	s_wait_dscnt 0x0
	v_fmac_f32_e32 v24, v28, v29
	s_or_b32 exec_lo, exec_lo, s50
	s_and_saveexec_b32 s50, s2
	s_cbranch_execnz .LBB9_855
	s_branch .LBB9_856
.LBB9_1215:                             ;   in Loop: Header=BB9_3 Depth=1
	ds_load_b32 v28, v49 offset:12752
	ds_load_b32 v29, v41 offset:12484
	s_wait_dscnt 0x0
	v_fmac_f32_e32 v24, v28, v29
	s_or_b32 exec_lo, exec_lo, s50
	s_and_saveexec_b32 s50, s14
	s_cbranch_execz .LBB9_944
.LBB9_1216:                             ;   in Loop: Header=BB9_3 Depth=1
	ds_load_b32 v28, v48 offset:13008
	ds_load_b32 v29, v41 offset:12488
	s_wait_dscnt 0x0
	v_fmac_f32_e32 v24, v28, v29
	s_or_b32 exec_lo, exec_lo, s50
	s_and_saveexec_b32 s50, s0
	s_cbranch_execnz .LBB9_945
	s_branch .LBB9_946
.LBB9_1217:                             ;   in Loop: Header=BB9_3 Depth=1
	ds_load_b32 v28, v57 offset:12768
	ds_load_b32 v29, v51 offset:12484
	s_wait_dscnt 0x0
	v_fmac_f32_e32 v24, v28, v29
	s_or_b32 exec_lo, exec_lo, s50
	s_and_saveexec_b32 s50, s16
	s_cbranch_execz .LBB9_986
.LBB9_1218:                             ;   in Loop: Header=BB9_3 Depth=1
	ds_load_b32 v28, v57 offset:13024
	ds_load_b32 v29, v51 offset:12488
	s_wait_dscnt 0x0
	v_fmac_f32_e32 v24, v28, v29
	s_or_b32 exec_lo, exec_lo, s50
	s_and_saveexec_b32 s50, s17
	s_cbranch_execz .LBB9_987
.LBB9_1219:                             ;   in Loop: Header=BB9_3 Depth=1
	ds_load_b32 v28, v57 offset:13280
	ds_load_b32 v29, v51 offset:12492
	s_wait_dscnt 0x0
	v_fmac_f32_e32 v24, v28, v29
	s_or_b32 exec_lo, exec_lo, s50
	s_and_saveexec_b32 s50, s18
	s_cbranch_execz .LBB9_988
.LBB9_1220:                             ;   in Loop: Header=BB9_3 Depth=1
	ds_load_b32 v28, v55 offset:13536
	ds_load_b32 v29, v51 offset:12496
	s_wait_dscnt 0x0
	v_fmac_f32_e32 v24, v28, v29
	s_or_b32 exec_lo, exec_lo, s50
	s_and_saveexec_b32 s50, s19
	s_cbranch_execz .LBB9_989
.LBB9_1221:                             ;   in Loop: Header=BB9_3 Depth=1
	ds_load_b32 v28, v57 offset:13792
	ds_load_b32 v29, v51 offset:12500
	s_wait_dscnt 0x0
	v_fmac_f32_e32 v24, v28, v29
	s_or_b32 exec_lo, exec_lo, s50
	s_and_saveexec_b32 s50, s2
	s_cbranch_execz .LBB9_990
.LBB9_1222:                             ;   in Loop: Header=BB9_3 Depth=1
	ds_load_b32 v28, v55 offset:14048
	ds_load_b32 v29, v51 offset:12504
	s_wait_dscnt 0x0
	v_fmac_f32_e32 v24, v28, v29
	s_or_b32 exec_lo, exec_lo, s50
	s_and_saveexec_b32 s50, s14
	s_cbranch_execnz .LBB9_991
	s_branch .LBB9_992
.LBB9_1223:                             ;   in Loop: Header=BB9_3 Depth=1
	ds_load_b32 v28, v49 offset:14832
	ds_load_b32 v29, v41 offset:14564
	s_wait_dscnt 0x0
	v_fmac_f32_e32 v24, v28, v29
	s_or_b32 exec_lo, exec_lo, s50
	s_and_saveexec_b32 s50, s14
	s_cbranch_execz .LBB9_1048
.LBB9_1224:                             ;   in Loop: Header=BB9_3 Depth=1
	ds_load_b32 v28, v48 offset:15088
	ds_load_b32 v29, v41 offset:14568
	s_wait_dscnt 0x0
	v_fmac_f32_e32 v24, v28, v29
	s_or_b32 exec_lo, exec_lo, s50
	s_and_saveexec_b32 s50, s0
	s_cbranch_execnz .LBB9_1049
	s_branch .LBB9_1050
.LBB9_1225:
	s_endpgm
	.section	.rodata,"a",@progbits
	.p2align	6, 0x0
	.amdhsa_kernel _ZL19rocblas_trsv_deviceILi64ELi16ELb1ELb1ELb1ELb1EfPKfS1_PfEviT7_lllT6_T8_lllPii
		.amdhsa_group_segment_fixed_size 20740
		.amdhsa_private_segment_fixed_size 0
		.amdhsa_kernarg_size 352
		.amdhsa_user_sgpr_count 2
		.amdhsa_user_sgpr_dispatch_ptr 0
		.amdhsa_user_sgpr_queue_ptr 0
		.amdhsa_user_sgpr_kernarg_segment_ptr 1
		.amdhsa_user_sgpr_dispatch_id 0
		.amdhsa_user_sgpr_kernarg_preload_length 0
		.amdhsa_user_sgpr_kernarg_preload_offset 0
		.amdhsa_user_sgpr_private_segment_size 0
		.amdhsa_wavefront_size32 1
		.amdhsa_uses_dynamic_stack 0
		.amdhsa_enable_private_segment 0
		.amdhsa_system_sgpr_workgroup_id_x 1
		.amdhsa_system_sgpr_workgroup_id_y 0
		.amdhsa_system_sgpr_workgroup_id_z 1
		.amdhsa_system_sgpr_workgroup_info 0
		.amdhsa_system_vgpr_workitem_id 1
		.amdhsa_next_free_vgpr 94
		.amdhsa_next_free_sgpr 105
		.amdhsa_named_barrier_count 0
		.amdhsa_reserve_vcc 1
		.amdhsa_float_round_mode_32 0
		.amdhsa_float_round_mode_16_64 0
		.amdhsa_float_denorm_mode_32 3
		.amdhsa_float_denorm_mode_16_64 3
		.amdhsa_fp16_overflow 0
		.amdhsa_memory_ordered 1
		.amdhsa_forward_progress 1
		.amdhsa_inst_pref_size 255
		.amdhsa_round_robin_scheduling 0
		.amdhsa_exception_fp_ieee_invalid_op 0
		.amdhsa_exception_fp_denorm_src 0
		.amdhsa_exception_fp_ieee_div_zero 0
		.amdhsa_exception_fp_ieee_overflow 0
		.amdhsa_exception_fp_ieee_underflow 0
		.amdhsa_exception_fp_ieee_inexact 0
		.amdhsa_exception_int_div_zero 0
	.end_amdhsa_kernel
	.section	.text._ZL19rocblas_trsv_deviceILi64ELi16ELb1ELb1ELb1ELb1EfPKfS1_PfEviT7_lllT6_T8_lllPii,"axG",@progbits,_ZL19rocblas_trsv_deviceILi64ELi16ELb1ELb1ELb1ELb1EfPKfS1_PfEviT7_lllT6_T8_lllPii,comdat
.Lfunc_end9:
	.size	_ZL19rocblas_trsv_deviceILi64ELi16ELb1ELb1ELb1ELb1EfPKfS1_PfEviT7_lllT6_T8_lllPii, .Lfunc_end9-_ZL19rocblas_trsv_deviceILi64ELi16ELb1ELb1ELb1ELb1EfPKfS1_PfEviT7_lllT6_T8_lllPii
                                        ; -- End function
	.set _ZL19rocblas_trsv_deviceILi64ELi16ELb1ELb1ELb1ELb1EfPKfS1_PfEviT7_lllT6_T8_lllPii.num_vgpr, 94
	.set _ZL19rocblas_trsv_deviceILi64ELi16ELb1ELb1ELb1ELb1EfPKfS1_PfEviT7_lllT6_T8_lllPii.num_agpr, 0
	.set _ZL19rocblas_trsv_deviceILi64ELi16ELb1ELb1ELb1ELb1EfPKfS1_PfEviT7_lllT6_T8_lllPii.numbered_sgpr, 105
	.set _ZL19rocblas_trsv_deviceILi64ELi16ELb1ELb1ELb1ELb1EfPKfS1_PfEviT7_lllT6_T8_lllPii.num_named_barrier, 0
	.set _ZL19rocblas_trsv_deviceILi64ELi16ELb1ELb1ELb1ELb1EfPKfS1_PfEviT7_lllT6_T8_lllPii.private_seg_size, 0
	.set _ZL19rocblas_trsv_deviceILi64ELi16ELb1ELb1ELb1ELb1EfPKfS1_PfEviT7_lllT6_T8_lllPii.uses_vcc, 1
	.set _ZL19rocblas_trsv_deviceILi64ELi16ELb1ELb1ELb1ELb1EfPKfS1_PfEviT7_lllT6_T8_lllPii.uses_flat_scratch, 0
	.set _ZL19rocblas_trsv_deviceILi64ELi16ELb1ELb1ELb1ELb1EfPKfS1_PfEviT7_lllT6_T8_lllPii.has_dyn_sized_stack, 0
	.set _ZL19rocblas_trsv_deviceILi64ELi16ELb1ELb1ELb1ELb1EfPKfS1_PfEviT7_lllT6_T8_lllPii.has_recursion, 0
	.set _ZL19rocblas_trsv_deviceILi64ELi16ELb1ELb1ELb1ELb1EfPKfS1_PfEviT7_lllT6_T8_lllPii.has_indirect_call, 0
	.section	.AMDGPU.csdata,"",@progbits
; Kernel info:
; codeLenInByte = 34668
; TotalNumSgprs: 107
; NumVgprs: 94
; ScratchSize: 0
; MemoryBound: 0
; FloatMode: 240
; IeeeMode: 1
; LDSByteSize: 20740 bytes/workgroup (compile time only)
; SGPRBlocks: 0
; VGPRBlocks: 5
; NumSGPRsForWavesPerEU: 107
; NumVGPRsForWavesPerEU: 94
; NamedBarCnt: 0
; Occupancy: 10
; WaveLimiterHint : 0
; COMPUTE_PGM_RSRC2:SCRATCH_EN: 0
; COMPUTE_PGM_RSRC2:USER_SGPR: 2
; COMPUTE_PGM_RSRC2:TRAP_HANDLER: 0
; COMPUTE_PGM_RSRC2:TGID_X_EN: 1
; COMPUTE_PGM_RSRC2:TGID_Y_EN: 0
; COMPUTE_PGM_RSRC2:TGID_Z_EN: 1
; COMPUTE_PGM_RSRC2:TIDIG_COMP_CNT: 1
	.section	.text._ZL19rocblas_trsv_deviceILi64ELi16ELb1ELb0ELb0ELb0EfPKfS1_PfEviT7_lllT6_T8_lllPii,"axG",@progbits,_ZL19rocblas_trsv_deviceILi64ELi16ELb1ELb0ELb0ELb0EfPKfS1_PfEviT7_lllT6_T8_lllPii,comdat
	.globl	_ZL19rocblas_trsv_deviceILi64ELi16ELb1ELb0ELb0ELb0EfPKfS1_PfEviT7_lllT6_T8_lllPii ; -- Begin function _ZL19rocblas_trsv_deviceILi64ELi16ELb1ELb0ELb0ELb0EfPKfS1_PfEviT7_lllT6_T8_lllPii
	.p2align	8
	.type	_ZL19rocblas_trsv_deviceILi64ELi16ELb1ELb0ELb0ELb0EfPKfS1_PfEviT7_lllT6_T8_lllPii,@function
_ZL19rocblas_trsv_deviceILi64ELi16ELb1ELb0ELb0ELb0EfPKfS1_PfEviT7_lllT6_T8_lllPii: ; @_ZL19rocblas_trsv_deviceILi64ELi16ELb1ELb0ELb0ELb0EfPKfS1_PfEviT7_lllT6_T8_lllPii
; %bb.0:
	s_load_b32 s6, s[0:1], 0x58
	s_bfe_u32 s2, ttmp6, 0x40014
	s_lshr_b32 s3, ttmp7, 16
	s_add_co_i32 s2, s2, 1
	s_bfe_u32 s5, ttmp6, 0x40008
	s_mul_i32 s4, s3, s2
	s_getreg_b32 s2, hwreg(HW_REG_IB_STS2, 6, 4)
	s_add_co_i32 s5, s5, s4
	s_cmp_eq_u32 s2, 0
	s_mov_b32 s89, 0
	s_cselect_b32 s88, s3, s5
                                        ; implicit-def: $vgpr76 : SGPR spill to VGPR lane
	s_wait_kmcnt 0x0
	s_cmp_ge_u32 s88, s6
	v_writelane_b32 v76, s6, 0
	s_cbranch_scc1 .LBB10_1195
; %bb.1:
	s_clause 0x2
	s_load_b512 s[68:83], s[0:1], 0x8
	s_load_b32 s3, s[0:1], 0x6c
	s_load_b32 s101, s[0:1], 0x0
	s_bfe_u32 s5, ttmp6, 0x4000c
	s_and_b32 s4, ttmp6, 15
	s_add_co_i32 s5, s5, 1
	v_bfe_u32 v28, v0, 10, 10
	s_mul_i32 s5, ttmp9, s5
	v_mov_b32_e32 v1, 0
	s_add_co_i32 s8, s4, s5
	v_and_b32_e32 v2, 0x3ff, v0
	v_dual_lshlrev_b32 v10, 6, v28 :: v_dual_add_nc_u32 v27, 32, v28
	s_delay_alu instid0(VALU_DEP_3) | instskip(SKIP_2) | instid1(VALU_DEP_3)
	v_dual_mov_b32 v5, v1 :: v_dual_add_nc_u32 v26, 48, v28
	v_mov_b32_e32 v3, v1
                                        ; implicit-def: $vgpr75 : SGPR spill to VGPR lane
                                        ; implicit-def: $vgpr74 : SGPR spill to VGPR lane
                                        ; implicit-def: $vgpr73 : SGPR spill to VGPR lane
	s_load_b128 s[84:87], s[0:1], 0x48
                                        ; implicit-def: $vgpr72 : SGPR spill to VGPR lane
                                        ; implicit-def: $vgpr63
                                        ; implicit-def: $vgpr62
                                        ; implicit-def: $vgpr64
                                        ; implicit-def: $vgpr65
	v_or_b32_e32 v67, v27, v2
	s_delay_alu instid0(VALU_DEP_3)
	v_dual_add_nc_u32 v66, 16, v28 :: v_dual_bitop2_b32 v68, v26, v2 bitop3:0x54
	s_wait_kmcnt 0x0
	s_lshl_b64 s[4:5], s[70:71], 2
	s_lshl_b64 s[6:7], s[80:81], 2
	s_cmp_eq_u32 s2, 0
	s_add_nc_u64 s[4:5], s[68:69], s[4:5]
	s_cselect_b32 s71, ttmp9, s8
	s_add_co_i32 s2, s101, -1
	s_and_b32 s8, s3, 0xffff
	s_ashr_i32 s3, s101, 31
	s_ashr_i32 s9, s2, 31
	s_lshr_b32 s3, s3, 26
	s_lshr_b32 s9, s9, 26
	s_add_co_i32 s3, s101, s3
	s_add_co_i32 s2, s2, s9
	s_and_not1_b32 s3, s3, 63
	s_ashr_i32 s2, s2, 6
	s_sub_co_i32 s17, s101, s3
	v_writelane_b32 v76, s4, 1
	s_cmp_eq_u32 s2, s71
	s_add_nc_u64 s[2:3], s[72:73], 1
	s_cselect_b32 s9, -1, 0
	s_cmp_lg_u32 s17, 0
	v_writelane_b32 v76, s5, 2
	s_cselect_b32 s4, -1, 0
	s_lshl_b32 s12, s71, 6
	s_delay_alu instid0(SALU_CYCLE_1) | instskip(SKIP_2) | instid1(VALU_DEP_3)
	v_dual_add_nc_u32 v6, s12, v2 :: v_dual_bitop2_b32 v12, v10, v2 bitop3:0x14
	v_dual_add_nc_u32 v18, s12, v28 :: v_dual_bitop2_b32 v11, v10, v2 bitop3:0x40
	v_mad_nc_u64_u32 v[22:23], s2, s12, v[2:3]
	v_lshrrev_b16 v12, 1, v12
	v_lshrrev_b32_e32 v3, 10, v0
	v_sub_co_u32 v29, s5, s71, 1
	s_and_b32 s11, s4, s9
	v_add_nc_u16 v12, v11, v12
	v_dual_add_nc_u32 v25, v10, v2 :: v_dual_bitop2_b32 v11, 1, v0 bitop3:0x40
	s_ashr_i32 s13, s12, 31
	s_xor_b32 s5, s5, -1
	s_delay_alu instid0(VALU_DEP_2) | instskip(NEXT) | instid1(VALU_DEP_2)
	v_and_b32_e32 v10, 0xffff, v12
	v_lshlrev_b32_e32 v12, 2, v11
	s_xor_b32 s103, s11, -1
	v_bitop3_b32 v24, v0, v3, 0x3ff bitop3:0xa8
	s_mul_i32 s3, s3, s12
	v_lshl_add_u32 v3, v10, 2, 0x4000
	v_lshl_or_b32 v30, v10, 8, v12
	v_mul_u32_u24_e32 v31, 0x104, v10
	v_lshrrev_b32_e32 v10, 2, v25
	s_mul_i32 s2, s2, s13
	s_cmp_gt_i32 s71, 4
	s_add_nc_u64 s[6:7], s[78:79], s[6:7]
	v_add3_u32 v23, s2, s3, v23
	s_cselect_b32 s2, -1, 0
	v_cmp_eq_u32_e32 vcc_lo, 1, v11
	v_writelane_b32 v76, s6, 3
	s_and_b32 s104, s2, s103
	v_cmp_gt_u32_e64 s2, 4, v25
	v_and_b32_e32 v11, 3, v0
	v_and_b32_e32 v12, 0x1fffc, v25
	v_mul_u32_u24_e32 v33, 0x104, v10
	s_xor_b32 s3, vcc_lo, -1
	v_writelane_b32 v76, s7, 4
	v_dual_lshlrev_b32 v32, 2, v2 :: v_dual_lshlrev_b32 v34, 2, v11
	s_and_b32 vcc_hi, s3, s2
	s_and_b32 s38, vcc_lo, s2
	v_cmp_gt_u32_e64 s3, 16, v25
	v_add_nc_u32_e32 v35, 0x4000, v12
	v_sub_nc_u32_e32 v12, v33, v12
	v_cmp_eq_u32_e32 vcc_lo, 0, v11
	v_cmp_ne_u32_e64 s4, 0, v11
	v_writelane_b32 v76, s5, 5
	v_lshl_or_b32 v36, v10, 8, v34
	v_cmp_eq_u32_e64 s5, 1, v11
	v_cmp_lt_u32_e64 s6, 1, v11
	s_and_b32 s39, vcc_lo, s3
	s_and_b32 s40, s4, s3
	v_dual_lshrrev_b32 v10, 3, v25 :: v_dual_add_nc_u32 v37, v12, v34
	v_cmp_eq_u32_e32 vcc_lo, 2, v11
	v_cmp_eq_u32_e64 s4, 3, v11
	v_and_b32_e32 v11, 7, v0
	s_and_b32 s41, s5, s3
	s_and_b32 s42, s6, s3
	s_and_b32 s43, vcc_lo, s3
	s_and_b32 s44, s4, s3
	v_cmp_gt_u32_e64 s4, 64, v25
	v_cmp_eq_u32_e32 vcc_lo, 0, v11
	v_cmp_ne_u32_e64 s5, 0, v11
	v_cmp_eq_u32_e64 s6, 1, v11
	v_dual_lshlrev_b32 v12, 2, v10 :: v_dual_lshlrev_b32 v39, 2, v11
	s_and_b32 s45, vcc_lo, s4
	v_cmp_lt_u32_e32 vcc_lo, 1, v11
	s_and_b32 s46, s5, s4
	v_cmp_eq_u32_e64 s5, 2, v11
	v_mul_u32_u24_e32 v38, 0x104, v10
	s_and_b32 s47, s6, s4
	v_cmp_lt_u32_e64 s6, 2, v11
	s_and_b32 s48, vcc_lo, s4
	v_cmp_eq_u32_e32 vcc_lo, 3, v11
	s_and_b32 s49, s5, s4
	v_cmp_lt_u32_e64 s5, 3, v11
	v_sub_nc_u32_e32 v13, v38, v12
	s_and_b32 s50, s6, s4
	v_cmp_eq_u32_e64 s6, 4, v11
	s_and_b32 s51, vcc_lo, s4
	v_cmp_lt_u32_e32 vcc_lo, 4, v11
	s_and_b32 s52, s5, s4
	v_cmp_eq_u32_e64 s5, 5, v11
	v_lshl_or_b32 v41, v10, 8, v39
	s_and_b32 s53, s6, s4
	v_cmp_lt_u32_e64 s6, 5, v11
	s_and_b32 s54, vcc_lo, s4
	v_cmp_eq_u32_e32 vcc_lo, 6, v11
	s_and_b32 s55, s5, s4
	v_dual_lshrrev_b32 v10, 4, v25 :: v_dual_add_nc_u32 v42, v13, v39
	v_cmp_eq_u32_e64 s5, 7, v11
	v_and_b32_e32 v11, 15, v0
	s_and_b32 s57, vcc_lo, s4
	v_mad_u32_u24 v4, v28, s8, v2
	s_and_b32 s56, s6, s4
	s_and_b32 s58, s5, s4
	v_cmp_gt_u32_e64 s5, 0x100, v25
	v_cmp_eq_u32_e32 vcc_lo, 0, v11
	v_cmp_ne_u32_e64 s6, 0, v11
	v_cmp_eq_u32_e64 s7, 1, v11
	v_add_nc_u32_e32 v40, 0x4000, v12
	v_dual_lshlrev_b32 v12, 2, v10 :: v_dual_lshlrev_b32 v44, 2, v11
	s_and_b32 s8, vcc_lo, s5
	v_cmp_lt_u32_e32 vcc_lo, 1, v11
	v_writelane_b32 v76, s8, 6
	s_and_b32 s6, s6, s5
	s_and_b32 s67, s7, s5
	v_cmp_lt_u32_e64 s7, 2, v11
	s_and_b32 s68, vcc_lo, s5
	v_writelane_b32 v76, s6, 7
	v_cmp_eq_u32_e64 s6, 2, v11
	v_cmp_lt_u32_e32 vcc_lo, 3, v11
	v_mul_u32_u24_e32 v43, 0x104, v10
	v_cmp_eq_u32_e64 s8, 3, v11
	s_and_b32 s70, s7, s5
	s_and_b32 s69, s6, s5
	v_cmp_eq_u32_e64 s6, 4, v11
	s_and_b32 s15, vcc_lo, s5
	v_cmp_lt_u32_e32 vcc_lo, 4, v11
	v_cmp_eq_u32_e64 s7, 5, v11
	v_add_nc_u32_e32 v45, 0x4000, v12
	s_and_b32 s16, s6, s5
	v_cmp_eq_u32_e64 s6, 6, v11
	s_and_b32 s26, vcc_lo, s5
	v_cmp_lt_u32_e32 vcc_lo, 6, v11
	v_sub_nc_u32_e32 v12, v43, v12
	s_and_b32 s14, s8, s5
	s_and_b32 s33, s6, s5
	v_cmp_eq_u32_e64 s6, 7, v11
	s_and_b32 s35, vcc_lo, s5
	v_cmp_lt_u32_e32 vcc_lo, 8, v11
	v_cmp_lt_u32_e64 s8, 5, v11
	s_and_b32 s28, s7, s5
	s_and_b32 s37, s6, s5
	v_cmp_eq_u32_e64 s6, 9, v11
	s_and_b32 s65, vcc_lo, s5
	v_cmp_lt_u32_e32 vcc_lo, 9, v11
	v_cmp_lt_u32_e64 s7, 7, v11
	v_lshl_or_b32 v46, v10, 8, v44
	s_and_b32 s66, s6, s5
	v_cmp_eq_u32_e64 s6, 11, v11
	s_and_b32 s27, vcc_lo, s5
	v_cmp_lt_u32_e32 vcc_lo, 11, v11
	s_and_b32 s30, s8, s5
	v_cmp_eq_u32_e64 s8, 8, v11
	s_and_b32 s34, s6, s5
	v_cmp_eq_u32_e64 s6, 12, v11
	s_and_b32 s36, vcc_lo, s5
	v_cmp_lt_u32_e32 vcc_lo, 13, v11
	s_and_b32 s63, s7, s5
	v_cmp_eq_u32_e64 s7, 10, v11
	s_and_b32 s80, s6, s5
	v_dual_lshrrev_b32 v10, 5, v25 :: v_dual_add_nc_u32 v47, v12, v44
	s_and_b32 s79, vcc_lo, s5
	v_and_b32_e32 v12, 31, v0
	v_cmp_eq_u32_e32 vcc_lo, 14, v11
	v_cmp_eq_u32_e64 s6, 15, v11
	s_and_b32 s64, s8, s5
	v_cmp_lt_u32_e64 s8, 10, v11
	s_and_b32 s29, s7, s5
	v_cmp_lt_u32_e64 s7, 12, v11
	v_lshlrev_b32_e32 v49, 8, v10
	s_and_b32 s102, vcc_lo, s5
	s_and_b32 s100, s6, s5
	v_cmp_gt_u32_e64 s6, 0x400, v25
	v_cmp_eq_u32_e32 vcc_lo, 0, v12
	s_and_b32 s31, s8, s5
	v_cmp_eq_u32_e64 s8, 13, v11
	s_and_b32 s81, s7, s5
	v_cmp_ne_u32_e64 s7, 0, v12
	s_and_b32 s18, vcc_lo, s6
	v_cmp_lt_u32_e64 s9, 1, v12
	v_writelane_b32 v76, s18, 8
	s_and_b32 s78, s8, s5
	v_cmp_eq_u32_e64 s8, 1, v12
	s_and_b32 s7, s7, s6
	v_cmp_eq_u32_e64 s10, 2, v12
	v_writelane_b32 v76, s7, 9
	v_cmp_lt_u32_e32 vcc_lo, 2, v12
	s_and_b32 s7, s8, s6
	v_cmp_lt_u32_e64 s8, 3, v12
	v_add_nc_u32_e32 v0, s12, v4
	v_writelane_b32 v76, s7, 10
	s_and_b32 s7, s9, s6
	s_and_b32 s18, vcc_lo, s6
	v_cmp_eq_u32_e64 s9, 4, v12
	v_cmp_eq_u32_e32 vcc_lo, 5, v12
	v_writelane_b32 v76, s7, 11
	s_and_b32 s7, s10, s6
	v_cmp_lt_u32_e64 s10, 4, v12
	v_add_nc_u64_e32 v[14:15], s[12:13], v[4:5]
	s_and_b32 s12, vcc_lo, s6
	v_writelane_b32 v76, s7, 12
	v_cmp_eq_u32_e64 s7, 3, v12
	v_cmp_lt_u32_e32 vcc_lo, 7, v12
	v_subrev_nc_u32_e32 v16, 64, v18
	v_lshlrev_b32_e32 v50, 2, v12
	v_writelane_b32 v76, s18, 13
	s_and_b32 s7, s7, s6
	v_subrev_nc_u32_e32 v20, 32, v18
	v_dual_ashrrev_i32 v17, 31, v16 :: v_dual_ashrrev_i32 v7, 31, v6
	v_writelane_b32 v76, s7, 14
	s_and_b32 s7, s8, s6
	v_cmp_eq_u32_e64 s8, 6, v12
	s_delay_alu instid0(VALU_DEP_3)
	v_mul_u64_e32 v[8:9], s[72:73], v[16:17]
	v_lshlrev_b32_e32 v48, 2, v10
	v_writelane_b32 v76, s7, 15
	s_and_b32 s7, s9, s6
	v_cmp_lt_u32_e64 s9, 6, v12
	v_mul_u64_e32 v[10:11], s[82:83], v[6:7]
	v_mul_u64_e32 v[14:15], s[82:83], v[14:15]
	v_writelane_b32 v76, s7, 16
	s_and_b32 s7, s10, s6
	v_cmp_eq_u32_e64 s10, 7, v12
	v_lshl_add_u32 v5, v28, 2, 0x5000
	v_add_nc_u32_e32 v51, 0x4000, v48
	v_writelane_b32 v76, s7, 17
	v_cmp_lt_u32_e64 s7, 5, v12
	v_lshl_add_u32 v53, v4, 2, 0x5000
	v_add_nc_u32_e32 v57, v5, v32
	v_lshl_add_u32 v54, v25, 2, 0x4000
	v_writelane_b32 v76, s12, 18
	s_and_b32 s7, s7, s6
	v_cmp_le_i32_e64 s12, s17, v26
	v_add_nc_u32_e32 v55, 0x4000, v32
	v_lshl_add_u32 v56, v28, 8, v32
	v_writelane_b32 v76, s7, 19
	s_and_b32 s7, s8, s6
	v_lshl_add_u32 v58, v2, 8, v32
	v_lshl_add_u32 v60, v27, 8, v32
	;; [unrolled: 1-line block ×3, first 2 shown]
	v_writelane_b32 v76, s7, 20
	s_and_b32 s7, s9, s6
	v_cmp_gt_i32_e64 s9, s101, v16
	v_mad_nc_u64_u32 v[16:17], s72, v28, v[22:23]
	v_cmp_gt_u32_e64 s18, 2, v25
	v_writelane_b32 v76, s7, 21
	s_and_b32 s7, s10, s6
	v_cmp_le_u32_e64 s10, v2, v28
	v_cmp_gt_u32_e64 s19, 12, v25
	v_cmp_gt_u32_e64 s20, 8, v25
	v_writelane_b32 v76, s7, 22
	s_and_b32 s7, vcc_lo, s6
	v_cmp_eq_u32_e32 vcc_lo, 8, v12
	v_cmp_gt_u32_e64 s21, 56, v25
	v_mad_u32 v17, s73, v28, v17
	v_writelane_b32 v76, s7, 23
	v_cmp_gt_u32_e64 s22, 48, v25
	s_and_b32 s7, vcc_lo, s6
	v_cmp_lt_u32_e32 vcc_lo, 8, v12
	v_cmp_gt_u32_e64 s23, 40, v25
	v_writelane_b32 v76, s7, 24
	v_cmp_gt_u32_e64 s24, 32, v25
	v_cmp_gt_u32_e64 s25, 24, v25
	s_and_b32 s7, vcc_lo, s6
	v_cmp_eq_u32_e32 vcc_lo, 9, v12
	v_writelane_b32 v76, s7, 25
	v_cmp_eq_u32_e64 s61, 0, v4
	v_cmp_gt_u32_e64 s62, 64, v4
	s_mul_u64 s[94:95], s[72:73], 0xc0
	s_and_b32 s7, vcc_lo, s6
	v_cmp_lt_u32_e32 vcc_lo, 9, v12
	v_writelane_b32 v76, s7, 26
	v_lshl_add_u32 v59, v66, 8, v32
	s_and_b32 s7, vcc_lo, s6
	v_cmp_eq_u32_e32 vcc_lo, 10, v12
	v_writelane_b32 v76, s7, 27
	s_and_b32 s7, vcc_lo, s6
	v_cmp_lt_u32_e32 vcc_lo, 10, v12
	v_writelane_b32 v76, s7, 28
	s_and_b32 s7, vcc_lo, s6
	v_cmp_eq_u32_e32 vcc_lo, 11, v12
	v_writelane_b32 v76, s7, 29
	s_and_b32 s7, vcc_lo, s6
	v_cmp_lt_u32_e32 vcc_lo, 11, v12
	v_writelane_b32 v76, s7, 30
	;; [unrolled: 6-line block ×20, first 2 shown]
	s_and_b32 s7, vcc_lo, s6
	v_cmp_eq_u32_e32 vcc_lo, 30, v12
	v_writelane_b32 v74, s7, 3
	s_and_b32 s7, vcc_lo, s6
	v_cmp_eq_u32_e32 vcc_lo, 31, v12
	v_writelane_b32 v74, s7, 4
	v_cmp_eq_u32_e64 s7, 0, v28
	v_mul_u64_e32 v[12:13], s[82:83], v[0:1]
	v_subrev_nc_u32_e32 v0, 48, v18
	s_and_b32 s13, vcc_lo, s6
	v_cmp_le_i32_e32 vcc_lo, s17, v2
	s_and_b32 s8, vcc_lo, s11
	v_cmp_le_i32_e64 s11, s17, v27
	v_writelane_b32 v74, s8, 5
	s_xor_b32 s8, s8, -1
	s_delay_alu instid0(SALU_CYCLE_1)
	s_and_b32 s59, s7, s8
	v_cmp_gt_i32_e64 s8, s17, v2
	s_cmp_gt_i32 s71, 0
	s_cselect_b32 s60, -1, 0
	s_lshl_b64 s[90:91], s[72:73], 6
	s_and_b32 s8, s7, s8
	s_lshl_b64 s[92:93], s[72:73], 7
	v_writelane_b32 v74, s8, 6
	v_cmp_gt_i32_e64 s8, s101, v6
	s_and_b32 s9, s8, s9
	s_delay_alu instid0(SALU_CYCLE_1)
	v_writelane_b32 v74, s9, 7
	v_cmp_gt_i32_e64 s9, s101, v0
	v_add_nc_u32_e32 v0, -16, v18
	v_or_b32_e32 v52, v49, v50
	v_mad_nc_u64_u32 v[18:19], s72, v66, v[22:23]
	s_and_b32 s9, s8, s9
	s_delay_alu instid0(SALU_CYCLE_1)
	v_writelane_b32 v74, s9, 8
	v_cmp_gt_i32_e64 s9, s101, v20
	v_mad_nc_u64_u32 v[20:21], s72, v27, v[22:23]
	v_mad_nc_u64_u32 v[22:23], s72, v26, v[22:23]
	s_and_b32 s9, s8, s9
	v_mad_u32 v19, s73, v66, v19
	v_writelane_b32 v74, s9, 9
	v_cmp_gt_i32_e64 s9, s101, v0
	v_or_b32_e32 v0, v66, v2
	v_mad_u32 v21, s73, v27, v21
	s_and_b32 s9, s8, s9
	v_mad_u32 v23, s73, v26, v23
	v_writelane_b32 v74, s9, 10
	v_cmp_le_i32_e64 s9, s17, v28
	v_writelane_b32 v74, s10, 11
	s_or_b32 s9, s9, vcc_lo
	s_delay_alu instid0(SALU_CYCLE_1)
	s_or_b32 s9, s9, s10
	v_cmp_le_i32_e64 s10, s17, v66
	v_writelane_b32 v74, s9, 12
	v_cmp_eq_u32_e64 s17, 0, v24
	s_or_b32 s9, s10, vcc_lo
	v_cmp_le_u32_e64 s10, v2, v66
	s_delay_alu instid0(VALU_DEP_1)
	v_writelane_b32 v74, s10, 13
	s_or_b32 s9, s9, s10
	v_cmp_le_u32_e64 s10, v2, v27
	v_writelane_b32 v74, s9, 14
	s_or_b32 s9, s11, vcc_lo
	v_cmp_ne_u32_e64 s11, v2, v27
	s_or_b32 s9, s9, s10
	v_writelane_b32 v74, s10, 15
	v_cmp_le_u32_e64 s10, v2, v26
	v_writelane_b32 v74, s9, 16
	s_or_b32 s9, s12, vcc_lo
	v_cmp_ne_u32_e64 s12, v2, v26
	s_or_b32 s9, s9, s10
	v_writelane_b32 v74, s10, 17
	v_cmp_ne_u32_e64 s10, v2, v66
	v_writelane_b32 v74, s9, 18
	v_cmp_ne_u32_e64 s9, v2, v28
	s_delay_alu instid0(VALU_DEP_1) | instskip(SKIP_1) | instid1(SALU_CYCLE_1)
	v_writelane_b32 v74, s9, 19
	s_or_b32 s9, vcc_lo, s9
	v_writelane_b32 v74, s9, 20
	s_or_b32 s9, vcc_lo, s10
	v_writelane_b32 v74, s10, 21
	v_writelane_b32 v74, s9, 22
	s_or_b32 s9, vcc_lo, s11
	v_writelane_b32 v74, s11, 23
	v_cmp_gt_u32_e64 s11, 0x80, v25
	v_writelane_b32 v74, s9, 24
	s_or_b32 s9, vcc_lo, s12
	v_writelane_b32 v74, s12, 25
	v_cmp_gt_u32_e64 s12, 0x60, v25
	v_writelane_b32 v74, s9, 26
	v_cmp_gt_u32_e64 s9, 0xf0, v25
	s_delay_alu instid0(VALU_DEP_1) | instskip(SKIP_1) | instid1(VALU_DEP_1)
	v_writelane_b32 v74, s9, 27
	v_cmp_gt_u32_e64 s9, 0xe0, v25
	v_writelane_b32 v74, s9, 28
	v_cmp_gt_u32_e64 s9, 0xd0, v25
	s_delay_alu instid0(VALU_DEP_1) | instskip(SKIP_1) | instid1(VALU_DEP_1)
	;; [unrolled: 5-line block ×16, first 2 shown]
	v_writelane_b32 v73, s9, 25
	v_cmp_gt_u32_e64 s9, 0x120, v25
	v_writelane_b32 v73, s9, 26
	v_cmp_ge_u32_e64 s9, v2, v28
	s_delay_alu instid0(VALU_DEP_1) | instskip(SKIP_1) | instid1(VALU_DEP_1)
	v_writelane_b32 v73, s9, 27
	v_cmp_ge_u32_e64 s9, v2, v66
	v_writelane_b32 v73, s9, 28
	v_cmp_ge_u32_e64 s9, v2, v27
	s_delay_alu instid0(VALU_DEP_1) | instskip(SKIP_1) | instid1(VALU_DEP_1)
	v_writelane_b32 v73, s9, 29
	v_cmp_ge_u32_e64 s9, v2, v26
	v_writelane_b32 v73, s9, 30
	v_cmp_gt_u32_e64 s9, 64, v24
	s_delay_alu instid0(VALU_DEP_1) | instskip(SKIP_1) | instid1(VALU_DEP_1)
	v_writelane_b32 v73, s9, 31
	v_cmp_gt_u32_e64 s9, 64, v0
	v_writelane_b32 v72, s9, 0
	v_cmp_gt_u32_e64 s9, 64, v67
	s_delay_alu instid0(VALU_DEP_1) | instskip(SKIP_1) | instid1(VALU_DEP_1)
	v_writelane_b32 v72, s9, 1
	v_cmp_gt_u32_e64 s9, 64, v68
	v_writelane_b32 v72, s9, 2
	s_branch .LBB10_3
.LBB10_2:                               ;   in Loop: Header=BB10_3 Depth=1
	s_wait_xcnt 0x0
	s_or_b32 exec_lo, exec_lo, s0
	v_readlane_b32 s0, v76, 0
	s_add_co_i32 s88, s88, 0x10000
	global_wb scope:SCOPE_DEV
	s_wait_storecnt 0x0
	global_inv scope:SCOPE_DEV
	s_cmp_lt_u32 s88, s0
	s_cbranch_scc0 .LBB10_1195
.LBB10_3:                               ; =>This Loop Header: Depth=1
                                        ;     Child Loop BB10_1065 Depth 2
                                        ;       Child Loop BB10_1067 Depth 3
                                        ;     Child Loop BB10_1105 Depth 2
	global_load_b32 v0, v1, s[76:77]
	v_readlane_b32 s96, v76, 1
	v_readlane_b32 s9, v76, 5
	;; [unrolled: 1-line block ×3, first 2 shown]
	s_mul_u64 s[0:1], s[74:75], s[88:89]
	s_delay_alu instid0(SALU_CYCLE_1)
	s_lshl_b64 s[0:1], s[0:1], 2
	s_and_not1_b32 vcc_lo, exec_lo, s9
	s_add_nc_u64 s[0:1], s[96:97], s[0:1]
	s_cbranch_vccz .LBB10_6
; %bb.4:                                ;   in Loop: Header=BB10_3 Depth=1
	s_and_not1_b32 vcc_lo, exec_lo, s103
	s_mov_b32 s9, -1
	s_cbranch_vccz .LBB10_15
.LBB10_5:                               ;   in Loop: Header=BB10_3 Depth=1
	s_and_b32 vcc_lo, exec_lo, s9
	s_cbranch_vccnz .LBB10_50
	s_branch .LBB10_85
.LBB10_6:                               ;   in Loop: Header=BB10_3 Depth=1
	v_lshl_add_u64 v[24:25], v[8:9], 2, s[0:1]
	v_dual_mov_b32 v62, 0 :: v_dual_mov_b32 v63, 0
	s_wait_loadcnt 0x0
	s_barrier_signal -1
	s_delay_alu instid0(VALU_DEP_2)
	v_lshl_add_u64 v[24:25], v[6:7], 2, v[24:25]
	s_barrier_wait -1
	s_wait_xcnt 0x0
	s_mov_b32 s9, exec_lo
	v_readlane_b32 s10, v74, 7
	s_and_b32 s10, s9, s10
	s_delay_alu instid0(SALU_CYCLE_1)
	s_mov_b32 exec_lo, s10
	s_cbranch_execz .LBB10_8
; %bb.7:                                ;   in Loop: Header=BB10_3 Depth=1
	global_load_b32 v63, v[24:25], off
.LBB10_8:                               ;   in Loop: Header=BB10_3 Depth=1
	s_wait_xcnt 0x0
	s_or_b32 exec_lo, exec_lo, s9
	s_wait_loadcnt 0x0
	s_barrier_signal -1
	s_barrier_wait -1
	s_mov_b32 s9, exec_lo
	v_readlane_b32 s10, v74, 8
	s_and_b32 s10, s9, s10
	s_delay_alu instid0(SALU_CYCLE_1)
	s_mov_b32 exec_lo, s10
	s_cbranch_execz .LBB10_10
; %bb.9:                                ;   in Loop: Header=BB10_3 Depth=1
	v_add_nc_u64_e32 v[26:27], s[90:91], v[24:25]
	global_load_b32 v62, v[26:27], off
.LBB10_10:                              ;   in Loop: Header=BB10_3 Depth=1
	s_wait_xcnt 0x0
	s_or_b32 exec_lo, exec_lo, s9
	v_dual_mov_b32 v65, 0 :: v_dual_mov_b32 v64, 0
	s_wait_loadcnt 0x0
	s_barrier_signal -1
	s_barrier_wait -1
	s_mov_b32 s9, exec_lo
	v_readlane_b32 s10, v74, 9
	s_and_b32 s10, s9, s10
	s_delay_alu instid0(SALU_CYCLE_1)
	s_mov_b32 exec_lo, s10
	s_cbranch_execz .LBB10_12
; %bb.11:                               ;   in Loop: Header=BB10_3 Depth=1
	v_add_nc_u64_e32 v[26:27], s[92:93], v[24:25]
	global_load_b32 v64, v[26:27], off
.LBB10_12:                              ;   in Loop: Header=BB10_3 Depth=1
	s_wait_xcnt 0x0
	s_or_b32 exec_lo, exec_lo, s9
	s_wait_loadcnt 0x0
	s_barrier_signal -1
	s_barrier_wait -1
	s_mov_b32 s9, exec_lo
	v_readlane_b32 s10, v74, 10
	s_and_b32 s10, s9, s10
	s_delay_alu instid0(SALU_CYCLE_1)
	s_mov_b32 exec_lo, s10
	s_cbranch_execz .LBB10_14
; %bb.13:                               ;   in Loop: Header=BB10_3 Depth=1
	v_add_nc_u64_e32 v[24:25], s[94:95], v[24:25]
	global_load_b32 v65, v[24:25], off
.LBB10_14:                              ;   in Loop: Header=BB10_3 Depth=1
	s_wait_xcnt 0x0
	s_or_b32 exec_lo, exec_lo, s9
	s_delay_alu instid0(SALU_CYCLE_1)
	s_and_not1_b32 vcc_lo, exec_lo, s103
	s_mov_b32 s9, -1
	s_cbranch_vccnz .LBB10_5
.LBB10_15:                              ;   in Loop: Header=BB10_3 Depth=1
	s_mov_b32 s97, 0
                                        ; implicit-def: $vgpr24
	s_wait_xcnt 0x0
	s_mov_b32 s9, exec_lo
	v_readlane_b32 s10, v74, 11
	s_and_b32 s10, s9, s10
	s_delay_alu instid0(SALU_CYCLE_1)
	s_xor_b32 s96, s10, s9
	s_mov_b32 exec_lo, s10
	s_cbranch_execnz .LBB10_1126
; %bb.16:                               ;   in Loop: Header=BB10_3 Depth=1
	s_and_not1_saveexec_b32 s9, s96
	s_cbranch_execnz .LBB10_1131
.LBB10_17:                              ;   in Loop: Header=BB10_3 Depth=1
	s_or_b32 exec_lo, exec_lo, s9
	s_and_saveexec_b32 s9, s97
.LBB10_18:                              ;   in Loop: Header=BB10_3 Depth=1
	ds_store_b32 v56, v24
.LBB10_19:                              ;   in Loop: Header=BB10_3 Depth=1
	s_or_b32 exec_lo, exec_lo, s9
	s_delay_alu instid0(SALU_CYCLE_1) | instskip(SKIP_2) | instid1(SALU_CYCLE_1)
	s_mov_b32 s9, exec_lo
	v_readlane_b32 s10, v74, 13
	s_and_b32 s10, s9, s10
	s_xor_b32 s96, s10, s9
	s_mov_b32 exec_lo, s10
	s_cbranch_execz .LBB10_27
; %bb.20:                               ;   in Loop: Header=BB10_3 Depth=1
	s_mov_b32 s9, exec_lo
	v_readlane_b32 s10, v74, 21
	s_and_b32 s10, s9, s10
	s_delay_alu instid0(SALU_CYCLE_1)
	s_xor_b32 s9, s10, s9
	s_mov_b32 exec_lo, s10
	s_cbranch_execz .LBB10_24
; %bb.21:                               ;   in Loop: Header=BB10_3 Depth=1
	s_mov_b32 s10, exec_lo
	v_readlane_b32 s97, v72, 0
	s_and_b32 s97, s10, s97
	s_delay_alu instid0(SALU_CYCLE_1)
	s_mov_b32 exec_lo, s97
; %bb.22:                               ;   in Loop: Header=BB10_3 Depth=1
	ds_store_b32 v59, v1
; %bb.23:                               ;   in Loop: Header=BB10_3 Depth=1
	s_or_b32 exec_lo, exec_lo, s10
.LBB10_24:                              ;   in Loop: Header=BB10_3 Depth=1
	s_and_not1_saveexec_b32 s9, s9
	s_cbranch_execz .LBB10_26
; %bb.25:                               ;   in Loop: Header=BB10_3 Depth=1
	v_lshl_add_u64 v[24:25], v[18:19], 2, s[0:1]
	global_load_b32 v24, v[24:25], off
	s_wait_loadcnt 0x0
	v_div_scale_f32 v25, null, v24, v24, 1.0
	s_delay_alu instid0(VALU_DEP_1) | instskip(SKIP_1) | instid1(TRANS32_DEP_1)
	v_rcp_f32_e32 v26, v25
	v_nop
	v_fma_f32 v27, -v25, v26, 1.0
	s_delay_alu instid0(VALU_DEP_1) | instskip(SKIP_1) | instid1(VALU_DEP_1)
	v_fmac_f32_e32 v26, v27, v26
	v_div_scale_f32 v27, vcc_lo, 1.0, v24, 1.0
	v_mul_f32_e32 v66, v27, v26
	s_delay_alu instid0(VALU_DEP_1) | instskip(NEXT) | instid1(VALU_DEP_1)
	v_fma_f32 v67, -v25, v66, v27
	v_fmac_f32_e32 v66, v67, v26
	s_delay_alu instid0(VALU_DEP_1) | instskip(NEXT) | instid1(VALU_DEP_1)
	v_fma_f32 v25, -v25, v66, v27
	v_div_fmas_f32 v25, v25, v26, v66
	s_delay_alu instid0(VALU_DEP_1)
	v_div_fixup_f32 v24, v25, v24, 1.0
	ds_store_b32 v59, v24
.LBB10_26:                              ;   in Loop: Header=BB10_3 Depth=1
	s_or_b32 exec_lo, exec_lo, s9
.LBB10_27:                              ;   in Loop: Header=BB10_3 Depth=1
	s_and_not1_saveexec_b32 s9, s96
	s_cbranch_execz .LBB10_29
; %bb.28:                               ;   in Loop: Header=BB10_3 Depth=1
	v_lshl_add_u64 v[24:25], v[18:19], 2, s[0:1]
	global_load_b32 v24, v[24:25], off
	s_wait_loadcnt 0x0
	v_xor_b32_e32 v24, 0x80000000, v24
	ds_store_b32 v59, v24
.LBB10_29:                              ;   in Loop: Header=BB10_3 Depth=1
	s_or_b32 exec_lo, exec_lo, s9
	s_delay_alu instid0(SALU_CYCLE_1) | instskip(SKIP_2) | instid1(SALU_CYCLE_1)
	s_mov_b32 s9, exec_lo
	v_readlane_b32 s10, v74, 15
	s_and_b32 s10, s9, s10
	s_xor_b32 s96, s10, s9
	s_mov_b32 exec_lo, s10
	s_cbranch_execz .LBB10_37
; %bb.30:                               ;   in Loop: Header=BB10_3 Depth=1
	s_mov_b32 s9, exec_lo
	v_readlane_b32 s10, v74, 23
	s_and_b32 s10, s9, s10
	s_delay_alu instid0(SALU_CYCLE_1)
	s_xor_b32 s9, s10, s9
	s_mov_b32 exec_lo, s10
	s_cbranch_execz .LBB10_34
; %bb.31:                               ;   in Loop: Header=BB10_3 Depth=1
	s_mov_b32 s10, exec_lo
	v_readlane_b32 s97, v72, 1
	s_and_b32 s97, s10, s97
	s_delay_alu instid0(SALU_CYCLE_1)
	s_mov_b32 exec_lo, s97
; %bb.32:                               ;   in Loop: Header=BB10_3 Depth=1
	ds_store_b32 v60, v1
; %bb.33:                               ;   in Loop: Header=BB10_3 Depth=1
	s_or_b32 exec_lo, exec_lo, s10
.LBB10_34:                              ;   in Loop: Header=BB10_3 Depth=1
	s_and_not1_saveexec_b32 s9, s9
	s_cbranch_execz .LBB10_36
; %bb.35:                               ;   in Loop: Header=BB10_3 Depth=1
	v_lshl_add_u64 v[24:25], v[20:21], 2, s[0:1]
	global_load_b32 v24, v[24:25], off
	s_wait_loadcnt 0x0
	v_div_scale_f32 v25, null, v24, v24, 1.0
	s_delay_alu instid0(VALU_DEP_1) | instskip(SKIP_1) | instid1(TRANS32_DEP_1)
	v_rcp_f32_e32 v26, v25
	v_nop
	v_fma_f32 v27, -v25, v26, 1.0
	s_delay_alu instid0(VALU_DEP_1) | instskip(SKIP_1) | instid1(VALU_DEP_1)
	v_fmac_f32_e32 v26, v27, v26
	v_div_scale_f32 v27, vcc_lo, 1.0, v24, 1.0
	v_mul_f32_e32 v66, v27, v26
	s_delay_alu instid0(VALU_DEP_1) | instskip(NEXT) | instid1(VALU_DEP_1)
	v_fma_f32 v67, -v25, v66, v27
	v_fmac_f32_e32 v66, v67, v26
	s_delay_alu instid0(VALU_DEP_1) | instskip(NEXT) | instid1(VALU_DEP_1)
	v_fma_f32 v25, -v25, v66, v27
	v_div_fmas_f32 v25, v25, v26, v66
	s_delay_alu instid0(VALU_DEP_1)
	v_div_fixup_f32 v24, v25, v24, 1.0
	ds_store_b32 v60, v24
.LBB10_36:                              ;   in Loop: Header=BB10_3 Depth=1
	s_or_b32 exec_lo, exec_lo, s9
.LBB10_37:                              ;   in Loop: Header=BB10_3 Depth=1
	s_and_not1_saveexec_b32 s9, s96
	s_cbranch_execz .LBB10_39
; %bb.38:                               ;   in Loop: Header=BB10_3 Depth=1
	v_lshl_add_u64 v[24:25], v[20:21], 2, s[0:1]
	global_load_b32 v24, v[24:25], off
	s_wait_loadcnt 0x0
	v_xor_b32_e32 v24, 0x80000000, v24
	ds_store_b32 v60, v24
.LBB10_39:                              ;   in Loop: Header=BB10_3 Depth=1
	;; [unrolled: 63-line block ×3, first 2 shown]
	s_or_b32 exec_lo, exec_lo, s9
	s_branch .LBB10_85
.LBB10_50:                              ;   in Loop: Header=BB10_3 Depth=1
	s_mov_b32 s97, 0
                                        ; implicit-def: $vgpr24
	s_wait_xcnt 0x0
	s_mov_b32 s9, exec_lo
	v_readlane_b32 s10, v74, 12
	s_and_b32 s10, s9, s10
	s_delay_alu instid0(SALU_CYCLE_1)
	s_xor_b32 s96, s10, s9
	s_mov_b32 exec_lo, s10
	s_cbranch_execnz .LBB10_1132
; %bb.51:                               ;   in Loop: Header=BB10_3 Depth=1
	s_and_not1_saveexec_b32 s9, s96
	s_cbranch_execnz .LBB10_1137
.LBB10_52:                              ;   in Loop: Header=BB10_3 Depth=1
	s_or_b32 exec_lo, exec_lo, s9
	s_and_saveexec_b32 s9, s97
.LBB10_53:                              ;   in Loop: Header=BB10_3 Depth=1
	ds_store_b32 v56, v24
.LBB10_54:                              ;   in Loop: Header=BB10_3 Depth=1
	s_or_b32 exec_lo, exec_lo, s9
	s_delay_alu instid0(SALU_CYCLE_1) | instskip(SKIP_2) | instid1(SALU_CYCLE_1)
	s_mov_b32 s9, exec_lo
	v_readlane_b32 s10, v74, 14
	s_and_b32 s10, s9, s10
	s_xor_b32 s96, s10, s9
	s_mov_b32 exec_lo, s10
	s_cbranch_execz .LBB10_62
; %bb.55:                               ;   in Loop: Header=BB10_3 Depth=1
	s_mov_b32 s9, exec_lo
	v_readlane_b32 s10, v74, 22
	s_and_b32 s10, s9, s10
	s_delay_alu instid0(SALU_CYCLE_1)
	s_xor_b32 s9, s10, s9
	s_mov_b32 exec_lo, s10
	s_cbranch_execz .LBB10_59
; %bb.56:                               ;   in Loop: Header=BB10_3 Depth=1
	s_mov_b32 s10, exec_lo
	v_readlane_b32 s97, v72, 0
	s_and_b32 s97, s10, s97
	s_delay_alu instid0(SALU_CYCLE_1)
	s_mov_b32 exec_lo, s97
; %bb.57:                               ;   in Loop: Header=BB10_3 Depth=1
	ds_store_b32 v59, v1
; %bb.58:                               ;   in Loop: Header=BB10_3 Depth=1
	s_or_b32 exec_lo, exec_lo, s10
.LBB10_59:                              ;   in Loop: Header=BB10_3 Depth=1
	s_and_not1_saveexec_b32 s9, s9
	s_cbranch_execz .LBB10_61
; %bb.60:                               ;   in Loop: Header=BB10_3 Depth=1
	v_lshl_add_u64 v[24:25], v[18:19], 2, s[0:1]
	global_load_b32 v24, v[24:25], off
	s_wait_loadcnt 0x0
	v_div_scale_f32 v25, null, v24, v24, 1.0
	s_delay_alu instid0(VALU_DEP_1) | instskip(SKIP_1) | instid1(TRANS32_DEP_1)
	v_rcp_f32_e32 v26, v25
	v_nop
	v_fma_f32 v27, -v25, v26, 1.0
	s_delay_alu instid0(VALU_DEP_1) | instskip(SKIP_1) | instid1(VALU_DEP_1)
	v_fmac_f32_e32 v26, v27, v26
	v_div_scale_f32 v27, vcc_lo, 1.0, v24, 1.0
	v_mul_f32_e32 v66, v27, v26
	s_delay_alu instid0(VALU_DEP_1) | instskip(NEXT) | instid1(VALU_DEP_1)
	v_fma_f32 v67, -v25, v66, v27
	v_fmac_f32_e32 v66, v67, v26
	s_delay_alu instid0(VALU_DEP_1) | instskip(NEXT) | instid1(VALU_DEP_1)
	v_fma_f32 v25, -v25, v66, v27
	v_div_fmas_f32 v25, v25, v26, v66
	s_delay_alu instid0(VALU_DEP_1)
	v_div_fixup_f32 v24, v25, v24, 1.0
	ds_store_b32 v59, v24
.LBB10_61:                              ;   in Loop: Header=BB10_3 Depth=1
	s_or_b32 exec_lo, exec_lo, s9
.LBB10_62:                              ;   in Loop: Header=BB10_3 Depth=1
	s_and_not1_saveexec_b32 s9, s96
	s_cbranch_execz .LBB10_64
; %bb.63:                               ;   in Loop: Header=BB10_3 Depth=1
	v_lshl_add_u64 v[24:25], v[18:19], 2, s[0:1]
	global_load_b32 v24, v[24:25], off
	s_wait_loadcnt 0x0
	v_xor_b32_e32 v24, 0x80000000, v24
	ds_store_b32 v59, v24
.LBB10_64:                              ;   in Loop: Header=BB10_3 Depth=1
	s_or_b32 exec_lo, exec_lo, s9
	s_delay_alu instid0(SALU_CYCLE_1) | instskip(SKIP_2) | instid1(SALU_CYCLE_1)
	s_mov_b32 s9, exec_lo
	v_readlane_b32 s10, v74, 16
	s_and_b32 s10, s9, s10
	s_xor_b32 s96, s10, s9
	s_mov_b32 exec_lo, s10
	s_cbranch_execz .LBB10_72
; %bb.65:                               ;   in Loop: Header=BB10_3 Depth=1
	s_mov_b32 s9, exec_lo
	v_readlane_b32 s10, v74, 24
	s_and_b32 s10, s9, s10
	s_delay_alu instid0(SALU_CYCLE_1)
	s_xor_b32 s9, s10, s9
	s_mov_b32 exec_lo, s10
	s_cbranch_execz .LBB10_69
; %bb.66:                               ;   in Loop: Header=BB10_3 Depth=1
	s_mov_b32 s10, exec_lo
	v_readlane_b32 s97, v72, 1
	s_and_b32 s97, s10, s97
	s_delay_alu instid0(SALU_CYCLE_1)
	s_mov_b32 exec_lo, s97
; %bb.67:                               ;   in Loop: Header=BB10_3 Depth=1
	ds_store_b32 v60, v1
; %bb.68:                               ;   in Loop: Header=BB10_3 Depth=1
	s_or_b32 exec_lo, exec_lo, s10
.LBB10_69:                              ;   in Loop: Header=BB10_3 Depth=1
	s_and_not1_saveexec_b32 s9, s9
	s_cbranch_execz .LBB10_71
; %bb.70:                               ;   in Loop: Header=BB10_3 Depth=1
	v_lshl_add_u64 v[24:25], v[20:21], 2, s[0:1]
	global_load_b32 v24, v[24:25], off
	s_wait_loadcnt 0x0
	v_div_scale_f32 v25, null, v24, v24, 1.0
	s_delay_alu instid0(VALU_DEP_1) | instskip(SKIP_1) | instid1(TRANS32_DEP_1)
	v_rcp_f32_e32 v26, v25
	v_nop
	v_fma_f32 v27, -v25, v26, 1.0
	s_delay_alu instid0(VALU_DEP_1) | instskip(SKIP_1) | instid1(VALU_DEP_1)
	v_fmac_f32_e32 v26, v27, v26
	v_div_scale_f32 v27, vcc_lo, 1.0, v24, 1.0
	v_mul_f32_e32 v66, v27, v26
	s_delay_alu instid0(VALU_DEP_1) | instskip(NEXT) | instid1(VALU_DEP_1)
	v_fma_f32 v67, -v25, v66, v27
	v_fmac_f32_e32 v66, v67, v26
	s_delay_alu instid0(VALU_DEP_1) | instskip(NEXT) | instid1(VALU_DEP_1)
	v_fma_f32 v25, -v25, v66, v27
	v_div_fmas_f32 v25, v25, v26, v66
	s_delay_alu instid0(VALU_DEP_1)
	v_div_fixup_f32 v24, v25, v24, 1.0
	ds_store_b32 v60, v24
.LBB10_71:                              ;   in Loop: Header=BB10_3 Depth=1
	s_or_b32 exec_lo, exec_lo, s9
.LBB10_72:                              ;   in Loop: Header=BB10_3 Depth=1
	s_and_not1_saveexec_b32 s9, s96
	s_cbranch_execz .LBB10_74
; %bb.73:                               ;   in Loop: Header=BB10_3 Depth=1
	v_lshl_add_u64 v[24:25], v[20:21], 2, s[0:1]
	global_load_b32 v24, v[24:25], off
	s_wait_loadcnt 0x0
	v_xor_b32_e32 v24, 0x80000000, v24
	ds_store_b32 v60, v24
.LBB10_74:                              ;   in Loop: Header=BB10_3 Depth=1
	;; [unrolled: 63-line block ×3, first 2 shown]
	s_or_b32 exec_lo, exec_lo, s9
.LBB10_85:                              ;   in Loop: Header=BB10_3 Depth=1
	s_delay_alu instid0(SALU_CYCLE_1)
	s_and_not1_b32 vcc_lo, exec_lo, s104
	s_wait_loadcnt_dscnt 0x0
	s_barrier_signal -1
	s_barrier_wait -1
	s_cbranch_vccnz .LBB10_1059
; %bb.86:                               ;   in Loop: Header=BB10_3 Depth=1
	s_and_saveexec_b32 s9, s17
	s_cbranch_execz .LBB10_88
; %bb.87:                               ;   in Loop: Header=BB10_3 Depth=1
	ds_load_b64 v[24:25], v1
	ds_load_b32 v26, v1 offset:260
	s_wait_dscnt 0x0
	v_mul_f32_e32 v24, v24, v26
	s_delay_alu instid0(VALU_DEP_1)
	v_mul_f32_e32 v24, v25, v24
	ds_store_b32 v1, v24 offset:4
.LBB10_88:                              ;   in Loop: Header=BB10_3 Depth=1
	s_or_b32 exec_lo, exec_lo, s9
	v_mov_b32_e32 v24, 0
	s_wait_dscnt 0x0
	s_barrier_signal -1
	s_barrier_wait -1
	s_and_saveexec_b32 s96, s2
	s_cbranch_execz .LBB10_92
; %bb.89:                               ;   in Loop: Header=BB10_3 Depth=1
	ds_load_b32 v24, v30 offset:8
	ds_load_b32 v25, v31
	s_wait_dscnt 0x0
	v_fma_f32 v24, v24, v25, 0
	s_and_saveexec_b32 s9, s18
	s_cbranch_execz .LBB10_91
; %bb.90:                               ;   in Loop: Header=BB10_3 Depth=1
	ds_load_b32 v25, v32 offset:264
	ds_load_b32 v26, v1 offset:4
	s_wait_dscnt 0x0
	v_fmac_f32_e32 v24, v25, v26
.LBB10_91:                              ;   in Loop: Header=BB10_3 Depth=1
	s_or_b32 exec_lo, exec_lo, s9
	s_delay_alu instid0(VALU_DEP_1)
	v_xor_b32_e32 v24, 0x80000000, v24
.LBB10_92:                              ;   in Loop: Header=BB10_3 Depth=1
	s_or_b32 exec_lo, exec_lo, s96
	s_and_saveexec_b32 s9, vcc_hi
	s_cbranch_execz .LBB10_94
; %bb.93:                               ;   in Loop: Header=BB10_3 Depth=1
	ds_load_b32 v25, v1 offset:520
	s_wait_dscnt 0x0
	v_mul_f32_e32 v24, v24, v25
	ds_store_b32 v3, v24
.LBB10_94:                              ;   in Loop: Header=BB10_3 Depth=1
	s_or_b32 exec_lo, exec_lo, s9
	s_wait_dscnt 0x0
	s_barrier_signal -1
	s_barrier_wait -1
	s_and_saveexec_b32 s9, s38
	s_cbranch_execz .LBB10_96
; %bb.95:                               ;   in Loop: Header=BB10_3 Depth=1
	ds_load_b32 v25, v1 offset:524
	ds_load_b32 v26, v3
	s_wait_dscnt 0x0
	v_fmac_f32_e32 v24, v25, v26
.LBB10_96:                              ;   in Loop: Header=BB10_3 Depth=1
	s_or_b32 exec_lo, exec_lo, s9
	s_barrier_signal -1
	s_barrier_wait -1
	s_and_saveexec_b32 s9, s38
	s_cbranch_execz .LBB10_98
; %bb.97:                               ;   in Loop: Header=BB10_3 Depth=1
	ds_load_b32 v25, v1 offset:780
	s_wait_dscnt 0x0
	v_mul_f32_e32 v24, v24, v25
	ds_store_b32 v3, v24
.LBB10_98:                              ;   in Loop: Header=BB10_3 Depth=1
	s_or_b32 exec_lo, exec_lo, s9
	s_wait_dscnt 0x0
	s_barrier_signal -1
	s_barrier_wait -1
	s_barrier_signal -1
	s_barrier_wait -1
	s_and_saveexec_b32 s9, s2
; %bb.99:                               ;   in Loop: Header=BB10_3 Depth=1
	v_xor_b32_e32 v24, 0x80000000, v24
	ds_store_b32 v30, v24 offset:8
; %bb.100:                              ;   in Loop: Header=BB10_3 Depth=1
	s_or_b32 exec_lo, exec_lo, s9
	s_wait_dscnt 0x0
	s_barrier_signal -1
	s_barrier_wait -1
	s_barrier_signal -1
	s_barrier_wait -1
	s_and_saveexec_b32 s9, s17
	s_cbranch_execz .LBB10_102
; %bb.101:                              ;   in Loop: Header=BB10_3 Depth=1
	ds_load_b64 v[24:25], v1 offset:520
	ds_load_b32 v26, v1 offset:780
	s_wait_dscnt 0x0
	v_mul_f32_e32 v24, v24, v26
	s_delay_alu instid0(VALU_DEP_1)
	v_mul_f32_e32 v24, v25, v24
	ds_store_b32 v1, v24 offset:524
.LBB10_102:                             ;   in Loop: Header=BB10_3 Depth=1
	s_or_b32 exec_lo, exec_lo, s9
	v_mov_b32_e32 v24, 0
	s_wait_dscnt 0x0
	s_barrier_signal -1
	s_barrier_wait -1
	s_and_saveexec_b32 s96, s3
	s_cbranch_execz .LBB10_108
; %bb.103:                              ;   in Loop: Header=BB10_3 Depth=1
	ds_load_b32 v24, v36 offset:16
	ds_load_b32 v25, v33
	s_wait_dscnt 0x0
	v_fma_f32 v24, v24, v25, 0
	s_and_saveexec_b32 s9, s19
	s_cbranch_execnz .LBB10_1143
; %bb.104:                              ;   in Loop: Header=BB10_3 Depth=1
	s_or_b32 exec_lo, exec_lo, s9
	s_and_saveexec_b32 s9, s20
	s_cbranch_execnz .LBB10_1144
.LBB10_105:                             ;   in Loop: Header=BB10_3 Depth=1
	s_or_b32 exec_lo, exec_lo, s9
	s_and_saveexec_b32 s9, s2
	s_cbranch_execz .LBB10_107
.LBB10_106:                             ;   in Loop: Header=BB10_3 Depth=1
	ds_load_b32 v25, v32 offset:784
	ds_load_b32 v26, v1 offset:12
	s_wait_dscnt 0x0
	v_fmac_f32_e32 v24, v25, v26
.LBB10_107:                             ;   in Loop: Header=BB10_3 Depth=1
	s_or_b32 exec_lo, exec_lo, s9
	s_delay_alu instid0(VALU_DEP_1)
	v_xor_b32_e32 v24, 0x80000000, v24
.LBB10_108:                             ;   in Loop: Header=BB10_3 Depth=1
	s_or_b32 exec_lo, exec_lo, s96
	s_and_saveexec_b32 s9, s39
	s_cbranch_execz .LBB10_110
; %bb.109:                              ;   in Loop: Header=BB10_3 Depth=1
	ds_load_b32 v25, v1 offset:1040
	s_wait_dscnt 0x0
	v_mul_f32_e32 v24, v24, v25
	ds_store_b32 v35, v24
.LBB10_110:                             ;   in Loop: Header=BB10_3 Depth=1
	s_or_b32 exec_lo, exec_lo, s9
	s_wait_dscnt 0x0
	s_barrier_signal -1
	s_barrier_wait -1
	s_and_saveexec_b32 s9, s40
	s_cbranch_execz .LBB10_112
; %bb.111:                              ;   in Loop: Header=BB10_3 Depth=1
	ds_load_b32 v25, v34 offset:1040
	ds_load_b32 v26, v35
	s_wait_dscnt 0x0
	v_fmac_f32_e32 v24, v25, v26
.LBB10_112:                             ;   in Loop: Header=BB10_3 Depth=1
	s_or_b32 exec_lo, exec_lo, s9
	s_barrier_signal -1
	s_barrier_wait -1
	s_and_saveexec_b32 s9, s41
	s_cbranch_execz .LBB10_114
; %bb.113:                              ;   in Loop: Header=BB10_3 Depth=1
	ds_load_b32 v25, v1 offset:1300
	s_wait_dscnt 0x0
	v_mul_f32_e32 v24, v24, v25
	ds_store_b32 v35, v24
.LBB10_114:                             ;   in Loop: Header=BB10_3 Depth=1
	s_or_b32 exec_lo, exec_lo, s9
	s_wait_dscnt 0x0
	s_barrier_signal -1
	s_barrier_wait -1
	s_and_saveexec_b32 s9, s42
	s_cbranch_execz .LBB10_116
; %bb.115:                              ;   in Loop: Header=BB10_3 Depth=1
	ds_load_b32 v25, v34 offset:1296
	ds_load_b32 v26, v35
	s_wait_dscnt 0x0
	v_fmac_f32_e32 v24, v25, v26
.LBB10_116:                             ;   in Loop: Header=BB10_3 Depth=1
	s_or_b32 exec_lo, exec_lo, s9
	s_barrier_signal -1
	s_barrier_wait -1
	;; [unrolled: 23-line block ×3, first 2 shown]
	s_and_saveexec_b32 s9, s44
	s_cbranch_execz .LBB10_122
; %bb.121:                              ;   in Loop: Header=BB10_3 Depth=1
	ds_load_b32 v25, v1 offset:1820
	s_wait_dscnt 0x0
	v_mul_f32_e32 v24, v24, v25
	ds_store_b32 v35, v24
.LBB10_122:                             ;   in Loop: Header=BB10_3 Depth=1
	s_or_b32 exec_lo, exec_lo, s9
	s_wait_dscnt 0x0
	s_barrier_signal -1
	s_barrier_wait -1
	s_barrier_signal -1
	s_barrier_wait -1
	s_and_saveexec_b32 s9, s3
; %bb.123:                              ;   in Loop: Header=BB10_3 Depth=1
	v_xor_b32_e32 v24, 0x80000000, v24
	ds_store_b32 v36, v24 offset:16
; %bb.124:                              ;   in Loop: Header=BB10_3 Depth=1
	s_or_b32 exec_lo, exec_lo, s9
	s_wait_dscnt 0x0
	s_barrier_signal -1
	s_barrier_wait -1
	s_barrier_signal -1
	s_barrier_wait -1
	s_and_saveexec_b32 s9, s17
	s_cbranch_execz .LBB10_126
; %bb.125:                              ;   in Loop: Header=BB10_3 Depth=1
	ds_load_b64 v[24:25], v1 offset:1040
	ds_load_b32 v26, v1 offset:1300
	s_wait_dscnt 0x0
	v_mul_f32_e32 v24, v24, v26
	s_delay_alu instid0(VALU_DEP_1)
	v_mul_f32_e32 v24, v25, v24
	ds_store_b32 v1, v24 offset:1044
.LBB10_126:                             ;   in Loop: Header=BB10_3 Depth=1
	s_or_b32 exec_lo, exec_lo, s9
	v_mov_b32_e32 v24, 0
	s_wait_dscnt 0x0
	s_barrier_signal -1
	s_barrier_wait -1
	s_and_saveexec_b32 s96, s2
	s_cbranch_execz .LBB10_130
; %bb.127:                              ;   in Loop: Header=BB10_3 Depth=1
	ds_load_b32 v24, v30 offset:1048
	ds_load_b32 v25, v31 offset:1040
	s_wait_dscnt 0x0
	v_fma_f32 v24, v24, v25, 0
	s_and_saveexec_b32 s9, s18
	s_cbranch_execz .LBB10_129
; %bb.128:                              ;   in Loop: Header=BB10_3 Depth=1
	ds_load_b32 v25, v32 offset:1304
	ds_load_b32 v26, v1 offset:1044
	s_wait_dscnt 0x0
	v_fmac_f32_e32 v24, v25, v26
.LBB10_129:                             ;   in Loop: Header=BB10_3 Depth=1
	s_or_b32 exec_lo, exec_lo, s9
	s_delay_alu instid0(VALU_DEP_1)
	v_xor_b32_e32 v24, 0x80000000, v24
.LBB10_130:                             ;   in Loop: Header=BB10_3 Depth=1
	s_or_b32 exec_lo, exec_lo, s96
	s_and_saveexec_b32 s9, vcc_hi
	s_cbranch_execz .LBB10_132
; %bb.131:                              ;   in Loop: Header=BB10_3 Depth=1
	ds_load_b32 v25, v1 offset:1560
	s_wait_dscnt 0x0
	v_mul_f32_e32 v24, v24, v25
	ds_store_b32 v3, v24
.LBB10_132:                             ;   in Loop: Header=BB10_3 Depth=1
	s_or_b32 exec_lo, exec_lo, s9
	s_wait_dscnt 0x0
	s_barrier_signal -1
	s_barrier_wait -1
	s_and_saveexec_b32 s9, s38
	s_cbranch_execz .LBB10_134
; %bb.133:                              ;   in Loop: Header=BB10_3 Depth=1
	ds_load_b32 v25, v1 offset:1564
	ds_load_b32 v26, v3
	s_wait_dscnt 0x0
	v_fmac_f32_e32 v24, v25, v26
.LBB10_134:                             ;   in Loop: Header=BB10_3 Depth=1
	s_or_b32 exec_lo, exec_lo, s9
	s_barrier_signal -1
	s_barrier_wait -1
	s_and_saveexec_b32 s9, s38
	s_cbranch_execz .LBB10_136
; %bb.135:                              ;   in Loop: Header=BB10_3 Depth=1
	ds_load_b32 v25, v1 offset:1820
	s_wait_dscnt 0x0
	v_mul_f32_e32 v24, v24, v25
	ds_store_b32 v3, v24
.LBB10_136:                             ;   in Loop: Header=BB10_3 Depth=1
	s_or_b32 exec_lo, exec_lo, s9
	s_wait_dscnt 0x0
	s_barrier_signal -1
	s_barrier_wait -1
	s_barrier_signal -1
	s_barrier_wait -1
	s_and_saveexec_b32 s9, s2
; %bb.137:                              ;   in Loop: Header=BB10_3 Depth=1
	v_xor_b32_e32 v24, 0x80000000, v24
	ds_store_b32 v30, v24 offset:1048
; %bb.138:                              ;   in Loop: Header=BB10_3 Depth=1
	s_or_b32 exec_lo, exec_lo, s9
	s_wait_dscnt 0x0
	s_barrier_signal -1
	s_barrier_wait -1
	s_barrier_signal -1
	s_barrier_wait -1
	s_and_saveexec_b32 s9, s17
	s_cbranch_execz .LBB10_140
; %bb.139:                              ;   in Loop: Header=BB10_3 Depth=1
	ds_load_b64 v[24:25], v1 offset:1560
	ds_load_b32 v26, v1 offset:1820
	s_wait_dscnt 0x0
	v_mul_f32_e32 v24, v24, v26
	s_delay_alu instid0(VALU_DEP_1)
	v_mul_f32_e32 v24, v25, v24
	ds_store_b32 v1, v24 offset:1564
.LBB10_140:                             ;   in Loop: Header=BB10_3 Depth=1
	s_or_b32 exec_lo, exec_lo, s9
	v_mov_b32_e32 v24, 0
	s_wait_dscnt 0x0
	s_barrier_signal -1
	s_barrier_wait -1
	s_and_saveexec_b32 s96, s4
	s_cbranch_execz .LBB10_150
; %bb.141:                              ;   in Loop: Header=BB10_3 Depth=1
	ds_load_b32 v24, v41 offset:32
	ds_load_b32 v25, v38
	s_wait_dscnt 0x0
	v_fma_f32 v24, v24, v25, 0
	s_and_saveexec_b32 s9, s21
	s_cbranch_execnz .LBB10_1145
; %bb.142:                              ;   in Loop: Header=BB10_3 Depth=1
	s_or_b32 exec_lo, exec_lo, s9
	s_and_saveexec_b32 s9, s22
	s_cbranch_execnz .LBB10_1146
.LBB10_143:                             ;   in Loop: Header=BB10_3 Depth=1
	s_or_b32 exec_lo, exec_lo, s9
	s_and_saveexec_b32 s9, s23
	s_cbranch_execnz .LBB10_1147
.LBB10_144:                             ;   in Loop: Header=BB10_3 Depth=1
	s_or_b32 exec_lo, exec_lo, s9
	s_and_saveexec_b32 s9, s24
	s_cbranch_execnz .LBB10_1148
.LBB10_145:                             ;   in Loop: Header=BB10_3 Depth=1
	s_or_b32 exec_lo, exec_lo, s9
	s_and_saveexec_b32 s9, s25
	s_cbranch_execnz .LBB10_1149
.LBB10_146:                             ;   in Loop: Header=BB10_3 Depth=1
	s_or_b32 exec_lo, exec_lo, s9
	s_and_saveexec_b32 s9, s3
	s_cbranch_execnz .LBB10_1150
.LBB10_147:                             ;   in Loop: Header=BB10_3 Depth=1
	s_or_b32 exec_lo, exec_lo, s9
	s_and_saveexec_b32 s9, s20
	s_cbranch_execz .LBB10_149
.LBB10_148:                             ;   in Loop: Header=BB10_3 Depth=1
	ds_load_b32 v25, v32 offset:1824
	ds_load_b32 v26, v1 offset:28
	s_wait_dscnt 0x0
	v_fmac_f32_e32 v24, v25, v26
.LBB10_149:                             ;   in Loop: Header=BB10_3 Depth=1
	s_or_b32 exec_lo, exec_lo, s9
	s_delay_alu instid0(VALU_DEP_1)
	v_xor_b32_e32 v24, 0x80000000, v24
.LBB10_150:                             ;   in Loop: Header=BB10_3 Depth=1
	s_or_b32 exec_lo, exec_lo, s96
	s_and_saveexec_b32 s9, s45
	s_cbranch_execz .LBB10_152
; %bb.151:                              ;   in Loop: Header=BB10_3 Depth=1
	ds_load_b32 v25, v1 offset:2080
	s_wait_dscnt 0x0
	v_mul_f32_e32 v24, v24, v25
	ds_store_b32 v40, v24
.LBB10_152:                             ;   in Loop: Header=BB10_3 Depth=1
	s_or_b32 exec_lo, exec_lo, s9
	s_wait_dscnt 0x0
	s_barrier_signal -1
	s_barrier_wait -1
	s_and_saveexec_b32 s9, s46
	s_cbranch_execz .LBB10_154
; %bb.153:                              ;   in Loop: Header=BB10_3 Depth=1
	ds_load_b32 v25, v39 offset:2080
	ds_load_b32 v26, v40
	s_wait_dscnt 0x0
	v_fmac_f32_e32 v24, v25, v26
.LBB10_154:                             ;   in Loop: Header=BB10_3 Depth=1
	s_or_b32 exec_lo, exec_lo, s9
	s_barrier_signal -1
	s_barrier_wait -1
	s_and_saveexec_b32 s9, s47
	s_cbranch_execz .LBB10_156
; %bb.155:                              ;   in Loop: Header=BB10_3 Depth=1
	ds_load_b32 v25, v1 offset:2340
	s_wait_dscnt 0x0
	v_mul_f32_e32 v24, v24, v25
	ds_store_b32 v40, v24
.LBB10_156:                             ;   in Loop: Header=BB10_3 Depth=1
	s_or_b32 exec_lo, exec_lo, s9
	s_wait_dscnt 0x0
	s_barrier_signal -1
	s_barrier_wait -1
	s_and_saveexec_b32 s9, s48
	s_cbranch_execz .LBB10_158
; %bb.157:                              ;   in Loop: Header=BB10_3 Depth=1
	ds_load_b32 v25, v39 offset:2336
	ds_load_b32 v26, v40
	s_wait_dscnt 0x0
	v_fmac_f32_e32 v24, v25, v26
.LBB10_158:                             ;   in Loop: Header=BB10_3 Depth=1
	s_or_b32 exec_lo, exec_lo, s9
	s_barrier_signal -1
	s_barrier_wait -1
	s_and_saveexec_b32 s9, s49
	s_cbranch_execz .LBB10_160
; %bb.159:                              ;   in Loop: Header=BB10_3 Depth=1
	ds_load_b32 v25, v1 offset:2600
	s_wait_dscnt 0x0
	v_mul_f32_e32 v24, v24, v25
	ds_store_b32 v40, v24
.LBB10_160:                             ;   in Loop: Header=BB10_3 Depth=1
	s_or_b32 exec_lo, exec_lo, s9
	s_wait_dscnt 0x0
	s_barrier_signal -1
	s_barrier_wait -1
	s_and_saveexec_b32 s9, s50
	s_cbranch_execz .LBB10_162
; %bb.161:                              ;   in Loop: Header=BB10_3 Depth=1
	ds_load_b32 v25, v39 offset:2592
	ds_load_b32 v26, v40
	s_wait_dscnt 0x0
	v_fmac_f32_e32 v24, v25, v26
.LBB10_162:                             ;   in Loop: Header=BB10_3 Depth=1
	s_or_b32 exec_lo, exec_lo, s9
	s_barrier_signal -1
	s_barrier_wait -1
	s_and_saveexec_b32 s9, s51
	s_cbranch_execz .LBB10_164
; %bb.163:                              ;   in Loop: Header=BB10_3 Depth=1
	ds_load_b32 v25, v1 offset:2860
	s_wait_dscnt 0x0
	v_mul_f32_e32 v24, v24, v25
	ds_store_b32 v40, v24
.LBB10_164:                             ;   in Loop: Header=BB10_3 Depth=1
	s_or_b32 exec_lo, exec_lo, s9
	s_wait_dscnt 0x0
	s_barrier_signal -1
	s_barrier_wait -1
	s_and_saveexec_b32 s9, s52
	s_cbranch_execz .LBB10_166
; %bb.165:                              ;   in Loop: Header=BB10_3 Depth=1
	ds_load_b32 v25, v39 offset:2848
	ds_load_b32 v26, v40
	s_wait_dscnt 0x0
	v_fmac_f32_e32 v24, v25, v26
.LBB10_166:                             ;   in Loop: Header=BB10_3 Depth=1
	s_or_b32 exec_lo, exec_lo, s9
	s_barrier_signal -1
	s_barrier_wait -1
	s_and_saveexec_b32 s9, s53
	s_cbranch_execz .LBB10_168
; %bb.167:                              ;   in Loop: Header=BB10_3 Depth=1
	ds_load_b32 v25, v1 offset:3120
	s_wait_dscnt 0x0
	v_mul_f32_e32 v24, v24, v25
	ds_store_b32 v40, v24
.LBB10_168:                             ;   in Loop: Header=BB10_3 Depth=1
	s_or_b32 exec_lo, exec_lo, s9
	s_wait_dscnt 0x0
	s_barrier_signal -1
	s_barrier_wait -1
	s_and_saveexec_b32 s9, s54
	s_cbranch_execz .LBB10_170
; %bb.169:                              ;   in Loop: Header=BB10_3 Depth=1
	ds_load_b32 v25, v39 offset:3104
	ds_load_b32 v26, v40
	s_wait_dscnt 0x0
	v_fmac_f32_e32 v24, v25, v26
.LBB10_170:                             ;   in Loop: Header=BB10_3 Depth=1
	s_or_b32 exec_lo, exec_lo, s9
	s_barrier_signal -1
	s_barrier_wait -1
	s_and_saveexec_b32 s9, s55
	s_cbranch_execz .LBB10_172
; %bb.171:                              ;   in Loop: Header=BB10_3 Depth=1
	ds_load_b32 v25, v1 offset:3380
	s_wait_dscnt 0x0
	v_mul_f32_e32 v24, v24, v25
	ds_store_b32 v40, v24
.LBB10_172:                             ;   in Loop: Header=BB10_3 Depth=1
	s_or_b32 exec_lo, exec_lo, s9
	s_wait_dscnt 0x0
	s_barrier_signal -1
	s_barrier_wait -1
	s_and_saveexec_b32 s9, s56
	s_cbranch_execz .LBB10_174
; %bb.173:                              ;   in Loop: Header=BB10_3 Depth=1
	ds_load_b32 v25, v39 offset:3360
	ds_load_b32 v26, v40
	s_wait_dscnt 0x0
	v_fmac_f32_e32 v24, v25, v26
.LBB10_174:                             ;   in Loop: Header=BB10_3 Depth=1
	s_or_b32 exec_lo, exec_lo, s9
	s_barrier_signal -1
	s_barrier_wait -1
	s_and_saveexec_b32 s9, s57
	s_cbranch_execz .LBB10_176
; %bb.175:                              ;   in Loop: Header=BB10_3 Depth=1
	ds_load_b32 v25, v1 offset:3640
	s_wait_dscnt 0x0
	v_mul_f32_e32 v24, v24, v25
	ds_store_b32 v40, v24
.LBB10_176:                             ;   in Loop: Header=BB10_3 Depth=1
	s_or_b32 exec_lo, exec_lo, s9
	s_wait_dscnt 0x0
	s_barrier_signal -1
	s_barrier_wait -1
	s_and_saveexec_b32 s9, s58
	s_cbranch_execz .LBB10_178
; %bb.177:                              ;   in Loop: Header=BB10_3 Depth=1
	ds_load_b32 v25, v1 offset:3644
	ds_load_b32 v26, v40
	s_wait_dscnt 0x0
	v_fmac_f32_e32 v24, v25, v26
.LBB10_178:                             ;   in Loop: Header=BB10_3 Depth=1
	s_or_b32 exec_lo, exec_lo, s9
	s_barrier_signal -1
	s_barrier_wait -1
	s_and_saveexec_b32 s9, s58
	s_cbranch_execz .LBB10_180
; %bb.179:                              ;   in Loop: Header=BB10_3 Depth=1
	ds_load_b32 v25, v1 offset:3900
	s_wait_dscnt 0x0
	v_mul_f32_e32 v24, v24, v25
	ds_store_b32 v40, v24
.LBB10_180:                             ;   in Loop: Header=BB10_3 Depth=1
	s_or_b32 exec_lo, exec_lo, s9
	s_wait_dscnt 0x0
	s_barrier_signal -1
	s_barrier_wait -1
	s_barrier_signal -1
	s_barrier_wait -1
	s_and_saveexec_b32 s9, s4
; %bb.181:                              ;   in Loop: Header=BB10_3 Depth=1
	v_xor_b32_e32 v24, 0x80000000, v24
	ds_store_b32 v41, v24 offset:32
; %bb.182:                              ;   in Loop: Header=BB10_3 Depth=1
	s_or_b32 exec_lo, exec_lo, s9
	s_wait_dscnt 0x0
	s_barrier_signal -1
	s_barrier_wait -1
	s_barrier_signal -1
	s_barrier_wait -1
	s_and_saveexec_b32 s9, s17
	s_cbranch_execz .LBB10_184
; %bb.183:                              ;   in Loop: Header=BB10_3 Depth=1
	ds_load_b64 v[24:25], v1 offset:2080
	ds_load_b32 v26, v1 offset:2340
	s_wait_dscnt 0x0
	v_mul_f32_e32 v24, v24, v26
	s_delay_alu instid0(VALU_DEP_1)
	v_mul_f32_e32 v24, v25, v24
	ds_store_b32 v1, v24 offset:2084
.LBB10_184:                             ;   in Loop: Header=BB10_3 Depth=1
	s_or_b32 exec_lo, exec_lo, s9
	v_mov_b32_e32 v24, 0
	s_wait_dscnt 0x0
	s_barrier_signal -1
	s_barrier_wait -1
	s_and_saveexec_b32 s96, s2
	s_cbranch_execz .LBB10_188
; %bb.185:                              ;   in Loop: Header=BB10_3 Depth=1
	ds_load_b32 v24, v30 offset:2088
	ds_load_b32 v25, v31 offset:2080
	s_wait_dscnt 0x0
	v_fma_f32 v24, v24, v25, 0
	s_and_saveexec_b32 s9, s18
	s_cbranch_execz .LBB10_187
; %bb.186:                              ;   in Loop: Header=BB10_3 Depth=1
	ds_load_b32 v25, v32 offset:2344
	ds_load_b32 v26, v1 offset:2084
	s_wait_dscnt 0x0
	v_fmac_f32_e32 v24, v25, v26
.LBB10_187:                             ;   in Loop: Header=BB10_3 Depth=1
	s_or_b32 exec_lo, exec_lo, s9
	s_delay_alu instid0(VALU_DEP_1)
	v_xor_b32_e32 v24, 0x80000000, v24
.LBB10_188:                             ;   in Loop: Header=BB10_3 Depth=1
	s_or_b32 exec_lo, exec_lo, s96
	s_and_saveexec_b32 s9, vcc_hi
	s_cbranch_execz .LBB10_190
; %bb.189:                              ;   in Loop: Header=BB10_3 Depth=1
	ds_load_b32 v25, v1 offset:2600
	s_wait_dscnt 0x0
	v_mul_f32_e32 v24, v24, v25
	ds_store_b32 v3, v24
.LBB10_190:                             ;   in Loop: Header=BB10_3 Depth=1
	s_or_b32 exec_lo, exec_lo, s9
	s_wait_dscnt 0x0
	s_barrier_signal -1
	s_barrier_wait -1
	s_and_saveexec_b32 s9, s38
	s_cbranch_execz .LBB10_192
; %bb.191:                              ;   in Loop: Header=BB10_3 Depth=1
	ds_load_b32 v25, v1 offset:2604
	ds_load_b32 v26, v3
	s_wait_dscnt 0x0
	v_fmac_f32_e32 v24, v25, v26
.LBB10_192:                             ;   in Loop: Header=BB10_3 Depth=1
	s_or_b32 exec_lo, exec_lo, s9
	s_barrier_signal -1
	s_barrier_wait -1
	s_and_saveexec_b32 s9, s38
	s_cbranch_execz .LBB10_194
; %bb.193:                              ;   in Loop: Header=BB10_3 Depth=1
	ds_load_b32 v25, v1 offset:2860
	s_wait_dscnt 0x0
	v_mul_f32_e32 v24, v24, v25
	ds_store_b32 v3, v24
.LBB10_194:                             ;   in Loop: Header=BB10_3 Depth=1
	s_or_b32 exec_lo, exec_lo, s9
	s_wait_dscnt 0x0
	s_barrier_signal -1
	s_barrier_wait -1
	s_barrier_signal -1
	s_barrier_wait -1
	s_and_saveexec_b32 s9, s2
; %bb.195:                              ;   in Loop: Header=BB10_3 Depth=1
	v_xor_b32_e32 v24, 0x80000000, v24
	ds_store_b32 v30, v24 offset:2088
; %bb.196:                              ;   in Loop: Header=BB10_3 Depth=1
	s_or_b32 exec_lo, exec_lo, s9
	s_wait_dscnt 0x0
	s_barrier_signal -1
	s_barrier_wait -1
	s_barrier_signal -1
	s_barrier_wait -1
	s_and_saveexec_b32 s9, s17
	s_cbranch_execz .LBB10_198
; %bb.197:                              ;   in Loop: Header=BB10_3 Depth=1
	ds_load_b64 v[24:25], v1 offset:2600
	ds_load_b32 v26, v1 offset:2860
	s_wait_dscnt 0x0
	v_mul_f32_e32 v24, v24, v26
	s_delay_alu instid0(VALU_DEP_1)
	v_mul_f32_e32 v24, v25, v24
	ds_store_b32 v1, v24 offset:2604
.LBB10_198:                             ;   in Loop: Header=BB10_3 Depth=1
	s_or_b32 exec_lo, exec_lo, s9
	v_mov_b32_e32 v24, 0
	s_wait_dscnt 0x0
	s_barrier_signal -1
	s_barrier_wait -1
	s_and_saveexec_b32 s96, s3
	s_cbranch_execz .LBB10_204
; %bb.199:                              ;   in Loop: Header=BB10_3 Depth=1
	ds_load_b32 v24, v36 offset:2096
	ds_load_b32 v25, v33 offset:2080
	s_wait_dscnt 0x0
	v_fma_f32 v24, v24, v25, 0
	s_and_saveexec_b32 s9, s19
	s_cbranch_execnz .LBB10_1151
; %bb.200:                              ;   in Loop: Header=BB10_3 Depth=1
	s_or_b32 exec_lo, exec_lo, s9
	s_and_saveexec_b32 s9, s20
	s_cbranch_execnz .LBB10_1152
.LBB10_201:                             ;   in Loop: Header=BB10_3 Depth=1
	s_or_b32 exec_lo, exec_lo, s9
	s_and_saveexec_b32 s9, s2
	s_cbranch_execz .LBB10_203
.LBB10_202:                             ;   in Loop: Header=BB10_3 Depth=1
	ds_load_b32 v25, v32 offset:2864
	ds_load_b32 v26, v1 offset:2092
	s_wait_dscnt 0x0
	v_fmac_f32_e32 v24, v25, v26
.LBB10_203:                             ;   in Loop: Header=BB10_3 Depth=1
	s_or_b32 exec_lo, exec_lo, s9
	s_delay_alu instid0(VALU_DEP_1)
	v_xor_b32_e32 v24, 0x80000000, v24
.LBB10_204:                             ;   in Loop: Header=BB10_3 Depth=1
	s_or_b32 exec_lo, exec_lo, s96
	s_and_saveexec_b32 s9, s39
	s_cbranch_execz .LBB10_206
; %bb.205:                              ;   in Loop: Header=BB10_3 Depth=1
	ds_load_b32 v25, v1 offset:3120
	s_wait_dscnt 0x0
	v_mul_f32_e32 v24, v24, v25
	ds_store_b32 v35, v24
.LBB10_206:                             ;   in Loop: Header=BB10_3 Depth=1
	s_or_b32 exec_lo, exec_lo, s9
	s_wait_dscnt 0x0
	s_barrier_signal -1
	s_barrier_wait -1
	s_and_saveexec_b32 s9, s40
	s_cbranch_execz .LBB10_208
; %bb.207:                              ;   in Loop: Header=BB10_3 Depth=1
	ds_load_b32 v25, v34 offset:3120
	ds_load_b32 v26, v35
	s_wait_dscnt 0x0
	v_fmac_f32_e32 v24, v25, v26
.LBB10_208:                             ;   in Loop: Header=BB10_3 Depth=1
	s_or_b32 exec_lo, exec_lo, s9
	s_barrier_signal -1
	s_barrier_wait -1
	s_and_saveexec_b32 s9, s41
	s_cbranch_execz .LBB10_210
; %bb.209:                              ;   in Loop: Header=BB10_3 Depth=1
	ds_load_b32 v25, v1 offset:3380
	s_wait_dscnt 0x0
	v_mul_f32_e32 v24, v24, v25
	ds_store_b32 v35, v24
.LBB10_210:                             ;   in Loop: Header=BB10_3 Depth=1
	s_or_b32 exec_lo, exec_lo, s9
	s_wait_dscnt 0x0
	s_barrier_signal -1
	s_barrier_wait -1
	s_and_saveexec_b32 s9, s42
	s_cbranch_execz .LBB10_212
; %bb.211:                              ;   in Loop: Header=BB10_3 Depth=1
	ds_load_b32 v25, v34 offset:3376
	ds_load_b32 v26, v35
	s_wait_dscnt 0x0
	v_fmac_f32_e32 v24, v25, v26
.LBB10_212:                             ;   in Loop: Header=BB10_3 Depth=1
	s_or_b32 exec_lo, exec_lo, s9
	s_barrier_signal -1
	s_barrier_wait -1
	;; [unrolled: 23-line block ×3, first 2 shown]
	s_and_saveexec_b32 s9, s44
	s_cbranch_execz .LBB10_218
; %bb.217:                              ;   in Loop: Header=BB10_3 Depth=1
	ds_load_b32 v25, v1 offset:3900
	s_wait_dscnt 0x0
	v_mul_f32_e32 v24, v24, v25
	ds_store_b32 v35, v24
.LBB10_218:                             ;   in Loop: Header=BB10_3 Depth=1
	s_or_b32 exec_lo, exec_lo, s9
	s_wait_dscnt 0x0
	s_barrier_signal -1
	s_barrier_wait -1
	s_barrier_signal -1
	s_barrier_wait -1
	s_and_saveexec_b32 s9, s3
; %bb.219:                              ;   in Loop: Header=BB10_3 Depth=1
	v_xor_b32_e32 v24, 0x80000000, v24
	ds_store_b32 v36, v24 offset:2096
; %bb.220:                              ;   in Loop: Header=BB10_3 Depth=1
	s_or_b32 exec_lo, exec_lo, s9
	s_wait_dscnt 0x0
	s_barrier_signal -1
	s_barrier_wait -1
	s_barrier_signal -1
	s_barrier_wait -1
	s_and_saveexec_b32 s9, s17
	s_cbranch_execz .LBB10_222
; %bb.221:                              ;   in Loop: Header=BB10_3 Depth=1
	ds_load_b64 v[24:25], v1 offset:3120
	ds_load_b32 v26, v1 offset:3380
	s_wait_dscnt 0x0
	v_mul_f32_e32 v24, v24, v26
	s_delay_alu instid0(VALU_DEP_1)
	v_mul_f32_e32 v24, v25, v24
	ds_store_b32 v1, v24 offset:3124
.LBB10_222:                             ;   in Loop: Header=BB10_3 Depth=1
	s_or_b32 exec_lo, exec_lo, s9
	v_mov_b32_e32 v24, 0
	s_wait_dscnt 0x0
	s_barrier_signal -1
	s_barrier_wait -1
	s_and_saveexec_b32 s96, s2
	s_cbranch_execz .LBB10_226
; %bb.223:                              ;   in Loop: Header=BB10_3 Depth=1
	ds_load_b32 v24, v30 offset:3128
	ds_load_b32 v25, v31 offset:3120
	s_wait_dscnt 0x0
	v_fma_f32 v24, v24, v25, 0
	s_and_saveexec_b32 s9, s18
	s_cbranch_execz .LBB10_225
; %bb.224:                              ;   in Loop: Header=BB10_3 Depth=1
	ds_load_b32 v25, v32 offset:3384
	ds_load_b32 v26, v1 offset:3124
	s_wait_dscnt 0x0
	v_fmac_f32_e32 v24, v25, v26
.LBB10_225:                             ;   in Loop: Header=BB10_3 Depth=1
	s_or_b32 exec_lo, exec_lo, s9
	s_delay_alu instid0(VALU_DEP_1)
	v_xor_b32_e32 v24, 0x80000000, v24
.LBB10_226:                             ;   in Loop: Header=BB10_3 Depth=1
	s_or_b32 exec_lo, exec_lo, s96
	s_and_saveexec_b32 s9, vcc_hi
	s_cbranch_execz .LBB10_228
; %bb.227:                              ;   in Loop: Header=BB10_3 Depth=1
	ds_load_b32 v25, v1 offset:3640
	s_wait_dscnt 0x0
	v_mul_f32_e32 v24, v24, v25
	ds_store_b32 v3, v24
.LBB10_228:                             ;   in Loop: Header=BB10_3 Depth=1
	s_or_b32 exec_lo, exec_lo, s9
	s_wait_dscnt 0x0
	s_barrier_signal -1
	s_barrier_wait -1
	s_and_saveexec_b32 s9, s38
	s_cbranch_execz .LBB10_230
; %bb.229:                              ;   in Loop: Header=BB10_3 Depth=1
	ds_load_b32 v25, v1 offset:3644
	ds_load_b32 v26, v3
	s_wait_dscnt 0x0
	v_fmac_f32_e32 v24, v25, v26
.LBB10_230:                             ;   in Loop: Header=BB10_3 Depth=1
	s_or_b32 exec_lo, exec_lo, s9
	s_barrier_signal -1
	s_barrier_wait -1
	s_and_saveexec_b32 s9, s38
	s_cbranch_execz .LBB10_232
; %bb.231:                              ;   in Loop: Header=BB10_3 Depth=1
	ds_load_b32 v25, v1 offset:3900
	s_wait_dscnt 0x0
	v_mul_f32_e32 v24, v24, v25
	ds_store_b32 v3, v24
.LBB10_232:                             ;   in Loop: Header=BB10_3 Depth=1
	s_or_b32 exec_lo, exec_lo, s9
	s_wait_dscnt 0x0
	s_barrier_signal -1
	s_barrier_wait -1
	s_barrier_signal -1
	s_barrier_wait -1
	s_and_saveexec_b32 s9, s2
; %bb.233:                              ;   in Loop: Header=BB10_3 Depth=1
	v_xor_b32_e32 v24, 0x80000000, v24
	ds_store_b32 v30, v24 offset:3128
; %bb.234:                              ;   in Loop: Header=BB10_3 Depth=1
	s_or_b32 exec_lo, exec_lo, s9
	s_wait_dscnt 0x0
	s_barrier_signal -1
	s_barrier_wait -1
	s_barrier_signal -1
	s_barrier_wait -1
	s_and_saveexec_b32 s9, s17
	s_cbranch_execz .LBB10_236
; %bb.235:                              ;   in Loop: Header=BB10_3 Depth=1
	ds_load_b64 v[24:25], v1 offset:3640
	ds_load_b32 v26, v1 offset:3900
	s_wait_dscnt 0x0
	v_mul_f32_e32 v24, v24, v26
	s_delay_alu instid0(VALU_DEP_1)
	v_mul_f32_e32 v24, v25, v24
	ds_store_b32 v1, v24 offset:3644
.LBB10_236:                             ;   in Loop: Header=BB10_3 Depth=1
	s_or_b32 exec_lo, exec_lo, s9
	v_mov_b32_e32 v24, 0
	s_wait_dscnt 0x0
	s_barrier_signal -1
	s_barrier_wait -1
	s_and_saveexec_b32 s96, s5
	s_cbranch_execz .LBB10_264
; %bb.237:                              ;   in Loop: Header=BB10_3 Depth=1
	ds_load_b32 v24, v46 offset:64
	ds_load_b32 v25, v43
	s_wait_dscnt 0x0
	v_fma_f32 v24, v24, v25, 0
	s_mov_b32 s9, exec_lo
	v_readlane_b32 s10, v74, 27
	s_and_b32 s10, s9, s10
	s_delay_alu instid0(SALU_CYCLE_1)
	s_mov_b32 exec_lo, s10
	s_cbranch_execz .LBB10_239
; %bb.238:                              ;   in Loop: Header=BB10_3 Depth=1
	ds_load_b32 v25, v47 offset:320
	ds_load_b32 v26, v43 offset:4
	s_wait_dscnt 0x0
	v_fmac_f32_e32 v24, v25, v26
.LBB10_239:                             ;   in Loop: Header=BB10_3 Depth=1
	s_or_b32 exec_lo, exec_lo, s9
	s_delay_alu instid0(SALU_CYCLE_1) | instskip(SKIP_2) | instid1(SALU_CYCLE_1)
	s_mov_b32 s9, exec_lo
	v_readlane_b32 s10, v74, 28
	s_and_b32 s10, s9, s10
	s_mov_b32 exec_lo, s10
	s_cbranch_execz .LBB10_241
; %bb.240:                              ;   in Loop: Header=BB10_3 Depth=1
	ds_load_b32 v25, v47 offset:576
	ds_load_b32 v26, v43 offset:8
	s_wait_dscnt 0x0
	v_fmac_f32_e32 v24, v25, v26
.LBB10_241:                             ;   in Loop: Header=BB10_3 Depth=1
	s_or_b32 exec_lo, exec_lo, s9
	s_delay_alu instid0(SALU_CYCLE_1) | instskip(SKIP_2) | instid1(SALU_CYCLE_1)
	s_mov_b32 s9, exec_lo
	v_readlane_b32 s10, v74, 29
	s_and_b32 s10, s9, s10
	s_mov_b32 exec_lo, s10
	s_cbranch_execz .LBB10_243
; %bb.242:                              ;   in Loop: Header=BB10_3 Depth=1
	ds_load_b32 v25, v47 offset:832
	ds_load_b32 v26, v43 offset:12
	s_wait_dscnt 0x0
	v_fmac_f32_e32 v24, v25, v26
.LBB10_243:                             ;   in Loop: Header=BB10_3 Depth=1
	s_or_b32 exec_lo, exec_lo, s9
	s_delay_alu instid0(SALU_CYCLE_1) | instskip(SKIP_2) | instid1(SALU_CYCLE_1)
	s_mov_b32 s9, exec_lo
	v_readlane_b32 s10, v74, 30
	s_and_b32 s10, s9, s10
	s_mov_b32 exec_lo, s10
	s_cbranch_execz .LBB10_245
; %bb.244:                              ;   in Loop: Header=BB10_3 Depth=1
	ds_load_b32 v25, v47 offset:1088
	ds_load_b32 v26, v43 offset:16
	s_wait_dscnt 0x0
	v_fmac_f32_e32 v24, v25, v26
.LBB10_245:                             ;   in Loop: Header=BB10_3 Depth=1
	s_or_b32 exec_lo, exec_lo, s9
	s_delay_alu instid0(SALU_CYCLE_1) | instskip(SKIP_2) | instid1(SALU_CYCLE_1)
	s_mov_b32 s9, exec_lo
	v_readlane_b32 s10, v74, 31
	s_and_b32 s10, s9, s10
	s_mov_b32 exec_lo, s10
	s_cbranch_execz .LBB10_247
; %bb.246:                              ;   in Loop: Header=BB10_3 Depth=1
	ds_load_b32 v25, v47 offset:1344
	ds_load_b32 v26, v43 offset:20
	s_wait_dscnt 0x0
	v_fmac_f32_e32 v24, v25, v26
.LBB10_247:                             ;   in Loop: Header=BB10_3 Depth=1
	s_or_b32 exec_lo, exec_lo, s9
	s_delay_alu instid0(SALU_CYCLE_1) | instskip(SKIP_2) | instid1(SALU_CYCLE_1)
	s_mov_b32 s9, exec_lo
	v_readlane_b32 s10, v73, 0
	s_and_b32 s10, s9, s10
	s_mov_b32 exec_lo, s10
	s_cbranch_execz .LBB10_249
; %bb.248:                              ;   in Loop: Header=BB10_3 Depth=1
	ds_load_b32 v25, v47 offset:1600
	ds_load_b32 v26, v43 offset:24
	s_wait_dscnt 0x0
	v_fmac_f32_e32 v24, v25, v26
.LBB10_249:                             ;   in Loop: Header=BB10_3 Depth=1
	s_or_b32 exec_lo, exec_lo, s9
	s_delay_alu instid0(SALU_CYCLE_1) | instskip(SKIP_2) | instid1(SALU_CYCLE_1)
	s_mov_b32 s9, exec_lo
	v_readlane_b32 s10, v73, 1
	s_and_b32 s10, s9, s10
	s_mov_b32 exec_lo, s10
	s_cbranch_execz .LBB10_251
; %bb.250:                              ;   in Loop: Header=BB10_3 Depth=1
	ds_load_b32 v25, v47 offset:1856
	ds_load_b32 v26, v43 offset:28
	s_wait_dscnt 0x0
	v_fmac_f32_e32 v24, v25, v26
.LBB10_251:                             ;   in Loop: Header=BB10_3 Depth=1
	s_or_b32 exec_lo, exec_lo, s9
	s_and_saveexec_b32 s9, s11
	s_cbranch_execz .LBB10_253
; %bb.252:                              ;   in Loop: Header=BB10_3 Depth=1
	ds_load_b32 v25, v46 offset:2112
	ds_load_b32 v26, v43 offset:32
	s_wait_dscnt 0x0
	v_fmac_f32_e32 v24, v25, v26
.LBB10_253:                             ;   in Loop: Header=BB10_3 Depth=1
	s_or_b32 exec_lo, exec_lo, s9
	s_delay_alu instid0(SALU_CYCLE_1) | instskip(SKIP_2) | instid1(SALU_CYCLE_1)
	s_mov_b32 s9, exec_lo
	v_readlane_b32 s10, v73, 2
	s_and_b32 s10, s9, s10
	s_mov_b32 exec_lo, s10
	s_cbranch_execz .LBB10_255
; %bb.254:                              ;   in Loop: Header=BB10_3 Depth=1
	ds_load_b32 v25, v47 offset:2368
	ds_load_b32 v26, v43 offset:36
	s_wait_dscnt 0x0
	v_fmac_f32_e32 v24, v25, v26
.LBB10_255:                             ;   in Loop: Header=BB10_3 Depth=1
	s_or_b32 exec_lo, exec_lo, s9
	s_and_saveexec_b32 s9, s12
	s_cbranch_execz .LBB10_257
; %bb.256:                              ;   in Loop: Header=BB10_3 Depth=1
	ds_load_b32 v25, v47 offset:2624
	ds_load_b32 v26, v43 offset:40
	s_wait_dscnt 0x0
	v_fmac_f32_e32 v24, v25, v26
.LBB10_257:                             ;   in Loop: Header=BB10_3 Depth=1
	s_or_b32 exec_lo, exec_lo, s9
	s_delay_alu instid0(SALU_CYCLE_1) | instskip(SKIP_2) | instid1(SALU_CYCLE_1)
	s_mov_b32 s9, exec_lo
	v_readlane_b32 s10, v73, 3
	s_and_b32 s10, s9, s10
	s_mov_b32 exec_lo, s10
	s_cbranch_execnz .LBB10_1153
; %bb.258:                              ;   in Loop: Header=BB10_3 Depth=1
	s_or_b32 exec_lo, exec_lo, s9
	s_and_saveexec_b32 s9, s4
	s_cbranch_execnz .LBB10_1154
.LBB10_259:                             ;   in Loop: Header=BB10_3 Depth=1
	s_or_b32 exec_lo, exec_lo, s9
	s_and_saveexec_b32 s9, s22
	s_cbranch_execnz .LBB10_1155
.LBB10_260:                             ;   in Loop: Header=BB10_3 Depth=1
	s_or_b32 exec_lo, exec_lo, s9
	s_and_saveexec_b32 s9, s24
	s_cbranch_execnz .LBB10_1156
.LBB10_261:                             ;   in Loop: Header=BB10_3 Depth=1
	s_or_b32 exec_lo, exec_lo, s9
	s_and_saveexec_b32 s9, s3
	s_cbranch_execz .LBB10_263
.LBB10_262:                             ;   in Loop: Header=BB10_3 Depth=1
	ds_load_b32 v25, v32 offset:3904
	ds_load_b32 v26, v1 offset:60
	s_wait_dscnt 0x0
	v_fmac_f32_e32 v24, v25, v26
.LBB10_263:                             ;   in Loop: Header=BB10_3 Depth=1
	s_or_b32 exec_lo, exec_lo, s9
	s_delay_alu instid0(VALU_DEP_1)
	v_xor_b32_e32 v24, 0x80000000, v24
.LBB10_264:                             ;   in Loop: Header=BB10_3 Depth=1
	s_or_b32 exec_lo, exec_lo, s96
	s_delay_alu instid0(SALU_CYCLE_1) | instskip(SKIP_2) | instid1(SALU_CYCLE_1)
	s_mov_b32 s9, exec_lo
	v_readlane_b32 s10, v76, 6
	s_and_b32 s10, s9, s10
	s_mov_b32 exec_lo, s10
	s_cbranch_execz .LBB10_266
; %bb.265:                              ;   in Loop: Header=BB10_3 Depth=1
	ds_load_b32 v25, v1 offset:4160
	s_wait_dscnt 0x0
	v_mul_f32_e32 v24, v24, v25
	ds_store_b32 v45, v24
.LBB10_266:                             ;   in Loop: Header=BB10_3 Depth=1
	s_or_b32 exec_lo, exec_lo, s9
	s_wait_dscnt 0x0
	s_barrier_signal -1
	s_barrier_wait -1
	s_mov_b32 s9, exec_lo
	v_readlane_b32 s10, v76, 7
	s_and_b32 s10, s9, s10
	s_delay_alu instid0(SALU_CYCLE_1)
	s_mov_b32 exec_lo, s10
	s_cbranch_execz .LBB10_268
; %bb.267:                              ;   in Loop: Header=BB10_3 Depth=1
	ds_load_b32 v25, v44 offset:4160
	ds_load_b32 v26, v45
	s_wait_dscnt 0x0
	v_fmac_f32_e32 v24, v25, v26
.LBB10_268:                             ;   in Loop: Header=BB10_3 Depth=1
	s_or_b32 exec_lo, exec_lo, s9
	s_barrier_signal -1
	s_barrier_wait -1
	s_and_saveexec_b32 s9, s67
	s_cbranch_execz .LBB10_270
; %bb.269:                              ;   in Loop: Header=BB10_3 Depth=1
	ds_load_b32 v25, v1 offset:4420
	s_wait_dscnt 0x0
	v_mul_f32_e32 v24, v24, v25
	ds_store_b32 v45, v24
.LBB10_270:                             ;   in Loop: Header=BB10_3 Depth=1
	s_or_b32 exec_lo, exec_lo, s9
	s_wait_dscnt 0x0
	s_barrier_signal -1
	s_barrier_wait -1
	s_and_saveexec_b32 s9, s68
	s_cbranch_execz .LBB10_272
; %bb.271:                              ;   in Loop: Header=BB10_3 Depth=1
	ds_load_b32 v25, v44 offset:4416
	ds_load_b32 v26, v45
	s_wait_dscnt 0x0
	v_fmac_f32_e32 v24, v25, v26
.LBB10_272:                             ;   in Loop: Header=BB10_3 Depth=1
	s_or_b32 exec_lo, exec_lo, s9
	s_barrier_signal -1
	s_barrier_wait -1
	s_and_saveexec_b32 s9, s69
	s_cbranch_execz .LBB10_274
; %bb.273:                              ;   in Loop: Header=BB10_3 Depth=1
	ds_load_b32 v25, v1 offset:4680
	s_wait_dscnt 0x0
	v_mul_f32_e32 v24, v24, v25
	ds_store_b32 v45, v24
.LBB10_274:                             ;   in Loop: Header=BB10_3 Depth=1
	s_or_b32 exec_lo, exec_lo, s9
	s_wait_dscnt 0x0
	s_barrier_signal -1
	s_barrier_wait -1
	s_and_saveexec_b32 s9, s70
	;; [unrolled: 23-line block ×14, first 2 shown]
	s_cbranch_execz .LBB10_324
; %bb.323:                              ;   in Loop: Header=BB10_3 Depth=1
	ds_load_b32 v25, v1 offset:7804
	ds_load_b32 v26, v45
	s_wait_dscnt 0x0
	v_fmac_f32_e32 v24, v25, v26
.LBB10_324:                             ;   in Loop: Header=BB10_3 Depth=1
	s_or_b32 exec_lo, exec_lo, s9
	s_barrier_signal -1
	s_barrier_wait -1
	s_and_saveexec_b32 s9, s100
	s_cbranch_execz .LBB10_326
; %bb.325:                              ;   in Loop: Header=BB10_3 Depth=1
	ds_load_b32 v25, v1 offset:8060
	s_wait_dscnt 0x0
	v_mul_f32_e32 v24, v24, v25
	ds_store_b32 v45, v24
.LBB10_326:                             ;   in Loop: Header=BB10_3 Depth=1
	s_or_b32 exec_lo, exec_lo, s9
	s_wait_dscnt 0x0
	s_barrier_signal -1
	s_barrier_wait -1
	s_barrier_signal -1
	s_barrier_wait -1
	s_and_saveexec_b32 s9, s5
; %bb.327:                              ;   in Loop: Header=BB10_3 Depth=1
	v_xor_b32_e32 v24, 0x80000000, v24
	ds_store_b32 v46, v24 offset:64
; %bb.328:                              ;   in Loop: Header=BB10_3 Depth=1
	s_or_b32 exec_lo, exec_lo, s9
	s_wait_dscnt 0x0
	s_barrier_signal -1
	s_barrier_wait -1
	s_barrier_signal -1
	s_barrier_wait -1
	s_and_saveexec_b32 s9, s17
	s_cbranch_execz .LBB10_330
; %bb.329:                              ;   in Loop: Header=BB10_3 Depth=1
	ds_load_b64 v[24:25], v1 offset:4160
	ds_load_b32 v26, v1 offset:4420
	s_wait_dscnt 0x0
	v_mul_f32_e32 v24, v24, v26
	s_delay_alu instid0(VALU_DEP_1)
	v_mul_f32_e32 v24, v25, v24
	ds_store_b32 v1, v24 offset:4164
.LBB10_330:                             ;   in Loop: Header=BB10_3 Depth=1
	s_or_b32 exec_lo, exec_lo, s9
	v_mov_b32_e32 v24, 0
	s_wait_dscnt 0x0
	s_barrier_signal -1
	s_barrier_wait -1
	s_and_saveexec_b32 s96, s2
	s_cbranch_execz .LBB10_334
; %bb.331:                              ;   in Loop: Header=BB10_3 Depth=1
	ds_load_b32 v24, v30 offset:4168
	ds_load_b32 v25, v31 offset:4160
	s_wait_dscnt 0x0
	v_fma_f32 v24, v24, v25, 0
	s_and_saveexec_b32 s9, s18
	s_cbranch_execz .LBB10_333
; %bb.332:                              ;   in Loop: Header=BB10_3 Depth=1
	ds_load_b32 v25, v32 offset:4424
	ds_load_b32 v26, v1 offset:4164
	s_wait_dscnt 0x0
	v_fmac_f32_e32 v24, v25, v26
.LBB10_333:                             ;   in Loop: Header=BB10_3 Depth=1
	s_or_b32 exec_lo, exec_lo, s9
	s_delay_alu instid0(VALU_DEP_1)
	v_xor_b32_e32 v24, 0x80000000, v24
.LBB10_334:                             ;   in Loop: Header=BB10_3 Depth=1
	s_or_b32 exec_lo, exec_lo, s96
	s_and_saveexec_b32 s9, vcc_hi
	s_cbranch_execz .LBB10_336
; %bb.335:                              ;   in Loop: Header=BB10_3 Depth=1
	ds_load_b32 v25, v1 offset:4680
	s_wait_dscnt 0x0
	v_mul_f32_e32 v24, v24, v25
	ds_store_b32 v3, v24
.LBB10_336:                             ;   in Loop: Header=BB10_3 Depth=1
	s_or_b32 exec_lo, exec_lo, s9
	s_wait_dscnt 0x0
	s_barrier_signal -1
	s_barrier_wait -1
	s_and_saveexec_b32 s9, s38
	s_cbranch_execz .LBB10_338
; %bb.337:                              ;   in Loop: Header=BB10_3 Depth=1
	ds_load_b32 v25, v1 offset:4684
	ds_load_b32 v26, v3
	s_wait_dscnt 0x0
	v_fmac_f32_e32 v24, v25, v26
.LBB10_338:                             ;   in Loop: Header=BB10_3 Depth=1
	s_or_b32 exec_lo, exec_lo, s9
	s_barrier_signal -1
	s_barrier_wait -1
	s_and_saveexec_b32 s9, s38
	s_cbranch_execz .LBB10_340
; %bb.339:                              ;   in Loop: Header=BB10_3 Depth=1
	ds_load_b32 v25, v1 offset:4940
	s_wait_dscnt 0x0
	v_mul_f32_e32 v24, v24, v25
	ds_store_b32 v3, v24
.LBB10_340:                             ;   in Loop: Header=BB10_3 Depth=1
	s_or_b32 exec_lo, exec_lo, s9
	s_wait_dscnt 0x0
	s_barrier_signal -1
	s_barrier_wait -1
	s_barrier_signal -1
	s_barrier_wait -1
	s_and_saveexec_b32 s9, s2
; %bb.341:                              ;   in Loop: Header=BB10_3 Depth=1
	v_xor_b32_e32 v24, 0x80000000, v24
	ds_store_b32 v30, v24 offset:4168
; %bb.342:                              ;   in Loop: Header=BB10_3 Depth=1
	s_or_b32 exec_lo, exec_lo, s9
	s_wait_dscnt 0x0
	s_barrier_signal -1
	s_barrier_wait -1
	s_barrier_signal -1
	s_barrier_wait -1
	s_and_saveexec_b32 s9, s17
	s_cbranch_execz .LBB10_344
; %bb.343:                              ;   in Loop: Header=BB10_3 Depth=1
	ds_load_b64 v[24:25], v1 offset:4680
	ds_load_b32 v26, v1 offset:4940
	s_wait_dscnt 0x0
	v_mul_f32_e32 v24, v24, v26
	s_delay_alu instid0(VALU_DEP_1)
	v_mul_f32_e32 v24, v25, v24
	ds_store_b32 v1, v24 offset:4684
.LBB10_344:                             ;   in Loop: Header=BB10_3 Depth=1
	s_or_b32 exec_lo, exec_lo, s9
	v_mov_b32_e32 v24, 0
	s_wait_dscnt 0x0
	s_barrier_signal -1
	s_barrier_wait -1
	s_and_saveexec_b32 s96, s3
	s_cbranch_execz .LBB10_350
; %bb.345:                              ;   in Loop: Header=BB10_3 Depth=1
	ds_load_b32 v24, v36 offset:4176
	ds_load_b32 v25, v33 offset:4160
	s_wait_dscnt 0x0
	v_fma_f32 v24, v24, v25, 0
	s_and_saveexec_b32 s9, s19
	s_cbranch_execnz .LBB10_1157
; %bb.346:                              ;   in Loop: Header=BB10_3 Depth=1
	s_or_b32 exec_lo, exec_lo, s9
	s_and_saveexec_b32 s9, s20
	s_cbranch_execnz .LBB10_1158
.LBB10_347:                             ;   in Loop: Header=BB10_3 Depth=1
	s_or_b32 exec_lo, exec_lo, s9
	s_and_saveexec_b32 s9, s2
	s_cbranch_execz .LBB10_349
.LBB10_348:                             ;   in Loop: Header=BB10_3 Depth=1
	ds_load_b32 v25, v32 offset:4944
	ds_load_b32 v26, v1 offset:4172
	s_wait_dscnt 0x0
	v_fmac_f32_e32 v24, v25, v26
.LBB10_349:                             ;   in Loop: Header=BB10_3 Depth=1
	s_or_b32 exec_lo, exec_lo, s9
	s_delay_alu instid0(VALU_DEP_1)
	v_xor_b32_e32 v24, 0x80000000, v24
.LBB10_350:                             ;   in Loop: Header=BB10_3 Depth=1
	s_or_b32 exec_lo, exec_lo, s96
	s_and_saveexec_b32 s9, s39
	s_cbranch_execz .LBB10_352
; %bb.351:                              ;   in Loop: Header=BB10_3 Depth=1
	ds_load_b32 v25, v1 offset:5200
	s_wait_dscnt 0x0
	v_mul_f32_e32 v24, v24, v25
	ds_store_b32 v35, v24
.LBB10_352:                             ;   in Loop: Header=BB10_3 Depth=1
	s_or_b32 exec_lo, exec_lo, s9
	s_wait_dscnt 0x0
	s_barrier_signal -1
	s_barrier_wait -1
	s_and_saveexec_b32 s9, s40
	s_cbranch_execz .LBB10_354
; %bb.353:                              ;   in Loop: Header=BB10_3 Depth=1
	ds_load_b32 v25, v34 offset:5200
	ds_load_b32 v26, v35
	s_wait_dscnt 0x0
	v_fmac_f32_e32 v24, v25, v26
.LBB10_354:                             ;   in Loop: Header=BB10_3 Depth=1
	s_or_b32 exec_lo, exec_lo, s9
	s_barrier_signal -1
	s_barrier_wait -1
	s_and_saveexec_b32 s9, s41
	s_cbranch_execz .LBB10_356
; %bb.355:                              ;   in Loop: Header=BB10_3 Depth=1
	ds_load_b32 v25, v1 offset:5460
	s_wait_dscnt 0x0
	v_mul_f32_e32 v24, v24, v25
	ds_store_b32 v35, v24
.LBB10_356:                             ;   in Loop: Header=BB10_3 Depth=1
	s_or_b32 exec_lo, exec_lo, s9
	s_wait_dscnt 0x0
	s_barrier_signal -1
	s_barrier_wait -1
	s_and_saveexec_b32 s9, s42
	s_cbranch_execz .LBB10_358
; %bb.357:                              ;   in Loop: Header=BB10_3 Depth=1
	ds_load_b32 v25, v34 offset:5456
	ds_load_b32 v26, v35
	s_wait_dscnt 0x0
	v_fmac_f32_e32 v24, v25, v26
.LBB10_358:                             ;   in Loop: Header=BB10_3 Depth=1
	s_or_b32 exec_lo, exec_lo, s9
	s_barrier_signal -1
	s_barrier_wait -1
	;; [unrolled: 23-line block ×3, first 2 shown]
	s_and_saveexec_b32 s9, s44
	s_cbranch_execz .LBB10_364
; %bb.363:                              ;   in Loop: Header=BB10_3 Depth=1
	ds_load_b32 v25, v1 offset:5980
	s_wait_dscnt 0x0
	v_mul_f32_e32 v24, v24, v25
	ds_store_b32 v35, v24
.LBB10_364:                             ;   in Loop: Header=BB10_3 Depth=1
	s_or_b32 exec_lo, exec_lo, s9
	s_wait_dscnt 0x0
	s_barrier_signal -1
	s_barrier_wait -1
	s_barrier_signal -1
	s_barrier_wait -1
	s_and_saveexec_b32 s9, s3
; %bb.365:                              ;   in Loop: Header=BB10_3 Depth=1
	v_xor_b32_e32 v24, 0x80000000, v24
	ds_store_b32 v36, v24 offset:4176
; %bb.366:                              ;   in Loop: Header=BB10_3 Depth=1
	s_or_b32 exec_lo, exec_lo, s9
	s_wait_dscnt 0x0
	s_barrier_signal -1
	s_barrier_wait -1
	s_barrier_signal -1
	s_barrier_wait -1
	s_and_saveexec_b32 s9, s17
	s_cbranch_execz .LBB10_368
; %bb.367:                              ;   in Loop: Header=BB10_3 Depth=1
	ds_load_b64 v[24:25], v1 offset:5200
	ds_load_b32 v26, v1 offset:5460
	s_wait_dscnt 0x0
	v_mul_f32_e32 v24, v24, v26
	s_delay_alu instid0(VALU_DEP_1)
	v_mul_f32_e32 v24, v25, v24
	ds_store_b32 v1, v24 offset:5204
.LBB10_368:                             ;   in Loop: Header=BB10_3 Depth=1
	s_or_b32 exec_lo, exec_lo, s9
	v_mov_b32_e32 v24, 0
	s_wait_dscnt 0x0
	s_barrier_signal -1
	s_barrier_wait -1
	s_and_saveexec_b32 s96, s2
	s_cbranch_execz .LBB10_372
; %bb.369:                              ;   in Loop: Header=BB10_3 Depth=1
	ds_load_b32 v24, v30 offset:5208
	ds_load_b32 v25, v31 offset:5200
	s_wait_dscnt 0x0
	v_fma_f32 v24, v24, v25, 0
	s_and_saveexec_b32 s9, s18
	s_cbranch_execz .LBB10_371
; %bb.370:                              ;   in Loop: Header=BB10_3 Depth=1
	ds_load_b32 v25, v32 offset:5464
	ds_load_b32 v26, v1 offset:5204
	s_wait_dscnt 0x0
	v_fmac_f32_e32 v24, v25, v26
.LBB10_371:                             ;   in Loop: Header=BB10_3 Depth=1
	s_or_b32 exec_lo, exec_lo, s9
	s_delay_alu instid0(VALU_DEP_1)
	v_xor_b32_e32 v24, 0x80000000, v24
.LBB10_372:                             ;   in Loop: Header=BB10_3 Depth=1
	s_or_b32 exec_lo, exec_lo, s96
	s_and_saveexec_b32 s9, vcc_hi
	s_cbranch_execz .LBB10_374
; %bb.373:                              ;   in Loop: Header=BB10_3 Depth=1
	ds_load_b32 v25, v1 offset:5720
	s_wait_dscnt 0x0
	v_mul_f32_e32 v24, v24, v25
	ds_store_b32 v3, v24
.LBB10_374:                             ;   in Loop: Header=BB10_3 Depth=1
	s_or_b32 exec_lo, exec_lo, s9
	s_wait_dscnt 0x0
	s_barrier_signal -1
	s_barrier_wait -1
	s_and_saveexec_b32 s9, s38
	s_cbranch_execz .LBB10_376
; %bb.375:                              ;   in Loop: Header=BB10_3 Depth=1
	ds_load_b32 v25, v1 offset:5724
	ds_load_b32 v26, v3
	s_wait_dscnt 0x0
	v_fmac_f32_e32 v24, v25, v26
.LBB10_376:                             ;   in Loop: Header=BB10_3 Depth=1
	s_or_b32 exec_lo, exec_lo, s9
	s_barrier_signal -1
	s_barrier_wait -1
	s_and_saveexec_b32 s9, s38
	s_cbranch_execz .LBB10_378
; %bb.377:                              ;   in Loop: Header=BB10_3 Depth=1
	ds_load_b32 v25, v1 offset:5980
	s_wait_dscnt 0x0
	v_mul_f32_e32 v24, v24, v25
	ds_store_b32 v3, v24
.LBB10_378:                             ;   in Loop: Header=BB10_3 Depth=1
	s_or_b32 exec_lo, exec_lo, s9
	s_wait_dscnt 0x0
	s_barrier_signal -1
	s_barrier_wait -1
	s_barrier_signal -1
	s_barrier_wait -1
	s_and_saveexec_b32 s9, s2
; %bb.379:                              ;   in Loop: Header=BB10_3 Depth=1
	v_xor_b32_e32 v24, 0x80000000, v24
	ds_store_b32 v30, v24 offset:5208
; %bb.380:                              ;   in Loop: Header=BB10_3 Depth=1
	s_or_b32 exec_lo, exec_lo, s9
	s_wait_dscnt 0x0
	s_barrier_signal -1
	s_barrier_wait -1
	s_barrier_signal -1
	s_barrier_wait -1
	s_and_saveexec_b32 s9, s17
	s_cbranch_execz .LBB10_382
; %bb.381:                              ;   in Loop: Header=BB10_3 Depth=1
	ds_load_b64 v[24:25], v1 offset:5720
	ds_load_b32 v26, v1 offset:5980
	s_wait_dscnt 0x0
	v_mul_f32_e32 v24, v24, v26
	s_delay_alu instid0(VALU_DEP_1)
	v_mul_f32_e32 v24, v25, v24
	ds_store_b32 v1, v24 offset:5724
.LBB10_382:                             ;   in Loop: Header=BB10_3 Depth=1
	s_or_b32 exec_lo, exec_lo, s9
	v_mov_b32_e32 v24, 0
	s_wait_dscnt 0x0
	s_barrier_signal -1
	s_barrier_wait -1
	s_and_saveexec_b32 s96, s4
	s_cbranch_execz .LBB10_392
; %bb.383:                              ;   in Loop: Header=BB10_3 Depth=1
	ds_load_b32 v24, v41 offset:4192
	ds_load_b32 v25, v38 offset:4160
	s_wait_dscnt 0x0
	v_fma_f32 v24, v24, v25, 0
	s_and_saveexec_b32 s9, s21
	s_cbranch_execnz .LBB10_1159
; %bb.384:                              ;   in Loop: Header=BB10_3 Depth=1
	s_or_b32 exec_lo, exec_lo, s9
	s_and_saveexec_b32 s9, s22
	s_cbranch_execnz .LBB10_1160
.LBB10_385:                             ;   in Loop: Header=BB10_3 Depth=1
	s_or_b32 exec_lo, exec_lo, s9
	s_and_saveexec_b32 s9, s23
	s_cbranch_execnz .LBB10_1161
.LBB10_386:                             ;   in Loop: Header=BB10_3 Depth=1
	s_or_b32 exec_lo, exec_lo, s9
	s_and_saveexec_b32 s9, s24
	s_cbranch_execnz .LBB10_1162
.LBB10_387:                             ;   in Loop: Header=BB10_3 Depth=1
	s_or_b32 exec_lo, exec_lo, s9
	s_and_saveexec_b32 s9, s25
	s_cbranch_execnz .LBB10_1163
.LBB10_388:                             ;   in Loop: Header=BB10_3 Depth=1
	s_or_b32 exec_lo, exec_lo, s9
	s_and_saveexec_b32 s9, s3
	s_cbranch_execnz .LBB10_1164
.LBB10_389:                             ;   in Loop: Header=BB10_3 Depth=1
	s_or_b32 exec_lo, exec_lo, s9
	s_and_saveexec_b32 s9, s20
	s_cbranch_execz .LBB10_391
.LBB10_390:                             ;   in Loop: Header=BB10_3 Depth=1
	ds_load_b32 v25, v32 offset:5984
	ds_load_b32 v26, v1 offset:4188
	s_wait_dscnt 0x0
	v_fmac_f32_e32 v24, v25, v26
.LBB10_391:                             ;   in Loop: Header=BB10_3 Depth=1
	s_or_b32 exec_lo, exec_lo, s9
	s_delay_alu instid0(VALU_DEP_1)
	v_xor_b32_e32 v24, 0x80000000, v24
.LBB10_392:                             ;   in Loop: Header=BB10_3 Depth=1
	s_or_b32 exec_lo, exec_lo, s96
	s_and_saveexec_b32 s9, s45
	s_cbranch_execz .LBB10_394
; %bb.393:                              ;   in Loop: Header=BB10_3 Depth=1
	ds_load_b32 v25, v1 offset:6240
	s_wait_dscnt 0x0
	v_mul_f32_e32 v24, v24, v25
	ds_store_b32 v40, v24
.LBB10_394:                             ;   in Loop: Header=BB10_3 Depth=1
	s_or_b32 exec_lo, exec_lo, s9
	s_wait_dscnt 0x0
	s_barrier_signal -1
	s_barrier_wait -1
	s_and_saveexec_b32 s9, s46
	s_cbranch_execz .LBB10_396
; %bb.395:                              ;   in Loop: Header=BB10_3 Depth=1
	ds_load_b32 v25, v39 offset:6240
	ds_load_b32 v26, v40
	s_wait_dscnt 0x0
	v_fmac_f32_e32 v24, v25, v26
.LBB10_396:                             ;   in Loop: Header=BB10_3 Depth=1
	s_or_b32 exec_lo, exec_lo, s9
	s_barrier_signal -1
	s_barrier_wait -1
	s_and_saveexec_b32 s9, s47
	s_cbranch_execz .LBB10_398
; %bb.397:                              ;   in Loop: Header=BB10_3 Depth=1
	ds_load_b32 v25, v1 offset:6500
	s_wait_dscnt 0x0
	v_mul_f32_e32 v24, v24, v25
	ds_store_b32 v40, v24
.LBB10_398:                             ;   in Loop: Header=BB10_3 Depth=1
	s_or_b32 exec_lo, exec_lo, s9
	s_wait_dscnt 0x0
	s_barrier_signal -1
	s_barrier_wait -1
	s_and_saveexec_b32 s9, s48
	s_cbranch_execz .LBB10_400
; %bb.399:                              ;   in Loop: Header=BB10_3 Depth=1
	ds_load_b32 v25, v39 offset:6496
	ds_load_b32 v26, v40
	s_wait_dscnt 0x0
	v_fmac_f32_e32 v24, v25, v26
.LBB10_400:                             ;   in Loop: Header=BB10_3 Depth=1
	s_or_b32 exec_lo, exec_lo, s9
	s_barrier_signal -1
	s_barrier_wait -1
	;; [unrolled: 23-line block ×7, first 2 shown]
	s_and_saveexec_b32 s9, s58
	s_cbranch_execz .LBB10_422
; %bb.421:                              ;   in Loop: Header=BB10_3 Depth=1
	ds_load_b32 v25, v1 offset:8060
	s_wait_dscnt 0x0
	v_mul_f32_e32 v24, v24, v25
	ds_store_b32 v40, v24
.LBB10_422:                             ;   in Loop: Header=BB10_3 Depth=1
	s_or_b32 exec_lo, exec_lo, s9
	s_wait_dscnt 0x0
	s_barrier_signal -1
	s_barrier_wait -1
	s_barrier_signal -1
	s_barrier_wait -1
	s_and_saveexec_b32 s9, s4
; %bb.423:                              ;   in Loop: Header=BB10_3 Depth=1
	v_xor_b32_e32 v24, 0x80000000, v24
	ds_store_b32 v41, v24 offset:4192
; %bb.424:                              ;   in Loop: Header=BB10_3 Depth=1
	s_or_b32 exec_lo, exec_lo, s9
	s_wait_dscnt 0x0
	s_barrier_signal -1
	s_barrier_wait -1
	s_barrier_signal -1
	s_barrier_wait -1
	s_and_saveexec_b32 s9, s17
	s_cbranch_execz .LBB10_426
; %bb.425:                              ;   in Loop: Header=BB10_3 Depth=1
	ds_load_b64 v[24:25], v1 offset:6240
	ds_load_b32 v26, v1 offset:6500
	s_wait_dscnt 0x0
	v_mul_f32_e32 v24, v24, v26
	s_delay_alu instid0(VALU_DEP_1)
	v_mul_f32_e32 v24, v25, v24
	ds_store_b32 v1, v24 offset:6244
.LBB10_426:                             ;   in Loop: Header=BB10_3 Depth=1
	s_or_b32 exec_lo, exec_lo, s9
	v_mov_b32_e32 v24, 0
	s_wait_dscnt 0x0
	s_barrier_signal -1
	s_barrier_wait -1
	s_and_saveexec_b32 s96, s2
	s_cbranch_execz .LBB10_430
; %bb.427:                              ;   in Loop: Header=BB10_3 Depth=1
	ds_load_b32 v24, v30 offset:6248
	ds_load_b32 v25, v31 offset:6240
	s_wait_dscnt 0x0
	v_fma_f32 v24, v24, v25, 0
	s_and_saveexec_b32 s9, s18
	s_cbranch_execz .LBB10_429
; %bb.428:                              ;   in Loop: Header=BB10_3 Depth=1
	ds_load_b32 v25, v32 offset:6504
	ds_load_b32 v26, v1 offset:6244
	s_wait_dscnt 0x0
	v_fmac_f32_e32 v24, v25, v26
.LBB10_429:                             ;   in Loop: Header=BB10_3 Depth=1
	s_or_b32 exec_lo, exec_lo, s9
	s_delay_alu instid0(VALU_DEP_1)
	v_xor_b32_e32 v24, 0x80000000, v24
.LBB10_430:                             ;   in Loop: Header=BB10_3 Depth=1
	s_or_b32 exec_lo, exec_lo, s96
	s_and_saveexec_b32 s9, vcc_hi
	s_cbranch_execz .LBB10_432
; %bb.431:                              ;   in Loop: Header=BB10_3 Depth=1
	ds_load_b32 v25, v1 offset:6760
	s_wait_dscnt 0x0
	v_mul_f32_e32 v24, v24, v25
	ds_store_b32 v3, v24
.LBB10_432:                             ;   in Loop: Header=BB10_3 Depth=1
	s_or_b32 exec_lo, exec_lo, s9
	s_wait_dscnt 0x0
	s_barrier_signal -1
	s_barrier_wait -1
	s_and_saveexec_b32 s9, s38
	s_cbranch_execz .LBB10_434
; %bb.433:                              ;   in Loop: Header=BB10_3 Depth=1
	ds_load_b32 v25, v1 offset:6764
	ds_load_b32 v26, v3
	s_wait_dscnt 0x0
	v_fmac_f32_e32 v24, v25, v26
.LBB10_434:                             ;   in Loop: Header=BB10_3 Depth=1
	s_or_b32 exec_lo, exec_lo, s9
	s_barrier_signal -1
	s_barrier_wait -1
	s_and_saveexec_b32 s9, s38
	s_cbranch_execz .LBB10_436
; %bb.435:                              ;   in Loop: Header=BB10_3 Depth=1
	ds_load_b32 v25, v1 offset:7020
	s_wait_dscnt 0x0
	v_mul_f32_e32 v24, v24, v25
	ds_store_b32 v3, v24
.LBB10_436:                             ;   in Loop: Header=BB10_3 Depth=1
	s_or_b32 exec_lo, exec_lo, s9
	s_wait_dscnt 0x0
	s_barrier_signal -1
	s_barrier_wait -1
	s_barrier_signal -1
	s_barrier_wait -1
	s_and_saveexec_b32 s9, s2
; %bb.437:                              ;   in Loop: Header=BB10_3 Depth=1
	v_xor_b32_e32 v24, 0x80000000, v24
	ds_store_b32 v30, v24 offset:6248
; %bb.438:                              ;   in Loop: Header=BB10_3 Depth=1
	s_or_b32 exec_lo, exec_lo, s9
	s_wait_dscnt 0x0
	s_barrier_signal -1
	s_barrier_wait -1
	s_barrier_signal -1
	s_barrier_wait -1
	s_and_saveexec_b32 s9, s17
	s_cbranch_execz .LBB10_440
; %bb.439:                              ;   in Loop: Header=BB10_3 Depth=1
	ds_load_b64 v[24:25], v1 offset:6760
	ds_load_b32 v26, v1 offset:7020
	s_wait_dscnt 0x0
	v_mul_f32_e32 v24, v24, v26
	s_delay_alu instid0(VALU_DEP_1)
	v_mul_f32_e32 v24, v25, v24
	ds_store_b32 v1, v24 offset:6764
.LBB10_440:                             ;   in Loop: Header=BB10_3 Depth=1
	s_or_b32 exec_lo, exec_lo, s9
	v_mov_b32_e32 v24, 0
	s_wait_dscnt 0x0
	s_barrier_signal -1
	s_barrier_wait -1
	s_and_saveexec_b32 s96, s3
	s_cbranch_execz .LBB10_446
; %bb.441:                              ;   in Loop: Header=BB10_3 Depth=1
	ds_load_b32 v24, v36 offset:6256
	ds_load_b32 v25, v33 offset:6240
	s_wait_dscnt 0x0
	v_fma_f32 v24, v24, v25, 0
	s_and_saveexec_b32 s9, s19
	s_cbranch_execnz .LBB10_1165
; %bb.442:                              ;   in Loop: Header=BB10_3 Depth=1
	s_or_b32 exec_lo, exec_lo, s9
	s_and_saveexec_b32 s9, s20
	s_cbranch_execnz .LBB10_1166
.LBB10_443:                             ;   in Loop: Header=BB10_3 Depth=1
	s_or_b32 exec_lo, exec_lo, s9
	s_and_saveexec_b32 s9, s2
	s_cbranch_execz .LBB10_445
.LBB10_444:                             ;   in Loop: Header=BB10_3 Depth=1
	ds_load_b32 v25, v32 offset:7024
	ds_load_b32 v26, v1 offset:6252
	s_wait_dscnt 0x0
	v_fmac_f32_e32 v24, v25, v26
.LBB10_445:                             ;   in Loop: Header=BB10_3 Depth=1
	s_or_b32 exec_lo, exec_lo, s9
	s_delay_alu instid0(VALU_DEP_1)
	v_xor_b32_e32 v24, 0x80000000, v24
.LBB10_446:                             ;   in Loop: Header=BB10_3 Depth=1
	s_or_b32 exec_lo, exec_lo, s96
	s_and_saveexec_b32 s9, s39
	s_cbranch_execz .LBB10_448
; %bb.447:                              ;   in Loop: Header=BB10_3 Depth=1
	ds_load_b32 v25, v1 offset:7280
	s_wait_dscnt 0x0
	v_mul_f32_e32 v24, v24, v25
	ds_store_b32 v35, v24
.LBB10_448:                             ;   in Loop: Header=BB10_3 Depth=1
	s_or_b32 exec_lo, exec_lo, s9
	s_wait_dscnt 0x0
	s_barrier_signal -1
	s_barrier_wait -1
	s_and_saveexec_b32 s9, s40
	s_cbranch_execz .LBB10_450
; %bb.449:                              ;   in Loop: Header=BB10_3 Depth=1
	ds_load_b32 v25, v34 offset:7280
	ds_load_b32 v26, v35
	s_wait_dscnt 0x0
	v_fmac_f32_e32 v24, v25, v26
.LBB10_450:                             ;   in Loop: Header=BB10_3 Depth=1
	s_or_b32 exec_lo, exec_lo, s9
	s_barrier_signal -1
	s_barrier_wait -1
	s_and_saveexec_b32 s9, s41
	s_cbranch_execz .LBB10_452
; %bb.451:                              ;   in Loop: Header=BB10_3 Depth=1
	ds_load_b32 v25, v1 offset:7540
	s_wait_dscnt 0x0
	v_mul_f32_e32 v24, v24, v25
	ds_store_b32 v35, v24
.LBB10_452:                             ;   in Loop: Header=BB10_3 Depth=1
	s_or_b32 exec_lo, exec_lo, s9
	s_wait_dscnt 0x0
	s_barrier_signal -1
	s_barrier_wait -1
	s_and_saveexec_b32 s9, s42
	s_cbranch_execz .LBB10_454
; %bb.453:                              ;   in Loop: Header=BB10_3 Depth=1
	ds_load_b32 v25, v34 offset:7536
	ds_load_b32 v26, v35
	s_wait_dscnt 0x0
	v_fmac_f32_e32 v24, v25, v26
.LBB10_454:                             ;   in Loop: Header=BB10_3 Depth=1
	s_or_b32 exec_lo, exec_lo, s9
	s_barrier_signal -1
	s_barrier_wait -1
	s_and_saveexec_b32 s9, s43
	s_cbranch_execz .LBB10_456
; %bb.455:                              ;   in Loop: Header=BB10_3 Depth=1
	ds_load_b32 v25, v1 offset:7800
	s_wait_dscnt 0x0
	v_mul_f32_e32 v24, v24, v25
	ds_store_b32 v35, v24
.LBB10_456:                             ;   in Loop: Header=BB10_3 Depth=1
	s_or_b32 exec_lo, exec_lo, s9
	s_wait_dscnt 0x0
	s_barrier_signal -1
	s_barrier_wait -1
	s_and_saveexec_b32 s9, s44
	s_cbranch_execz .LBB10_458
; %bb.457:                              ;   in Loop: Header=BB10_3 Depth=1
	ds_load_b32 v25, v1 offset:7804
	ds_load_b32 v26, v35
	s_wait_dscnt 0x0
	v_fmac_f32_e32 v24, v25, v26
.LBB10_458:                             ;   in Loop: Header=BB10_3 Depth=1
	s_or_b32 exec_lo, exec_lo, s9
	s_barrier_signal -1
	s_barrier_wait -1
	s_and_saveexec_b32 s9, s44
	s_cbranch_execz .LBB10_460
; %bb.459:                              ;   in Loop: Header=BB10_3 Depth=1
	ds_load_b32 v25, v1 offset:8060
	s_wait_dscnt 0x0
	v_mul_f32_e32 v24, v24, v25
	ds_store_b32 v35, v24
.LBB10_460:                             ;   in Loop: Header=BB10_3 Depth=1
	s_or_b32 exec_lo, exec_lo, s9
	s_wait_dscnt 0x0
	s_barrier_signal -1
	s_barrier_wait -1
	s_barrier_signal -1
	s_barrier_wait -1
	s_and_saveexec_b32 s9, s3
; %bb.461:                              ;   in Loop: Header=BB10_3 Depth=1
	v_xor_b32_e32 v24, 0x80000000, v24
	ds_store_b32 v36, v24 offset:6256
; %bb.462:                              ;   in Loop: Header=BB10_3 Depth=1
	s_or_b32 exec_lo, exec_lo, s9
	s_wait_dscnt 0x0
	s_barrier_signal -1
	s_barrier_wait -1
	s_barrier_signal -1
	s_barrier_wait -1
	s_and_saveexec_b32 s9, s17
	s_cbranch_execz .LBB10_464
; %bb.463:                              ;   in Loop: Header=BB10_3 Depth=1
	ds_load_b64 v[24:25], v1 offset:7280
	ds_load_b32 v26, v1 offset:7540
	s_wait_dscnt 0x0
	v_mul_f32_e32 v24, v24, v26
	s_delay_alu instid0(VALU_DEP_1)
	v_mul_f32_e32 v24, v25, v24
	ds_store_b32 v1, v24 offset:7284
.LBB10_464:                             ;   in Loop: Header=BB10_3 Depth=1
	s_or_b32 exec_lo, exec_lo, s9
	v_mov_b32_e32 v24, 0
	s_wait_dscnt 0x0
	s_barrier_signal -1
	s_barrier_wait -1
	s_and_saveexec_b32 s96, s2
	s_cbranch_execz .LBB10_468
; %bb.465:                              ;   in Loop: Header=BB10_3 Depth=1
	ds_load_b32 v24, v30 offset:7288
	ds_load_b32 v25, v31 offset:7280
	s_wait_dscnt 0x0
	v_fma_f32 v24, v24, v25, 0
	s_and_saveexec_b32 s9, s18
	s_cbranch_execz .LBB10_467
; %bb.466:                              ;   in Loop: Header=BB10_3 Depth=1
	ds_load_b32 v25, v32 offset:7544
	ds_load_b32 v26, v1 offset:7284
	s_wait_dscnt 0x0
	v_fmac_f32_e32 v24, v25, v26
.LBB10_467:                             ;   in Loop: Header=BB10_3 Depth=1
	s_or_b32 exec_lo, exec_lo, s9
	s_delay_alu instid0(VALU_DEP_1)
	v_xor_b32_e32 v24, 0x80000000, v24
.LBB10_468:                             ;   in Loop: Header=BB10_3 Depth=1
	s_or_b32 exec_lo, exec_lo, s96
	s_and_saveexec_b32 s9, vcc_hi
	s_cbranch_execz .LBB10_470
; %bb.469:                              ;   in Loop: Header=BB10_3 Depth=1
	ds_load_b32 v25, v1 offset:7800
	s_wait_dscnt 0x0
	v_mul_f32_e32 v24, v24, v25
	ds_store_b32 v3, v24
.LBB10_470:                             ;   in Loop: Header=BB10_3 Depth=1
	s_or_b32 exec_lo, exec_lo, s9
	s_wait_dscnt 0x0
	s_barrier_signal -1
	s_barrier_wait -1
	s_and_saveexec_b32 s9, s38
	s_cbranch_execz .LBB10_472
; %bb.471:                              ;   in Loop: Header=BB10_3 Depth=1
	ds_load_b32 v25, v1 offset:7804
	ds_load_b32 v26, v3
	s_wait_dscnt 0x0
	v_fmac_f32_e32 v24, v25, v26
.LBB10_472:                             ;   in Loop: Header=BB10_3 Depth=1
	s_or_b32 exec_lo, exec_lo, s9
	s_barrier_signal -1
	s_barrier_wait -1
	s_and_saveexec_b32 s9, s38
	s_cbranch_execz .LBB10_474
; %bb.473:                              ;   in Loop: Header=BB10_3 Depth=1
	ds_load_b32 v25, v1 offset:8060
	s_wait_dscnt 0x0
	v_mul_f32_e32 v24, v24, v25
	ds_store_b32 v3, v24
.LBB10_474:                             ;   in Loop: Header=BB10_3 Depth=1
	s_or_b32 exec_lo, exec_lo, s9
	s_wait_dscnt 0x0
	s_barrier_signal -1
	s_barrier_wait -1
	s_barrier_signal -1
	s_barrier_wait -1
	s_and_saveexec_b32 s9, s2
; %bb.475:                              ;   in Loop: Header=BB10_3 Depth=1
	v_xor_b32_e32 v24, 0x80000000, v24
	ds_store_b32 v30, v24 offset:7288
; %bb.476:                              ;   in Loop: Header=BB10_3 Depth=1
	s_or_b32 exec_lo, exec_lo, s9
	s_wait_dscnt 0x0
	s_barrier_signal -1
	s_barrier_wait -1
	s_barrier_signal -1
	s_barrier_wait -1
	s_and_saveexec_b32 s9, s17
	s_cbranch_execz .LBB10_478
; %bb.477:                              ;   in Loop: Header=BB10_3 Depth=1
	ds_load_b64 v[24:25], v1 offset:7800
	ds_load_b32 v26, v1 offset:8060
	s_wait_dscnt 0x0
	v_mul_f32_e32 v24, v24, v26
	s_delay_alu instid0(VALU_DEP_1)
	v_mul_f32_e32 v24, v25, v24
	ds_store_b32 v1, v24 offset:7804
.LBB10_478:                             ;   in Loop: Header=BB10_3 Depth=1
	s_or_b32 exec_lo, exec_lo, s9
	v_mov_b32_e32 v24, 0
	s_wait_dscnt 0x0
	s_barrier_signal -1
	s_barrier_wait -1
	s_and_saveexec_b32 s96, s6
	s_cbranch_execz .LBB10_538
; %bb.479:                              ;   in Loop: Header=BB10_3 Depth=1
	v_add_nc_u32_e32 v25, v49, v48
	ds_load_b32 v24, v52 offset:128
	ds_load_b32 v26, v25
	s_wait_dscnt 0x0
	v_fma_f32 v24, v24, v26, 0
	s_mov_b32 s9, exec_lo
	v_readlane_b32 s10, v73, 4
	s_and_b32 s10, s9, s10
	s_delay_alu instid0(SALU_CYCLE_1)
	s_mov_b32 exec_lo, s10
	s_cbranch_execz .LBB10_481
; %bb.480:                              ;   in Loop: Header=BB10_3 Depth=1
	ds_load_b32 v26, v52 offset:384
	ds_load_b32 v27, v25 offset:4
	s_wait_dscnt 0x0
	v_fmac_f32_e32 v24, v26, v27
.LBB10_481:                             ;   in Loop: Header=BB10_3 Depth=1
	s_or_b32 exec_lo, exec_lo, s9
	s_delay_alu instid0(SALU_CYCLE_1) | instskip(SKIP_2) | instid1(SALU_CYCLE_1)
	s_mov_b32 s9, exec_lo
	v_readlane_b32 s10, v73, 5
	s_and_b32 s10, s9, s10
	s_mov_b32 exec_lo, s10
	s_cbranch_execz .LBB10_483
; %bb.482:                              ;   in Loop: Header=BB10_3 Depth=1
	ds_load_b32 v26, v52 offset:640
	ds_load_b32 v27, v25 offset:8
	s_wait_dscnt 0x0
	v_fmac_f32_e32 v24, v26, v27
.LBB10_483:                             ;   in Loop: Header=BB10_3 Depth=1
	s_or_b32 exec_lo, exec_lo, s9
	s_delay_alu instid0(SALU_CYCLE_1) | instskip(SKIP_2) | instid1(SALU_CYCLE_1)
	s_mov_b32 s9, exec_lo
	v_readlane_b32 s10, v73, 6
	s_and_b32 s10, s9, s10
	s_mov_b32 exec_lo, s10
	s_cbranch_execz .LBB10_485
; %bb.484:                              ;   in Loop: Header=BB10_3 Depth=1
	ds_load_b32 v26, v52 offset:896
	ds_load_b32 v27, v25 offset:12
	s_wait_dscnt 0x0
	v_fmac_f32_e32 v24, v26, v27
.LBB10_485:                             ;   in Loop: Header=BB10_3 Depth=1
	s_or_b32 exec_lo, exec_lo, s9
	s_delay_alu instid0(SALU_CYCLE_1) | instskip(SKIP_2) | instid1(SALU_CYCLE_1)
	s_mov_b32 s9, exec_lo
	v_readlane_b32 s10, v73, 7
	s_and_b32 s10, s9, s10
	s_mov_b32 exec_lo, s10
	s_cbranch_execz .LBB10_487
; %bb.486:                              ;   in Loop: Header=BB10_3 Depth=1
	ds_load_b32 v26, v52 offset:1152
	ds_load_b32 v27, v25 offset:16
	s_wait_dscnt 0x0
	v_fmac_f32_e32 v24, v26, v27
.LBB10_487:                             ;   in Loop: Header=BB10_3 Depth=1
	s_or_b32 exec_lo, exec_lo, s9
	s_delay_alu instid0(SALU_CYCLE_1) | instskip(SKIP_2) | instid1(SALU_CYCLE_1)
	s_mov_b32 s9, exec_lo
	v_readlane_b32 s10, v73, 8
	s_and_b32 s10, s9, s10
	s_mov_b32 exec_lo, s10
	s_cbranch_execz .LBB10_489
; %bb.488:                              ;   in Loop: Header=BB10_3 Depth=1
	ds_load_b32 v26, v52 offset:1408
	ds_load_b32 v27, v25 offset:20
	s_wait_dscnt 0x0
	v_fmac_f32_e32 v24, v26, v27
.LBB10_489:                             ;   in Loop: Header=BB10_3 Depth=1
	s_or_b32 exec_lo, exec_lo, s9
	s_delay_alu instid0(SALU_CYCLE_1) | instskip(SKIP_2) | instid1(SALU_CYCLE_1)
	s_mov_b32 s9, exec_lo
	v_readlane_b32 s10, v73, 9
	s_and_b32 s10, s9, s10
	s_mov_b32 exec_lo, s10
	s_cbranch_execz .LBB10_491
; %bb.490:                              ;   in Loop: Header=BB10_3 Depth=1
	ds_load_b32 v26, v52 offset:1664
	ds_load_b32 v27, v25 offset:24
	s_wait_dscnt 0x0
	v_fmac_f32_e32 v24, v26, v27
.LBB10_491:                             ;   in Loop: Header=BB10_3 Depth=1
	s_or_b32 exec_lo, exec_lo, s9
	s_delay_alu instid0(SALU_CYCLE_1) | instskip(SKIP_2) | instid1(SALU_CYCLE_1)
	s_mov_b32 s9, exec_lo
	v_readlane_b32 s10, v73, 10
	s_and_b32 s10, s9, s10
	s_mov_b32 exec_lo, s10
	s_cbranch_execz .LBB10_493
; %bb.492:                              ;   in Loop: Header=BB10_3 Depth=1
	ds_load_b32 v26, v52 offset:1920
	ds_load_b32 v27, v25 offset:28
	s_wait_dscnt 0x0
	v_fmac_f32_e32 v24, v26, v27
.LBB10_493:                             ;   in Loop: Header=BB10_3 Depth=1
	s_or_b32 exec_lo, exec_lo, s9
	s_delay_alu instid0(SALU_CYCLE_1) | instskip(SKIP_2) | instid1(SALU_CYCLE_1)
	s_mov_b32 s9, exec_lo
	v_readlane_b32 s10, v73, 11
	s_and_b32 s10, s9, s10
	s_mov_b32 exec_lo, s10
	s_cbranch_execz .LBB10_495
; %bb.494:                              ;   in Loop: Header=BB10_3 Depth=1
	ds_load_b32 v26, v52 offset:2176
	ds_load_b32 v27, v25 offset:32
	s_wait_dscnt 0x0
	v_fmac_f32_e32 v24, v26, v27
.LBB10_495:                             ;   in Loop: Header=BB10_3 Depth=1
	s_or_b32 exec_lo, exec_lo, s9
	s_delay_alu instid0(SALU_CYCLE_1) | instskip(SKIP_2) | instid1(SALU_CYCLE_1)
	s_mov_b32 s9, exec_lo
	v_readlane_b32 s10, v73, 12
	s_and_b32 s10, s9, s10
	s_mov_b32 exec_lo, s10
	s_cbranch_execz .LBB10_497
; %bb.496:                              ;   in Loop: Header=BB10_3 Depth=1
	ds_load_b32 v26, v52 offset:2432
	ds_load_b32 v27, v25 offset:36
	s_wait_dscnt 0x0
	v_fmac_f32_e32 v24, v26, v27
.LBB10_497:                             ;   in Loop: Header=BB10_3 Depth=1
	s_or_b32 exec_lo, exec_lo, s9
	s_delay_alu instid0(SALU_CYCLE_1) | instskip(SKIP_2) | instid1(SALU_CYCLE_1)
	s_mov_b32 s9, exec_lo
	v_readlane_b32 s10, v73, 13
	s_and_b32 s10, s9, s10
	s_mov_b32 exec_lo, s10
	s_cbranch_execz .LBB10_499
; %bb.498:                              ;   in Loop: Header=BB10_3 Depth=1
	ds_load_b32 v26, v52 offset:2688
	ds_load_b32 v27, v25 offset:40
	s_wait_dscnt 0x0
	v_fmac_f32_e32 v24, v26, v27
.LBB10_499:                             ;   in Loop: Header=BB10_3 Depth=1
	s_or_b32 exec_lo, exec_lo, s9
	s_delay_alu instid0(SALU_CYCLE_1) | instskip(SKIP_2) | instid1(SALU_CYCLE_1)
	s_mov_b32 s9, exec_lo
	v_readlane_b32 s10, v73, 14
	s_and_b32 s10, s9, s10
	s_mov_b32 exec_lo, s10
	s_cbranch_execz .LBB10_501
; %bb.500:                              ;   in Loop: Header=BB10_3 Depth=1
	ds_load_b32 v26, v52 offset:2944
	ds_load_b32 v27, v25 offset:44
	s_wait_dscnt 0x0
	v_fmac_f32_e32 v24, v26, v27
.LBB10_501:                             ;   in Loop: Header=BB10_3 Depth=1
	s_or_b32 exec_lo, exec_lo, s9
	s_delay_alu instid0(SALU_CYCLE_1) | instskip(SKIP_2) | instid1(SALU_CYCLE_1)
	s_mov_b32 s9, exec_lo
	v_readlane_b32 s10, v73, 15
	s_and_b32 s10, s9, s10
	s_mov_b32 exec_lo, s10
	s_cbranch_execz .LBB10_503
; %bb.502:                              ;   in Loop: Header=BB10_3 Depth=1
	ds_load_b32 v26, v52 offset:3200
	ds_load_b32 v27, v25 offset:48
	s_wait_dscnt 0x0
	v_fmac_f32_e32 v24, v26, v27
.LBB10_503:                             ;   in Loop: Header=BB10_3 Depth=1
	s_or_b32 exec_lo, exec_lo, s9
	s_delay_alu instid0(SALU_CYCLE_1) | instskip(SKIP_2) | instid1(SALU_CYCLE_1)
	s_mov_b32 s9, exec_lo
	v_readlane_b32 s10, v73, 16
	s_and_b32 s10, s9, s10
	s_mov_b32 exec_lo, s10
	s_cbranch_execz .LBB10_505
; %bb.504:                              ;   in Loop: Header=BB10_3 Depth=1
	ds_load_b32 v26, v52 offset:3456
	ds_load_b32 v27, v25 offset:52
	s_wait_dscnt 0x0
	v_fmac_f32_e32 v24, v26, v27
.LBB10_505:                             ;   in Loop: Header=BB10_3 Depth=1
	s_or_b32 exec_lo, exec_lo, s9
	s_delay_alu instid0(SALU_CYCLE_1) | instskip(SKIP_2) | instid1(SALU_CYCLE_1)
	s_mov_b32 s9, exec_lo
	v_readlane_b32 s10, v73, 17
	s_and_b32 s10, s9, s10
	s_mov_b32 exec_lo, s10
	s_cbranch_execz .LBB10_507
; %bb.506:                              ;   in Loop: Header=BB10_3 Depth=1
	ds_load_b32 v26, v52 offset:3712
	ds_load_b32 v27, v25 offset:56
	s_wait_dscnt 0x0
	v_fmac_f32_e32 v24, v26, v27
.LBB10_507:                             ;   in Loop: Header=BB10_3 Depth=1
	s_or_b32 exec_lo, exec_lo, s9
	s_delay_alu instid0(SALU_CYCLE_1) | instskip(SKIP_2) | instid1(SALU_CYCLE_1)
	s_mov_b32 s9, exec_lo
	v_readlane_b32 s10, v73, 18
	s_and_b32 s10, s9, s10
	s_mov_b32 exec_lo, s10
	s_cbranch_execz .LBB10_509
; %bb.508:                              ;   in Loop: Header=BB10_3 Depth=1
	ds_load_b32 v26, v52 offset:3968
	ds_load_b32 v27, v25 offset:60
	s_wait_dscnt 0x0
	v_fmac_f32_e32 v24, v26, v27
.LBB10_509:                             ;   in Loop: Header=BB10_3 Depth=1
	s_or_b32 exec_lo, exec_lo, s9
	s_delay_alu instid0(SALU_CYCLE_1) | instskip(SKIP_2) | instid1(SALU_CYCLE_1)
	s_mov_b32 s9, exec_lo
	v_readlane_b32 s10, v73, 19
	s_and_b32 s10, s9, s10
	s_mov_b32 exec_lo, s10
	s_cbranch_execz .LBB10_511
; %bb.510:                              ;   in Loop: Header=BB10_3 Depth=1
	ds_load_b32 v26, v52 offset:4224
	ds_load_b32 v27, v25 offset:64
	s_wait_dscnt 0x0
	v_fmac_f32_e32 v24, v26, v27
.LBB10_511:                             ;   in Loop: Header=BB10_3 Depth=1
	s_or_b32 exec_lo, exec_lo, s9
	s_delay_alu instid0(SALU_CYCLE_1) | instskip(SKIP_2) | instid1(SALU_CYCLE_1)
	s_mov_b32 s9, exec_lo
	v_readlane_b32 s10, v73, 20
	s_and_b32 s10, s9, s10
	s_mov_b32 exec_lo, s10
	s_cbranch_execz .LBB10_513
; %bb.512:                              ;   in Loop: Header=BB10_3 Depth=1
	ds_load_b32 v26, v52 offset:4480
	ds_load_b32 v27, v25 offset:68
	s_wait_dscnt 0x0
	v_fmac_f32_e32 v24, v26, v27
.LBB10_513:                             ;   in Loop: Header=BB10_3 Depth=1
	s_or_b32 exec_lo, exec_lo, s9
	s_delay_alu instid0(SALU_CYCLE_1) | instskip(SKIP_2) | instid1(SALU_CYCLE_1)
	s_mov_b32 s9, exec_lo
	v_readlane_b32 s10, v73, 21
	s_and_b32 s10, s9, s10
	s_mov_b32 exec_lo, s10
	s_cbranch_execz .LBB10_515
; %bb.514:                              ;   in Loop: Header=BB10_3 Depth=1
	ds_load_b32 v26, v52 offset:4736
	ds_load_b32 v27, v25 offset:72
	s_wait_dscnt 0x0
	v_fmac_f32_e32 v24, v26, v27
.LBB10_515:                             ;   in Loop: Header=BB10_3 Depth=1
	s_or_b32 exec_lo, exec_lo, s9
	s_delay_alu instid0(SALU_CYCLE_1) | instskip(SKIP_2) | instid1(SALU_CYCLE_1)
	s_mov_b32 s9, exec_lo
	v_readlane_b32 s10, v73, 22
	s_and_b32 s10, s9, s10
	s_mov_b32 exec_lo, s10
	s_cbranch_execz .LBB10_517
; %bb.516:                              ;   in Loop: Header=BB10_3 Depth=1
	ds_load_b32 v26, v52 offset:4992
	ds_load_b32 v27, v25 offset:76
	s_wait_dscnt 0x0
	v_fmac_f32_e32 v24, v26, v27
.LBB10_517:                             ;   in Loop: Header=BB10_3 Depth=1
	s_or_b32 exec_lo, exec_lo, s9
	s_delay_alu instid0(SALU_CYCLE_1) | instskip(SKIP_2) | instid1(SALU_CYCLE_1)
	s_mov_b32 s9, exec_lo
	v_readlane_b32 s10, v73, 23
	s_and_b32 s10, s9, s10
	s_mov_b32 exec_lo, s10
	s_cbranch_execz .LBB10_519
; %bb.518:                              ;   in Loop: Header=BB10_3 Depth=1
	ds_load_b32 v26, v52 offset:5248
	ds_load_b32 v27, v25 offset:80
	s_wait_dscnt 0x0
	v_fmac_f32_e32 v24, v26, v27
.LBB10_519:                             ;   in Loop: Header=BB10_3 Depth=1
	s_or_b32 exec_lo, exec_lo, s9
	s_delay_alu instid0(SALU_CYCLE_1) | instskip(SKIP_2) | instid1(SALU_CYCLE_1)
	s_mov_b32 s9, exec_lo
	v_readlane_b32 s10, v73, 24
	s_and_b32 s10, s9, s10
	s_mov_b32 exec_lo, s10
	s_cbranch_execz .LBB10_521
; %bb.520:                              ;   in Loop: Header=BB10_3 Depth=1
	ds_load_b32 v26, v52 offset:5504
	ds_load_b32 v27, v25 offset:84
	s_wait_dscnt 0x0
	v_fmac_f32_e32 v24, v26, v27
.LBB10_521:                             ;   in Loop: Header=BB10_3 Depth=1
	s_or_b32 exec_lo, exec_lo, s9
	s_delay_alu instid0(SALU_CYCLE_1) | instskip(SKIP_2) | instid1(SALU_CYCLE_1)
	s_mov_b32 s9, exec_lo
	v_readlane_b32 s10, v73, 25
	s_and_b32 s10, s9, s10
	s_mov_b32 exec_lo, s10
	s_cbranch_execz .LBB10_523
; %bb.522:                              ;   in Loop: Header=BB10_3 Depth=1
	ds_load_b32 v26, v52 offset:5760
	ds_load_b32 v27, v25 offset:88
	s_wait_dscnt 0x0
	v_fmac_f32_e32 v24, v26, v27
.LBB10_523:                             ;   in Loop: Header=BB10_3 Depth=1
	s_or_b32 exec_lo, exec_lo, s9
	s_delay_alu instid0(SALU_CYCLE_1) | instskip(SKIP_2) | instid1(SALU_CYCLE_1)
	s_mov_b32 s9, exec_lo
	v_readlane_b32 s10, v73, 26
	s_and_b32 s10, s9, s10
	s_mov_b32 exec_lo, s10
	s_cbranch_execz .LBB10_525
; %bb.524:                              ;   in Loop: Header=BB10_3 Depth=1
	ds_load_b32 v26, v52 offset:6016
	ds_load_b32 v27, v25 offset:92
	s_wait_dscnt 0x0
	v_fmac_f32_e32 v24, v26, v27
.LBB10_525:                             ;   in Loop: Header=BB10_3 Depth=1
	s_or_b32 exec_lo, exec_lo, s9
	s_and_saveexec_b32 s9, s5
	s_cbranch_execz .LBB10_527
; %bb.526:                              ;   in Loop: Header=BB10_3 Depth=1
	ds_load_b32 v26, v52 offset:6272
	ds_load_b32 v27, v25 offset:96
	s_wait_dscnt 0x0
	v_fmac_f32_e32 v24, v26, v27
.LBB10_527:                             ;   in Loop: Header=BB10_3 Depth=1
	s_or_b32 exec_lo, exec_lo, s9
	s_delay_alu instid0(SALU_CYCLE_1) | instskip(SKIP_2) | instid1(SALU_CYCLE_1)
	s_mov_b32 s9, exec_lo
	v_readlane_b32 s10, v74, 28
	s_and_b32 s10, s9, s10
	s_mov_b32 exec_lo, s10
	s_cbranch_execz .LBB10_529
; %bb.528:                              ;   in Loop: Header=BB10_3 Depth=1
	ds_load_b32 v26, v52 offset:6528
	ds_load_b32 v27, v25 offset:100
	s_wait_dscnt 0x0
	v_fmac_f32_e32 v24, v26, v27
.LBB10_529:                             ;   in Loop: Header=BB10_3 Depth=1
	s_or_b32 exec_lo, exec_lo, s9
	s_delay_alu instid0(SALU_CYCLE_1) | instskip(SKIP_2) | instid1(SALU_CYCLE_1)
	s_mov_b32 s9, exec_lo
	v_readlane_b32 s10, v74, 30
	s_and_b32 s10, s9, s10
	s_mov_b32 exec_lo, s10
	;; [unrolled: 13-line block ×3, first 2 shown]
	s_cbranch_execnz .LBB10_1167
; %bb.532:                              ;   in Loop: Header=BB10_3 Depth=1
	s_or_b32 exec_lo, exec_lo, s9
	s_and_saveexec_b32 s9, s11
	s_cbranch_execnz .LBB10_1168
.LBB10_533:                             ;   in Loop: Header=BB10_3 Depth=1
	s_or_b32 exec_lo, exec_lo, s9
	s_and_saveexec_b32 s9, s12
	s_cbranch_execnz .LBB10_1169
.LBB10_534:                             ;   in Loop: Header=BB10_3 Depth=1
	s_or_b32 exec_lo, exec_lo, s9
	s_and_saveexec_b32 s9, s4
	s_cbranch_execnz .LBB10_1170
.LBB10_535:                             ;   in Loop: Header=BB10_3 Depth=1
	s_or_b32 exec_lo, exec_lo, s9
	s_and_saveexec_b32 s9, s24
	s_cbranch_execz .LBB10_537
.LBB10_536:                             ;   in Loop: Header=BB10_3 Depth=1
	ds_load_b32 v25, v32 offset:8064
	ds_load_b32 v26, v1 offset:124
	s_wait_dscnt 0x0
	v_fmac_f32_e32 v24, v25, v26
.LBB10_537:                             ;   in Loop: Header=BB10_3 Depth=1
	s_or_b32 exec_lo, exec_lo, s9
	s_delay_alu instid0(VALU_DEP_1)
	v_xor_b32_e32 v24, 0x80000000, v24
.LBB10_538:                             ;   in Loop: Header=BB10_3 Depth=1
	s_or_b32 exec_lo, exec_lo, s96
	s_delay_alu instid0(SALU_CYCLE_1) | instskip(SKIP_2) | instid1(SALU_CYCLE_1)
	s_mov_b32 s9, exec_lo
	v_readlane_b32 s10, v76, 8
	s_and_b32 s10, s9, s10
	s_mov_b32 exec_lo, s10
	s_cbranch_execz .LBB10_540
; %bb.539:                              ;   in Loop: Header=BB10_3 Depth=1
	ds_load_b32 v25, v1 offset:8320
	s_wait_dscnt 0x0
	v_mul_f32_e32 v24, v24, v25
	ds_store_b32 v51, v24
.LBB10_540:                             ;   in Loop: Header=BB10_3 Depth=1
	s_or_b32 exec_lo, exec_lo, s9
	s_wait_dscnt 0x0
	s_barrier_signal -1
	s_barrier_wait -1
	s_mov_b32 s9, exec_lo
	v_readlane_b32 s10, v76, 9
	s_and_b32 s10, s9, s10
	s_delay_alu instid0(SALU_CYCLE_1)
	s_mov_b32 exec_lo, s10
	s_cbranch_execz .LBB10_542
; %bb.541:                              ;   in Loop: Header=BB10_3 Depth=1
	ds_load_b32 v25, v50 offset:8320
	ds_load_b32 v26, v51
	s_wait_dscnt 0x0
	v_fmac_f32_e32 v24, v25, v26
.LBB10_542:                             ;   in Loop: Header=BB10_3 Depth=1
	s_or_b32 exec_lo, exec_lo, s9
	s_barrier_signal -1
	s_barrier_wait -1
	s_mov_b32 s9, exec_lo
	v_readlane_b32 s10, v76, 10
	s_and_b32 s10, s9, s10
	s_delay_alu instid0(SALU_CYCLE_1)
	s_mov_b32 exec_lo, s10
	s_cbranch_execz .LBB10_544
; %bb.543:                              ;   in Loop: Header=BB10_3 Depth=1
	ds_load_b32 v25, v1 offset:8580
	s_wait_dscnt 0x0
	v_mul_f32_e32 v24, v24, v25
	ds_store_b32 v51, v24
.LBB10_544:                             ;   in Loop: Header=BB10_3 Depth=1
	s_or_b32 exec_lo, exec_lo, s9
	s_wait_dscnt 0x0
	s_barrier_signal -1
	s_barrier_wait -1
	s_mov_b32 s9, exec_lo
	v_readlane_b32 s10, v76, 11
	s_and_b32 s10, s9, s10
	s_delay_alu instid0(SALU_CYCLE_1)
	s_mov_b32 exec_lo, s10
	s_cbranch_execz .LBB10_546
; %bb.545:                              ;   in Loop: Header=BB10_3 Depth=1
	ds_load_b32 v25, v50 offset:8576
	ds_load_b32 v26, v51
	s_wait_dscnt 0x0
	v_fmac_f32_e32 v24, v25, v26
.LBB10_546:                             ;   in Loop: Header=BB10_3 Depth=1
	s_or_b32 exec_lo, exec_lo, s9
	s_barrier_signal -1
	s_barrier_wait -1
	s_mov_b32 s9, exec_lo
	v_readlane_b32 s10, v76, 12
	s_and_b32 s10, s9, s10
	s_delay_alu instid0(SALU_CYCLE_1)
	;; [unrolled: 31-line block ×30, first 2 shown]
	s_mov_b32 exec_lo, s10
	s_cbranch_execz .LBB10_660
; %bb.659:                              ;   in Loop: Header=BB10_3 Depth=1
	ds_load_b32 v25, v1 offset:16120
	s_wait_dscnt 0x0
	v_mul_f32_e32 v24, v24, v25
	ds_store_b32 v51, v24
.LBB10_660:                             ;   in Loop: Header=BB10_3 Depth=1
	s_or_b32 exec_lo, exec_lo, s9
	s_wait_dscnt 0x0
	s_barrier_signal -1
	s_barrier_wait -1
	s_and_saveexec_b32 s9, s13
	s_cbranch_execz .LBB10_662
; %bb.661:                              ;   in Loop: Header=BB10_3 Depth=1
	ds_load_b32 v25, v1 offset:16124
	ds_load_b32 v26, v51
	s_wait_dscnt 0x0
	v_fmac_f32_e32 v24, v25, v26
.LBB10_662:                             ;   in Loop: Header=BB10_3 Depth=1
	s_or_b32 exec_lo, exec_lo, s9
	s_barrier_signal -1
	s_barrier_wait -1
	s_and_saveexec_b32 s9, s13
	s_cbranch_execz .LBB10_664
; %bb.663:                              ;   in Loop: Header=BB10_3 Depth=1
	ds_load_b32 v25, v1 offset:16380
	s_wait_dscnt 0x0
	v_mul_f32_e32 v24, v24, v25
	ds_store_b32 v51, v24
.LBB10_664:                             ;   in Loop: Header=BB10_3 Depth=1
	s_or_b32 exec_lo, exec_lo, s9
	s_wait_dscnt 0x0
	s_barrier_signal -1
	s_barrier_wait -1
	s_barrier_signal -1
	s_barrier_wait -1
	s_and_saveexec_b32 s9, s6
; %bb.665:                              ;   in Loop: Header=BB10_3 Depth=1
	v_xor_b32_e32 v24, 0x80000000, v24
	ds_store_b32 v52, v24 offset:128
; %bb.666:                              ;   in Loop: Header=BB10_3 Depth=1
	s_or_b32 exec_lo, exec_lo, s9
	s_wait_dscnt 0x0
	s_barrier_signal -1
	s_barrier_wait -1
	s_barrier_signal -1
	s_barrier_wait -1
	s_and_saveexec_b32 s9, s17
	s_cbranch_execz .LBB10_668
; %bb.667:                              ;   in Loop: Header=BB10_3 Depth=1
	ds_load_b64 v[24:25], v1 offset:8320
	ds_load_b32 v26, v1 offset:8580
	s_wait_dscnt 0x0
	v_mul_f32_e32 v24, v24, v26
	s_delay_alu instid0(VALU_DEP_1)
	v_mul_f32_e32 v24, v25, v24
	ds_store_b32 v1, v24 offset:8324
.LBB10_668:                             ;   in Loop: Header=BB10_3 Depth=1
	s_or_b32 exec_lo, exec_lo, s9
	v_mov_b32_e32 v24, 0
	s_wait_dscnt 0x0
	s_barrier_signal -1
	s_barrier_wait -1
	s_and_saveexec_b32 s96, s2
	s_cbranch_execz .LBB10_672
; %bb.669:                              ;   in Loop: Header=BB10_3 Depth=1
	ds_load_b32 v24, v30 offset:8328
	ds_load_b32 v25, v31 offset:8320
	s_wait_dscnt 0x0
	v_fma_f32 v24, v24, v25, 0
	s_and_saveexec_b32 s9, s18
	s_cbranch_execz .LBB10_671
; %bb.670:                              ;   in Loop: Header=BB10_3 Depth=1
	ds_load_b32 v25, v32 offset:8584
	ds_load_b32 v26, v1 offset:8324
	s_wait_dscnt 0x0
	v_fmac_f32_e32 v24, v25, v26
.LBB10_671:                             ;   in Loop: Header=BB10_3 Depth=1
	s_or_b32 exec_lo, exec_lo, s9
	s_delay_alu instid0(VALU_DEP_1)
	v_xor_b32_e32 v24, 0x80000000, v24
.LBB10_672:                             ;   in Loop: Header=BB10_3 Depth=1
	s_or_b32 exec_lo, exec_lo, s96
	s_and_saveexec_b32 s9, vcc_hi
	s_cbranch_execz .LBB10_674
; %bb.673:                              ;   in Loop: Header=BB10_3 Depth=1
	ds_load_b32 v25, v1 offset:8840
	s_wait_dscnt 0x0
	v_mul_f32_e32 v24, v24, v25
	ds_store_b32 v3, v24
.LBB10_674:                             ;   in Loop: Header=BB10_3 Depth=1
	s_or_b32 exec_lo, exec_lo, s9
	s_wait_dscnt 0x0
	s_barrier_signal -1
	s_barrier_wait -1
	s_and_saveexec_b32 s9, s38
	s_cbranch_execz .LBB10_676
; %bb.675:                              ;   in Loop: Header=BB10_3 Depth=1
	ds_load_b32 v25, v1 offset:8844
	ds_load_b32 v26, v3
	s_wait_dscnt 0x0
	v_fmac_f32_e32 v24, v25, v26
.LBB10_676:                             ;   in Loop: Header=BB10_3 Depth=1
	s_or_b32 exec_lo, exec_lo, s9
	s_barrier_signal -1
	s_barrier_wait -1
	s_and_saveexec_b32 s9, s38
	s_cbranch_execz .LBB10_678
; %bb.677:                              ;   in Loop: Header=BB10_3 Depth=1
	ds_load_b32 v25, v1 offset:9100
	s_wait_dscnt 0x0
	v_mul_f32_e32 v24, v24, v25
	ds_store_b32 v3, v24
.LBB10_678:                             ;   in Loop: Header=BB10_3 Depth=1
	s_or_b32 exec_lo, exec_lo, s9
	s_wait_dscnt 0x0
	s_barrier_signal -1
	s_barrier_wait -1
	s_barrier_signal -1
	s_barrier_wait -1
	s_and_saveexec_b32 s9, s2
; %bb.679:                              ;   in Loop: Header=BB10_3 Depth=1
	v_xor_b32_e32 v24, 0x80000000, v24
	ds_store_b32 v30, v24 offset:8328
; %bb.680:                              ;   in Loop: Header=BB10_3 Depth=1
	s_or_b32 exec_lo, exec_lo, s9
	s_wait_dscnt 0x0
	s_barrier_signal -1
	s_barrier_wait -1
	s_barrier_signal -1
	s_barrier_wait -1
	s_and_saveexec_b32 s9, s17
	s_cbranch_execz .LBB10_682
; %bb.681:                              ;   in Loop: Header=BB10_3 Depth=1
	ds_load_b64 v[24:25], v1 offset:8840
	ds_load_b32 v26, v1 offset:9100
	s_wait_dscnt 0x0
	v_mul_f32_e32 v24, v24, v26
	s_delay_alu instid0(VALU_DEP_1)
	v_mul_f32_e32 v24, v25, v24
	ds_store_b32 v1, v24 offset:8844
.LBB10_682:                             ;   in Loop: Header=BB10_3 Depth=1
	s_or_b32 exec_lo, exec_lo, s9
	v_mov_b32_e32 v24, 0
	s_wait_dscnt 0x0
	s_barrier_signal -1
	s_barrier_wait -1
	s_and_saveexec_b32 s96, s3
	s_cbranch_execz .LBB10_688
; %bb.683:                              ;   in Loop: Header=BB10_3 Depth=1
	ds_load_b32 v24, v36 offset:8336
	ds_load_b32 v25, v33 offset:8320
	s_wait_dscnt 0x0
	v_fma_f32 v24, v24, v25, 0
	s_and_saveexec_b32 s9, s19
	s_cbranch_execnz .LBB10_1171
; %bb.684:                              ;   in Loop: Header=BB10_3 Depth=1
	s_or_b32 exec_lo, exec_lo, s9
	s_and_saveexec_b32 s9, s20
	s_cbranch_execnz .LBB10_1172
.LBB10_685:                             ;   in Loop: Header=BB10_3 Depth=1
	s_or_b32 exec_lo, exec_lo, s9
	s_and_saveexec_b32 s9, s2
	s_cbranch_execz .LBB10_687
.LBB10_686:                             ;   in Loop: Header=BB10_3 Depth=1
	ds_load_b32 v25, v32 offset:9104
	ds_load_b32 v26, v1 offset:8332
	s_wait_dscnt 0x0
	v_fmac_f32_e32 v24, v25, v26
.LBB10_687:                             ;   in Loop: Header=BB10_3 Depth=1
	s_or_b32 exec_lo, exec_lo, s9
	s_delay_alu instid0(VALU_DEP_1)
	v_xor_b32_e32 v24, 0x80000000, v24
.LBB10_688:                             ;   in Loop: Header=BB10_3 Depth=1
	s_or_b32 exec_lo, exec_lo, s96
	s_and_saveexec_b32 s9, s39
	s_cbranch_execz .LBB10_690
; %bb.689:                              ;   in Loop: Header=BB10_3 Depth=1
	ds_load_b32 v25, v1 offset:9360
	s_wait_dscnt 0x0
	v_mul_f32_e32 v24, v24, v25
	ds_store_b32 v35, v24
.LBB10_690:                             ;   in Loop: Header=BB10_3 Depth=1
	s_or_b32 exec_lo, exec_lo, s9
	s_wait_dscnt 0x0
	s_barrier_signal -1
	s_barrier_wait -1
	s_and_saveexec_b32 s9, s40
	s_cbranch_execz .LBB10_692
; %bb.691:                              ;   in Loop: Header=BB10_3 Depth=1
	ds_load_b32 v25, v34 offset:9360
	ds_load_b32 v26, v35
	s_wait_dscnt 0x0
	v_fmac_f32_e32 v24, v25, v26
.LBB10_692:                             ;   in Loop: Header=BB10_3 Depth=1
	s_or_b32 exec_lo, exec_lo, s9
	s_barrier_signal -1
	s_barrier_wait -1
	s_and_saveexec_b32 s9, s41
	s_cbranch_execz .LBB10_694
; %bb.693:                              ;   in Loop: Header=BB10_3 Depth=1
	ds_load_b32 v25, v1 offset:9620
	s_wait_dscnt 0x0
	v_mul_f32_e32 v24, v24, v25
	ds_store_b32 v35, v24
.LBB10_694:                             ;   in Loop: Header=BB10_3 Depth=1
	s_or_b32 exec_lo, exec_lo, s9
	s_wait_dscnt 0x0
	s_barrier_signal -1
	s_barrier_wait -1
	s_and_saveexec_b32 s9, s42
	s_cbranch_execz .LBB10_696
; %bb.695:                              ;   in Loop: Header=BB10_3 Depth=1
	ds_load_b32 v25, v34 offset:9616
	ds_load_b32 v26, v35
	s_wait_dscnt 0x0
	v_fmac_f32_e32 v24, v25, v26
.LBB10_696:                             ;   in Loop: Header=BB10_3 Depth=1
	s_or_b32 exec_lo, exec_lo, s9
	s_barrier_signal -1
	s_barrier_wait -1
	;; [unrolled: 23-line block ×3, first 2 shown]
	s_and_saveexec_b32 s9, s44
	s_cbranch_execz .LBB10_702
; %bb.701:                              ;   in Loop: Header=BB10_3 Depth=1
	ds_load_b32 v25, v1 offset:10140
	s_wait_dscnt 0x0
	v_mul_f32_e32 v24, v24, v25
	ds_store_b32 v35, v24
.LBB10_702:                             ;   in Loop: Header=BB10_3 Depth=1
	s_or_b32 exec_lo, exec_lo, s9
	s_wait_dscnt 0x0
	s_barrier_signal -1
	s_barrier_wait -1
	s_barrier_signal -1
	s_barrier_wait -1
	s_and_saveexec_b32 s9, s3
; %bb.703:                              ;   in Loop: Header=BB10_3 Depth=1
	v_xor_b32_e32 v24, 0x80000000, v24
	ds_store_b32 v36, v24 offset:8336
; %bb.704:                              ;   in Loop: Header=BB10_3 Depth=1
	s_or_b32 exec_lo, exec_lo, s9
	s_wait_dscnt 0x0
	s_barrier_signal -1
	s_barrier_wait -1
	s_barrier_signal -1
	s_barrier_wait -1
	s_and_saveexec_b32 s9, s17
	s_cbranch_execz .LBB10_706
; %bb.705:                              ;   in Loop: Header=BB10_3 Depth=1
	ds_load_b64 v[24:25], v1 offset:9360
	ds_load_b32 v26, v1 offset:9620
	s_wait_dscnt 0x0
	v_mul_f32_e32 v24, v24, v26
	s_delay_alu instid0(VALU_DEP_1)
	v_mul_f32_e32 v24, v25, v24
	ds_store_b32 v1, v24 offset:9364
.LBB10_706:                             ;   in Loop: Header=BB10_3 Depth=1
	s_or_b32 exec_lo, exec_lo, s9
	v_mov_b32_e32 v24, 0
	s_wait_dscnt 0x0
	s_barrier_signal -1
	s_barrier_wait -1
	s_and_saveexec_b32 s96, s2
	s_cbranch_execz .LBB10_710
; %bb.707:                              ;   in Loop: Header=BB10_3 Depth=1
	ds_load_b32 v24, v30 offset:9368
	ds_load_b32 v25, v31 offset:9360
	s_wait_dscnt 0x0
	v_fma_f32 v24, v24, v25, 0
	s_and_saveexec_b32 s9, s18
	s_cbranch_execz .LBB10_709
; %bb.708:                              ;   in Loop: Header=BB10_3 Depth=1
	ds_load_b32 v25, v32 offset:9624
	ds_load_b32 v26, v1 offset:9364
	s_wait_dscnt 0x0
	v_fmac_f32_e32 v24, v25, v26
.LBB10_709:                             ;   in Loop: Header=BB10_3 Depth=1
	s_or_b32 exec_lo, exec_lo, s9
	s_delay_alu instid0(VALU_DEP_1)
	v_xor_b32_e32 v24, 0x80000000, v24
.LBB10_710:                             ;   in Loop: Header=BB10_3 Depth=1
	s_or_b32 exec_lo, exec_lo, s96
	s_and_saveexec_b32 s9, vcc_hi
	s_cbranch_execz .LBB10_712
; %bb.711:                              ;   in Loop: Header=BB10_3 Depth=1
	ds_load_b32 v25, v1 offset:9880
	s_wait_dscnt 0x0
	v_mul_f32_e32 v24, v24, v25
	ds_store_b32 v3, v24
.LBB10_712:                             ;   in Loop: Header=BB10_3 Depth=1
	s_or_b32 exec_lo, exec_lo, s9
	s_wait_dscnt 0x0
	s_barrier_signal -1
	s_barrier_wait -1
	s_and_saveexec_b32 s9, s38
	s_cbranch_execz .LBB10_714
; %bb.713:                              ;   in Loop: Header=BB10_3 Depth=1
	ds_load_b32 v25, v1 offset:9884
	ds_load_b32 v26, v3
	s_wait_dscnt 0x0
	v_fmac_f32_e32 v24, v25, v26
.LBB10_714:                             ;   in Loop: Header=BB10_3 Depth=1
	s_or_b32 exec_lo, exec_lo, s9
	s_barrier_signal -1
	s_barrier_wait -1
	s_and_saveexec_b32 s9, s38
	s_cbranch_execz .LBB10_716
; %bb.715:                              ;   in Loop: Header=BB10_3 Depth=1
	ds_load_b32 v25, v1 offset:10140
	s_wait_dscnt 0x0
	v_mul_f32_e32 v24, v24, v25
	ds_store_b32 v3, v24
.LBB10_716:                             ;   in Loop: Header=BB10_3 Depth=1
	s_or_b32 exec_lo, exec_lo, s9
	s_wait_dscnt 0x0
	s_barrier_signal -1
	s_barrier_wait -1
	s_barrier_signal -1
	s_barrier_wait -1
	s_and_saveexec_b32 s9, s2
; %bb.717:                              ;   in Loop: Header=BB10_3 Depth=1
	v_xor_b32_e32 v24, 0x80000000, v24
	ds_store_b32 v30, v24 offset:9368
; %bb.718:                              ;   in Loop: Header=BB10_3 Depth=1
	s_or_b32 exec_lo, exec_lo, s9
	s_wait_dscnt 0x0
	s_barrier_signal -1
	s_barrier_wait -1
	s_barrier_signal -1
	s_barrier_wait -1
	s_and_saveexec_b32 s9, s17
	s_cbranch_execz .LBB10_720
; %bb.719:                              ;   in Loop: Header=BB10_3 Depth=1
	ds_load_b64 v[24:25], v1 offset:9880
	ds_load_b32 v26, v1 offset:10140
	s_wait_dscnt 0x0
	v_mul_f32_e32 v24, v24, v26
	s_delay_alu instid0(VALU_DEP_1)
	v_mul_f32_e32 v24, v25, v24
	ds_store_b32 v1, v24 offset:9884
.LBB10_720:                             ;   in Loop: Header=BB10_3 Depth=1
	s_or_b32 exec_lo, exec_lo, s9
	v_mov_b32_e32 v24, 0
	s_wait_dscnt 0x0
	s_barrier_signal -1
	s_barrier_wait -1
	s_and_saveexec_b32 s96, s4
	s_cbranch_execz .LBB10_730
; %bb.721:                              ;   in Loop: Header=BB10_3 Depth=1
	ds_load_b32 v24, v41 offset:8352
	ds_load_b32 v25, v38 offset:8320
	s_wait_dscnt 0x0
	v_fma_f32 v24, v24, v25, 0
	s_and_saveexec_b32 s9, s21
	s_cbranch_execnz .LBB10_1173
; %bb.722:                              ;   in Loop: Header=BB10_3 Depth=1
	s_or_b32 exec_lo, exec_lo, s9
	s_and_saveexec_b32 s9, s22
	s_cbranch_execnz .LBB10_1174
.LBB10_723:                             ;   in Loop: Header=BB10_3 Depth=1
	s_or_b32 exec_lo, exec_lo, s9
	s_and_saveexec_b32 s9, s23
	s_cbranch_execnz .LBB10_1175
.LBB10_724:                             ;   in Loop: Header=BB10_3 Depth=1
	s_or_b32 exec_lo, exec_lo, s9
	s_and_saveexec_b32 s9, s24
	s_cbranch_execnz .LBB10_1176
.LBB10_725:                             ;   in Loop: Header=BB10_3 Depth=1
	s_or_b32 exec_lo, exec_lo, s9
	s_and_saveexec_b32 s9, s25
	s_cbranch_execnz .LBB10_1177
.LBB10_726:                             ;   in Loop: Header=BB10_3 Depth=1
	s_or_b32 exec_lo, exec_lo, s9
	s_and_saveexec_b32 s9, s3
	s_cbranch_execnz .LBB10_1178
.LBB10_727:                             ;   in Loop: Header=BB10_3 Depth=1
	s_or_b32 exec_lo, exec_lo, s9
	s_and_saveexec_b32 s9, s20
	s_cbranch_execz .LBB10_729
.LBB10_728:                             ;   in Loop: Header=BB10_3 Depth=1
	ds_load_b32 v25, v32 offset:10144
	ds_load_b32 v26, v1 offset:8348
	s_wait_dscnt 0x0
	v_fmac_f32_e32 v24, v25, v26
.LBB10_729:                             ;   in Loop: Header=BB10_3 Depth=1
	s_or_b32 exec_lo, exec_lo, s9
	s_delay_alu instid0(VALU_DEP_1)
	v_xor_b32_e32 v24, 0x80000000, v24
.LBB10_730:                             ;   in Loop: Header=BB10_3 Depth=1
	s_or_b32 exec_lo, exec_lo, s96
	s_and_saveexec_b32 s9, s45
	s_cbranch_execz .LBB10_732
; %bb.731:                              ;   in Loop: Header=BB10_3 Depth=1
	ds_load_b32 v25, v1 offset:10400
	s_wait_dscnt 0x0
	v_mul_f32_e32 v24, v24, v25
	ds_store_b32 v40, v24
.LBB10_732:                             ;   in Loop: Header=BB10_3 Depth=1
	s_or_b32 exec_lo, exec_lo, s9
	s_wait_dscnt 0x0
	s_barrier_signal -1
	s_barrier_wait -1
	s_and_saveexec_b32 s9, s46
	s_cbranch_execz .LBB10_734
; %bb.733:                              ;   in Loop: Header=BB10_3 Depth=1
	ds_load_b32 v25, v39 offset:10400
	ds_load_b32 v26, v40
	s_wait_dscnt 0x0
	v_fmac_f32_e32 v24, v25, v26
.LBB10_734:                             ;   in Loop: Header=BB10_3 Depth=1
	s_or_b32 exec_lo, exec_lo, s9
	s_barrier_signal -1
	s_barrier_wait -1
	s_and_saveexec_b32 s9, s47
	s_cbranch_execz .LBB10_736
; %bb.735:                              ;   in Loop: Header=BB10_3 Depth=1
	ds_load_b32 v25, v1 offset:10660
	s_wait_dscnt 0x0
	v_mul_f32_e32 v24, v24, v25
	ds_store_b32 v40, v24
.LBB10_736:                             ;   in Loop: Header=BB10_3 Depth=1
	s_or_b32 exec_lo, exec_lo, s9
	s_wait_dscnt 0x0
	s_barrier_signal -1
	s_barrier_wait -1
	s_and_saveexec_b32 s9, s48
	s_cbranch_execz .LBB10_738
; %bb.737:                              ;   in Loop: Header=BB10_3 Depth=1
	ds_load_b32 v25, v39 offset:10656
	ds_load_b32 v26, v40
	s_wait_dscnt 0x0
	v_fmac_f32_e32 v24, v25, v26
.LBB10_738:                             ;   in Loop: Header=BB10_3 Depth=1
	s_or_b32 exec_lo, exec_lo, s9
	s_barrier_signal -1
	s_barrier_wait -1
	;; [unrolled: 23-line block ×7, first 2 shown]
	s_and_saveexec_b32 s9, s58
	s_cbranch_execz .LBB10_760
; %bb.759:                              ;   in Loop: Header=BB10_3 Depth=1
	ds_load_b32 v25, v1 offset:12220
	s_wait_dscnt 0x0
	v_mul_f32_e32 v24, v24, v25
	ds_store_b32 v40, v24
.LBB10_760:                             ;   in Loop: Header=BB10_3 Depth=1
	s_or_b32 exec_lo, exec_lo, s9
	s_wait_dscnt 0x0
	s_barrier_signal -1
	s_barrier_wait -1
	s_barrier_signal -1
	s_barrier_wait -1
	s_and_saveexec_b32 s9, s4
; %bb.761:                              ;   in Loop: Header=BB10_3 Depth=1
	v_xor_b32_e32 v24, 0x80000000, v24
	ds_store_b32 v41, v24 offset:8352
; %bb.762:                              ;   in Loop: Header=BB10_3 Depth=1
	s_or_b32 exec_lo, exec_lo, s9
	s_wait_dscnt 0x0
	s_barrier_signal -1
	s_barrier_wait -1
	s_barrier_signal -1
	s_barrier_wait -1
	s_and_saveexec_b32 s9, s17
	s_cbranch_execz .LBB10_764
; %bb.763:                              ;   in Loop: Header=BB10_3 Depth=1
	ds_load_b64 v[24:25], v1 offset:10400
	ds_load_b32 v26, v1 offset:10660
	s_wait_dscnt 0x0
	v_mul_f32_e32 v24, v24, v26
	s_delay_alu instid0(VALU_DEP_1)
	v_mul_f32_e32 v24, v25, v24
	ds_store_b32 v1, v24 offset:10404
.LBB10_764:                             ;   in Loop: Header=BB10_3 Depth=1
	s_or_b32 exec_lo, exec_lo, s9
	v_mov_b32_e32 v24, 0
	s_wait_dscnt 0x0
	s_barrier_signal -1
	s_barrier_wait -1
	s_and_saveexec_b32 s96, s2
	s_cbranch_execz .LBB10_768
; %bb.765:                              ;   in Loop: Header=BB10_3 Depth=1
	ds_load_b32 v24, v30 offset:10408
	ds_load_b32 v25, v31 offset:10400
	s_wait_dscnt 0x0
	v_fma_f32 v24, v24, v25, 0
	s_and_saveexec_b32 s9, s18
	s_cbranch_execz .LBB10_767
; %bb.766:                              ;   in Loop: Header=BB10_3 Depth=1
	ds_load_b32 v25, v32 offset:10664
	ds_load_b32 v26, v1 offset:10404
	s_wait_dscnt 0x0
	v_fmac_f32_e32 v24, v25, v26
.LBB10_767:                             ;   in Loop: Header=BB10_3 Depth=1
	s_or_b32 exec_lo, exec_lo, s9
	s_delay_alu instid0(VALU_DEP_1)
	v_xor_b32_e32 v24, 0x80000000, v24
.LBB10_768:                             ;   in Loop: Header=BB10_3 Depth=1
	s_or_b32 exec_lo, exec_lo, s96
	s_and_saveexec_b32 s9, vcc_hi
	s_cbranch_execz .LBB10_770
; %bb.769:                              ;   in Loop: Header=BB10_3 Depth=1
	ds_load_b32 v25, v1 offset:10920
	s_wait_dscnt 0x0
	v_mul_f32_e32 v24, v24, v25
	ds_store_b32 v3, v24
.LBB10_770:                             ;   in Loop: Header=BB10_3 Depth=1
	s_or_b32 exec_lo, exec_lo, s9
	s_wait_dscnt 0x0
	s_barrier_signal -1
	s_barrier_wait -1
	s_and_saveexec_b32 s9, s38
	s_cbranch_execz .LBB10_772
; %bb.771:                              ;   in Loop: Header=BB10_3 Depth=1
	ds_load_b32 v25, v1 offset:10924
	ds_load_b32 v26, v3
	s_wait_dscnt 0x0
	v_fmac_f32_e32 v24, v25, v26
.LBB10_772:                             ;   in Loop: Header=BB10_3 Depth=1
	s_or_b32 exec_lo, exec_lo, s9
	s_barrier_signal -1
	s_barrier_wait -1
	s_and_saveexec_b32 s9, s38
	s_cbranch_execz .LBB10_774
; %bb.773:                              ;   in Loop: Header=BB10_3 Depth=1
	ds_load_b32 v25, v1 offset:11180
	s_wait_dscnt 0x0
	v_mul_f32_e32 v24, v24, v25
	ds_store_b32 v3, v24
.LBB10_774:                             ;   in Loop: Header=BB10_3 Depth=1
	s_or_b32 exec_lo, exec_lo, s9
	s_wait_dscnt 0x0
	s_barrier_signal -1
	s_barrier_wait -1
	s_barrier_signal -1
	s_barrier_wait -1
	s_and_saveexec_b32 s9, s2
; %bb.775:                              ;   in Loop: Header=BB10_3 Depth=1
	v_xor_b32_e32 v24, 0x80000000, v24
	ds_store_b32 v30, v24 offset:10408
; %bb.776:                              ;   in Loop: Header=BB10_3 Depth=1
	s_or_b32 exec_lo, exec_lo, s9
	s_wait_dscnt 0x0
	s_barrier_signal -1
	s_barrier_wait -1
	s_barrier_signal -1
	s_barrier_wait -1
	s_and_saveexec_b32 s9, s17
	s_cbranch_execz .LBB10_778
; %bb.777:                              ;   in Loop: Header=BB10_3 Depth=1
	ds_load_b64 v[24:25], v1 offset:10920
	ds_load_b32 v26, v1 offset:11180
	s_wait_dscnt 0x0
	v_mul_f32_e32 v24, v24, v26
	s_delay_alu instid0(VALU_DEP_1)
	v_mul_f32_e32 v24, v25, v24
	ds_store_b32 v1, v24 offset:10924
.LBB10_778:                             ;   in Loop: Header=BB10_3 Depth=1
	s_or_b32 exec_lo, exec_lo, s9
	v_mov_b32_e32 v24, 0
	s_wait_dscnt 0x0
	s_barrier_signal -1
	s_barrier_wait -1
	s_and_saveexec_b32 s96, s3
	s_cbranch_execz .LBB10_784
; %bb.779:                              ;   in Loop: Header=BB10_3 Depth=1
	ds_load_b32 v24, v36 offset:10416
	ds_load_b32 v25, v33 offset:10400
	s_wait_dscnt 0x0
	v_fma_f32 v24, v24, v25, 0
	s_and_saveexec_b32 s9, s19
	s_cbranch_execnz .LBB10_1179
; %bb.780:                              ;   in Loop: Header=BB10_3 Depth=1
	s_or_b32 exec_lo, exec_lo, s9
	s_and_saveexec_b32 s9, s20
	s_cbranch_execnz .LBB10_1180
.LBB10_781:                             ;   in Loop: Header=BB10_3 Depth=1
	s_or_b32 exec_lo, exec_lo, s9
	s_and_saveexec_b32 s9, s2
	s_cbranch_execz .LBB10_783
.LBB10_782:                             ;   in Loop: Header=BB10_3 Depth=1
	ds_load_b32 v25, v32 offset:11184
	ds_load_b32 v26, v1 offset:10412
	s_wait_dscnt 0x0
	v_fmac_f32_e32 v24, v25, v26
.LBB10_783:                             ;   in Loop: Header=BB10_3 Depth=1
	s_or_b32 exec_lo, exec_lo, s9
	s_delay_alu instid0(VALU_DEP_1)
	v_xor_b32_e32 v24, 0x80000000, v24
.LBB10_784:                             ;   in Loop: Header=BB10_3 Depth=1
	s_or_b32 exec_lo, exec_lo, s96
	s_and_saveexec_b32 s9, s39
	s_cbranch_execz .LBB10_786
; %bb.785:                              ;   in Loop: Header=BB10_3 Depth=1
	ds_load_b32 v25, v1 offset:11440
	s_wait_dscnt 0x0
	v_mul_f32_e32 v24, v24, v25
	ds_store_b32 v35, v24
.LBB10_786:                             ;   in Loop: Header=BB10_3 Depth=1
	s_or_b32 exec_lo, exec_lo, s9
	s_wait_dscnt 0x0
	s_barrier_signal -1
	s_barrier_wait -1
	s_and_saveexec_b32 s9, s40
	s_cbranch_execz .LBB10_788
; %bb.787:                              ;   in Loop: Header=BB10_3 Depth=1
	ds_load_b32 v25, v34 offset:11440
	ds_load_b32 v26, v35
	s_wait_dscnt 0x0
	v_fmac_f32_e32 v24, v25, v26
.LBB10_788:                             ;   in Loop: Header=BB10_3 Depth=1
	s_or_b32 exec_lo, exec_lo, s9
	s_barrier_signal -1
	s_barrier_wait -1
	s_and_saveexec_b32 s9, s41
	s_cbranch_execz .LBB10_790
; %bb.789:                              ;   in Loop: Header=BB10_3 Depth=1
	ds_load_b32 v25, v1 offset:11700
	s_wait_dscnt 0x0
	v_mul_f32_e32 v24, v24, v25
	ds_store_b32 v35, v24
.LBB10_790:                             ;   in Loop: Header=BB10_3 Depth=1
	s_or_b32 exec_lo, exec_lo, s9
	s_wait_dscnt 0x0
	s_barrier_signal -1
	s_barrier_wait -1
	s_and_saveexec_b32 s9, s42
	s_cbranch_execz .LBB10_792
; %bb.791:                              ;   in Loop: Header=BB10_3 Depth=1
	ds_load_b32 v25, v34 offset:11696
	ds_load_b32 v26, v35
	s_wait_dscnt 0x0
	v_fmac_f32_e32 v24, v25, v26
.LBB10_792:                             ;   in Loop: Header=BB10_3 Depth=1
	s_or_b32 exec_lo, exec_lo, s9
	s_barrier_signal -1
	s_barrier_wait -1
	;; [unrolled: 23-line block ×3, first 2 shown]
	s_and_saveexec_b32 s9, s44
	s_cbranch_execz .LBB10_798
; %bb.797:                              ;   in Loop: Header=BB10_3 Depth=1
	ds_load_b32 v25, v1 offset:12220
	s_wait_dscnt 0x0
	v_mul_f32_e32 v24, v24, v25
	ds_store_b32 v35, v24
.LBB10_798:                             ;   in Loop: Header=BB10_3 Depth=1
	s_or_b32 exec_lo, exec_lo, s9
	s_wait_dscnt 0x0
	s_barrier_signal -1
	s_barrier_wait -1
	s_barrier_signal -1
	s_barrier_wait -1
	s_and_saveexec_b32 s9, s3
; %bb.799:                              ;   in Loop: Header=BB10_3 Depth=1
	v_xor_b32_e32 v24, 0x80000000, v24
	ds_store_b32 v36, v24 offset:10416
; %bb.800:                              ;   in Loop: Header=BB10_3 Depth=1
	s_or_b32 exec_lo, exec_lo, s9
	s_wait_dscnt 0x0
	s_barrier_signal -1
	s_barrier_wait -1
	s_barrier_signal -1
	s_barrier_wait -1
	s_and_saveexec_b32 s9, s17
	s_cbranch_execz .LBB10_802
; %bb.801:                              ;   in Loop: Header=BB10_3 Depth=1
	ds_load_b64 v[24:25], v1 offset:11440
	ds_load_b32 v26, v1 offset:11700
	s_wait_dscnt 0x0
	v_mul_f32_e32 v24, v24, v26
	s_delay_alu instid0(VALU_DEP_1)
	v_mul_f32_e32 v24, v25, v24
	ds_store_b32 v1, v24 offset:11444
.LBB10_802:                             ;   in Loop: Header=BB10_3 Depth=1
	s_or_b32 exec_lo, exec_lo, s9
	v_mov_b32_e32 v24, 0
	s_wait_dscnt 0x0
	s_barrier_signal -1
	s_barrier_wait -1
	s_and_saveexec_b32 s96, s2
	s_cbranch_execz .LBB10_806
; %bb.803:                              ;   in Loop: Header=BB10_3 Depth=1
	ds_load_b32 v24, v30 offset:11448
	ds_load_b32 v25, v31 offset:11440
	s_wait_dscnt 0x0
	v_fma_f32 v24, v24, v25, 0
	s_and_saveexec_b32 s9, s18
	s_cbranch_execz .LBB10_805
; %bb.804:                              ;   in Loop: Header=BB10_3 Depth=1
	ds_load_b32 v25, v32 offset:11704
	ds_load_b32 v26, v1 offset:11444
	s_wait_dscnt 0x0
	v_fmac_f32_e32 v24, v25, v26
.LBB10_805:                             ;   in Loop: Header=BB10_3 Depth=1
	s_or_b32 exec_lo, exec_lo, s9
	s_delay_alu instid0(VALU_DEP_1)
	v_xor_b32_e32 v24, 0x80000000, v24
.LBB10_806:                             ;   in Loop: Header=BB10_3 Depth=1
	s_or_b32 exec_lo, exec_lo, s96
	s_and_saveexec_b32 s9, vcc_hi
	s_cbranch_execz .LBB10_808
; %bb.807:                              ;   in Loop: Header=BB10_3 Depth=1
	ds_load_b32 v25, v1 offset:11960
	s_wait_dscnt 0x0
	v_mul_f32_e32 v24, v24, v25
	ds_store_b32 v3, v24
.LBB10_808:                             ;   in Loop: Header=BB10_3 Depth=1
	s_or_b32 exec_lo, exec_lo, s9
	s_wait_dscnt 0x0
	s_barrier_signal -1
	s_barrier_wait -1
	s_and_saveexec_b32 s9, s38
	s_cbranch_execz .LBB10_810
; %bb.809:                              ;   in Loop: Header=BB10_3 Depth=1
	ds_load_b32 v25, v1 offset:11964
	ds_load_b32 v26, v3
	s_wait_dscnt 0x0
	v_fmac_f32_e32 v24, v25, v26
.LBB10_810:                             ;   in Loop: Header=BB10_3 Depth=1
	s_or_b32 exec_lo, exec_lo, s9
	s_barrier_signal -1
	s_barrier_wait -1
	s_and_saveexec_b32 s9, s38
	s_cbranch_execz .LBB10_812
; %bb.811:                              ;   in Loop: Header=BB10_3 Depth=1
	ds_load_b32 v25, v1 offset:12220
	s_wait_dscnt 0x0
	v_mul_f32_e32 v24, v24, v25
	ds_store_b32 v3, v24
.LBB10_812:                             ;   in Loop: Header=BB10_3 Depth=1
	s_or_b32 exec_lo, exec_lo, s9
	s_wait_dscnt 0x0
	s_barrier_signal -1
	s_barrier_wait -1
	s_barrier_signal -1
	s_barrier_wait -1
	s_and_saveexec_b32 s9, s2
; %bb.813:                              ;   in Loop: Header=BB10_3 Depth=1
	v_xor_b32_e32 v24, 0x80000000, v24
	ds_store_b32 v30, v24 offset:11448
; %bb.814:                              ;   in Loop: Header=BB10_3 Depth=1
	s_or_b32 exec_lo, exec_lo, s9
	s_wait_dscnt 0x0
	s_barrier_signal -1
	s_barrier_wait -1
	s_barrier_signal -1
	s_barrier_wait -1
	s_and_saveexec_b32 s9, s17
	s_cbranch_execz .LBB10_816
; %bb.815:                              ;   in Loop: Header=BB10_3 Depth=1
	ds_load_b64 v[24:25], v1 offset:11960
	ds_load_b32 v26, v1 offset:12220
	s_wait_dscnt 0x0
	v_mul_f32_e32 v24, v24, v26
	s_delay_alu instid0(VALU_DEP_1)
	v_mul_f32_e32 v24, v25, v24
	ds_store_b32 v1, v24 offset:11964
.LBB10_816:                             ;   in Loop: Header=BB10_3 Depth=1
	s_or_b32 exec_lo, exec_lo, s9
	v_mov_b32_e32 v24, 0
	s_wait_dscnt 0x0
	s_barrier_signal -1
	s_barrier_wait -1
	s_and_saveexec_b32 s96, s5
	s_cbranch_execz .LBB10_844
; %bb.817:                              ;   in Loop: Header=BB10_3 Depth=1
	ds_load_b32 v24, v46 offset:8384
	ds_load_b32 v25, v43 offset:8320
	s_wait_dscnt 0x0
	v_fma_f32 v24, v24, v25, 0
	s_mov_b32 s9, exec_lo
	v_readlane_b32 s10, v74, 27
	s_and_b32 s10, s9, s10
	s_delay_alu instid0(SALU_CYCLE_1)
	s_mov_b32 exec_lo, s10
	s_cbranch_execz .LBB10_819
; %bb.818:                              ;   in Loop: Header=BB10_3 Depth=1
	ds_load_b32 v25, v47 offset:8640
	ds_load_b32 v26, v43 offset:8324
	s_wait_dscnt 0x0
	v_fmac_f32_e32 v24, v25, v26
.LBB10_819:                             ;   in Loop: Header=BB10_3 Depth=1
	s_or_b32 exec_lo, exec_lo, s9
	s_delay_alu instid0(SALU_CYCLE_1) | instskip(SKIP_2) | instid1(SALU_CYCLE_1)
	s_mov_b32 s9, exec_lo
	v_readlane_b32 s10, v74, 28
	s_and_b32 s10, s9, s10
	s_mov_b32 exec_lo, s10
	s_cbranch_execz .LBB10_821
; %bb.820:                              ;   in Loop: Header=BB10_3 Depth=1
	ds_load_b32 v25, v47 offset:8896
	ds_load_b32 v26, v43 offset:8328
	s_wait_dscnt 0x0
	v_fmac_f32_e32 v24, v25, v26
.LBB10_821:                             ;   in Loop: Header=BB10_3 Depth=1
	s_or_b32 exec_lo, exec_lo, s9
	s_delay_alu instid0(SALU_CYCLE_1) | instskip(SKIP_2) | instid1(SALU_CYCLE_1)
	s_mov_b32 s9, exec_lo
	v_readlane_b32 s10, v74, 29
	s_and_b32 s10, s9, s10
	;; [unrolled: 13-line block ×6, first 2 shown]
	s_mov_b32 exec_lo, s10
	s_cbranch_execz .LBB10_831
; %bb.830:                              ;   in Loop: Header=BB10_3 Depth=1
	ds_load_b32 v25, v47 offset:10176
	ds_load_b32 v26, v43 offset:8348
	s_wait_dscnt 0x0
	v_fmac_f32_e32 v24, v25, v26
.LBB10_831:                             ;   in Loop: Header=BB10_3 Depth=1
	s_or_b32 exec_lo, exec_lo, s9
	s_and_saveexec_b32 s9, s11
	s_cbranch_execz .LBB10_833
; %bb.832:                              ;   in Loop: Header=BB10_3 Depth=1
	ds_load_b32 v25, v46 offset:10432
	ds_load_b32 v26, v43 offset:8352
	s_wait_dscnt 0x0
	v_fmac_f32_e32 v24, v25, v26
.LBB10_833:                             ;   in Loop: Header=BB10_3 Depth=1
	s_or_b32 exec_lo, exec_lo, s9
	s_delay_alu instid0(SALU_CYCLE_1) | instskip(SKIP_2) | instid1(SALU_CYCLE_1)
	s_mov_b32 s9, exec_lo
	v_readlane_b32 s10, v73, 2
	s_and_b32 s10, s9, s10
	s_mov_b32 exec_lo, s10
	s_cbranch_execz .LBB10_835
; %bb.834:                              ;   in Loop: Header=BB10_3 Depth=1
	ds_load_b32 v25, v47 offset:10688
	ds_load_b32 v26, v43 offset:8356
	s_wait_dscnt 0x0
	v_fmac_f32_e32 v24, v25, v26
.LBB10_835:                             ;   in Loop: Header=BB10_3 Depth=1
	s_or_b32 exec_lo, exec_lo, s9
	s_and_saveexec_b32 s9, s12
	s_cbranch_execz .LBB10_837
; %bb.836:                              ;   in Loop: Header=BB10_3 Depth=1
	ds_load_b32 v25, v47 offset:10944
	ds_load_b32 v26, v43 offset:8360
	s_wait_dscnt 0x0
	v_fmac_f32_e32 v24, v25, v26
.LBB10_837:                             ;   in Loop: Header=BB10_3 Depth=1
	s_or_b32 exec_lo, exec_lo, s9
	s_delay_alu instid0(SALU_CYCLE_1) | instskip(SKIP_2) | instid1(SALU_CYCLE_1)
	s_mov_b32 s9, exec_lo
	v_readlane_b32 s10, v73, 3
	s_and_b32 s10, s9, s10
	s_mov_b32 exec_lo, s10
	s_cbranch_execnz .LBB10_1181
; %bb.838:                              ;   in Loop: Header=BB10_3 Depth=1
	s_or_b32 exec_lo, exec_lo, s9
	s_and_saveexec_b32 s9, s4
	s_cbranch_execnz .LBB10_1182
.LBB10_839:                             ;   in Loop: Header=BB10_3 Depth=1
	s_or_b32 exec_lo, exec_lo, s9
	s_and_saveexec_b32 s9, s22
	s_cbranch_execnz .LBB10_1183
.LBB10_840:                             ;   in Loop: Header=BB10_3 Depth=1
	s_or_b32 exec_lo, exec_lo, s9
	s_and_saveexec_b32 s9, s24
	s_cbranch_execnz .LBB10_1184
.LBB10_841:                             ;   in Loop: Header=BB10_3 Depth=1
	s_or_b32 exec_lo, exec_lo, s9
	s_and_saveexec_b32 s9, s3
	s_cbranch_execz .LBB10_843
.LBB10_842:                             ;   in Loop: Header=BB10_3 Depth=1
	ds_load_b32 v25, v32 offset:12224
	ds_load_b32 v26, v1 offset:8380
	s_wait_dscnt 0x0
	v_fmac_f32_e32 v24, v25, v26
.LBB10_843:                             ;   in Loop: Header=BB10_3 Depth=1
	s_or_b32 exec_lo, exec_lo, s9
	s_delay_alu instid0(VALU_DEP_1)
	v_xor_b32_e32 v24, 0x80000000, v24
.LBB10_844:                             ;   in Loop: Header=BB10_3 Depth=1
	s_or_b32 exec_lo, exec_lo, s96
	s_delay_alu instid0(SALU_CYCLE_1) | instskip(SKIP_2) | instid1(SALU_CYCLE_1)
	s_mov_b32 s9, exec_lo
	v_readlane_b32 s10, v76, 6
	s_and_b32 s10, s9, s10
	s_mov_b32 exec_lo, s10
	s_cbranch_execz .LBB10_846
; %bb.845:                              ;   in Loop: Header=BB10_3 Depth=1
	ds_load_b32 v25, v1 offset:12480
	s_wait_dscnt 0x0
	v_mul_f32_e32 v24, v24, v25
	ds_store_b32 v45, v24
.LBB10_846:                             ;   in Loop: Header=BB10_3 Depth=1
	s_or_b32 exec_lo, exec_lo, s9
	s_wait_dscnt 0x0
	s_barrier_signal -1
	s_barrier_wait -1
	s_mov_b32 s9, exec_lo
	v_readlane_b32 s10, v76, 7
	s_and_b32 s10, s9, s10
	s_delay_alu instid0(SALU_CYCLE_1)
	s_mov_b32 exec_lo, s10
	s_cbranch_execz .LBB10_848
; %bb.847:                              ;   in Loop: Header=BB10_3 Depth=1
	ds_load_b32 v25, v44 offset:12480
	ds_load_b32 v26, v45
	s_wait_dscnt 0x0
	v_fmac_f32_e32 v24, v25, v26
.LBB10_848:                             ;   in Loop: Header=BB10_3 Depth=1
	s_or_b32 exec_lo, exec_lo, s9
	s_barrier_signal -1
	s_barrier_wait -1
	s_and_saveexec_b32 s9, s67
	s_cbranch_execz .LBB10_850
; %bb.849:                              ;   in Loop: Header=BB10_3 Depth=1
	ds_load_b32 v25, v1 offset:12740
	s_wait_dscnt 0x0
	v_mul_f32_e32 v24, v24, v25
	ds_store_b32 v45, v24
.LBB10_850:                             ;   in Loop: Header=BB10_3 Depth=1
	s_or_b32 exec_lo, exec_lo, s9
	s_wait_dscnt 0x0
	s_barrier_signal -1
	s_barrier_wait -1
	s_and_saveexec_b32 s9, s68
	s_cbranch_execz .LBB10_852
; %bb.851:                              ;   in Loop: Header=BB10_3 Depth=1
	ds_load_b32 v25, v44 offset:12736
	ds_load_b32 v26, v45
	s_wait_dscnt 0x0
	v_fmac_f32_e32 v24, v25, v26
.LBB10_852:                             ;   in Loop: Header=BB10_3 Depth=1
	s_or_b32 exec_lo, exec_lo, s9
	s_barrier_signal -1
	s_barrier_wait -1
	s_and_saveexec_b32 s9, s69
	s_cbranch_execz .LBB10_854
; %bb.853:                              ;   in Loop: Header=BB10_3 Depth=1
	ds_load_b32 v25, v1 offset:13000
	s_wait_dscnt 0x0
	v_mul_f32_e32 v24, v24, v25
	ds_store_b32 v45, v24
.LBB10_854:                             ;   in Loop: Header=BB10_3 Depth=1
	s_or_b32 exec_lo, exec_lo, s9
	s_wait_dscnt 0x0
	s_barrier_signal -1
	s_barrier_wait -1
	s_and_saveexec_b32 s9, s70
	;; [unrolled: 23-line block ×14, first 2 shown]
	s_cbranch_execz .LBB10_904
; %bb.903:                              ;   in Loop: Header=BB10_3 Depth=1
	ds_load_b32 v25, v1 offset:16124
	ds_load_b32 v26, v45
	s_wait_dscnt 0x0
	v_fmac_f32_e32 v24, v25, v26
.LBB10_904:                             ;   in Loop: Header=BB10_3 Depth=1
	s_or_b32 exec_lo, exec_lo, s9
	s_barrier_signal -1
	s_barrier_wait -1
	s_and_saveexec_b32 s9, s100
	s_cbranch_execz .LBB10_906
; %bb.905:                              ;   in Loop: Header=BB10_3 Depth=1
	ds_load_b32 v25, v1 offset:16380
	s_wait_dscnt 0x0
	v_mul_f32_e32 v24, v24, v25
	ds_store_b32 v45, v24
.LBB10_906:                             ;   in Loop: Header=BB10_3 Depth=1
	s_or_b32 exec_lo, exec_lo, s9
	s_wait_dscnt 0x0
	s_barrier_signal -1
	s_barrier_wait -1
	s_barrier_signal -1
	s_barrier_wait -1
	s_and_saveexec_b32 s9, s5
; %bb.907:                              ;   in Loop: Header=BB10_3 Depth=1
	v_xor_b32_e32 v24, 0x80000000, v24
	ds_store_b32 v46, v24 offset:8384
; %bb.908:                              ;   in Loop: Header=BB10_3 Depth=1
	s_or_b32 exec_lo, exec_lo, s9
	s_wait_dscnt 0x0
	s_barrier_signal -1
	s_barrier_wait -1
	s_barrier_signal -1
	s_barrier_wait -1
	s_and_saveexec_b32 s9, s17
	s_cbranch_execz .LBB10_910
; %bb.909:                              ;   in Loop: Header=BB10_3 Depth=1
	ds_load_b64 v[24:25], v1 offset:12480
	ds_load_b32 v26, v1 offset:12740
	s_wait_dscnt 0x0
	v_mul_f32_e32 v24, v24, v26
	s_delay_alu instid0(VALU_DEP_1)
	v_mul_f32_e32 v24, v25, v24
	ds_store_b32 v1, v24 offset:12484
.LBB10_910:                             ;   in Loop: Header=BB10_3 Depth=1
	s_or_b32 exec_lo, exec_lo, s9
	v_mov_b32_e32 v24, 0
	s_wait_dscnt 0x0
	s_barrier_signal -1
	s_barrier_wait -1
	s_and_saveexec_b32 s96, s2
	s_cbranch_execz .LBB10_914
; %bb.911:                              ;   in Loop: Header=BB10_3 Depth=1
	ds_load_b32 v24, v30 offset:12488
	ds_load_b32 v25, v31 offset:12480
	s_wait_dscnt 0x0
	v_fma_f32 v24, v24, v25, 0
	s_and_saveexec_b32 s9, s18
	s_cbranch_execz .LBB10_913
; %bb.912:                              ;   in Loop: Header=BB10_3 Depth=1
	ds_load_b32 v25, v32 offset:12744
	ds_load_b32 v26, v1 offset:12484
	s_wait_dscnt 0x0
	v_fmac_f32_e32 v24, v25, v26
.LBB10_913:                             ;   in Loop: Header=BB10_3 Depth=1
	s_or_b32 exec_lo, exec_lo, s9
	s_delay_alu instid0(VALU_DEP_1)
	v_xor_b32_e32 v24, 0x80000000, v24
.LBB10_914:                             ;   in Loop: Header=BB10_3 Depth=1
	s_or_b32 exec_lo, exec_lo, s96
	s_and_saveexec_b32 s9, vcc_hi
	s_cbranch_execz .LBB10_916
; %bb.915:                              ;   in Loop: Header=BB10_3 Depth=1
	ds_load_b32 v25, v1 offset:13000
	s_wait_dscnt 0x0
	v_mul_f32_e32 v24, v24, v25
	ds_store_b32 v3, v24
.LBB10_916:                             ;   in Loop: Header=BB10_3 Depth=1
	s_or_b32 exec_lo, exec_lo, s9
	s_wait_dscnt 0x0
	s_barrier_signal -1
	s_barrier_wait -1
	s_and_saveexec_b32 s9, s38
	s_cbranch_execz .LBB10_918
; %bb.917:                              ;   in Loop: Header=BB10_3 Depth=1
	ds_load_b32 v25, v1 offset:13004
	ds_load_b32 v26, v3
	s_wait_dscnt 0x0
	v_fmac_f32_e32 v24, v25, v26
.LBB10_918:                             ;   in Loop: Header=BB10_3 Depth=1
	s_or_b32 exec_lo, exec_lo, s9
	s_barrier_signal -1
	s_barrier_wait -1
	s_and_saveexec_b32 s9, s38
	s_cbranch_execz .LBB10_920
; %bb.919:                              ;   in Loop: Header=BB10_3 Depth=1
	ds_load_b32 v25, v1 offset:13260
	s_wait_dscnt 0x0
	v_mul_f32_e32 v24, v24, v25
	ds_store_b32 v3, v24
.LBB10_920:                             ;   in Loop: Header=BB10_3 Depth=1
	s_or_b32 exec_lo, exec_lo, s9
	s_wait_dscnt 0x0
	s_barrier_signal -1
	s_barrier_wait -1
	s_barrier_signal -1
	s_barrier_wait -1
	s_and_saveexec_b32 s9, s2
; %bb.921:                              ;   in Loop: Header=BB10_3 Depth=1
	v_xor_b32_e32 v24, 0x80000000, v24
	ds_store_b32 v30, v24 offset:12488
; %bb.922:                              ;   in Loop: Header=BB10_3 Depth=1
	s_or_b32 exec_lo, exec_lo, s9
	s_wait_dscnt 0x0
	s_barrier_signal -1
	s_barrier_wait -1
	s_barrier_signal -1
	s_barrier_wait -1
	s_and_saveexec_b32 s9, s17
	s_cbranch_execz .LBB10_924
; %bb.923:                              ;   in Loop: Header=BB10_3 Depth=1
	ds_load_b64 v[24:25], v1 offset:13000
	ds_load_b32 v26, v1 offset:13260
	s_wait_dscnt 0x0
	v_mul_f32_e32 v24, v24, v26
	s_delay_alu instid0(VALU_DEP_1)
	v_mul_f32_e32 v24, v25, v24
	ds_store_b32 v1, v24 offset:13004
.LBB10_924:                             ;   in Loop: Header=BB10_3 Depth=1
	s_or_b32 exec_lo, exec_lo, s9
	v_mov_b32_e32 v24, 0
	s_wait_dscnt 0x0
	s_barrier_signal -1
	s_barrier_wait -1
	s_and_saveexec_b32 s96, s3
	s_cbranch_execz .LBB10_930
; %bb.925:                              ;   in Loop: Header=BB10_3 Depth=1
	ds_load_b32 v24, v36 offset:12496
	ds_load_b32 v25, v33 offset:12480
	s_wait_dscnt 0x0
	v_fma_f32 v24, v24, v25, 0
	s_and_saveexec_b32 s9, s19
	s_cbranch_execnz .LBB10_1185
; %bb.926:                              ;   in Loop: Header=BB10_3 Depth=1
	s_or_b32 exec_lo, exec_lo, s9
	s_and_saveexec_b32 s9, s20
	s_cbranch_execnz .LBB10_1186
.LBB10_927:                             ;   in Loop: Header=BB10_3 Depth=1
	s_or_b32 exec_lo, exec_lo, s9
	s_and_saveexec_b32 s9, s2
	s_cbranch_execz .LBB10_929
.LBB10_928:                             ;   in Loop: Header=BB10_3 Depth=1
	ds_load_b32 v25, v32 offset:13264
	ds_load_b32 v26, v1 offset:12492
	s_wait_dscnt 0x0
	v_fmac_f32_e32 v24, v25, v26
.LBB10_929:                             ;   in Loop: Header=BB10_3 Depth=1
	s_or_b32 exec_lo, exec_lo, s9
	s_delay_alu instid0(VALU_DEP_1)
	v_xor_b32_e32 v24, 0x80000000, v24
.LBB10_930:                             ;   in Loop: Header=BB10_3 Depth=1
	s_or_b32 exec_lo, exec_lo, s96
	s_and_saveexec_b32 s9, s39
	s_cbranch_execz .LBB10_932
; %bb.931:                              ;   in Loop: Header=BB10_3 Depth=1
	ds_load_b32 v25, v1 offset:13520
	s_wait_dscnt 0x0
	v_mul_f32_e32 v24, v24, v25
	ds_store_b32 v35, v24
.LBB10_932:                             ;   in Loop: Header=BB10_3 Depth=1
	s_or_b32 exec_lo, exec_lo, s9
	s_wait_dscnt 0x0
	s_barrier_signal -1
	s_barrier_wait -1
	s_and_saveexec_b32 s9, s40
	s_cbranch_execz .LBB10_934
; %bb.933:                              ;   in Loop: Header=BB10_3 Depth=1
	ds_load_b32 v25, v34 offset:13520
	ds_load_b32 v26, v35
	s_wait_dscnt 0x0
	v_fmac_f32_e32 v24, v25, v26
.LBB10_934:                             ;   in Loop: Header=BB10_3 Depth=1
	s_or_b32 exec_lo, exec_lo, s9
	s_barrier_signal -1
	s_barrier_wait -1
	s_and_saveexec_b32 s9, s41
	s_cbranch_execz .LBB10_936
; %bb.935:                              ;   in Loop: Header=BB10_3 Depth=1
	ds_load_b32 v25, v1 offset:13780
	s_wait_dscnt 0x0
	v_mul_f32_e32 v24, v24, v25
	ds_store_b32 v35, v24
.LBB10_936:                             ;   in Loop: Header=BB10_3 Depth=1
	s_or_b32 exec_lo, exec_lo, s9
	s_wait_dscnt 0x0
	s_barrier_signal -1
	s_barrier_wait -1
	s_and_saveexec_b32 s9, s42
	s_cbranch_execz .LBB10_938
; %bb.937:                              ;   in Loop: Header=BB10_3 Depth=1
	ds_load_b32 v25, v34 offset:13776
	ds_load_b32 v26, v35
	s_wait_dscnt 0x0
	v_fmac_f32_e32 v24, v25, v26
.LBB10_938:                             ;   in Loop: Header=BB10_3 Depth=1
	s_or_b32 exec_lo, exec_lo, s9
	s_barrier_signal -1
	s_barrier_wait -1
	;; [unrolled: 23-line block ×3, first 2 shown]
	s_and_saveexec_b32 s9, s44
	s_cbranch_execz .LBB10_944
; %bb.943:                              ;   in Loop: Header=BB10_3 Depth=1
	ds_load_b32 v25, v1 offset:14300
	s_wait_dscnt 0x0
	v_mul_f32_e32 v24, v24, v25
	ds_store_b32 v35, v24
.LBB10_944:                             ;   in Loop: Header=BB10_3 Depth=1
	s_or_b32 exec_lo, exec_lo, s9
	s_wait_dscnt 0x0
	s_barrier_signal -1
	s_barrier_wait -1
	s_barrier_signal -1
	s_barrier_wait -1
	s_and_saveexec_b32 s9, s3
; %bb.945:                              ;   in Loop: Header=BB10_3 Depth=1
	v_xor_b32_e32 v24, 0x80000000, v24
	ds_store_b32 v36, v24 offset:12496
; %bb.946:                              ;   in Loop: Header=BB10_3 Depth=1
	s_or_b32 exec_lo, exec_lo, s9
	s_wait_dscnt 0x0
	s_barrier_signal -1
	s_barrier_wait -1
	s_barrier_signal -1
	s_barrier_wait -1
	s_and_saveexec_b32 s9, s17
	s_cbranch_execz .LBB10_948
; %bb.947:                              ;   in Loop: Header=BB10_3 Depth=1
	ds_load_b64 v[24:25], v1 offset:13520
	ds_load_b32 v26, v1 offset:13780
	s_wait_dscnt 0x0
	v_mul_f32_e32 v24, v24, v26
	s_delay_alu instid0(VALU_DEP_1)
	v_mul_f32_e32 v24, v25, v24
	ds_store_b32 v1, v24 offset:13524
.LBB10_948:                             ;   in Loop: Header=BB10_3 Depth=1
	s_or_b32 exec_lo, exec_lo, s9
	v_mov_b32_e32 v24, 0
	s_wait_dscnt 0x0
	s_barrier_signal -1
	s_barrier_wait -1
	s_and_saveexec_b32 s96, s2
	s_cbranch_execz .LBB10_952
; %bb.949:                              ;   in Loop: Header=BB10_3 Depth=1
	ds_load_b32 v24, v30 offset:13528
	ds_load_b32 v25, v31 offset:13520
	s_wait_dscnt 0x0
	v_fma_f32 v24, v24, v25, 0
	s_and_saveexec_b32 s9, s18
	s_cbranch_execz .LBB10_951
; %bb.950:                              ;   in Loop: Header=BB10_3 Depth=1
	ds_load_b32 v25, v32 offset:13784
	ds_load_b32 v26, v1 offset:13524
	s_wait_dscnt 0x0
	v_fmac_f32_e32 v24, v25, v26
.LBB10_951:                             ;   in Loop: Header=BB10_3 Depth=1
	s_or_b32 exec_lo, exec_lo, s9
	s_delay_alu instid0(VALU_DEP_1)
	v_xor_b32_e32 v24, 0x80000000, v24
.LBB10_952:                             ;   in Loop: Header=BB10_3 Depth=1
	s_or_b32 exec_lo, exec_lo, s96
	s_and_saveexec_b32 s9, vcc_hi
	s_cbranch_execz .LBB10_954
; %bb.953:                              ;   in Loop: Header=BB10_3 Depth=1
	ds_load_b32 v25, v1 offset:14040
	s_wait_dscnt 0x0
	v_mul_f32_e32 v24, v24, v25
	ds_store_b32 v3, v24
.LBB10_954:                             ;   in Loop: Header=BB10_3 Depth=1
	s_or_b32 exec_lo, exec_lo, s9
	s_wait_dscnt 0x0
	s_barrier_signal -1
	s_barrier_wait -1
	s_and_saveexec_b32 s9, s38
	s_cbranch_execz .LBB10_956
; %bb.955:                              ;   in Loop: Header=BB10_3 Depth=1
	ds_load_b32 v25, v1 offset:14044
	ds_load_b32 v26, v3
	s_wait_dscnt 0x0
	v_fmac_f32_e32 v24, v25, v26
.LBB10_956:                             ;   in Loop: Header=BB10_3 Depth=1
	s_or_b32 exec_lo, exec_lo, s9
	s_barrier_signal -1
	s_barrier_wait -1
	s_and_saveexec_b32 s9, s38
	s_cbranch_execz .LBB10_958
; %bb.957:                              ;   in Loop: Header=BB10_3 Depth=1
	ds_load_b32 v25, v1 offset:14300
	s_wait_dscnt 0x0
	v_mul_f32_e32 v24, v24, v25
	ds_store_b32 v3, v24
.LBB10_958:                             ;   in Loop: Header=BB10_3 Depth=1
	s_or_b32 exec_lo, exec_lo, s9
	s_wait_dscnt 0x0
	s_barrier_signal -1
	s_barrier_wait -1
	s_barrier_signal -1
	s_barrier_wait -1
	s_and_saveexec_b32 s9, s2
; %bb.959:                              ;   in Loop: Header=BB10_3 Depth=1
	v_xor_b32_e32 v24, 0x80000000, v24
	ds_store_b32 v30, v24 offset:13528
; %bb.960:                              ;   in Loop: Header=BB10_3 Depth=1
	s_or_b32 exec_lo, exec_lo, s9
	s_wait_dscnt 0x0
	s_barrier_signal -1
	s_barrier_wait -1
	s_barrier_signal -1
	s_barrier_wait -1
	s_and_saveexec_b32 s9, s17
	s_cbranch_execz .LBB10_962
; %bb.961:                              ;   in Loop: Header=BB10_3 Depth=1
	ds_load_b64 v[24:25], v1 offset:14040
	ds_load_b32 v26, v1 offset:14300
	s_wait_dscnt 0x0
	v_mul_f32_e32 v24, v24, v26
	s_delay_alu instid0(VALU_DEP_1)
	v_mul_f32_e32 v24, v25, v24
	ds_store_b32 v1, v24 offset:14044
.LBB10_962:                             ;   in Loop: Header=BB10_3 Depth=1
	s_or_b32 exec_lo, exec_lo, s9
	v_mov_b32_e32 v24, 0
	s_wait_dscnt 0x0
	s_barrier_signal -1
	s_barrier_wait -1
	s_and_saveexec_b32 s96, s4
	s_cbranch_execz .LBB10_972
; %bb.963:                              ;   in Loop: Header=BB10_3 Depth=1
	ds_load_b32 v24, v41 offset:12512
	ds_load_b32 v25, v38 offset:12480
	s_wait_dscnt 0x0
	v_fma_f32 v24, v24, v25, 0
	s_and_saveexec_b32 s9, s21
	s_cbranch_execnz .LBB10_1187
; %bb.964:                              ;   in Loop: Header=BB10_3 Depth=1
	s_or_b32 exec_lo, exec_lo, s9
	s_and_saveexec_b32 s9, s22
	s_cbranch_execnz .LBB10_1188
.LBB10_965:                             ;   in Loop: Header=BB10_3 Depth=1
	s_or_b32 exec_lo, exec_lo, s9
	s_and_saveexec_b32 s9, s23
	s_cbranch_execnz .LBB10_1189
.LBB10_966:                             ;   in Loop: Header=BB10_3 Depth=1
	s_or_b32 exec_lo, exec_lo, s9
	s_and_saveexec_b32 s9, s24
	s_cbranch_execnz .LBB10_1190
.LBB10_967:                             ;   in Loop: Header=BB10_3 Depth=1
	s_or_b32 exec_lo, exec_lo, s9
	s_and_saveexec_b32 s9, s25
	s_cbranch_execnz .LBB10_1191
.LBB10_968:                             ;   in Loop: Header=BB10_3 Depth=1
	s_or_b32 exec_lo, exec_lo, s9
	s_and_saveexec_b32 s9, s3
	s_cbranch_execnz .LBB10_1192
.LBB10_969:                             ;   in Loop: Header=BB10_3 Depth=1
	s_or_b32 exec_lo, exec_lo, s9
	s_and_saveexec_b32 s9, s20
	s_cbranch_execz .LBB10_971
.LBB10_970:                             ;   in Loop: Header=BB10_3 Depth=1
	ds_load_b32 v25, v32 offset:14304
	ds_load_b32 v26, v1 offset:12508
	s_wait_dscnt 0x0
	v_fmac_f32_e32 v24, v25, v26
.LBB10_971:                             ;   in Loop: Header=BB10_3 Depth=1
	s_or_b32 exec_lo, exec_lo, s9
	s_delay_alu instid0(VALU_DEP_1)
	v_xor_b32_e32 v24, 0x80000000, v24
.LBB10_972:                             ;   in Loop: Header=BB10_3 Depth=1
	s_or_b32 exec_lo, exec_lo, s96
	s_and_saveexec_b32 s9, s45
	s_cbranch_execz .LBB10_974
; %bb.973:                              ;   in Loop: Header=BB10_3 Depth=1
	ds_load_b32 v25, v1 offset:14560
	s_wait_dscnt 0x0
	v_mul_f32_e32 v24, v24, v25
	ds_store_b32 v40, v24
.LBB10_974:                             ;   in Loop: Header=BB10_3 Depth=1
	s_or_b32 exec_lo, exec_lo, s9
	s_wait_dscnt 0x0
	s_barrier_signal -1
	s_barrier_wait -1
	s_and_saveexec_b32 s9, s46
	s_cbranch_execz .LBB10_976
; %bb.975:                              ;   in Loop: Header=BB10_3 Depth=1
	ds_load_b32 v25, v39 offset:14560
	ds_load_b32 v26, v40
	s_wait_dscnt 0x0
	v_fmac_f32_e32 v24, v25, v26
.LBB10_976:                             ;   in Loop: Header=BB10_3 Depth=1
	s_or_b32 exec_lo, exec_lo, s9
	s_barrier_signal -1
	s_barrier_wait -1
	s_and_saveexec_b32 s9, s47
	s_cbranch_execz .LBB10_978
; %bb.977:                              ;   in Loop: Header=BB10_3 Depth=1
	ds_load_b32 v25, v1 offset:14820
	s_wait_dscnt 0x0
	v_mul_f32_e32 v24, v24, v25
	ds_store_b32 v40, v24
.LBB10_978:                             ;   in Loop: Header=BB10_3 Depth=1
	s_or_b32 exec_lo, exec_lo, s9
	s_wait_dscnt 0x0
	s_barrier_signal -1
	s_barrier_wait -1
	s_and_saveexec_b32 s9, s48
	s_cbranch_execz .LBB10_980
; %bb.979:                              ;   in Loop: Header=BB10_3 Depth=1
	ds_load_b32 v25, v39 offset:14816
	ds_load_b32 v26, v40
	s_wait_dscnt 0x0
	v_fmac_f32_e32 v24, v25, v26
.LBB10_980:                             ;   in Loop: Header=BB10_3 Depth=1
	s_or_b32 exec_lo, exec_lo, s9
	s_barrier_signal -1
	s_barrier_wait -1
	;; [unrolled: 23-line block ×6, first 2 shown]
	s_and_saveexec_b32 s9, s57
	s_cbranch_execz .LBB10_998
; %bb.997:                              ;   in Loop: Header=BB10_3 Depth=1
	ds_load_b32 v25, v1 offset:16120
	s_wait_dscnt 0x0
	v_mul_f32_e32 v24, v24, v25
	ds_store_b32 v40, v24
.LBB10_998:                             ;   in Loop: Header=BB10_3 Depth=1
	s_or_b32 exec_lo, exec_lo, s9
	s_wait_dscnt 0x0
	s_barrier_signal -1
	s_barrier_wait -1
	s_and_saveexec_b32 s9, s58
	s_cbranch_execz .LBB10_1000
; %bb.999:                              ;   in Loop: Header=BB10_3 Depth=1
	ds_load_b32 v25, v1 offset:16124
	ds_load_b32 v26, v40
	s_wait_dscnt 0x0
	v_fmac_f32_e32 v24, v25, v26
.LBB10_1000:                            ;   in Loop: Header=BB10_3 Depth=1
	s_or_b32 exec_lo, exec_lo, s9
	s_barrier_signal -1
	s_barrier_wait -1
	s_and_saveexec_b32 s9, s58
	s_cbranch_execz .LBB10_1002
; %bb.1001:                             ;   in Loop: Header=BB10_3 Depth=1
	ds_load_b32 v25, v1 offset:16380
	s_wait_dscnt 0x0
	v_mul_f32_e32 v24, v24, v25
	ds_store_b32 v40, v24
.LBB10_1002:                            ;   in Loop: Header=BB10_3 Depth=1
	s_or_b32 exec_lo, exec_lo, s9
	s_wait_dscnt 0x0
	s_barrier_signal -1
	s_barrier_wait -1
	s_barrier_signal -1
	s_barrier_wait -1
	s_and_saveexec_b32 s9, s4
; %bb.1003:                             ;   in Loop: Header=BB10_3 Depth=1
	v_xor_b32_e32 v24, 0x80000000, v24
	ds_store_b32 v41, v24 offset:12512
; %bb.1004:                             ;   in Loop: Header=BB10_3 Depth=1
	s_or_b32 exec_lo, exec_lo, s9
	s_wait_dscnt 0x0
	s_barrier_signal -1
	s_barrier_wait -1
	s_barrier_signal -1
	s_barrier_wait -1
	s_and_saveexec_b32 s9, s17
	s_cbranch_execz .LBB10_1006
; %bb.1005:                             ;   in Loop: Header=BB10_3 Depth=1
	ds_load_b64 v[24:25], v1 offset:14560
	ds_load_b32 v26, v1 offset:14820
	s_wait_dscnt 0x0
	v_mul_f32_e32 v24, v24, v26
	s_delay_alu instid0(VALU_DEP_1)
	v_mul_f32_e32 v24, v25, v24
	ds_store_b32 v1, v24 offset:14564
.LBB10_1006:                            ;   in Loop: Header=BB10_3 Depth=1
	s_or_b32 exec_lo, exec_lo, s9
	v_mov_b32_e32 v24, 0
	s_wait_dscnt 0x0
	s_barrier_signal -1
	s_barrier_wait -1
	s_and_saveexec_b32 s96, s2
	s_cbranch_execz .LBB10_1010
; %bb.1007:                             ;   in Loop: Header=BB10_3 Depth=1
	ds_load_b32 v24, v30 offset:14568
	ds_load_b32 v25, v31 offset:14560
	s_wait_dscnt 0x0
	v_fma_f32 v24, v24, v25, 0
	s_and_saveexec_b32 s9, s18
	s_cbranch_execz .LBB10_1009
; %bb.1008:                             ;   in Loop: Header=BB10_3 Depth=1
	ds_load_b32 v25, v32 offset:14824
	ds_load_b32 v26, v1 offset:14564
	s_wait_dscnt 0x0
	v_fmac_f32_e32 v24, v25, v26
.LBB10_1009:                            ;   in Loop: Header=BB10_3 Depth=1
	s_or_b32 exec_lo, exec_lo, s9
	s_delay_alu instid0(VALU_DEP_1)
	v_xor_b32_e32 v24, 0x80000000, v24
.LBB10_1010:                            ;   in Loop: Header=BB10_3 Depth=1
	s_or_b32 exec_lo, exec_lo, s96
	s_and_saveexec_b32 s9, vcc_hi
	s_cbranch_execz .LBB10_1012
; %bb.1011:                             ;   in Loop: Header=BB10_3 Depth=1
	ds_load_b32 v25, v1 offset:15080
	s_wait_dscnt 0x0
	v_mul_f32_e32 v24, v24, v25
	ds_store_b32 v3, v24
.LBB10_1012:                            ;   in Loop: Header=BB10_3 Depth=1
	s_or_b32 exec_lo, exec_lo, s9
	s_wait_dscnt 0x0
	s_barrier_signal -1
	s_barrier_wait -1
	s_and_saveexec_b32 s9, s38
	s_cbranch_execz .LBB10_1014
; %bb.1013:                             ;   in Loop: Header=BB10_3 Depth=1
	ds_load_b32 v25, v1 offset:15084
	ds_load_b32 v26, v3
	s_wait_dscnt 0x0
	v_fmac_f32_e32 v24, v25, v26
.LBB10_1014:                            ;   in Loop: Header=BB10_3 Depth=1
	s_or_b32 exec_lo, exec_lo, s9
	s_barrier_signal -1
	s_barrier_wait -1
	s_and_saveexec_b32 s9, s38
	s_cbranch_execz .LBB10_1016
; %bb.1015:                             ;   in Loop: Header=BB10_3 Depth=1
	ds_load_b32 v25, v1 offset:15340
	s_wait_dscnt 0x0
	v_mul_f32_e32 v24, v24, v25
	ds_store_b32 v3, v24
.LBB10_1016:                            ;   in Loop: Header=BB10_3 Depth=1
	s_or_b32 exec_lo, exec_lo, s9
	s_wait_dscnt 0x0
	s_barrier_signal -1
	s_barrier_wait -1
	s_barrier_signal -1
	s_barrier_wait -1
	s_and_saveexec_b32 s9, s2
; %bb.1017:                             ;   in Loop: Header=BB10_3 Depth=1
	v_xor_b32_e32 v24, 0x80000000, v24
	ds_store_b32 v30, v24 offset:14568
; %bb.1018:                             ;   in Loop: Header=BB10_3 Depth=1
	s_or_b32 exec_lo, exec_lo, s9
	s_wait_dscnt 0x0
	s_barrier_signal -1
	s_barrier_wait -1
	s_barrier_signal -1
	s_barrier_wait -1
	s_and_saveexec_b32 s9, s17
	s_cbranch_execz .LBB10_1020
; %bb.1019:                             ;   in Loop: Header=BB10_3 Depth=1
	ds_load_b64 v[24:25], v1 offset:15080
	ds_load_b32 v26, v1 offset:15340
	s_wait_dscnt 0x0
	v_mul_f32_e32 v24, v24, v26
	s_delay_alu instid0(VALU_DEP_1)
	v_mul_f32_e32 v24, v25, v24
	ds_store_b32 v1, v24 offset:15084
.LBB10_1020:                            ;   in Loop: Header=BB10_3 Depth=1
	s_or_b32 exec_lo, exec_lo, s9
	v_mov_b32_e32 v24, 0
	s_wait_dscnt 0x0
	s_barrier_signal -1
	s_barrier_wait -1
	s_and_saveexec_b32 s96, s3
	s_cbranch_execz .LBB10_1026
; %bb.1021:                             ;   in Loop: Header=BB10_3 Depth=1
	ds_load_b32 v24, v36 offset:14576
	ds_load_b32 v25, v33 offset:14560
	s_wait_dscnt 0x0
	v_fma_f32 v24, v24, v25, 0
	s_and_saveexec_b32 s9, s19
	s_cbranch_execnz .LBB10_1193
; %bb.1022:                             ;   in Loop: Header=BB10_3 Depth=1
	s_or_b32 exec_lo, exec_lo, s9
	s_and_saveexec_b32 s9, s20
	s_cbranch_execnz .LBB10_1194
.LBB10_1023:                            ;   in Loop: Header=BB10_3 Depth=1
	s_or_b32 exec_lo, exec_lo, s9
	s_and_saveexec_b32 s9, s2
	s_cbranch_execz .LBB10_1025
.LBB10_1024:                            ;   in Loop: Header=BB10_3 Depth=1
	ds_load_b32 v25, v32 offset:15344
	ds_load_b32 v26, v1 offset:14572
	s_wait_dscnt 0x0
	v_fmac_f32_e32 v24, v25, v26
.LBB10_1025:                            ;   in Loop: Header=BB10_3 Depth=1
	s_or_b32 exec_lo, exec_lo, s9
	s_delay_alu instid0(VALU_DEP_1)
	v_xor_b32_e32 v24, 0x80000000, v24
.LBB10_1026:                            ;   in Loop: Header=BB10_3 Depth=1
	s_or_b32 exec_lo, exec_lo, s96
	s_and_saveexec_b32 s9, s39
	s_cbranch_execz .LBB10_1028
; %bb.1027:                             ;   in Loop: Header=BB10_3 Depth=1
	ds_load_b32 v25, v1 offset:15600
	s_wait_dscnt 0x0
	v_mul_f32_e32 v24, v24, v25
	ds_store_b32 v35, v24
.LBB10_1028:                            ;   in Loop: Header=BB10_3 Depth=1
	s_or_b32 exec_lo, exec_lo, s9
	s_wait_dscnt 0x0
	s_barrier_signal -1
	s_barrier_wait -1
	s_and_saveexec_b32 s9, s40
	s_cbranch_execz .LBB10_1030
; %bb.1029:                             ;   in Loop: Header=BB10_3 Depth=1
	ds_load_b32 v25, v34 offset:15600
	ds_load_b32 v26, v35
	s_wait_dscnt 0x0
	v_fmac_f32_e32 v24, v25, v26
.LBB10_1030:                            ;   in Loop: Header=BB10_3 Depth=1
	s_or_b32 exec_lo, exec_lo, s9
	s_barrier_signal -1
	s_barrier_wait -1
	s_and_saveexec_b32 s9, s41
	s_cbranch_execz .LBB10_1032
; %bb.1031:                             ;   in Loop: Header=BB10_3 Depth=1
	ds_load_b32 v25, v1 offset:15860
	s_wait_dscnt 0x0
	v_mul_f32_e32 v24, v24, v25
	ds_store_b32 v35, v24
.LBB10_1032:                            ;   in Loop: Header=BB10_3 Depth=1
	s_or_b32 exec_lo, exec_lo, s9
	s_wait_dscnt 0x0
	s_barrier_signal -1
	s_barrier_wait -1
	s_and_saveexec_b32 s9, s42
	s_cbranch_execz .LBB10_1034
; %bb.1033:                             ;   in Loop: Header=BB10_3 Depth=1
	ds_load_b32 v25, v34 offset:15856
	ds_load_b32 v26, v35
	s_wait_dscnt 0x0
	v_fmac_f32_e32 v24, v25, v26
.LBB10_1034:                            ;   in Loop: Header=BB10_3 Depth=1
	s_or_b32 exec_lo, exec_lo, s9
	s_barrier_signal -1
	s_barrier_wait -1
	;; [unrolled: 23-line block ×3, first 2 shown]
	s_and_saveexec_b32 s9, s44
	s_cbranch_execz .LBB10_1040
; %bb.1039:                             ;   in Loop: Header=BB10_3 Depth=1
	ds_load_b32 v25, v1 offset:16380
	s_wait_dscnt 0x0
	v_mul_f32_e32 v24, v24, v25
	ds_store_b32 v35, v24
.LBB10_1040:                            ;   in Loop: Header=BB10_3 Depth=1
	s_or_b32 exec_lo, exec_lo, s9
	s_wait_dscnt 0x0
	s_barrier_signal -1
	s_barrier_wait -1
	s_barrier_signal -1
	s_barrier_wait -1
	s_and_saveexec_b32 s9, s3
; %bb.1041:                             ;   in Loop: Header=BB10_3 Depth=1
	v_xor_b32_e32 v24, 0x80000000, v24
	ds_store_b32 v36, v24 offset:14576
; %bb.1042:                             ;   in Loop: Header=BB10_3 Depth=1
	s_or_b32 exec_lo, exec_lo, s9
	s_wait_dscnt 0x0
	s_barrier_signal -1
	s_barrier_wait -1
	s_barrier_signal -1
	s_barrier_wait -1
	s_and_saveexec_b32 s9, s17
	s_cbranch_execz .LBB10_1044
; %bb.1043:                             ;   in Loop: Header=BB10_3 Depth=1
	ds_load_b64 v[24:25], v1 offset:15600
	ds_load_b32 v26, v1 offset:15860
	s_wait_dscnt 0x0
	v_mul_f32_e32 v24, v24, v26
	s_delay_alu instid0(VALU_DEP_1)
	v_mul_f32_e32 v24, v25, v24
	ds_store_b32 v1, v24 offset:15604
.LBB10_1044:                            ;   in Loop: Header=BB10_3 Depth=1
	s_or_b32 exec_lo, exec_lo, s9
	v_mov_b32_e32 v24, 0
	s_wait_dscnt 0x0
	s_barrier_signal -1
	s_barrier_wait -1
	s_and_saveexec_b32 s96, s2
	s_cbranch_execz .LBB10_1048
; %bb.1045:                             ;   in Loop: Header=BB10_3 Depth=1
	ds_load_b32 v24, v30 offset:15608
	ds_load_b32 v25, v31 offset:15600
	s_wait_dscnt 0x0
	v_fma_f32 v24, v24, v25, 0
	s_and_saveexec_b32 s9, s18
	s_cbranch_execz .LBB10_1047
; %bb.1046:                             ;   in Loop: Header=BB10_3 Depth=1
	ds_load_b32 v25, v32 offset:15864
	ds_load_b32 v26, v1 offset:15604
	s_wait_dscnt 0x0
	v_fmac_f32_e32 v24, v25, v26
.LBB10_1047:                            ;   in Loop: Header=BB10_3 Depth=1
	s_or_b32 exec_lo, exec_lo, s9
	s_delay_alu instid0(VALU_DEP_1)
	v_xor_b32_e32 v24, 0x80000000, v24
.LBB10_1048:                            ;   in Loop: Header=BB10_3 Depth=1
	s_or_b32 exec_lo, exec_lo, s96
	s_and_saveexec_b32 s9, vcc_hi
	s_cbranch_execz .LBB10_1050
; %bb.1049:                             ;   in Loop: Header=BB10_3 Depth=1
	ds_load_b32 v25, v1 offset:16120
	s_wait_dscnt 0x0
	v_mul_f32_e32 v24, v24, v25
	ds_store_b32 v3, v24
.LBB10_1050:                            ;   in Loop: Header=BB10_3 Depth=1
	s_or_b32 exec_lo, exec_lo, s9
	s_wait_dscnt 0x0
	s_barrier_signal -1
	s_barrier_wait -1
	s_and_saveexec_b32 s9, s38
	s_cbranch_execz .LBB10_1052
; %bb.1051:                             ;   in Loop: Header=BB10_3 Depth=1
	ds_load_b32 v25, v1 offset:16124
	ds_load_b32 v26, v3
	s_wait_dscnt 0x0
	v_fmac_f32_e32 v24, v25, v26
.LBB10_1052:                            ;   in Loop: Header=BB10_3 Depth=1
	s_or_b32 exec_lo, exec_lo, s9
	s_barrier_signal -1
	s_barrier_wait -1
	s_and_saveexec_b32 s9, s38
	s_cbranch_execz .LBB10_1054
; %bb.1053:                             ;   in Loop: Header=BB10_3 Depth=1
	ds_load_b32 v25, v1 offset:16380
	s_wait_dscnt 0x0
	v_mul_f32_e32 v24, v24, v25
	ds_store_b32 v3, v24
.LBB10_1054:                            ;   in Loop: Header=BB10_3 Depth=1
	s_or_b32 exec_lo, exec_lo, s9
	s_wait_dscnt 0x0
	s_barrier_signal -1
	s_barrier_wait -1
	s_barrier_signal -1
	s_barrier_wait -1
	s_and_saveexec_b32 s9, s2
; %bb.1055:                             ;   in Loop: Header=BB10_3 Depth=1
	v_xor_b32_e32 v24, 0x80000000, v24
	ds_store_b32 v30, v24 offset:15608
; %bb.1056:                             ;   in Loop: Header=BB10_3 Depth=1
	s_or_b32 exec_lo, exec_lo, s9
	s_wait_dscnt 0x0
	s_barrier_signal -1
	s_barrier_wait -1
	s_barrier_signal -1
	s_barrier_wait -1
	s_and_saveexec_b32 s9, s17
	s_cbranch_execz .LBB10_1058
; %bb.1057:                             ;   in Loop: Header=BB10_3 Depth=1
	ds_load_b64 v[24:25], v1 offset:16120
	ds_load_b32 v26, v1 offset:16380
	s_wait_dscnt 0x0
	v_mul_f32_e32 v24, v24, v26
	s_delay_alu instid0(VALU_DEP_1)
	v_mul_f32_e32 v24, v25, v24
	ds_store_b32 v1, v24 offset:16124
.LBB10_1058:                            ;   in Loop: Header=BB10_3 Depth=1
	s_or_b32 exec_lo, exec_lo, s9
.LBB10_1059:                            ;   in Loop: Header=BB10_3 Depth=1
	v_readlane_b32 s98, v76, 3
	v_readlane_b32 s99, v76, 4
	s_mul_u64 s[96:97], s[84:85], s[88:89]
	v_mov_b32_e32 v66, 0
	s_lshl_b64 s[96:97], s[96:97], 2
	s_wait_dscnt 0x0
	s_add_nc_u64 s[96:97], s[98:99], s[96:97]
	s_barrier_signal -1
	s_barrier_wait -1
	s_and_saveexec_b32 s9, s59
	s_cbranch_execz .LBB10_1061
; %bb.1060:                             ;   in Loop: Header=BB10_3 Depth=1
	v_lshl_add_u64 v[24:25], v[10:11], 2, s[96:97]
	global_load_b32 v24, v[24:25], off
	s_wait_loadcnt 0x0
	v_mul_f32_e64 v66, v24, -v0
.LBB10_1061:                            ;   in Loop: Header=BB10_3 Depth=1
	s_or_b32 exec_lo, exec_lo, s9
	s_delay_alu instid0(SALU_CYCLE_1)
	s_and_not1_b32 vcc_lo, exec_lo, s60
	s_cbranch_vccnz .LBB10_1087
; %bb.1062:                             ;   in Loop: Header=BB10_3 Depth=1
	v_lshl_add_u64 v[24:25], v[6:7], 2, s[0:1]
	v_mov_b32_e32 v67, -1
	s_lshl_b64 s[98:99], s[88:89], 2
	s_mov_b32 s1, 0
	s_add_nc_u64 s[98:99], s[86:87], s[98:99]
	s_branch .LBB10_1065
.LBB10_1063:                            ;   in Loop: Header=BB10_1065 Depth=2
	s_wait_xcnt 0x0
	ds_load_b32 v26, v5 offset:192
	s_wait_loadcnt_dscnt 0x0
	v_fmac_f32_e32 v66, v0, v26
.LBB10_1064:                            ;   in Loop: Header=BB10_1065 Depth=2
	s_or_b32 exec_lo, exec_lo, s0
	s_add_co_i32 s1, s1, 1
	s_delay_alu instid0(SALU_CYCLE_1)
	s_cmp_eq_u32 s1, s71
	s_cbranch_scc1 .LBB10_1087
.LBB10_1065:                            ;   Parent Loop BB10_3 Depth=1
                                        ; =>  This Loop Header: Depth=2
                                        ;       Child Loop BB10_1067 Depth 3
	v_cmp_gt_i32_e32 vcc_lo, s1, v67
	s_and_b32 s9, s61, vcc_lo
	s_delay_alu instid0(SALU_CYCLE_1)
	s_and_saveexec_b32 s0, s9
	s_cbranch_execz .LBB10_1068
; %bb.1066:                             ;   in Loop: Header=BB10_1065 Depth=2
	global_load_b32 v67, v1, s[98:99]
	s_wait_loadcnt 0x0
	v_cmp_le_i32_e32 vcc_lo, s1, v67
	s_cbranch_vccnz .LBB10_1068
.LBB10_1067:                            ;   Parent Loop BB10_3 Depth=1
                                        ;     Parent Loop BB10_1065 Depth=2
                                        ; =>    This Inner Loop Header: Depth=3
	global_wb scope:SCOPE_DEV
	s_wait_storecnt 0x0
	global_inv scope:SCOPE_DEV
	global_load_b32 v67, v1, s[98:99]
	s_wait_loadcnt 0x0
	v_cmp_gt_i32_e32 vcc_lo, s1, v67
	s_cbranch_vccnz .LBB10_1067
.LBB10_1068:                            ;   in Loop: Header=BB10_1065 Depth=2
	s_or_b32 exec_lo, exec_lo, s0
	s_lshl_b32 s0, s1, 6
	global_wb scope:SCOPE_DEV
	s_wait_storecnt 0x0
	global_inv scope:SCOPE_DEV
	s_wait_loadcnt 0x0
	s_barrier_signal -1
	s_barrier_wait -1
	s_and_saveexec_b32 s9, s62
	s_cbranch_execz .LBB10_1072
; %bb.1069:                             ;   in Loop: Header=BB10_1065 Depth=2
	v_dual_mov_b32 v26, 0 :: v_dual_bitop2_b32 v0, s0, v4 bitop3:0x54
	s_mov_b32 s10, exec_lo
	s_delay_alu instid0(VALU_DEP_1)
	v_cmpx_gt_i32_e64 s101, v0
	s_cbranch_execz .LBB10_1071
; %bb.1070:                             ;   in Loop: Header=BB10_1065 Depth=2
	v_mul_u64_e32 v[26:27], s[82:83], v[0:1]
	s_delay_alu instid0(VALU_DEP_1)
	v_lshl_add_u64 v[26:27], v[26:27], 2, s[96:97]
	global_load_b32 v26, v[26:27], off
.LBB10_1071:                            ;   in Loop: Header=BB10_1065 Depth=2
	s_wait_xcnt 0x0
	s_or_b32 exec_lo, exec_lo, s10
	s_wait_loadcnt 0x0
	ds_store_b32 v53, v26
.LBB10_1072:                            ;   in Loop: Header=BB10_1065 Depth=2
	s_or_b32 exec_lo, exec_lo, s9
	v_add_nc_u32_e32 v0, s0, v28
	v_cmp_ne_u32_e32 vcc_lo, s1, v29
	s_wait_dscnt 0x0
	s_barrier_signal -1
	s_barrier_wait -1
	v_mul_u64_e32 v[26:27], s[72:73], v[0:1]
	v_cmp_gt_i32_e64 s0, s101, v0
	v_cndmask_b32_e64 v68, 0, 1, vcc_lo
	s_and_b32 s9, s8, s0
	v_lshl_add_u64 v[26:27], v[26:27], 2, v[24:25]
	s_and_saveexec_b32 s0, s9
	s_cbranch_execz .LBB10_1076
; %bb.1073:                             ;   in Loop: Header=BB10_1065 Depth=2
	v_mov_b32_e32 v69, v63
	s_and_not1_b32 vcc_lo, exec_lo, vcc_lo
	s_cbranch_vccnz .LBB10_1075
; %bb.1074:                             ;   in Loop: Header=BB10_1065 Depth=2
	global_load_b32 v69, v[26:27], off
.LBB10_1075:                            ;   in Loop: Header=BB10_1065 Depth=2
	ds_load_b32 v70, v5
	s_wait_loadcnt_dscnt 0x0
	v_fmac_f32_e32 v66, v69, v70
.LBB10_1076:                            ;   in Loop: Header=BB10_1065 Depth=2
	s_or_b32 exec_lo, exec_lo, s0
	v_add_nc_u32_e32 v69, 16, v0
	s_delay_alu instid0(VALU_DEP_1) | instskip(SKIP_1) | instid1(SALU_CYCLE_1)
	v_cmp_gt_i32_e32 vcc_lo, s101, v69
	s_and_b32 s9, s8, vcc_lo
	s_and_saveexec_b32 s0, s9
	s_cbranch_execz .LBB10_1080
; %bb.1077:                             ;   in Loop: Header=BB10_1065 Depth=2
	v_cmp_ne_u32_e32 vcc_lo, 1, v68
	v_mov_b32_e32 v69, v62
	s_cbranch_vccnz .LBB10_1079
; %bb.1078:                             ;   in Loop: Header=BB10_1065 Depth=2
	v_add_nc_u64_e32 v[70:71], s[90:91], v[26:27]
	global_load_b32 v69, v[70:71], off
.LBB10_1079:                            ;   in Loop: Header=BB10_1065 Depth=2
	s_wait_xcnt 0x0
	ds_load_b32 v70, v5 offset:64
	s_wait_loadcnt_dscnt 0x0
	v_fmac_f32_e32 v66, v69, v70
.LBB10_1080:                            ;   in Loop: Header=BB10_1065 Depth=2
	s_or_b32 exec_lo, exec_lo, s0
	v_add_nc_u32_e32 v69, 32, v0
	s_delay_alu instid0(VALU_DEP_1) | instskip(SKIP_1) | instid1(SALU_CYCLE_1)
	v_cmp_gt_i32_e32 vcc_lo, s101, v69
	s_and_b32 s9, s8, vcc_lo
	s_and_saveexec_b32 s0, s9
	s_cbranch_execz .LBB10_1084
; %bb.1081:                             ;   in Loop: Header=BB10_1065 Depth=2
	v_cmp_ne_u32_e32 vcc_lo, 1, v68
	v_mov_b32_e32 v69, v64
	s_cbranch_vccnz .LBB10_1083
; %bb.1082:                             ;   in Loop: Header=BB10_1065 Depth=2
	v_add_nc_u64_e32 v[70:71], s[92:93], v[26:27]
	global_load_b32 v69, v[70:71], off
.LBB10_1083:                            ;   in Loop: Header=BB10_1065 Depth=2
	s_wait_xcnt 0x0
	ds_load_b32 v70, v5 offset:128
	s_wait_loadcnt_dscnt 0x0
	v_fmac_f32_e32 v66, v69, v70
.LBB10_1084:                            ;   in Loop: Header=BB10_1065 Depth=2
	s_or_b32 exec_lo, exec_lo, s0
	v_add_nc_u32_e32 v0, 48, v0
	s_delay_alu instid0(VALU_DEP_1) | instskip(SKIP_1) | instid1(SALU_CYCLE_1)
	v_cmp_gt_i32_e32 vcc_lo, s101, v0
	s_and_b32 s9, s8, vcc_lo
	s_and_saveexec_b32 s0, s9
	s_cbranch_execz .LBB10_1064
; %bb.1085:                             ;   in Loop: Header=BB10_1065 Depth=2
	v_cmp_ne_u32_e32 vcc_lo, 1, v68
	v_mov_b32_e32 v0, v65
	s_cbranch_vccnz .LBB10_1063
; %bb.1086:                             ;   in Loop: Header=BB10_1065 Depth=2
	v_add_nc_u64_e32 v[26:27], s[94:95], v[26:27]
	global_load_b32 v0, v[26:27], off
	s_branch .LBB10_1063
.LBB10_1087:                            ;   in Loop: Header=BB10_3 Depth=1
	ds_store_b32 v54, v66
	s_wait_dscnt 0x0
	s_barrier_signal -1
	s_barrier_wait -1
	s_and_saveexec_b32 s0, s7
	s_cbranch_execz .LBB10_1089
; %bb.1088:                             ;   in Loop: Header=BB10_3 Depth=1
	ds_load_2addr_stride64_b32 v[24:25], v55 offset0:1 offset1:2
	ds_load_2addr_stride64_b32 v[26:27], v55 offset0:3 offset1:4
	;; [unrolled: 1-line block ×4, first 2 shown]
	v_readlane_b32 s1, v74, 5
	s_wait_dscnt 0x3
	v_add_f32_e32 v0, v66, v24
	s_delay_alu instid0(VALU_DEP_1) | instskip(SKIP_3) | instid1(VALU_DEP_1)
	v_add_f32_e32 v0, v0, v25
	ds_load_2addr_stride64_b32 v[24:25], v55 offset0:9 offset1:10
	s_wait_dscnt 0x3
	v_add_f32_e32 v0, v0, v26
	v_add_f32_e32 v0, v0, v27
	ds_load_2addr_stride64_b32 v[26:27], v55 offset0:11 offset1:12
	s_wait_dscnt 0x3
	v_add_f32_e32 v0, v0, v68
	ds_load_2addr_stride64_b32 v[66:67], v55 offset0:13 offset1:14
	ds_load_b32 v68, v55 offset:3840
	v_add_f32_e32 v0, v0, v69
	s_wait_dscnt 0x4
	s_delay_alu instid0(VALU_DEP_1) | instskip(NEXT) | instid1(VALU_DEP_1)
	v_add_f32_e32 v0, v0, v70
	v_add_f32_e32 v0, v0, v71
	s_wait_dscnt 0x3
	s_delay_alu instid0(VALU_DEP_1) | instskip(NEXT) | instid1(VALU_DEP_1)
	v_add_f32_e32 v0, v0, v24
	;; [unrolled: 4-line block ×5, first 2 shown]
	v_cndmask_b32_e64 v66, -v0, 0, s1
.LBB10_1089:                            ;   in Loop: Header=BB10_3 Depth=1
	s_or_b32 exec_lo, exec_lo, s0
	s_delay_alu instid0(SALU_CYCLE_1)
	s_and_not1_b32 vcc_lo, exec_lo, s104
	s_cbranch_vccnz .LBB10_1102
; %bb.1090:                             ;   in Loop: Header=BB10_3 Depth=1
	s_and_saveexec_b32 s0, s7
; %bb.1091:                             ;   in Loop: Header=BB10_3 Depth=1
	ds_store_b32 v57, v66
; %bb.1092:                             ;   in Loop: Header=BB10_3 Depth=1
	s_or_b32 exec_lo, exec_lo, s0
	v_mov_b32_e32 v0, 0
	s_wait_dscnt 0x0
	s_barrier_signal -1
	s_barrier_wait -1
	s_mov_b32 s0, exec_lo
	v_readlane_b32 s1, v73, 27
	s_and_b32 s1, s0, s1
	s_delay_alu instid0(SALU_CYCLE_1)
	s_mov_b32 exec_lo, s1
	s_cbranch_execz .LBB10_1094
; %bb.1093:                             ;   in Loop: Header=BB10_3 Depth=1
	ds_load_b32 v0, v56
	ds_load_b32 v24, v5
	s_wait_dscnt 0x0
	v_fma_f32 v0, v0, v24, 0
.LBB10_1094:                            ;   in Loop: Header=BB10_3 Depth=1
	s_or_b32 exec_lo, exec_lo, s0
	s_delay_alu instid0(SALU_CYCLE_1) | instskip(SKIP_2) | instid1(SALU_CYCLE_1)
	s_mov_b32 s0, exec_lo
	v_readlane_b32 s1, v73, 28
	s_and_b32 s1, s0, s1
	s_mov_b32 exec_lo, s1
	s_cbranch_execz .LBB10_1096
; %bb.1095:                             ;   in Loop: Header=BB10_3 Depth=1
	ds_load_b32 v24, v56 offset:4096
	ds_load_b32 v25, v5 offset:64
	s_wait_dscnt 0x0
	v_fmac_f32_e32 v0, v24, v25
.LBB10_1096:                            ;   in Loop: Header=BB10_3 Depth=1
	s_or_b32 exec_lo, exec_lo, s0
	s_delay_alu instid0(SALU_CYCLE_1) | instskip(SKIP_2) | instid1(SALU_CYCLE_1)
	s_mov_b32 s0, exec_lo
	v_readlane_b32 s1, v73, 29
	s_and_b32 s1, s0, s1
	s_mov_b32 exec_lo, s1
	s_cbranch_execz .LBB10_1098
; %bb.1097:                             ;   in Loop: Header=BB10_3 Depth=1
	ds_load_b32 v24, v56 offset:8192
	ds_load_b32 v25, v5 offset:128
	s_wait_dscnt 0x0
	v_fmac_f32_e32 v0, v24, v25
.LBB10_1098:                            ;   in Loop: Header=BB10_3 Depth=1
	;; [unrolled: 13-line block ×3, first 2 shown]
	s_or_b32 exec_lo, exec_lo, s0
	s_mov_b32 s1, 0
	s_mov_b32 s0, 0
	ds_store_b32 v54, v0
	s_wait_dscnt 0x0
	s_barrier_signal -1
	s_barrier_wait -1
                                        ; implicit-def: $vgpr24
	s_and_saveexec_b32 s98, s7
	s_cbranch_execz .LBB10_1138
; %bb.1101:                             ;   in Loop: Header=BB10_3 Depth=1
	ds_load_2addr_stride64_b32 v[24:25], v55 offset0:1 offset1:2
	ds_load_2addr_stride64_b32 v[26:27], v55 offset0:3 offset1:4
	;; [unrolled: 1-line block ×4, first 2 shown]
	s_mov_b32 s0, exec_lo
	s_wait_dscnt 0x3
	v_add_f32_e32 v0, v0, v24
	s_delay_alu instid0(VALU_DEP_1) | instskip(SKIP_3) | instid1(VALU_DEP_1)
	v_add_f32_e32 v0, v25, v0
	ds_load_2addr_stride64_b32 v[24:25], v55 offset0:9 offset1:10
	s_wait_dscnt 0x3
	v_add_f32_e32 v0, v26, v0
	v_add_f32_e32 v0, v27, v0
	ds_load_2addr_stride64_b32 v[26:27], v55 offset0:11 offset1:12
	s_wait_dscnt 0x3
	v_add_f32_e32 v0, v68, v0
	s_delay_alu instid0(VALU_DEP_1) | instskip(SKIP_4) | instid1(VALU_DEP_1)
	v_add_f32_e32 v0, v69, v0
	ds_load_2addr_stride64_b32 v[68:69], v55 offset0:13 offset1:14
	ds_load_b32 v67, v55 offset:3840
	s_wait_dscnt 0x4
	v_add_f32_e32 v0, v70, v0
	v_add_f32_e32 v0, v71, v0
	s_wait_dscnt 0x3
	s_delay_alu instid0(VALU_DEP_1) | instskip(NEXT) | instid1(VALU_DEP_1)
	v_add_f32_e32 v0, v24, v0
	v_add_f32_e32 v0, v25, v0
	s_wait_dscnt 0x2
	s_delay_alu instid0(VALU_DEP_1) | instskip(NEXT) | instid1(VALU_DEP_1)
	;; [unrolled: 4-line block ×3, first 2 shown]
	v_add_f32_e32 v0, v68, v0
	v_add_f32_e32 v0, v69, v0
	s_wait_dscnt 0x0
	s_delay_alu instid0(VALU_DEP_1) | instskip(SKIP_1) | instid1(SALU_CYCLE_1)
	v_add_f32_e32 v24, v67, v0
	s_or_b32 exec_lo, exec_lo, s98
	s_and_b32 vcc_lo, exec_lo, s1
	s_cbranch_vccnz .LBB10_1103
	s_branch .LBB10_1139
.LBB10_1102:                            ;   in Loop: Header=BB10_3 Depth=1
	s_mov_b32 s0, 0
                                        ; implicit-def: $vgpr24
	s_cbranch_execz .LBB10_1139
.LBB10_1103:                            ;   in Loop: Header=BB10_3 Depth=1
	v_dual_mov_b32 v0, v2 :: v_dual_mov_b32 v24, v32
	s_mov_b32 s1, 0
	s_branch .LBB10_1105
.LBB10_1104:                            ;   in Loop: Header=BB10_1105 Depth=2
	s_or_b32 exec_lo, exec_lo, s9
	v_add_nc_u32_e32 v24, 0x400, v24
	v_add_nc_u32_e32 v0, -4, v0
	s_add_co_i32 s1, s1, 4
	s_delay_alu instid0(SALU_CYCLE_1)
	s_cmp_lg_u32 s1, 64
	s_barrier_signal -1
	s_barrier_wait -1
	s_cbranch_scc0 .LBB10_1121
.LBB10_1105:                            ;   Parent Loop BB10_3 Depth=1
                                        ; =>  This Inner Loop Header: Depth=2
	s_delay_alu instid0(VALU_DEP_1) | instskip(SKIP_1) | instid1(SALU_CYCLE_1)
	v_cmp_eq_u32_e32 vcc_lo, 0, v0
	s_and_b32 s10, s7, vcc_lo
	s_and_saveexec_b32 s9, s10
	s_cbranch_execz .LBB10_1107
; %bb.1106:                             ;   in Loop: Header=BB10_1105 Depth=2
	ds_load_b32 v25, v58
	s_wait_dscnt 0x0
	v_mul_f32_e32 v66, v66, v25
	ds_store_b32 v1, v66 offset:20736
.LBB10_1107:                            ;   in Loop: Header=BB10_1105 Depth=2
	s_or_b32 exec_lo, exec_lo, s9
	v_cmp_lt_u32_e32 vcc_lo, s1, v2
	s_wait_dscnt 0x0
	s_barrier_signal -1
	s_barrier_wait -1
	s_and_b32 s10, s7, vcc_lo
	s_delay_alu instid0(SALU_CYCLE_1)
	s_and_saveexec_b32 s9, s10
	s_cbranch_execz .LBB10_1109
; %bb.1108:                             ;   in Loop: Header=BB10_1105 Depth=2
	ds_load_b32 v25, v24
	ds_load_b32 v26, v1 offset:20736
	s_wait_dscnt 0x0
	v_fmac_f32_e32 v66, v25, v26
.LBB10_1109:                            ;   in Loop: Header=BB10_1105 Depth=2
	s_or_b32 exec_lo, exec_lo, s9
	s_or_b32 s9, s1, 1
	s_delay_alu instid0(SALU_CYCLE_1) | instskip(SKIP_3) | instid1(SALU_CYCLE_1)
	v_cmp_eq_u32_e32 vcc_lo, s9, v2
	s_barrier_signal -1
	s_barrier_wait -1
	s_and_b32 s98, s7, vcc_lo
	s_and_saveexec_b32 s10, s98
	s_cbranch_execz .LBB10_1111
; %bb.1110:                             ;   in Loop: Header=BB10_1105 Depth=2
	ds_load_b32 v25, v58
	s_wait_dscnt 0x0
	v_mul_f32_e32 v66, v66, v25
	ds_store_b32 v1, v66 offset:20736
.LBB10_1111:                            ;   in Loop: Header=BB10_1105 Depth=2
	s_or_b32 exec_lo, exec_lo, s10
	v_cmp_lt_u32_e32 vcc_lo, s9, v2
	s_wait_dscnt 0x0
	s_barrier_signal -1
	s_barrier_wait -1
	s_and_b32 s10, s7, vcc_lo
	s_delay_alu instid0(SALU_CYCLE_1)
	s_and_saveexec_b32 s9, s10
	s_cbranch_execz .LBB10_1113
; %bb.1112:                             ;   in Loop: Header=BB10_1105 Depth=2
	ds_load_b32 v25, v24 offset:256
	ds_load_b32 v26, v1 offset:20736
	s_wait_dscnt 0x0
	v_fmac_f32_e32 v66, v25, v26
.LBB10_1113:                            ;   in Loop: Header=BB10_1105 Depth=2
	s_or_b32 exec_lo, exec_lo, s9
	s_or_b32 s9, s1, 2
	s_delay_alu instid0(SALU_CYCLE_1) | instskip(SKIP_3) | instid1(SALU_CYCLE_1)
	v_cmp_eq_u32_e32 vcc_lo, s9, v2
	s_barrier_signal -1
	s_barrier_wait -1
	s_and_b32 s98, s7, vcc_lo
	s_and_saveexec_b32 s10, s98
	s_cbranch_execz .LBB10_1115
; %bb.1114:                             ;   in Loop: Header=BB10_1105 Depth=2
	ds_load_b32 v25, v58
	s_wait_dscnt 0x0
	v_mul_f32_e32 v66, v66, v25
	ds_store_b32 v1, v66 offset:20736
.LBB10_1115:                            ;   in Loop: Header=BB10_1105 Depth=2
	s_or_b32 exec_lo, exec_lo, s10
	v_cmp_lt_u32_e32 vcc_lo, s9, v2
	s_wait_dscnt 0x0
	s_barrier_signal -1
	s_barrier_wait -1
	s_and_b32 s10, s7, vcc_lo
	s_delay_alu instid0(SALU_CYCLE_1)
	s_and_saveexec_b32 s9, s10
	s_cbranch_execz .LBB10_1117
; %bb.1116:                             ;   in Loop: Header=BB10_1105 Depth=2
	ds_load_b32 v25, v24 offset:512
	ds_load_b32 v26, v1 offset:20736
	s_wait_dscnt 0x0
	v_fmac_f32_e32 v66, v25, v26
.LBB10_1117:                            ;   in Loop: Header=BB10_1105 Depth=2
	s_or_b32 exec_lo, exec_lo, s9
	s_or_b32 s9, s1, 3
	s_delay_alu instid0(SALU_CYCLE_1) | instskip(SKIP_3) | instid1(SALU_CYCLE_1)
	v_cmp_eq_u32_e32 vcc_lo, s9, v2
	s_barrier_signal -1
	s_barrier_wait -1
	s_and_b32 s98, s7, vcc_lo
	s_and_saveexec_b32 s10, s98
	s_cbranch_execz .LBB10_1119
; %bb.1118:                             ;   in Loop: Header=BB10_1105 Depth=2
	ds_load_b32 v25, v58
	s_wait_dscnt 0x0
	v_mul_f32_e32 v66, v66, v25
	ds_store_b32 v1, v66 offset:20736
.LBB10_1119:                            ;   in Loop: Header=BB10_1105 Depth=2
	s_or_b32 exec_lo, exec_lo, s10
	v_cmp_lt_u32_e32 vcc_lo, s9, v2
	s_wait_dscnt 0x0
	s_barrier_signal -1
	s_barrier_wait -1
	s_and_b32 s10, s7, vcc_lo
	s_delay_alu instid0(SALU_CYCLE_1)
	s_and_saveexec_b32 s9, s10
	s_cbranch_execz .LBB10_1104
; %bb.1120:                             ;   in Loop: Header=BB10_1105 Depth=2
	ds_load_b32 v25, v24 offset:768
	ds_load_b32 v26, v1 offset:20736
	s_wait_dscnt 0x0
	v_fmac_f32_e32 v66, v25, v26
	s_branch .LBB10_1104
.LBB10_1121:                            ;   in Loop: Header=BB10_3 Depth=1
	s_and_b32 vcc_lo, exec_lo, s103
	s_mov_b32 s1, -1
	s_cbranch_vccz .LBB10_1123
; %bb.1122:                             ;   in Loop: Header=BB10_3 Depth=1
	s_and_not1_b32 s0, s0, exec_lo
	s_and_b32 s9, s7, exec_lo
	s_mov_b32 s1, 0
	s_or_b32 s0, s0, s9
.LBB10_1123:                            ;   in Loop: Header=BB10_3 Depth=1
	s_and_not1_b32 vcc_lo, exec_lo, s1
	s_cbranch_vccnz .LBB10_1125
; %bb.1124:                             ;   in Loop: Header=BB10_3 Depth=1
	v_readlane_b32 s1, v74, 6
	s_and_not1_b32 s0, s0, exec_lo
	s_and_b32 s1, s1, exec_lo
	s_delay_alu instid0(SALU_CYCLE_1)
	s_or_b32 s0, s0, s1
.LBB10_1125:                            ;   in Loop: Header=BB10_3 Depth=1
	v_mov_b64_e32 v[24:25], v[14:15]
	s_and_saveexec_b32 s1, s0
	s_cbranch_execnz .LBB10_1140
	s_branch .LBB10_1141
.LBB10_1126:                            ;   in Loop: Header=BB10_3 Depth=1
	s_mov_b32 s9, exec_lo
	v_readlane_b32 s10, v74, 19
	s_and_b32 s10, s9, s10
	s_delay_alu instid0(SALU_CYCLE_1)
	s_xor_b32 s9, s10, s9
	s_mov_b32 exec_lo, s10
	s_cbranch_execz .LBB10_1128
; %bb.1127:                             ;   in Loop: Header=BB10_3 Depth=1
	v_readlane_b32 s10, v73, 31
	s_and_b32 s97, s10, exec_lo
.LBB10_1128:                            ;   in Loop: Header=BB10_3 Depth=1
	s_or_saveexec_b32 s98, s9
	v_mov_b32_e32 v24, 0
	s_xor_b32 exec_lo, exec_lo, s98
	s_cbranch_execz .LBB10_1130
; %bb.1129:                             ;   in Loop: Header=BB10_3 Depth=1
	v_lshl_add_u64 v[24:25], v[16:17], 2, s[0:1]
	s_or_b32 s97, s97, exec_lo
	global_load_b32 v24, v[24:25], off
	s_wait_loadcnt 0x0
	v_div_scale_f32 v25, null, v24, v24, 1.0
	s_delay_alu instid0(VALU_DEP_1) | instskip(SKIP_1) | instid1(TRANS32_DEP_1)
	v_rcp_f32_e32 v26, v25
	v_nop
	v_fma_f32 v27, -v25, v26, 1.0
	s_delay_alu instid0(VALU_DEP_1) | instskip(SKIP_1) | instid1(VALU_DEP_1)
	v_fmac_f32_e32 v26, v27, v26
	v_div_scale_f32 v27, vcc_lo, 1.0, v24, 1.0
	v_mul_f32_e32 v66, v27, v26
	s_delay_alu instid0(VALU_DEP_1) | instskip(NEXT) | instid1(VALU_DEP_1)
	v_fma_f32 v67, -v25, v66, v27
	v_fmac_f32_e32 v66, v67, v26
	s_delay_alu instid0(VALU_DEP_1) | instskip(NEXT) | instid1(VALU_DEP_1)
	v_fma_f32 v25, -v25, v66, v27
	v_div_fmas_f32 v25, v25, v26, v66
	s_delay_alu instid0(VALU_DEP_1)
	v_div_fixup_f32 v24, v25, v24, 1.0
.LBB10_1130:                            ;   in Loop: Header=BB10_3 Depth=1
	s_or_b32 exec_lo, exec_lo, s98
	s_delay_alu instid0(SALU_CYCLE_1)
	s_and_b32 s97, s97, exec_lo
	s_and_not1_saveexec_b32 s9, s96
	s_cbranch_execz .LBB10_17
.LBB10_1131:                            ;   in Loop: Header=BB10_3 Depth=1
	v_lshl_add_u64 v[24:25], v[16:17], 2, s[0:1]
	s_or_b32 s97, s97, exec_lo
	global_load_b32 v24, v[24:25], off
	s_wait_loadcnt 0x0
	v_xor_b32_e32 v24, 0x80000000, v24
	s_or_b32 exec_lo, exec_lo, s9
	s_and_saveexec_b32 s9, s97
	s_cbranch_execnz .LBB10_18
	s_branch .LBB10_19
.LBB10_1132:                            ;   in Loop: Header=BB10_3 Depth=1
	s_mov_b32 s9, exec_lo
	v_readlane_b32 s10, v74, 20
	s_and_b32 s10, s9, s10
	s_delay_alu instid0(SALU_CYCLE_1)
	s_xor_b32 s9, s10, s9
	s_mov_b32 exec_lo, s10
	s_cbranch_execz .LBB10_1134
; %bb.1133:                             ;   in Loop: Header=BB10_3 Depth=1
	v_readlane_b32 s10, v73, 31
	s_and_b32 s97, s10, exec_lo
.LBB10_1134:                            ;   in Loop: Header=BB10_3 Depth=1
	s_or_saveexec_b32 s98, s9
	v_mov_b32_e32 v24, 0
	s_xor_b32 exec_lo, exec_lo, s98
	s_cbranch_execz .LBB10_1136
; %bb.1135:                             ;   in Loop: Header=BB10_3 Depth=1
	v_lshl_add_u64 v[24:25], v[16:17], 2, s[0:1]
	s_or_b32 s97, s97, exec_lo
	global_load_b32 v24, v[24:25], off
	s_wait_loadcnt 0x0
	v_div_scale_f32 v25, null, v24, v24, 1.0
	s_delay_alu instid0(VALU_DEP_1) | instskip(SKIP_1) | instid1(TRANS32_DEP_1)
	v_rcp_f32_e32 v26, v25
	v_nop
	v_fma_f32 v27, -v25, v26, 1.0
	s_delay_alu instid0(VALU_DEP_1) | instskip(SKIP_1) | instid1(VALU_DEP_1)
	v_fmac_f32_e32 v26, v27, v26
	v_div_scale_f32 v27, vcc_lo, 1.0, v24, 1.0
	v_mul_f32_e32 v66, v27, v26
	s_delay_alu instid0(VALU_DEP_1) | instskip(NEXT) | instid1(VALU_DEP_1)
	v_fma_f32 v67, -v25, v66, v27
	v_fmac_f32_e32 v66, v67, v26
	s_delay_alu instid0(VALU_DEP_1) | instskip(NEXT) | instid1(VALU_DEP_1)
	v_fma_f32 v25, -v25, v66, v27
	v_div_fmas_f32 v25, v25, v26, v66
	s_delay_alu instid0(VALU_DEP_1)
	v_div_fixup_f32 v24, v25, v24, 1.0
.LBB10_1136:                            ;   in Loop: Header=BB10_3 Depth=1
	s_or_b32 exec_lo, exec_lo, s98
	s_delay_alu instid0(SALU_CYCLE_1)
	s_and_b32 s97, s97, exec_lo
	s_and_not1_saveexec_b32 s9, s96
	s_cbranch_execz .LBB10_52
.LBB10_1137:                            ;   in Loop: Header=BB10_3 Depth=1
	v_lshl_add_u64 v[24:25], v[16:17], 2, s[0:1]
	s_or_b32 s97, s97, exec_lo
	global_load_b32 v24, v[24:25], off
	s_wait_loadcnt 0x0
	v_xor_b32_e32 v24, 0x80000000, v24
	s_or_b32 exec_lo, exec_lo, s9
	s_and_saveexec_b32 s9, s97
	s_cbranch_execnz .LBB10_53
	s_branch .LBB10_54
.LBB10_1138:                            ;   in Loop: Header=BB10_3 Depth=1
	s_or_b32 exec_lo, exec_lo, s98
	s_delay_alu instid0(SALU_CYCLE_1)
	s_and_b32 vcc_lo, exec_lo, s1
	s_cbranch_vccnz .LBB10_1103
.LBB10_1139:                            ;   in Loop: Header=BB10_3 Depth=1
	v_mov_b32_e32 v66, v24
	v_mov_b64_e32 v[24:25], v[12:13]
	s_and_saveexec_b32 s1, s0
	s_cbranch_execz .LBB10_1141
.LBB10_1140:                            ;   in Loop: Header=BB10_3 Depth=1
	s_delay_alu instid0(VALU_DEP_1)
	v_lshl_add_u64 v[24:25], v[24:25], 2, s[96:97]
	global_store_b32 v[24:25], v66, off
.LBB10_1141:                            ;   in Loop: Header=BB10_3 Depth=1
	s_wait_xcnt 0x0
	s_or_b32 exec_lo, exec_lo, s1
	global_wb scope:SCOPE_DEV
	s_wait_storecnt 0x0
	global_inv scope:SCOPE_DEV
	s_wait_loadcnt 0x0
	s_barrier_signal -1
	s_barrier_wait -1
	s_and_saveexec_b32 s0, s61
	s_cbranch_execz .LBB10_2
; %bb.1142:                             ;   in Loop: Header=BB10_3 Depth=1
	s_lshl_b64 s[96:97], s[88:89], 2
	s_delay_alu instid0(SALU_CYCLE_1)
	s_add_nc_u64 s[96:97], s[86:87], s[96:97]
	global_load_b32 v0, v1, s[96:97]
	s_wait_loadcnt 0x0
	v_add_nc_u32_e32 v0, 1, v0
	global_store_b32 v1, v0, s[96:97]
	s_branch .LBB10_2
.LBB10_1143:                            ;   in Loop: Header=BB10_3 Depth=1
	ds_load_b32 v25, v37 offset:272
	ds_load_b32 v26, v33 offset:4
	s_wait_dscnt 0x0
	v_fmac_f32_e32 v24, v25, v26
	s_or_b32 exec_lo, exec_lo, s9
	s_and_saveexec_b32 s9, s20
	s_cbranch_execz .LBB10_105
.LBB10_1144:                            ;   in Loop: Header=BB10_3 Depth=1
	ds_load_b32 v25, v36 offset:528
	ds_load_b32 v26, v33 offset:8
	s_wait_dscnt 0x0
	v_fmac_f32_e32 v24, v25, v26
	s_or_b32 exec_lo, exec_lo, s9
	s_and_saveexec_b32 s9, s2
	s_cbranch_execnz .LBB10_106
	s_branch .LBB10_107
.LBB10_1145:                            ;   in Loop: Header=BB10_3 Depth=1
	ds_load_b32 v25, v42 offset:288
	ds_load_b32 v26, v38 offset:4
	s_wait_dscnt 0x0
	v_fmac_f32_e32 v24, v25, v26
	s_or_b32 exec_lo, exec_lo, s9
	s_and_saveexec_b32 s9, s22
	s_cbranch_execz .LBB10_143
.LBB10_1146:                            ;   in Loop: Header=BB10_3 Depth=1
	ds_load_b32 v25, v42 offset:544
	ds_load_b32 v26, v38 offset:8
	s_wait_dscnt 0x0
	v_fmac_f32_e32 v24, v25, v26
	s_or_b32 exec_lo, exec_lo, s9
	s_and_saveexec_b32 s9, s23
	s_cbranch_execz .LBB10_144
.LBB10_1147:                            ;   in Loop: Header=BB10_3 Depth=1
	ds_load_b32 v25, v42 offset:800
	ds_load_b32 v26, v38 offset:12
	s_wait_dscnt 0x0
	v_fmac_f32_e32 v24, v25, v26
	s_or_b32 exec_lo, exec_lo, s9
	s_and_saveexec_b32 s9, s24
	s_cbranch_execz .LBB10_145
.LBB10_1148:                            ;   in Loop: Header=BB10_3 Depth=1
	ds_load_b32 v25, v41 offset:1056
	ds_load_b32 v26, v38 offset:16
	s_wait_dscnt 0x0
	v_fmac_f32_e32 v24, v25, v26
	s_or_b32 exec_lo, exec_lo, s9
	s_and_saveexec_b32 s9, s25
	s_cbranch_execz .LBB10_146
.LBB10_1149:                            ;   in Loop: Header=BB10_3 Depth=1
	ds_load_b32 v25, v42 offset:1312
	ds_load_b32 v26, v38 offset:20
	s_wait_dscnt 0x0
	v_fmac_f32_e32 v24, v25, v26
	s_or_b32 exec_lo, exec_lo, s9
	s_and_saveexec_b32 s9, s3
	s_cbranch_execz .LBB10_147
.LBB10_1150:                            ;   in Loop: Header=BB10_3 Depth=1
	ds_load_b32 v25, v41 offset:1568
	ds_load_b32 v26, v38 offset:24
	s_wait_dscnt 0x0
	v_fmac_f32_e32 v24, v25, v26
	s_or_b32 exec_lo, exec_lo, s9
	s_and_saveexec_b32 s9, s20
	s_cbranch_execnz .LBB10_148
	s_branch .LBB10_149
.LBB10_1151:                            ;   in Loop: Header=BB10_3 Depth=1
	ds_load_b32 v25, v37 offset:2352
	ds_load_b32 v26, v33 offset:2084
	s_wait_dscnt 0x0
	v_fmac_f32_e32 v24, v25, v26
	s_or_b32 exec_lo, exec_lo, s9
	s_and_saveexec_b32 s9, s20
	s_cbranch_execz .LBB10_201
.LBB10_1152:                            ;   in Loop: Header=BB10_3 Depth=1
	ds_load_b32 v25, v36 offset:2608
	ds_load_b32 v26, v33 offset:2088
	s_wait_dscnt 0x0
	v_fmac_f32_e32 v24, v25, v26
	s_or_b32 exec_lo, exec_lo, s9
	s_and_saveexec_b32 s9, s2
	s_cbranch_execnz .LBB10_202
	s_branch .LBB10_203
.LBB10_1153:                            ;   in Loop: Header=BB10_3 Depth=1
	ds_load_b32 v25, v47 offset:2880
	ds_load_b32 v26, v43 offset:44
	s_wait_dscnt 0x0
	v_fmac_f32_e32 v24, v25, v26
	s_or_b32 exec_lo, exec_lo, s9
	s_and_saveexec_b32 s9, s4
	s_cbranch_execz .LBB10_259
.LBB10_1154:                            ;   in Loop: Header=BB10_3 Depth=1
	ds_load_b32 v25, v46 offset:3136
	ds_load_b32 v26, v43 offset:48
	s_wait_dscnt 0x0
	v_fmac_f32_e32 v24, v25, v26
	s_or_b32 exec_lo, exec_lo, s9
	s_and_saveexec_b32 s9, s22
	s_cbranch_execz .LBB10_260
.LBB10_1155:                            ;   in Loop: Header=BB10_3 Depth=1
	ds_load_b32 v25, v47 offset:3392
	ds_load_b32 v26, v43 offset:52
	s_wait_dscnt 0x0
	v_fmac_f32_e32 v24, v25, v26
	s_or_b32 exec_lo, exec_lo, s9
	s_and_saveexec_b32 s9, s24
	s_cbranch_execz .LBB10_261
.LBB10_1156:                            ;   in Loop: Header=BB10_3 Depth=1
	ds_load_b32 v25, v46 offset:3648
	ds_load_b32 v26, v43 offset:56
	s_wait_dscnt 0x0
	v_fmac_f32_e32 v24, v25, v26
	s_or_b32 exec_lo, exec_lo, s9
	s_and_saveexec_b32 s9, s3
	s_cbranch_execnz .LBB10_262
	s_branch .LBB10_263
.LBB10_1157:                            ;   in Loop: Header=BB10_3 Depth=1
	ds_load_b32 v25, v37 offset:4432
	ds_load_b32 v26, v33 offset:4164
	s_wait_dscnt 0x0
	v_fmac_f32_e32 v24, v25, v26
	s_or_b32 exec_lo, exec_lo, s9
	s_and_saveexec_b32 s9, s20
	s_cbranch_execz .LBB10_347
.LBB10_1158:                            ;   in Loop: Header=BB10_3 Depth=1
	ds_load_b32 v25, v36 offset:4688
	ds_load_b32 v26, v33 offset:4168
	s_wait_dscnt 0x0
	v_fmac_f32_e32 v24, v25, v26
	s_or_b32 exec_lo, exec_lo, s9
	s_and_saveexec_b32 s9, s2
	s_cbranch_execnz .LBB10_348
	s_branch .LBB10_349
.LBB10_1159:                            ;   in Loop: Header=BB10_3 Depth=1
	ds_load_b32 v25, v42 offset:4448
	ds_load_b32 v26, v38 offset:4164
	s_wait_dscnt 0x0
	v_fmac_f32_e32 v24, v25, v26
	s_or_b32 exec_lo, exec_lo, s9
	s_and_saveexec_b32 s9, s22
	s_cbranch_execz .LBB10_385
.LBB10_1160:                            ;   in Loop: Header=BB10_3 Depth=1
	ds_load_b32 v25, v42 offset:4704
	ds_load_b32 v26, v38 offset:4168
	s_wait_dscnt 0x0
	v_fmac_f32_e32 v24, v25, v26
	s_or_b32 exec_lo, exec_lo, s9
	s_and_saveexec_b32 s9, s23
	s_cbranch_execz .LBB10_386
.LBB10_1161:                            ;   in Loop: Header=BB10_3 Depth=1
	ds_load_b32 v25, v42 offset:4960
	ds_load_b32 v26, v38 offset:4172
	s_wait_dscnt 0x0
	v_fmac_f32_e32 v24, v25, v26
	s_or_b32 exec_lo, exec_lo, s9
	s_and_saveexec_b32 s9, s24
	s_cbranch_execz .LBB10_387
.LBB10_1162:                            ;   in Loop: Header=BB10_3 Depth=1
	ds_load_b32 v25, v41 offset:5216
	ds_load_b32 v26, v38 offset:4176
	s_wait_dscnt 0x0
	v_fmac_f32_e32 v24, v25, v26
	s_or_b32 exec_lo, exec_lo, s9
	s_and_saveexec_b32 s9, s25
	s_cbranch_execz .LBB10_388
.LBB10_1163:                            ;   in Loop: Header=BB10_3 Depth=1
	ds_load_b32 v25, v42 offset:5472
	ds_load_b32 v26, v38 offset:4180
	s_wait_dscnt 0x0
	v_fmac_f32_e32 v24, v25, v26
	s_or_b32 exec_lo, exec_lo, s9
	s_and_saveexec_b32 s9, s3
	s_cbranch_execz .LBB10_389
.LBB10_1164:                            ;   in Loop: Header=BB10_3 Depth=1
	ds_load_b32 v25, v41 offset:5728
	ds_load_b32 v26, v38 offset:4184
	s_wait_dscnt 0x0
	v_fmac_f32_e32 v24, v25, v26
	s_or_b32 exec_lo, exec_lo, s9
	s_and_saveexec_b32 s9, s20
	s_cbranch_execnz .LBB10_390
	s_branch .LBB10_391
.LBB10_1165:                            ;   in Loop: Header=BB10_3 Depth=1
	ds_load_b32 v25, v37 offset:6512
	ds_load_b32 v26, v33 offset:6244
	s_wait_dscnt 0x0
	v_fmac_f32_e32 v24, v25, v26
	s_or_b32 exec_lo, exec_lo, s9
	s_and_saveexec_b32 s9, s20
	s_cbranch_execz .LBB10_443
.LBB10_1166:                            ;   in Loop: Header=BB10_3 Depth=1
	ds_load_b32 v25, v36 offset:6768
	ds_load_b32 v26, v33 offset:6248
	s_wait_dscnt 0x0
	v_fmac_f32_e32 v24, v25, v26
	s_or_b32 exec_lo, exec_lo, s9
	s_and_saveexec_b32 s9, s2
	s_cbranch_execnz .LBB10_444
	s_branch .LBB10_445
.LBB10_1167:                            ;   in Loop: Header=BB10_3 Depth=1
	ds_load_b32 v26, v52 offset:7040
	ds_load_b32 v27, v25 offset:108
	s_wait_dscnt 0x0
	v_fmac_f32_e32 v24, v26, v27
	s_or_b32 exec_lo, exec_lo, s9
	s_and_saveexec_b32 s9, s11
	s_cbranch_execz .LBB10_533
.LBB10_1168:                            ;   in Loop: Header=BB10_3 Depth=1
	ds_load_b32 v26, v52 offset:7296
	ds_load_b32 v27, v25 offset:112
	s_wait_dscnt 0x0
	v_fmac_f32_e32 v24, v26, v27
	s_or_b32 exec_lo, exec_lo, s9
	s_and_saveexec_b32 s9, s12
	s_cbranch_execz .LBB10_534
.LBB10_1169:                            ;   in Loop: Header=BB10_3 Depth=1
	ds_load_b32 v26, v52 offset:7552
	ds_load_b32 v27, v25 offset:116
	s_wait_dscnt 0x0
	v_fmac_f32_e32 v24, v26, v27
	s_or_b32 exec_lo, exec_lo, s9
	s_and_saveexec_b32 s9, s4
	s_cbranch_execz .LBB10_535
.LBB10_1170:                            ;   in Loop: Header=BB10_3 Depth=1
	ds_load_b32 v26, v52 offset:7808
	ds_load_b32 v25, v25 offset:120
	s_wait_dscnt 0x0
	v_fmac_f32_e32 v24, v26, v25
	s_or_b32 exec_lo, exec_lo, s9
	s_and_saveexec_b32 s9, s24
	s_cbranch_execnz .LBB10_536
	s_branch .LBB10_537
.LBB10_1171:                            ;   in Loop: Header=BB10_3 Depth=1
	ds_load_b32 v25, v37 offset:8592
	ds_load_b32 v26, v33 offset:8324
	s_wait_dscnt 0x0
	v_fmac_f32_e32 v24, v25, v26
	s_or_b32 exec_lo, exec_lo, s9
	s_and_saveexec_b32 s9, s20
	s_cbranch_execz .LBB10_685
.LBB10_1172:                            ;   in Loop: Header=BB10_3 Depth=1
	ds_load_b32 v25, v36 offset:8848
	ds_load_b32 v26, v33 offset:8328
	s_wait_dscnt 0x0
	v_fmac_f32_e32 v24, v25, v26
	s_or_b32 exec_lo, exec_lo, s9
	s_and_saveexec_b32 s9, s2
	s_cbranch_execnz .LBB10_686
	s_branch .LBB10_687
.LBB10_1173:                            ;   in Loop: Header=BB10_3 Depth=1
	ds_load_b32 v25, v42 offset:8608
	ds_load_b32 v26, v38 offset:8324
	s_wait_dscnt 0x0
	v_fmac_f32_e32 v24, v25, v26
	s_or_b32 exec_lo, exec_lo, s9
	s_and_saveexec_b32 s9, s22
	s_cbranch_execz .LBB10_723
.LBB10_1174:                            ;   in Loop: Header=BB10_3 Depth=1
	ds_load_b32 v25, v42 offset:8864
	ds_load_b32 v26, v38 offset:8328
	s_wait_dscnt 0x0
	v_fmac_f32_e32 v24, v25, v26
	s_or_b32 exec_lo, exec_lo, s9
	s_and_saveexec_b32 s9, s23
	s_cbranch_execz .LBB10_724
.LBB10_1175:                            ;   in Loop: Header=BB10_3 Depth=1
	ds_load_b32 v25, v42 offset:9120
	ds_load_b32 v26, v38 offset:8332
	s_wait_dscnt 0x0
	v_fmac_f32_e32 v24, v25, v26
	s_or_b32 exec_lo, exec_lo, s9
	s_and_saveexec_b32 s9, s24
	s_cbranch_execz .LBB10_725
.LBB10_1176:                            ;   in Loop: Header=BB10_3 Depth=1
	ds_load_b32 v25, v41 offset:9376
	ds_load_b32 v26, v38 offset:8336
	s_wait_dscnt 0x0
	v_fmac_f32_e32 v24, v25, v26
	s_or_b32 exec_lo, exec_lo, s9
	s_and_saveexec_b32 s9, s25
	s_cbranch_execz .LBB10_726
.LBB10_1177:                            ;   in Loop: Header=BB10_3 Depth=1
	ds_load_b32 v25, v42 offset:9632
	ds_load_b32 v26, v38 offset:8340
	s_wait_dscnt 0x0
	v_fmac_f32_e32 v24, v25, v26
	s_or_b32 exec_lo, exec_lo, s9
	s_and_saveexec_b32 s9, s3
	s_cbranch_execz .LBB10_727
.LBB10_1178:                            ;   in Loop: Header=BB10_3 Depth=1
	ds_load_b32 v25, v41 offset:9888
	ds_load_b32 v26, v38 offset:8344
	s_wait_dscnt 0x0
	v_fmac_f32_e32 v24, v25, v26
	s_or_b32 exec_lo, exec_lo, s9
	s_and_saveexec_b32 s9, s20
	s_cbranch_execnz .LBB10_728
	s_branch .LBB10_729
.LBB10_1179:                            ;   in Loop: Header=BB10_3 Depth=1
	ds_load_b32 v25, v37 offset:10672
	ds_load_b32 v26, v33 offset:10404
	s_wait_dscnt 0x0
	v_fmac_f32_e32 v24, v25, v26
	s_or_b32 exec_lo, exec_lo, s9
	s_and_saveexec_b32 s9, s20
	s_cbranch_execz .LBB10_781
.LBB10_1180:                            ;   in Loop: Header=BB10_3 Depth=1
	ds_load_b32 v25, v36 offset:10928
	ds_load_b32 v26, v33 offset:10408
	s_wait_dscnt 0x0
	v_fmac_f32_e32 v24, v25, v26
	s_or_b32 exec_lo, exec_lo, s9
	s_and_saveexec_b32 s9, s2
	s_cbranch_execnz .LBB10_782
	s_branch .LBB10_783
.LBB10_1181:                            ;   in Loop: Header=BB10_3 Depth=1
	ds_load_b32 v25, v47 offset:11200
	ds_load_b32 v26, v43 offset:8364
	s_wait_dscnt 0x0
	v_fmac_f32_e32 v24, v25, v26
	s_or_b32 exec_lo, exec_lo, s9
	s_and_saveexec_b32 s9, s4
	s_cbranch_execz .LBB10_839
.LBB10_1182:                            ;   in Loop: Header=BB10_3 Depth=1
	ds_load_b32 v25, v46 offset:11456
	ds_load_b32 v26, v43 offset:8368
	s_wait_dscnt 0x0
	v_fmac_f32_e32 v24, v25, v26
	s_or_b32 exec_lo, exec_lo, s9
	s_and_saveexec_b32 s9, s22
	s_cbranch_execz .LBB10_840
.LBB10_1183:                            ;   in Loop: Header=BB10_3 Depth=1
	ds_load_b32 v25, v47 offset:11712
	ds_load_b32 v26, v43 offset:8372
	s_wait_dscnt 0x0
	v_fmac_f32_e32 v24, v25, v26
	s_or_b32 exec_lo, exec_lo, s9
	s_and_saveexec_b32 s9, s24
	s_cbranch_execz .LBB10_841
.LBB10_1184:                            ;   in Loop: Header=BB10_3 Depth=1
	ds_load_b32 v25, v46 offset:11968
	ds_load_b32 v26, v43 offset:8376
	s_wait_dscnt 0x0
	v_fmac_f32_e32 v24, v25, v26
	s_or_b32 exec_lo, exec_lo, s9
	s_and_saveexec_b32 s9, s3
	s_cbranch_execnz .LBB10_842
	s_branch .LBB10_843
.LBB10_1185:                            ;   in Loop: Header=BB10_3 Depth=1
	ds_load_b32 v25, v37 offset:12752
	ds_load_b32 v26, v33 offset:12484
	s_wait_dscnt 0x0
	v_fmac_f32_e32 v24, v25, v26
	s_or_b32 exec_lo, exec_lo, s9
	s_and_saveexec_b32 s9, s20
	s_cbranch_execz .LBB10_927
.LBB10_1186:                            ;   in Loop: Header=BB10_3 Depth=1
	ds_load_b32 v25, v36 offset:13008
	ds_load_b32 v26, v33 offset:12488
	s_wait_dscnt 0x0
	v_fmac_f32_e32 v24, v25, v26
	s_or_b32 exec_lo, exec_lo, s9
	s_and_saveexec_b32 s9, s2
	s_cbranch_execnz .LBB10_928
	s_branch .LBB10_929
.LBB10_1187:                            ;   in Loop: Header=BB10_3 Depth=1
	ds_load_b32 v25, v42 offset:12768
	ds_load_b32 v26, v38 offset:12484
	s_wait_dscnt 0x0
	v_fmac_f32_e32 v24, v25, v26
	s_or_b32 exec_lo, exec_lo, s9
	s_and_saveexec_b32 s9, s22
	s_cbranch_execz .LBB10_965
.LBB10_1188:                            ;   in Loop: Header=BB10_3 Depth=1
	ds_load_b32 v25, v42 offset:13024
	ds_load_b32 v26, v38 offset:12488
	s_wait_dscnt 0x0
	v_fmac_f32_e32 v24, v25, v26
	s_or_b32 exec_lo, exec_lo, s9
	s_and_saveexec_b32 s9, s23
	s_cbranch_execz .LBB10_966
.LBB10_1189:                            ;   in Loop: Header=BB10_3 Depth=1
	ds_load_b32 v25, v42 offset:13280
	ds_load_b32 v26, v38 offset:12492
	s_wait_dscnt 0x0
	v_fmac_f32_e32 v24, v25, v26
	s_or_b32 exec_lo, exec_lo, s9
	s_and_saveexec_b32 s9, s24
	s_cbranch_execz .LBB10_967
.LBB10_1190:                            ;   in Loop: Header=BB10_3 Depth=1
	ds_load_b32 v25, v41 offset:13536
	ds_load_b32 v26, v38 offset:12496
	s_wait_dscnt 0x0
	v_fmac_f32_e32 v24, v25, v26
	s_or_b32 exec_lo, exec_lo, s9
	s_and_saveexec_b32 s9, s25
	s_cbranch_execz .LBB10_968
.LBB10_1191:                            ;   in Loop: Header=BB10_3 Depth=1
	ds_load_b32 v25, v42 offset:13792
	ds_load_b32 v26, v38 offset:12500
	s_wait_dscnt 0x0
	v_fmac_f32_e32 v24, v25, v26
	s_or_b32 exec_lo, exec_lo, s9
	s_and_saveexec_b32 s9, s3
	s_cbranch_execz .LBB10_969
.LBB10_1192:                            ;   in Loop: Header=BB10_3 Depth=1
	ds_load_b32 v25, v41 offset:14048
	ds_load_b32 v26, v38 offset:12504
	s_wait_dscnt 0x0
	v_fmac_f32_e32 v24, v25, v26
	s_or_b32 exec_lo, exec_lo, s9
	s_and_saveexec_b32 s9, s20
	s_cbranch_execnz .LBB10_970
	s_branch .LBB10_971
.LBB10_1193:                            ;   in Loop: Header=BB10_3 Depth=1
	ds_load_b32 v25, v37 offset:14832
	ds_load_b32 v26, v33 offset:14564
	s_wait_dscnt 0x0
	v_fmac_f32_e32 v24, v25, v26
	s_or_b32 exec_lo, exec_lo, s9
	s_and_saveexec_b32 s9, s20
	s_cbranch_execz .LBB10_1023
.LBB10_1194:                            ;   in Loop: Header=BB10_3 Depth=1
	ds_load_b32 v25, v36 offset:15088
	ds_load_b32 v26, v33 offset:14568
	s_wait_dscnt 0x0
	v_fmac_f32_e32 v24, v25, v26
	s_or_b32 exec_lo, exec_lo, s9
	s_and_saveexec_b32 s9, s2
	s_cbranch_execnz .LBB10_1024
	s_branch .LBB10_1025
.LBB10_1195:
	s_endpgm
	.section	.rodata,"a",@progbits
	.p2align	6, 0x0
	.amdhsa_kernel _ZL19rocblas_trsv_deviceILi64ELi16ELb1ELb0ELb0ELb0EfPKfS1_PfEviT7_lllT6_T8_lllPii
		.amdhsa_group_segment_fixed_size 20740
		.amdhsa_private_segment_fixed_size 0
		.amdhsa_kernarg_size 352
		.amdhsa_user_sgpr_count 2
		.amdhsa_user_sgpr_dispatch_ptr 0
		.amdhsa_user_sgpr_queue_ptr 0
		.amdhsa_user_sgpr_kernarg_segment_ptr 1
		.amdhsa_user_sgpr_dispatch_id 0
		.amdhsa_user_sgpr_kernarg_preload_length 0
		.amdhsa_user_sgpr_kernarg_preload_offset 0
		.amdhsa_user_sgpr_private_segment_size 0
		.amdhsa_wavefront_size32 1
		.amdhsa_uses_dynamic_stack 0
		.amdhsa_enable_private_segment 0
		.amdhsa_system_sgpr_workgroup_id_x 1
		.amdhsa_system_sgpr_workgroup_id_y 0
		.amdhsa_system_sgpr_workgroup_id_z 1
		.amdhsa_system_sgpr_workgroup_info 0
		.amdhsa_system_vgpr_workitem_id 1
		.amdhsa_next_free_vgpr 77
		.amdhsa_next_free_sgpr 105
		.amdhsa_named_barrier_count 0
		.amdhsa_reserve_vcc 1
		.amdhsa_float_round_mode_32 0
		.amdhsa_float_round_mode_16_64 0
		.amdhsa_float_denorm_mode_32 3
		.amdhsa_float_denorm_mode_16_64 3
		.amdhsa_fp16_overflow 0
		.amdhsa_memory_ordered 1
		.amdhsa_forward_progress 1
		.amdhsa_inst_pref_size 255
		.amdhsa_round_robin_scheduling 0
		.amdhsa_exception_fp_ieee_invalid_op 0
		.amdhsa_exception_fp_denorm_src 0
		.amdhsa_exception_fp_ieee_div_zero 0
		.amdhsa_exception_fp_ieee_overflow 0
		.amdhsa_exception_fp_ieee_underflow 0
		.amdhsa_exception_fp_ieee_inexact 0
		.amdhsa_exception_int_div_zero 0
	.end_amdhsa_kernel
	.section	.text._ZL19rocblas_trsv_deviceILi64ELi16ELb1ELb0ELb0ELb0EfPKfS1_PfEviT7_lllT6_T8_lllPii,"axG",@progbits,_ZL19rocblas_trsv_deviceILi64ELi16ELb1ELb0ELb0ELb0EfPKfS1_PfEviT7_lllT6_T8_lllPii,comdat
.Lfunc_end10:
	.size	_ZL19rocblas_trsv_deviceILi64ELi16ELb1ELb0ELb0ELb0EfPKfS1_PfEviT7_lllT6_T8_lllPii, .Lfunc_end10-_ZL19rocblas_trsv_deviceILi64ELi16ELb1ELb0ELb0ELb0EfPKfS1_PfEviT7_lllT6_T8_lllPii
                                        ; -- End function
	.set _ZL19rocblas_trsv_deviceILi64ELi16ELb1ELb0ELb0ELb0EfPKfS1_PfEviT7_lllT6_T8_lllPii.num_vgpr, 77
	.set _ZL19rocblas_trsv_deviceILi64ELi16ELb1ELb0ELb0ELb0EfPKfS1_PfEviT7_lllT6_T8_lllPii.num_agpr, 0
	.set _ZL19rocblas_trsv_deviceILi64ELi16ELb1ELb0ELb0ELb0EfPKfS1_PfEviT7_lllT6_T8_lllPii.numbered_sgpr, 105
	.set _ZL19rocblas_trsv_deviceILi64ELi16ELb1ELb0ELb0ELb0EfPKfS1_PfEviT7_lllT6_T8_lllPii.num_named_barrier, 0
	.set _ZL19rocblas_trsv_deviceILi64ELi16ELb1ELb0ELb0ELb0EfPKfS1_PfEviT7_lllT6_T8_lllPii.private_seg_size, 0
	.set _ZL19rocblas_trsv_deviceILi64ELi16ELb1ELb0ELb0ELb0EfPKfS1_PfEviT7_lllT6_T8_lllPii.uses_vcc, 1
	.set _ZL19rocblas_trsv_deviceILi64ELi16ELb1ELb0ELb0ELb0EfPKfS1_PfEviT7_lllT6_T8_lllPii.uses_flat_scratch, 0
	.set _ZL19rocblas_trsv_deviceILi64ELi16ELb1ELb0ELb0ELb0EfPKfS1_PfEviT7_lllT6_T8_lllPii.has_dyn_sized_stack, 0
	.set _ZL19rocblas_trsv_deviceILi64ELi16ELb1ELb0ELb0ELb0EfPKfS1_PfEviT7_lllT6_T8_lllPii.has_recursion, 0
	.set _ZL19rocblas_trsv_deviceILi64ELi16ELb1ELb0ELb0ELb0EfPKfS1_PfEviT7_lllT6_T8_lllPii.has_indirect_call, 0
	.section	.AMDGPU.csdata,"",@progbits
; Kernel info:
; codeLenInByte = 35376
; TotalNumSgprs: 107
; NumVgprs: 77
; ScratchSize: 0
; MemoryBound: 0
; FloatMode: 240
; IeeeMode: 1
; LDSByteSize: 20740 bytes/workgroup (compile time only)
; SGPRBlocks: 0
; VGPRBlocks: 4
; NumSGPRsForWavesPerEU: 107
; NumVGPRsForWavesPerEU: 77
; NamedBarCnt: 0
; Occupancy: 12
; WaveLimiterHint : 0
; COMPUTE_PGM_RSRC2:SCRATCH_EN: 0
; COMPUTE_PGM_RSRC2:USER_SGPR: 2
; COMPUTE_PGM_RSRC2:TRAP_HANDLER: 0
; COMPUTE_PGM_RSRC2:TGID_X_EN: 1
; COMPUTE_PGM_RSRC2:TGID_Y_EN: 0
; COMPUTE_PGM_RSRC2:TGID_Z_EN: 1
; COMPUTE_PGM_RSRC2:TIDIG_COMP_CNT: 1
	.section	.text._ZL19rocblas_trsv_deviceILi64ELi16ELb1ELb1ELb0ELb0EfPKfS1_PfEviT7_lllT6_T8_lllPii,"axG",@progbits,_ZL19rocblas_trsv_deviceILi64ELi16ELb1ELb1ELb0ELb0EfPKfS1_PfEviT7_lllT6_T8_lllPii,comdat
	.globl	_ZL19rocblas_trsv_deviceILi64ELi16ELb1ELb1ELb0ELb0EfPKfS1_PfEviT7_lllT6_T8_lllPii ; -- Begin function _ZL19rocblas_trsv_deviceILi64ELi16ELb1ELb1ELb0ELb0EfPKfS1_PfEviT7_lllT6_T8_lllPii
	.p2align	8
	.type	_ZL19rocblas_trsv_deviceILi64ELi16ELb1ELb1ELb0ELb0EfPKfS1_PfEviT7_lllT6_T8_lllPii,@function
_ZL19rocblas_trsv_deviceILi64ELi16ELb1ELb1ELb0ELb0EfPKfS1_PfEviT7_lllT6_T8_lllPii: ; @_ZL19rocblas_trsv_deviceILi64ELi16ELb1ELb1ELb0ELb0EfPKfS1_PfEviT7_lllT6_T8_lllPii
; %bb.0:
	s_load_b32 s5, s[0:1], 0x58
	s_bfe_u32 s2, ttmp6, 0x40014
	s_lshr_b32 s3, ttmp7, 16
	s_add_co_i32 s2, s2, 1
	s_bfe_u32 s4, ttmp6, 0x40008
	s_mul_i32 s2, s3, s2
	s_getreg_b32 s6, hwreg(HW_REG_IB_STS2, 6, 4)
	s_add_co_i32 s4, s4, s2
	s_cmp_eq_u32 s6, 0
	s_mov_b32 s85, 0
	s_cselect_b32 s84, s3, s4
                                        ; implicit-def: $vgpr91 : SGPR spill to VGPR lane
	s_wait_kmcnt 0x0
	s_cmp_ge_u32 s84, s5
	v_writelane_b32 v91, s5, 0
	s_cbranch_scc1 .LBB11_1257
; %bb.1:
	s_clause 0x3
	s_load_b512 s[64:79], s[0:1], 0x8
	s_load_b32 s7, s[0:1], 0x6c
	s_load_b32 s89, s[0:1], 0x60
	;; [unrolled: 1-line block ×3, first 2 shown]
	s_bfe_u32 s3, ttmp6, 0x4000c
	s_and_b32 s2, ttmp6, 15
	s_add_co_i32 s3, s3, 1
	v_and_b32_e32 v2, 0x3ff, v0
	s_mul_i32 s3, ttmp9, s3
	v_mov_b32_e32 v5, 0
	s_add_co_i32 s8, s2, s3
	v_bfe_u32 v26, v0, 10, 10
	v_lshlrev_b32_e32 v1, 6, v2
                                        ; implicit-def: $vgpr90 : SGPR spill to VGPR lane
                                        ; implicit-def: $vgpr89 : SGPR spill to VGPR lane
                                        ; implicit-def: $vgpr88 : SGPR spill to VGPR lane
	v_mul_i32_i24_e32 v76, 0xffffff04, v2
	v_mov_b32_e32 v3, v5
	v_mul_u32_u24_e32 v24, 0xfc, v2
	v_add_nc_u32_e32 v21, 16, v26
	v_lshl_add_u32 v20, v26, 6, v2
	v_add_nc_u32_e32 v78, 48, v26
	v_mul_lo_u32 v76, v76, 6
	s_wait_kmcnt 0x0
	s_lshl_b64 s[4:5], s[66:67], 2
	s_lshl_b64 s[2:3], s[76:77], 2
	s_cmp_eq_u32 s6, 0
	s_add_nc_u64 s[4:5], s[64:65], s[4:5]
	s_cselect_b32 s67, ttmp9, s8
	s_and_b32 s6, s7, 0xffff
	s_add_co_i32 s7, s86, -1
	s_ashr_i32 s87, s86, 31
	s_ashr_i32 s8, s7, 31
	s_lshr_b32 s9, s87, 26
	s_lshr_b32 s8, s8, 26
	s_add_co_i32 s9, s86, s9
	s_add_co_i32 s89, s89, -1
	s_add_co_i32 s7, s7, s8
	s_and_not1_b32 s9, s9, 63
	s_sub_co_i32 s18, s89, s67
	s_ashr_i32 s7, s7, 6
	s_sub_co_i32 s17, s86, s9
	s_cmp_eq_u32 s7, s18
	s_add_nc_u64 s[2:3], s[74:75], s[2:3]
	s_cselect_b32 s7, -1, 0
	s_cmp_lg_u32 s17, 0
	v_lshl_add_u32 v11, v21, 6, v2
	s_cselect_b32 s8, -1, 0
	v_mad_u32_u24 v4, v26, s6, v2
	s_and_b32 s19, s8, s7
	s_add_nc_u64 s[8:9], s[68:69], 1
	s_xor_b32 s90, s19, -1
	s_cmp_lg_u32 s67, 0
	v_lshl_add_u32 v17, v78, 6, v2
	s_cselect_b32 s7, -1, 0
	s_lshl_b32 s12, s18, 6
	v_writelane_b32 v91, s7, 1
	v_mad_nc_u64_u32 v[18:19], s8, s12, v[2:3]
	s_cmp_lt_i32 s67, 5
	v_dual_add_nc_u32 v10, v26, v1 :: v_dual_add_nc_u32 v14, s12, v26
	v_writelane_b32 v91, s4, 2
	s_cselect_b32 vcc_lo, -1, 0
	s_delay_alu instid0(VALU_DEP_2) | instid1(SALU_CYCLE_1)
	v_dual_cndmask_b32 v25, v20, v10, vcc_lo :: v_dual_bitop2_b32 v16, 1, v0 bitop3:0x40
	v_dual_add_nc_u32 v12, s12, v2 :: v_dual_add_nc_u32 v3, v21, v1
	v_writelane_b32 v91, s5, 3
	s_ashr_i32 s13, s12, 31
	s_or_b32 vcc_lo, vcc_lo, s19
	v_cmp_eq_u32_e64 s4, 1, v16
	v_dual_add_nc_u32 v6, 64, v14 :: v_dual_ashrrev_i32 v13, 31, v12
	v_writelane_b32 v91, s2, 4
	v_dual_cndmask_b32 v23, v11, v3 :: v_dual_lshrrev_b32 v10, 1, v20
	v_dual_lshlrev_b32 v11, 2, v16 :: v_dual_lshlrev_b32 v29, 2, v2
	v_writelane_b32 v91, s3, 5
	s_mul_i32 s2, s8, s13
	s_mul_i32 s3, s9, s12
	v_dual_ashrrev_i32 v7, 31, v6 :: v_dual_lshrrev_b32 v15, 10, v0
	v_add3_u32 v19, s2, s3, v19
	v_cmp_gt_u32_e64 s2, 4, v20
	s_xor_b32 s3, s4, -1
	v_lshl_add_u32 v3, v10, 2, 0x4000
	v_lshl_or_b32 v27, v10, 8, v11
	v_mul_u32_u24_e32 v28, 0x104, v10
	s_and_b32 s93, s3, s2
	v_cmp_eq_u32_e64 s3, 0, v26
	v_lshrrev_b32_e32 v10, 2, v20
	v_cmp_gt_u32_e64 s5, 2, v2
	v_dual_lshlrev_b32 v31, 8, v2 :: v_dual_bitop2_b32 v11, 3, v0 bitop3:0x40
	v_bitop3_b32 v22, v0, v15, 0x3ff bitop3:0xa8
	s_and_b32 s94, s4, s2
	v_and_b32_e32 v15, -4, v20
	v_mul_u32_u24_e32 v30, 0x104, v10
	s_and_b32 s95, s3, s5
	v_cmp_gt_u32_e64 s4, 16, v20
	v_cmp_eq_u32_e64 s5, 0, v11
	v_cmp_ne_u32_e64 s6, 0, v11
	v_lshlrev_b32_e32 v32, 2, v11
	v_sub_nc_u32_e32 v16, v30, v15
	v_cmp_eq_u32_e64 s7, 1, v11
	v_cmp_lt_u32_e64 s8, 1, v11
	v_cmp_eq_u32_e64 s9, 2, v11
	s_and_b32 s96, s5, s4
	s_and_b32 s97, s6, s4
	v_cmp_eq_u32_e64 s5, 3, v11
	v_cmp_gt_u32_e64 s6, 4, v2
	v_and_b32_e32 v11, 7, v0
	s_and_b32 s98, s7, s4
	v_lshl_or_b32 v35, v10, 8, v32
	s_and_b32 s101, s5, s4
	s_and_b32 s102, s3, s6
	v_cmp_gt_u32_e64 s5, 64, v20
	v_cmp_eq_u32_e64 s6, 0, v11
	v_cmp_ne_u32_e64 s7, 0, v11
	s_and_b32 s99, s8, s4
	v_lshrrev_b32_e32 v10, 3, v20
	v_cmp_eq_u32_e64 s8, 1, v11
	s_and_b32 s103, s6, s5
	s_and_b32 s104, s7, s5
	v_cmp_eq_u32_e64 s6, 2, v11
	v_cmp_lt_u32_e64 s7, 2, v11
	v_add_nc_u32_e32 v34, 0x4000, v15
	v_dual_add_nc_u32 v36, v16, v32 :: v_dual_lshlrev_b32 v15, 2, v10
	s_and_b32 s39, s6, s5
	v_cmp_lt_u32_e64 s6, 3, v11
	s_and_b32 s40, s7, s5
	v_cmp_eq_u32_e64 s7, 4, v11
	v_mul_u32_u24_e32 v39, 0x104, v10
	s_and_b32 vcc_hi, s8, s5
	v_cmp_eq_u32_e64 s8, 3, v11
	s_and_b32 s42, s6, s5
	v_cmp_lt_u32_e64 s6, 4, v11
	s_and_b32 s43, s7, s5
	v_cmp_lt_u32_e64 s7, 5, v11
	s_and_b32 s100, s9, s4
	v_lshlrev_b32_e32 v41, 2, v11
	v_sub_nc_u32_e32 v16, v39, v15
	v_cmp_lt_u32_e64 s9, 1, v11
	s_and_b32 s41, s8, s5
	v_cmp_eq_u32_e64 s8, 5, v11
	s_and_b32 s44, s6, s5
	v_cmp_eq_u32_e64 s6, 6, v11
	s_and_b32 s46, s7, s5
	v_cmp_eq_u32_e64 s7, 7, v11
	v_and_b32_e32 v11, 15, v0
	s_and_b32 s45, s8, s5
	v_cmp_gt_u32_e64 s8, 8, v2
	s_and_b32 s47, s6, s5
	s_and_b32 s48, s7, s5
	v_cmp_gt_u32_e64 s6, 0x100, v20
	v_cmp_eq_u32_e64 s7, 0, v11
	s_and_b32 s49, s3, s8
	v_cmp_ne_u32_e64 s8, 0, v11
	s_and_b32 s38, s9, s5
	v_cmp_eq_u32_e64 s9, 1, v11
	s_and_b32 s7, s7, s6
	v_lshl_or_b32 v44, v10, 8, v41
	v_writelane_b32 v91, s7, 6
	s_and_b32 s7, s8, s6
	s_and_b32 s8, s9, s6
	v_cmp_lt_u32_e64 s9, 2, v11
	v_lshrrev_b32_e32 v10, 4, v20
	v_writelane_b32 v91, s7, 7
	v_cmp_lt_u32_e64 s7, 1, v11
	v_add_nc_u32_e32 v43, 0x4000, v15
	s_and_b32 s55, s9, s6
	v_cmp_eq_u32_e64 s9, 5, v11
	v_writelane_b32 v91, s8, 8
	s_and_b32 s7, s7, s6
	v_cmp_eq_u32_e64 s8, 2, v11
	v_dual_add_nc_u32 v45, v16, v41 :: v_dual_lshlrev_b32 v15, 2, v10
	v_writelane_b32 v91, s7, 9
	v_cmp_lt_u32_e64 s7, 3, v11
	s_and_b32 s54, s8, s6
	v_cmp_eq_u32_e64 s8, 4, v11
	s_and_b32 s60, s9, s6
	v_cmp_lt_u32_e64 s9, 7, v11
	s_and_b32 s57, s7, s6
	v_cmp_lt_u32_e64 s7, 4, v11
	s_and_b32 s58, s8, s6
	v_cmp_eq_u32_e64 s8, 6, v11
	v_mul_u32_u24_e32 v53, 0x104, v10
	s_and_b32 s14, s9, s6
	s_and_b32 s59, s7, s6
	v_cmp_lt_u32_e64 s7, 6, v11
	s_and_b32 s64, s8, s6
	v_cmp_eq_u32_e64 s8, 7, v11
	v_cmp_eq_u32_e64 s9, 10, v11
	v_add_nc_u32_e32 v56, 0x4000, v15
	s_and_b32 s65, s7, s6
	v_cmp_lt_u32_e64 s7, 8, v11
	s_and_b32 s66, s8, s6
	v_cmp_eq_u32_e64 s8, 9, v11
	v_dual_sub_nc_u32 v15, v53, v15 :: v_dual_bitop2_b32 v0, 31, v0 bitop3:0x40
	s_and_b32 s16, s7, s6
	v_cmp_lt_u32_e64 s7, 9, v11
	s_and_b32 s26, s8, s6
	v_cmp_eq_u32_e64 s8, 11, v11
	s_and_b32 s30, s9, s6
	v_cmp_lt_u32_e64 s9, 12, v11
	s_and_b32 s28, s7, s6
	v_cmp_lt_u32_e64 s7, 11, v11
	s_and_b32 s35, s8, s6
	v_cmp_eq_u32_e64 s8, 12, v11
	v_cmp_eq_u32_e64 s10, 3, v11
	s_and_b32 s29, s9, s6
	s_and_b32 s37, s7, s6
	v_cmp_lt_u32_e64 s7, 13, v11
	s_and_b32 s27, s8, s6
	v_cmp_eq_u32_e64 s8, 14, v11
	v_cmp_gt_u32_e64 s9, 16, v2
	v_lshlrev_b32_e32 v55, 2, v11
	s_and_b32 s34, s7, s6
	v_cmp_eq_u32_e64 s7, 15, v11
	s_and_b32 s36, s8, s6
	v_cmp_eq_u32_e64 s8, 0, v0
	s_and_b32 s56, s10, s6
	v_cmp_lt_u32_e64 s10, 5, v11
	s_and_b32 s88, s7, s6
	v_cmp_gt_u32_e64 s7, 0x400, v20
	s_and_b32 s91, s3, s9
	v_cmp_ne_u32_e64 s9, 0, v0
	v_lshl_or_b32 v57, v10, 8, v55
	s_and_b32 s63, s10, s6
	s_and_b32 s8, s8, s7
	v_cmp_eq_u32_e64 s10, 8, v11
	v_lshrrev_b32_e32 v10, 5, v20
	v_writelane_b32 v91, s8, 10
	s_and_b32 s8, s9, s7
	v_lshlrev_b32_e32 v61, 2, v0
	s_and_b32 s15, s10, s6
	v_cmp_lt_u32_e64 s10, 10, v11
	v_lshlrev_b32_e32 v60, 8, v10
	v_writelane_b32 v91, s8, 11
	v_cmp_eq_u32_e64 s8, 1, v0
	v_add_nc_u32_e32 v77, 32, v26
	s_and_b32 s33, s10, s6
	v_cmp_eq_u32_e64 s10, 13, v11
	v_or_b32_e32 v63, v60, v61
	v_cmp_lt_u32_e64 s9, 1, v0
	s_and_b32 s8, s8, s7
	v_dual_add_nc_u32 v58, v15, v55 :: v_dual_lshlrev_b32 v59, 2, v10
	v_writelane_b32 v91, s8, 12
	s_and_b32 s31, s10, s6
	v_add_nc_u32_e32 v15, v77, v1
	v_lshl_add_u32 v16, v77, 6, v2
	v_dual_add_nc_u32 v1, v78, v1 :: v_dual_lshlrev_b32 v75, 2, v26
	v_cmp_eq_u32_e64 s10, 2, v0
	s_and_b32 s8, s9, s7
	s_xor_b32 s92, vcc_lo, -1
	v_writelane_b32 v91, s8, 13
	v_dual_cndmask_b32 v73, v16, v15 :: v_dual_cndmask_b32 v74, v17, v1
	v_cmp_lt_u32_e32 vcc_lo, 2, v0
	s_and_b32 s8, s10, s7
	v_cmp_eq_u32_e64 s11, 3, v0
	v_writelane_b32 v91, s8, 14
	v_add_nc_u64_e32 v[10:11], s[12:13], v[4:5]
	s_and_b32 s8, vcc_lo, s7
	v_cmp_lt_u32_e32 vcc_lo, 3, v0
	v_cmp_gt_i32_e64 s9, s86, v6
	v_writelane_b32 v91, s8, 15
	s_and_b32 s8, s11, s7
	v_mul_u64_e32 v[8:9], s[68:69], v[12:13]
	v_add_nc_u32_e32 v15, 0x60, v14
	v_add_nc_u32_e32 v71, 0x70, v14
	v_writelane_b32 v91, s8, 16
	s_and_b32 s8, vcc_lo, s7
	v_cmp_eq_u32_e32 vcc_lo, 4, v0
	v_cmp_le_i32_e64 s12, s17, v78
	v_cmp_ne_u32_e64 s20, v2, v78
	v_writelane_b32 v91, s8, 17
	v_cmp_gt_u32_e64 s50, 0xf0, v20
	s_and_b32 s8, vcc_lo, s7
	v_cmp_lt_u32_e32 vcc_lo, 4, v0
	v_mad_u32_u24 v33, 0xfc, v2, v29
	v_writelane_b32 v91, s8, 18
	v_mul_u64_e32 v[10:11], s[78:79], v[10:11]
	v_or_b32_e32 v66, 0x5000, v75
	s_and_b32 s8, vcc_lo, s7
	v_cmp_eq_u32_e32 vcc_lo, 5, v0
	v_writelane_b32 v91, s8, 19
	v_mad_i32_i24 v37, 0xffffff04, v2, v33
	v_mad_nc_u64_u32 v[16:17], s68, v77, v[18:19]
	v_mad_u32 v24, v24, 7, v76
	s_and_b32 s8, vcc_lo, s7
	v_cmp_lt_u32_e32 vcc_lo, 5, v0
	v_writelane_b32 v91, s8, 20
	v_mad_u32_u24 v38, 0xfc, v2, v37
	v_add_nc_u32_e32 v70, v66, v29
	s_load_b128 s[80:83], s[0:1], 0x48
	s_and_b32 s8, vcc_lo, s7
	v_cmp_eq_u32_e32 vcc_lo, 6, v0
	v_writelane_b32 v91, s8, 21
	v_mad_i32_i24 v40, 0xffffff04, v2, v38
	v_mul_u32_u24_e32 v76, 0xf8, v2
	v_mad_u32 v17, s69, v77, v17
	s_and_b32 s8, vcc_lo, s7
	v_cmp_lt_u32_e32 vcc_lo, 6, v0
	v_writelane_b32 v91, s8, 22
	v_mad_u32_u24 v42, 0xfc, v2, v40
	v_mad_i32_i24 v64, 0xffffff04, v2, v31
	v_dual_add_nc_u32 v75, v31, v75 :: v_dual_bitop2_b32 v82, v78, v2 bitop3:0x54
	s_and_b32 s8, vcc_lo, s7
	v_cmp_eq_u32_e32 vcc_lo, 7, v0
	v_writelane_b32 v91, s8, 23
	v_mad_i32_i24 v46, 0xffffff04, v2, v42
	v_dual_lshlrev_b32 v74, 2, v74 :: v_dual_sub_nc_u32 v24, v24, v76
	s_and_b32 s8, vcc_lo, s7
	v_cmp_lt_u32_e32 vcc_lo, 7, v0
	v_writelane_b32 v91, s8, 24
	v_mad_u32_u24 v47, 0xfc, v2, v46
	v_add_nc_u32_e32 v62, 0x4000, v59
	v_lshl_add_u32 v65, v4, 2, 0x5000
	s_and_b32 s8, vcc_lo, s7
	v_cmp_eq_u32_e32 vcc_lo, 8, v0
	v_writelane_b32 v91, s8, 25
	v_mad_i32_i24 v48, 0xffffff04, v2, v47
	v_lshl_add_u32 v67, v20, 2, 0x4000
	v_add_nc_u32_e32 v68, 0x4000, v29
	s_and_b32 s8, vcc_lo, s7
	v_cmp_lt_u32_e32 vcc_lo, 8, v0
	v_writelane_b32 v91, s8, 26
	v_mad_u32_u24 v49, 0xfc, v2, v48
	v_lshl_add_u32 v69, v26, 8, v64
	v_add_nc_u32_e32 v76, 0x3c00, v24
	s_and_b32 s8, vcc_lo, s7
	v_cmp_eq_u32_e32 vcc_lo, 9, v0
	v_writelane_b32 v91, s8, 27
	v_mad_i32_i24 v50, 0xffffff04, v2, v49
	v_cmp_gt_u32_e64 s21, 56, v20
	v_cmp_gt_u32_e64 s22, 48, v20
	s_and_b32 s8, vcc_lo, s7
	v_cmp_lt_u32_e32 vcc_lo, 9, v0
	v_writelane_b32 v91, s8, 28
	v_mad_u32_u24 v51, 0xfc, v2, v50
	v_cmp_gt_u32_e64 s23, 40, v20
	v_cmp_gt_u32_e64 s24, 32, v20
	s_and_b32 s8, vcc_lo, s7
	v_cmp_eq_u32_e32 vcc_lo, 10, v0
	v_writelane_b32 v91, s8, 29
	v_mad_i32_i24 v52, 0xffffff04, v2, v51
	v_cmp_gt_u32_e64 s25, 24, v20
	v_cmp_eq_u32_e64 s61, 0, v4
	s_and_b32 s8, vcc_lo, s7
	v_cmp_lt_u32_e32 vcc_lo, 10, v0
	v_writelane_b32 v91, s8, 30
	v_mad_u32_u24 v54, 0xfc, v2, v52
	v_cmp_gt_u32_e64 s62, 64, v4
                                        ; implicit-def: $vgpr79
                                        ; implicit-def: $vgpr80
                                        ; implicit-def: $vgpr81
	v_lshlrev_b32_e32 v72, 2, v23
	s_and_b32 s8, vcc_lo, s7
	v_cmp_eq_u32_e32 vcc_lo, 11, v0
	v_writelane_b32 v91, s8, 31
	v_dual_lshlrev_b32 v73, 2, v73 :: v_dual_bitop2_b32 v23, v77, v2 bitop3:0x54
	s_and_b32 s8, vcc_lo, s7
	v_cmp_lt_u32_e32 vcc_lo, 11, v0
	v_writelane_b32 v90, s8, 0
	s_and_b32 s8, vcc_lo, s7
	v_cmp_eq_u32_e32 vcc_lo, 12, v0
	v_writelane_b32 v90, s8, 1
	s_and_b32 s8, vcc_lo, s7
	v_cmp_lt_u32_e32 vcc_lo, 12, v0
	v_writelane_b32 v90, s8, 2
	s_and_b32 s8, vcc_lo, s7
	v_cmp_eq_u32_e32 vcc_lo, 13, v0
	v_writelane_b32 v90, s8, 3
	;; [unrolled: 6-line block ×19, first 2 shown]
	s_and_b32 s8, vcc_lo, s7
	v_cmp_eq_u32_e32 vcc_lo, 31, v0
	v_writelane_b32 v89, s8, 6
	v_mul_u64_e32 v[0:1], s[78:79], v[12:13]
	v_add_nc_u32_e32 v13, 0x50, v14
	s_and_b32 s13, vcc_lo, s7
	v_cmp_gt_u32_e32 vcc_lo, 32, v2
	s_and_b32 s8, s3, vcc_lo
	v_cmp_le_i32_e32 vcc_lo, s17, v2
	v_writelane_b32 v89, s8, 7
	s_and_b32 s8, vcc_lo, s19
	v_cmp_ne_u32_e64 s19, v2, v77
	v_writelane_b32 v89, s8, 8
	s_xor_b32 s8, s8, -1
	s_delay_alu instid0(SALU_CYCLE_1)
	s_and_b32 s76, s3, s8
	v_cmp_gt_i32_e64 s8, s17, v2
	s_cmp_gt_i32 s67, 0
	s_cselect_b32 s77, -1, 0
	s_add_co_i32 s74, s18, 1
	s_and_b32 s8, s3, s8
	s_delay_alu instid0(SALU_CYCLE_1) | instskip(SKIP_2) | instid1(SALU_CYCLE_1)
	v_writelane_b32 v89, s8, 9
	v_cmp_gt_i32_e64 s8, s86, v12
	s_and_b32 s9, s9, s8
	v_writelane_b32 v89, s9, 10
	v_cmp_gt_i32_e64 s9, s86, v13
	v_mad_nc_u64_u32 v[12:13], s68, v26, v[18:19]
	s_and_b32 s9, s9, s8
	s_delay_alu instid0(SALU_CYCLE_1)
	v_writelane_b32 v89, s9, 11
	v_cmp_gt_i32_e64 s9, s86, v15
	v_mad_nc_u64_u32 v[14:15], s68, v21, v[18:19]
	v_mad_nc_u64_u32 v[18:19], s68, v78, v[18:19]
	v_mad_u32 v13, s69, v26, v13
	s_and_b32 s9, s9, s8
	s_delay_alu instid0(SALU_CYCLE_1)
	v_writelane_b32 v89, s9, 12
	v_cmp_gt_i32_e64 s9, s86, v71
	v_dual_lshlrev_b32 v71, 2, v25 :: v_dual_bitop2_b32 v25, v21, v2 bitop3:0x54
	v_mad_u32 v15, s69, v21, v15
	s_and_b32 s9, s9, s8
	v_mad_u32 v19, s69, v78, v19
	v_writelane_b32 v89, s9, 13
	v_cmp_le_i32_e64 s9, s17, v26
	s_or_b32 s10, s9, vcc_lo
	v_cmp_le_u32_e64 s9, v2, v26
	s_or_b32 s10, s10, s9
	s_delay_alu instid0(SALU_CYCLE_1) | instskip(SKIP_4) | instid1(SALU_CYCLE_1)
	v_writelane_b32 v89, s10, 14
	v_cmp_le_i32_e64 s10, s17, v21
	s_or_b32 s11, s10, vcc_lo
	v_cmp_le_u32_e64 s10, v2, v21
	s_or_b32 s11, s11, s10
	v_writelane_b32 v89, s11, 15
	v_cmp_le_i32_e64 s11, s17, v77
	s_or_b32 s18, s11, vcc_lo
	v_cmp_le_u32_e64 s11, v2, v77
	v_subrev_nc_u32_e32 v77, 63, v2
	s_or_b32 s17, s18, s11
	v_cmp_ne_u32_e64 s18, v2, v21
	v_writelane_b32 v89, s17, 16
	s_or_b32 s17, s12, vcc_lo
	v_cmp_le_u32_e64 s12, v2, v78
                                        ; implicit-def: $vgpr78
	s_or_b32 s17, s17, s12
	s_delay_alu instid0(SALU_CYCLE_1) | instskip(SKIP_1) | instid1(VALU_DEP_1)
	v_writelane_b32 v89, s17, 17
	v_cmp_ne_u32_e64 s17, v2, v26
	v_writelane_b32 v89, s17, 18
	s_or_b32 s17, vcc_lo, s17
	s_delay_alu instid0(SALU_CYCLE_1)
	v_writelane_b32 v89, s17, 19
	s_or_b32 s17, vcc_lo, s18
	v_writelane_b32 v89, s18, 20
	v_cmp_gt_u32_e64 s18, 2, v20
	v_writelane_b32 v89, s17, 21
	s_or_b32 s17, vcc_lo, s19
	v_writelane_b32 v89, s19, 22
	v_cmp_gt_u32_e64 s19, 12, v20
	;; [unrolled: 4-line block ×3, first 2 shown]
	v_writelane_b32 v89, s17, 25
	v_cmp_eq_u32_e64 s17, 0, v22
	v_writelane_b32 v89, s50, 26
	v_cmp_gt_u32_e64 s50, 0xe0, v20
	s_delay_alu instid0(VALU_DEP_1) | instskip(SKIP_1) | instid1(VALU_DEP_1)
	v_writelane_b32 v89, s50, 27
	v_cmp_gt_u32_e64 s50, 0xd0, v20
	v_writelane_b32 v89, s50, 28
	v_cmp_gt_u32_e64 s50, 0xc0, v20
	s_delay_alu instid0(VALU_DEP_1) | instskip(SKIP_1) | instid1(VALU_DEP_1)
	v_writelane_b32 v89, s50, 29
	v_cmp_gt_u32_e64 s50, 0xb0, v20
	;; [unrolled: 5-line block ×18, first 2 shown]
	v_writelane_b32 v88, s50, 30
	v_cmp_gt_u32_e64 s50, 64, v82
	s_delay_alu instid0(VALU_DEP_1)
	v_writelane_b32 v88, s50, 31
	s_branch .LBB11_3
.LBB11_2:                               ;   in Loop: Header=BB11_3 Depth=1
	s_wait_xcnt 0x0
	s_or_b32 exec_lo, exec_lo, s0
	v_readlane_b32 s0, v91, 0
	s_add_co_i32 s84, s84, 0x10000
	global_wb scope:SCOPE_DEV
	s_wait_storecnt 0x0
	global_inv scope:SCOPE_DEV
	s_cmp_lt_u32 s84, s0
	s_cbranch_scc0 .LBB11_1257
.LBB11_3:                               ; =>This Loop Header: Depth=1
                                        ;     Child Loop BB11_1110 Depth 2
                                        ;       Child Loop BB11_1112 Depth 3
                                        ;     Child Loop BB11_1147 Depth 2
	global_load_b32 v24, v5, s[72:73]
	v_readlane_b32 s50, v91, 2
	v_readlane_b32 s51, v91, 3
	s_mul_u64 s[0:1], s[70:71], s[84:85]
	s_delay_alu instid0(SALU_CYCLE_1) | instskip(NEXT) | instid1(SALU_CYCLE_1)
	s_lshl_b64 s[0:1], s[0:1], 2
	s_add_nc_u64 s[0:1], s[50:51], s[0:1]
	v_readlane_b32 s50, v91, 1
	v_lshl_add_u64 v[20:21], v[8:9], 2, s[0:1]
	s_and_not1_b32 vcc_lo, exec_lo, s50
	s_cbranch_vccnz .LBB11_13
; %bb.4:                                ;   in Loop: Header=BB11_3 Depth=1
	s_delay_alu instid0(VALU_DEP_1)
	v_lshl_add_u64 v[22:23], v[6:7], 2, v[20:21]
	v_dual_mov_b32 v79, 0 :: v_dual_mov_b32 v78, 0
	s_wait_loadcnt 0x0
	s_barrier_signal -1
	s_barrier_wait -1
	s_wait_xcnt 0x0
	s_mov_b32 s50, exec_lo
	v_readlane_b32 s51, v89, 10
	s_and_b32 s51, s50, s51
	s_delay_alu instid0(SALU_CYCLE_1)
	s_mov_b32 exec_lo, s51
	s_cbranch_execz .LBB11_6
; %bb.5:                                ;   in Loop: Header=BB11_3 Depth=1
	global_load_b32 v78, v[22:23], off
.LBB11_6:                               ;   in Loop: Header=BB11_3 Depth=1
	s_wait_xcnt 0x0
	s_or_b32 exec_lo, exec_lo, s50
	s_wait_loadcnt 0x0
	s_barrier_signal -1
	s_barrier_wait -1
	s_mov_b32 s50, exec_lo
	v_readlane_b32 s51, v89, 11
	s_and_b32 s51, s50, s51
	s_delay_alu instid0(SALU_CYCLE_1)
	s_mov_b32 exec_lo, s51
	s_cbranch_execz .LBB11_8
; %bb.7:                                ;   in Loop: Header=BB11_3 Depth=1
	global_load_b32 v79, v[22:23], off offset:64
.LBB11_8:                               ;   in Loop: Header=BB11_3 Depth=1
	s_wait_xcnt 0x0
	s_or_b32 exec_lo, exec_lo, s50
	v_dual_mov_b32 v81, 0 :: v_dual_mov_b32 v80, 0
	s_wait_loadcnt 0x0
	s_barrier_signal -1
	s_barrier_wait -1
	s_mov_b32 s50, exec_lo
	v_readlane_b32 s51, v89, 12
	s_and_b32 s51, s50, s51
	s_delay_alu instid0(SALU_CYCLE_1)
	s_mov_b32 exec_lo, s51
	s_cbranch_execz .LBB11_10
; %bb.9:                                ;   in Loop: Header=BB11_3 Depth=1
	global_load_b32 v80, v[22:23], off offset:128
.LBB11_10:                              ;   in Loop: Header=BB11_3 Depth=1
	s_wait_xcnt 0x0
	s_or_b32 exec_lo, exec_lo, s50
	s_wait_loadcnt 0x0
	s_barrier_signal -1
	s_barrier_wait -1
	s_mov_b32 s50, exec_lo
	v_readlane_b32 s51, v89, 13
	s_and_b32 s51, s50, s51
	s_delay_alu instid0(SALU_CYCLE_1)
	s_mov_b32 exec_lo, s51
	s_cbranch_execz .LBB11_12
; %bb.11:                               ;   in Loop: Header=BB11_3 Depth=1
	global_load_b32 v81, v[22:23], off offset:192
.LBB11_12:                              ;   in Loop: Header=BB11_3 Depth=1
	s_wait_xcnt 0x0
	s_or_b32 exec_lo, exec_lo, s50
.LBB11_13:                              ;   in Loop: Header=BB11_3 Depth=1
	s_delay_alu instid0(SALU_CYCLE_1)
	s_and_not1_b32 vcc_lo, exec_lo, s90
	s_mov_b32 s50, -1
	s_cbranch_vccnz .LBB11_24
; %bb.14:                               ;   in Loop: Header=BB11_3 Depth=1
	s_wait_xcnt 0x0
	s_and_saveexec_b32 s50, s9
	s_delay_alu instid0(SALU_CYCLE_1)
	s_xor_b32 s68, exec_lo, s50
	s_cbranch_execnz .LBB11_1169
; %bb.15:                               ;   in Loop: Header=BB11_3 Depth=1
	s_and_not1_saveexec_b32 s50, s68
	s_cbranch_execnz .LBB11_1176
.LBB11_16:                              ;   in Loop: Header=BB11_3 Depth=1
	s_or_b32 exec_lo, exec_lo, s50
	s_and_saveexec_b32 s50, s10
	s_delay_alu instid0(SALU_CYCLE_1)
	s_xor_b32 s68, exec_lo, s50
	s_cbranch_execnz .LBB11_1177
.LBB11_17:                              ;   in Loop: Header=BB11_3 Depth=1
	s_and_not1_saveexec_b32 s50, s68
	s_cbranch_execnz .LBB11_1184
.LBB11_18:                              ;   in Loop: Header=BB11_3 Depth=1
	s_or_b32 exec_lo, exec_lo, s50
	s_and_saveexec_b32 s50, s11
	s_delay_alu instid0(SALU_CYCLE_1)
	s_xor_b32 s68, exec_lo, s50
	s_cbranch_execnz .LBB11_1185
.LBB11_19:                              ;   in Loop: Header=BB11_3 Depth=1
	s_and_not1_saveexec_b32 s50, s68
	s_cbranch_execnz .LBB11_1192
.LBB11_20:                              ;   in Loop: Header=BB11_3 Depth=1
	s_or_b32 exec_lo, exec_lo, s50
	s_and_saveexec_b32 s50, s12
	s_delay_alu instid0(SALU_CYCLE_1)
	s_xor_b32 s68, exec_lo, s50
	s_cbranch_execnz .LBB11_1193
.LBB11_21:                              ;   in Loop: Header=BB11_3 Depth=1
	s_and_not1_saveexec_b32 s50, s68
	s_cbranch_execz .LBB11_23
.LBB11_22:                              ;   in Loop: Header=BB11_3 Depth=1
	v_lshl_add_u64 v[22:23], v[18:19], 2, s[0:1]
	global_load_b32 v22, v[22:23], off
	s_wait_loadcnt 0x0
	v_xor_b32_e32 v22, 0x80000000, v22
	ds_store_b32 v74, v22
.LBB11_23:                              ;   in Loop: Header=BB11_3 Depth=1
	s_or_b32 exec_lo, exec_lo, s50
	s_mov_b32 s50, 0
.LBB11_24:                              ;   in Loop: Header=BB11_3 Depth=1
	s_delay_alu instid0(SALU_CYCLE_1)
	s_and_b32 vcc_lo, exec_lo, s50
	s_cbranch_vccz .LBB11_66
; %bb.25:                               ;   in Loop: Header=BB11_3 Depth=1
	s_wait_xcnt 0x0
	s_mov_b32 s50, exec_lo
	v_readlane_b32 s51, v89, 14
	s_and_b32 s51, s50, s51
	s_delay_alu instid0(SALU_CYCLE_1)
	s_xor_b32 s68, s51, s50
	s_mov_b32 exec_lo, s51
	s_cbranch_execz .LBB11_33
; %bb.26:                               ;   in Loop: Header=BB11_3 Depth=1
	s_mov_b32 s50, exec_lo
	v_readlane_b32 s51, v89, 19
	s_and_b32 s51, s50, s51
	s_delay_alu instid0(SALU_CYCLE_1)
	s_xor_b32 s50, s51, s50
	s_mov_b32 exec_lo, s51
	s_cbranch_execz .LBB11_30
; %bb.27:                               ;   in Loop: Header=BB11_3 Depth=1
	s_mov_b32 s51, exec_lo
	v_readlane_b32 s52, v88, 28
	s_and_b32 s52, s51, s52
	s_delay_alu instid0(SALU_CYCLE_1)
	s_mov_b32 exec_lo, s52
; %bb.28:                               ;   in Loop: Header=BB11_3 Depth=1
	ds_store_b32 v75, v5
; %bb.29:                               ;   in Loop: Header=BB11_3 Depth=1
	s_or_b32 exec_lo, exec_lo, s51
.LBB11_30:                              ;   in Loop: Header=BB11_3 Depth=1
	s_and_not1_saveexec_b32 s50, s50
	s_cbranch_execz .LBB11_32
; %bb.31:                               ;   in Loop: Header=BB11_3 Depth=1
	v_lshl_add_u64 v[22:23], v[12:13], 2, s[0:1]
	global_load_b32 v22, v[22:23], off
	s_wait_loadcnt 0x0
	v_div_scale_f32 v23, null, v22, v22, 1.0
	s_delay_alu instid0(VALU_DEP_1) | instskip(SKIP_1) | instid1(TRANS32_DEP_1)
	v_rcp_f32_e32 v25, v23
	v_nop
	v_fma_f32 v82, -v23, v25, 1.0
	s_delay_alu instid0(VALU_DEP_1) | instskip(SKIP_1) | instid1(VALU_DEP_1)
	v_fmac_f32_e32 v25, v82, v25
	v_div_scale_f32 v82, vcc_lo, 1.0, v22, 1.0
	v_mul_f32_e32 v83, v82, v25
	s_delay_alu instid0(VALU_DEP_1) | instskip(NEXT) | instid1(VALU_DEP_1)
	v_fma_f32 v84, -v23, v83, v82
	v_fmac_f32_e32 v83, v84, v25
	s_delay_alu instid0(VALU_DEP_1) | instskip(NEXT) | instid1(VALU_DEP_1)
	v_fma_f32 v23, -v23, v83, v82
	v_div_fmas_f32 v23, v23, v25, v83
	s_delay_alu instid0(VALU_DEP_1)
	v_div_fixup_f32 v22, v23, v22, 1.0
	ds_store_b32 v75, v22
.LBB11_32:                              ;   in Loop: Header=BB11_3 Depth=1
	s_or_b32 exec_lo, exec_lo, s50
.LBB11_33:                              ;   in Loop: Header=BB11_3 Depth=1
	s_and_not1_saveexec_b32 s50, s68
	s_cbranch_execz .LBB11_35
; %bb.34:                               ;   in Loop: Header=BB11_3 Depth=1
	v_lshl_add_u64 v[22:23], v[12:13], 2, s[0:1]
	global_load_b32 v22, v[22:23], off
	s_wait_loadcnt 0x0
	v_xor_b32_e32 v22, 0x80000000, v22
	ds_store_b32 v75, v22
.LBB11_35:                              ;   in Loop: Header=BB11_3 Depth=1
	s_or_b32 exec_lo, exec_lo, s50
	s_delay_alu instid0(SALU_CYCLE_1) | instskip(SKIP_2) | instid1(SALU_CYCLE_1)
	s_mov_b32 s50, exec_lo
	v_readlane_b32 s51, v89, 15
	s_and_b32 s51, s50, s51
	s_xor_b32 s68, s51, s50
	s_mov_b32 exec_lo, s51
	s_cbranch_execz .LBB11_43
; %bb.36:                               ;   in Loop: Header=BB11_3 Depth=1
	s_mov_b32 s50, exec_lo
	v_readlane_b32 s51, v89, 21
	s_and_b32 s51, s50, s51
	s_delay_alu instid0(SALU_CYCLE_1)
	s_xor_b32 s50, s51, s50
	s_mov_b32 exec_lo, s51
	s_cbranch_execz .LBB11_40
; %bb.37:                               ;   in Loop: Header=BB11_3 Depth=1
	s_mov_b32 s51, exec_lo
	v_readlane_b32 s52, v88, 29
	s_and_b32 s52, s51, s52
	s_delay_alu instid0(SALU_CYCLE_1)
	s_mov_b32 exec_lo, s52
; %bb.38:                               ;   in Loop: Header=BB11_3 Depth=1
	ds_store_b32 v72, v5
; %bb.39:                               ;   in Loop: Header=BB11_3 Depth=1
	s_or_b32 exec_lo, exec_lo, s51
.LBB11_40:                              ;   in Loop: Header=BB11_3 Depth=1
	s_and_not1_saveexec_b32 s50, s50
	s_cbranch_execz .LBB11_42
; %bb.41:                               ;   in Loop: Header=BB11_3 Depth=1
	v_lshl_add_u64 v[22:23], v[14:15], 2, s[0:1]
	global_load_b32 v22, v[22:23], off
	s_wait_loadcnt 0x0
	v_div_scale_f32 v23, null, v22, v22, 1.0
	s_delay_alu instid0(VALU_DEP_1) | instskip(SKIP_1) | instid1(TRANS32_DEP_1)
	v_rcp_f32_e32 v25, v23
	v_nop
	v_fma_f32 v82, -v23, v25, 1.0
	s_delay_alu instid0(VALU_DEP_1) | instskip(SKIP_1) | instid1(VALU_DEP_1)
	v_fmac_f32_e32 v25, v82, v25
	v_div_scale_f32 v82, vcc_lo, 1.0, v22, 1.0
	v_mul_f32_e32 v83, v82, v25
	s_delay_alu instid0(VALU_DEP_1) | instskip(NEXT) | instid1(VALU_DEP_1)
	v_fma_f32 v84, -v23, v83, v82
	v_fmac_f32_e32 v83, v84, v25
	s_delay_alu instid0(VALU_DEP_1) | instskip(NEXT) | instid1(VALU_DEP_1)
	v_fma_f32 v23, -v23, v83, v82
	v_div_fmas_f32 v23, v23, v25, v83
	s_delay_alu instid0(VALU_DEP_1)
	v_div_fixup_f32 v22, v23, v22, 1.0
	ds_store_b32 v72, v22
.LBB11_42:                              ;   in Loop: Header=BB11_3 Depth=1
	s_or_b32 exec_lo, exec_lo, s50
.LBB11_43:                              ;   in Loop: Header=BB11_3 Depth=1
	s_and_not1_saveexec_b32 s50, s68
	s_cbranch_execz .LBB11_45
; %bb.44:                               ;   in Loop: Header=BB11_3 Depth=1
	v_lshl_add_u64 v[22:23], v[14:15], 2, s[0:1]
	global_load_b32 v22, v[22:23], off
	s_wait_loadcnt 0x0
	v_xor_b32_e32 v22, 0x80000000, v22
	ds_store_b32 v72, v22
.LBB11_45:                              ;   in Loop: Header=BB11_3 Depth=1
	s_or_b32 exec_lo, exec_lo, s50
	s_delay_alu instid0(SALU_CYCLE_1) | instskip(SKIP_2) | instid1(SALU_CYCLE_1)
	s_mov_b32 s50, exec_lo
	v_readlane_b32 s51, v89, 16
	s_and_b32 s51, s50, s51
	;; [unrolled: 63-line block ×3, first 2 shown]
	s_xor_b32 s68, s51, s50
	s_mov_b32 exec_lo, s51
	s_cbranch_execz .LBB11_63
; %bb.56:                               ;   in Loop: Header=BB11_3 Depth=1
	s_mov_b32 s50, exec_lo
	v_readlane_b32 s51, v89, 25
	s_and_b32 s51, s50, s51
	s_delay_alu instid0(SALU_CYCLE_1)
	s_xor_b32 s50, s51, s50
	s_mov_b32 exec_lo, s51
	s_cbranch_execz .LBB11_60
; %bb.57:                               ;   in Loop: Header=BB11_3 Depth=1
	s_mov_b32 s51, exec_lo
	v_readlane_b32 s52, v88, 31
	s_and_b32 s52, s51, s52
	s_delay_alu instid0(SALU_CYCLE_1)
	s_mov_b32 exec_lo, s52
; %bb.58:                               ;   in Loop: Header=BB11_3 Depth=1
	ds_store_b32 v74, v5
; %bb.59:                               ;   in Loop: Header=BB11_3 Depth=1
	s_or_b32 exec_lo, exec_lo, s51
.LBB11_60:                              ;   in Loop: Header=BB11_3 Depth=1
	s_and_not1_saveexec_b32 s50, s50
	s_cbranch_execz .LBB11_62
; %bb.61:                               ;   in Loop: Header=BB11_3 Depth=1
	v_lshl_add_u64 v[22:23], v[18:19], 2, s[0:1]
	global_load_b32 v22, v[22:23], off
	s_wait_loadcnt 0x0
	v_div_scale_f32 v23, null, v22, v22, 1.0
	s_delay_alu instid0(VALU_DEP_1) | instskip(SKIP_1) | instid1(TRANS32_DEP_1)
	v_rcp_f32_e32 v25, v23
	v_nop
	v_fma_f32 v82, -v23, v25, 1.0
	s_delay_alu instid0(VALU_DEP_1) | instskip(SKIP_1) | instid1(VALU_DEP_1)
	v_fmac_f32_e32 v25, v82, v25
	v_div_scale_f32 v82, vcc_lo, 1.0, v22, 1.0
	v_mul_f32_e32 v83, v82, v25
	s_delay_alu instid0(VALU_DEP_1) | instskip(NEXT) | instid1(VALU_DEP_1)
	v_fma_f32 v84, -v23, v83, v82
	v_fmac_f32_e32 v83, v84, v25
	s_delay_alu instid0(VALU_DEP_1) | instskip(NEXT) | instid1(VALU_DEP_1)
	v_fma_f32 v23, -v23, v83, v82
	v_div_fmas_f32 v23, v23, v25, v83
	s_delay_alu instid0(VALU_DEP_1)
	v_div_fixup_f32 v22, v23, v22, 1.0
	ds_store_b32 v74, v22
.LBB11_62:                              ;   in Loop: Header=BB11_3 Depth=1
	s_or_b32 exec_lo, exec_lo, s50
.LBB11_63:                              ;   in Loop: Header=BB11_3 Depth=1
	s_and_not1_saveexec_b32 s50, s68
	s_cbranch_execz .LBB11_65
; %bb.64:                               ;   in Loop: Header=BB11_3 Depth=1
	v_lshl_add_u64 v[22:23], v[18:19], 2, s[0:1]
	global_load_b32 v22, v[22:23], off
	s_wait_loadcnt 0x0
	v_xor_b32_e32 v22, 0x80000000, v22
	ds_store_b32 v74, v22
.LBB11_65:                              ;   in Loop: Header=BB11_3 Depth=1
	s_or_b32 exec_lo, exec_lo, s50
.LBB11_66:                              ;   in Loop: Header=BB11_3 Depth=1
	s_delay_alu instid0(SALU_CYCLE_1)
	s_and_not1_b32 vcc_lo, exec_lo, s92
	s_wait_loadcnt_dscnt 0x0
	s_barrier_signal -1
	s_barrier_wait -1
	s_cbranch_vccnz .LBB11_1104
; %bb.67:                               ;   in Loop: Header=BB11_3 Depth=1
	s_and_saveexec_b32 s0, s17
	s_cbranch_execz .LBB11_69
; %bb.68:                               ;   in Loop: Header=BB11_3 Depth=1
	ds_load_b64 v[22:23], v5
	ds_load_b32 v25, v5 offset:260
	s_wait_dscnt 0x0
	v_mul_f32_e32 v22, v22, v25
	s_delay_alu instid0(VALU_DEP_1)
	v_mul_f32_e32 v22, v23, v22
	ds_store_2addr_b32 v5, v22, v22 offset0:1 offset1:64
.LBB11_69:                              ;   in Loop: Header=BB11_3 Depth=1
	s_or_b32 exec_lo, exec_lo, s0
	v_mov_b32_e32 v22, 0
	s_wait_dscnt 0x0
	s_barrier_signal -1
	s_barrier_wait -1
	s_and_saveexec_b32 s0, s2
	s_cbranch_execz .LBB11_73
; %bb.70:                               ;   in Loop: Header=BB11_3 Depth=1
	ds_load_b32 v22, v27 offset:8
	ds_load_b32 v23, v28
	s_wait_dscnt 0x0
	v_fma_f32 v22, v22, v23, 0
	s_and_saveexec_b32 s1, s18
	s_cbranch_execz .LBB11_72
; %bb.71:                               ;   in Loop: Header=BB11_3 Depth=1
	ds_load_b32 v23, v29 offset:264
	ds_load_b32 v25, v5 offset:4
	s_wait_dscnt 0x0
	v_fmac_f32_e32 v22, v23, v25
.LBB11_72:                              ;   in Loop: Header=BB11_3 Depth=1
	s_or_b32 exec_lo, exec_lo, s1
	s_delay_alu instid0(VALU_DEP_1)
	v_xor_b32_e32 v22, 0x80000000, v22
.LBB11_73:                              ;   in Loop: Header=BB11_3 Depth=1
	s_or_b32 exec_lo, exec_lo, s0
	s_and_saveexec_b32 s0, s93
	s_cbranch_execz .LBB11_75
; %bb.74:                               ;   in Loop: Header=BB11_3 Depth=1
	ds_load_b32 v23, v5 offset:520
	s_wait_dscnt 0x0
	v_mul_f32_e32 v22, v22, v23
	ds_store_b32 v3, v22
.LBB11_75:                              ;   in Loop: Header=BB11_3 Depth=1
	s_or_b32 exec_lo, exec_lo, s0
	s_wait_dscnt 0x0
	s_barrier_signal -1
	s_barrier_wait -1
	s_and_saveexec_b32 s0, s94
	s_cbranch_execz .LBB11_77
; %bb.76:                               ;   in Loop: Header=BB11_3 Depth=1
	ds_load_b32 v23, v5 offset:524
	ds_load_b32 v25, v3
	s_wait_dscnt 0x0
	v_fmac_f32_e32 v22, v23, v25
.LBB11_77:                              ;   in Loop: Header=BB11_3 Depth=1
	s_or_b32 exec_lo, exec_lo, s0
	s_barrier_signal -1
	s_barrier_wait -1
	s_and_saveexec_b32 s0, s94
	s_cbranch_execz .LBB11_79
; %bb.78:                               ;   in Loop: Header=BB11_3 Depth=1
	ds_load_b32 v23, v5 offset:780
	s_wait_dscnt 0x0
	v_mul_f32_e32 v22, v22, v23
	ds_store_b32 v3, v22
.LBB11_79:                              ;   in Loop: Header=BB11_3 Depth=1
	s_or_b32 exec_lo, exec_lo, s0
	s_wait_dscnt 0x0
	s_barrier_signal -1
	s_barrier_wait -1
	s_barrier_signal -1
	s_barrier_wait -1
	s_and_saveexec_b32 s0, s2
; %bb.80:                               ;   in Loop: Header=BB11_3 Depth=1
	v_xor_b32_e32 v22, 0x80000000, v22
	ds_store_b32 v27, v22 offset:8
; %bb.81:                               ;   in Loop: Header=BB11_3 Depth=1
	s_or_b32 exec_lo, exec_lo, s0
	s_wait_dscnt 0x0
	s_barrier_signal -1
	s_barrier_wait -1
	s_barrier_signal -1
	s_barrier_wait -1
	s_and_saveexec_b32 s0, s95
	s_cbranch_execz .LBB11_83
; %bb.82:                               ;   in Loop: Header=BB11_3 Depth=1
	ds_load_b32 v22, v33 offset:8
	s_wait_dscnt 0x0
	ds_store_b32 v29, v22 offset:512
	ds_load_b32 v22, v33 offset:12
	s_wait_dscnt 0x0
	ds_store_b32 v29, v22 offset:768
.LBB11_83:                              ;   in Loop: Header=BB11_3 Depth=1
	s_or_b32 exec_lo, exec_lo, s0
	s_wait_dscnt 0x0
	s_barrier_signal -1
	s_barrier_wait -1
	s_and_saveexec_b32 s0, s17
	s_cbranch_execz .LBB11_85
; %bb.84:                               ;   in Loop: Header=BB11_3 Depth=1
	ds_load_b64 v[22:23], v5 offset:520
	ds_load_b32 v25, v5 offset:780
	s_wait_dscnt 0x0
	v_mul_f32_e32 v22, v22, v25
	s_delay_alu instid0(VALU_DEP_1)
	v_mul_f32_e32 v22, v23, v22
	ds_store_2addr_b32 v5, v22, v22 offset0:131 offset1:194
.LBB11_85:                              ;   in Loop: Header=BB11_3 Depth=1
	s_or_b32 exec_lo, exec_lo, s0
	v_mov_b32_e32 v22, 0
	s_wait_dscnt 0x0
	s_barrier_signal -1
	s_barrier_wait -1
	s_and_saveexec_b32 s0, s4
	s_cbranch_execz .LBB11_91
; %bb.86:                               ;   in Loop: Header=BB11_3 Depth=1
	ds_load_b32 v22, v35 offset:16
	ds_load_b32 v23, v30
	s_wait_dscnt 0x0
	v_fma_f32 v22, v22, v23, 0
	s_and_saveexec_b32 s1, s19
	s_cbranch_execnz .LBB11_1207
; %bb.87:                               ;   in Loop: Header=BB11_3 Depth=1
	s_or_b32 exec_lo, exec_lo, s1
	s_and_saveexec_b32 s1, s20
	s_cbranch_execnz .LBB11_1208
.LBB11_88:                              ;   in Loop: Header=BB11_3 Depth=1
	s_or_b32 exec_lo, exec_lo, s1
	s_and_saveexec_b32 s1, s2
	s_cbranch_execz .LBB11_90
.LBB11_89:                              ;   in Loop: Header=BB11_3 Depth=1
	ds_load_b32 v23, v37 offset:784
	ds_load_b32 v25, v5 offset:12
	s_wait_dscnt 0x0
	v_fmac_f32_e32 v22, v23, v25
.LBB11_90:                              ;   in Loop: Header=BB11_3 Depth=1
	s_or_b32 exec_lo, exec_lo, s1
	s_delay_alu instid0(VALU_DEP_1)
	v_xor_b32_e32 v22, 0x80000000, v22
.LBB11_91:                              ;   in Loop: Header=BB11_3 Depth=1
	s_or_b32 exec_lo, exec_lo, s0
	s_and_saveexec_b32 s0, s96
	s_cbranch_execz .LBB11_93
; %bb.92:                               ;   in Loop: Header=BB11_3 Depth=1
	ds_load_b32 v23, v5 offset:1040
	s_wait_dscnt 0x0
	v_mul_f32_e32 v22, v22, v23
	ds_store_b32 v34, v22
.LBB11_93:                              ;   in Loop: Header=BB11_3 Depth=1
	s_or_b32 exec_lo, exec_lo, s0
	s_wait_dscnt 0x0
	s_barrier_signal -1
	s_barrier_wait -1
	s_and_saveexec_b32 s0, s97
	s_cbranch_execz .LBB11_95
; %bb.94:                               ;   in Loop: Header=BB11_3 Depth=1
	ds_load_b32 v23, v32 offset:1040
	ds_load_b32 v25, v34
	s_wait_dscnt 0x0
	v_fmac_f32_e32 v22, v23, v25
.LBB11_95:                              ;   in Loop: Header=BB11_3 Depth=1
	s_or_b32 exec_lo, exec_lo, s0
	s_barrier_signal -1
	s_barrier_wait -1
	s_and_saveexec_b32 s0, s98
	s_cbranch_execz .LBB11_97
; %bb.96:                               ;   in Loop: Header=BB11_3 Depth=1
	ds_load_b32 v23, v5 offset:1300
	s_wait_dscnt 0x0
	v_mul_f32_e32 v22, v22, v23
	ds_store_b32 v34, v22
.LBB11_97:                              ;   in Loop: Header=BB11_3 Depth=1
	s_or_b32 exec_lo, exec_lo, s0
	s_wait_dscnt 0x0
	s_barrier_signal -1
	s_barrier_wait -1
	s_and_saveexec_b32 s0, s99
	s_cbranch_execz .LBB11_99
; %bb.98:                               ;   in Loop: Header=BB11_3 Depth=1
	ds_load_b32 v23, v32 offset:1296
	ds_load_b32 v25, v34
	s_wait_dscnt 0x0
	v_fmac_f32_e32 v22, v23, v25
.LBB11_99:                              ;   in Loop: Header=BB11_3 Depth=1
	s_or_b32 exec_lo, exec_lo, s0
	s_barrier_signal -1
	s_barrier_wait -1
	s_and_saveexec_b32 s0, s100
	s_cbranch_execz .LBB11_101
; %bb.100:                              ;   in Loop: Header=BB11_3 Depth=1
	ds_load_b32 v23, v5 offset:1560
	s_wait_dscnt 0x0
	v_mul_f32_e32 v22, v22, v23
	ds_store_b32 v34, v22
.LBB11_101:                             ;   in Loop: Header=BB11_3 Depth=1
	s_or_b32 exec_lo, exec_lo, s0
	s_wait_dscnt 0x0
	s_barrier_signal -1
	s_barrier_wait -1
	s_and_saveexec_b32 s0, s101
	s_cbranch_execz .LBB11_103
; %bb.102:                              ;   in Loop: Header=BB11_3 Depth=1
	ds_load_b32 v23, v5 offset:1564
	ds_load_b32 v25, v34
	s_wait_dscnt 0x0
	v_fmac_f32_e32 v22, v23, v25
.LBB11_103:                             ;   in Loop: Header=BB11_3 Depth=1
	s_or_b32 exec_lo, exec_lo, s0
	s_barrier_signal -1
	s_barrier_wait -1
	s_and_saveexec_b32 s0, s101
	s_cbranch_execz .LBB11_105
; %bb.104:                              ;   in Loop: Header=BB11_3 Depth=1
	ds_load_b32 v23, v5 offset:1820
	s_wait_dscnt 0x0
	v_mul_f32_e32 v22, v22, v23
	ds_store_b32 v34, v22
.LBB11_105:                             ;   in Loop: Header=BB11_3 Depth=1
	s_or_b32 exec_lo, exec_lo, s0
	s_wait_dscnt 0x0
	s_barrier_signal -1
	s_barrier_wait -1
	s_barrier_signal -1
	s_barrier_wait -1
	s_and_saveexec_b32 s0, s4
; %bb.106:                              ;   in Loop: Header=BB11_3 Depth=1
	v_xor_b32_e32 v22, 0x80000000, v22
	ds_store_b32 v35, v22 offset:16
; %bb.107:                              ;   in Loop: Header=BB11_3 Depth=1
	s_or_b32 exec_lo, exec_lo, s0
	s_wait_dscnt 0x0
	s_barrier_signal -1
	s_barrier_wait -1
	s_barrier_signal -1
	s_barrier_wait -1
	s_and_saveexec_b32 s0, s102
	s_cbranch_execz .LBB11_109
; %bb.108:                              ;   in Loop: Header=BB11_3 Depth=1
	ds_load_b32 v22, v38 offset:16
	s_wait_dscnt 0x0
	ds_store_b32 v40, v22 offset:1024
	ds_load_b32 v22, v38 offset:20
	s_wait_dscnt 0x0
	ds_store_b32 v40, v22 offset:1280
	;; [unrolled: 3-line block ×4, first 2 shown]
.LBB11_109:                             ;   in Loop: Header=BB11_3 Depth=1
	s_or_b32 exec_lo, exec_lo, s0
	s_wait_dscnt 0x0
	s_barrier_signal -1
	s_barrier_wait -1
	s_and_saveexec_b32 s0, s17
	s_cbranch_execz .LBB11_111
; %bb.110:                              ;   in Loop: Header=BB11_3 Depth=1
	ds_load_b64 v[22:23], v5 offset:1040
	ds_load_b32 v25, v5 offset:1300
	s_wait_dscnt 0x0
	v_mul_f32_e32 v22, v22, v25
	s_delay_alu instid0(VALU_DEP_1)
	v_mul_f32_e32 v22, v23, v22
	v_add_nc_u32_e64 v23, 0x400, 0
	ds_store_2addr_b32 v23, v22, v22 offset0:5 offset1:68
.LBB11_111:                             ;   in Loop: Header=BB11_3 Depth=1
	s_or_b32 exec_lo, exec_lo, s0
	v_mov_b32_e32 v22, 0
	s_wait_dscnt 0x0
	s_barrier_signal -1
	s_barrier_wait -1
	s_and_saveexec_b32 s0, s2
	s_cbranch_execz .LBB11_115
; %bb.112:                              ;   in Loop: Header=BB11_3 Depth=1
	ds_load_b32 v22, v27 offset:1048
	ds_load_b32 v23, v28 offset:1040
	s_wait_dscnt 0x0
	v_fma_f32 v22, v22, v23, 0
	s_and_saveexec_b32 s1, s18
	s_cbranch_execz .LBB11_114
; %bb.113:                              ;   in Loop: Header=BB11_3 Depth=1
	ds_load_b32 v23, v40 offset:1304
	ds_load_b32 v25, v5 offset:1044
	s_wait_dscnt 0x0
	v_fmac_f32_e32 v22, v23, v25
.LBB11_114:                             ;   in Loop: Header=BB11_3 Depth=1
	s_or_b32 exec_lo, exec_lo, s1
	s_delay_alu instid0(VALU_DEP_1)
	v_xor_b32_e32 v22, 0x80000000, v22
.LBB11_115:                             ;   in Loop: Header=BB11_3 Depth=1
	s_or_b32 exec_lo, exec_lo, s0
	s_and_saveexec_b32 s0, s93
	s_cbranch_execz .LBB11_117
; %bb.116:                              ;   in Loop: Header=BB11_3 Depth=1
	ds_load_b32 v23, v5 offset:1560
	s_wait_dscnt 0x0
	v_mul_f32_e32 v22, v22, v23
	ds_store_b32 v3, v22
.LBB11_117:                             ;   in Loop: Header=BB11_3 Depth=1
	s_or_b32 exec_lo, exec_lo, s0
	s_wait_dscnt 0x0
	s_barrier_signal -1
	s_barrier_wait -1
	s_and_saveexec_b32 s0, s94
	s_cbranch_execz .LBB11_119
; %bb.118:                              ;   in Loop: Header=BB11_3 Depth=1
	ds_load_b32 v23, v5 offset:1564
	ds_load_b32 v25, v3
	s_wait_dscnt 0x0
	v_fmac_f32_e32 v22, v23, v25
.LBB11_119:                             ;   in Loop: Header=BB11_3 Depth=1
	s_or_b32 exec_lo, exec_lo, s0
	s_barrier_signal -1
	s_barrier_wait -1
	s_and_saveexec_b32 s0, s94
	s_cbranch_execz .LBB11_121
; %bb.120:                              ;   in Loop: Header=BB11_3 Depth=1
	ds_load_b32 v23, v5 offset:1820
	s_wait_dscnt 0x0
	v_mul_f32_e32 v22, v22, v23
	ds_store_b32 v3, v22
.LBB11_121:                             ;   in Loop: Header=BB11_3 Depth=1
	s_or_b32 exec_lo, exec_lo, s0
	s_wait_dscnt 0x0
	s_barrier_signal -1
	s_barrier_wait -1
	s_barrier_signal -1
	s_barrier_wait -1
	s_and_saveexec_b32 s0, s2
; %bb.122:                              ;   in Loop: Header=BB11_3 Depth=1
	v_xor_b32_e32 v22, 0x80000000, v22
	ds_store_b32 v27, v22 offset:1048
; %bb.123:                              ;   in Loop: Header=BB11_3 Depth=1
	s_or_b32 exec_lo, exec_lo, s0
	s_wait_dscnt 0x0
	s_barrier_signal -1
	s_barrier_wait -1
	s_barrier_signal -1
	s_barrier_wait -1
	s_and_saveexec_b32 s0, s95
	s_cbranch_execz .LBB11_125
; %bb.124:                              ;   in Loop: Header=BB11_3 Depth=1
	ds_load_b32 v22, v42 offset:1048
	s_wait_dscnt 0x0
	ds_store_b32 v40, v22 offset:1552
	ds_load_b32 v22, v42 offset:1052
	s_wait_dscnt 0x0
	ds_store_b32 v40, v22 offset:1808
.LBB11_125:                             ;   in Loop: Header=BB11_3 Depth=1
	s_or_b32 exec_lo, exec_lo, s0
	s_wait_dscnt 0x0
	s_barrier_signal -1
	s_barrier_wait -1
	s_and_saveexec_b32 s0, s17
	s_cbranch_execz .LBB11_127
; %bb.126:                              ;   in Loop: Header=BB11_3 Depth=1
	ds_load_b64 v[22:23], v5 offset:1560
	ds_load_b32 v25, v5 offset:1820
	s_wait_dscnt 0x0
	v_mul_f32_e32 v22, v22, v25
	s_delay_alu instid0(VALU_DEP_1)
	v_mul_f32_e32 v22, v23, v22
	v_add_nc_u32_e64 v23, 0x400, 0
	ds_store_2addr_b32 v23, v22, v22 offset0:135 offset1:198
.LBB11_127:                             ;   in Loop: Header=BB11_3 Depth=1
	s_or_b32 exec_lo, exec_lo, s0
	v_mov_b32_e32 v22, 0
	s_wait_dscnt 0x0
	s_barrier_signal -1
	s_barrier_wait -1
	s_and_saveexec_b32 s0, s5
	s_cbranch_execz .LBB11_137
; %bb.128:                              ;   in Loop: Header=BB11_3 Depth=1
	ds_load_b32 v22, v44 offset:32
	ds_load_b32 v23, v39
	s_wait_dscnt 0x0
	v_fma_f32 v22, v22, v23, 0
	s_and_saveexec_b32 s1, s21
	s_cbranch_execnz .LBB11_1209
; %bb.129:                              ;   in Loop: Header=BB11_3 Depth=1
	s_or_b32 exec_lo, exec_lo, s1
	s_and_saveexec_b32 s1, s22
	s_cbranch_execnz .LBB11_1210
.LBB11_130:                             ;   in Loop: Header=BB11_3 Depth=1
	s_or_b32 exec_lo, exec_lo, s1
	s_and_saveexec_b32 s1, s23
	s_cbranch_execnz .LBB11_1211
.LBB11_131:                             ;   in Loop: Header=BB11_3 Depth=1
	s_or_b32 exec_lo, exec_lo, s1
	s_and_saveexec_b32 s1, s24
	s_cbranch_execnz .LBB11_1212
.LBB11_132:                             ;   in Loop: Header=BB11_3 Depth=1
	s_or_b32 exec_lo, exec_lo, s1
	s_and_saveexec_b32 s1, s25
	s_cbranch_execnz .LBB11_1213
.LBB11_133:                             ;   in Loop: Header=BB11_3 Depth=1
	s_or_b32 exec_lo, exec_lo, s1
	s_and_saveexec_b32 s1, s4
	s_cbranch_execnz .LBB11_1214
.LBB11_134:                             ;   in Loop: Header=BB11_3 Depth=1
	s_or_b32 exec_lo, exec_lo, s1
	s_and_saveexec_b32 s1, s20
	s_cbranch_execz .LBB11_136
.LBB11_135:                             ;   in Loop: Header=BB11_3 Depth=1
	ds_load_b32 v23, v46 offset:1824
	ds_load_b32 v25, v5 offset:28
	s_wait_dscnt 0x0
	v_fmac_f32_e32 v22, v23, v25
.LBB11_136:                             ;   in Loop: Header=BB11_3 Depth=1
	s_or_b32 exec_lo, exec_lo, s1
	s_delay_alu instid0(VALU_DEP_1)
	v_xor_b32_e32 v22, 0x80000000, v22
.LBB11_137:                             ;   in Loop: Header=BB11_3 Depth=1
	s_or_b32 exec_lo, exec_lo, s0
	s_and_saveexec_b32 s0, s103
	s_cbranch_execz .LBB11_139
; %bb.138:                              ;   in Loop: Header=BB11_3 Depth=1
	ds_load_b32 v23, v5 offset:2080
	s_wait_dscnt 0x0
	v_mul_f32_e32 v22, v22, v23
	ds_store_b32 v43, v22
.LBB11_139:                             ;   in Loop: Header=BB11_3 Depth=1
	s_or_b32 exec_lo, exec_lo, s0
	s_wait_dscnt 0x0
	s_barrier_signal -1
	s_barrier_wait -1
	s_and_saveexec_b32 s0, s104
	s_cbranch_execz .LBB11_141
; %bb.140:                              ;   in Loop: Header=BB11_3 Depth=1
	ds_load_b32 v23, v41 offset:2080
	ds_load_b32 v25, v43
	s_wait_dscnt 0x0
	v_fmac_f32_e32 v22, v23, v25
.LBB11_141:                             ;   in Loop: Header=BB11_3 Depth=1
	s_or_b32 exec_lo, exec_lo, s0
	s_barrier_signal -1
	s_barrier_wait -1
	s_and_saveexec_b32 s0, vcc_hi
	s_cbranch_execz .LBB11_143
; %bb.142:                              ;   in Loop: Header=BB11_3 Depth=1
	ds_load_b32 v23, v5 offset:2340
	s_wait_dscnt 0x0
	v_mul_f32_e32 v22, v22, v23
	ds_store_b32 v43, v22
.LBB11_143:                             ;   in Loop: Header=BB11_3 Depth=1
	s_or_b32 exec_lo, exec_lo, s0
	s_wait_dscnt 0x0
	s_barrier_signal -1
	s_barrier_wait -1
	s_and_saveexec_b32 s0, s38
	s_cbranch_execz .LBB11_145
; %bb.144:                              ;   in Loop: Header=BB11_3 Depth=1
	ds_load_b32 v23, v41 offset:2336
	ds_load_b32 v25, v43
	s_wait_dscnt 0x0
	v_fmac_f32_e32 v22, v23, v25
.LBB11_145:                             ;   in Loop: Header=BB11_3 Depth=1
	s_or_b32 exec_lo, exec_lo, s0
	s_barrier_signal -1
	s_barrier_wait -1
	s_and_saveexec_b32 s0, s39
	s_cbranch_execz .LBB11_147
; %bb.146:                              ;   in Loop: Header=BB11_3 Depth=1
	ds_load_b32 v23, v5 offset:2600
	s_wait_dscnt 0x0
	v_mul_f32_e32 v22, v22, v23
	ds_store_b32 v43, v22
.LBB11_147:                             ;   in Loop: Header=BB11_3 Depth=1
	s_or_b32 exec_lo, exec_lo, s0
	s_wait_dscnt 0x0
	s_barrier_signal -1
	s_barrier_wait -1
	s_and_saveexec_b32 s0, s40
	s_cbranch_execz .LBB11_149
; %bb.148:                              ;   in Loop: Header=BB11_3 Depth=1
	ds_load_b32 v23, v41 offset:2592
	ds_load_b32 v25, v43
	s_wait_dscnt 0x0
	v_fmac_f32_e32 v22, v23, v25
.LBB11_149:                             ;   in Loop: Header=BB11_3 Depth=1
	s_or_b32 exec_lo, exec_lo, s0
	s_barrier_signal -1
	s_barrier_wait -1
	s_and_saveexec_b32 s0, s41
	s_cbranch_execz .LBB11_151
; %bb.150:                              ;   in Loop: Header=BB11_3 Depth=1
	ds_load_b32 v23, v5 offset:2860
	s_wait_dscnt 0x0
	v_mul_f32_e32 v22, v22, v23
	ds_store_b32 v43, v22
.LBB11_151:                             ;   in Loop: Header=BB11_3 Depth=1
	s_or_b32 exec_lo, exec_lo, s0
	s_wait_dscnt 0x0
	s_barrier_signal -1
	s_barrier_wait -1
	s_and_saveexec_b32 s0, s42
	s_cbranch_execz .LBB11_153
; %bb.152:                              ;   in Loop: Header=BB11_3 Depth=1
	ds_load_b32 v23, v41 offset:2848
	ds_load_b32 v25, v43
	s_wait_dscnt 0x0
	v_fmac_f32_e32 v22, v23, v25
.LBB11_153:                             ;   in Loop: Header=BB11_3 Depth=1
	s_or_b32 exec_lo, exec_lo, s0
	s_barrier_signal -1
	s_barrier_wait -1
	s_and_saveexec_b32 s0, s43
	s_cbranch_execz .LBB11_155
; %bb.154:                              ;   in Loop: Header=BB11_3 Depth=1
	ds_load_b32 v23, v5 offset:3120
	s_wait_dscnt 0x0
	v_mul_f32_e32 v22, v22, v23
	ds_store_b32 v43, v22
.LBB11_155:                             ;   in Loop: Header=BB11_3 Depth=1
	s_or_b32 exec_lo, exec_lo, s0
	s_wait_dscnt 0x0
	s_barrier_signal -1
	s_barrier_wait -1
	s_and_saveexec_b32 s0, s44
	s_cbranch_execz .LBB11_157
; %bb.156:                              ;   in Loop: Header=BB11_3 Depth=1
	ds_load_b32 v23, v41 offset:3104
	ds_load_b32 v25, v43
	s_wait_dscnt 0x0
	v_fmac_f32_e32 v22, v23, v25
.LBB11_157:                             ;   in Loop: Header=BB11_3 Depth=1
	s_or_b32 exec_lo, exec_lo, s0
	s_barrier_signal -1
	s_barrier_wait -1
	s_and_saveexec_b32 s0, s45
	s_cbranch_execz .LBB11_159
; %bb.158:                              ;   in Loop: Header=BB11_3 Depth=1
	ds_load_b32 v23, v5 offset:3380
	s_wait_dscnt 0x0
	v_mul_f32_e32 v22, v22, v23
	ds_store_b32 v43, v22
.LBB11_159:                             ;   in Loop: Header=BB11_3 Depth=1
	s_or_b32 exec_lo, exec_lo, s0
	s_wait_dscnt 0x0
	s_barrier_signal -1
	s_barrier_wait -1
	s_and_saveexec_b32 s0, s46
	s_cbranch_execz .LBB11_161
; %bb.160:                              ;   in Loop: Header=BB11_3 Depth=1
	ds_load_b32 v23, v41 offset:3360
	ds_load_b32 v25, v43
	s_wait_dscnt 0x0
	v_fmac_f32_e32 v22, v23, v25
.LBB11_161:                             ;   in Loop: Header=BB11_3 Depth=1
	s_or_b32 exec_lo, exec_lo, s0
	s_barrier_signal -1
	s_barrier_wait -1
	s_and_saveexec_b32 s0, s47
	s_cbranch_execz .LBB11_163
; %bb.162:                              ;   in Loop: Header=BB11_3 Depth=1
	ds_load_b32 v23, v5 offset:3640
	s_wait_dscnt 0x0
	v_mul_f32_e32 v22, v22, v23
	ds_store_b32 v43, v22
.LBB11_163:                             ;   in Loop: Header=BB11_3 Depth=1
	s_or_b32 exec_lo, exec_lo, s0
	s_wait_dscnt 0x0
	s_barrier_signal -1
	s_barrier_wait -1
	s_and_saveexec_b32 s0, s48
	s_cbranch_execz .LBB11_165
; %bb.164:                              ;   in Loop: Header=BB11_3 Depth=1
	ds_load_b32 v23, v5 offset:3644
	ds_load_b32 v25, v43
	s_wait_dscnt 0x0
	v_fmac_f32_e32 v22, v23, v25
.LBB11_165:                             ;   in Loop: Header=BB11_3 Depth=1
	s_or_b32 exec_lo, exec_lo, s0
	s_barrier_signal -1
	s_barrier_wait -1
	s_and_saveexec_b32 s0, s48
	s_cbranch_execz .LBB11_167
; %bb.166:                              ;   in Loop: Header=BB11_3 Depth=1
	ds_load_b32 v23, v5 offset:3900
	s_wait_dscnt 0x0
	v_mul_f32_e32 v22, v22, v23
	ds_store_b32 v43, v22
.LBB11_167:                             ;   in Loop: Header=BB11_3 Depth=1
	s_or_b32 exec_lo, exec_lo, s0
	s_wait_dscnt 0x0
	s_barrier_signal -1
	s_barrier_wait -1
	s_barrier_signal -1
	s_barrier_wait -1
	s_and_saveexec_b32 s0, s5
; %bb.168:                              ;   in Loop: Header=BB11_3 Depth=1
	v_xor_b32_e32 v22, 0x80000000, v22
	ds_store_b32 v44, v22 offset:32
; %bb.169:                              ;   in Loop: Header=BB11_3 Depth=1
	s_or_b32 exec_lo, exec_lo, s0
	s_wait_dscnt 0x0
	s_barrier_signal -1
	s_barrier_wait -1
	s_barrier_signal -1
	s_barrier_wait -1
	s_and_saveexec_b32 s0, s49
	s_cbranch_execz .LBB11_171
; %bb.170:                              ;   in Loop: Header=BB11_3 Depth=1
	ds_load_b32 v22, v47 offset:32
	s_wait_dscnt 0x0
	ds_store_b32 v48, v22 offset:2048
	ds_load_b32 v22, v47 offset:36
	s_wait_dscnt 0x0
	ds_store_b32 v48, v22 offset:2304
	;; [unrolled: 3-line block ×8, first 2 shown]
.LBB11_171:                             ;   in Loop: Header=BB11_3 Depth=1
	s_or_b32 exec_lo, exec_lo, s0
	s_wait_dscnt 0x0
	s_barrier_signal -1
	s_barrier_wait -1
	s_and_saveexec_b32 s0, s17
	s_cbranch_execz .LBB11_173
; %bb.172:                              ;   in Loop: Header=BB11_3 Depth=1
	ds_load_b64 v[22:23], v5 offset:2080
	ds_load_b32 v25, v5 offset:2340
	s_wait_dscnt 0x0
	v_mul_f32_e32 v22, v22, v25
	s_delay_alu instid0(VALU_DEP_1)
	v_mul_f32_e32 v22, v23, v22
	v_add_nc_u32_e64 v23, 0x800, 0
	ds_store_2addr_b32 v23, v22, v22 offset0:9 offset1:72
.LBB11_173:                             ;   in Loop: Header=BB11_3 Depth=1
	s_or_b32 exec_lo, exec_lo, s0
	v_mov_b32_e32 v22, 0
	s_wait_dscnt 0x0
	s_barrier_signal -1
	s_barrier_wait -1
	s_and_saveexec_b32 s0, s2
	s_cbranch_execz .LBB11_177
; %bb.174:                              ;   in Loop: Header=BB11_3 Depth=1
	ds_load_b32 v22, v27 offset:2088
	ds_load_b32 v23, v28 offset:2080
	s_wait_dscnt 0x0
	v_fma_f32 v22, v22, v23, 0
	s_and_saveexec_b32 s1, s18
	s_cbranch_execz .LBB11_176
; %bb.175:                              ;   in Loop: Header=BB11_3 Depth=1
	ds_load_b32 v23, v48 offset:2344
	ds_load_b32 v25, v5 offset:2084
	s_wait_dscnt 0x0
	v_fmac_f32_e32 v22, v23, v25
.LBB11_176:                             ;   in Loop: Header=BB11_3 Depth=1
	s_or_b32 exec_lo, exec_lo, s1
	s_delay_alu instid0(VALU_DEP_1)
	v_xor_b32_e32 v22, 0x80000000, v22
.LBB11_177:                             ;   in Loop: Header=BB11_3 Depth=1
	s_or_b32 exec_lo, exec_lo, s0
	s_and_saveexec_b32 s0, s93
	s_cbranch_execz .LBB11_179
; %bb.178:                              ;   in Loop: Header=BB11_3 Depth=1
	ds_load_b32 v23, v5 offset:2600
	s_wait_dscnt 0x0
	v_mul_f32_e32 v22, v22, v23
	ds_store_b32 v3, v22
.LBB11_179:                             ;   in Loop: Header=BB11_3 Depth=1
	s_or_b32 exec_lo, exec_lo, s0
	s_wait_dscnt 0x0
	s_barrier_signal -1
	s_barrier_wait -1
	s_and_saveexec_b32 s0, s94
	s_cbranch_execz .LBB11_181
; %bb.180:                              ;   in Loop: Header=BB11_3 Depth=1
	ds_load_b32 v23, v5 offset:2604
	ds_load_b32 v25, v3
	s_wait_dscnt 0x0
	v_fmac_f32_e32 v22, v23, v25
.LBB11_181:                             ;   in Loop: Header=BB11_3 Depth=1
	s_or_b32 exec_lo, exec_lo, s0
	s_barrier_signal -1
	s_barrier_wait -1
	s_and_saveexec_b32 s0, s94
	s_cbranch_execz .LBB11_183
; %bb.182:                              ;   in Loop: Header=BB11_3 Depth=1
	ds_load_b32 v23, v5 offset:2860
	s_wait_dscnt 0x0
	v_mul_f32_e32 v22, v22, v23
	ds_store_b32 v3, v22
.LBB11_183:                             ;   in Loop: Header=BB11_3 Depth=1
	s_or_b32 exec_lo, exec_lo, s0
	s_wait_dscnt 0x0
	s_barrier_signal -1
	s_barrier_wait -1
	s_barrier_signal -1
	s_barrier_wait -1
	s_and_saveexec_b32 s0, s2
; %bb.184:                              ;   in Loop: Header=BB11_3 Depth=1
	v_xor_b32_e32 v22, 0x80000000, v22
	ds_store_b32 v27, v22 offset:2088
; %bb.185:                              ;   in Loop: Header=BB11_3 Depth=1
	s_or_b32 exec_lo, exec_lo, s0
	s_wait_dscnt 0x0
	s_barrier_signal -1
	s_barrier_wait -1
	s_barrier_signal -1
	s_barrier_wait -1
	s_and_saveexec_b32 s0, s95
	s_cbranch_execz .LBB11_187
; %bb.186:                              ;   in Loop: Header=BB11_3 Depth=1
	ds_load_b32 v22, v49 offset:2088
	s_wait_dscnt 0x0
	ds_store_b32 v48, v22 offset:2592
	ds_load_b32 v22, v49 offset:2092
	s_wait_dscnt 0x0
	ds_store_b32 v48, v22 offset:2848
.LBB11_187:                             ;   in Loop: Header=BB11_3 Depth=1
	s_or_b32 exec_lo, exec_lo, s0
	s_wait_dscnt 0x0
	s_barrier_signal -1
	s_barrier_wait -1
	s_and_saveexec_b32 s0, s17
	s_cbranch_execz .LBB11_189
; %bb.188:                              ;   in Loop: Header=BB11_3 Depth=1
	ds_load_b64 v[22:23], v5 offset:2600
	ds_load_b32 v25, v5 offset:2860
	s_wait_dscnt 0x0
	v_mul_f32_e32 v22, v22, v25
	s_delay_alu instid0(VALU_DEP_1)
	v_mul_f32_e32 v22, v23, v22
	v_add_nc_u32_e64 v23, 0x800, 0
	ds_store_2addr_b32 v23, v22, v22 offset0:139 offset1:202
.LBB11_189:                             ;   in Loop: Header=BB11_3 Depth=1
	s_or_b32 exec_lo, exec_lo, s0
	v_mov_b32_e32 v22, 0
	s_wait_dscnt 0x0
	s_barrier_signal -1
	s_barrier_wait -1
	s_and_saveexec_b32 s0, s4
	s_cbranch_execz .LBB11_195
; %bb.190:                              ;   in Loop: Header=BB11_3 Depth=1
	ds_load_b32 v22, v35 offset:2096
	ds_load_b32 v23, v30 offset:2080
	s_wait_dscnt 0x0
	v_fma_f32 v22, v22, v23, 0
	s_and_saveexec_b32 s1, s19
	s_cbranch_execnz .LBB11_1215
; %bb.191:                              ;   in Loop: Header=BB11_3 Depth=1
	s_or_b32 exec_lo, exec_lo, s1
	s_and_saveexec_b32 s1, s20
	s_cbranch_execnz .LBB11_1216
.LBB11_192:                             ;   in Loop: Header=BB11_3 Depth=1
	s_or_b32 exec_lo, exec_lo, s1
	s_and_saveexec_b32 s1, s2
	s_cbranch_execz .LBB11_194
.LBB11_193:                             ;   in Loop: Header=BB11_3 Depth=1
	ds_load_b32 v23, v50 offset:2864
	ds_load_b32 v25, v5 offset:2092
	s_wait_dscnt 0x0
	v_fmac_f32_e32 v22, v23, v25
.LBB11_194:                             ;   in Loop: Header=BB11_3 Depth=1
	s_or_b32 exec_lo, exec_lo, s1
	s_delay_alu instid0(VALU_DEP_1)
	v_xor_b32_e32 v22, 0x80000000, v22
.LBB11_195:                             ;   in Loop: Header=BB11_3 Depth=1
	s_or_b32 exec_lo, exec_lo, s0
	s_and_saveexec_b32 s0, s96
	s_cbranch_execz .LBB11_197
; %bb.196:                              ;   in Loop: Header=BB11_3 Depth=1
	ds_load_b32 v23, v5 offset:3120
	s_wait_dscnt 0x0
	v_mul_f32_e32 v22, v22, v23
	ds_store_b32 v34, v22
.LBB11_197:                             ;   in Loop: Header=BB11_3 Depth=1
	s_or_b32 exec_lo, exec_lo, s0
	s_wait_dscnt 0x0
	s_barrier_signal -1
	s_barrier_wait -1
	s_and_saveexec_b32 s0, s97
	s_cbranch_execz .LBB11_199
; %bb.198:                              ;   in Loop: Header=BB11_3 Depth=1
	ds_load_b32 v23, v32 offset:3120
	ds_load_b32 v25, v34
	s_wait_dscnt 0x0
	v_fmac_f32_e32 v22, v23, v25
.LBB11_199:                             ;   in Loop: Header=BB11_3 Depth=1
	s_or_b32 exec_lo, exec_lo, s0
	s_barrier_signal -1
	s_barrier_wait -1
	s_and_saveexec_b32 s0, s98
	s_cbranch_execz .LBB11_201
; %bb.200:                              ;   in Loop: Header=BB11_3 Depth=1
	ds_load_b32 v23, v5 offset:3380
	s_wait_dscnt 0x0
	v_mul_f32_e32 v22, v22, v23
	ds_store_b32 v34, v22
.LBB11_201:                             ;   in Loop: Header=BB11_3 Depth=1
	s_or_b32 exec_lo, exec_lo, s0
	s_wait_dscnt 0x0
	s_barrier_signal -1
	s_barrier_wait -1
	s_and_saveexec_b32 s0, s99
	s_cbranch_execz .LBB11_203
; %bb.202:                              ;   in Loop: Header=BB11_3 Depth=1
	ds_load_b32 v23, v32 offset:3376
	ds_load_b32 v25, v34
	s_wait_dscnt 0x0
	v_fmac_f32_e32 v22, v23, v25
.LBB11_203:                             ;   in Loop: Header=BB11_3 Depth=1
	s_or_b32 exec_lo, exec_lo, s0
	s_barrier_signal -1
	s_barrier_wait -1
	;; [unrolled: 23-line block ×3, first 2 shown]
	s_and_saveexec_b32 s0, s101
	s_cbranch_execz .LBB11_209
; %bb.208:                              ;   in Loop: Header=BB11_3 Depth=1
	ds_load_b32 v23, v5 offset:3900
	s_wait_dscnt 0x0
	v_mul_f32_e32 v22, v22, v23
	ds_store_b32 v34, v22
.LBB11_209:                             ;   in Loop: Header=BB11_3 Depth=1
	s_or_b32 exec_lo, exec_lo, s0
	s_wait_dscnt 0x0
	s_barrier_signal -1
	s_barrier_wait -1
	s_barrier_signal -1
	s_barrier_wait -1
	s_and_saveexec_b32 s0, s4
; %bb.210:                              ;   in Loop: Header=BB11_3 Depth=1
	v_xor_b32_e32 v22, 0x80000000, v22
	ds_store_b32 v35, v22 offset:2096
; %bb.211:                              ;   in Loop: Header=BB11_3 Depth=1
	s_or_b32 exec_lo, exec_lo, s0
	s_wait_dscnt 0x0
	s_barrier_signal -1
	s_barrier_wait -1
	s_barrier_signal -1
	s_barrier_wait -1
	s_and_saveexec_b32 s0, s102
	s_cbranch_execz .LBB11_213
; %bb.212:                              ;   in Loop: Header=BB11_3 Depth=1
	ds_load_b32 v22, v51 offset:2096
	s_wait_dscnt 0x0
	ds_store_b32 v52, v22 offset:3104
	ds_load_b32 v22, v51 offset:2100
	s_wait_dscnt 0x0
	ds_store_b32 v52, v22 offset:3360
	;; [unrolled: 3-line block ×4, first 2 shown]
.LBB11_213:                             ;   in Loop: Header=BB11_3 Depth=1
	s_or_b32 exec_lo, exec_lo, s0
	s_wait_dscnt 0x0
	s_barrier_signal -1
	s_barrier_wait -1
	s_and_saveexec_b32 s0, s17
	s_cbranch_execz .LBB11_215
; %bb.214:                              ;   in Loop: Header=BB11_3 Depth=1
	ds_load_b64 v[22:23], v5 offset:3120
	ds_load_b32 v25, v5 offset:3380
	s_wait_dscnt 0x0
	v_mul_f32_e32 v22, v22, v25
	s_delay_alu instid0(VALU_DEP_1)
	v_mul_f32_e32 v22, v23, v22
	v_add_nc_u32_e64 v23, 0xc00, 0
	ds_store_2addr_b32 v23, v22, v22 offset0:13 offset1:76
.LBB11_215:                             ;   in Loop: Header=BB11_3 Depth=1
	s_or_b32 exec_lo, exec_lo, s0
	v_mov_b32_e32 v22, 0
	s_wait_dscnt 0x0
	s_barrier_signal -1
	s_barrier_wait -1
	s_and_saveexec_b32 s0, s2
	s_cbranch_execz .LBB11_219
; %bb.216:                              ;   in Loop: Header=BB11_3 Depth=1
	ds_load_b32 v22, v27 offset:3128
	ds_load_b32 v23, v28 offset:3120
	s_wait_dscnt 0x0
	v_fma_f32 v22, v22, v23, 0
	s_and_saveexec_b32 s1, s18
	s_cbranch_execz .LBB11_218
; %bb.217:                              ;   in Loop: Header=BB11_3 Depth=1
	ds_load_b32 v23, v52 offset:3384
	ds_load_b32 v25, v5 offset:3124
	s_wait_dscnt 0x0
	v_fmac_f32_e32 v22, v23, v25
.LBB11_218:                             ;   in Loop: Header=BB11_3 Depth=1
	s_or_b32 exec_lo, exec_lo, s1
	s_delay_alu instid0(VALU_DEP_1)
	v_xor_b32_e32 v22, 0x80000000, v22
.LBB11_219:                             ;   in Loop: Header=BB11_3 Depth=1
	s_or_b32 exec_lo, exec_lo, s0
	s_and_saveexec_b32 s0, s93
	s_cbranch_execz .LBB11_221
; %bb.220:                              ;   in Loop: Header=BB11_3 Depth=1
	ds_load_b32 v23, v5 offset:3640
	s_wait_dscnt 0x0
	v_mul_f32_e32 v22, v22, v23
	ds_store_b32 v3, v22
.LBB11_221:                             ;   in Loop: Header=BB11_3 Depth=1
	s_or_b32 exec_lo, exec_lo, s0
	s_wait_dscnt 0x0
	s_barrier_signal -1
	s_barrier_wait -1
	s_and_saveexec_b32 s0, s94
	s_cbranch_execz .LBB11_223
; %bb.222:                              ;   in Loop: Header=BB11_3 Depth=1
	ds_load_b32 v23, v5 offset:3644
	ds_load_b32 v25, v3
	s_wait_dscnt 0x0
	v_fmac_f32_e32 v22, v23, v25
.LBB11_223:                             ;   in Loop: Header=BB11_3 Depth=1
	s_or_b32 exec_lo, exec_lo, s0
	s_barrier_signal -1
	s_barrier_wait -1
	s_and_saveexec_b32 s0, s94
	s_cbranch_execz .LBB11_225
; %bb.224:                              ;   in Loop: Header=BB11_3 Depth=1
	ds_load_b32 v23, v5 offset:3900
	s_wait_dscnt 0x0
	v_mul_f32_e32 v22, v22, v23
	ds_store_b32 v3, v22
.LBB11_225:                             ;   in Loop: Header=BB11_3 Depth=1
	s_or_b32 exec_lo, exec_lo, s0
	s_wait_dscnt 0x0
	s_barrier_signal -1
	s_barrier_wait -1
	s_barrier_signal -1
	s_barrier_wait -1
	s_and_saveexec_b32 s0, s2
; %bb.226:                              ;   in Loop: Header=BB11_3 Depth=1
	v_xor_b32_e32 v22, 0x80000000, v22
	ds_store_b32 v27, v22 offset:3128
; %bb.227:                              ;   in Loop: Header=BB11_3 Depth=1
	s_or_b32 exec_lo, exec_lo, s0
	s_wait_dscnt 0x0
	s_barrier_signal -1
	s_barrier_wait -1
	s_barrier_signal -1
	s_barrier_wait -1
	s_and_saveexec_b32 s0, s95
	s_cbranch_execz .LBB11_229
; %bb.228:                              ;   in Loop: Header=BB11_3 Depth=1
	ds_load_b32 v22, v54 offset:3128
	s_wait_dscnt 0x0
	ds_store_b32 v52, v22 offset:3632
	ds_load_b32 v22, v54 offset:3132
	s_wait_dscnt 0x0
	ds_store_b32 v52, v22 offset:3888
.LBB11_229:                             ;   in Loop: Header=BB11_3 Depth=1
	s_or_b32 exec_lo, exec_lo, s0
	s_wait_dscnt 0x0
	s_barrier_signal -1
	s_barrier_wait -1
	s_and_saveexec_b32 s0, s17
	s_cbranch_execz .LBB11_231
; %bb.230:                              ;   in Loop: Header=BB11_3 Depth=1
	ds_load_b64 v[22:23], v5 offset:3640
	ds_load_b32 v25, v5 offset:3900
	s_wait_dscnt 0x0
	v_mul_f32_e32 v22, v22, v25
	s_delay_alu instid0(VALU_DEP_1)
	v_mul_f32_e32 v22, v23, v22
	v_add_nc_u32_e64 v23, 0xc00, 0
	ds_store_2addr_b32 v23, v22, v22 offset0:143 offset1:206
.LBB11_231:                             ;   in Loop: Header=BB11_3 Depth=1
	s_or_b32 exec_lo, exec_lo, s0
	v_mov_b32_e32 v22, 0
	s_wait_dscnt 0x0
	s_barrier_signal -1
	s_barrier_wait -1
	s_and_saveexec_b32 s0, s6
	s_cbranch_execz .LBB11_259
; %bb.232:                              ;   in Loop: Header=BB11_3 Depth=1
	ds_load_b32 v22, v57 offset:64
	ds_load_b32 v23, v53
	s_wait_dscnt 0x0
	v_fma_f32 v22, v22, v23, 0
	s_mov_b32 s1, exec_lo
	v_readlane_b32 s50, v89, 26
	s_and_b32 s50, s1, s50
	s_delay_alu instid0(SALU_CYCLE_1)
	s_mov_b32 exec_lo, s50
	s_cbranch_execz .LBB11_234
; %bb.233:                              ;   in Loop: Header=BB11_3 Depth=1
	ds_load_b32 v23, v58 offset:320
	ds_load_b32 v25, v53 offset:4
	s_wait_dscnt 0x0
	v_fmac_f32_e32 v22, v23, v25
.LBB11_234:                             ;   in Loop: Header=BB11_3 Depth=1
	s_or_b32 exec_lo, exec_lo, s1
	s_delay_alu instid0(SALU_CYCLE_1) | instskip(SKIP_2) | instid1(SALU_CYCLE_1)
	s_mov_b32 s1, exec_lo
	v_readlane_b32 s50, v89, 27
	s_and_b32 s50, s1, s50
	s_mov_b32 exec_lo, s50
	s_cbranch_execz .LBB11_236
; %bb.235:                              ;   in Loop: Header=BB11_3 Depth=1
	ds_load_b32 v23, v58 offset:576
	ds_load_b32 v25, v53 offset:8
	s_wait_dscnt 0x0
	v_fmac_f32_e32 v22, v23, v25
.LBB11_236:                             ;   in Loop: Header=BB11_3 Depth=1
	s_or_b32 exec_lo, exec_lo, s1
	s_delay_alu instid0(SALU_CYCLE_1) | instskip(SKIP_2) | instid1(SALU_CYCLE_1)
	s_mov_b32 s1, exec_lo
	v_readlane_b32 s50, v89, 28
	s_and_b32 s50, s1, s50
	;; [unrolled: 13-line block ×10, first 2 shown]
	s_mov_b32 exec_lo, s50
	s_cbranch_execnz .LBB11_1217
; %bb.253:                              ;   in Loop: Header=BB11_3 Depth=1
	s_or_b32 exec_lo, exec_lo, s1
	s_and_saveexec_b32 s1, s5
	s_cbranch_execnz .LBB11_1218
.LBB11_254:                             ;   in Loop: Header=BB11_3 Depth=1
	s_or_b32 exec_lo, exec_lo, s1
	s_and_saveexec_b32 s1, s22
	s_cbranch_execnz .LBB11_1219
.LBB11_255:                             ;   in Loop: Header=BB11_3 Depth=1
	s_or_b32 exec_lo, exec_lo, s1
	s_and_saveexec_b32 s1, s24
	s_cbranch_execnz .LBB11_1220
.LBB11_256:                             ;   in Loop: Header=BB11_3 Depth=1
	s_or_b32 exec_lo, exec_lo, s1
	s_and_saveexec_b32 s1, s4
	s_cbranch_execz .LBB11_258
.LBB11_257:                             ;   in Loop: Header=BB11_3 Depth=1
	ds_load_b32 v23, v29 offset:3904
	ds_load_b32 v25, v5 offset:60
	s_wait_dscnt 0x0
	v_fmac_f32_e32 v22, v23, v25
.LBB11_258:                             ;   in Loop: Header=BB11_3 Depth=1
	s_or_b32 exec_lo, exec_lo, s1
	s_delay_alu instid0(VALU_DEP_1)
	v_xor_b32_e32 v22, 0x80000000, v22
.LBB11_259:                             ;   in Loop: Header=BB11_3 Depth=1
	s_or_b32 exec_lo, exec_lo, s0
	s_delay_alu instid0(SALU_CYCLE_1) | instskip(SKIP_2) | instid1(SALU_CYCLE_1)
	s_mov_b32 s0, exec_lo
	v_readlane_b32 s1, v91, 6
	s_and_b32 s1, s0, s1
	s_mov_b32 exec_lo, s1
	s_cbranch_execz .LBB11_261
; %bb.260:                              ;   in Loop: Header=BB11_3 Depth=1
	ds_load_b32 v23, v5 offset:4160
	s_wait_dscnt 0x0
	v_mul_f32_e32 v22, v22, v23
	ds_store_b32 v56, v22
.LBB11_261:                             ;   in Loop: Header=BB11_3 Depth=1
	s_or_b32 exec_lo, exec_lo, s0
	s_wait_dscnt 0x0
	s_barrier_signal -1
	s_barrier_wait -1
	s_mov_b32 s0, exec_lo
	v_readlane_b32 s1, v91, 7
	s_and_b32 s1, s0, s1
	s_delay_alu instid0(SALU_CYCLE_1)
	s_mov_b32 exec_lo, s1
	s_cbranch_execz .LBB11_263
; %bb.262:                              ;   in Loop: Header=BB11_3 Depth=1
	ds_load_b32 v23, v55 offset:4160
	ds_load_b32 v25, v56
	s_wait_dscnt 0x0
	v_fmac_f32_e32 v22, v23, v25
.LBB11_263:                             ;   in Loop: Header=BB11_3 Depth=1
	s_or_b32 exec_lo, exec_lo, s0
	s_barrier_signal -1
	s_barrier_wait -1
	s_mov_b32 s0, exec_lo
	v_readlane_b32 s1, v91, 8
	s_and_b32 s1, s0, s1
	s_delay_alu instid0(SALU_CYCLE_1)
	s_mov_b32 exec_lo, s1
	s_cbranch_execz .LBB11_265
; %bb.264:                              ;   in Loop: Header=BB11_3 Depth=1
	ds_load_b32 v23, v5 offset:4420
	s_wait_dscnt 0x0
	v_mul_f32_e32 v22, v22, v23
	ds_store_b32 v56, v22
.LBB11_265:                             ;   in Loop: Header=BB11_3 Depth=1
	s_or_b32 exec_lo, exec_lo, s0
	s_wait_dscnt 0x0
	s_barrier_signal -1
	s_barrier_wait -1
	s_mov_b32 s0, exec_lo
	v_readlane_b32 s1, v91, 9
	s_and_b32 s1, s0, s1
	s_delay_alu instid0(SALU_CYCLE_1)
	s_mov_b32 exec_lo, s1
	s_cbranch_execz .LBB11_267
; %bb.266:                              ;   in Loop: Header=BB11_3 Depth=1
	ds_load_b32 v23, v55 offset:4416
	ds_load_b32 v25, v56
	s_wait_dscnt 0x0
	v_fmac_f32_e32 v22, v23, v25
.LBB11_267:                             ;   in Loop: Header=BB11_3 Depth=1
	s_or_b32 exec_lo, exec_lo, s0
	s_barrier_signal -1
	s_barrier_wait -1
	s_and_saveexec_b32 s0, s54
	s_cbranch_execz .LBB11_269
; %bb.268:                              ;   in Loop: Header=BB11_3 Depth=1
	ds_load_b32 v23, v5 offset:4680
	s_wait_dscnt 0x0
	v_mul_f32_e32 v22, v22, v23
	ds_store_b32 v56, v22
.LBB11_269:                             ;   in Loop: Header=BB11_3 Depth=1
	s_or_b32 exec_lo, exec_lo, s0
	s_wait_dscnt 0x0
	s_barrier_signal -1
	s_barrier_wait -1
	s_and_saveexec_b32 s0, s55
	s_cbranch_execz .LBB11_271
; %bb.270:                              ;   in Loop: Header=BB11_3 Depth=1
	ds_load_b32 v23, v55 offset:4672
	ds_load_b32 v25, v56
	s_wait_dscnt 0x0
	v_fmac_f32_e32 v22, v23, v25
.LBB11_271:                             ;   in Loop: Header=BB11_3 Depth=1
	s_or_b32 exec_lo, exec_lo, s0
	s_barrier_signal -1
	s_barrier_wait -1
	s_and_saveexec_b32 s0, s56
	s_cbranch_execz .LBB11_273
; %bb.272:                              ;   in Loop: Header=BB11_3 Depth=1
	ds_load_b32 v23, v5 offset:4940
	s_wait_dscnt 0x0
	v_mul_f32_e32 v22, v22, v23
	ds_store_b32 v56, v22
.LBB11_273:                             ;   in Loop: Header=BB11_3 Depth=1
	s_or_b32 exec_lo, exec_lo, s0
	s_wait_dscnt 0x0
	s_barrier_signal -1
	s_barrier_wait -1
	s_and_saveexec_b32 s0, s57
	;; [unrolled: 23-line block ×13, first 2 shown]
	s_cbranch_execz .LBB11_319
; %bb.318:                              ;   in Loop: Header=BB11_3 Depth=1
	ds_load_b32 v23, v5 offset:7804
	ds_load_b32 v25, v56
	s_wait_dscnt 0x0
	v_fmac_f32_e32 v22, v23, v25
.LBB11_319:                             ;   in Loop: Header=BB11_3 Depth=1
	s_or_b32 exec_lo, exec_lo, s0
	s_barrier_signal -1
	s_barrier_wait -1
	s_and_saveexec_b32 s0, s88
	s_cbranch_execz .LBB11_321
; %bb.320:                              ;   in Loop: Header=BB11_3 Depth=1
	ds_load_b32 v23, v5 offset:8060
	s_wait_dscnt 0x0
	v_mul_f32_e32 v22, v22, v23
	ds_store_b32 v56, v22
.LBB11_321:                             ;   in Loop: Header=BB11_3 Depth=1
	s_or_b32 exec_lo, exec_lo, s0
	s_wait_dscnt 0x0
	s_barrier_signal -1
	s_barrier_wait -1
	s_barrier_signal -1
	s_barrier_wait -1
	s_and_saveexec_b32 s0, s6
; %bb.322:                              ;   in Loop: Header=BB11_3 Depth=1
	v_xor_b32_e32 v22, 0x80000000, v22
	ds_store_b32 v57, v22 offset:64
; %bb.323:                              ;   in Loop: Header=BB11_3 Depth=1
	s_or_b32 exec_lo, exec_lo, s0
	s_wait_dscnt 0x0
	s_barrier_signal -1
	s_barrier_wait -1
	s_barrier_signal -1
	s_barrier_wait -1
	s_and_saveexec_b32 s0, s91
	s_cbranch_execz .LBB11_325
; %bb.324:                              ;   in Loop: Header=BB11_3 Depth=1
	ds_load_b32 v22, v33 offset:64
	s_wait_dscnt 0x0
	ds_store_b32 v37, v22 offset:4096
	ds_load_b32 v22, v33 offset:68
	s_wait_dscnt 0x0
	ds_store_b32 v37, v22 offset:4352
	;; [unrolled: 3-line block ×16, first 2 shown]
.LBB11_325:                             ;   in Loop: Header=BB11_3 Depth=1
	s_or_b32 exec_lo, exec_lo, s0
	s_wait_dscnt 0x0
	s_barrier_signal -1
	s_barrier_wait -1
	s_and_saveexec_b32 s0, s17
	s_cbranch_execz .LBB11_327
; %bb.326:                              ;   in Loop: Header=BB11_3 Depth=1
	ds_load_b64 v[22:23], v5 offset:4160
	ds_load_b32 v25, v5 offset:4420
	s_wait_dscnt 0x0
	v_mul_f32_e32 v22, v22, v25
	s_delay_alu instid0(VALU_DEP_1)
	v_mul_f32_e32 v22, v23, v22
	v_add_nc_u32_e64 v23, 0x1000, 0
	ds_store_2addr_b32 v23, v22, v22 offset0:17 offset1:80
.LBB11_327:                             ;   in Loop: Header=BB11_3 Depth=1
	s_or_b32 exec_lo, exec_lo, s0
	v_mov_b32_e32 v22, 0
	s_wait_dscnt 0x0
	s_barrier_signal -1
	s_barrier_wait -1
	s_and_saveexec_b32 s0, s2
	s_cbranch_execz .LBB11_331
; %bb.328:                              ;   in Loop: Header=BB11_3 Depth=1
	ds_load_b32 v22, v27 offset:4168
	ds_load_b32 v23, v28 offset:4160
	s_wait_dscnt 0x0
	v_fma_f32 v22, v22, v23, 0
	s_and_saveexec_b32 s1, s18
	s_cbranch_execz .LBB11_330
; %bb.329:                              ;   in Loop: Header=BB11_3 Depth=1
	ds_load_b32 v23, v29 offset:4424
	ds_load_b32 v25, v5 offset:4164
	s_wait_dscnt 0x0
	v_fmac_f32_e32 v22, v23, v25
.LBB11_330:                             ;   in Loop: Header=BB11_3 Depth=1
	s_or_b32 exec_lo, exec_lo, s1
	s_delay_alu instid0(VALU_DEP_1)
	v_xor_b32_e32 v22, 0x80000000, v22
.LBB11_331:                             ;   in Loop: Header=BB11_3 Depth=1
	s_or_b32 exec_lo, exec_lo, s0
	s_and_saveexec_b32 s0, s93
	s_cbranch_execz .LBB11_333
; %bb.332:                              ;   in Loop: Header=BB11_3 Depth=1
	ds_load_b32 v23, v5 offset:4680
	s_wait_dscnt 0x0
	v_mul_f32_e32 v22, v22, v23
	ds_store_b32 v3, v22
.LBB11_333:                             ;   in Loop: Header=BB11_3 Depth=1
	s_or_b32 exec_lo, exec_lo, s0
	s_wait_dscnt 0x0
	s_barrier_signal -1
	s_barrier_wait -1
	s_and_saveexec_b32 s0, s94
	s_cbranch_execz .LBB11_335
; %bb.334:                              ;   in Loop: Header=BB11_3 Depth=1
	ds_load_b32 v23, v5 offset:4684
	ds_load_b32 v25, v3
	s_wait_dscnt 0x0
	v_fmac_f32_e32 v22, v23, v25
.LBB11_335:                             ;   in Loop: Header=BB11_3 Depth=1
	s_or_b32 exec_lo, exec_lo, s0
	s_barrier_signal -1
	s_barrier_wait -1
	s_and_saveexec_b32 s0, s94
	s_cbranch_execz .LBB11_337
; %bb.336:                              ;   in Loop: Header=BB11_3 Depth=1
	ds_load_b32 v23, v5 offset:4940
	s_wait_dscnt 0x0
	v_mul_f32_e32 v22, v22, v23
	ds_store_b32 v3, v22
.LBB11_337:                             ;   in Loop: Header=BB11_3 Depth=1
	s_or_b32 exec_lo, exec_lo, s0
	s_wait_dscnt 0x0
	s_barrier_signal -1
	s_barrier_wait -1
	s_barrier_signal -1
	s_barrier_wait -1
	s_and_saveexec_b32 s0, s2
; %bb.338:                              ;   in Loop: Header=BB11_3 Depth=1
	v_xor_b32_e32 v22, 0x80000000, v22
	ds_store_b32 v27, v22 offset:4168
; %bb.339:                              ;   in Loop: Header=BB11_3 Depth=1
	s_or_b32 exec_lo, exec_lo, s0
	s_wait_dscnt 0x0
	s_barrier_signal -1
	s_barrier_wait -1
	s_barrier_signal -1
	s_barrier_wait -1
	s_and_saveexec_b32 s0, s95
	s_cbranch_execz .LBB11_341
; %bb.340:                              ;   in Loop: Header=BB11_3 Depth=1
	ds_load_b32 v22, v33 offset:4168
	s_wait_dscnt 0x0
	ds_store_b32 v29, v22 offset:4672
	ds_load_b32 v22, v33 offset:4172
	s_wait_dscnt 0x0
	ds_store_b32 v29, v22 offset:4928
.LBB11_341:                             ;   in Loop: Header=BB11_3 Depth=1
	s_or_b32 exec_lo, exec_lo, s0
	s_wait_dscnt 0x0
	s_barrier_signal -1
	s_barrier_wait -1
	s_and_saveexec_b32 s0, s17
	s_cbranch_execz .LBB11_343
; %bb.342:                              ;   in Loop: Header=BB11_3 Depth=1
	ds_load_b64 v[22:23], v5 offset:4680
	ds_load_b32 v25, v5 offset:4940
	s_wait_dscnt 0x0
	v_mul_f32_e32 v22, v22, v25
	s_delay_alu instid0(VALU_DEP_1)
	v_mul_f32_e32 v22, v23, v22
	v_add_nc_u32_e64 v23, 0x1000, 0
	ds_store_2addr_b32 v23, v22, v22 offset0:147 offset1:210
.LBB11_343:                             ;   in Loop: Header=BB11_3 Depth=1
	s_or_b32 exec_lo, exec_lo, s0
	v_mov_b32_e32 v22, 0
	s_wait_dscnt 0x0
	s_barrier_signal -1
	s_barrier_wait -1
	s_and_saveexec_b32 s0, s4
	s_cbranch_execz .LBB11_349
; %bb.344:                              ;   in Loop: Header=BB11_3 Depth=1
	ds_load_b32 v22, v35 offset:4176
	ds_load_b32 v23, v30 offset:4160
	s_wait_dscnt 0x0
	v_fma_f32 v22, v22, v23, 0
	s_and_saveexec_b32 s1, s19
	s_cbranch_execnz .LBB11_1221
; %bb.345:                              ;   in Loop: Header=BB11_3 Depth=1
	s_or_b32 exec_lo, exec_lo, s1
	s_and_saveexec_b32 s1, s20
	s_cbranch_execnz .LBB11_1222
.LBB11_346:                             ;   in Loop: Header=BB11_3 Depth=1
	s_or_b32 exec_lo, exec_lo, s1
	s_and_saveexec_b32 s1, s2
	s_cbranch_execz .LBB11_348
.LBB11_347:                             ;   in Loop: Header=BB11_3 Depth=1
	ds_load_b32 v23, v37 offset:4944
	ds_load_b32 v25, v5 offset:4172
	s_wait_dscnt 0x0
	v_fmac_f32_e32 v22, v23, v25
.LBB11_348:                             ;   in Loop: Header=BB11_3 Depth=1
	s_or_b32 exec_lo, exec_lo, s1
	s_delay_alu instid0(VALU_DEP_1)
	v_xor_b32_e32 v22, 0x80000000, v22
.LBB11_349:                             ;   in Loop: Header=BB11_3 Depth=1
	s_or_b32 exec_lo, exec_lo, s0
	s_and_saveexec_b32 s0, s96
	s_cbranch_execz .LBB11_351
; %bb.350:                              ;   in Loop: Header=BB11_3 Depth=1
	ds_load_b32 v23, v5 offset:5200
	s_wait_dscnt 0x0
	v_mul_f32_e32 v22, v22, v23
	ds_store_b32 v34, v22
.LBB11_351:                             ;   in Loop: Header=BB11_3 Depth=1
	s_or_b32 exec_lo, exec_lo, s0
	s_wait_dscnt 0x0
	s_barrier_signal -1
	s_barrier_wait -1
	s_and_saveexec_b32 s0, s97
	s_cbranch_execz .LBB11_353
; %bb.352:                              ;   in Loop: Header=BB11_3 Depth=1
	ds_load_b32 v23, v32 offset:5200
	ds_load_b32 v25, v34
	s_wait_dscnt 0x0
	v_fmac_f32_e32 v22, v23, v25
.LBB11_353:                             ;   in Loop: Header=BB11_3 Depth=1
	s_or_b32 exec_lo, exec_lo, s0
	s_barrier_signal -1
	s_barrier_wait -1
	s_and_saveexec_b32 s0, s98
	s_cbranch_execz .LBB11_355
; %bb.354:                              ;   in Loop: Header=BB11_3 Depth=1
	ds_load_b32 v23, v5 offset:5460
	s_wait_dscnt 0x0
	v_mul_f32_e32 v22, v22, v23
	ds_store_b32 v34, v22
.LBB11_355:                             ;   in Loop: Header=BB11_3 Depth=1
	s_or_b32 exec_lo, exec_lo, s0
	s_wait_dscnt 0x0
	s_barrier_signal -1
	s_barrier_wait -1
	s_and_saveexec_b32 s0, s99
	s_cbranch_execz .LBB11_357
; %bb.356:                              ;   in Loop: Header=BB11_3 Depth=1
	ds_load_b32 v23, v32 offset:5456
	ds_load_b32 v25, v34
	s_wait_dscnt 0x0
	v_fmac_f32_e32 v22, v23, v25
.LBB11_357:                             ;   in Loop: Header=BB11_3 Depth=1
	s_or_b32 exec_lo, exec_lo, s0
	s_barrier_signal -1
	s_barrier_wait -1
	;; [unrolled: 23-line block ×3, first 2 shown]
	s_and_saveexec_b32 s0, s101
	s_cbranch_execz .LBB11_363
; %bb.362:                              ;   in Loop: Header=BB11_3 Depth=1
	ds_load_b32 v23, v5 offset:5980
	s_wait_dscnt 0x0
	v_mul_f32_e32 v22, v22, v23
	ds_store_b32 v34, v22
.LBB11_363:                             ;   in Loop: Header=BB11_3 Depth=1
	s_or_b32 exec_lo, exec_lo, s0
	s_wait_dscnt 0x0
	s_barrier_signal -1
	s_barrier_wait -1
	s_barrier_signal -1
	s_barrier_wait -1
	s_and_saveexec_b32 s0, s4
; %bb.364:                              ;   in Loop: Header=BB11_3 Depth=1
	v_xor_b32_e32 v22, 0x80000000, v22
	ds_store_b32 v35, v22 offset:4176
; %bb.365:                              ;   in Loop: Header=BB11_3 Depth=1
	s_or_b32 exec_lo, exec_lo, s0
	s_wait_dscnt 0x0
	s_barrier_signal -1
	s_barrier_wait -1
	s_barrier_signal -1
	s_barrier_wait -1
	s_and_saveexec_b32 s0, s102
	s_cbranch_execz .LBB11_367
; %bb.366:                              ;   in Loop: Header=BB11_3 Depth=1
	ds_load_b32 v22, v38 offset:4176
	s_wait_dscnt 0x0
	ds_store_b32 v40, v22 offset:5184
	ds_load_b32 v22, v38 offset:4180
	s_wait_dscnt 0x0
	ds_store_b32 v40, v22 offset:5440
	;; [unrolled: 3-line block ×4, first 2 shown]
.LBB11_367:                             ;   in Loop: Header=BB11_3 Depth=1
	s_or_b32 exec_lo, exec_lo, s0
	s_wait_dscnt 0x0
	s_barrier_signal -1
	s_barrier_wait -1
	s_and_saveexec_b32 s0, s17
	s_cbranch_execz .LBB11_369
; %bb.368:                              ;   in Loop: Header=BB11_3 Depth=1
	ds_load_b64 v[22:23], v5 offset:5200
	ds_load_b32 v25, v5 offset:5460
	s_wait_dscnt 0x0
	v_mul_f32_e32 v22, v22, v25
	s_delay_alu instid0(VALU_DEP_1)
	v_mul_f32_e32 v22, v23, v22
	v_add_nc_u32_e64 v23, 0x1400, 0
	ds_store_2addr_b32 v23, v22, v22 offset0:21 offset1:84
.LBB11_369:                             ;   in Loop: Header=BB11_3 Depth=1
	s_or_b32 exec_lo, exec_lo, s0
	v_mov_b32_e32 v22, 0
	s_wait_dscnt 0x0
	s_barrier_signal -1
	s_barrier_wait -1
	s_and_saveexec_b32 s0, s2
	s_cbranch_execz .LBB11_373
; %bb.370:                              ;   in Loop: Header=BB11_3 Depth=1
	ds_load_b32 v22, v27 offset:5208
	ds_load_b32 v23, v28 offset:5200
	s_wait_dscnt 0x0
	v_fma_f32 v22, v22, v23, 0
	s_and_saveexec_b32 s1, s18
	s_cbranch_execz .LBB11_372
; %bb.371:                              ;   in Loop: Header=BB11_3 Depth=1
	ds_load_b32 v23, v40 offset:5464
	ds_load_b32 v25, v5 offset:5204
	s_wait_dscnt 0x0
	v_fmac_f32_e32 v22, v23, v25
.LBB11_372:                             ;   in Loop: Header=BB11_3 Depth=1
	s_or_b32 exec_lo, exec_lo, s1
	s_delay_alu instid0(VALU_DEP_1)
	v_xor_b32_e32 v22, 0x80000000, v22
.LBB11_373:                             ;   in Loop: Header=BB11_3 Depth=1
	s_or_b32 exec_lo, exec_lo, s0
	s_and_saveexec_b32 s0, s93
	s_cbranch_execz .LBB11_375
; %bb.374:                              ;   in Loop: Header=BB11_3 Depth=1
	ds_load_b32 v23, v5 offset:5720
	s_wait_dscnt 0x0
	v_mul_f32_e32 v22, v22, v23
	ds_store_b32 v3, v22
.LBB11_375:                             ;   in Loop: Header=BB11_3 Depth=1
	s_or_b32 exec_lo, exec_lo, s0
	s_wait_dscnt 0x0
	s_barrier_signal -1
	s_barrier_wait -1
	s_and_saveexec_b32 s0, s94
	s_cbranch_execz .LBB11_377
; %bb.376:                              ;   in Loop: Header=BB11_3 Depth=1
	ds_load_b32 v23, v5 offset:5724
	ds_load_b32 v25, v3
	s_wait_dscnt 0x0
	v_fmac_f32_e32 v22, v23, v25
.LBB11_377:                             ;   in Loop: Header=BB11_3 Depth=1
	s_or_b32 exec_lo, exec_lo, s0
	s_barrier_signal -1
	s_barrier_wait -1
	s_and_saveexec_b32 s0, s94
	s_cbranch_execz .LBB11_379
; %bb.378:                              ;   in Loop: Header=BB11_3 Depth=1
	ds_load_b32 v23, v5 offset:5980
	s_wait_dscnt 0x0
	v_mul_f32_e32 v22, v22, v23
	ds_store_b32 v3, v22
.LBB11_379:                             ;   in Loop: Header=BB11_3 Depth=1
	s_or_b32 exec_lo, exec_lo, s0
	s_wait_dscnt 0x0
	s_barrier_signal -1
	s_barrier_wait -1
	s_barrier_signal -1
	s_barrier_wait -1
	s_and_saveexec_b32 s0, s2
; %bb.380:                              ;   in Loop: Header=BB11_3 Depth=1
	v_xor_b32_e32 v22, 0x80000000, v22
	ds_store_b32 v27, v22 offset:5208
; %bb.381:                              ;   in Loop: Header=BB11_3 Depth=1
	s_or_b32 exec_lo, exec_lo, s0
	s_wait_dscnt 0x0
	s_barrier_signal -1
	s_barrier_wait -1
	s_barrier_signal -1
	s_barrier_wait -1
	s_and_saveexec_b32 s0, s95
	s_cbranch_execz .LBB11_383
; %bb.382:                              ;   in Loop: Header=BB11_3 Depth=1
	ds_load_b32 v22, v42 offset:5208
	s_wait_dscnt 0x0
	ds_store_b32 v40, v22 offset:5712
	ds_load_b32 v22, v42 offset:5212
	s_wait_dscnt 0x0
	ds_store_b32 v40, v22 offset:5968
.LBB11_383:                             ;   in Loop: Header=BB11_3 Depth=1
	s_or_b32 exec_lo, exec_lo, s0
	s_wait_dscnt 0x0
	s_barrier_signal -1
	s_barrier_wait -1
	s_and_saveexec_b32 s0, s17
	s_cbranch_execz .LBB11_385
; %bb.384:                              ;   in Loop: Header=BB11_3 Depth=1
	ds_load_b64 v[22:23], v5 offset:5720
	ds_load_b32 v25, v5 offset:5980
	s_wait_dscnt 0x0
	v_mul_f32_e32 v22, v22, v25
	s_delay_alu instid0(VALU_DEP_1)
	v_mul_f32_e32 v22, v23, v22
	v_add_nc_u32_e64 v23, 0x1400, 0
	ds_store_2addr_b32 v23, v22, v22 offset0:151 offset1:214
.LBB11_385:                             ;   in Loop: Header=BB11_3 Depth=1
	s_or_b32 exec_lo, exec_lo, s0
	v_mov_b32_e32 v22, 0
	s_wait_dscnt 0x0
	s_barrier_signal -1
	s_barrier_wait -1
	s_and_saveexec_b32 s0, s5
	s_cbranch_execz .LBB11_395
; %bb.386:                              ;   in Loop: Header=BB11_3 Depth=1
	ds_load_b32 v22, v44 offset:4192
	ds_load_b32 v23, v39 offset:4160
	s_wait_dscnt 0x0
	v_fma_f32 v22, v22, v23, 0
	s_and_saveexec_b32 s1, s21
	s_cbranch_execnz .LBB11_1223
; %bb.387:                              ;   in Loop: Header=BB11_3 Depth=1
	s_or_b32 exec_lo, exec_lo, s1
	s_and_saveexec_b32 s1, s22
	s_cbranch_execnz .LBB11_1224
.LBB11_388:                             ;   in Loop: Header=BB11_3 Depth=1
	s_or_b32 exec_lo, exec_lo, s1
	s_and_saveexec_b32 s1, s23
	s_cbranch_execnz .LBB11_1225
.LBB11_389:                             ;   in Loop: Header=BB11_3 Depth=1
	s_or_b32 exec_lo, exec_lo, s1
	s_and_saveexec_b32 s1, s24
	s_cbranch_execnz .LBB11_1226
.LBB11_390:                             ;   in Loop: Header=BB11_3 Depth=1
	s_or_b32 exec_lo, exec_lo, s1
	s_and_saveexec_b32 s1, s25
	s_cbranch_execnz .LBB11_1227
.LBB11_391:                             ;   in Loop: Header=BB11_3 Depth=1
	s_or_b32 exec_lo, exec_lo, s1
	s_and_saveexec_b32 s1, s4
	s_cbranch_execnz .LBB11_1228
.LBB11_392:                             ;   in Loop: Header=BB11_3 Depth=1
	s_or_b32 exec_lo, exec_lo, s1
	s_and_saveexec_b32 s1, s20
	s_cbranch_execz .LBB11_394
.LBB11_393:                             ;   in Loop: Header=BB11_3 Depth=1
	ds_load_b32 v23, v46 offset:5984
	ds_load_b32 v25, v5 offset:4188
	s_wait_dscnt 0x0
	v_fmac_f32_e32 v22, v23, v25
.LBB11_394:                             ;   in Loop: Header=BB11_3 Depth=1
	s_or_b32 exec_lo, exec_lo, s1
	s_delay_alu instid0(VALU_DEP_1)
	v_xor_b32_e32 v22, 0x80000000, v22
.LBB11_395:                             ;   in Loop: Header=BB11_3 Depth=1
	s_or_b32 exec_lo, exec_lo, s0
	s_and_saveexec_b32 s0, s103
	s_cbranch_execz .LBB11_397
; %bb.396:                              ;   in Loop: Header=BB11_3 Depth=1
	ds_load_b32 v23, v5 offset:6240
	s_wait_dscnt 0x0
	v_mul_f32_e32 v22, v22, v23
	ds_store_b32 v43, v22
.LBB11_397:                             ;   in Loop: Header=BB11_3 Depth=1
	s_or_b32 exec_lo, exec_lo, s0
	s_wait_dscnt 0x0
	s_barrier_signal -1
	s_barrier_wait -1
	s_and_saveexec_b32 s0, s104
	s_cbranch_execz .LBB11_399
; %bb.398:                              ;   in Loop: Header=BB11_3 Depth=1
	ds_load_b32 v23, v41 offset:6240
	ds_load_b32 v25, v43
	s_wait_dscnt 0x0
	v_fmac_f32_e32 v22, v23, v25
.LBB11_399:                             ;   in Loop: Header=BB11_3 Depth=1
	s_or_b32 exec_lo, exec_lo, s0
	s_barrier_signal -1
	s_barrier_wait -1
	s_and_saveexec_b32 s0, vcc_hi
	s_cbranch_execz .LBB11_401
; %bb.400:                              ;   in Loop: Header=BB11_3 Depth=1
	ds_load_b32 v23, v5 offset:6500
	s_wait_dscnt 0x0
	v_mul_f32_e32 v22, v22, v23
	ds_store_b32 v43, v22
.LBB11_401:                             ;   in Loop: Header=BB11_3 Depth=1
	s_or_b32 exec_lo, exec_lo, s0
	s_wait_dscnt 0x0
	s_barrier_signal -1
	s_barrier_wait -1
	s_and_saveexec_b32 s0, s38
	s_cbranch_execz .LBB11_403
; %bb.402:                              ;   in Loop: Header=BB11_3 Depth=1
	ds_load_b32 v23, v41 offset:6496
	ds_load_b32 v25, v43
	s_wait_dscnt 0x0
	v_fmac_f32_e32 v22, v23, v25
.LBB11_403:                             ;   in Loop: Header=BB11_3 Depth=1
	s_or_b32 exec_lo, exec_lo, s0
	s_barrier_signal -1
	s_barrier_wait -1
	s_and_saveexec_b32 s0, s39
	s_cbranch_execz .LBB11_405
; %bb.404:                              ;   in Loop: Header=BB11_3 Depth=1
	ds_load_b32 v23, v5 offset:6760
	s_wait_dscnt 0x0
	v_mul_f32_e32 v22, v22, v23
	ds_store_b32 v43, v22
.LBB11_405:                             ;   in Loop: Header=BB11_3 Depth=1
	s_or_b32 exec_lo, exec_lo, s0
	s_wait_dscnt 0x0
	s_barrier_signal -1
	s_barrier_wait -1
	s_and_saveexec_b32 s0, s40
	s_cbranch_execz .LBB11_407
; %bb.406:                              ;   in Loop: Header=BB11_3 Depth=1
	ds_load_b32 v23, v41 offset:6752
	ds_load_b32 v25, v43
	s_wait_dscnt 0x0
	v_fmac_f32_e32 v22, v23, v25
.LBB11_407:                             ;   in Loop: Header=BB11_3 Depth=1
	s_or_b32 exec_lo, exec_lo, s0
	s_barrier_signal -1
	s_barrier_wait -1
	s_and_saveexec_b32 s0, s41
	;; [unrolled: 23-line block ×6, first 2 shown]
	s_cbranch_execz .LBB11_425
; %bb.424:                              ;   in Loop: Header=BB11_3 Depth=1
	ds_load_b32 v23, v5 offset:8060
	s_wait_dscnt 0x0
	v_mul_f32_e32 v22, v22, v23
	ds_store_b32 v43, v22
.LBB11_425:                             ;   in Loop: Header=BB11_3 Depth=1
	s_or_b32 exec_lo, exec_lo, s0
	s_wait_dscnt 0x0
	s_barrier_signal -1
	s_barrier_wait -1
	s_barrier_signal -1
	s_barrier_wait -1
	s_and_saveexec_b32 s0, s5
; %bb.426:                              ;   in Loop: Header=BB11_3 Depth=1
	v_xor_b32_e32 v22, 0x80000000, v22
	ds_store_b32 v44, v22 offset:4192
; %bb.427:                              ;   in Loop: Header=BB11_3 Depth=1
	s_or_b32 exec_lo, exec_lo, s0
	s_wait_dscnt 0x0
	s_barrier_signal -1
	s_barrier_wait -1
	s_barrier_signal -1
	s_barrier_wait -1
	s_and_saveexec_b32 s0, s49
	s_cbranch_execz .LBB11_429
; %bb.428:                              ;   in Loop: Header=BB11_3 Depth=1
	ds_load_b32 v22, v47 offset:4192
	s_wait_dscnt 0x0
	ds_store_b32 v48, v22 offset:6208
	ds_load_b32 v22, v47 offset:4196
	s_wait_dscnt 0x0
	ds_store_b32 v48, v22 offset:6464
	ds_load_b32 v22, v47 offset:4200
	s_wait_dscnt 0x0
	ds_store_b32 v48, v22 offset:6720
	ds_load_b32 v22, v47 offset:4204
	s_wait_dscnt 0x0
	ds_store_b32 v48, v22 offset:6976
	ds_load_b32 v22, v47 offset:4208
	s_wait_dscnt 0x0
	ds_store_b32 v48, v22 offset:7232
	ds_load_b32 v22, v47 offset:4212
	s_wait_dscnt 0x0
	ds_store_b32 v48, v22 offset:7488
	ds_load_b32 v22, v47 offset:4216
	s_wait_dscnt 0x0
	ds_store_b32 v48, v22 offset:7744
	ds_load_b32 v22, v47 offset:4220
	s_wait_dscnt 0x0
	ds_store_b32 v48, v22 offset:8000
.LBB11_429:                             ;   in Loop: Header=BB11_3 Depth=1
	s_or_b32 exec_lo, exec_lo, s0
	s_wait_dscnt 0x0
	s_barrier_signal -1
	s_barrier_wait -1
	s_and_saveexec_b32 s0, s17
	s_cbranch_execz .LBB11_431
; %bb.430:                              ;   in Loop: Header=BB11_3 Depth=1
	ds_load_b64 v[22:23], v5 offset:6240
	ds_load_b32 v25, v5 offset:6500
	s_wait_dscnt 0x0
	v_mul_f32_e32 v22, v22, v25
	s_delay_alu instid0(VALU_DEP_1)
	v_mul_f32_e32 v22, v23, v22
	v_add_nc_u32_e64 v23, 0x1800, 0
	ds_store_2addr_b32 v23, v22, v22 offset0:25 offset1:88
.LBB11_431:                             ;   in Loop: Header=BB11_3 Depth=1
	s_or_b32 exec_lo, exec_lo, s0
	v_mov_b32_e32 v22, 0
	s_wait_dscnt 0x0
	s_barrier_signal -1
	s_barrier_wait -1
	s_and_saveexec_b32 s0, s2
	s_cbranch_execz .LBB11_435
; %bb.432:                              ;   in Loop: Header=BB11_3 Depth=1
	ds_load_b32 v22, v27 offset:6248
	ds_load_b32 v23, v28 offset:6240
	s_wait_dscnt 0x0
	v_fma_f32 v22, v22, v23, 0
	s_and_saveexec_b32 s1, s18
	s_cbranch_execz .LBB11_434
; %bb.433:                              ;   in Loop: Header=BB11_3 Depth=1
	ds_load_b32 v23, v48 offset:6504
	ds_load_b32 v25, v5 offset:6244
	s_wait_dscnt 0x0
	v_fmac_f32_e32 v22, v23, v25
.LBB11_434:                             ;   in Loop: Header=BB11_3 Depth=1
	s_or_b32 exec_lo, exec_lo, s1
	s_delay_alu instid0(VALU_DEP_1)
	v_xor_b32_e32 v22, 0x80000000, v22
.LBB11_435:                             ;   in Loop: Header=BB11_3 Depth=1
	s_or_b32 exec_lo, exec_lo, s0
	s_and_saveexec_b32 s0, s93
	s_cbranch_execz .LBB11_437
; %bb.436:                              ;   in Loop: Header=BB11_3 Depth=1
	ds_load_b32 v23, v5 offset:6760
	s_wait_dscnt 0x0
	v_mul_f32_e32 v22, v22, v23
	ds_store_b32 v3, v22
.LBB11_437:                             ;   in Loop: Header=BB11_3 Depth=1
	s_or_b32 exec_lo, exec_lo, s0
	s_wait_dscnt 0x0
	s_barrier_signal -1
	s_barrier_wait -1
	s_and_saveexec_b32 s0, s94
	s_cbranch_execz .LBB11_439
; %bb.438:                              ;   in Loop: Header=BB11_3 Depth=1
	ds_load_b32 v23, v5 offset:6764
	ds_load_b32 v25, v3
	s_wait_dscnt 0x0
	v_fmac_f32_e32 v22, v23, v25
.LBB11_439:                             ;   in Loop: Header=BB11_3 Depth=1
	s_or_b32 exec_lo, exec_lo, s0
	s_barrier_signal -1
	s_barrier_wait -1
	s_and_saveexec_b32 s0, s94
	s_cbranch_execz .LBB11_441
; %bb.440:                              ;   in Loop: Header=BB11_3 Depth=1
	ds_load_b32 v23, v5 offset:7020
	s_wait_dscnt 0x0
	v_mul_f32_e32 v22, v22, v23
	ds_store_b32 v3, v22
.LBB11_441:                             ;   in Loop: Header=BB11_3 Depth=1
	s_or_b32 exec_lo, exec_lo, s0
	s_wait_dscnt 0x0
	s_barrier_signal -1
	s_barrier_wait -1
	s_barrier_signal -1
	s_barrier_wait -1
	s_and_saveexec_b32 s0, s2
; %bb.442:                              ;   in Loop: Header=BB11_3 Depth=1
	v_xor_b32_e32 v22, 0x80000000, v22
	ds_store_b32 v27, v22 offset:6248
; %bb.443:                              ;   in Loop: Header=BB11_3 Depth=1
	s_or_b32 exec_lo, exec_lo, s0
	s_wait_dscnt 0x0
	s_barrier_signal -1
	s_barrier_wait -1
	s_barrier_signal -1
	s_barrier_wait -1
	s_and_saveexec_b32 s0, s95
	s_cbranch_execz .LBB11_445
; %bb.444:                              ;   in Loop: Header=BB11_3 Depth=1
	ds_load_b32 v22, v49 offset:6248
	s_wait_dscnt 0x0
	ds_store_b32 v48, v22 offset:6752
	ds_load_b32 v22, v49 offset:6252
	s_wait_dscnt 0x0
	ds_store_b32 v48, v22 offset:7008
.LBB11_445:                             ;   in Loop: Header=BB11_3 Depth=1
	s_or_b32 exec_lo, exec_lo, s0
	s_wait_dscnt 0x0
	s_barrier_signal -1
	s_barrier_wait -1
	s_and_saveexec_b32 s0, s17
	s_cbranch_execz .LBB11_447
; %bb.446:                              ;   in Loop: Header=BB11_3 Depth=1
	ds_load_b64 v[22:23], v5 offset:6760
	ds_load_b32 v25, v5 offset:7020
	s_wait_dscnt 0x0
	v_mul_f32_e32 v22, v22, v25
	s_delay_alu instid0(VALU_DEP_1)
	v_mul_f32_e32 v22, v23, v22
	v_add_nc_u32_e64 v23, 0x1800, 0
	ds_store_2addr_b32 v23, v22, v22 offset0:155 offset1:218
.LBB11_447:                             ;   in Loop: Header=BB11_3 Depth=1
	s_or_b32 exec_lo, exec_lo, s0
	v_mov_b32_e32 v22, 0
	s_wait_dscnt 0x0
	s_barrier_signal -1
	s_barrier_wait -1
	s_and_saveexec_b32 s0, s4
	s_cbranch_execz .LBB11_453
; %bb.448:                              ;   in Loop: Header=BB11_3 Depth=1
	ds_load_b32 v22, v35 offset:6256
	ds_load_b32 v23, v30 offset:6240
	s_wait_dscnt 0x0
	v_fma_f32 v22, v22, v23, 0
	s_and_saveexec_b32 s1, s19
	s_cbranch_execnz .LBB11_1229
; %bb.449:                              ;   in Loop: Header=BB11_3 Depth=1
	s_or_b32 exec_lo, exec_lo, s1
	s_and_saveexec_b32 s1, s20
	s_cbranch_execnz .LBB11_1230
.LBB11_450:                             ;   in Loop: Header=BB11_3 Depth=1
	s_or_b32 exec_lo, exec_lo, s1
	s_and_saveexec_b32 s1, s2
	s_cbranch_execz .LBB11_452
.LBB11_451:                             ;   in Loop: Header=BB11_3 Depth=1
	ds_load_b32 v23, v50 offset:7024
	ds_load_b32 v25, v5 offset:6252
	s_wait_dscnt 0x0
	v_fmac_f32_e32 v22, v23, v25
.LBB11_452:                             ;   in Loop: Header=BB11_3 Depth=1
	s_or_b32 exec_lo, exec_lo, s1
	s_delay_alu instid0(VALU_DEP_1)
	v_xor_b32_e32 v22, 0x80000000, v22
.LBB11_453:                             ;   in Loop: Header=BB11_3 Depth=1
	s_or_b32 exec_lo, exec_lo, s0
	s_and_saveexec_b32 s0, s96
	s_cbranch_execz .LBB11_455
; %bb.454:                              ;   in Loop: Header=BB11_3 Depth=1
	ds_load_b32 v23, v5 offset:7280
	s_wait_dscnt 0x0
	v_mul_f32_e32 v22, v22, v23
	ds_store_b32 v34, v22
.LBB11_455:                             ;   in Loop: Header=BB11_3 Depth=1
	s_or_b32 exec_lo, exec_lo, s0
	s_wait_dscnt 0x0
	s_barrier_signal -1
	s_barrier_wait -1
	s_and_saveexec_b32 s0, s97
	s_cbranch_execz .LBB11_457
; %bb.456:                              ;   in Loop: Header=BB11_3 Depth=1
	ds_load_b32 v23, v32 offset:7280
	ds_load_b32 v25, v34
	s_wait_dscnt 0x0
	v_fmac_f32_e32 v22, v23, v25
.LBB11_457:                             ;   in Loop: Header=BB11_3 Depth=1
	s_or_b32 exec_lo, exec_lo, s0
	s_barrier_signal -1
	s_barrier_wait -1
	s_and_saveexec_b32 s0, s98
	s_cbranch_execz .LBB11_459
; %bb.458:                              ;   in Loop: Header=BB11_3 Depth=1
	ds_load_b32 v23, v5 offset:7540
	s_wait_dscnt 0x0
	v_mul_f32_e32 v22, v22, v23
	ds_store_b32 v34, v22
.LBB11_459:                             ;   in Loop: Header=BB11_3 Depth=1
	s_or_b32 exec_lo, exec_lo, s0
	s_wait_dscnt 0x0
	s_barrier_signal -1
	s_barrier_wait -1
	s_and_saveexec_b32 s0, s99
	s_cbranch_execz .LBB11_461
; %bb.460:                              ;   in Loop: Header=BB11_3 Depth=1
	ds_load_b32 v23, v32 offset:7536
	ds_load_b32 v25, v34
	s_wait_dscnt 0x0
	v_fmac_f32_e32 v22, v23, v25
.LBB11_461:                             ;   in Loop: Header=BB11_3 Depth=1
	s_or_b32 exec_lo, exec_lo, s0
	s_barrier_signal -1
	s_barrier_wait -1
	;; [unrolled: 23-line block ×3, first 2 shown]
	s_and_saveexec_b32 s0, s101
	s_cbranch_execz .LBB11_467
; %bb.466:                              ;   in Loop: Header=BB11_3 Depth=1
	ds_load_b32 v23, v5 offset:8060
	s_wait_dscnt 0x0
	v_mul_f32_e32 v22, v22, v23
	ds_store_b32 v34, v22
.LBB11_467:                             ;   in Loop: Header=BB11_3 Depth=1
	s_or_b32 exec_lo, exec_lo, s0
	s_wait_dscnt 0x0
	s_barrier_signal -1
	s_barrier_wait -1
	s_barrier_signal -1
	s_barrier_wait -1
	s_and_saveexec_b32 s0, s4
; %bb.468:                              ;   in Loop: Header=BB11_3 Depth=1
	v_xor_b32_e32 v22, 0x80000000, v22
	ds_store_b32 v35, v22 offset:6256
; %bb.469:                              ;   in Loop: Header=BB11_3 Depth=1
	s_or_b32 exec_lo, exec_lo, s0
	s_wait_dscnt 0x0
	s_barrier_signal -1
	s_barrier_wait -1
	s_barrier_signal -1
	s_barrier_wait -1
	s_and_saveexec_b32 s0, s102
	s_cbranch_execz .LBB11_471
; %bb.470:                              ;   in Loop: Header=BB11_3 Depth=1
	ds_load_b32 v22, v51 offset:6256
	s_wait_dscnt 0x0
	ds_store_b32 v52, v22 offset:7264
	ds_load_b32 v22, v51 offset:6260
	s_wait_dscnt 0x0
	ds_store_b32 v52, v22 offset:7520
	;; [unrolled: 3-line block ×4, first 2 shown]
.LBB11_471:                             ;   in Loop: Header=BB11_3 Depth=1
	s_or_b32 exec_lo, exec_lo, s0
	s_wait_dscnt 0x0
	s_barrier_signal -1
	s_barrier_wait -1
	s_and_saveexec_b32 s0, s17
	s_cbranch_execz .LBB11_473
; %bb.472:                              ;   in Loop: Header=BB11_3 Depth=1
	ds_load_b64 v[22:23], v5 offset:7280
	ds_load_b32 v25, v5 offset:7540
	s_wait_dscnt 0x0
	v_mul_f32_e32 v22, v22, v25
	s_delay_alu instid0(VALU_DEP_1)
	v_mul_f32_e32 v22, v23, v22
	v_add_nc_u32_e64 v23, 0x1c00, 0
	ds_store_2addr_b32 v23, v22, v22 offset0:29 offset1:92
.LBB11_473:                             ;   in Loop: Header=BB11_3 Depth=1
	s_or_b32 exec_lo, exec_lo, s0
	v_mov_b32_e32 v22, 0
	s_wait_dscnt 0x0
	s_barrier_signal -1
	s_barrier_wait -1
	s_and_saveexec_b32 s0, s2
	s_cbranch_execz .LBB11_477
; %bb.474:                              ;   in Loop: Header=BB11_3 Depth=1
	ds_load_b32 v22, v27 offset:7288
	ds_load_b32 v23, v28 offset:7280
	s_wait_dscnt 0x0
	v_fma_f32 v22, v22, v23, 0
	s_and_saveexec_b32 s1, s18
	s_cbranch_execz .LBB11_476
; %bb.475:                              ;   in Loop: Header=BB11_3 Depth=1
	ds_load_b32 v23, v52 offset:7544
	ds_load_b32 v25, v5 offset:7284
	s_wait_dscnt 0x0
	v_fmac_f32_e32 v22, v23, v25
.LBB11_476:                             ;   in Loop: Header=BB11_3 Depth=1
	s_or_b32 exec_lo, exec_lo, s1
	s_delay_alu instid0(VALU_DEP_1)
	v_xor_b32_e32 v22, 0x80000000, v22
.LBB11_477:                             ;   in Loop: Header=BB11_3 Depth=1
	s_or_b32 exec_lo, exec_lo, s0
	s_and_saveexec_b32 s0, s93
	s_cbranch_execz .LBB11_479
; %bb.478:                              ;   in Loop: Header=BB11_3 Depth=1
	ds_load_b32 v23, v5 offset:7800
	s_wait_dscnt 0x0
	v_mul_f32_e32 v22, v22, v23
	ds_store_b32 v3, v22
.LBB11_479:                             ;   in Loop: Header=BB11_3 Depth=1
	s_or_b32 exec_lo, exec_lo, s0
	s_wait_dscnt 0x0
	s_barrier_signal -1
	s_barrier_wait -1
	s_and_saveexec_b32 s0, s94
	s_cbranch_execz .LBB11_481
; %bb.480:                              ;   in Loop: Header=BB11_3 Depth=1
	ds_load_b32 v23, v5 offset:7804
	ds_load_b32 v25, v3
	s_wait_dscnt 0x0
	v_fmac_f32_e32 v22, v23, v25
.LBB11_481:                             ;   in Loop: Header=BB11_3 Depth=1
	s_or_b32 exec_lo, exec_lo, s0
	s_barrier_signal -1
	s_barrier_wait -1
	s_and_saveexec_b32 s0, s94
	s_cbranch_execz .LBB11_483
; %bb.482:                              ;   in Loop: Header=BB11_3 Depth=1
	ds_load_b32 v23, v5 offset:8060
	s_wait_dscnt 0x0
	v_mul_f32_e32 v22, v22, v23
	ds_store_b32 v3, v22
.LBB11_483:                             ;   in Loop: Header=BB11_3 Depth=1
	s_or_b32 exec_lo, exec_lo, s0
	s_wait_dscnt 0x0
	s_barrier_signal -1
	s_barrier_wait -1
	s_barrier_signal -1
	s_barrier_wait -1
	s_and_saveexec_b32 s0, s2
; %bb.484:                              ;   in Loop: Header=BB11_3 Depth=1
	v_xor_b32_e32 v22, 0x80000000, v22
	ds_store_b32 v27, v22 offset:7288
; %bb.485:                              ;   in Loop: Header=BB11_3 Depth=1
	s_or_b32 exec_lo, exec_lo, s0
	s_wait_dscnt 0x0
	s_barrier_signal -1
	s_barrier_wait -1
	s_barrier_signal -1
	s_barrier_wait -1
	s_and_saveexec_b32 s0, s95
	s_cbranch_execz .LBB11_487
; %bb.486:                              ;   in Loop: Header=BB11_3 Depth=1
	ds_load_b32 v22, v54 offset:7288
	s_wait_dscnt 0x0
	ds_store_b32 v52, v22 offset:7792
	ds_load_b32 v22, v54 offset:7292
	s_wait_dscnt 0x0
	ds_store_b32 v52, v22 offset:8048
.LBB11_487:                             ;   in Loop: Header=BB11_3 Depth=1
	s_or_b32 exec_lo, exec_lo, s0
	s_wait_dscnt 0x0
	s_barrier_signal -1
	s_barrier_wait -1
	s_and_saveexec_b32 s0, s17
	s_cbranch_execz .LBB11_489
; %bb.488:                              ;   in Loop: Header=BB11_3 Depth=1
	ds_load_b64 v[22:23], v5 offset:7800
	ds_load_b32 v25, v5 offset:8060
	s_wait_dscnt 0x0
	v_mul_f32_e32 v22, v22, v25
	s_delay_alu instid0(VALU_DEP_1)
	v_mul_f32_e32 v22, v23, v22
	v_add_nc_u32_e64 v23, 0x1c00, 0
	ds_store_2addr_b32 v23, v22, v22 offset0:159 offset1:222
.LBB11_489:                             ;   in Loop: Header=BB11_3 Depth=1
	s_or_b32 exec_lo, exec_lo, s0
	v_mov_b32_e32 v22, 0
	s_wait_dscnt 0x0
	s_barrier_signal -1
	s_barrier_wait -1
	s_and_saveexec_b32 s0, s7
	s_cbranch_execz .LBB11_551
; %bb.490:                              ;   in Loop: Header=BB11_3 Depth=1
	v_add_nc_u32_e32 v23, v60, v59
	ds_load_b32 v22, v63 offset:128
	ds_load_b32 v25, v23
	s_wait_dscnt 0x0
	v_fma_f32 v22, v22, v25, 0
	s_mov_b32 s1, exec_lo
	v_readlane_b32 s50, v88, 5
	s_and_b32 s50, s1, s50
	s_delay_alu instid0(SALU_CYCLE_1)
	s_mov_b32 exec_lo, s50
	s_cbranch_execz .LBB11_492
; %bb.491:                              ;   in Loop: Header=BB11_3 Depth=1
	ds_load_b32 v25, v63 offset:384
	ds_load_b32 v82, v23 offset:4
	s_wait_dscnt 0x0
	v_fmac_f32_e32 v22, v25, v82
.LBB11_492:                             ;   in Loop: Header=BB11_3 Depth=1
	s_or_b32 exec_lo, exec_lo, s1
	s_delay_alu instid0(SALU_CYCLE_1) | instskip(SKIP_2) | instid1(SALU_CYCLE_1)
	s_mov_b32 s1, exec_lo
	v_readlane_b32 s50, v88, 6
	s_and_b32 s50, s1, s50
	s_mov_b32 exec_lo, s50
	s_cbranch_execz .LBB11_494
; %bb.493:                              ;   in Loop: Header=BB11_3 Depth=1
	ds_load_b32 v25, v63 offset:640
	ds_load_b32 v82, v23 offset:8
	s_wait_dscnt 0x0
	v_fmac_f32_e32 v22, v25, v82
.LBB11_494:                             ;   in Loop: Header=BB11_3 Depth=1
	s_or_b32 exec_lo, exec_lo, s1
	s_delay_alu instid0(SALU_CYCLE_1) | instskip(SKIP_2) | instid1(SALU_CYCLE_1)
	s_mov_b32 s1, exec_lo
	v_readlane_b32 s50, v88, 7
	s_and_b32 s50, s1, s50
	;; [unrolled: 13-line block ×22, first 2 shown]
	s_mov_b32 exec_lo, s50
	s_cbranch_execz .LBB11_536
; %bb.535:                              ;   in Loop: Header=BB11_3 Depth=1
	ds_load_b32 v25, v63 offset:6016
	ds_load_b32 v82, v23 offset:92
	s_wait_dscnt 0x0
	v_fmac_f32_e32 v22, v25, v82
.LBB11_536:                             ;   in Loop: Header=BB11_3 Depth=1
	s_or_b32 exec_lo, exec_lo, s1
	s_and_saveexec_b32 s1, s6
	s_cbranch_execz .LBB11_538
; %bb.537:                              ;   in Loop: Header=BB11_3 Depth=1
	ds_load_b32 v25, v63 offset:6272
	ds_load_b32 v82, v23 offset:96
	s_wait_dscnt 0x0
	v_fmac_f32_e32 v22, v25, v82
.LBB11_538:                             ;   in Loop: Header=BB11_3 Depth=1
	s_or_b32 exec_lo, exec_lo, s1
	s_delay_alu instid0(SALU_CYCLE_1) | instskip(SKIP_2) | instid1(SALU_CYCLE_1)
	s_mov_b32 s1, exec_lo
	v_readlane_b32 s50, v89, 27
	s_and_b32 s50, s1, s50
	s_mov_b32 exec_lo, s50
	s_cbranch_execz .LBB11_540
; %bb.539:                              ;   in Loop: Header=BB11_3 Depth=1
	ds_load_b32 v25, v63 offset:6528
	ds_load_b32 v82, v23 offset:100
	s_wait_dscnt 0x0
	v_fmac_f32_e32 v22, v25, v82
.LBB11_540:                             ;   in Loop: Header=BB11_3 Depth=1
	s_or_b32 exec_lo, exec_lo, s1
	s_delay_alu instid0(SALU_CYCLE_1) | instskip(SKIP_2) | instid1(SALU_CYCLE_1)
	s_mov_b32 s1, exec_lo
	v_readlane_b32 s50, v89, 29
	s_and_b32 s50, s1, s50
	s_mov_b32 exec_lo, s50
	;; [unrolled: 13-line block ×5, first 2 shown]
	s_cbranch_execnz .LBB11_1231
; %bb.547:                              ;   in Loop: Header=BB11_3 Depth=1
	s_or_b32 exec_lo, exec_lo, s1
	s_and_saveexec_b32 s1, s5
	s_cbranch_execnz .LBB11_1232
.LBB11_548:                             ;   in Loop: Header=BB11_3 Depth=1
	s_or_b32 exec_lo, exec_lo, s1
	s_and_saveexec_b32 s1, s24
	s_cbranch_execz .LBB11_550
.LBB11_549:                             ;   in Loop: Header=BB11_3 Depth=1
	ds_load_b32 v23, v29 offset:8064
	ds_load_b32 v25, v5 offset:124
	s_wait_dscnt 0x0
	v_fmac_f32_e32 v22, v23, v25
.LBB11_550:                             ;   in Loop: Header=BB11_3 Depth=1
	s_or_b32 exec_lo, exec_lo, s1
	s_delay_alu instid0(VALU_DEP_1)
	v_xor_b32_e32 v22, 0x80000000, v22
.LBB11_551:                             ;   in Loop: Header=BB11_3 Depth=1
	s_or_b32 exec_lo, exec_lo, s0
	s_delay_alu instid0(SALU_CYCLE_1) | instskip(SKIP_2) | instid1(SALU_CYCLE_1)
	s_mov_b32 s0, exec_lo
	v_readlane_b32 s1, v91, 10
	s_and_b32 s1, s0, s1
	s_mov_b32 exec_lo, s1
	s_cbranch_execz .LBB11_553
; %bb.552:                              ;   in Loop: Header=BB11_3 Depth=1
	ds_load_b32 v23, v5 offset:8320
	s_wait_dscnt 0x0
	v_mul_f32_e32 v22, v22, v23
	ds_store_b32 v62, v22
.LBB11_553:                             ;   in Loop: Header=BB11_3 Depth=1
	s_or_b32 exec_lo, exec_lo, s0
	s_wait_dscnt 0x0
	s_barrier_signal -1
	s_barrier_wait -1
	s_mov_b32 s0, exec_lo
	v_readlane_b32 s1, v91, 11
	s_and_b32 s1, s0, s1
	s_delay_alu instid0(SALU_CYCLE_1)
	s_mov_b32 exec_lo, s1
	s_cbranch_execz .LBB11_555
; %bb.554:                              ;   in Loop: Header=BB11_3 Depth=1
	ds_load_b32 v23, v61 offset:8320
	ds_load_b32 v25, v62
	s_wait_dscnt 0x0
	v_fmac_f32_e32 v22, v23, v25
.LBB11_555:                             ;   in Loop: Header=BB11_3 Depth=1
	s_or_b32 exec_lo, exec_lo, s0
	s_barrier_signal -1
	s_barrier_wait -1
	s_mov_b32 s0, exec_lo
	v_readlane_b32 s1, v91, 12
	s_and_b32 s1, s0, s1
	s_delay_alu instid0(SALU_CYCLE_1)
	s_mov_b32 exec_lo, s1
	s_cbranch_execz .LBB11_557
; %bb.556:                              ;   in Loop: Header=BB11_3 Depth=1
	ds_load_b32 v23, v5 offset:8580
	s_wait_dscnt 0x0
	v_mul_f32_e32 v22, v22, v23
	ds_store_b32 v62, v22
.LBB11_557:                             ;   in Loop: Header=BB11_3 Depth=1
	s_or_b32 exec_lo, exec_lo, s0
	s_wait_dscnt 0x0
	s_barrier_signal -1
	s_barrier_wait -1
	s_mov_b32 s0, exec_lo
	v_readlane_b32 s1, v91, 13
	s_and_b32 s1, s0, s1
	s_delay_alu instid0(SALU_CYCLE_1)
	s_mov_b32 exec_lo, s1
	s_cbranch_execz .LBB11_559
; %bb.558:                              ;   in Loop: Header=BB11_3 Depth=1
	ds_load_b32 v23, v61 offset:8576
	ds_load_b32 v25, v62
	s_wait_dscnt 0x0
	v_fmac_f32_e32 v22, v23, v25
.LBB11_559:                             ;   in Loop: Header=BB11_3 Depth=1
	s_or_b32 exec_lo, exec_lo, s0
	s_barrier_signal -1
	s_barrier_wait -1
	s_mov_b32 s0, exec_lo
	v_readlane_b32 s1, v91, 14
	s_and_b32 s1, s0, s1
	s_delay_alu instid0(SALU_CYCLE_1)
	;; [unrolled: 31-line block ×30, first 2 shown]
	s_mov_b32 exec_lo, s1
	s_cbranch_execz .LBB11_673
; %bb.672:                              ;   in Loop: Header=BB11_3 Depth=1
	ds_load_b32 v23, v5 offset:16120
	s_wait_dscnt 0x0
	v_mul_f32_e32 v22, v22, v23
	ds_store_b32 v62, v22
.LBB11_673:                             ;   in Loop: Header=BB11_3 Depth=1
	s_or_b32 exec_lo, exec_lo, s0
	s_wait_dscnt 0x0
	s_barrier_signal -1
	s_barrier_wait -1
	s_and_saveexec_b32 s0, s13
	s_cbranch_execz .LBB11_675
; %bb.674:                              ;   in Loop: Header=BB11_3 Depth=1
	ds_load_b32 v23, v5 offset:16124
	ds_load_b32 v25, v62
	s_wait_dscnt 0x0
	v_fmac_f32_e32 v22, v23, v25
.LBB11_675:                             ;   in Loop: Header=BB11_3 Depth=1
	s_or_b32 exec_lo, exec_lo, s0
	s_barrier_signal -1
	s_barrier_wait -1
	s_and_saveexec_b32 s0, s13
	s_cbranch_execz .LBB11_677
; %bb.676:                              ;   in Loop: Header=BB11_3 Depth=1
	ds_load_b32 v23, v5 offset:16380
	s_wait_dscnt 0x0
	v_mul_f32_e32 v22, v22, v23
	ds_store_b32 v62, v22
.LBB11_677:                             ;   in Loop: Header=BB11_3 Depth=1
	s_or_b32 exec_lo, exec_lo, s0
	s_wait_dscnt 0x0
	s_barrier_signal -1
	s_barrier_wait -1
	s_barrier_signal -1
	s_barrier_wait -1
	s_and_saveexec_b32 s0, s7
; %bb.678:                              ;   in Loop: Header=BB11_3 Depth=1
	v_xor_b32_e32 v22, 0x80000000, v22
	ds_store_b32 v63, v22 offset:128
; %bb.679:                              ;   in Loop: Header=BB11_3 Depth=1
	s_or_b32 exec_lo, exec_lo, s0
	s_wait_dscnt 0x0
	s_barrier_signal -1
	s_barrier_wait -1
	s_barrier_signal -1
	s_barrier_wait -1
	s_mov_b32 s0, exec_lo
	v_readlane_b32 s1, v89, 7
	s_and_b32 s1, s0, s1
	s_delay_alu instid0(SALU_CYCLE_1)
	s_mov_b32 exec_lo, s1
	s_cbranch_execz .LBB11_681
; %bb.680:                              ;   in Loop: Header=BB11_3 Depth=1
	ds_load_b32 v22, v31 offset:128
	s_wait_dscnt 0x0
	ds_store_b32 v64, v22 offset:8192
	ds_load_b32 v22, v31 offset:132
	s_wait_dscnt 0x0
	ds_store_b32 v64, v22 offset:8448
	;; [unrolled: 3-line block ×32, first 2 shown]
.LBB11_681:                             ;   in Loop: Header=BB11_3 Depth=1
	s_or_b32 exec_lo, exec_lo, s0
	s_wait_dscnt 0x0
	s_barrier_signal -1
	s_barrier_wait -1
	s_and_saveexec_b32 s0, s17
	s_cbranch_execz .LBB11_683
; %bb.682:                              ;   in Loop: Header=BB11_3 Depth=1
	ds_load_b64 v[22:23], v5 offset:8320
	ds_load_b32 v25, v5 offset:8580
	s_wait_dscnt 0x0
	v_mul_f32_e32 v22, v22, v25
	s_delay_alu instid0(VALU_DEP_1)
	v_mul_f32_e32 v22, v23, v22
	v_add_nc_u32_e64 v23, 0x2000, 0
	ds_store_2addr_b32 v23, v22, v22 offset0:33 offset1:96
.LBB11_683:                             ;   in Loop: Header=BB11_3 Depth=1
	s_or_b32 exec_lo, exec_lo, s0
	v_mov_b32_e32 v22, 0
	s_wait_dscnt 0x0
	s_barrier_signal -1
	s_barrier_wait -1
	s_and_saveexec_b32 s0, s2
	s_cbranch_execz .LBB11_687
; %bb.684:                              ;   in Loop: Header=BB11_3 Depth=1
	ds_load_b32 v22, v27 offset:8328
	ds_load_b32 v23, v28 offset:8320
	s_wait_dscnt 0x0
	v_fma_f32 v22, v22, v23, 0
	s_and_saveexec_b32 s1, s18
	s_cbranch_execz .LBB11_686
; %bb.685:                              ;   in Loop: Header=BB11_3 Depth=1
	ds_load_b32 v23, v29 offset:8584
	ds_load_b32 v25, v5 offset:8324
	s_wait_dscnt 0x0
	v_fmac_f32_e32 v22, v23, v25
.LBB11_686:                             ;   in Loop: Header=BB11_3 Depth=1
	s_or_b32 exec_lo, exec_lo, s1
	s_delay_alu instid0(VALU_DEP_1)
	v_xor_b32_e32 v22, 0x80000000, v22
.LBB11_687:                             ;   in Loop: Header=BB11_3 Depth=1
	s_or_b32 exec_lo, exec_lo, s0
	s_and_saveexec_b32 s0, s93
	s_cbranch_execz .LBB11_689
; %bb.688:                              ;   in Loop: Header=BB11_3 Depth=1
	ds_load_b32 v23, v5 offset:8840
	s_wait_dscnt 0x0
	v_mul_f32_e32 v22, v22, v23
	ds_store_b32 v3, v22
.LBB11_689:                             ;   in Loop: Header=BB11_3 Depth=1
	s_or_b32 exec_lo, exec_lo, s0
	s_wait_dscnt 0x0
	s_barrier_signal -1
	s_barrier_wait -1
	s_and_saveexec_b32 s0, s94
	s_cbranch_execz .LBB11_691
; %bb.690:                              ;   in Loop: Header=BB11_3 Depth=1
	ds_load_b32 v23, v5 offset:8844
	ds_load_b32 v25, v3
	s_wait_dscnt 0x0
	v_fmac_f32_e32 v22, v23, v25
.LBB11_691:                             ;   in Loop: Header=BB11_3 Depth=1
	s_or_b32 exec_lo, exec_lo, s0
	s_barrier_signal -1
	s_barrier_wait -1
	s_and_saveexec_b32 s0, s94
	s_cbranch_execz .LBB11_693
; %bb.692:                              ;   in Loop: Header=BB11_3 Depth=1
	ds_load_b32 v23, v5 offset:9100
	s_wait_dscnt 0x0
	v_mul_f32_e32 v22, v22, v23
	ds_store_b32 v3, v22
.LBB11_693:                             ;   in Loop: Header=BB11_3 Depth=1
	s_or_b32 exec_lo, exec_lo, s0
	s_wait_dscnt 0x0
	s_barrier_signal -1
	s_barrier_wait -1
	s_barrier_signal -1
	s_barrier_wait -1
	s_and_saveexec_b32 s0, s2
; %bb.694:                              ;   in Loop: Header=BB11_3 Depth=1
	v_xor_b32_e32 v22, 0x80000000, v22
	ds_store_b32 v27, v22 offset:8328
; %bb.695:                              ;   in Loop: Header=BB11_3 Depth=1
	s_or_b32 exec_lo, exec_lo, s0
	s_wait_dscnt 0x0
	s_barrier_signal -1
	s_barrier_wait -1
	s_barrier_signal -1
	s_barrier_wait -1
	s_and_saveexec_b32 s0, s95
	s_cbranch_execz .LBB11_697
; %bb.696:                              ;   in Loop: Header=BB11_3 Depth=1
	ds_load_b32 v22, v33 offset:8328
	s_wait_dscnt 0x0
	ds_store_b32 v29, v22 offset:8832
	ds_load_b32 v22, v33 offset:8332
	s_wait_dscnt 0x0
	ds_store_b32 v29, v22 offset:9088
.LBB11_697:                             ;   in Loop: Header=BB11_3 Depth=1
	s_or_b32 exec_lo, exec_lo, s0
	s_wait_dscnt 0x0
	s_barrier_signal -1
	s_barrier_wait -1
	s_and_saveexec_b32 s0, s17
	s_cbranch_execz .LBB11_699
; %bb.698:                              ;   in Loop: Header=BB11_3 Depth=1
	ds_load_b64 v[22:23], v5 offset:8840
	ds_load_b32 v25, v5 offset:9100
	s_wait_dscnt 0x0
	v_mul_f32_e32 v22, v22, v25
	s_delay_alu instid0(VALU_DEP_1)
	v_mul_f32_e32 v22, v23, v22
	v_add_nc_u32_e64 v23, 0x2000, 0
	ds_store_2addr_b32 v23, v22, v22 offset0:163 offset1:226
.LBB11_699:                             ;   in Loop: Header=BB11_3 Depth=1
	s_or_b32 exec_lo, exec_lo, s0
	v_mov_b32_e32 v22, 0
	s_wait_dscnt 0x0
	s_barrier_signal -1
	s_barrier_wait -1
	s_and_saveexec_b32 s0, s4
	s_cbranch_execz .LBB11_705
; %bb.700:                              ;   in Loop: Header=BB11_3 Depth=1
	ds_load_b32 v22, v35 offset:8336
	ds_load_b32 v23, v30 offset:8320
	s_wait_dscnt 0x0
	v_fma_f32 v22, v22, v23, 0
	s_and_saveexec_b32 s1, s19
	s_cbranch_execnz .LBB11_1233
; %bb.701:                              ;   in Loop: Header=BB11_3 Depth=1
	s_or_b32 exec_lo, exec_lo, s1
	s_and_saveexec_b32 s1, s20
	s_cbranch_execnz .LBB11_1234
.LBB11_702:                             ;   in Loop: Header=BB11_3 Depth=1
	s_or_b32 exec_lo, exec_lo, s1
	s_and_saveexec_b32 s1, s2
	s_cbranch_execz .LBB11_704
.LBB11_703:                             ;   in Loop: Header=BB11_3 Depth=1
	ds_load_b32 v23, v37 offset:9104
	ds_load_b32 v25, v5 offset:8332
	s_wait_dscnt 0x0
	v_fmac_f32_e32 v22, v23, v25
.LBB11_704:                             ;   in Loop: Header=BB11_3 Depth=1
	s_or_b32 exec_lo, exec_lo, s1
	s_delay_alu instid0(VALU_DEP_1)
	v_xor_b32_e32 v22, 0x80000000, v22
.LBB11_705:                             ;   in Loop: Header=BB11_3 Depth=1
	s_or_b32 exec_lo, exec_lo, s0
	s_and_saveexec_b32 s0, s96
	s_cbranch_execz .LBB11_707
; %bb.706:                              ;   in Loop: Header=BB11_3 Depth=1
	ds_load_b32 v23, v5 offset:9360
	s_wait_dscnt 0x0
	v_mul_f32_e32 v22, v22, v23
	ds_store_b32 v34, v22
.LBB11_707:                             ;   in Loop: Header=BB11_3 Depth=1
	s_or_b32 exec_lo, exec_lo, s0
	s_wait_dscnt 0x0
	s_barrier_signal -1
	s_barrier_wait -1
	s_and_saveexec_b32 s0, s97
	s_cbranch_execz .LBB11_709
; %bb.708:                              ;   in Loop: Header=BB11_3 Depth=1
	ds_load_b32 v23, v32 offset:9360
	ds_load_b32 v25, v34
	s_wait_dscnt 0x0
	v_fmac_f32_e32 v22, v23, v25
.LBB11_709:                             ;   in Loop: Header=BB11_3 Depth=1
	s_or_b32 exec_lo, exec_lo, s0
	s_barrier_signal -1
	s_barrier_wait -1
	s_and_saveexec_b32 s0, s98
	s_cbranch_execz .LBB11_711
; %bb.710:                              ;   in Loop: Header=BB11_3 Depth=1
	ds_load_b32 v23, v5 offset:9620
	s_wait_dscnt 0x0
	v_mul_f32_e32 v22, v22, v23
	ds_store_b32 v34, v22
.LBB11_711:                             ;   in Loop: Header=BB11_3 Depth=1
	s_or_b32 exec_lo, exec_lo, s0
	s_wait_dscnt 0x0
	s_barrier_signal -1
	s_barrier_wait -1
	s_and_saveexec_b32 s0, s99
	s_cbranch_execz .LBB11_713
; %bb.712:                              ;   in Loop: Header=BB11_3 Depth=1
	ds_load_b32 v23, v32 offset:9616
	ds_load_b32 v25, v34
	s_wait_dscnt 0x0
	v_fmac_f32_e32 v22, v23, v25
.LBB11_713:                             ;   in Loop: Header=BB11_3 Depth=1
	s_or_b32 exec_lo, exec_lo, s0
	s_barrier_signal -1
	s_barrier_wait -1
	;; [unrolled: 23-line block ×3, first 2 shown]
	s_and_saveexec_b32 s0, s101
	s_cbranch_execz .LBB11_719
; %bb.718:                              ;   in Loop: Header=BB11_3 Depth=1
	ds_load_b32 v23, v5 offset:10140
	s_wait_dscnt 0x0
	v_mul_f32_e32 v22, v22, v23
	ds_store_b32 v34, v22
.LBB11_719:                             ;   in Loop: Header=BB11_3 Depth=1
	s_or_b32 exec_lo, exec_lo, s0
	s_wait_dscnt 0x0
	s_barrier_signal -1
	s_barrier_wait -1
	s_barrier_signal -1
	s_barrier_wait -1
	s_and_saveexec_b32 s0, s4
; %bb.720:                              ;   in Loop: Header=BB11_3 Depth=1
	v_xor_b32_e32 v22, 0x80000000, v22
	ds_store_b32 v35, v22 offset:8336
; %bb.721:                              ;   in Loop: Header=BB11_3 Depth=1
	s_or_b32 exec_lo, exec_lo, s0
	s_wait_dscnt 0x0
	s_barrier_signal -1
	s_barrier_wait -1
	s_barrier_signal -1
	s_barrier_wait -1
	s_and_saveexec_b32 s0, s102
	s_cbranch_execz .LBB11_723
; %bb.722:                              ;   in Loop: Header=BB11_3 Depth=1
	ds_load_b32 v22, v38 offset:8336
	s_wait_dscnt 0x0
	ds_store_b32 v40, v22 offset:9344
	ds_load_b32 v22, v38 offset:8340
	s_wait_dscnt 0x0
	ds_store_b32 v40, v22 offset:9600
	;; [unrolled: 3-line block ×4, first 2 shown]
.LBB11_723:                             ;   in Loop: Header=BB11_3 Depth=1
	s_or_b32 exec_lo, exec_lo, s0
	s_wait_dscnt 0x0
	s_barrier_signal -1
	s_barrier_wait -1
	s_and_saveexec_b32 s0, s17
	s_cbranch_execz .LBB11_725
; %bb.724:                              ;   in Loop: Header=BB11_3 Depth=1
	ds_load_b64 v[22:23], v5 offset:9360
	ds_load_b32 v25, v5 offset:9620
	s_wait_dscnt 0x0
	v_mul_f32_e32 v22, v22, v25
	s_delay_alu instid0(VALU_DEP_1)
	v_mul_f32_e32 v22, v23, v22
	v_add_nc_u32_e64 v23, 0x2400, 0
	ds_store_2addr_b32 v23, v22, v22 offset0:37 offset1:100
.LBB11_725:                             ;   in Loop: Header=BB11_3 Depth=1
	s_or_b32 exec_lo, exec_lo, s0
	v_mov_b32_e32 v22, 0
	s_wait_dscnt 0x0
	s_barrier_signal -1
	s_barrier_wait -1
	s_and_saveexec_b32 s0, s2
	s_cbranch_execz .LBB11_729
; %bb.726:                              ;   in Loop: Header=BB11_3 Depth=1
	ds_load_b32 v22, v27 offset:9368
	ds_load_b32 v23, v28 offset:9360
	s_wait_dscnt 0x0
	v_fma_f32 v22, v22, v23, 0
	s_and_saveexec_b32 s1, s18
	s_cbranch_execz .LBB11_728
; %bb.727:                              ;   in Loop: Header=BB11_3 Depth=1
	ds_load_b32 v23, v40 offset:9624
	ds_load_b32 v25, v5 offset:9364
	s_wait_dscnt 0x0
	v_fmac_f32_e32 v22, v23, v25
.LBB11_728:                             ;   in Loop: Header=BB11_3 Depth=1
	s_or_b32 exec_lo, exec_lo, s1
	s_delay_alu instid0(VALU_DEP_1)
	v_xor_b32_e32 v22, 0x80000000, v22
.LBB11_729:                             ;   in Loop: Header=BB11_3 Depth=1
	s_or_b32 exec_lo, exec_lo, s0
	s_and_saveexec_b32 s0, s93
	s_cbranch_execz .LBB11_731
; %bb.730:                              ;   in Loop: Header=BB11_3 Depth=1
	ds_load_b32 v23, v5 offset:9880
	s_wait_dscnt 0x0
	v_mul_f32_e32 v22, v22, v23
	ds_store_b32 v3, v22
.LBB11_731:                             ;   in Loop: Header=BB11_3 Depth=1
	s_or_b32 exec_lo, exec_lo, s0
	s_wait_dscnt 0x0
	s_barrier_signal -1
	s_barrier_wait -1
	s_and_saveexec_b32 s0, s94
	s_cbranch_execz .LBB11_733
; %bb.732:                              ;   in Loop: Header=BB11_3 Depth=1
	ds_load_b32 v23, v5 offset:9884
	ds_load_b32 v25, v3
	s_wait_dscnt 0x0
	v_fmac_f32_e32 v22, v23, v25
.LBB11_733:                             ;   in Loop: Header=BB11_3 Depth=1
	s_or_b32 exec_lo, exec_lo, s0
	s_barrier_signal -1
	s_barrier_wait -1
	s_and_saveexec_b32 s0, s94
	s_cbranch_execz .LBB11_735
; %bb.734:                              ;   in Loop: Header=BB11_3 Depth=1
	ds_load_b32 v23, v5 offset:10140
	s_wait_dscnt 0x0
	v_mul_f32_e32 v22, v22, v23
	ds_store_b32 v3, v22
.LBB11_735:                             ;   in Loop: Header=BB11_3 Depth=1
	s_or_b32 exec_lo, exec_lo, s0
	s_wait_dscnt 0x0
	s_barrier_signal -1
	s_barrier_wait -1
	s_barrier_signal -1
	s_barrier_wait -1
	s_and_saveexec_b32 s0, s2
; %bb.736:                              ;   in Loop: Header=BB11_3 Depth=1
	v_xor_b32_e32 v22, 0x80000000, v22
	ds_store_b32 v27, v22 offset:9368
; %bb.737:                              ;   in Loop: Header=BB11_3 Depth=1
	s_or_b32 exec_lo, exec_lo, s0
	s_wait_dscnt 0x0
	s_barrier_signal -1
	s_barrier_wait -1
	s_barrier_signal -1
	s_barrier_wait -1
	s_and_saveexec_b32 s0, s95
	s_cbranch_execz .LBB11_739
; %bb.738:                              ;   in Loop: Header=BB11_3 Depth=1
	ds_load_b32 v22, v42 offset:9368
	s_wait_dscnt 0x0
	ds_store_b32 v40, v22 offset:9872
	ds_load_b32 v22, v42 offset:9372
	s_wait_dscnt 0x0
	ds_store_b32 v40, v22 offset:10128
.LBB11_739:                             ;   in Loop: Header=BB11_3 Depth=1
	s_or_b32 exec_lo, exec_lo, s0
	s_wait_dscnt 0x0
	s_barrier_signal -1
	s_barrier_wait -1
	s_and_saveexec_b32 s0, s17
	s_cbranch_execz .LBB11_741
; %bb.740:                              ;   in Loop: Header=BB11_3 Depth=1
	ds_load_b64 v[22:23], v5 offset:9880
	ds_load_b32 v25, v5 offset:10140
	s_wait_dscnt 0x0
	v_mul_f32_e32 v22, v22, v25
	s_delay_alu instid0(VALU_DEP_1)
	v_mul_f32_e32 v22, v23, v22
	v_add_nc_u32_e64 v23, 0x2400, 0
	ds_store_2addr_b32 v23, v22, v22 offset0:167 offset1:230
.LBB11_741:                             ;   in Loop: Header=BB11_3 Depth=1
	s_or_b32 exec_lo, exec_lo, s0
	v_mov_b32_e32 v22, 0
	s_wait_dscnt 0x0
	s_barrier_signal -1
	s_barrier_wait -1
	s_and_saveexec_b32 s0, s5
	s_cbranch_execz .LBB11_751
; %bb.742:                              ;   in Loop: Header=BB11_3 Depth=1
	ds_load_b32 v22, v44 offset:8352
	ds_load_b32 v23, v39 offset:8320
	s_wait_dscnt 0x0
	v_fma_f32 v22, v22, v23, 0
	s_and_saveexec_b32 s1, s21
	s_cbranch_execnz .LBB11_1235
; %bb.743:                              ;   in Loop: Header=BB11_3 Depth=1
	s_or_b32 exec_lo, exec_lo, s1
	s_and_saveexec_b32 s1, s22
	s_cbranch_execnz .LBB11_1236
.LBB11_744:                             ;   in Loop: Header=BB11_3 Depth=1
	s_or_b32 exec_lo, exec_lo, s1
	s_and_saveexec_b32 s1, s23
	s_cbranch_execnz .LBB11_1237
.LBB11_745:                             ;   in Loop: Header=BB11_3 Depth=1
	s_or_b32 exec_lo, exec_lo, s1
	s_and_saveexec_b32 s1, s24
	s_cbranch_execnz .LBB11_1238
.LBB11_746:                             ;   in Loop: Header=BB11_3 Depth=1
	s_or_b32 exec_lo, exec_lo, s1
	s_and_saveexec_b32 s1, s25
	s_cbranch_execnz .LBB11_1239
.LBB11_747:                             ;   in Loop: Header=BB11_3 Depth=1
	s_or_b32 exec_lo, exec_lo, s1
	s_and_saveexec_b32 s1, s4
	s_cbranch_execnz .LBB11_1240
.LBB11_748:                             ;   in Loop: Header=BB11_3 Depth=1
	s_or_b32 exec_lo, exec_lo, s1
	s_and_saveexec_b32 s1, s20
	s_cbranch_execz .LBB11_750
.LBB11_749:                             ;   in Loop: Header=BB11_3 Depth=1
	ds_load_b32 v23, v46 offset:10144
	ds_load_b32 v25, v5 offset:8348
	s_wait_dscnt 0x0
	v_fmac_f32_e32 v22, v23, v25
.LBB11_750:                             ;   in Loop: Header=BB11_3 Depth=1
	s_or_b32 exec_lo, exec_lo, s1
	s_delay_alu instid0(VALU_DEP_1)
	v_xor_b32_e32 v22, 0x80000000, v22
.LBB11_751:                             ;   in Loop: Header=BB11_3 Depth=1
	s_or_b32 exec_lo, exec_lo, s0
	s_and_saveexec_b32 s0, s103
	s_cbranch_execz .LBB11_753
; %bb.752:                              ;   in Loop: Header=BB11_3 Depth=1
	ds_load_b32 v23, v5 offset:10400
	s_wait_dscnt 0x0
	v_mul_f32_e32 v22, v22, v23
	ds_store_b32 v43, v22
.LBB11_753:                             ;   in Loop: Header=BB11_3 Depth=1
	s_or_b32 exec_lo, exec_lo, s0
	s_wait_dscnt 0x0
	s_barrier_signal -1
	s_barrier_wait -1
	s_and_saveexec_b32 s0, s104
	s_cbranch_execz .LBB11_755
; %bb.754:                              ;   in Loop: Header=BB11_3 Depth=1
	ds_load_b32 v23, v41 offset:10400
	ds_load_b32 v25, v43
	s_wait_dscnt 0x0
	v_fmac_f32_e32 v22, v23, v25
.LBB11_755:                             ;   in Loop: Header=BB11_3 Depth=1
	s_or_b32 exec_lo, exec_lo, s0
	s_barrier_signal -1
	s_barrier_wait -1
	s_and_saveexec_b32 s0, vcc_hi
	s_cbranch_execz .LBB11_757
; %bb.756:                              ;   in Loop: Header=BB11_3 Depth=1
	ds_load_b32 v23, v5 offset:10660
	s_wait_dscnt 0x0
	v_mul_f32_e32 v22, v22, v23
	ds_store_b32 v43, v22
.LBB11_757:                             ;   in Loop: Header=BB11_3 Depth=1
	s_or_b32 exec_lo, exec_lo, s0
	s_wait_dscnt 0x0
	s_barrier_signal -1
	s_barrier_wait -1
	s_and_saveexec_b32 s0, s38
	s_cbranch_execz .LBB11_759
; %bb.758:                              ;   in Loop: Header=BB11_3 Depth=1
	ds_load_b32 v23, v41 offset:10656
	ds_load_b32 v25, v43
	s_wait_dscnt 0x0
	v_fmac_f32_e32 v22, v23, v25
.LBB11_759:                             ;   in Loop: Header=BB11_3 Depth=1
	s_or_b32 exec_lo, exec_lo, s0
	s_barrier_signal -1
	s_barrier_wait -1
	s_and_saveexec_b32 s0, s39
	s_cbranch_execz .LBB11_761
; %bb.760:                              ;   in Loop: Header=BB11_3 Depth=1
	ds_load_b32 v23, v5 offset:10920
	s_wait_dscnt 0x0
	v_mul_f32_e32 v22, v22, v23
	ds_store_b32 v43, v22
.LBB11_761:                             ;   in Loop: Header=BB11_3 Depth=1
	s_or_b32 exec_lo, exec_lo, s0
	s_wait_dscnt 0x0
	s_barrier_signal -1
	s_barrier_wait -1
	s_and_saveexec_b32 s0, s40
	s_cbranch_execz .LBB11_763
; %bb.762:                              ;   in Loop: Header=BB11_3 Depth=1
	ds_load_b32 v23, v41 offset:10912
	ds_load_b32 v25, v43
	s_wait_dscnt 0x0
	v_fmac_f32_e32 v22, v23, v25
.LBB11_763:                             ;   in Loop: Header=BB11_3 Depth=1
	s_or_b32 exec_lo, exec_lo, s0
	s_barrier_signal -1
	s_barrier_wait -1
	s_and_saveexec_b32 s0, s41
	s_cbranch_execz .LBB11_765
; %bb.764:                              ;   in Loop: Header=BB11_3 Depth=1
	ds_load_b32 v23, v5 offset:11180
	s_wait_dscnt 0x0
	v_mul_f32_e32 v22, v22, v23
	ds_store_b32 v43, v22
.LBB11_765:                             ;   in Loop: Header=BB11_3 Depth=1
	s_or_b32 exec_lo, exec_lo, s0
	s_wait_dscnt 0x0
	s_barrier_signal -1
	s_barrier_wait -1
	s_and_saveexec_b32 s0, s42
	s_cbranch_execz .LBB11_767
; %bb.766:                              ;   in Loop: Header=BB11_3 Depth=1
	ds_load_b32 v23, v41 offset:11168
	ds_load_b32 v25, v43
	s_wait_dscnt 0x0
	v_fmac_f32_e32 v22, v23, v25
.LBB11_767:                             ;   in Loop: Header=BB11_3 Depth=1
	s_or_b32 exec_lo, exec_lo, s0
	s_barrier_signal -1
	s_barrier_wait -1
	s_and_saveexec_b32 s0, s43
	s_cbranch_execz .LBB11_769
; %bb.768:                              ;   in Loop: Header=BB11_3 Depth=1
	ds_load_b32 v23, v5 offset:11440
	s_wait_dscnt 0x0
	v_mul_f32_e32 v22, v22, v23
	ds_store_b32 v43, v22
.LBB11_769:                             ;   in Loop: Header=BB11_3 Depth=1
	s_or_b32 exec_lo, exec_lo, s0
	s_wait_dscnt 0x0
	s_barrier_signal -1
	s_barrier_wait -1
	s_and_saveexec_b32 s0, s44
	s_cbranch_execz .LBB11_771
; %bb.770:                              ;   in Loop: Header=BB11_3 Depth=1
	ds_load_b32 v23, v41 offset:11424
	ds_load_b32 v25, v43
	s_wait_dscnt 0x0
	v_fmac_f32_e32 v22, v23, v25
.LBB11_771:                             ;   in Loop: Header=BB11_3 Depth=1
	s_or_b32 exec_lo, exec_lo, s0
	s_barrier_signal -1
	s_barrier_wait -1
	s_and_saveexec_b32 s0, s45
	s_cbranch_execz .LBB11_773
; %bb.772:                              ;   in Loop: Header=BB11_3 Depth=1
	ds_load_b32 v23, v5 offset:11700
	s_wait_dscnt 0x0
	v_mul_f32_e32 v22, v22, v23
	ds_store_b32 v43, v22
.LBB11_773:                             ;   in Loop: Header=BB11_3 Depth=1
	s_or_b32 exec_lo, exec_lo, s0
	s_wait_dscnt 0x0
	s_barrier_signal -1
	s_barrier_wait -1
	s_and_saveexec_b32 s0, s46
	s_cbranch_execz .LBB11_775
; %bb.774:                              ;   in Loop: Header=BB11_3 Depth=1
	ds_load_b32 v23, v41 offset:11680
	ds_load_b32 v25, v43
	s_wait_dscnt 0x0
	v_fmac_f32_e32 v22, v23, v25
.LBB11_775:                             ;   in Loop: Header=BB11_3 Depth=1
	s_or_b32 exec_lo, exec_lo, s0
	s_barrier_signal -1
	s_barrier_wait -1
	s_and_saveexec_b32 s0, s47
	s_cbranch_execz .LBB11_777
; %bb.776:                              ;   in Loop: Header=BB11_3 Depth=1
	ds_load_b32 v23, v5 offset:11960
	s_wait_dscnt 0x0
	v_mul_f32_e32 v22, v22, v23
	ds_store_b32 v43, v22
.LBB11_777:                             ;   in Loop: Header=BB11_3 Depth=1
	s_or_b32 exec_lo, exec_lo, s0
	s_wait_dscnt 0x0
	s_barrier_signal -1
	s_barrier_wait -1
	s_and_saveexec_b32 s0, s48
	s_cbranch_execz .LBB11_779
; %bb.778:                              ;   in Loop: Header=BB11_3 Depth=1
	ds_load_b32 v23, v5 offset:11964
	ds_load_b32 v25, v43
	s_wait_dscnt 0x0
	v_fmac_f32_e32 v22, v23, v25
.LBB11_779:                             ;   in Loop: Header=BB11_3 Depth=1
	s_or_b32 exec_lo, exec_lo, s0
	s_barrier_signal -1
	s_barrier_wait -1
	s_and_saveexec_b32 s0, s48
	s_cbranch_execz .LBB11_781
; %bb.780:                              ;   in Loop: Header=BB11_3 Depth=1
	ds_load_b32 v23, v5 offset:12220
	s_wait_dscnt 0x0
	v_mul_f32_e32 v22, v22, v23
	ds_store_b32 v43, v22
.LBB11_781:                             ;   in Loop: Header=BB11_3 Depth=1
	s_or_b32 exec_lo, exec_lo, s0
	s_wait_dscnt 0x0
	s_barrier_signal -1
	s_barrier_wait -1
	s_barrier_signal -1
	s_barrier_wait -1
	s_and_saveexec_b32 s0, s5
; %bb.782:                              ;   in Loop: Header=BB11_3 Depth=1
	v_xor_b32_e32 v22, 0x80000000, v22
	ds_store_b32 v44, v22 offset:8352
; %bb.783:                              ;   in Loop: Header=BB11_3 Depth=1
	s_or_b32 exec_lo, exec_lo, s0
	s_wait_dscnt 0x0
	s_barrier_signal -1
	s_barrier_wait -1
	s_barrier_signal -1
	s_barrier_wait -1
	s_and_saveexec_b32 s0, s49
	s_cbranch_execz .LBB11_785
; %bb.784:                              ;   in Loop: Header=BB11_3 Depth=1
	ds_load_b32 v22, v47 offset:8352
	s_wait_dscnt 0x0
	ds_store_b32 v48, v22 offset:10368
	ds_load_b32 v22, v47 offset:8356
	s_wait_dscnt 0x0
	ds_store_b32 v48, v22 offset:10624
	ds_load_b32 v22, v47 offset:8360
	s_wait_dscnt 0x0
	ds_store_b32 v48, v22 offset:10880
	ds_load_b32 v22, v47 offset:8364
	s_wait_dscnt 0x0
	ds_store_b32 v48, v22 offset:11136
	ds_load_b32 v22, v47 offset:8368
	s_wait_dscnt 0x0
	ds_store_b32 v48, v22 offset:11392
	ds_load_b32 v22, v47 offset:8372
	s_wait_dscnt 0x0
	ds_store_b32 v48, v22 offset:11648
	ds_load_b32 v22, v47 offset:8376
	s_wait_dscnt 0x0
	ds_store_b32 v48, v22 offset:11904
	ds_load_b32 v22, v47 offset:8380
	s_wait_dscnt 0x0
	ds_store_b32 v48, v22 offset:12160
.LBB11_785:                             ;   in Loop: Header=BB11_3 Depth=1
	s_or_b32 exec_lo, exec_lo, s0
	s_wait_dscnt 0x0
	s_barrier_signal -1
	s_barrier_wait -1
	s_and_saveexec_b32 s0, s17
	s_cbranch_execz .LBB11_787
; %bb.786:                              ;   in Loop: Header=BB11_3 Depth=1
	ds_load_b64 v[22:23], v5 offset:10400
	ds_load_b32 v25, v5 offset:10660
	s_wait_dscnt 0x0
	v_mul_f32_e32 v22, v22, v25
	s_delay_alu instid0(VALU_DEP_1)
	v_mul_f32_e32 v22, v23, v22
	v_add_nc_u32_e64 v23, 0x2800, 0
	ds_store_2addr_b32 v23, v22, v22 offset0:41 offset1:104
.LBB11_787:                             ;   in Loop: Header=BB11_3 Depth=1
	s_or_b32 exec_lo, exec_lo, s0
	v_mov_b32_e32 v22, 0
	s_wait_dscnt 0x0
	s_barrier_signal -1
	s_barrier_wait -1
	s_and_saveexec_b32 s0, s2
	s_cbranch_execz .LBB11_791
; %bb.788:                              ;   in Loop: Header=BB11_3 Depth=1
	ds_load_b32 v22, v27 offset:10408
	ds_load_b32 v23, v28 offset:10400
	s_wait_dscnt 0x0
	v_fma_f32 v22, v22, v23, 0
	s_and_saveexec_b32 s1, s18
	s_cbranch_execz .LBB11_790
; %bb.789:                              ;   in Loop: Header=BB11_3 Depth=1
	ds_load_b32 v23, v48 offset:10664
	ds_load_b32 v25, v5 offset:10404
	s_wait_dscnt 0x0
	v_fmac_f32_e32 v22, v23, v25
.LBB11_790:                             ;   in Loop: Header=BB11_3 Depth=1
	s_or_b32 exec_lo, exec_lo, s1
	s_delay_alu instid0(VALU_DEP_1)
	v_xor_b32_e32 v22, 0x80000000, v22
.LBB11_791:                             ;   in Loop: Header=BB11_3 Depth=1
	s_or_b32 exec_lo, exec_lo, s0
	s_and_saveexec_b32 s0, s93
	s_cbranch_execz .LBB11_793
; %bb.792:                              ;   in Loop: Header=BB11_3 Depth=1
	ds_load_b32 v23, v5 offset:10920
	s_wait_dscnt 0x0
	v_mul_f32_e32 v22, v22, v23
	ds_store_b32 v3, v22
.LBB11_793:                             ;   in Loop: Header=BB11_3 Depth=1
	s_or_b32 exec_lo, exec_lo, s0
	s_wait_dscnt 0x0
	s_barrier_signal -1
	s_barrier_wait -1
	s_and_saveexec_b32 s0, s94
	s_cbranch_execz .LBB11_795
; %bb.794:                              ;   in Loop: Header=BB11_3 Depth=1
	ds_load_b32 v23, v5 offset:10924
	ds_load_b32 v25, v3
	s_wait_dscnt 0x0
	v_fmac_f32_e32 v22, v23, v25
.LBB11_795:                             ;   in Loop: Header=BB11_3 Depth=1
	s_or_b32 exec_lo, exec_lo, s0
	s_barrier_signal -1
	s_barrier_wait -1
	s_and_saveexec_b32 s0, s94
	s_cbranch_execz .LBB11_797
; %bb.796:                              ;   in Loop: Header=BB11_3 Depth=1
	ds_load_b32 v23, v5 offset:11180
	s_wait_dscnt 0x0
	v_mul_f32_e32 v22, v22, v23
	ds_store_b32 v3, v22
.LBB11_797:                             ;   in Loop: Header=BB11_3 Depth=1
	s_or_b32 exec_lo, exec_lo, s0
	s_wait_dscnt 0x0
	s_barrier_signal -1
	s_barrier_wait -1
	s_barrier_signal -1
	s_barrier_wait -1
	s_and_saveexec_b32 s0, s2
; %bb.798:                              ;   in Loop: Header=BB11_3 Depth=1
	v_xor_b32_e32 v22, 0x80000000, v22
	ds_store_b32 v27, v22 offset:10408
; %bb.799:                              ;   in Loop: Header=BB11_3 Depth=1
	s_or_b32 exec_lo, exec_lo, s0
	s_wait_dscnt 0x0
	s_barrier_signal -1
	s_barrier_wait -1
	s_barrier_signal -1
	s_barrier_wait -1
	s_and_saveexec_b32 s0, s95
	s_cbranch_execz .LBB11_801
; %bb.800:                              ;   in Loop: Header=BB11_3 Depth=1
	ds_load_b32 v22, v49 offset:10408
	s_wait_dscnt 0x0
	ds_store_b32 v48, v22 offset:10912
	ds_load_b32 v22, v49 offset:10412
	s_wait_dscnt 0x0
	ds_store_b32 v48, v22 offset:11168
.LBB11_801:                             ;   in Loop: Header=BB11_3 Depth=1
	s_or_b32 exec_lo, exec_lo, s0
	s_wait_dscnt 0x0
	s_barrier_signal -1
	s_barrier_wait -1
	s_and_saveexec_b32 s0, s17
	s_cbranch_execz .LBB11_803
; %bb.802:                              ;   in Loop: Header=BB11_3 Depth=1
	ds_load_b64 v[22:23], v5 offset:10920
	ds_load_b32 v25, v5 offset:11180
	s_wait_dscnt 0x0
	v_mul_f32_e32 v22, v22, v25
	s_delay_alu instid0(VALU_DEP_1)
	v_mul_f32_e32 v22, v23, v22
	v_add_nc_u32_e64 v23, 0x2800, 0
	ds_store_2addr_b32 v23, v22, v22 offset0:171 offset1:234
.LBB11_803:                             ;   in Loop: Header=BB11_3 Depth=1
	s_or_b32 exec_lo, exec_lo, s0
	v_mov_b32_e32 v22, 0
	s_wait_dscnt 0x0
	s_barrier_signal -1
	s_barrier_wait -1
	s_and_saveexec_b32 s0, s4
	s_cbranch_execz .LBB11_809
; %bb.804:                              ;   in Loop: Header=BB11_3 Depth=1
	ds_load_b32 v22, v35 offset:10416
	ds_load_b32 v23, v30 offset:10400
	s_wait_dscnt 0x0
	v_fma_f32 v22, v22, v23, 0
	s_and_saveexec_b32 s1, s19
	s_cbranch_execnz .LBB11_1241
; %bb.805:                              ;   in Loop: Header=BB11_3 Depth=1
	s_or_b32 exec_lo, exec_lo, s1
	s_and_saveexec_b32 s1, s20
	s_cbranch_execnz .LBB11_1242
.LBB11_806:                             ;   in Loop: Header=BB11_3 Depth=1
	s_or_b32 exec_lo, exec_lo, s1
	s_and_saveexec_b32 s1, s2
	s_cbranch_execz .LBB11_808
.LBB11_807:                             ;   in Loop: Header=BB11_3 Depth=1
	ds_load_b32 v23, v50 offset:11184
	ds_load_b32 v25, v5 offset:10412
	s_wait_dscnt 0x0
	v_fmac_f32_e32 v22, v23, v25
.LBB11_808:                             ;   in Loop: Header=BB11_3 Depth=1
	s_or_b32 exec_lo, exec_lo, s1
	s_delay_alu instid0(VALU_DEP_1)
	v_xor_b32_e32 v22, 0x80000000, v22
.LBB11_809:                             ;   in Loop: Header=BB11_3 Depth=1
	s_or_b32 exec_lo, exec_lo, s0
	s_and_saveexec_b32 s0, s96
	s_cbranch_execz .LBB11_811
; %bb.810:                              ;   in Loop: Header=BB11_3 Depth=1
	ds_load_b32 v23, v5 offset:11440
	s_wait_dscnt 0x0
	v_mul_f32_e32 v22, v22, v23
	ds_store_b32 v34, v22
.LBB11_811:                             ;   in Loop: Header=BB11_3 Depth=1
	s_or_b32 exec_lo, exec_lo, s0
	s_wait_dscnt 0x0
	s_barrier_signal -1
	s_barrier_wait -1
	s_and_saveexec_b32 s0, s97
	s_cbranch_execz .LBB11_813
; %bb.812:                              ;   in Loop: Header=BB11_3 Depth=1
	ds_load_b32 v23, v32 offset:11440
	ds_load_b32 v25, v34
	s_wait_dscnt 0x0
	v_fmac_f32_e32 v22, v23, v25
.LBB11_813:                             ;   in Loop: Header=BB11_3 Depth=1
	s_or_b32 exec_lo, exec_lo, s0
	s_barrier_signal -1
	s_barrier_wait -1
	s_and_saveexec_b32 s0, s98
	s_cbranch_execz .LBB11_815
; %bb.814:                              ;   in Loop: Header=BB11_3 Depth=1
	ds_load_b32 v23, v5 offset:11700
	s_wait_dscnt 0x0
	v_mul_f32_e32 v22, v22, v23
	ds_store_b32 v34, v22
.LBB11_815:                             ;   in Loop: Header=BB11_3 Depth=1
	s_or_b32 exec_lo, exec_lo, s0
	s_wait_dscnt 0x0
	s_barrier_signal -1
	s_barrier_wait -1
	s_and_saveexec_b32 s0, s99
	s_cbranch_execz .LBB11_817
; %bb.816:                              ;   in Loop: Header=BB11_3 Depth=1
	ds_load_b32 v23, v32 offset:11696
	ds_load_b32 v25, v34
	s_wait_dscnt 0x0
	v_fmac_f32_e32 v22, v23, v25
.LBB11_817:                             ;   in Loop: Header=BB11_3 Depth=1
	s_or_b32 exec_lo, exec_lo, s0
	s_barrier_signal -1
	s_barrier_wait -1
	;; [unrolled: 23-line block ×3, first 2 shown]
	s_and_saveexec_b32 s0, s101
	s_cbranch_execz .LBB11_823
; %bb.822:                              ;   in Loop: Header=BB11_3 Depth=1
	ds_load_b32 v23, v5 offset:12220
	s_wait_dscnt 0x0
	v_mul_f32_e32 v22, v22, v23
	ds_store_b32 v34, v22
.LBB11_823:                             ;   in Loop: Header=BB11_3 Depth=1
	s_or_b32 exec_lo, exec_lo, s0
	s_wait_dscnt 0x0
	s_barrier_signal -1
	s_barrier_wait -1
	s_barrier_signal -1
	s_barrier_wait -1
	s_and_saveexec_b32 s0, s4
; %bb.824:                              ;   in Loop: Header=BB11_3 Depth=1
	v_xor_b32_e32 v22, 0x80000000, v22
	ds_store_b32 v35, v22 offset:10416
; %bb.825:                              ;   in Loop: Header=BB11_3 Depth=1
	s_or_b32 exec_lo, exec_lo, s0
	s_wait_dscnt 0x0
	s_barrier_signal -1
	s_barrier_wait -1
	s_barrier_signal -1
	s_barrier_wait -1
	s_and_saveexec_b32 s0, s102
	s_cbranch_execz .LBB11_827
; %bb.826:                              ;   in Loop: Header=BB11_3 Depth=1
	ds_load_b32 v22, v51 offset:10416
	s_wait_dscnt 0x0
	ds_store_b32 v52, v22 offset:11424
	ds_load_b32 v22, v51 offset:10420
	s_wait_dscnt 0x0
	ds_store_b32 v52, v22 offset:11680
	;; [unrolled: 3-line block ×4, first 2 shown]
.LBB11_827:                             ;   in Loop: Header=BB11_3 Depth=1
	s_or_b32 exec_lo, exec_lo, s0
	s_wait_dscnt 0x0
	s_barrier_signal -1
	s_barrier_wait -1
	s_and_saveexec_b32 s0, s17
	s_cbranch_execz .LBB11_829
; %bb.828:                              ;   in Loop: Header=BB11_3 Depth=1
	ds_load_b64 v[22:23], v5 offset:11440
	ds_load_b32 v25, v5 offset:11700
	s_wait_dscnt 0x0
	v_mul_f32_e32 v22, v22, v25
	s_delay_alu instid0(VALU_DEP_1)
	v_mul_f32_e32 v22, v23, v22
	v_add_nc_u32_e64 v23, 0x2c00, 0
	ds_store_2addr_b32 v23, v22, v22 offset0:45 offset1:108
.LBB11_829:                             ;   in Loop: Header=BB11_3 Depth=1
	s_or_b32 exec_lo, exec_lo, s0
	v_mov_b32_e32 v22, 0
	s_wait_dscnt 0x0
	s_barrier_signal -1
	s_barrier_wait -1
	s_and_saveexec_b32 s0, s2
	s_cbranch_execz .LBB11_833
; %bb.830:                              ;   in Loop: Header=BB11_3 Depth=1
	ds_load_b32 v22, v27 offset:11448
	ds_load_b32 v23, v28 offset:11440
	s_wait_dscnt 0x0
	v_fma_f32 v22, v22, v23, 0
	s_and_saveexec_b32 s1, s18
	s_cbranch_execz .LBB11_832
; %bb.831:                              ;   in Loop: Header=BB11_3 Depth=1
	ds_load_b32 v23, v52 offset:11704
	ds_load_b32 v25, v5 offset:11444
	s_wait_dscnt 0x0
	v_fmac_f32_e32 v22, v23, v25
.LBB11_832:                             ;   in Loop: Header=BB11_3 Depth=1
	s_or_b32 exec_lo, exec_lo, s1
	s_delay_alu instid0(VALU_DEP_1)
	v_xor_b32_e32 v22, 0x80000000, v22
.LBB11_833:                             ;   in Loop: Header=BB11_3 Depth=1
	s_or_b32 exec_lo, exec_lo, s0
	s_and_saveexec_b32 s0, s93
	s_cbranch_execz .LBB11_835
; %bb.834:                              ;   in Loop: Header=BB11_3 Depth=1
	ds_load_b32 v23, v5 offset:11960
	s_wait_dscnt 0x0
	v_mul_f32_e32 v22, v22, v23
	ds_store_b32 v3, v22
.LBB11_835:                             ;   in Loop: Header=BB11_3 Depth=1
	s_or_b32 exec_lo, exec_lo, s0
	s_wait_dscnt 0x0
	s_barrier_signal -1
	s_barrier_wait -1
	s_and_saveexec_b32 s0, s94
	s_cbranch_execz .LBB11_837
; %bb.836:                              ;   in Loop: Header=BB11_3 Depth=1
	ds_load_b32 v23, v5 offset:11964
	ds_load_b32 v25, v3
	s_wait_dscnt 0x0
	v_fmac_f32_e32 v22, v23, v25
.LBB11_837:                             ;   in Loop: Header=BB11_3 Depth=1
	s_or_b32 exec_lo, exec_lo, s0
	s_barrier_signal -1
	s_barrier_wait -1
	s_and_saveexec_b32 s0, s94
	s_cbranch_execz .LBB11_839
; %bb.838:                              ;   in Loop: Header=BB11_3 Depth=1
	ds_load_b32 v23, v5 offset:12220
	s_wait_dscnt 0x0
	v_mul_f32_e32 v22, v22, v23
	ds_store_b32 v3, v22
.LBB11_839:                             ;   in Loop: Header=BB11_3 Depth=1
	s_or_b32 exec_lo, exec_lo, s0
	s_wait_dscnt 0x0
	s_barrier_signal -1
	s_barrier_wait -1
	s_barrier_signal -1
	s_barrier_wait -1
	s_and_saveexec_b32 s0, s2
; %bb.840:                              ;   in Loop: Header=BB11_3 Depth=1
	v_xor_b32_e32 v22, 0x80000000, v22
	ds_store_b32 v27, v22 offset:11448
; %bb.841:                              ;   in Loop: Header=BB11_3 Depth=1
	s_or_b32 exec_lo, exec_lo, s0
	s_wait_dscnt 0x0
	s_barrier_signal -1
	s_barrier_wait -1
	s_barrier_signal -1
	s_barrier_wait -1
	s_and_saveexec_b32 s0, s95
	s_cbranch_execz .LBB11_843
; %bb.842:                              ;   in Loop: Header=BB11_3 Depth=1
	ds_load_b32 v22, v54 offset:11448
	s_wait_dscnt 0x0
	ds_store_b32 v52, v22 offset:11952
	ds_load_b32 v22, v54 offset:11452
	s_wait_dscnt 0x0
	ds_store_b32 v52, v22 offset:12208
.LBB11_843:                             ;   in Loop: Header=BB11_3 Depth=1
	s_or_b32 exec_lo, exec_lo, s0
	s_wait_dscnt 0x0
	s_barrier_signal -1
	s_barrier_wait -1
	s_and_saveexec_b32 s0, s17
	s_cbranch_execz .LBB11_845
; %bb.844:                              ;   in Loop: Header=BB11_3 Depth=1
	ds_load_b64 v[22:23], v5 offset:11960
	ds_load_b32 v25, v5 offset:12220
	s_wait_dscnt 0x0
	v_mul_f32_e32 v22, v22, v25
	s_delay_alu instid0(VALU_DEP_1)
	v_mul_f32_e32 v22, v23, v22
	v_add_nc_u32_e64 v23, 0x2c00, 0
	ds_store_2addr_b32 v23, v22, v22 offset0:175 offset1:238
.LBB11_845:                             ;   in Loop: Header=BB11_3 Depth=1
	s_or_b32 exec_lo, exec_lo, s0
	v_mov_b32_e32 v22, 0
	s_wait_dscnt 0x0
	s_barrier_signal -1
	s_barrier_wait -1
	s_and_saveexec_b32 s0, s6
	s_cbranch_execz .LBB11_873
; %bb.846:                              ;   in Loop: Header=BB11_3 Depth=1
	ds_load_b32 v22, v57 offset:8384
	ds_load_b32 v23, v53 offset:8320
	s_wait_dscnt 0x0
	v_fma_f32 v22, v22, v23, 0
	s_mov_b32 s1, exec_lo
	v_readlane_b32 s50, v89, 26
	s_and_b32 s50, s1, s50
	s_delay_alu instid0(SALU_CYCLE_1)
	s_mov_b32 exec_lo, s50
	s_cbranch_execz .LBB11_848
; %bb.847:                              ;   in Loop: Header=BB11_3 Depth=1
	ds_load_b32 v23, v58 offset:8640
	ds_load_b32 v25, v53 offset:8324
	s_wait_dscnt 0x0
	v_fmac_f32_e32 v22, v23, v25
.LBB11_848:                             ;   in Loop: Header=BB11_3 Depth=1
	s_or_b32 exec_lo, exec_lo, s1
	s_delay_alu instid0(SALU_CYCLE_1) | instskip(SKIP_2) | instid1(SALU_CYCLE_1)
	s_mov_b32 s1, exec_lo
	v_readlane_b32 s50, v89, 27
	s_and_b32 s50, s1, s50
	s_mov_b32 exec_lo, s50
	s_cbranch_execz .LBB11_850
; %bb.849:                              ;   in Loop: Header=BB11_3 Depth=1
	ds_load_b32 v23, v58 offset:8896
	ds_load_b32 v25, v53 offset:8328
	s_wait_dscnt 0x0
	v_fmac_f32_e32 v22, v23, v25
.LBB11_850:                             ;   in Loop: Header=BB11_3 Depth=1
	s_or_b32 exec_lo, exec_lo, s1
	s_delay_alu instid0(SALU_CYCLE_1) | instskip(SKIP_2) | instid1(SALU_CYCLE_1)
	s_mov_b32 s1, exec_lo
	v_readlane_b32 s50, v89, 28
	s_and_b32 s50, s1, s50
	;; [unrolled: 13-line block ×10, first 2 shown]
	s_mov_b32 exec_lo, s50
	s_cbranch_execnz .LBB11_1243
; %bb.867:                              ;   in Loop: Header=BB11_3 Depth=1
	s_or_b32 exec_lo, exec_lo, s1
	s_and_saveexec_b32 s1, s5
	s_cbranch_execnz .LBB11_1244
.LBB11_868:                             ;   in Loop: Header=BB11_3 Depth=1
	s_or_b32 exec_lo, exec_lo, s1
	s_and_saveexec_b32 s1, s22
	s_cbranch_execnz .LBB11_1245
.LBB11_869:                             ;   in Loop: Header=BB11_3 Depth=1
	s_or_b32 exec_lo, exec_lo, s1
	s_and_saveexec_b32 s1, s24
	s_cbranch_execnz .LBB11_1246
.LBB11_870:                             ;   in Loop: Header=BB11_3 Depth=1
	s_or_b32 exec_lo, exec_lo, s1
	s_and_saveexec_b32 s1, s4
	s_cbranch_execz .LBB11_872
.LBB11_871:                             ;   in Loop: Header=BB11_3 Depth=1
	ds_load_b32 v23, v29 offset:12224
	ds_load_b32 v25, v5 offset:8380
	s_wait_dscnt 0x0
	v_fmac_f32_e32 v22, v23, v25
.LBB11_872:                             ;   in Loop: Header=BB11_3 Depth=1
	s_or_b32 exec_lo, exec_lo, s1
	s_delay_alu instid0(VALU_DEP_1)
	v_xor_b32_e32 v22, 0x80000000, v22
.LBB11_873:                             ;   in Loop: Header=BB11_3 Depth=1
	s_or_b32 exec_lo, exec_lo, s0
	s_delay_alu instid0(SALU_CYCLE_1) | instskip(SKIP_2) | instid1(SALU_CYCLE_1)
	s_mov_b32 s0, exec_lo
	v_readlane_b32 s1, v91, 6
	s_and_b32 s1, s0, s1
	s_mov_b32 exec_lo, s1
	s_cbranch_execz .LBB11_875
; %bb.874:                              ;   in Loop: Header=BB11_3 Depth=1
	ds_load_b32 v23, v5 offset:12480
	s_wait_dscnt 0x0
	v_mul_f32_e32 v22, v22, v23
	ds_store_b32 v56, v22
.LBB11_875:                             ;   in Loop: Header=BB11_3 Depth=1
	s_or_b32 exec_lo, exec_lo, s0
	s_wait_dscnt 0x0
	s_barrier_signal -1
	s_barrier_wait -1
	s_mov_b32 s0, exec_lo
	v_readlane_b32 s1, v91, 7
	s_and_b32 s1, s0, s1
	s_delay_alu instid0(SALU_CYCLE_1)
	s_mov_b32 exec_lo, s1
	s_cbranch_execz .LBB11_877
; %bb.876:                              ;   in Loop: Header=BB11_3 Depth=1
	ds_load_b32 v23, v55 offset:12480
	ds_load_b32 v25, v56
	s_wait_dscnt 0x0
	v_fmac_f32_e32 v22, v23, v25
.LBB11_877:                             ;   in Loop: Header=BB11_3 Depth=1
	s_or_b32 exec_lo, exec_lo, s0
	s_barrier_signal -1
	s_barrier_wait -1
	s_mov_b32 s0, exec_lo
	v_readlane_b32 s1, v91, 8
	s_and_b32 s1, s0, s1
	s_delay_alu instid0(SALU_CYCLE_1)
	s_mov_b32 exec_lo, s1
	s_cbranch_execz .LBB11_879
; %bb.878:                              ;   in Loop: Header=BB11_3 Depth=1
	ds_load_b32 v23, v5 offset:12740
	s_wait_dscnt 0x0
	v_mul_f32_e32 v22, v22, v23
	ds_store_b32 v56, v22
.LBB11_879:                             ;   in Loop: Header=BB11_3 Depth=1
	s_or_b32 exec_lo, exec_lo, s0
	s_wait_dscnt 0x0
	s_barrier_signal -1
	s_barrier_wait -1
	s_mov_b32 s0, exec_lo
	v_readlane_b32 s1, v91, 9
	s_and_b32 s1, s0, s1
	s_delay_alu instid0(SALU_CYCLE_1)
	s_mov_b32 exec_lo, s1
	s_cbranch_execz .LBB11_881
; %bb.880:                              ;   in Loop: Header=BB11_3 Depth=1
	ds_load_b32 v23, v55 offset:12736
	ds_load_b32 v25, v56
	s_wait_dscnt 0x0
	v_fmac_f32_e32 v22, v23, v25
.LBB11_881:                             ;   in Loop: Header=BB11_3 Depth=1
	s_or_b32 exec_lo, exec_lo, s0
	s_barrier_signal -1
	s_barrier_wait -1
	s_and_saveexec_b32 s0, s54
	s_cbranch_execz .LBB11_883
; %bb.882:                              ;   in Loop: Header=BB11_3 Depth=1
	ds_load_b32 v23, v5 offset:13000
	s_wait_dscnt 0x0
	v_mul_f32_e32 v22, v22, v23
	ds_store_b32 v56, v22
.LBB11_883:                             ;   in Loop: Header=BB11_3 Depth=1
	s_or_b32 exec_lo, exec_lo, s0
	s_wait_dscnt 0x0
	s_barrier_signal -1
	s_barrier_wait -1
	s_and_saveexec_b32 s0, s55
	s_cbranch_execz .LBB11_885
; %bb.884:                              ;   in Loop: Header=BB11_3 Depth=1
	ds_load_b32 v23, v55 offset:12992
	ds_load_b32 v25, v56
	s_wait_dscnt 0x0
	v_fmac_f32_e32 v22, v23, v25
.LBB11_885:                             ;   in Loop: Header=BB11_3 Depth=1
	s_or_b32 exec_lo, exec_lo, s0
	s_barrier_signal -1
	s_barrier_wait -1
	s_and_saveexec_b32 s0, s56
	s_cbranch_execz .LBB11_887
; %bb.886:                              ;   in Loop: Header=BB11_3 Depth=1
	ds_load_b32 v23, v5 offset:13260
	s_wait_dscnt 0x0
	v_mul_f32_e32 v22, v22, v23
	ds_store_b32 v56, v22
.LBB11_887:                             ;   in Loop: Header=BB11_3 Depth=1
	s_or_b32 exec_lo, exec_lo, s0
	s_wait_dscnt 0x0
	s_barrier_signal -1
	s_barrier_wait -1
	s_and_saveexec_b32 s0, s57
	;; [unrolled: 23-line block ×13, first 2 shown]
	s_cbranch_execz .LBB11_933
; %bb.932:                              ;   in Loop: Header=BB11_3 Depth=1
	ds_load_b32 v23, v5 offset:16124
	ds_load_b32 v25, v56
	s_wait_dscnt 0x0
	v_fmac_f32_e32 v22, v23, v25
.LBB11_933:                             ;   in Loop: Header=BB11_3 Depth=1
	s_or_b32 exec_lo, exec_lo, s0
	s_barrier_signal -1
	s_barrier_wait -1
	s_and_saveexec_b32 s0, s88
	s_cbranch_execz .LBB11_935
; %bb.934:                              ;   in Loop: Header=BB11_3 Depth=1
	ds_load_b32 v23, v5 offset:16380
	s_wait_dscnt 0x0
	v_mul_f32_e32 v22, v22, v23
	ds_store_b32 v56, v22
.LBB11_935:                             ;   in Loop: Header=BB11_3 Depth=1
	s_or_b32 exec_lo, exec_lo, s0
	s_wait_dscnt 0x0
	s_barrier_signal -1
	s_barrier_wait -1
	s_barrier_signal -1
	s_barrier_wait -1
	s_and_saveexec_b32 s0, s6
; %bb.936:                              ;   in Loop: Header=BB11_3 Depth=1
	v_xor_b32_e32 v22, 0x80000000, v22
	ds_store_b32 v57, v22 offset:8384
; %bb.937:                              ;   in Loop: Header=BB11_3 Depth=1
	s_or_b32 exec_lo, exec_lo, s0
	s_wait_dscnt 0x0
	s_barrier_signal -1
	s_barrier_wait -1
	s_barrier_signal -1
	s_barrier_wait -1
	s_and_saveexec_b32 s0, s91
	s_cbranch_execz .LBB11_939
; %bb.938:                              ;   in Loop: Header=BB11_3 Depth=1
	ds_load_b32 v22, v33 offset:8384
	s_wait_dscnt 0x0
	ds_store_b32 v37, v22 offset:12416
	ds_load_b32 v22, v33 offset:8388
	s_wait_dscnt 0x0
	ds_store_b32 v37, v22 offset:12672
	;; [unrolled: 3-line block ×16, first 2 shown]
.LBB11_939:                             ;   in Loop: Header=BB11_3 Depth=1
	s_or_b32 exec_lo, exec_lo, s0
	s_wait_dscnt 0x0
	s_barrier_signal -1
	s_barrier_wait -1
	s_and_saveexec_b32 s0, s17
	s_cbranch_execz .LBB11_941
; %bb.940:                              ;   in Loop: Header=BB11_3 Depth=1
	ds_load_b64 v[22:23], v5 offset:12480
	ds_load_b32 v25, v5 offset:12740
	s_wait_dscnt 0x0
	v_mul_f32_e32 v22, v22, v25
	s_delay_alu instid0(VALU_DEP_1)
	v_mul_f32_e32 v22, v23, v22
	v_add_nc_u32_e64 v23, 0x3000, 0
	ds_store_2addr_b32 v23, v22, v22 offset0:49 offset1:112
.LBB11_941:                             ;   in Loop: Header=BB11_3 Depth=1
	s_or_b32 exec_lo, exec_lo, s0
	v_mov_b32_e32 v22, 0
	s_wait_dscnt 0x0
	s_barrier_signal -1
	s_barrier_wait -1
	s_and_saveexec_b32 s0, s2
	s_cbranch_execz .LBB11_945
; %bb.942:                              ;   in Loop: Header=BB11_3 Depth=1
	ds_load_b32 v22, v27 offset:12488
	ds_load_b32 v23, v28 offset:12480
	s_wait_dscnt 0x0
	v_fma_f32 v22, v22, v23, 0
	s_and_saveexec_b32 s1, s18
	s_cbranch_execz .LBB11_944
; %bb.943:                              ;   in Loop: Header=BB11_3 Depth=1
	ds_load_b32 v23, v29 offset:12744
	ds_load_b32 v25, v5 offset:12484
	s_wait_dscnt 0x0
	v_fmac_f32_e32 v22, v23, v25
.LBB11_944:                             ;   in Loop: Header=BB11_3 Depth=1
	s_or_b32 exec_lo, exec_lo, s1
	s_delay_alu instid0(VALU_DEP_1)
	v_xor_b32_e32 v22, 0x80000000, v22
.LBB11_945:                             ;   in Loop: Header=BB11_3 Depth=1
	s_or_b32 exec_lo, exec_lo, s0
	s_and_saveexec_b32 s0, s93
	s_cbranch_execz .LBB11_947
; %bb.946:                              ;   in Loop: Header=BB11_3 Depth=1
	ds_load_b32 v23, v5 offset:13000
	s_wait_dscnt 0x0
	v_mul_f32_e32 v22, v22, v23
	ds_store_b32 v3, v22
.LBB11_947:                             ;   in Loop: Header=BB11_3 Depth=1
	s_or_b32 exec_lo, exec_lo, s0
	s_wait_dscnt 0x0
	s_barrier_signal -1
	s_barrier_wait -1
	s_and_saveexec_b32 s0, s94
	s_cbranch_execz .LBB11_949
; %bb.948:                              ;   in Loop: Header=BB11_3 Depth=1
	ds_load_b32 v23, v5 offset:13004
	ds_load_b32 v25, v3
	s_wait_dscnt 0x0
	v_fmac_f32_e32 v22, v23, v25
.LBB11_949:                             ;   in Loop: Header=BB11_3 Depth=1
	s_or_b32 exec_lo, exec_lo, s0
	s_barrier_signal -1
	s_barrier_wait -1
	s_and_saveexec_b32 s0, s94
	s_cbranch_execz .LBB11_951
; %bb.950:                              ;   in Loop: Header=BB11_3 Depth=1
	ds_load_b32 v23, v5 offset:13260
	s_wait_dscnt 0x0
	v_mul_f32_e32 v22, v22, v23
	ds_store_b32 v3, v22
.LBB11_951:                             ;   in Loop: Header=BB11_3 Depth=1
	s_or_b32 exec_lo, exec_lo, s0
	s_wait_dscnt 0x0
	s_barrier_signal -1
	s_barrier_wait -1
	s_barrier_signal -1
	s_barrier_wait -1
	s_and_saveexec_b32 s0, s2
; %bb.952:                              ;   in Loop: Header=BB11_3 Depth=1
	v_xor_b32_e32 v22, 0x80000000, v22
	ds_store_b32 v27, v22 offset:12488
; %bb.953:                              ;   in Loop: Header=BB11_3 Depth=1
	s_or_b32 exec_lo, exec_lo, s0
	s_wait_dscnt 0x0
	s_barrier_signal -1
	s_barrier_wait -1
	s_barrier_signal -1
	s_barrier_wait -1
	s_and_saveexec_b32 s0, s95
	s_cbranch_execz .LBB11_955
; %bb.954:                              ;   in Loop: Header=BB11_3 Depth=1
	ds_load_b32 v22, v33 offset:12488
	s_wait_dscnt 0x0
	ds_store_b32 v29, v22 offset:12992
	ds_load_b32 v22, v33 offset:12492
	s_wait_dscnt 0x0
	ds_store_b32 v29, v22 offset:13248
.LBB11_955:                             ;   in Loop: Header=BB11_3 Depth=1
	s_or_b32 exec_lo, exec_lo, s0
	s_wait_dscnt 0x0
	s_barrier_signal -1
	s_barrier_wait -1
	s_and_saveexec_b32 s0, s17
	s_cbranch_execz .LBB11_957
; %bb.956:                              ;   in Loop: Header=BB11_3 Depth=1
	ds_load_b64 v[22:23], v5 offset:13000
	ds_load_b32 v25, v5 offset:13260
	s_wait_dscnt 0x0
	v_mul_f32_e32 v22, v22, v25
	s_delay_alu instid0(VALU_DEP_1)
	v_mul_f32_e32 v22, v23, v22
	v_add_nc_u32_e64 v23, 0x3000, 0
	ds_store_2addr_b32 v23, v22, v22 offset0:179 offset1:242
.LBB11_957:                             ;   in Loop: Header=BB11_3 Depth=1
	s_or_b32 exec_lo, exec_lo, s0
	v_mov_b32_e32 v22, 0
	s_wait_dscnt 0x0
	s_barrier_signal -1
	s_barrier_wait -1
	s_and_saveexec_b32 s0, s4
	s_cbranch_execz .LBB11_963
; %bb.958:                              ;   in Loop: Header=BB11_3 Depth=1
	ds_load_b32 v22, v35 offset:12496
	ds_load_b32 v23, v30 offset:12480
	s_wait_dscnt 0x0
	v_fma_f32 v22, v22, v23, 0
	s_and_saveexec_b32 s1, s19
	s_cbranch_execnz .LBB11_1247
; %bb.959:                              ;   in Loop: Header=BB11_3 Depth=1
	s_or_b32 exec_lo, exec_lo, s1
	s_and_saveexec_b32 s1, s20
	s_cbranch_execnz .LBB11_1248
.LBB11_960:                             ;   in Loop: Header=BB11_3 Depth=1
	s_or_b32 exec_lo, exec_lo, s1
	s_and_saveexec_b32 s1, s2
	s_cbranch_execz .LBB11_962
.LBB11_961:                             ;   in Loop: Header=BB11_3 Depth=1
	ds_load_b32 v23, v37 offset:13264
	ds_load_b32 v25, v5 offset:12492
	s_wait_dscnt 0x0
	v_fmac_f32_e32 v22, v23, v25
.LBB11_962:                             ;   in Loop: Header=BB11_3 Depth=1
	s_or_b32 exec_lo, exec_lo, s1
	s_delay_alu instid0(VALU_DEP_1)
	v_xor_b32_e32 v22, 0x80000000, v22
.LBB11_963:                             ;   in Loop: Header=BB11_3 Depth=1
	s_or_b32 exec_lo, exec_lo, s0
	s_and_saveexec_b32 s0, s96
	s_cbranch_execz .LBB11_965
; %bb.964:                              ;   in Loop: Header=BB11_3 Depth=1
	ds_load_b32 v23, v5 offset:13520
	s_wait_dscnt 0x0
	v_mul_f32_e32 v22, v22, v23
	ds_store_b32 v34, v22
.LBB11_965:                             ;   in Loop: Header=BB11_3 Depth=1
	s_or_b32 exec_lo, exec_lo, s0
	s_wait_dscnt 0x0
	s_barrier_signal -1
	s_barrier_wait -1
	s_and_saveexec_b32 s0, s97
	s_cbranch_execz .LBB11_967
; %bb.966:                              ;   in Loop: Header=BB11_3 Depth=1
	ds_load_b32 v23, v32 offset:13520
	ds_load_b32 v25, v34
	s_wait_dscnt 0x0
	v_fmac_f32_e32 v22, v23, v25
.LBB11_967:                             ;   in Loop: Header=BB11_3 Depth=1
	s_or_b32 exec_lo, exec_lo, s0
	s_barrier_signal -1
	s_barrier_wait -1
	s_and_saveexec_b32 s0, s98
	s_cbranch_execz .LBB11_969
; %bb.968:                              ;   in Loop: Header=BB11_3 Depth=1
	ds_load_b32 v23, v5 offset:13780
	s_wait_dscnt 0x0
	v_mul_f32_e32 v22, v22, v23
	ds_store_b32 v34, v22
.LBB11_969:                             ;   in Loop: Header=BB11_3 Depth=1
	s_or_b32 exec_lo, exec_lo, s0
	s_wait_dscnt 0x0
	s_barrier_signal -1
	s_barrier_wait -1
	s_and_saveexec_b32 s0, s99
	s_cbranch_execz .LBB11_971
; %bb.970:                              ;   in Loop: Header=BB11_3 Depth=1
	ds_load_b32 v23, v32 offset:13776
	ds_load_b32 v25, v34
	s_wait_dscnt 0x0
	v_fmac_f32_e32 v22, v23, v25
.LBB11_971:                             ;   in Loop: Header=BB11_3 Depth=1
	s_or_b32 exec_lo, exec_lo, s0
	s_barrier_signal -1
	s_barrier_wait -1
	s_and_saveexec_b32 s0, s100
	s_cbranch_execz .LBB11_973
; %bb.972:                              ;   in Loop: Header=BB11_3 Depth=1
	ds_load_b32 v23, v5 offset:14040
	s_wait_dscnt 0x0
	v_mul_f32_e32 v22, v22, v23
	ds_store_b32 v34, v22
.LBB11_973:                             ;   in Loop: Header=BB11_3 Depth=1
	s_or_b32 exec_lo, exec_lo, s0
	s_wait_dscnt 0x0
	s_barrier_signal -1
	s_barrier_wait -1
	s_and_saveexec_b32 s0, s101
	s_cbranch_execz .LBB11_975
; %bb.974:                              ;   in Loop: Header=BB11_3 Depth=1
	ds_load_b32 v23, v5 offset:14044
	ds_load_b32 v25, v34
	s_wait_dscnt 0x0
	v_fmac_f32_e32 v22, v23, v25
.LBB11_975:                             ;   in Loop: Header=BB11_3 Depth=1
	s_or_b32 exec_lo, exec_lo, s0
	s_barrier_signal -1
	s_barrier_wait -1
	s_and_saveexec_b32 s0, s101
	s_cbranch_execz .LBB11_977
; %bb.976:                              ;   in Loop: Header=BB11_3 Depth=1
	ds_load_b32 v23, v5 offset:14300
	s_wait_dscnt 0x0
	v_mul_f32_e32 v22, v22, v23
	ds_store_b32 v34, v22
.LBB11_977:                             ;   in Loop: Header=BB11_3 Depth=1
	s_or_b32 exec_lo, exec_lo, s0
	s_wait_dscnt 0x0
	s_barrier_signal -1
	s_barrier_wait -1
	s_barrier_signal -1
	s_barrier_wait -1
	s_and_saveexec_b32 s0, s4
; %bb.978:                              ;   in Loop: Header=BB11_3 Depth=1
	v_xor_b32_e32 v22, 0x80000000, v22
	ds_store_b32 v35, v22 offset:12496
; %bb.979:                              ;   in Loop: Header=BB11_3 Depth=1
	s_or_b32 exec_lo, exec_lo, s0
	s_wait_dscnt 0x0
	s_barrier_signal -1
	s_barrier_wait -1
	s_barrier_signal -1
	s_barrier_wait -1
	s_and_saveexec_b32 s0, s102
	s_cbranch_execz .LBB11_981
; %bb.980:                              ;   in Loop: Header=BB11_3 Depth=1
	ds_load_b32 v22, v38 offset:12496
	s_wait_dscnt 0x0
	ds_store_b32 v40, v22 offset:13504
	ds_load_b32 v22, v38 offset:12500
	s_wait_dscnt 0x0
	ds_store_b32 v40, v22 offset:13760
	;; [unrolled: 3-line block ×4, first 2 shown]
.LBB11_981:                             ;   in Loop: Header=BB11_3 Depth=1
	s_or_b32 exec_lo, exec_lo, s0
	s_wait_dscnt 0x0
	s_barrier_signal -1
	s_barrier_wait -1
	s_and_saveexec_b32 s0, s17
	s_cbranch_execz .LBB11_983
; %bb.982:                              ;   in Loop: Header=BB11_3 Depth=1
	ds_load_b64 v[22:23], v5 offset:13520
	ds_load_b32 v25, v5 offset:13780
	s_wait_dscnt 0x0
	v_mul_f32_e32 v22, v22, v25
	s_delay_alu instid0(VALU_DEP_1)
	v_mul_f32_e32 v22, v23, v22
	v_add_nc_u32_e64 v23, 0x3400, 0
	ds_store_2addr_b32 v23, v22, v22 offset0:53 offset1:116
.LBB11_983:                             ;   in Loop: Header=BB11_3 Depth=1
	s_or_b32 exec_lo, exec_lo, s0
	v_mov_b32_e32 v22, 0
	s_wait_dscnt 0x0
	s_barrier_signal -1
	s_barrier_wait -1
	s_and_saveexec_b32 s0, s2
	s_cbranch_execz .LBB11_987
; %bb.984:                              ;   in Loop: Header=BB11_3 Depth=1
	ds_load_b32 v22, v27 offset:13528
	ds_load_b32 v23, v28 offset:13520
	s_wait_dscnt 0x0
	v_fma_f32 v22, v22, v23, 0
	s_and_saveexec_b32 s1, s18
	s_cbranch_execz .LBB11_986
; %bb.985:                              ;   in Loop: Header=BB11_3 Depth=1
	ds_load_b32 v23, v40 offset:13784
	ds_load_b32 v25, v5 offset:13524
	s_wait_dscnt 0x0
	v_fmac_f32_e32 v22, v23, v25
.LBB11_986:                             ;   in Loop: Header=BB11_3 Depth=1
	s_or_b32 exec_lo, exec_lo, s1
	s_delay_alu instid0(VALU_DEP_1)
	v_xor_b32_e32 v22, 0x80000000, v22
.LBB11_987:                             ;   in Loop: Header=BB11_3 Depth=1
	s_or_b32 exec_lo, exec_lo, s0
	s_and_saveexec_b32 s0, s93
	s_cbranch_execz .LBB11_989
; %bb.988:                              ;   in Loop: Header=BB11_3 Depth=1
	ds_load_b32 v23, v5 offset:14040
	s_wait_dscnt 0x0
	v_mul_f32_e32 v22, v22, v23
	ds_store_b32 v3, v22
.LBB11_989:                             ;   in Loop: Header=BB11_3 Depth=1
	s_or_b32 exec_lo, exec_lo, s0
	s_wait_dscnt 0x0
	s_barrier_signal -1
	s_barrier_wait -1
	s_and_saveexec_b32 s0, s94
	s_cbranch_execz .LBB11_991
; %bb.990:                              ;   in Loop: Header=BB11_3 Depth=1
	ds_load_b32 v23, v5 offset:14044
	ds_load_b32 v25, v3
	s_wait_dscnt 0x0
	v_fmac_f32_e32 v22, v23, v25
.LBB11_991:                             ;   in Loop: Header=BB11_3 Depth=1
	s_or_b32 exec_lo, exec_lo, s0
	s_barrier_signal -1
	s_barrier_wait -1
	s_and_saveexec_b32 s0, s94
	s_cbranch_execz .LBB11_993
; %bb.992:                              ;   in Loop: Header=BB11_3 Depth=1
	ds_load_b32 v23, v5 offset:14300
	s_wait_dscnt 0x0
	v_mul_f32_e32 v22, v22, v23
	ds_store_b32 v3, v22
.LBB11_993:                             ;   in Loop: Header=BB11_3 Depth=1
	s_or_b32 exec_lo, exec_lo, s0
	s_wait_dscnt 0x0
	s_barrier_signal -1
	s_barrier_wait -1
	s_barrier_signal -1
	s_barrier_wait -1
	s_and_saveexec_b32 s0, s2
; %bb.994:                              ;   in Loop: Header=BB11_3 Depth=1
	v_xor_b32_e32 v22, 0x80000000, v22
	ds_store_b32 v27, v22 offset:13528
; %bb.995:                              ;   in Loop: Header=BB11_3 Depth=1
	s_or_b32 exec_lo, exec_lo, s0
	s_wait_dscnt 0x0
	s_barrier_signal -1
	s_barrier_wait -1
	s_barrier_signal -1
	s_barrier_wait -1
	s_and_saveexec_b32 s0, s95
	s_cbranch_execz .LBB11_997
; %bb.996:                              ;   in Loop: Header=BB11_3 Depth=1
	ds_load_b32 v22, v42 offset:13528
	s_wait_dscnt 0x0
	ds_store_b32 v40, v22 offset:14032
	ds_load_b32 v22, v42 offset:13532
	s_wait_dscnt 0x0
	ds_store_b32 v40, v22 offset:14288
.LBB11_997:                             ;   in Loop: Header=BB11_3 Depth=1
	s_or_b32 exec_lo, exec_lo, s0
	s_wait_dscnt 0x0
	s_barrier_signal -1
	s_barrier_wait -1
	s_and_saveexec_b32 s0, s17
	s_cbranch_execz .LBB11_999
; %bb.998:                              ;   in Loop: Header=BB11_3 Depth=1
	ds_load_b64 v[22:23], v5 offset:14040
	ds_load_b32 v25, v5 offset:14300
	s_wait_dscnt 0x0
	v_mul_f32_e32 v22, v22, v25
	s_delay_alu instid0(VALU_DEP_1)
	v_mul_f32_e32 v22, v23, v22
	v_add_nc_u32_e64 v23, 0x3400, 0
	ds_store_2addr_b32 v23, v22, v22 offset0:183 offset1:246
.LBB11_999:                             ;   in Loop: Header=BB11_3 Depth=1
	s_or_b32 exec_lo, exec_lo, s0
	v_mov_b32_e32 v22, 0
	s_wait_dscnt 0x0
	s_barrier_signal -1
	s_barrier_wait -1
	s_and_saveexec_b32 s0, s5
	s_cbranch_execz .LBB11_1009
; %bb.1000:                             ;   in Loop: Header=BB11_3 Depth=1
	ds_load_b32 v22, v44 offset:12512
	ds_load_b32 v23, v39 offset:12480
	s_wait_dscnt 0x0
	v_fma_f32 v22, v22, v23, 0
	s_and_saveexec_b32 s1, s21
	s_cbranch_execnz .LBB11_1249
; %bb.1001:                             ;   in Loop: Header=BB11_3 Depth=1
	s_or_b32 exec_lo, exec_lo, s1
	s_and_saveexec_b32 s1, s22
	s_cbranch_execnz .LBB11_1250
.LBB11_1002:                            ;   in Loop: Header=BB11_3 Depth=1
	s_or_b32 exec_lo, exec_lo, s1
	s_and_saveexec_b32 s1, s23
	s_cbranch_execnz .LBB11_1251
.LBB11_1003:                            ;   in Loop: Header=BB11_3 Depth=1
	s_or_b32 exec_lo, exec_lo, s1
	s_and_saveexec_b32 s1, s24
	s_cbranch_execnz .LBB11_1252
.LBB11_1004:                            ;   in Loop: Header=BB11_3 Depth=1
	s_or_b32 exec_lo, exec_lo, s1
	s_and_saveexec_b32 s1, s25
	s_cbranch_execnz .LBB11_1253
.LBB11_1005:                            ;   in Loop: Header=BB11_3 Depth=1
	s_or_b32 exec_lo, exec_lo, s1
	s_and_saveexec_b32 s1, s4
	s_cbranch_execnz .LBB11_1254
.LBB11_1006:                            ;   in Loop: Header=BB11_3 Depth=1
	s_or_b32 exec_lo, exec_lo, s1
	s_and_saveexec_b32 s1, s20
	s_cbranch_execz .LBB11_1008
.LBB11_1007:                            ;   in Loop: Header=BB11_3 Depth=1
	ds_load_b32 v23, v46 offset:14304
	ds_load_b32 v25, v5 offset:12508
	s_wait_dscnt 0x0
	v_fmac_f32_e32 v22, v23, v25
.LBB11_1008:                            ;   in Loop: Header=BB11_3 Depth=1
	s_or_b32 exec_lo, exec_lo, s1
	s_delay_alu instid0(VALU_DEP_1)
	v_xor_b32_e32 v22, 0x80000000, v22
.LBB11_1009:                            ;   in Loop: Header=BB11_3 Depth=1
	s_or_b32 exec_lo, exec_lo, s0
	s_and_saveexec_b32 s0, s103
	s_cbranch_execz .LBB11_1011
; %bb.1010:                             ;   in Loop: Header=BB11_3 Depth=1
	ds_load_b32 v23, v5 offset:14560
	s_wait_dscnt 0x0
	v_mul_f32_e32 v22, v22, v23
	ds_store_b32 v43, v22
.LBB11_1011:                            ;   in Loop: Header=BB11_3 Depth=1
	s_or_b32 exec_lo, exec_lo, s0
	s_wait_dscnt 0x0
	s_barrier_signal -1
	s_barrier_wait -1
	s_and_saveexec_b32 s0, s104
	s_cbranch_execz .LBB11_1013
; %bb.1012:                             ;   in Loop: Header=BB11_3 Depth=1
	ds_load_b32 v23, v41 offset:14560
	ds_load_b32 v25, v43
	s_wait_dscnt 0x0
	v_fmac_f32_e32 v22, v23, v25
.LBB11_1013:                            ;   in Loop: Header=BB11_3 Depth=1
	s_or_b32 exec_lo, exec_lo, s0
	s_barrier_signal -1
	s_barrier_wait -1
	s_and_saveexec_b32 s0, vcc_hi
	s_cbranch_execz .LBB11_1015
; %bb.1014:                             ;   in Loop: Header=BB11_3 Depth=1
	ds_load_b32 v23, v5 offset:14820
	s_wait_dscnt 0x0
	v_mul_f32_e32 v22, v22, v23
	ds_store_b32 v43, v22
.LBB11_1015:                            ;   in Loop: Header=BB11_3 Depth=1
	s_or_b32 exec_lo, exec_lo, s0
	s_wait_dscnt 0x0
	s_barrier_signal -1
	s_barrier_wait -1
	s_and_saveexec_b32 s0, s38
	s_cbranch_execz .LBB11_1017
; %bb.1016:                             ;   in Loop: Header=BB11_3 Depth=1
	ds_load_b32 v23, v41 offset:14816
	ds_load_b32 v25, v43
	s_wait_dscnt 0x0
	v_fmac_f32_e32 v22, v23, v25
.LBB11_1017:                            ;   in Loop: Header=BB11_3 Depth=1
	s_or_b32 exec_lo, exec_lo, s0
	s_barrier_signal -1
	s_barrier_wait -1
	s_and_saveexec_b32 s0, s39
	s_cbranch_execz .LBB11_1019
; %bb.1018:                             ;   in Loop: Header=BB11_3 Depth=1
	ds_load_b32 v23, v5 offset:15080
	s_wait_dscnt 0x0
	v_mul_f32_e32 v22, v22, v23
	ds_store_b32 v43, v22
.LBB11_1019:                            ;   in Loop: Header=BB11_3 Depth=1
	s_or_b32 exec_lo, exec_lo, s0
	s_wait_dscnt 0x0
	s_barrier_signal -1
	s_barrier_wait -1
	s_and_saveexec_b32 s0, s40
	s_cbranch_execz .LBB11_1021
; %bb.1020:                             ;   in Loop: Header=BB11_3 Depth=1
	ds_load_b32 v23, v41 offset:15072
	ds_load_b32 v25, v43
	s_wait_dscnt 0x0
	v_fmac_f32_e32 v22, v23, v25
.LBB11_1021:                            ;   in Loop: Header=BB11_3 Depth=1
	s_or_b32 exec_lo, exec_lo, s0
	s_barrier_signal -1
	s_barrier_wait -1
	s_and_saveexec_b32 s0, s41
	;; [unrolled: 23-line block ×6, first 2 shown]
	s_cbranch_execz .LBB11_1039
; %bb.1038:                             ;   in Loop: Header=BB11_3 Depth=1
	ds_load_b32 v23, v5 offset:16380
	s_wait_dscnt 0x0
	v_mul_f32_e32 v22, v22, v23
	ds_store_b32 v43, v22
.LBB11_1039:                            ;   in Loop: Header=BB11_3 Depth=1
	s_or_b32 exec_lo, exec_lo, s0
	s_wait_dscnt 0x0
	s_barrier_signal -1
	s_barrier_wait -1
	s_barrier_signal -1
	s_barrier_wait -1
	s_and_saveexec_b32 s0, s5
; %bb.1040:                             ;   in Loop: Header=BB11_3 Depth=1
	v_xor_b32_e32 v22, 0x80000000, v22
	ds_store_b32 v44, v22 offset:12512
; %bb.1041:                             ;   in Loop: Header=BB11_3 Depth=1
	s_or_b32 exec_lo, exec_lo, s0
	s_wait_dscnt 0x0
	s_barrier_signal -1
	s_barrier_wait -1
	s_barrier_signal -1
	s_barrier_wait -1
	s_and_saveexec_b32 s0, s49
	s_cbranch_execz .LBB11_1043
; %bb.1042:                             ;   in Loop: Header=BB11_3 Depth=1
	ds_load_b32 v22, v47 offset:12512
	s_wait_dscnt 0x0
	ds_store_b32 v48, v22 offset:14528
	ds_load_b32 v22, v47 offset:12516
	s_wait_dscnt 0x0
	ds_store_b32 v48, v22 offset:14784
	;; [unrolled: 3-line block ×8, first 2 shown]
.LBB11_1043:                            ;   in Loop: Header=BB11_3 Depth=1
	s_or_b32 exec_lo, exec_lo, s0
	s_wait_dscnt 0x0
	s_barrier_signal -1
	s_barrier_wait -1
	s_and_saveexec_b32 s0, s17
	s_cbranch_execz .LBB11_1045
; %bb.1044:                             ;   in Loop: Header=BB11_3 Depth=1
	ds_load_b64 v[22:23], v5 offset:14560
	ds_load_b32 v25, v5 offset:14820
	s_wait_dscnt 0x0
	v_mul_f32_e32 v22, v22, v25
	s_delay_alu instid0(VALU_DEP_1)
	v_mul_f32_e32 v22, v23, v22
	v_add_nc_u32_e64 v23, 0x3800, 0
	ds_store_2addr_b32 v23, v22, v22 offset0:57 offset1:120
.LBB11_1045:                            ;   in Loop: Header=BB11_3 Depth=1
	s_or_b32 exec_lo, exec_lo, s0
	v_mov_b32_e32 v22, 0
	s_wait_dscnt 0x0
	s_barrier_signal -1
	s_barrier_wait -1
	s_and_saveexec_b32 s0, s2
	s_cbranch_execz .LBB11_1049
; %bb.1046:                             ;   in Loop: Header=BB11_3 Depth=1
	ds_load_b32 v22, v27 offset:14568
	ds_load_b32 v23, v28 offset:14560
	s_wait_dscnt 0x0
	v_fma_f32 v22, v22, v23, 0
	s_and_saveexec_b32 s1, s18
	s_cbranch_execz .LBB11_1048
; %bb.1047:                             ;   in Loop: Header=BB11_3 Depth=1
	ds_load_b32 v23, v48 offset:14824
	ds_load_b32 v25, v5 offset:14564
	s_wait_dscnt 0x0
	v_fmac_f32_e32 v22, v23, v25
.LBB11_1048:                            ;   in Loop: Header=BB11_3 Depth=1
	s_or_b32 exec_lo, exec_lo, s1
	s_delay_alu instid0(VALU_DEP_1)
	v_xor_b32_e32 v22, 0x80000000, v22
.LBB11_1049:                            ;   in Loop: Header=BB11_3 Depth=1
	s_or_b32 exec_lo, exec_lo, s0
	s_and_saveexec_b32 s0, s93
	s_cbranch_execz .LBB11_1051
; %bb.1050:                             ;   in Loop: Header=BB11_3 Depth=1
	ds_load_b32 v23, v5 offset:15080
	s_wait_dscnt 0x0
	v_mul_f32_e32 v22, v22, v23
	ds_store_b32 v3, v22
.LBB11_1051:                            ;   in Loop: Header=BB11_3 Depth=1
	s_or_b32 exec_lo, exec_lo, s0
	s_wait_dscnt 0x0
	s_barrier_signal -1
	s_barrier_wait -1
	s_and_saveexec_b32 s0, s94
	s_cbranch_execz .LBB11_1053
; %bb.1052:                             ;   in Loop: Header=BB11_3 Depth=1
	ds_load_b32 v23, v5 offset:15084
	ds_load_b32 v25, v3
	s_wait_dscnt 0x0
	v_fmac_f32_e32 v22, v23, v25
.LBB11_1053:                            ;   in Loop: Header=BB11_3 Depth=1
	s_or_b32 exec_lo, exec_lo, s0
	s_barrier_signal -1
	s_barrier_wait -1
	s_and_saveexec_b32 s0, s94
	s_cbranch_execz .LBB11_1055
; %bb.1054:                             ;   in Loop: Header=BB11_3 Depth=1
	ds_load_b32 v23, v5 offset:15340
	s_wait_dscnt 0x0
	v_mul_f32_e32 v22, v22, v23
	ds_store_b32 v3, v22
.LBB11_1055:                            ;   in Loop: Header=BB11_3 Depth=1
	s_or_b32 exec_lo, exec_lo, s0
	s_wait_dscnt 0x0
	s_barrier_signal -1
	s_barrier_wait -1
	s_barrier_signal -1
	s_barrier_wait -1
	s_and_saveexec_b32 s0, s2
; %bb.1056:                             ;   in Loop: Header=BB11_3 Depth=1
	v_xor_b32_e32 v22, 0x80000000, v22
	ds_store_b32 v27, v22 offset:14568
; %bb.1057:                             ;   in Loop: Header=BB11_3 Depth=1
	s_or_b32 exec_lo, exec_lo, s0
	s_wait_dscnt 0x0
	s_barrier_signal -1
	s_barrier_wait -1
	s_barrier_signal -1
	s_barrier_wait -1
	s_and_saveexec_b32 s0, s95
	s_cbranch_execz .LBB11_1059
; %bb.1058:                             ;   in Loop: Header=BB11_3 Depth=1
	ds_load_b32 v22, v49 offset:14568
	s_wait_dscnt 0x0
	ds_store_b32 v48, v22 offset:15072
	ds_load_b32 v22, v49 offset:14572
	s_wait_dscnt 0x0
	ds_store_b32 v48, v22 offset:15328
.LBB11_1059:                            ;   in Loop: Header=BB11_3 Depth=1
	s_or_b32 exec_lo, exec_lo, s0
	s_wait_dscnt 0x0
	s_barrier_signal -1
	s_barrier_wait -1
	s_and_saveexec_b32 s0, s17
	s_cbranch_execz .LBB11_1061
; %bb.1060:                             ;   in Loop: Header=BB11_3 Depth=1
	ds_load_b64 v[22:23], v5 offset:15080
	ds_load_b32 v25, v5 offset:15340
	s_wait_dscnt 0x0
	v_mul_f32_e32 v22, v22, v25
	s_delay_alu instid0(VALU_DEP_1)
	v_mul_f32_e32 v22, v23, v22
	v_add_nc_u32_e64 v23, 0x3800, 0
	ds_store_2addr_b32 v23, v22, v22 offset0:187 offset1:250
.LBB11_1061:                            ;   in Loop: Header=BB11_3 Depth=1
	s_or_b32 exec_lo, exec_lo, s0
	v_mov_b32_e32 v22, 0
	s_wait_dscnt 0x0
	s_barrier_signal -1
	s_barrier_wait -1
	s_and_saveexec_b32 s0, s4
	s_cbranch_execz .LBB11_1067
; %bb.1062:                             ;   in Loop: Header=BB11_3 Depth=1
	ds_load_b32 v22, v35 offset:14576
	ds_load_b32 v23, v30 offset:14560
	s_wait_dscnt 0x0
	v_fma_f32 v22, v22, v23, 0
	s_and_saveexec_b32 s1, s19
	s_cbranch_execnz .LBB11_1255
; %bb.1063:                             ;   in Loop: Header=BB11_3 Depth=1
	s_or_b32 exec_lo, exec_lo, s1
	s_and_saveexec_b32 s1, s20
	s_cbranch_execnz .LBB11_1256
.LBB11_1064:                            ;   in Loop: Header=BB11_3 Depth=1
	s_or_b32 exec_lo, exec_lo, s1
	s_and_saveexec_b32 s1, s2
	s_cbranch_execz .LBB11_1066
.LBB11_1065:                            ;   in Loop: Header=BB11_3 Depth=1
	ds_load_b32 v23, v50 offset:15344
	ds_load_b32 v25, v5 offset:14572
	s_wait_dscnt 0x0
	v_fmac_f32_e32 v22, v23, v25
.LBB11_1066:                            ;   in Loop: Header=BB11_3 Depth=1
	s_or_b32 exec_lo, exec_lo, s1
	s_delay_alu instid0(VALU_DEP_1)
	v_xor_b32_e32 v22, 0x80000000, v22
.LBB11_1067:                            ;   in Loop: Header=BB11_3 Depth=1
	s_or_b32 exec_lo, exec_lo, s0
	s_and_saveexec_b32 s0, s96
	s_cbranch_execz .LBB11_1069
; %bb.1068:                             ;   in Loop: Header=BB11_3 Depth=1
	ds_load_b32 v23, v5 offset:15600
	s_wait_dscnt 0x0
	v_mul_f32_e32 v22, v22, v23
	ds_store_b32 v34, v22
.LBB11_1069:                            ;   in Loop: Header=BB11_3 Depth=1
	s_or_b32 exec_lo, exec_lo, s0
	s_wait_dscnt 0x0
	s_barrier_signal -1
	s_barrier_wait -1
	s_and_saveexec_b32 s0, s97
	s_cbranch_execz .LBB11_1071
; %bb.1070:                             ;   in Loop: Header=BB11_3 Depth=1
	ds_load_b32 v23, v32 offset:15600
	ds_load_b32 v25, v34
	s_wait_dscnt 0x0
	v_fmac_f32_e32 v22, v23, v25
.LBB11_1071:                            ;   in Loop: Header=BB11_3 Depth=1
	s_or_b32 exec_lo, exec_lo, s0
	s_barrier_signal -1
	s_barrier_wait -1
	s_and_saveexec_b32 s0, s98
	s_cbranch_execz .LBB11_1073
; %bb.1072:                             ;   in Loop: Header=BB11_3 Depth=1
	ds_load_b32 v23, v5 offset:15860
	s_wait_dscnt 0x0
	v_mul_f32_e32 v22, v22, v23
	ds_store_b32 v34, v22
.LBB11_1073:                            ;   in Loop: Header=BB11_3 Depth=1
	s_or_b32 exec_lo, exec_lo, s0
	s_wait_dscnt 0x0
	s_barrier_signal -1
	s_barrier_wait -1
	s_and_saveexec_b32 s0, s99
	s_cbranch_execz .LBB11_1075
; %bb.1074:                             ;   in Loop: Header=BB11_3 Depth=1
	ds_load_b32 v23, v32 offset:15856
	ds_load_b32 v25, v34
	s_wait_dscnt 0x0
	v_fmac_f32_e32 v22, v23, v25
.LBB11_1075:                            ;   in Loop: Header=BB11_3 Depth=1
	s_or_b32 exec_lo, exec_lo, s0
	s_barrier_signal -1
	s_barrier_wait -1
	;; [unrolled: 23-line block ×3, first 2 shown]
	s_and_saveexec_b32 s0, s101
	s_cbranch_execz .LBB11_1081
; %bb.1080:                             ;   in Loop: Header=BB11_3 Depth=1
	ds_load_b32 v23, v5 offset:16380
	s_wait_dscnt 0x0
	v_mul_f32_e32 v22, v22, v23
	ds_store_b32 v34, v22
.LBB11_1081:                            ;   in Loop: Header=BB11_3 Depth=1
	s_or_b32 exec_lo, exec_lo, s0
	s_wait_dscnt 0x0
	s_barrier_signal -1
	s_barrier_wait -1
	s_barrier_signal -1
	s_barrier_wait -1
	s_and_saveexec_b32 s0, s4
; %bb.1082:                             ;   in Loop: Header=BB11_3 Depth=1
	v_xor_b32_e32 v22, 0x80000000, v22
	ds_store_b32 v35, v22 offset:14576
; %bb.1083:                             ;   in Loop: Header=BB11_3 Depth=1
	s_or_b32 exec_lo, exec_lo, s0
	s_wait_dscnt 0x0
	s_barrier_signal -1
	s_barrier_wait -1
	s_barrier_signal -1
	s_barrier_wait -1
	s_and_saveexec_b32 s0, s102
	s_cbranch_execz .LBB11_1085
; %bb.1084:                             ;   in Loop: Header=BB11_3 Depth=1
	ds_load_b32 v22, v51 offset:14576
	s_wait_dscnt 0x0
	ds_store_b32 v52, v22 offset:15584
	ds_load_b32 v22, v51 offset:14580
	s_wait_dscnt 0x0
	ds_store_b32 v52, v22 offset:15840
	;; [unrolled: 3-line block ×4, first 2 shown]
.LBB11_1085:                            ;   in Loop: Header=BB11_3 Depth=1
	s_or_b32 exec_lo, exec_lo, s0
	s_wait_dscnt 0x0
	s_barrier_signal -1
	s_barrier_wait -1
	s_and_saveexec_b32 s0, s17
	s_cbranch_execz .LBB11_1087
; %bb.1086:                             ;   in Loop: Header=BB11_3 Depth=1
	ds_load_b64 v[22:23], v5 offset:15600
	ds_load_b32 v25, v5 offset:15860
	s_wait_dscnt 0x0
	v_mul_f32_e32 v22, v22, v25
	s_delay_alu instid0(VALU_DEP_1)
	v_mul_f32_e32 v22, v23, v22
	v_add_nc_u32_e64 v23, 0x3c00, 0
	ds_store_2addr_b32 v23, v22, v22 offset0:61 offset1:124
.LBB11_1087:                            ;   in Loop: Header=BB11_3 Depth=1
	s_or_b32 exec_lo, exec_lo, s0
	v_mov_b32_e32 v22, 0
	s_wait_dscnt 0x0
	s_barrier_signal -1
	s_barrier_wait -1
	s_and_saveexec_b32 s0, s2
	s_cbranch_execz .LBB11_1091
; %bb.1088:                             ;   in Loop: Header=BB11_3 Depth=1
	ds_load_b32 v22, v27 offset:15608
	ds_load_b32 v23, v28 offset:15600
	s_wait_dscnt 0x0
	v_fma_f32 v22, v22, v23, 0
	s_and_saveexec_b32 s1, s18
	s_cbranch_execz .LBB11_1090
; %bb.1089:                             ;   in Loop: Header=BB11_3 Depth=1
	ds_load_b32 v23, v52 offset:15864
	ds_load_b32 v25, v5 offset:15604
	s_wait_dscnt 0x0
	v_fmac_f32_e32 v22, v23, v25
.LBB11_1090:                            ;   in Loop: Header=BB11_3 Depth=1
	s_or_b32 exec_lo, exec_lo, s1
	s_delay_alu instid0(VALU_DEP_1)
	v_xor_b32_e32 v22, 0x80000000, v22
.LBB11_1091:                            ;   in Loop: Header=BB11_3 Depth=1
	s_or_b32 exec_lo, exec_lo, s0
	s_and_saveexec_b32 s0, s93
	s_cbranch_execz .LBB11_1093
; %bb.1092:                             ;   in Loop: Header=BB11_3 Depth=1
	ds_load_b32 v23, v5 offset:16120
	s_wait_dscnt 0x0
	v_mul_f32_e32 v22, v22, v23
	ds_store_b32 v3, v22
.LBB11_1093:                            ;   in Loop: Header=BB11_3 Depth=1
	s_or_b32 exec_lo, exec_lo, s0
	s_wait_dscnt 0x0
	s_barrier_signal -1
	s_barrier_wait -1
	s_and_saveexec_b32 s0, s94
	s_cbranch_execz .LBB11_1095
; %bb.1094:                             ;   in Loop: Header=BB11_3 Depth=1
	ds_load_b32 v23, v5 offset:16124
	ds_load_b32 v25, v3
	s_wait_dscnt 0x0
	v_fmac_f32_e32 v22, v23, v25
.LBB11_1095:                            ;   in Loop: Header=BB11_3 Depth=1
	s_or_b32 exec_lo, exec_lo, s0
	s_barrier_signal -1
	s_barrier_wait -1
	s_and_saveexec_b32 s0, s94
	s_cbranch_execz .LBB11_1097
; %bb.1096:                             ;   in Loop: Header=BB11_3 Depth=1
	ds_load_b32 v23, v5 offset:16380
	s_wait_dscnt 0x0
	v_mul_f32_e32 v22, v22, v23
	ds_store_b32 v3, v22
.LBB11_1097:                            ;   in Loop: Header=BB11_3 Depth=1
	s_or_b32 exec_lo, exec_lo, s0
	s_wait_dscnt 0x0
	s_barrier_signal -1
	s_barrier_wait -1
	s_barrier_signal -1
	s_barrier_wait -1
	s_and_saveexec_b32 s0, s2
; %bb.1098:                             ;   in Loop: Header=BB11_3 Depth=1
	v_xor_b32_e32 v22, 0x80000000, v22
	ds_store_b32 v27, v22 offset:15608
; %bb.1099:                             ;   in Loop: Header=BB11_3 Depth=1
	s_or_b32 exec_lo, exec_lo, s0
	s_wait_dscnt 0x0
	s_barrier_signal -1
	s_barrier_wait -1
	s_barrier_signal -1
	s_barrier_wait -1
	s_and_saveexec_b32 s0, s95
	s_cbranch_execz .LBB11_1101
; %bb.1100:                             ;   in Loop: Header=BB11_3 Depth=1
	ds_load_b32 v22, v54 offset:15608
	s_wait_dscnt 0x0
	ds_store_b32 v52, v22 offset:16112
	ds_load_b32 v22, v54 offset:15612
	s_wait_dscnt 0x0
	ds_store_b32 v52, v22 offset:16368
.LBB11_1101:                            ;   in Loop: Header=BB11_3 Depth=1
	s_or_b32 exec_lo, exec_lo, s0
	s_wait_dscnt 0x0
	s_barrier_signal -1
	s_barrier_wait -1
	s_and_saveexec_b32 s0, s17
	s_cbranch_execz .LBB11_1103
; %bb.1102:                             ;   in Loop: Header=BB11_3 Depth=1
	ds_load_b64 v[22:23], v5 offset:16120
	ds_load_b32 v25, v5 offset:16380
	s_wait_dscnt 0x0
	v_mul_f32_e32 v22, v22, v25
	s_delay_alu instid0(VALU_DEP_1)
	v_mul_f32_e32 v22, v23, v22
	v_add_nc_u32_e64 v23, 0x3c00, 0
	ds_store_2addr_b32 v23, v22, v22 offset0:191 offset1:254
.LBB11_1103:                            ;   in Loop: Header=BB11_3 Depth=1
	s_or_b32 exec_lo, exec_lo, s0
.LBB11_1104:                            ;   in Loop: Header=BB11_3 Depth=1
	v_readlane_b32 s50, v91, 4
	v_readlane_b32 s51, v91, 5
	s_wait_kmcnt 0x0
	s_mul_u64 s[0:1], s[80:81], s[84:85]
	v_mov_b32_e32 v82, 0
	s_lshl_b64 s[0:1], s[0:1], 2
	s_wait_dscnt 0x0
	s_add_nc_u64 s[0:1], s[50:51], s[0:1]
	s_barrier_signal -1
	s_barrier_wait -1
	s_and_saveexec_b32 s50, s76
	s_cbranch_execz .LBB11_1106
; %bb.1105:                             ;   in Loop: Header=BB11_3 Depth=1
	v_lshl_add_u64 v[22:23], v[0:1], 2, s[0:1]
	global_load_b32 v22, v[22:23], off
	s_wait_loadcnt 0x0
	v_mul_f32_e64 v82, v22, -v24
.LBB11_1106:                            ;   in Loop: Header=BB11_3 Depth=1
	s_or_b32 exec_lo, exec_lo, s50
	s_delay_alu instid0(SALU_CYCLE_1)
	s_and_not1_b32 vcc_lo, exec_lo, s77
	s_cbranch_vccnz .LBB11_1132
; %bb.1107:                             ;   in Loop: Header=BB11_3 Depth=1
	v_mov_b32_e32 v83, -1
	s_lshl_b64 s[50:51], s[84:85], 2
	s_mov_b32 s75, 0
	s_add_nc_u64 s[68:69], s[82:83], s[50:51]
	s_branch .LBB11_1110
.LBB11_1108:                            ;   in Loop: Header=BB11_1110 Depth=2
	s_wait_xcnt 0x0
	ds_load_b32 v22, v66 offset:192
	s_wait_loadcnt_dscnt 0x0
	v_fmac_f32_e32 v82, v24, v22
.LBB11_1109:                            ;   in Loop: Header=BB11_1110 Depth=2
	s_or_b32 exec_lo, exec_lo, s50
	s_add_co_i32 s75, s75, 1
	s_delay_alu instid0(SALU_CYCLE_1)
	s_cmp_eq_u32 s75, s67
	s_cbranch_scc1 .LBB11_1132
.LBB11_1110:                            ;   Parent Loop BB11_3 Depth=1
                                        ; =>  This Loop Header: Depth=2
                                        ;       Child Loop BB11_1112 Depth 3
	v_cmp_gt_i32_e32 vcc_lo, s75, v83
	s_and_b32 s51, s61, vcc_lo
	s_delay_alu instid0(SALU_CYCLE_1)
	s_and_saveexec_b32 s50, s51
	s_cbranch_execz .LBB11_1113
; %bb.1111:                             ;   in Loop: Header=BB11_1110 Depth=2
	global_load_b32 v83, v5, s[68:69]
	s_wait_loadcnt 0x0
	v_cmp_le_i32_e32 vcc_lo, s75, v83
	s_cbranch_vccnz .LBB11_1113
.LBB11_1112:                            ;   Parent Loop BB11_3 Depth=1
                                        ;     Parent Loop BB11_1110 Depth=2
                                        ; =>    This Inner Loop Header: Depth=3
	global_wb scope:SCOPE_DEV
	s_wait_storecnt 0x0
	global_inv scope:SCOPE_DEV
	global_load_b32 v83, v5, s[68:69]
	s_wait_loadcnt 0x0
	v_cmp_gt_i32_e32 vcc_lo, s75, v83
	s_cbranch_vccnz .LBB11_1112
.LBB11_1113:                            ;   in Loop: Header=BB11_1110 Depth=2
	s_or_b32 exec_lo, exec_lo, s50
	s_sub_co_i32 s50, s89, s75
	global_wb scope:SCOPE_DEV
	s_wait_storecnt 0x0
	global_inv scope:SCOPE_DEV
	s_lshl_b32 s51, s50, 6
	s_wait_loadcnt 0x0
	s_barrier_signal -1
	s_barrier_wait -1
	s_and_saveexec_b32 s52, s62
	s_cbranch_execz .LBB11_1117
; %bb.1114:                             ;   in Loop: Header=BB11_1110 Depth=2
	s_ashr_i32 s53, s51, 31
	s_delay_alu instid0(SALU_CYCLE_1) | instskip(SKIP_2) | instid1(VALU_DEP_1)
	v_dual_mov_b32 v24, 0 :: v_dual_mov_b32 v23, s53
	v_or_b32_e32 v22, s51, v4
	s_mov_b32 s53, exec_lo
	v_cmpx_gt_i64_e64 s[86:87], v[22:23]
	s_cbranch_execz .LBB11_1116
; %bb.1115:                             ;   in Loop: Header=BB11_1110 Depth=2
	v_mul_u64_e32 v[22:23], s[78:79], v[22:23]
	s_delay_alu instid0(VALU_DEP_1)
	v_lshl_add_u64 v[22:23], v[22:23], 2, s[0:1]
	global_load_b32 v24, v[22:23], off
.LBB11_1116:                            ;   in Loop: Header=BB11_1110 Depth=2
	s_wait_xcnt 0x0
	s_or_b32 exec_lo, exec_lo, s53
	s_wait_loadcnt 0x0
	ds_store_b32 v65, v24
.LBB11_1117:                            ;   in Loop: Header=BB11_1110 Depth=2
	s_or_b32 exec_lo, exec_lo, s52
	v_add_nc_u32_e32 v24, s51, v26
	s_cmp_lg_u32 s50, s74
	s_wait_dscnt 0x0
	s_cselect_b32 s51, -1, 0
	s_barrier_signal -1
	v_ashrrev_i32_e32 v25, 31, v24
	v_cmp_gt_i32_e32 vcc_lo, s86, v24
	s_barrier_wait -1
	s_delay_alu instid0(VALU_DEP_2) | instskip(SKIP_2) | instid1(SALU_CYCLE_1)
	v_lshl_add_u64 v[22:23], v[24:25], 2, v[20:21]
	v_cndmask_b32_e64 v25, 0, 1, s51
	s_and_b32 s52, vcc_lo, s8
	s_and_saveexec_b32 s50, s52
	s_cbranch_execz .LBB11_1121
; %bb.1118:                             ;   in Loop: Header=BB11_1110 Depth=2
	v_mov_b32_e32 v84, v78
	s_and_not1_b32 vcc_lo, exec_lo, s51
	s_cbranch_vccnz .LBB11_1120
; %bb.1119:                             ;   in Loop: Header=BB11_1110 Depth=2
	global_load_b32 v84, v[22:23], off
.LBB11_1120:                            ;   in Loop: Header=BB11_1110 Depth=2
	ds_load_b32 v85, v66
	s_wait_loadcnt_dscnt 0x0
	v_fmac_f32_e32 v82, v84, v85
.LBB11_1121:                            ;   in Loop: Header=BB11_1110 Depth=2
	s_or_b32 exec_lo, exec_lo, s50
	v_add_nc_u32_e32 v84, 16, v24
	s_delay_alu instid0(VALU_DEP_1) | instskip(SKIP_1) | instid1(SALU_CYCLE_1)
	v_cmp_gt_i32_e32 vcc_lo, s86, v84
	s_and_b32 s51, vcc_lo, s8
	s_and_saveexec_b32 s50, s51
	s_cbranch_execz .LBB11_1125
; %bb.1122:                             ;   in Loop: Header=BB11_1110 Depth=2
	v_cmp_ne_u32_e32 vcc_lo, 1, v25
	v_mov_b32_e32 v84, v79
	s_cbranch_vccnz .LBB11_1124
; %bb.1123:                             ;   in Loop: Header=BB11_1110 Depth=2
	global_load_b32 v84, v[22:23], off offset:64
.LBB11_1124:                            ;   in Loop: Header=BB11_1110 Depth=2
	ds_load_b32 v85, v66 offset:64
	s_wait_loadcnt_dscnt 0x0
	v_fmac_f32_e32 v82, v84, v85
.LBB11_1125:                            ;   in Loop: Header=BB11_1110 Depth=2
	s_or_b32 exec_lo, exec_lo, s50
	v_add_nc_u32_e32 v84, 32, v24
	s_delay_alu instid0(VALU_DEP_1) | instskip(SKIP_1) | instid1(SALU_CYCLE_1)
	v_cmp_gt_i32_e32 vcc_lo, s86, v84
	s_and_b32 s51, vcc_lo, s8
	s_and_saveexec_b32 s50, s51
	s_cbranch_execz .LBB11_1129
; %bb.1126:                             ;   in Loop: Header=BB11_1110 Depth=2
	v_cmp_ne_u32_e32 vcc_lo, 1, v25
	v_mov_b32_e32 v84, v80
	s_cbranch_vccnz .LBB11_1128
; %bb.1127:                             ;   in Loop: Header=BB11_1110 Depth=2
	global_load_b32 v84, v[22:23], off offset:128
.LBB11_1128:                            ;   in Loop: Header=BB11_1110 Depth=2
	ds_load_b32 v85, v66 offset:128
	s_wait_loadcnt_dscnt 0x0
	v_fmac_f32_e32 v82, v84, v85
.LBB11_1129:                            ;   in Loop: Header=BB11_1110 Depth=2
	s_or_b32 exec_lo, exec_lo, s50
	v_add_nc_u32_e32 v24, 48, v24
	s_delay_alu instid0(VALU_DEP_1) | instskip(SKIP_1) | instid1(SALU_CYCLE_1)
	v_cmp_gt_i32_e32 vcc_lo, s86, v24
	s_and_b32 s51, vcc_lo, s8
	s_and_saveexec_b32 s50, s51
	s_cbranch_execz .LBB11_1109
; %bb.1130:                             ;   in Loop: Header=BB11_1110 Depth=2
	v_cmp_ne_u32_e32 vcc_lo, 1, v25
	v_mov_b32_e32 v24, v81
	s_cbranch_vccnz .LBB11_1108
; %bb.1131:                             ;   in Loop: Header=BB11_1110 Depth=2
	global_load_b32 v24, v[22:23], off offset:192
	s_branch .LBB11_1108
.LBB11_1132:                            ;   in Loop: Header=BB11_3 Depth=1
	ds_store_b32 v67, v82
	s_wait_dscnt 0x0
	s_barrier_signal -1
	s_barrier_wait -1
	s_and_saveexec_b32 s68, s3
	s_cbranch_execz .LBB11_1134
; %bb.1133:                             ;   in Loop: Header=BB11_3 Depth=1
	ds_load_2addr_stride64_b32 v[20:21], v68 offset0:1 offset1:2
	ds_load_2addr_stride64_b32 v[22:23], v68 offset0:3 offset1:4
	;; [unrolled: 1-line block ×4, first 2 shown]
	v_readlane_b32 s50, v89, 8
	s_wait_dscnt 0x3
	v_add_f32_e32 v20, v82, v20
	s_delay_alu instid0(VALU_DEP_1) | instskip(SKIP_1) | instid1(VALU_DEP_1)
	v_add_f32_e32 v20, v20, v21
	s_wait_dscnt 0x2
	v_add_f32_e32 v20, v20, v22
	s_delay_alu instid0(VALU_DEP_1) | instskip(SKIP_1) | instid1(VALU_DEP_1)
	v_add_f32_e32 v20, v20, v23
	s_wait_dscnt 0x1
	v_add_f32_e32 v22, v20, v24
	ds_load_2addr_stride64_b32 v[20:21], v68 offset0:9 offset1:10
	v_add_f32_e32 v22, v22, v25
	s_wait_dscnt 0x1
	s_delay_alu instid0(VALU_DEP_1)
	v_add_f32_e32 v24, v22, v84
	ds_load_2addr_stride64_b32 v[22:23], v68 offset0:11 offset1:12
	v_add_f32_e32 v82, v24, v85
	ds_load_2addr_stride64_b32 v[24:25], v68 offset0:13 offset1:14
	ds_load_b32 v83, v68 offset:3840
	s_wait_dscnt 0x3
	v_add_f32_e32 v20, v82, v20
	s_delay_alu instid0(VALU_DEP_1) | instskip(SKIP_1) | instid1(VALU_DEP_1)
	v_add_f32_e32 v20, v20, v21
	s_wait_dscnt 0x2
	v_add_f32_e32 v20, v20, v22
	s_delay_alu instid0(VALU_DEP_1) | instskip(SKIP_1) | instid1(VALU_DEP_1)
	v_add_f32_e32 v20, v20, v23
	;; [unrolled: 4-line block ×3, first 2 shown]
	s_wait_dscnt 0x0
	v_add_f32_e32 v20, v20, v83
	s_delay_alu instid0(VALU_DEP_1)
	v_cndmask_b32_e64 v82, -v20, 0, s50
.LBB11_1134:                            ;   in Loop: Header=BB11_3 Depth=1
	s_or_b32 exec_lo, exec_lo, s68
	s_delay_alu instid0(SALU_CYCLE_1)
	s_and_not1_b32 vcc_lo, exec_lo, s92
	s_cbranch_vccnz .LBB11_1144
; %bb.1135:                             ;   in Loop: Header=BB11_3 Depth=1
	s_and_saveexec_b32 s50, s3
; %bb.1136:                             ;   in Loop: Header=BB11_3 Depth=1
	ds_store_b32 v70, v82
; %bb.1137:                             ;   in Loop: Header=BB11_3 Depth=1
	s_or_b32 exec_lo, exec_lo, s50
	v_mov_b32_e32 v20, 0
	s_wait_dscnt 0x0
	s_barrier_signal -1
	s_barrier_wait -1
	s_and_saveexec_b32 s50, s9
	s_cbranch_execnz .LBB11_1200
; %bb.1138:                             ;   in Loop: Header=BB11_3 Depth=1
	s_or_b32 exec_lo, exec_lo, s50
	s_and_saveexec_b32 s50, s10
	s_cbranch_execnz .LBB11_1201
.LBB11_1139:                            ;   in Loop: Header=BB11_3 Depth=1
	s_or_b32 exec_lo, exec_lo, s50
	s_and_saveexec_b32 s50, s11
	s_cbranch_execnz .LBB11_1202
.LBB11_1140:                            ;   in Loop: Header=BB11_3 Depth=1
	s_or_b32 exec_lo, exec_lo, s50
	s_and_saveexec_b32 s50, s12
	s_cbranch_execz .LBB11_1142
.LBB11_1141:                            ;   in Loop: Header=BB11_3 Depth=1
	ds_load_b32 v21, v69 offset:12288
	ds_load_b32 v22, v66 offset:192
	s_wait_dscnt 0x0
	v_fmac_f32_e32 v20, v21, v22
.LBB11_1142:                            ;   in Loop: Header=BB11_3 Depth=1
	s_or_b32 exec_lo, exec_lo, s50
	s_mov_b32 s69, 0
	s_mov_b32 s68, 0
	ds_store_b32 v67, v20
	s_wait_dscnt 0x0
	s_barrier_signal -1
	s_barrier_wait -1
                                        ; implicit-def: $vgpr21
	s_and_saveexec_b32 s75, s3
	s_cbranch_execz .LBB11_1203
; %bb.1143:                             ;   in Loop: Header=BB11_3 Depth=1
	ds_load_2addr_stride64_b32 v[22:23], v68 offset0:1 offset1:2
	ds_load_2addr_stride64_b32 v[24:25], v68 offset0:3 offset1:4
	;; [unrolled: 1-line block ×4, first 2 shown]
	s_mov_b32 s68, exec_lo
	s_wait_dscnt 0x3
	v_add_f32_e32 v20, v20, v22
	s_delay_alu instid0(VALU_DEP_1) | instskip(SKIP_1) | instid1(VALU_DEP_1)
	v_add_f32_e32 v20, v23, v20
	s_wait_dscnt 0x2
	v_add_f32_e32 v20, v24, v20
	s_delay_alu instid0(VALU_DEP_1) | instskip(SKIP_1) | instid1(VALU_DEP_1)
	v_add_f32_e32 v20, v25, v20
	s_wait_dscnt 0x1
	v_add_f32_e32 v22, v84, v20
	ds_load_2addr_stride64_b32 v[20:21], v68 offset0:9 offset1:10
	v_add_f32_e32 v22, v85, v22
	s_wait_dscnt 0x1
	s_delay_alu instid0(VALU_DEP_1)
	v_add_f32_e32 v24, v86, v22
	ds_load_2addr_stride64_b32 v[22:23], v68 offset0:11 offset1:12
	v_add_f32_e32 v83, v87, v24
	ds_load_2addr_stride64_b32 v[24:25], v68 offset0:13 offset1:14
	ds_load_b32 v84, v68 offset:3840
	s_wait_dscnt 0x3
	v_add_f32_e32 v20, v20, v83
	s_delay_alu instid0(VALU_DEP_1) | instskip(SKIP_1) | instid1(VALU_DEP_1)
	v_add_f32_e32 v20, v21, v20
	s_wait_dscnt 0x2
	v_add_f32_e32 v20, v22, v20
	s_delay_alu instid0(VALU_DEP_1) | instskip(SKIP_1) | instid1(VALU_DEP_1)
	v_add_f32_e32 v20, v23, v20
	;; [unrolled: 4-line block ×3, first 2 shown]
	s_wait_dscnt 0x0
	v_add_f32_e32 v21, v84, v20
	s_or_b32 exec_lo, exec_lo, s75
	s_delay_alu instid0(SALU_CYCLE_1)
	s_and_b32 vcc_lo, exec_lo, s69
	s_cbranch_vccnz .LBB11_1145
	s_branch .LBB11_1204
.LBB11_1144:                            ;   in Loop: Header=BB11_3 Depth=1
	s_mov_b32 s68, 0
                                        ; implicit-def: $vgpr21
	s_cbranch_execz .LBB11_1204
.LBB11_1145:                            ;   in Loop: Header=BB11_3 Depth=1
	v_dual_mov_b32 v20, v77 :: v_dual_mov_b32 v21, v76
	s_mov_b32 s69, 63
	s_branch .LBB11_1147
.LBB11_1146:                            ;   in Loop: Header=BB11_1147 Depth=2
	s_or_b32 exec_lo, exec_lo, s50
	v_add_nc_u32_e32 v21, 0xfffffc00, v21
	v_add_nc_u32_e32 v20, 4, v20
	s_add_co_i32 s69, s69, -4
	s_cmp_lg_u32 s75, 0
	s_barrier_signal -1
	s_barrier_wait -1
	s_cbranch_scc0 .LBB11_1163
.LBB11_1147:                            ;   Parent Loop BB11_3 Depth=1
                                        ; =>  This Inner Loop Header: Depth=2
	s_delay_alu instid0(VALU_DEP_1) | instskip(SKIP_2) | instid1(SALU_CYCLE_1)
	v_cmp_eq_u32_e32 vcc_lo, 0, v20
	v_add_nc_u32_e32 v22, v54, v29
	s_and_b32 s51, s3, vcc_lo
	s_and_saveexec_b32 s50, s51
	s_cbranch_execz .LBB11_1149
; %bb.1148:                             ;   in Loop: Header=BB11_1147 Depth=2
	ds_load_b32 v23, v22
	s_wait_dscnt 0x0
	v_mul_f32_e32 v82, v82, v23
	ds_store_b32 v5, v82 offset:20736
.LBB11_1149:                            ;   in Loop: Header=BB11_1147 Depth=2
	s_or_b32 exec_lo, exec_lo, s50
	v_cmp_gt_u32_e32 vcc_lo, s69, v2
	s_wait_dscnt 0x0
	s_barrier_signal -1
	s_barrier_wait -1
	s_and_b32 s51, s3, vcc_lo
	s_delay_alu instid0(SALU_CYCLE_1)
	s_and_saveexec_b32 s50, s51
	s_cbranch_execz .LBB11_1151
; %bb.1150:                             ;   in Loop: Header=BB11_1147 Depth=2
	ds_load_b32 v23, v21 offset:768
	ds_load_b32 v24, v5 offset:20736
	s_wait_dscnt 0x0
	v_fmac_f32_e32 v82, v23, v24
.LBB11_1151:                            ;   in Loop: Header=BB11_1147 Depth=2
	s_or_b32 exec_lo, exec_lo, s50
	s_add_co_i32 s50, s69, -1
	s_delay_alu instid0(SALU_CYCLE_1) | instskip(SKIP_3) | instid1(SALU_CYCLE_1)
	v_cmp_eq_u32_e32 vcc_lo, s50, v2
	s_barrier_signal -1
	s_barrier_wait -1
	s_and_b32 s52, s3, vcc_lo
	s_and_saveexec_b32 s51, s52
	s_cbranch_execz .LBB11_1153
; %bb.1152:                             ;   in Loop: Header=BB11_1147 Depth=2
	ds_load_b32 v23, v22
	s_wait_dscnt 0x0
	v_mul_f32_e32 v82, v82, v23
	ds_store_b32 v5, v82 offset:20736
.LBB11_1153:                            ;   in Loop: Header=BB11_1147 Depth=2
	s_or_b32 exec_lo, exec_lo, s51
	v_cmp_gt_u32_e32 vcc_lo, s50, v2
	s_wait_dscnt 0x0
	s_barrier_signal -1
	s_barrier_wait -1
	s_and_b32 s51, s3, vcc_lo
	s_delay_alu instid0(SALU_CYCLE_1)
	s_and_saveexec_b32 s50, s51
	s_cbranch_execz .LBB11_1155
; %bb.1154:                             ;   in Loop: Header=BB11_1147 Depth=2
	ds_load_b32 v23, v21 offset:512
	ds_load_b32 v24, v5 offset:20736
	s_wait_dscnt 0x0
	v_fmac_f32_e32 v82, v23, v24
.LBB11_1155:                            ;   in Loop: Header=BB11_1147 Depth=2
	s_or_b32 exec_lo, exec_lo, s50
	s_add_co_i32 s50, s69, -2
	s_delay_alu instid0(SALU_CYCLE_1) | instskip(SKIP_3) | instid1(SALU_CYCLE_1)
	v_cmp_eq_u32_e32 vcc_lo, s50, v2
	s_barrier_signal -1
	s_barrier_wait -1
	s_and_b32 s52, s3, vcc_lo
	s_and_saveexec_b32 s51, s52
	s_cbranch_execz .LBB11_1157
; %bb.1156:                             ;   in Loop: Header=BB11_1147 Depth=2
	ds_load_b32 v23, v22
	s_wait_dscnt 0x0
	v_mul_f32_e32 v82, v82, v23
	ds_store_b32 v5, v82 offset:20736
.LBB11_1157:                            ;   in Loop: Header=BB11_1147 Depth=2
	s_or_b32 exec_lo, exec_lo, s51
	v_cmp_gt_u32_e32 vcc_lo, s50, v2
	s_wait_dscnt 0x0
	s_barrier_signal -1
	s_barrier_wait -1
	s_and_b32 s51, s3, vcc_lo
	s_delay_alu instid0(SALU_CYCLE_1)
	s_and_saveexec_b32 s50, s51
	s_cbranch_execz .LBB11_1159
; %bb.1158:                             ;   in Loop: Header=BB11_1147 Depth=2
	ds_load_b32 v23, v21 offset:256
	ds_load_b32 v24, v5 offset:20736
	s_wait_dscnt 0x0
	v_fmac_f32_e32 v82, v23, v24
.LBB11_1159:                            ;   in Loop: Header=BB11_1147 Depth=2
	s_or_b32 exec_lo, exec_lo, s50
	s_add_co_i32 s75, s69, -3
	s_delay_alu instid0(SALU_CYCLE_1) | instskip(SKIP_3) | instid1(SALU_CYCLE_1)
	v_cmp_eq_u32_e32 vcc_lo, s75, v2
	s_barrier_signal -1
	s_barrier_wait -1
	s_and_b32 s51, s3, vcc_lo
	s_and_saveexec_b32 s50, s51
	s_cbranch_execz .LBB11_1161
; %bb.1160:                             ;   in Loop: Header=BB11_1147 Depth=2
	ds_load_b32 v22, v22
	s_wait_dscnt 0x0
	v_mul_f32_e32 v82, v82, v22
	ds_store_b32 v5, v82 offset:20736
.LBB11_1161:                            ;   in Loop: Header=BB11_1147 Depth=2
	s_or_b32 exec_lo, exec_lo, s50
	v_cmp_gt_u32_e32 vcc_lo, s75, v2
	s_wait_dscnt 0x0
	s_barrier_signal -1
	s_barrier_wait -1
	s_and_b32 s51, s3, vcc_lo
	s_delay_alu instid0(SALU_CYCLE_1)
	s_and_saveexec_b32 s50, s51
	s_cbranch_execz .LBB11_1146
; %bb.1162:                             ;   in Loop: Header=BB11_1147 Depth=2
	ds_load_b32 v22, v21
	ds_load_b32 v23, v5 offset:20736
	s_wait_dscnt 0x0
	v_fmac_f32_e32 v82, v22, v23
	s_branch .LBB11_1146
.LBB11_1163:                            ;   in Loop: Header=BB11_3 Depth=1
	s_and_b32 vcc_lo, exec_lo, s90
	s_mov_b32 s50, -1
	s_cbranch_vccnz .LBB11_1205
; %bb.1164:                             ;   in Loop: Header=BB11_3 Depth=1
	s_and_not1_b32 vcc_lo, exec_lo, s50
	s_cbranch_vccz .LBB11_1206
.LBB11_1165:                            ;   in Loop: Header=BB11_3 Depth=1
	s_and_saveexec_b32 s50, s68
	s_cbranch_execz .LBB11_1167
.LBB11_1166:                            ;   in Loop: Header=BB11_3 Depth=1
	v_lshl_add_u64 v[20:21], v[10:11], 2, s[0:1]
	global_store_b32 v[20:21], v82, off
.LBB11_1167:                            ;   in Loop: Header=BB11_3 Depth=1
	s_wait_xcnt 0x0
	s_or_b32 exec_lo, exec_lo, s50
	global_wb scope:SCOPE_DEV
	s_wait_storecnt 0x0
	global_inv scope:SCOPE_DEV
	s_wait_loadcnt 0x0
	s_barrier_signal -1
	s_barrier_wait -1
	s_and_saveexec_b32 s0, s61
	s_cbranch_execz .LBB11_2
; %bb.1168:                             ;   in Loop: Header=BB11_3 Depth=1
	s_lshl_b64 s[50:51], s[84:85], 2
	s_delay_alu instid0(SALU_CYCLE_1)
	s_add_nc_u64 s[50:51], s[82:83], s[50:51]
	global_load_b32 v20, v5, s[50:51]
	s_wait_loadcnt 0x0
	v_add_nc_u32_e32 v20, 1, v20
	global_store_b32 v5, v20, s[50:51]
	s_branch .LBB11_2
.LBB11_1169:                            ;   in Loop: Header=BB11_3 Depth=1
	s_mov_b32 s50, exec_lo
	v_readlane_b32 s51, v89, 18
	s_and_b32 s51, s50, s51
	s_delay_alu instid0(SALU_CYCLE_1)
	s_xor_b32 s50, s51, s50
	s_mov_b32 exec_lo, s51
	s_cbranch_execz .LBB11_1173
; %bb.1170:                             ;   in Loop: Header=BB11_3 Depth=1
	s_mov_b32 s51, exec_lo
	v_readlane_b32 s52, v88, 28
	s_and_b32 s52, s51, s52
	s_delay_alu instid0(SALU_CYCLE_1)
	s_mov_b32 exec_lo, s52
; %bb.1171:                             ;   in Loop: Header=BB11_3 Depth=1
	ds_store_b32 v71, v5
; %bb.1172:                             ;   in Loop: Header=BB11_3 Depth=1
	s_or_b32 exec_lo, exec_lo, s51
.LBB11_1173:                            ;   in Loop: Header=BB11_3 Depth=1
	s_and_not1_saveexec_b32 s50, s50
	s_cbranch_execz .LBB11_1175
; %bb.1174:                             ;   in Loop: Header=BB11_3 Depth=1
	v_lshl_add_u64 v[22:23], v[12:13], 2, s[0:1]
	global_load_b32 v22, v[22:23], off
	s_wait_loadcnt 0x0
	v_div_scale_f32 v23, null, v22, v22, 1.0
	s_delay_alu instid0(VALU_DEP_1) | instskip(SKIP_1) | instid1(TRANS32_DEP_1)
	v_rcp_f32_e32 v25, v23
	v_nop
	v_fma_f32 v82, -v23, v25, 1.0
	s_delay_alu instid0(VALU_DEP_1) | instskip(SKIP_1) | instid1(VALU_DEP_1)
	v_fmac_f32_e32 v25, v82, v25
	v_div_scale_f32 v82, vcc_lo, 1.0, v22, 1.0
	v_mul_f32_e32 v83, v82, v25
	s_delay_alu instid0(VALU_DEP_1) | instskip(NEXT) | instid1(VALU_DEP_1)
	v_fma_f32 v84, -v23, v83, v82
	v_fmac_f32_e32 v83, v84, v25
	s_delay_alu instid0(VALU_DEP_1) | instskip(NEXT) | instid1(VALU_DEP_1)
	v_fma_f32 v23, -v23, v83, v82
	v_div_fmas_f32 v23, v23, v25, v83
	s_delay_alu instid0(VALU_DEP_1)
	v_div_fixup_f32 v22, v23, v22, 1.0
	ds_store_b32 v71, v22
.LBB11_1175:                            ;   in Loop: Header=BB11_3 Depth=1
	s_or_b32 exec_lo, exec_lo, s50
	s_and_not1_saveexec_b32 s50, s68
	s_cbranch_execz .LBB11_16
.LBB11_1176:                            ;   in Loop: Header=BB11_3 Depth=1
	v_lshl_add_u64 v[22:23], v[12:13], 2, s[0:1]
	global_load_b32 v22, v[22:23], off
	s_wait_loadcnt 0x0
	v_xor_b32_e32 v22, 0x80000000, v22
	ds_store_b32 v71, v22
	s_or_b32 exec_lo, exec_lo, s50
	s_and_saveexec_b32 s50, s10
	s_delay_alu instid0(SALU_CYCLE_1)
	s_xor_b32 s68, exec_lo, s50
	s_cbranch_execz .LBB11_17
.LBB11_1177:                            ;   in Loop: Header=BB11_3 Depth=1
	s_mov_b32 s50, exec_lo
	v_readlane_b32 s51, v89, 20
	s_and_b32 s51, s50, s51
	s_delay_alu instid0(SALU_CYCLE_1)
	s_xor_b32 s50, s51, s50
	s_mov_b32 exec_lo, s51
	s_cbranch_execz .LBB11_1181
; %bb.1178:                             ;   in Loop: Header=BB11_3 Depth=1
	s_mov_b32 s51, exec_lo
	v_readlane_b32 s52, v88, 29
	s_and_b32 s52, s51, s52
	s_delay_alu instid0(SALU_CYCLE_1)
	s_mov_b32 exec_lo, s52
; %bb.1179:                             ;   in Loop: Header=BB11_3 Depth=1
	ds_store_b32 v72, v5
; %bb.1180:                             ;   in Loop: Header=BB11_3 Depth=1
	s_or_b32 exec_lo, exec_lo, s51
.LBB11_1181:                            ;   in Loop: Header=BB11_3 Depth=1
	s_and_not1_saveexec_b32 s50, s50
	s_cbranch_execz .LBB11_1183
; %bb.1182:                             ;   in Loop: Header=BB11_3 Depth=1
	v_lshl_add_u64 v[22:23], v[14:15], 2, s[0:1]
	global_load_b32 v22, v[22:23], off
	s_wait_loadcnt 0x0
	v_div_scale_f32 v23, null, v22, v22, 1.0
	s_delay_alu instid0(VALU_DEP_1) | instskip(SKIP_1) | instid1(TRANS32_DEP_1)
	v_rcp_f32_e32 v25, v23
	v_nop
	v_fma_f32 v82, -v23, v25, 1.0
	s_delay_alu instid0(VALU_DEP_1) | instskip(SKIP_1) | instid1(VALU_DEP_1)
	v_fmac_f32_e32 v25, v82, v25
	v_div_scale_f32 v82, vcc_lo, 1.0, v22, 1.0
	v_mul_f32_e32 v83, v82, v25
	s_delay_alu instid0(VALU_DEP_1) | instskip(NEXT) | instid1(VALU_DEP_1)
	v_fma_f32 v84, -v23, v83, v82
	v_fmac_f32_e32 v83, v84, v25
	s_delay_alu instid0(VALU_DEP_1) | instskip(NEXT) | instid1(VALU_DEP_1)
	v_fma_f32 v23, -v23, v83, v82
	v_div_fmas_f32 v23, v23, v25, v83
	s_delay_alu instid0(VALU_DEP_1)
	v_div_fixup_f32 v22, v23, v22, 1.0
	ds_store_b32 v72, v22
.LBB11_1183:                            ;   in Loop: Header=BB11_3 Depth=1
	s_or_b32 exec_lo, exec_lo, s50
	s_and_not1_saveexec_b32 s50, s68
	s_cbranch_execz .LBB11_18
.LBB11_1184:                            ;   in Loop: Header=BB11_3 Depth=1
	v_lshl_add_u64 v[22:23], v[14:15], 2, s[0:1]
	global_load_b32 v22, v[22:23], off
	s_wait_loadcnt 0x0
	v_xor_b32_e32 v22, 0x80000000, v22
	ds_store_b32 v72, v22
	s_or_b32 exec_lo, exec_lo, s50
	s_and_saveexec_b32 s50, s11
	s_delay_alu instid0(SALU_CYCLE_1)
	s_xor_b32 s68, exec_lo, s50
	s_cbranch_execz .LBB11_19
.LBB11_1185:                            ;   in Loop: Header=BB11_3 Depth=1
	s_mov_b32 s50, exec_lo
	v_readlane_b32 s51, v89, 22
	s_and_b32 s51, s50, s51
	s_delay_alu instid0(SALU_CYCLE_1)
	s_xor_b32 s50, s51, s50
	s_mov_b32 exec_lo, s51
	s_cbranch_execz .LBB11_1189
; %bb.1186:                             ;   in Loop: Header=BB11_3 Depth=1
	s_mov_b32 s51, exec_lo
	v_readlane_b32 s52, v88, 30
	s_and_b32 s52, s51, s52
	s_delay_alu instid0(SALU_CYCLE_1)
	s_mov_b32 exec_lo, s52
; %bb.1187:                             ;   in Loop: Header=BB11_3 Depth=1
	ds_store_b32 v73, v5
; %bb.1188:                             ;   in Loop: Header=BB11_3 Depth=1
	s_or_b32 exec_lo, exec_lo, s51
.LBB11_1189:                            ;   in Loop: Header=BB11_3 Depth=1
	s_and_not1_saveexec_b32 s50, s50
	s_cbranch_execz .LBB11_1191
; %bb.1190:                             ;   in Loop: Header=BB11_3 Depth=1
	v_lshl_add_u64 v[22:23], v[16:17], 2, s[0:1]
	global_load_b32 v22, v[22:23], off
	s_wait_loadcnt 0x0
	v_div_scale_f32 v23, null, v22, v22, 1.0
	s_delay_alu instid0(VALU_DEP_1) | instskip(SKIP_1) | instid1(TRANS32_DEP_1)
	v_rcp_f32_e32 v25, v23
	v_nop
	v_fma_f32 v82, -v23, v25, 1.0
	s_delay_alu instid0(VALU_DEP_1) | instskip(SKIP_1) | instid1(VALU_DEP_1)
	v_fmac_f32_e32 v25, v82, v25
	v_div_scale_f32 v82, vcc_lo, 1.0, v22, 1.0
	v_mul_f32_e32 v83, v82, v25
	s_delay_alu instid0(VALU_DEP_1) | instskip(NEXT) | instid1(VALU_DEP_1)
	v_fma_f32 v84, -v23, v83, v82
	v_fmac_f32_e32 v83, v84, v25
	s_delay_alu instid0(VALU_DEP_1) | instskip(NEXT) | instid1(VALU_DEP_1)
	v_fma_f32 v23, -v23, v83, v82
	v_div_fmas_f32 v23, v23, v25, v83
	s_delay_alu instid0(VALU_DEP_1)
	v_div_fixup_f32 v22, v23, v22, 1.0
	ds_store_b32 v73, v22
.LBB11_1191:                            ;   in Loop: Header=BB11_3 Depth=1
	s_or_b32 exec_lo, exec_lo, s50
	s_and_not1_saveexec_b32 s50, s68
	s_cbranch_execz .LBB11_20
.LBB11_1192:                            ;   in Loop: Header=BB11_3 Depth=1
	v_lshl_add_u64 v[22:23], v[16:17], 2, s[0:1]
	global_load_b32 v22, v[22:23], off
	s_wait_loadcnt 0x0
	v_xor_b32_e32 v22, 0x80000000, v22
	ds_store_b32 v73, v22
	s_or_b32 exec_lo, exec_lo, s50
	s_and_saveexec_b32 s50, s12
	s_delay_alu instid0(SALU_CYCLE_1)
	s_xor_b32 s68, exec_lo, s50
	s_cbranch_execz .LBB11_21
.LBB11_1193:                            ;   in Loop: Header=BB11_3 Depth=1
	s_mov_b32 s50, exec_lo
	v_readlane_b32 s51, v89, 24
	s_and_b32 s51, s50, s51
	s_delay_alu instid0(SALU_CYCLE_1)
	s_xor_b32 s50, s51, s50
	s_mov_b32 exec_lo, s51
	s_cbranch_execz .LBB11_1197
; %bb.1194:                             ;   in Loop: Header=BB11_3 Depth=1
	s_mov_b32 s51, exec_lo
	v_readlane_b32 s52, v88, 31
	s_and_b32 s52, s51, s52
	s_delay_alu instid0(SALU_CYCLE_1)
	s_mov_b32 exec_lo, s52
; %bb.1195:                             ;   in Loop: Header=BB11_3 Depth=1
	ds_store_b32 v74, v5
; %bb.1196:                             ;   in Loop: Header=BB11_3 Depth=1
	s_or_b32 exec_lo, exec_lo, s51
.LBB11_1197:                            ;   in Loop: Header=BB11_3 Depth=1
	s_and_not1_saveexec_b32 s50, s50
	s_cbranch_execz .LBB11_1199
; %bb.1198:                             ;   in Loop: Header=BB11_3 Depth=1
	v_lshl_add_u64 v[22:23], v[18:19], 2, s[0:1]
	global_load_b32 v22, v[22:23], off
	s_wait_loadcnt 0x0
	v_div_scale_f32 v23, null, v22, v22, 1.0
	s_delay_alu instid0(VALU_DEP_1) | instskip(SKIP_1) | instid1(TRANS32_DEP_1)
	v_rcp_f32_e32 v25, v23
	v_nop
	v_fma_f32 v82, -v23, v25, 1.0
	s_delay_alu instid0(VALU_DEP_1) | instskip(SKIP_1) | instid1(VALU_DEP_1)
	v_fmac_f32_e32 v25, v82, v25
	v_div_scale_f32 v82, vcc_lo, 1.0, v22, 1.0
	v_mul_f32_e32 v83, v82, v25
	s_delay_alu instid0(VALU_DEP_1) | instskip(NEXT) | instid1(VALU_DEP_1)
	v_fma_f32 v84, -v23, v83, v82
	v_fmac_f32_e32 v83, v84, v25
	s_delay_alu instid0(VALU_DEP_1) | instskip(NEXT) | instid1(VALU_DEP_1)
	v_fma_f32 v23, -v23, v83, v82
	v_div_fmas_f32 v23, v23, v25, v83
	s_delay_alu instid0(VALU_DEP_1)
	v_div_fixup_f32 v22, v23, v22, 1.0
	ds_store_b32 v74, v22
.LBB11_1199:                            ;   in Loop: Header=BB11_3 Depth=1
	s_or_b32 exec_lo, exec_lo, s50
	s_and_not1_saveexec_b32 s50, s68
	s_cbranch_execnz .LBB11_22
	s_branch .LBB11_23
.LBB11_1200:                            ;   in Loop: Header=BB11_3 Depth=1
	ds_load_b32 v20, v69
	ds_load_b32 v21, v66
	s_wait_dscnt 0x0
	v_fma_f32 v20, v20, v21, 0
	s_or_b32 exec_lo, exec_lo, s50
	s_and_saveexec_b32 s50, s10
	s_cbranch_execz .LBB11_1139
.LBB11_1201:                            ;   in Loop: Header=BB11_3 Depth=1
	ds_load_b32 v21, v69 offset:4096
	ds_load_b32 v22, v66 offset:64
	s_wait_dscnt 0x0
	v_fmac_f32_e32 v20, v21, v22
	s_or_b32 exec_lo, exec_lo, s50
	s_and_saveexec_b32 s50, s11
	s_cbranch_execz .LBB11_1140
.LBB11_1202:                            ;   in Loop: Header=BB11_3 Depth=1
	ds_load_b32 v21, v69 offset:8192
	ds_load_b32 v22, v66 offset:128
	s_wait_dscnt 0x0
	v_fmac_f32_e32 v20, v21, v22
	s_or_b32 exec_lo, exec_lo, s50
	s_and_saveexec_b32 s50, s12
	s_cbranch_execnz .LBB11_1141
	s_branch .LBB11_1142
.LBB11_1203:                            ;   in Loop: Header=BB11_3 Depth=1
	s_or_b32 exec_lo, exec_lo, s75
	s_delay_alu instid0(SALU_CYCLE_1)
	s_and_b32 vcc_lo, exec_lo, s69
	s_cbranch_vccnz .LBB11_1145
.LBB11_1204:                            ;   in Loop: Header=BB11_3 Depth=1
	v_mov_b32_e32 v82, v21
	s_and_saveexec_b32 s50, s68
	s_cbranch_execnz .LBB11_1166
	s_branch .LBB11_1167
.LBB11_1205:                            ;   in Loop: Header=BB11_3 Depth=1
	s_and_not1_b32 s51, s68, exec_lo
	s_and_b32 s52, s3, exec_lo
	s_delay_alu instid0(SALU_CYCLE_1)
	s_or_b32 s68, s51, s52
	s_cbranch_execnz .LBB11_1165
.LBB11_1206:                            ;   in Loop: Header=BB11_3 Depth=1
	v_readlane_b32 s51, v89, 9
	s_and_not1_b32 s50, s68, exec_lo
	s_and_b32 s51, s51, exec_lo
	s_delay_alu instid0(SALU_CYCLE_1) | instskip(NEXT) | instid1(SALU_CYCLE_1)
	s_or_b32 s68, s50, s51
	s_and_saveexec_b32 s50, s68
	s_cbranch_execnz .LBB11_1166
	s_branch .LBB11_1167
.LBB11_1207:                            ;   in Loop: Header=BB11_3 Depth=1
	ds_load_b32 v23, v36 offset:272
	ds_load_b32 v25, v30 offset:4
	s_wait_dscnt 0x0
	v_fmac_f32_e32 v22, v23, v25
	s_or_b32 exec_lo, exec_lo, s1
	s_and_saveexec_b32 s1, s20
	s_cbranch_execz .LBB11_88
.LBB11_1208:                            ;   in Loop: Header=BB11_3 Depth=1
	ds_load_b32 v23, v35 offset:528
	ds_load_b32 v25, v30 offset:8
	s_wait_dscnt 0x0
	v_fmac_f32_e32 v22, v23, v25
	s_or_b32 exec_lo, exec_lo, s1
	s_and_saveexec_b32 s1, s2
	s_cbranch_execnz .LBB11_89
	s_branch .LBB11_90
.LBB11_1209:                            ;   in Loop: Header=BB11_3 Depth=1
	ds_load_b32 v23, v45 offset:288
	ds_load_b32 v25, v39 offset:4
	s_wait_dscnt 0x0
	v_fmac_f32_e32 v22, v23, v25
	s_or_b32 exec_lo, exec_lo, s1
	s_and_saveexec_b32 s1, s22
	s_cbranch_execz .LBB11_130
.LBB11_1210:                            ;   in Loop: Header=BB11_3 Depth=1
	ds_load_b32 v23, v45 offset:544
	ds_load_b32 v25, v39 offset:8
	s_wait_dscnt 0x0
	v_fmac_f32_e32 v22, v23, v25
	s_or_b32 exec_lo, exec_lo, s1
	s_and_saveexec_b32 s1, s23
	s_cbranch_execz .LBB11_131
.LBB11_1211:                            ;   in Loop: Header=BB11_3 Depth=1
	ds_load_b32 v23, v45 offset:800
	ds_load_b32 v25, v39 offset:12
	s_wait_dscnt 0x0
	v_fmac_f32_e32 v22, v23, v25
	s_or_b32 exec_lo, exec_lo, s1
	s_and_saveexec_b32 s1, s24
	s_cbranch_execz .LBB11_132
.LBB11_1212:                            ;   in Loop: Header=BB11_3 Depth=1
	ds_load_b32 v23, v44 offset:1056
	ds_load_b32 v25, v39 offset:16
	s_wait_dscnt 0x0
	v_fmac_f32_e32 v22, v23, v25
	s_or_b32 exec_lo, exec_lo, s1
	s_and_saveexec_b32 s1, s25
	s_cbranch_execz .LBB11_133
.LBB11_1213:                            ;   in Loop: Header=BB11_3 Depth=1
	ds_load_b32 v23, v45 offset:1312
	ds_load_b32 v25, v39 offset:20
	s_wait_dscnt 0x0
	v_fmac_f32_e32 v22, v23, v25
	s_or_b32 exec_lo, exec_lo, s1
	s_and_saveexec_b32 s1, s4
	s_cbranch_execz .LBB11_134
.LBB11_1214:                            ;   in Loop: Header=BB11_3 Depth=1
	ds_load_b32 v23, v44 offset:1568
	ds_load_b32 v25, v39 offset:24
	s_wait_dscnt 0x0
	v_fmac_f32_e32 v22, v23, v25
	s_or_b32 exec_lo, exec_lo, s1
	s_and_saveexec_b32 s1, s20
	s_cbranch_execnz .LBB11_135
	s_branch .LBB11_136
.LBB11_1215:                            ;   in Loop: Header=BB11_3 Depth=1
	ds_load_b32 v23, v36 offset:2352
	ds_load_b32 v25, v30 offset:2084
	s_wait_dscnt 0x0
	v_fmac_f32_e32 v22, v23, v25
	s_or_b32 exec_lo, exec_lo, s1
	s_and_saveexec_b32 s1, s20
	s_cbranch_execz .LBB11_192
.LBB11_1216:                            ;   in Loop: Header=BB11_3 Depth=1
	ds_load_b32 v23, v35 offset:2608
	ds_load_b32 v25, v30 offset:2088
	s_wait_dscnt 0x0
	v_fmac_f32_e32 v22, v23, v25
	s_or_b32 exec_lo, exec_lo, s1
	s_and_saveexec_b32 s1, s2
	s_cbranch_execnz .LBB11_193
	s_branch .LBB11_194
.LBB11_1217:                            ;   in Loop: Header=BB11_3 Depth=1
	ds_load_b32 v23, v58 offset:2880
	ds_load_b32 v25, v53 offset:44
	s_wait_dscnt 0x0
	v_fmac_f32_e32 v22, v23, v25
	s_or_b32 exec_lo, exec_lo, s1
	s_and_saveexec_b32 s1, s5
	s_cbranch_execz .LBB11_254
.LBB11_1218:                            ;   in Loop: Header=BB11_3 Depth=1
	ds_load_b32 v23, v57 offset:3136
	ds_load_b32 v25, v53 offset:48
	s_wait_dscnt 0x0
	v_fmac_f32_e32 v22, v23, v25
	s_or_b32 exec_lo, exec_lo, s1
	s_and_saveexec_b32 s1, s22
	s_cbranch_execz .LBB11_255
.LBB11_1219:                            ;   in Loop: Header=BB11_3 Depth=1
	ds_load_b32 v23, v58 offset:3392
	ds_load_b32 v25, v53 offset:52
	s_wait_dscnt 0x0
	v_fmac_f32_e32 v22, v23, v25
	s_or_b32 exec_lo, exec_lo, s1
	s_and_saveexec_b32 s1, s24
	s_cbranch_execz .LBB11_256
.LBB11_1220:                            ;   in Loop: Header=BB11_3 Depth=1
	ds_load_b32 v23, v57 offset:3648
	ds_load_b32 v25, v53 offset:56
	s_wait_dscnt 0x0
	v_fmac_f32_e32 v22, v23, v25
	s_or_b32 exec_lo, exec_lo, s1
	s_and_saveexec_b32 s1, s4
	s_cbranch_execnz .LBB11_257
	s_branch .LBB11_258
.LBB11_1221:                            ;   in Loop: Header=BB11_3 Depth=1
	ds_load_b32 v23, v36 offset:4432
	ds_load_b32 v25, v30 offset:4164
	s_wait_dscnt 0x0
	v_fmac_f32_e32 v22, v23, v25
	s_or_b32 exec_lo, exec_lo, s1
	s_and_saveexec_b32 s1, s20
	s_cbranch_execz .LBB11_346
.LBB11_1222:                            ;   in Loop: Header=BB11_3 Depth=1
	ds_load_b32 v23, v35 offset:4688
	ds_load_b32 v25, v30 offset:4168
	s_wait_dscnt 0x0
	v_fmac_f32_e32 v22, v23, v25
	s_or_b32 exec_lo, exec_lo, s1
	s_and_saveexec_b32 s1, s2
	s_cbranch_execnz .LBB11_347
	s_branch .LBB11_348
.LBB11_1223:                            ;   in Loop: Header=BB11_3 Depth=1
	ds_load_b32 v23, v45 offset:4448
	ds_load_b32 v25, v39 offset:4164
	s_wait_dscnt 0x0
	v_fmac_f32_e32 v22, v23, v25
	s_or_b32 exec_lo, exec_lo, s1
	s_and_saveexec_b32 s1, s22
	s_cbranch_execz .LBB11_388
.LBB11_1224:                            ;   in Loop: Header=BB11_3 Depth=1
	ds_load_b32 v23, v45 offset:4704
	ds_load_b32 v25, v39 offset:4168
	s_wait_dscnt 0x0
	v_fmac_f32_e32 v22, v23, v25
	s_or_b32 exec_lo, exec_lo, s1
	s_and_saveexec_b32 s1, s23
	s_cbranch_execz .LBB11_389
.LBB11_1225:                            ;   in Loop: Header=BB11_3 Depth=1
	ds_load_b32 v23, v45 offset:4960
	ds_load_b32 v25, v39 offset:4172
	s_wait_dscnt 0x0
	v_fmac_f32_e32 v22, v23, v25
	s_or_b32 exec_lo, exec_lo, s1
	s_and_saveexec_b32 s1, s24
	s_cbranch_execz .LBB11_390
.LBB11_1226:                            ;   in Loop: Header=BB11_3 Depth=1
	ds_load_b32 v23, v44 offset:5216
	ds_load_b32 v25, v39 offset:4176
	s_wait_dscnt 0x0
	v_fmac_f32_e32 v22, v23, v25
	s_or_b32 exec_lo, exec_lo, s1
	s_and_saveexec_b32 s1, s25
	s_cbranch_execz .LBB11_391
.LBB11_1227:                            ;   in Loop: Header=BB11_3 Depth=1
	ds_load_b32 v23, v45 offset:5472
	ds_load_b32 v25, v39 offset:4180
	s_wait_dscnt 0x0
	v_fmac_f32_e32 v22, v23, v25
	s_or_b32 exec_lo, exec_lo, s1
	s_and_saveexec_b32 s1, s4
	s_cbranch_execz .LBB11_392
.LBB11_1228:                            ;   in Loop: Header=BB11_3 Depth=1
	ds_load_b32 v23, v44 offset:5728
	ds_load_b32 v25, v39 offset:4184
	s_wait_dscnt 0x0
	v_fmac_f32_e32 v22, v23, v25
	s_or_b32 exec_lo, exec_lo, s1
	s_and_saveexec_b32 s1, s20
	s_cbranch_execnz .LBB11_393
	s_branch .LBB11_394
.LBB11_1229:                            ;   in Loop: Header=BB11_3 Depth=1
	ds_load_b32 v23, v36 offset:6512
	ds_load_b32 v25, v30 offset:6244
	s_wait_dscnt 0x0
	v_fmac_f32_e32 v22, v23, v25
	s_or_b32 exec_lo, exec_lo, s1
	s_and_saveexec_b32 s1, s20
	s_cbranch_execz .LBB11_450
.LBB11_1230:                            ;   in Loop: Header=BB11_3 Depth=1
	ds_load_b32 v23, v35 offset:6768
	ds_load_b32 v25, v30 offset:6248
	s_wait_dscnt 0x0
	v_fmac_f32_e32 v22, v23, v25
	s_or_b32 exec_lo, exec_lo, s1
	s_and_saveexec_b32 s1, s2
	s_cbranch_execnz .LBB11_451
	s_branch .LBB11_452
.LBB11_1231:                            ;   in Loop: Header=BB11_3 Depth=1
	ds_load_b32 v25, v63 offset:7552
	ds_load_b32 v82, v23 offset:116
	s_wait_dscnt 0x0
	v_fmac_f32_e32 v22, v25, v82
	s_or_b32 exec_lo, exec_lo, s1
	s_and_saveexec_b32 s1, s5
	s_cbranch_execz .LBB11_548
.LBB11_1232:                            ;   in Loop: Header=BB11_3 Depth=1
	ds_load_b32 v25, v63 offset:7808
	ds_load_b32 v23, v23 offset:120
	s_wait_dscnt 0x0
	v_fmac_f32_e32 v22, v25, v23
	s_or_b32 exec_lo, exec_lo, s1
	s_and_saveexec_b32 s1, s24
	s_cbranch_execnz .LBB11_549
	s_branch .LBB11_550
.LBB11_1233:                            ;   in Loop: Header=BB11_3 Depth=1
	ds_load_b32 v23, v36 offset:8592
	ds_load_b32 v25, v30 offset:8324
	s_wait_dscnt 0x0
	v_fmac_f32_e32 v22, v23, v25
	s_or_b32 exec_lo, exec_lo, s1
	s_and_saveexec_b32 s1, s20
	s_cbranch_execz .LBB11_702
.LBB11_1234:                            ;   in Loop: Header=BB11_3 Depth=1
	ds_load_b32 v23, v35 offset:8848
	ds_load_b32 v25, v30 offset:8328
	s_wait_dscnt 0x0
	v_fmac_f32_e32 v22, v23, v25
	s_or_b32 exec_lo, exec_lo, s1
	s_and_saveexec_b32 s1, s2
	s_cbranch_execnz .LBB11_703
	s_branch .LBB11_704
.LBB11_1235:                            ;   in Loop: Header=BB11_3 Depth=1
	ds_load_b32 v23, v45 offset:8608
	ds_load_b32 v25, v39 offset:8324
	s_wait_dscnt 0x0
	v_fmac_f32_e32 v22, v23, v25
	s_or_b32 exec_lo, exec_lo, s1
	s_and_saveexec_b32 s1, s22
	s_cbranch_execz .LBB11_744
.LBB11_1236:                            ;   in Loop: Header=BB11_3 Depth=1
	ds_load_b32 v23, v45 offset:8864
	ds_load_b32 v25, v39 offset:8328
	s_wait_dscnt 0x0
	v_fmac_f32_e32 v22, v23, v25
	s_or_b32 exec_lo, exec_lo, s1
	s_and_saveexec_b32 s1, s23
	s_cbranch_execz .LBB11_745
.LBB11_1237:                            ;   in Loop: Header=BB11_3 Depth=1
	ds_load_b32 v23, v45 offset:9120
	ds_load_b32 v25, v39 offset:8332
	s_wait_dscnt 0x0
	v_fmac_f32_e32 v22, v23, v25
	s_or_b32 exec_lo, exec_lo, s1
	s_and_saveexec_b32 s1, s24
	s_cbranch_execz .LBB11_746
.LBB11_1238:                            ;   in Loop: Header=BB11_3 Depth=1
	ds_load_b32 v23, v44 offset:9376
	ds_load_b32 v25, v39 offset:8336
	s_wait_dscnt 0x0
	v_fmac_f32_e32 v22, v23, v25
	s_or_b32 exec_lo, exec_lo, s1
	s_and_saveexec_b32 s1, s25
	s_cbranch_execz .LBB11_747
.LBB11_1239:                            ;   in Loop: Header=BB11_3 Depth=1
	ds_load_b32 v23, v45 offset:9632
	ds_load_b32 v25, v39 offset:8340
	s_wait_dscnt 0x0
	v_fmac_f32_e32 v22, v23, v25
	s_or_b32 exec_lo, exec_lo, s1
	s_and_saveexec_b32 s1, s4
	s_cbranch_execz .LBB11_748
.LBB11_1240:                            ;   in Loop: Header=BB11_3 Depth=1
	ds_load_b32 v23, v44 offset:9888
	ds_load_b32 v25, v39 offset:8344
	s_wait_dscnt 0x0
	v_fmac_f32_e32 v22, v23, v25
	s_or_b32 exec_lo, exec_lo, s1
	s_and_saveexec_b32 s1, s20
	s_cbranch_execnz .LBB11_749
	s_branch .LBB11_750
.LBB11_1241:                            ;   in Loop: Header=BB11_3 Depth=1
	ds_load_b32 v23, v36 offset:10672
	ds_load_b32 v25, v30 offset:10404
	s_wait_dscnt 0x0
	v_fmac_f32_e32 v22, v23, v25
	s_or_b32 exec_lo, exec_lo, s1
	s_and_saveexec_b32 s1, s20
	s_cbranch_execz .LBB11_806
.LBB11_1242:                            ;   in Loop: Header=BB11_3 Depth=1
	ds_load_b32 v23, v35 offset:10928
	ds_load_b32 v25, v30 offset:10408
	s_wait_dscnt 0x0
	v_fmac_f32_e32 v22, v23, v25
	s_or_b32 exec_lo, exec_lo, s1
	s_and_saveexec_b32 s1, s2
	s_cbranch_execnz .LBB11_807
	s_branch .LBB11_808
.LBB11_1243:                            ;   in Loop: Header=BB11_3 Depth=1
	ds_load_b32 v23, v58 offset:11200
	ds_load_b32 v25, v53 offset:8364
	s_wait_dscnt 0x0
	v_fmac_f32_e32 v22, v23, v25
	s_or_b32 exec_lo, exec_lo, s1
	s_and_saveexec_b32 s1, s5
	s_cbranch_execz .LBB11_868
.LBB11_1244:                            ;   in Loop: Header=BB11_3 Depth=1
	ds_load_b32 v23, v57 offset:11456
	ds_load_b32 v25, v53 offset:8368
	s_wait_dscnt 0x0
	v_fmac_f32_e32 v22, v23, v25
	s_or_b32 exec_lo, exec_lo, s1
	s_and_saveexec_b32 s1, s22
	s_cbranch_execz .LBB11_869
.LBB11_1245:                            ;   in Loop: Header=BB11_3 Depth=1
	ds_load_b32 v23, v58 offset:11712
	ds_load_b32 v25, v53 offset:8372
	s_wait_dscnt 0x0
	v_fmac_f32_e32 v22, v23, v25
	s_or_b32 exec_lo, exec_lo, s1
	s_and_saveexec_b32 s1, s24
	s_cbranch_execz .LBB11_870
.LBB11_1246:                            ;   in Loop: Header=BB11_3 Depth=1
	ds_load_b32 v23, v57 offset:11968
	ds_load_b32 v25, v53 offset:8376
	s_wait_dscnt 0x0
	v_fmac_f32_e32 v22, v23, v25
	s_or_b32 exec_lo, exec_lo, s1
	s_and_saveexec_b32 s1, s4
	s_cbranch_execnz .LBB11_871
	s_branch .LBB11_872
.LBB11_1247:                            ;   in Loop: Header=BB11_3 Depth=1
	ds_load_b32 v23, v36 offset:12752
	ds_load_b32 v25, v30 offset:12484
	s_wait_dscnt 0x0
	v_fmac_f32_e32 v22, v23, v25
	s_or_b32 exec_lo, exec_lo, s1
	s_and_saveexec_b32 s1, s20
	s_cbranch_execz .LBB11_960
.LBB11_1248:                            ;   in Loop: Header=BB11_3 Depth=1
	ds_load_b32 v23, v35 offset:13008
	ds_load_b32 v25, v30 offset:12488
	s_wait_dscnt 0x0
	v_fmac_f32_e32 v22, v23, v25
	s_or_b32 exec_lo, exec_lo, s1
	s_and_saveexec_b32 s1, s2
	s_cbranch_execnz .LBB11_961
	s_branch .LBB11_962
.LBB11_1249:                            ;   in Loop: Header=BB11_3 Depth=1
	ds_load_b32 v23, v45 offset:12768
	ds_load_b32 v25, v39 offset:12484
	s_wait_dscnt 0x0
	v_fmac_f32_e32 v22, v23, v25
	s_or_b32 exec_lo, exec_lo, s1
	s_and_saveexec_b32 s1, s22
	s_cbranch_execz .LBB11_1002
.LBB11_1250:                            ;   in Loop: Header=BB11_3 Depth=1
	ds_load_b32 v23, v45 offset:13024
	ds_load_b32 v25, v39 offset:12488
	s_wait_dscnt 0x0
	v_fmac_f32_e32 v22, v23, v25
	s_or_b32 exec_lo, exec_lo, s1
	s_and_saveexec_b32 s1, s23
	s_cbranch_execz .LBB11_1003
.LBB11_1251:                            ;   in Loop: Header=BB11_3 Depth=1
	ds_load_b32 v23, v45 offset:13280
	ds_load_b32 v25, v39 offset:12492
	s_wait_dscnt 0x0
	v_fmac_f32_e32 v22, v23, v25
	s_or_b32 exec_lo, exec_lo, s1
	s_and_saveexec_b32 s1, s24
	s_cbranch_execz .LBB11_1004
.LBB11_1252:                            ;   in Loop: Header=BB11_3 Depth=1
	ds_load_b32 v23, v44 offset:13536
	ds_load_b32 v25, v39 offset:12496
	s_wait_dscnt 0x0
	v_fmac_f32_e32 v22, v23, v25
	s_or_b32 exec_lo, exec_lo, s1
	s_and_saveexec_b32 s1, s25
	s_cbranch_execz .LBB11_1005
.LBB11_1253:                            ;   in Loop: Header=BB11_3 Depth=1
	ds_load_b32 v23, v45 offset:13792
	ds_load_b32 v25, v39 offset:12500
	s_wait_dscnt 0x0
	v_fmac_f32_e32 v22, v23, v25
	s_or_b32 exec_lo, exec_lo, s1
	s_and_saveexec_b32 s1, s4
	s_cbranch_execz .LBB11_1006
.LBB11_1254:                            ;   in Loop: Header=BB11_3 Depth=1
	ds_load_b32 v23, v44 offset:14048
	ds_load_b32 v25, v39 offset:12504
	s_wait_dscnt 0x0
	v_fmac_f32_e32 v22, v23, v25
	s_or_b32 exec_lo, exec_lo, s1
	s_and_saveexec_b32 s1, s20
	s_cbranch_execnz .LBB11_1007
	s_branch .LBB11_1008
.LBB11_1255:                            ;   in Loop: Header=BB11_3 Depth=1
	ds_load_b32 v23, v36 offset:14832
	ds_load_b32 v25, v30 offset:14564
	s_wait_dscnt 0x0
	v_fmac_f32_e32 v22, v23, v25
	s_or_b32 exec_lo, exec_lo, s1
	s_and_saveexec_b32 s1, s20
	s_cbranch_execz .LBB11_1064
.LBB11_1256:                            ;   in Loop: Header=BB11_3 Depth=1
	ds_load_b32 v23, v35 offset:15088
	ds_load_b32 v25, v30 offset:14568
	s_wait_dscnt 0x0
	v_fmac_f32_e32 v22, v23, v25
	s_or_b32 exec_lo, exec_lo, s1
	s_and_saveexec_b32 s1, s2
	s_cbranch_execnz .LBB11_1065
	s_branch .LBB11_1066
.LBB11_1257:
	s_endpgm
	.section	.rodata,"a",@progbits
	.p2align	6, 0x0
	.amdhsa_kernel _ZL19rocblas_trsv_deviceILi64ELi16ELb1ELb1ELb0ELb0EfPKfS1_PfEviT7_lllT6_T8_lllPii
		.amdhsa_group_segment_fixed_size 20740
		.amdhsa_private_segment_fixed_size 0
		.amdhsa_kernarg_size 352
		.amdhsa_user_sgpr_count 2
		.amdhsa_user_sgpr_dispatch_ptr 0
		.amdhsa_user_sgpr_queue_ptr 0
		.amdhsa_user_sgpr_kernarg_segment_ptr 1
		.amdhsa_user_sgpr_dispatch_id 0
		.amdhsa_user_sgpr_kernarg_preload_length 0
		.amdhsa_user_sgpr_kernarg_preload_offset 0
		.amdhsa_user_sgpr_private_segment_size 0
		.amdhsa_wavefront_size32 1
		.amdhsa_uses_dynamic_stack 0
		.amdhsa_enable_private_segment 0
		.amdhsa_system_sgpr_workgroup_id_x 1
		.amdhsa_system_sgpr_workgroup_id_y 0
		.amdhsa_system_sgpr_workgroup_id_z 1
		.amdhsa_system_sgpr_workgroup_info 0
		.amdhsa_system_vgpr_workitem_id 1
		.amdhsa_next_free_vgpr 92
		.amdhsa_next_free_sgpr 105
		.amdhsa_named_barrier_count 0
		.amdhsa_reserve_vcc 1
		.amdhsa_float_round_mode_32 0
		.amdhsa_float_round_mode_16_64 0
		.amdhsa_float_denorm_mode_32 3
		.amdhsa_float_denorm_mode_16_64 3
		.amdhsa_fp16_overflow 0
		.amdhsa_memory_ordered 1
		.amdhsa_forward_progress 1
		.amdhsa_inst_pref_size 255
		.amdhsa_round_robin_scheduling 0
		.amdhsa_exception_fp_ieee_invalid_op 0
		.amdhsa_exception_fp_denorm_src 0
		.amdhsa_exception_fp_ieee_div_zero 0
		.amdhsa_exception_fp_ieee_overflow 0
		.amdhsa_exception_fp_ieee_underflow 0
		.amdhsa_exception_fp_ieee_inexact 0
		.amdhsa_exception_int_div_zero 0
	.end_amdhsa_kernel
	.section	.text._ZL19rocblas_trsv_deviceILi64ELi16ELb1ELb1ELb0ELb0EfPKfS1_PfEviT7_lllT6_T8_lllPii,"axG",@progbits,_ZL19rocblas_trsv_deviceILi64ELi16ELb1ELb1ELb0ELb0EfPKfS1_PfEviT7_lllT6_T8_lllPii,comdat
.Lfunc_end11:
	.size	_ZL19rocblas_trsv_deviceILi64ELi16ELb1ELb1ELb0ELb0EfPKfS1_PfEviT7_lllT6_T8_lllPii, .Lfunc_end11-_ZL19rocblas_trsv_deviceILi64ELi16ELb1ELb1ELb0ELb0EfPKfS1_PfEviT7_lllT6_T8_lllPii
                                        ; -- End function
	.set _ZL19rocblas_trsv_deviceILi64ELi16ELb1ELb1ELb0ELb0EfPKfS1_PfEviT7_lllT6_T8_lllPii.num_vgpr, 92
	.set _ZL19rocblas_trsv_deviceILi64ELi16ELb1ELb1ELb0ELb0EfPKfS1_PfEviT7_lllT6_T8_lllPii.num_agpr, 0
	.set _ZL19rocblas_trsv_deviceILi64ELi16ELb1ELb1ELb0ELb0EfPKfS1_PfEviT7_lllT6_T8_lllPii.numbered_sgpr, 105
	.set _ZL19rocblas_trsv_deviceILi64ELi16ELb1ELb1ELb0ELb0EfPKfS1_PfEviT7_lllT6_T8_lllPii.num_named_barrier, 0
	.set _ZL19rocblas_trsv_deviceILi64ELi16ELb1ELb1ELb0ELb0EfPKfS1_PfEviT7_lllT6_T8_lllPii.private_seg_size, 0
	.set _ZL19rocblas_trsv_deviceILi64ELi16ELb1ELb1ELb0ELb0EfPKfS1_PfEviT7_lllT6_T8_lllPii.uses_vcc, 1
	.set _ZL19rocblas_trsv_deviceILi64ELi16ELb1ELb1ELb0ELb0EfPKfS1_PfEviT7_lllT6_T8_lllPii.uses_flat_scratch, 0
	.set _ZL19rocblas_trsv_deviceILi64ELi16ELb1ELb1ELb0ELb0EfPKfS1_PfEviT7_lllT6_T8_lllPii.has_dyn_sized_stack, 0
	.set _ZL19rocblas_trsv_deviceILi64ELi16ELb1ELb1ELb0ELb0EfPKfS1_PfEviT7_lllT6_T8_lllPii.has_recursion, 0
	.set _ZL19rocblas_trsv_deviceILi64ELi16ELb1ELb1ELb0ELb0EfPKfS1_PfEviT7_lllT6_T8_lllPii.has_indirect_call, 0
	.section	.AMDGPU.csdata,"",@progbits
; Kernel info:
; codeLenInByte = 40080
; TotalNumSgprs: 107
; NumVgprs: 92
; ScratchSize: 0
; MemoryBound: 0
; FloatMode: 240
; IeeeMode: 1
; LDSByteSize: 20740 bytes/workgroup (compile time only)
; SGPRBlocks: 0
; VGPRBlocks: 5
; NumSGPRsForWavesPerEU: 107
; NumVGPRsForWavesPerEU: 92
; NamedBarCnt: 0
; Occupancy: 10
; WaveLimiterHint : 0
; COMPUTE_PGM_RSRC2:SCRATCH_EN: 0
; COMPUTE_PGM_RSRC2:USER_SGPR: 2
; COMPUTE_PGM_RSRC2:TRAP_HANDLER: 0
; COMPUTE_PGM_RSRC2:TGID_X_EN: 1
; COMPUTE_PGM_RSRC2:TGID_Y_EN: 0
; COMPUTE_PGM_RSRC2:TGID_Z_EN: 1
; COMPUTE_PGM_RSRC2:TIDIG_COMP_CNT: 1
	.section	.text._ZL19rocblas_trsv_deviceILi64ELi16ELb1ELb1ELb1ELb0EfPKfS1_PfEviT7_lllT6_T8_lllPii,"axG",@progbits,_ZL19rocblas_trsv_deviceILi64ELi16ELb1ELb1ELb1ELb0EfPKfS1_PfEviT7_lllT6_T8_lllPii,comdat
	.globl	_ZL19rocblas_trsv_deviceILi64ELi16ELb1ELb1ELb1ELb0EfPKfS1_PfEviT7_lllT6_T8_lllPii ; -- Begin function _ZL19rocblas_trsv_deviceILi64ELi16ELb1ELb1ELb1ELb0EfPKfS1_PfEviT7_lllT6_T8_lllPii
	.p2align	8
	.type	_ZL19rocblas_trsv_deviceILi64ELi16ELb1ELb1ELb1ELb0EfPKfS1_PfEviT7_lllT6_T8_lllPii,@function
_ZL19rocblas_trsv_deviceILi64ELi16ELb1ELb1ELb1ELb0EfPKfS1_PfEviT7_lllT6_T8_lllPii: ; @_ZL19rocblas_trsv_deviceILi64ELi16ELb1ELb1ELb1ELb0EfPKfS1_PfEviT7_lllT6_T8_lllPii
; %bb.0:
	s_load_b32 s5, s[0:1], 0x58
	s_bfe_u32 s2, ttmp6, 0x40014
	s_lshr_b32 s3, ttmp7, 16
	s_add_co_i32 s2, s2, 1
	s_bfe_u32 s4, ttmp6, 0x40008
	s_mul_i32 s2, s3, s2
	s_getreg_b32 s6, hwreg(HW_REG_IB_STS2, 6, 4)
	s_add_co_i32 s4, s4, s2
	s_cmp_eq_u32 s6, 0
	s_mov_b32 s85, 0
	s_cselect_b32 s84, s3, s4
                                        ; implicit-def: $vgpr91 : SGPR spill to VGPR lane
	s_wait_kmcnt 0x0
	s_cmp_ge_u32 s84, s5
	v_writelane_b32 v91, s5, 0
	s_cbranch_scc1 .LBB12_1257
; %bb.1:
	s_clause 0x3
	s_load_b512 s[64:79], s[0:1], 0x8
	s_load_b32 s7, s[0:1], 0x6c
	s_load_b32 s89, s[0:1], 0x60
	;; [unrolled: 1-line block ×3, first 2 shown]
	s_bfe_u32 s3, ttmp6, 0x4000c
	s_and_b32 s2, ttmp6, 15
	s_add_co_i32 s3, s3, 1
	v_and_b32_e32 v2, 0x3ff, v0
	s_mul_i32 s3, ttmp9, s3
	v_mov_b32_e32 v5, 0
	s_add_co_i32 s8, s2, s3
	v_bfe_u32 v26, v0, 10, 10
	v_lshlrev_b32_e32 v1, 6, v2
                                        ; implicit-def: $vgpr90 : SGPR spill to VGPR lane
                                        ; implicit-def: $vgpr89 : SGPR spill to VGPR lane
                                        ; implicit-def: $vgpr88 : SGPR spill to VGPR lane
	v_mul_i32_i24_e32 v76, 0xffffff04, v2
	v_mov_b32_e32 v3, v5
	v_mul_u32_u24_e32 v24, 0xfc, v2
	v_add_nc_u32_e32 v21, 16, v26
	v_lshl_add_u32 v20, v26, 6, v2
	v_add_nc_u32_e32 v78, 48, v26
	v_mul_lo_u32 v76, v76, 6
	s_wait_kmcnt 0x0
	s_lshl_b64 s[4:5], s[66:67], 2
	s_lshl_b64 s[2:3], s[76:77], 2
	s_cmp_eq_u32 s6, 0
	s_add_nc_u64 s[4:5], s[64:65], s[4:5]
	s_cselect_b32 s67, ttmp9, s8
	s_and_b32 s6, s7, 0xffff
	s_add_co_i32 s7, s86, -1
	s_ashr_i32 s87, s86, 31
	s_ashr_i32 s8, s7, 31
	s_lshr_b32 s9, s87, 26
	s_lshr_b32 s8, s8, 26
	s_add_co_i32 s9, s86, s9
	s_add_co_i32 s89, s89, -1
	s_add_co_i32 s7, s7, s8
	s_and_not1_b32 s9, s9, 63
	s_sub_co_i32 s18, s89, s67
	s_ashr_i32 s7, s7, 6
	s_sub_co_i32 s17, s86, s9
	s_cmp_eq_u32 s7, s18
	s_add_nc_u64 s[2:3], s[74:75], s[2:3]
	s_cselect_b32 s7, -1, 0
	s_cmp_lg_u32 s17, 0
	v_lshl_add_u32 v11, v21, 6, v2
	s_cselect_b32 s8, -1, 0
	v_mad_u32_u24 v4, v26, s6, v2
	s_and_b32 s19, s8, s7
	s_add_nc_u64 s[8:9], s[68:69], 1
	s_xor_b32 s90, s19, -1
	s_cmp_lg_u32 s67, 0
	v_lshl_add_u32 v17, v78, 6, v2
	s_cselect_b32 s7, -1, 0
	s_lshl_b32 s12, s18, 6
	v_writelane_b32 v91, s7, 1
	v_mad_nc_u64_u32 v[18:19], s8, s12, v[2:3]
	s_cmp_lt_i32 s67, 5
	v_dual_add_nc_u32 v10, v26, v1 :: v_dual_add_nc_u32 v14, s12, v26
	v_writelane_b32 v91, s4, 2
	s_cselect_b32 vcc_lo, -1, 0
	s_delay_alu instid0(VALU_DEP_2) | instid1(SALU_CYCLE_1)
	v_dual_cndmask_b32 v25, v20, v10, vcc_lo :: v_dual_bitop2_b32 v16, 1, v0 bitop3:0x40
	v_dual_add_nc_u32 v12, s12, v2 :: v_dual_add_nc_u32 v3, v21, v1
	v_writelane_b32 v91, s5, 3
	s_ashr_i32 s13, s12, 31
	s_or_b32 vcc_lo, vcc_lo, s19
	v_cmp_eq_u32_e64 s4, 1, v16
	v_dual_add_nc_u32 v6, 64, v14 :: v_dual_ashrrev_i32 v13, 31, v12
	v_writelane_b32 v91, s2, 4
	v_dual_cndmask_b32 v23, v11, v3 :: v_dual_lshrrev_b32 v10, 1, v20
	v_dual_lshlrev_b32 v11, 2, v16 :: v_dual_lshlrev_b32 v29, 2, v2
	v_writelane_b32 v91, s3, 5
	s_mul_i32 s2, s8, s13
	s_mul_i32 s3, s9, s12
	v_dual_ashrrev_i32 v7, 31, v6 :: v_dual_lshrrev_b32 v15, 10, v0
	v_add3_u32 v19, s2, s3, v19
	v_cmp_gt_u32_e64 s2, 4, v20
	s_xor_b32 s3, s4, -1
	v_lshl_add_u32 v3, v10, 2, 0x4000
	v_lshl_or_b32 v27, v10, 8, v11
	v_mul_u32_u24_e32 v28, 0x104, v10
	s_and_b32 s93, s3, s2
	v_cmp_eq_u32_e64 s3, 0, v26
	v_lshrrev_b32_e32 v10, 2, v20
	v_cmp_gt_u32_e64 s5, 2, v2
	v_dual_lshlrev_b32 v31, 8, v2 :: v_dual_bitop2_b32 v11, 3, v0 bitop3:0x40
	v_bitop3_b32 v22, v0, v15, 0x3ff bitop3:0xa8
	s_and_b32 s94, s4, s2
	v_and_b32_e32 v15, -4, v20
	v_mul_u32_u24_e32 v30, 0x104, v10
	s_and_b32 s95, s3, s5
	v_cmp_gt_u32_e64 s4, 16, v20
	v_cmp_eq_u32_e64 s5, 0, v11
	v_cmp_ne_u32_e64 s6, 0, v11
	v_lshlrev_b32_e32 v32, 2, v11
	v_sub_nc_u32_e32 v16, v30, v15
	v_cmp_eq_u32_e64 s7, 1, v11
	v_cmp_lt_u32_e64 s8, 1, v11
	v_cmp_eq_u32_e64 s9, 2, v11
	s_and_b32 s96, s5, s4
	s_and_b32 s97, s6, s4
	v_cmp_eq_u32_e64 s5, 3, v11
	v_cmp_gt_u32_e64 s6, 4, v2
	v_and_b32_e32 v11, 7, v0
	s_and_b32 s98, s7, s4
	v_lshl_or_b32 v35, v10, 8, v32
	s_and_b32 s101, s5, s4
	s_and_b32 s102, s3, s6
	v_cmp_gt_u32_e64 s5, 64, v20
	v_cmp_eq_u32_e64 s6, 0, v11
	v_cmp_ne_u32_e64 s7, 0, v11
	s_and_b32 s99, s8, s4
	v_lshrrev_b32_e32 v10, 3, v20
	v_cmp_eq_u32_e64 s8, 1, v11
	s_and_b32 s103, s6, s5
	s_and_b32 s104, s7, s5
	v_cmp_eq_u32_e64 s6, 2, v11
	v_cmp_lt_u32_e64 s7, 2, v11
	v_add_nc_u32_e32 v34, 0x4000, v15
	v_dual_add_nc_u32 v36, v16, v32 :: v_dual_lshlrev_b32 v15, 2, v10
	s_and_b32 s39, s6, s5
	v_cmp_lt_u32_e64 s6, 3, v11
	s_and_b32 s40, s7, s5
	v_cmp_eq_u32_e64 s7, 4, v11
	v_mul_u32_u24_e32 v39, 0x104, v10
	s_and_b32 vcc_hi, s8, s5
	v_cmp_eq_u32_e64 s8, 3, v11
	s_and_b32 s42, s6, s5
	v_cmp_lt_u32_e64 s6, 4, v11
	s_and_b32 s43, s7, s5
	v_cmp_lt_u32_e64 s7, 5, v11
	s_and_b32 s100, s9, s4
	v_lshlrev_b32_e32 v41, 2, v11
	v_sub_nc_u32_e32 v16, v39, v15
	v_cmp_lt_u32_e64 s9, 1, v11
	s_and_b32 s41, s8, s5
	v_cmp_eq_u32_e64 s8, 5, v11
	s_and_b32 s44, s6, s5
	v_cmp_eq_u32_e64 s6, 6, v11
	;; [unrolled: 2-line block ×3, first 2 shown]
	v_and_b32_e32 v11, 15, v0
	s_and_b32 s45, s8, s5
	v_cmp_gt_u32_e64 s8, 8, v2
	s_and_b32 s47, s6, s5
	s_and_b32 s48, s7, s5
	v_cmp_gt_u32_e64 s6, 0x100, v20
	v_cmp_eq_u32_e64 s7, 0, v11
	s_and_b32 s49, s3, s8
	v_cmp_ne_u32_e64 s8, 0, v11
	s_and_b32 s38, s9, s5
	v_cmp_eq_u32_e64 s9, 1, v11
	s_and_b32 s7, s7, s6
	v_lshl_or_b32 v44, v10, 8, v41
	v_writelane_b32 v91, s7, 6
	s_and_b32 s7, s8, s6
	s_and_b32 s8, s9, s6
	v_cmp_lt_u32_e64 s9, 2, v11
	v_lshrrev_b32_e32 v10, 4, v20
	v_writelane_b32 v91, s7, 7
	v_cmp_lt_u32_e64 s7, 1, v11
	v_add_nc_u32_e32 v43, 0x4000, v15
	s_and_b32 s55, s9, s6
	v_cmp_eq_u32_e64 s9, 5, v11
	v_writelane_b32 v91, s8, 8
	s_and_b32 s7, s7, s6
	v_cmp_eq_u32_e64 s8, 2, v11
	v_dual_add_nc_u32 v45, v16, v41 :: v_dual_lshlrev_b32 v15, 2, v10
	v_writelane_b32 v91, s7, 9
	v_cmp_lt_u32_e64 s7, 3, v11
	s_and_b32 s54, s8, s6
	v_cmp_eq_u32_e64 s8, 4, v11
	s_and_b32 s60, s9, s6
	v_cmp_lt_u32_e64 s9, 7, v11
	s_and_b32 s57, s7, s6
	v_cmp_lt_u32_e64 s7, 4, v11
	s_and_b32 s58, s8, s6
	v_cmp_eq_u32_e64 s8, 6, v11
	v_mul_u32_u24_e32 v53, 0x104, v10
	s_and_b32 s14, s9, s6
	s_and_b32 s59, s7, s6
	v_cmp_lt_u32_e64 s7, 6, v11
	s_and_b32 s64, s8, s6
	v_cmp_eq_u32_e64 s8, 7, v11
	v_cmp_eq_u32_e64 s9, 10, v11
	v_add_nc_u32_e32 v56, 0x4000, v15
	s_and_b32 s65, s7, s6
	v_cmp_lt_u32_e64 s7, 8, v11
	s_and_b32 s66, s8, s6
	v_cmp_eq_u32_e64 s8, 9, v11
	v_dual_sub_nc_u32 v15, v53, v15 :: v_dual_bitop2_b32 v0, 31, v0 bitop3:0x40
	s_and_b32 s16, s7, s6
	v_cmp_lt_u32_e64 s7, 9, v11
	s_and_b32 s26, s8, s6
	v_cmp_eq_u32_e64 s8, 11, v11
	s_and_b32 s30, s9, s6
	v_cmp_lt_u32_e64 s9, 12, v11
	s_and_b32 s28, s7, s6
	v_cmp_lt_u32_e64 s7, 11, v11
	s_and_b32 s35, s8, s6
	v_cmp_eq_u32_e64 s8, 12, v11
	v_cmp_eq_u32_e64 s10, 3, v11
	s_and_b32 s29, s9, s6
	s_and_b32 s37, s7, s6
	v_cmp_lt_u32_e64 s7, 13, v11
	s_and_b32 s27, s8, s6
	v_cmp_eq_u32_e64 s8, 14, v11
	v_cmp_gt_u32_e64 s9, 16, v2
	v_lshlrev_b32_e32 v55, 2, v11
	s_and_b32 s34, s7, s6
	v_cmp_eq_u32_e64 s7, 15, v11
	s_and_b32 s36, s8, s6
	v_cmp_eq_u32_e64 s8, 0, v0
	s_and_b32 s56, s10, s6
	v_cmp_lt_u32_e64 s10, 5, v11
	s_and_b32 s88, s7, s6
	v_cmp_gt_u32_e64 s7, 0x400, v20
	s_and_b32 s91, s3, s9
	v_cmp_ne_u32_e64 s9, 0, v0
	v_lshl_or_b32 v57, v10, 8, v55
	s_and_b32 s63, s10, s6
	s_and_b32 s8, s8, s7
	v_cmp_eq_u32_e64 s10, 8, v11
	v_lshrrev_b32_e32 v10, 5, v20
	v_writelane_b32 v91, s8, 10
	s_and_b32 s8, s9, s7
	v_lshlrev_b32_e32 v61, 2, v0
	s_and_b32 s15, s10, s6
	v_cmp_lt_u32_e64 s10, 10, v11
	v_lshlrev_b32_e32 v60, 8, v10
	v_writelane_b32 v91, s8, 11
	v_cmp_eq_u32_e64 s8, 1, v0
	v_add_nc_u32_e32 v77, 32, v26
	s_and_b32 s33, s10, s6
	v_cmp_eq_u32_e64 s10, 13, v11
	v_or_b32_e32 v63, v60, v61
	v_cmp_lt_u32_e64 s9, 1, v0
	s_and_b32 s8, s8, s7
	v_dual_add_nc_u32 v58, v15, v55 :: v_dual_lshlrev_b32 v59, 2, v10
	v_writelane_b32 v91, s8, 12
	s_and_b32 s31, s10, s6
	v_add_nc_u32_e32 v15, v77, v1
	v_lshl_add_u32 v16, v77, 6, v2
	v_dual_add_nc_u32 v1, v78, v1 :: v_dual_lshlrev_b32 v75, 2, v26
	v_cmp_eq_u32_e64 s10, 2, v0
	s_and_b32 s8, s9, s7
	s_xor_b32 s92, vcc_lo, -1
	v_writelane_b32 v91, s8, 13
	v_dual_cndmask_b32 v73, v16, v15 :: v_dual_cndmask_b32 v74, v17, v1
	v_cmp_lt_u32_e32 vcc_lo, 2, v0
	s_and_b32 s8, s10, s7
	v_cmp_eq_u32_e64 s11, 3, v0
	v_writelane_b32 v91, s8, 14
	v_add_nc_u64_e32 v[10:11], s[12:13], v[4:5]
	s_and_b32 s8, vcc_lo, s7
	v_cmp_lt_u32_e32 vcc_lo, 3, v0
	v_cmp_gt_i32_e64 s9, s86, v6
	v_writelane_b32 v91, s8, 15
	s_and_b32 s8, s11, s7
	v_mul_u64_e32 v[8:9], s[68:69], v[12:13]
	v_add_nc_u32_e32 v15, 0x60, v14
	v_add_nc_u32_e32 v71, 0x70, v14
	v_writelane_b32 v91, s8, 16
	s_and_b32 s8, vcc_lo, s7
	v_cmp_eq_u32_e32 vcc_lo, 4, v0
	v_cmp_le_i32_e64 s12, s17, v78
	v_cmp_ne_u32_e64 s20, v2, v78
	v_writelane_b32 v91, s8, 17
	v_cmp_gt_u32_e64 s50, 0xf0, v20
	s_and_b32 s8, vcc_lo, s7
	v_cmp_lt_u32_e32 vcc_lo, 4, v0
	v_mad_u32_u24 v33, 0xfc, v2, v29
	v_writelane_b32 v91, s8, 18
	v_mul_u64_e32 v[10:11], s[78:79], v[10:11]
	v_or_b32_e32 v66, 0x5000, v75
	s_and_b32 s8, vcc_lo, s7
	v_cmp_eq_u32_e32 vcc_lo, 5, v0
	v_writelane_b32 v91, s8, 19
	v_mad_i32_i24 v37, 0xffffff04, v2, v33
	v_mad_nc_u64_u32 v[16:17], s68, v77, v[18:19]
	v_mad_u32 v24, v24, 7, v76
	s_and_b32 s8, vcc_lo, s7
	v_cmp_lt_u32_e32 vcc_lo, 5, v0
	v_writelane_b32 v91, s8, 20
	v_mad_u32_u24 v38, 0xfc, v2, v37
	v_add_nc_u32_e32 v70, v66, v29
	s_load_b128 s[80:83], s[0:1], 0x48
	s_and_b32 s8, vcc_lo, s7
	v_cmp_eq_u32_e32 vcc_lo, 6, v0
	v_writelane_b32 v91, s8, 21
	v_mad_i32_i24 v40, 0xffffff04, v2, v38
	v_mul_u32_u24_e32 v76, 0xf8, v2
	v_mad_u32 v17, s69, v77, v17
	s_and_b32 s8, vcc_lo, s7
	v_cmp_lt_u32_e32 vcc_lo, 6, v0
	v_writelane_b32 v91, s8, 22
	v_mad_u32_u24 v42, 0xfc, v2, v40
	v_mad_i32_i24 v64, 0xffffff04, v2, v31
	v_dual_add_nc_u32 v75, v31, v75 :: v_dual_bitop2_b32 v82, v78, v2 bitop3:0x54
	s_and_b32 s8, vcc_lo, s7
	v_cmp_eq_u32_e32 vcc_lo, 7, v0
	v_writelane_b32 v91, s8, 23
	v_mad_i32_i24 v46, 0xffffff04, v2, v42
	v_dual_lshlrev_b32 v74, 2, v74 :: v_dual_sub_nc_u32 v24, v24, v76
	s_and_b32 s8, vcc_lo, s7
	v_cmp_lt_u32_e32 vcc_lo, 7, v0
	v_writelane_b32 v91, s8, 24
	v_mad_u32_u24 v47, 0xfc, v2, v46
	v_add_nc_u32_e32 v62, 0x4000, v59
	v_lshl_add_u32 v65, v4, 2, 0x5000
	s_and_b32 s8, vcc_lo, s7
	v_cmp_eq_u32_e32 vcc_lo, 8, v0
	v_writelane_b32 v91, s8, 25
	v_mad_i32_i24 v48, 0xffffff04, v2, v47
	v_lshl_add_u32 v67, v20, 2, 0x4000
	v_add_nc_u32_e32 v68, 0x4000, v29
	s_and_b32 s8, vcc_lo, s7
	v_cmp_lt_u32_e32 vcc_lo, 8, v0
	v_writelane_b32 v91, s8, 26
	v_mad_u32_u24 v49, 0xfc, v2, v48
	v_lshl_add_u32 v69, v26, 8, v64
	v_add_nc_u32_e32 v76, 0x3c00, v24
	s_and_b32 s8, vcc_lo, s7
	v_cmp_eq_u32_e32 vcc_lo, 9, v0
	v_writelane_b32 v91, s8, 27
	v_mad_i32_i24 v50, 0xffffff04, v2, v49
	v_cmp_gt_u32_e64 s21, 56, v20
	v_cmp_gt_u32_e64 s22, 48, v20
	s_and_b32 s8, vcc_lo, s7
	v_cmp_lt_u32_e32 vcc_lo, 9, v0
	v_writelane_b32 v91, s8, 28
	v_mad_u32_u24 v51, 0xfc, v2, v50
	v_cmp_gt_u32_e64 s23, 40, v20
	v_cmp_gt_u32_e64 s24, 32, v20
	s_and_b32 s8, vcc_lo, s7
	v_cmp_eq_u32_e32 vcc_lo, 10, v0
	v_writelane_b32 v91, s8, 29
	v_mad_i32_i24 v52, 0xffffff04, v2, v51
	v_cmp_gt_u32_e64 s25, 24, v20
	v_cmp_eq_u32_e64 s61, 0, v4
	s_and_b32 s8, vcc_lo, s7
	v_cmp_lt_u32_e32 vcc_lo, 10, v0
	v_writelane_b32 v91, s8, 30
	v_mad_u32_u24 v54, 0xfc, v2, v52
	v_cmp_gt_u32_e64 s62, 64, v4
                                        ; implicit-def: $vgpr79
                                        ; implicit-def: $vgpr80
                                        ; implicit-def: $vgpr81
	v_lshlrev_b32_e32 v72, 2, v23
	s_and_b32 s8, vcc_lo, s7
	v_cmp_eq_u32_e32 vcc_lo, 11, v0
	v_writelane_b32 v91, s8, 31
	v_dual_lshlrev_b32 v73, 2, v73 :: v_dual_bitop2_b32 v23, v77, v2 bitop3:0x54
	s_and_b32 s8, vcc_lo, s7
	v_cmp_lt_u32_e32 vcc_lo, 11, v0
	v_writelane_b32 v90, s8, 0
	s_and_b32 s8, vcc_lo, s7
	v_cmp_eq_u32_e32 vcc_lo, 12, v0
	v_writelane_b32 v90, s8, 1
	s_and_b32 s8, vcc_lo, s7
	v_cmp_lt_u32_e32 vcc_lo, 12, v0
	v_writelane_b32 v90, s8, 2
	s_and_b32 s8, vcc_lo, s7
	v_cmp_eq_u32_e32 vcc_lo, 13, v0
	v_writelane_b32 v90, s8, 3
	;; [unrolled: 6-line block ×19, first 2 shown]
	s_and_b32 s8, vcc_lo, s7
	v_cmp_eq_u32_e32 vcc_lo, 31, v0
	v_writelane_b32 v89, s8, 6
	v_mul_u64_e32 v[0:1], s[78:79], v[12:13]
	v_add_nc_u32_e32 v13, 0x50, v14
	s_and_b32 s13, vcc_lo, s7
	v_cmp_gt_u32_e32 vcc_lo, 32, v2
	s_and_b32 s8, s3, vcc_lo
	v_cmp_le_i32_e32 vcc_lo, s17, v2
	v_writelane_b32 v89, s8, 7
	s_and_b32 s8, vcc_lo, s19
	v_cmp_ne_u32_e64 s19, v2, v77
	v_writelane_b32 v89, s8, 8
	s_xor_b32 s8, s8, -1
	s_delay_alu instid0(SALU_CYCLE_1)
	s_and_b32 s76, s3, s8
	v_cmp_gt_i32_e64 s8, s17, v2
	s_cmp_gt_i32 s67, 0
	s_cselect_b32 s77, -1, 0
	s_add_co_i32 s74, s18, 1
	s_and_b32 s8, s3, s8
	s_delay_alu instid0(SALU_CYCLE_1) | instskip(SKIP_2) | instid1(SALU_CYCLE_1)
	v_writelane_b32 v89, s8, 9
	v_cmp_gt_i32_e64 s8, s86, v12
	s_and_b32 s9, s9, s8
	v_writelane_b32 v89, s9, 10
	v_cmp_gt_i32_e64 s9, s86, v13
	v_mad_nc_u64_u32 v[12:13], s68, v26, v[18:19]
	s_and_b32 s9, s9, s8
	s_delay_alu instid0(SALU_CYCLE_1)
	v_writelane_b32 v89, s9, 11
	v_cmp_gt_i32_e64 s9, s86, v15
	v_mad_nc_u64_u32 v[14:15], s68, v21, v[18:19]
	v_mad_nc_u64_u32 v[18:19], s68, v78, v[18:19]
	v_mad_u32 v13, s69, v26, v13
	s_and_b32 s9, s9, s8
	s_delay_alu instid0(SALU_CYCLE_1)
	v_writelane_b32 v89, s9, 12
	v_cmp_gt_i32_e64 s9, s86, v71
	v_dual_lshlrev_b32 v71, 2, v25 :: v_dual_bitop2_b32 v25, v21, v2 bitop3:0x54
	v_mad_u32 v15, s69, v21, v15
	s_and_b32 s9, s9, s8
	v_mad_u32 v19, s69, v78, v19
	v_writelane_b32 v89, s9, 13
	v_cmp_le_i32_e64 s9, s17, v26
	s_or_b32 s10, s9, vcc_lo
	v_cmp_le_u32_e64 s9, v2, v26
	s_or_b32 s10, s10, s9
	s_delay_alu instid0(SALU_CYCLE_1) | instskip(SKIP_4) | instid1(SALU_CYCLE_1)
	v_writelane_b32 v89, s10, 14
	v_cmp_le_i32_e64 s10, s17, v21
	s_or_b32 s11, s10, vcc_lo
	v_cmp_le_u32_e64 s10, v2, v21
	s_or_b32 s11, s11, s10
	v_writelane_b32 v89, s11, 15
	v_cmp_le_i32_e64 s11, s17, v77
	s_or_b32 s18, s11, vcc_lo
	v_cmp_le_u32_e64 s11, v2, v77
	v_subrev_nc_u32_e32 v77, 63, v2
	s_or_b32 s17, s18, s11
	v_cmp_ne_u32_e64 s18, v2, v21
	v_writelane_b32 v89, s17, 16
	s_or_b32 s17, s12, vcc_lo
	v_cmp_le_u32_e64 s12, v2, v78
                                        ; implicit-def: $vgpr78
	s_or_b32 s17, s17, s12
	s_delay_alu instid0(SALU_CYCLE_1) | instskip(SKIP_1) | instid1(VALU_DEP_1)
	v_writelane_b32 v89, s17, 17
	v_cmp_ne_u32_e64 s17, v2, v26
	v_writelane_b32 v89, s17, 18
	s_or_b32 s17, vcc_lo, s17
	s_delay_alu instid0(SALU_CYCLE_1)
	v_writelane_b32 v89, s17, 19
	s_or_b32 s17, vcc_lo, s18
	v_writelane_b32 v89, s18, 20
	v_cmp_gt_u32_e64 s18, 2, v20
	v_writelane_b32 v89, s17, 21
	s_or_b32 s17, vcc_lo, s19
	v_writelane_b32 v89, s19, 22
	v_cmp_gt_u32_e64 s19, 12, v20
	;; [unrolled: 4-line block ×3, first 2 shown]
	v_writelane_b32 v89, s17, 25
	v_cmp_eq_u32_e64 s17, 0, v22
	v_writelane_b32 v89, s50, 26
	v_cmp_gt_u32_e64 s50, 0xe0, v20
	s_delay_alu instid0(VALU_DEP_1) | instskip(SKIP_1) | instid1(VALU_DEP_1)
	v_writelane_b32 v89, s50, 27
	v_cmp_gt_u32_e64 s50, 0xd0, v20
	v_writelane_b32 v89, s50, 28
	v_cmp_gt_u32_e64 s50, 0xc0, v20
	s_delay_alu instid0(VALU_DEP_1) | instskip(SKIP_1) | instid1(VALU_DEP_1)
	v_writelane_b32 v89, s50, 29
	v_cmp_gt_u32_e64 s50, 0xb0, v20
	;; [unrolled: 5-line block ×18, first 2 shown]
	v_writelane_b32 v88, s50, 30
	v_cmp_gt_u32_e64 s50, 64, v82
	s_delay_alu instid0(VALU_DEP_1)
	v_writelane_b32 v88, s50, 31
	s_branch .LBB12_3
.LBB12_2:                               ;   in Loop: Header=BB12_3 Depth=1
	s_wait_xcnt 0x0
	s_or_b32 exec_lo, exec_lo, s0
	v_readlane_b32 s0, v91, 0
	s_add_co_i32 s84, s84, 0x10000
	global_wb scope:SCOPE_DEV
	s_wait_storecnt 0x0
	global_inv scope:SCOPE_DEV
	s_cmp_lt_u32 s84, s0
	s_cbranch_scc0 .LBB12_1257
.LBB12_3:                               ; =>This Loop Header: Depth=1
                                        ;     Child Loop BB12_1110 Depth 2
                                        ;       Child Loop BB12_1112 Depth 3
                                        ;     Child Loop BB12_1147 Depth 2
	global_load_b32 v24, v5, s[72:73]
	v_readlane_b32 s50, v91, 2
	v_readlane_b32 s51, v91, 3
	s_mul_u64 s[0:1], s[70:71], s[84:85]
	s_delay_alu instid0(SALU_CYCLE_1) | instskip(NEXT) | instid1(SALU_CYCLE_1)
	s_lshl_b64 s[0:1], s[0:1], 2
	s_add_nc_u64 s[0:1], s[50:51], s[0:1]
	v_readlane_b32 s50, v91, 1
	v_lshl_add_u64 v[20:21], v[8:9], 2, s[0:1]
	s_and_not1_b32 vcc_lo, exec_lo, s50
	s_cbranch_vccnz .LBB12_13
; %bb.4:                                ;   in Loop: Header=BB12_3 Depth=1
	s_delay_alu instid0(VALU_DEP_1)
	v_lshl_add_u64 v[22:23], v[6:7], 2, v[20:21]
	v_dual_mov_b32 v79, 0 :: v_dual_mov_b32 v78, 0
	s_wait_loadcnt 0x0
	s_barrier_signal -1
	s_barrier_wait -1
	s_wait_xcnt 0x0
	s_mov_b32 s50, exec_lo
	v_readlane_b32 s51, v89, 10
	s_and_b32 s51, s50, s51
	s_delay_alu instid0(SALU_CYCLE_1)
	s_mov_b32 exec_lo, s51
	s_cbranch_execz .LBB12_6
; %bb.5:                                ;   in Loop: Header=BB12_3 Depth=1
	global_load_b32 v78, v[22:23], off
.LBB12_6:                               ;   in Loop: Header=BB12_3 Depth=1
	s_wait_xcnt 0x0
	s_or_b32 exec_lo, exec_lo, s50
	s_wait_loadcnt 0x0
	s_barrier_signal -1
	s_barrier_wait -1
	s_mov_b32 s50, exec_lo
	v_readlane_b32 s51, v89, 11
	s_and_b32 s51, s50, s51
	s_delay_alu instid0(SALU_CYCLE_1)
	s_mov_b32 exec_lo, s51
	s_cbranch_execz .LBB12_8
; %bb.7:                                ;   in Loop: Header=BB12_3 Depth=1
	global_load_b32 v79, v[22:23], off offset:64
.LBB12_8:                               ;   in Loop: Header=BB12_3 Depth=1
	s_wait_xcnt 0x0
	s_or_b32 exec_lo, exec_lo, s50
	v_dual_mov_b32 v81, 0 :: v_dual_mov_b32 v80, 0
	s_wait_loadcnt 0x0
	s_barrier_signal -1
	s_barrier_wait -1
	s_mov_b32 s50, exec_lo
	v_readlane_b32 s51, v89, 12
	s_and_b32 s51, s50, s51
	s_delay_alu instid0(SALU_CYCLE_1)
	s_mov_b32 exec_lo, s51
	s_cbranch_execz .LBB12_10
; %bb.9:                                ;   in Loop: Header=BB12_3 Depth=1
	global_load_b32 v80, v[22:23], off offset:128
.LBB12_10:                              ;   in Loop: Header=BB12_3 Depth=1
	s_wait_xcnt 0x0
	s_or_b32 exec_lo, exec_lo, s50
	s_wait_loadcnt 0x0
	s_barrier_signal -1
	s_barrier_wait -1
	s_mov_b32 s50, exec_lo
	v_readlane_b32 s51, v89, 13
	s_and_b32 s51, s50, s51
	s_delay_alu instid0(SALU_CYCLE_1)
	s_mov_b32 exec_lo, s51
	s_cbranch_execz .LBB12_12
; %bb.11:                               ;   in Loop: Header=BB12_3 Depth=1
	global_load_b32 v81, v[22:23], off offset:192
.LBB12_12:                              ;   in Loop: Header=BB12_3 Depth=1
	s_wait_xcnt 0x0
	s_or_b32 exec_lo, exec_lo, s50
.LBB12_13:                              ;   in Loop: Header=BB12_3 Depth=1
	s_delay_alu instid0(SALU_CYCLE_1)
	s_and_not1_b32 vcc_lo, exec_lo, s90
	s_mov_b32 s50, -1
	s_cbranch_vccnz .LBB12_24
; %bb.14:                               ;   in Loop: Header=BB12_3 Depth=1
	s_wait_xcnt 0x0
	s_and_saveexec_b32 s50, s9
	s_delay_alu instid0(SALU_CYCLE_1)
	s_xor_b32 s68, exec_lo, s50
	s_cbranch_execnz .LBB12_1169
; %bb.15:                               ;   in Loop: Header=BB12_3 Depth=1
	s_and_not1_saveexec_b32 s50, s68
	s_cbranch_execnz .LBB12_1176
.LBB12_16:                              ;   in Loop: Header=BB12_3 Depth=1
	s_or_b32 exec_lo, exec_lo, s50
	s_and_saveexec_b32 s50, s10
	s_delay_alu instid0(SALU_CYCLE_1)
	s_xor_b32 s68, exec_lo, s50
	s_cbranch_execnz .LBB12_1177
.LBB12_17:                              ;   in Loop: Header=BB12_3 Depth=1
	s_and_not1_saveexec_b32 s50, s68
	s_cbranch_execnz .LBB12_1184
.LBB12_18:                              ;   in Loop: Header=BB12_3 Depth=1
	s_or_b32 exec_lo, exec_lo, s50
	s_and_saveexec_b32 s50, s11
	s_delay_alu instid0(SALU_CYCLE_1)
	s_xor_b32 s68, exec_lo, s50
	s_cbranch_execnz .LBB12_1185
.LBB12_19:                              ;   in Loop: Header=BB12_3 Depth=1
	s_and_not1_saveexec_b32 s50, s68
	s_cbranch_execnz .LBB12_1192
.LBB12_20:                              ;   in Loop: Header=BB12_3 Depth=1
	s_or_b32 exec_lo, exec_lo, s50
	s_and_saveexec_b32 s50, s12
	s_delay_alu instid0(SALU_CYCLE_1)
	s_xor_b32 s68, exec_lo, s50
	s_cbranch_execnz .LBB12_1193
.LBB12_21:                              ;   in Loop: Header=BB12_3 Depth=1
	s_and_not1_saveexec_b32 s50, s68
	s_cbranch_execz .LBB12_23
.LBB12_22:                              ;   in Loop: Header=BB12_3 Depth=1
	v_lshl_add_u64 v[22:23], v[18:19], 2, s[0:1]
	global_load_b32 v22, v[22:23], off
	s_wait_loadcnt 0x0
	v_xor_b32_e32 v22, 0x80000000, v22
	ds_store_b32 v74, v22
.LBB12_23:                              ;   in Loop: Header=BB12_3 Depth=1
	s_or_b32 exec_lo, exec_lo, s50
	s_mov_b32 s50, 0
.LBB12_24:                              ;   in Loop: Header=BB12_3 Depth=1
	s_delay_alu instid0(SALU_CYCLE_1)
	s_and_b32 vcc_lo, exec_lo, s50
	s_cbranch_vccz .LBB12_66
; %bb.25:                               ;   in Loop: Header=BB12_3 Depth=1
	s_wait_xcnt 0x0
	s_mov_b32 s50, exec_lo
	v_readlane_b32 s51, v89, 14
	s_and_b32 s51, s50, s51
	s_delay_alu instid0(SALU_CYCLE_1)
	s_xor_b32 s68, s51, s50
	s_mov_b32 exec_lo, s51
	s_cbranch_execz .LBB12_33
; %bb.26:                               ;   in Loop: Header=BB12_3 Depth=1
	s_mov_b32 s50, exec_lo
	v_readlane_b32 s51, v89, 19
	s_and_b32 s51, s50, s51
	s_delay_alu instid0(SALU_CYCLE_1)
	s_xor_b32 s50, s51, s50
	s_mov_b32 exec_lo, s51
	s_cbranch_execz .LBB12_30
; %bb.27:                               ;   in Loop: Header=BB12_3 Depth=1
	s_mov_b32 s51, exec_lo
	v_readlane_b32 s52, v88, 28
	s_and_b32 s52, s51, s52
	s_delay_alu instid0(SALU_CYCLE_1)
	s_mov_b32 exec_lo, s52
; %bb.28:                               ;   in Loop: Header=BB12_3 Depth=1
	ds_store_b32 v75, v5
; %bb.29:                               ;   in Loop: Header=BB12_3 Depth=1
	s_or_b32 exec_lo, exec_lo, s51
.LBB12_30:                              ;   in Loop: Header=BB12_3 Depth=1
	s_and_not1_saveexec_b32 s50, s50
	s_cbranch_execz .LBB12_32
; %bb.31:                               ;   in Loop: Header=BB12_3 Depth=1
	v_lshl_add_u64 v[22:23], v[12:13], 2, s[0:1]
	global_load_b32 v22, v[22:23], off
	s_wait_loadcnt 0x0
	v_div_scale_f32 v23, null, v22, v22, 1.0
	s_delay_alu instid0(VALU_DEP_1) | instskip(SKIP_1) | instid1(TRANS32_DEP_1)
	v_rcp_f32_e32 v25, v23
	v_nop
	v_fma_f32 v82, -v23, v25, 1.0
	s_delay_alu instid0(VALU_DEP_1) | instskip(SKIP_1) | instid1(VALU_DEP_1)
	v_fmac_f32_e32 v25, v82, v25
	v_div_scale_f32 v82, vcc_lo, 1.0, v22, 1.0
	v_mul_f32_e32 v83, v82, v25
	s_delay_alu instid0(VALU_DEP_1) | instskip(NEXT) | instid1(VALU_DEP_1)
	v_fma_f32 v84, -v23, v83, v82
	v_fmac_f32_e32 v83, v84, v25
	s_delay_alu instid0(VALU_DEP_1) | instskip(NEXT) | instid1(VALU_DEP_1)
	v_fma_f32 v23, -v23, v83, v82
	v_div_fmas_f32 v23, v23, v25, v83
	s_delay_alu instid0(VALU_DEP_1)
	v_div_fixup_f32 v22, v23, v22, 1.0
	ds_store_b32 v75, v22
.LBB12_32:                              ;   in Loop: Header=BB12_3 Depth=1
	s_or_b32 exec_lo, exec_lo, s50
.LBB12_33:                              ;   in Loop: Header=BB12_3 Depth=1
	s_and_not1_saveexec_b32 s50, s68
	s_cbranch_execz .LBB12_35
; %bb.34:                               ;   in Loop: Header=BB12_3 Depth=1
	v_lshl_add_u64 v[22:23], v[12:13], 2, s[0:1]
	global_load_b32 v22, v[22:23], off
	s_wait_loadcnt 0x0
	v_xor_b32_e32 v22, 0x80000000, v22
	ds_store_b32 v75, v22
.LBB12_35:                              ;   in Loop: Header=BB12_3 Depth=1
	s_or_b32 exec_lo, exec_lo, s50
	s_delay_alu instid0(SALU_CYCLE_1) | instskip(SKIP_2) | instid1(SALU_CYCLE_1)
	s_mov_b32 s50, exec_lo
	v_readlane_b32 s51, v89, 15
	s_and_b32 s51, s50, s51
	s_xor_b32 s68, s51, s50
	s_mov_b32 exec_lo, s51
	s_cbranch_execz .LBB12_43
; %bb.36:                               ;   in Loop: Header=BB12_3 Depth=1
	s_mov_b32 s50, exec_lo
	v_readlane_b32 s51, v89, 21
	s_and_b32 s51, s50, s51
	s_delay_alu instid0(SALU_CYCLE_1)
	s_xor_b32 s50, s51, s50
	s_mov_b32 exec_lo, s51
	s_cbranch_execz .LBB12_40
; %bb.37:                               ;   in Loop: Header=BB12_3 Depth=1
	s_mov_b32 s51, exec_lo
	v_readlane_b32 s52, v88, 29
	s_and_b32 s52, s51, s52
	s_delay_alu instid0(SALU_CYCLE_1)
	s_mov_b32 exec_lo, s52
; %bb.38:                               ;   in Loop: Header=BB12_3 Depth=1
	ds_store_b32 v72, v5
; %bb.39:                               ;   in Loop: Header=BB12_3 Depth=1
	s_or_b32 exec_lo, exec_lo, s51
.LBB12_40:                              ;   in Loop: Header=BB12_3 Depth=1
	s_and_not1_saveexec_b32 s50, s50
	s_cbranch_execz .LBB12_42
; %bb.41:                               ;   in Loop: Header=BB12_3 Depth=1
	v_lshl_add_u64 v[22:23], v[14:15], 2, s[0:1]
	global_load_b32 v22, v[22:23], off
	s_wait_loadcnt 0x0
	v_div_scale_f32 v23, null, v22, v22, 1.0
	s_delay_alu instid0(VALU_DEP_1) | instskip(SKIP_1) | instid1(TRANS32_DEP_1)
	v_rcp_f32_e32 v25, v23
	v_nop
	v_fma_f32 v82, -v23, v25, 1.0
	s_delay_alu instid0(VALU_DEP_1) | instskip(SKIP_1) | instid1(VALU_DEP_1)
	v_fmac_f32_e32 v25, v82, v25
	v_div_scale_f32 v82, vcc_lo, 1.0, v22, 1.0
	v_mul_f32_e32 v83, v82, v25
	s_delay_alu instid0(VALU_DEP_1) | instskip(NEXT) | instid1(VALU_DEP_1)
	v_fma_f32 v84, -v23, v83, v82
	v_fmac_f32_e32 v83, v84, v25
	s_delay_alu instid0(VALU_DEP_1) | instskip(NEXT) | instid1(VALU_DEP_1)
	v_fma_f32 v23, -v23, v83, v82
	v_div_fmas_f32 v23, v23, v25, v83
	s_delay_alu instid0(VALU_DEP_1)
	v_div_fixup_f32 v22, v23, v22, 1.0
	ds_store_b32 v72, v22
.LBB12_42:                              ;   in Loop: Header=BB12_3 Depth=1
	s_or_b32 exec_lo, exec_lo, s50
.LBB12_43:                              ;   in Loop: Header=BB12_3 Depth=1
	s_and_not1_saveexec_b32 s50, s68
	s_cbranch_execz .LBB12_45
; %bb.44:                               ;   in Loop: Header=BB12_3 Depth=1
	v_lshl_add_u64 v[22:23], v[14:15], 2, s[0:1]
	global_load_b32 v22, v[22:23], off
	s_wait_loadcnt 0x0
	v_xor_b32_e32 v22, 0x80000000, v22
	ds_store_b32 v72, v22
.LBB12_45:                              ;   in Loop: Header=BB12_3 Depth=1
	s_or_b32 exec_lo, exec_lo, s50
	s_delay_alu instid0(SALU_CYCLE_1) | instskip(SKIP_2) | instid1(SALU_CYCLE_1)
	s_mov_b32 s50, exec_lo
	v_readlane_b32 s51, v89, 16
	s_and_b32 s51, s50, s51
	;; [unrolled: 63-line block ×3, first 2 shown]
	s_xor_b32 s68, s51, s50
	s_mov_b32 exec_lo, s51
	s_cbranch_execz .LBB12_63
; %bb.56:                               ;   in Loop: Header=BB12_3 Depth=1
	s_mov_b32 s50, exec_lo
	v_readlane_b32 s51, v89, 25
	s_and_b32 s51, s50, s51
	s_delay_alu instid0(SALU_CYCLE_1)
	s_xor_b32 s50, s51, s50
	s_mov_b32 exec_lo, s51
	s_cbranch_execz .LBB12_60
; %bb.57:                               ;   in Loop: Header=BB12_3 Depth=1
	s_mov_b32 s51, exec_lo
	v_readlane_b32 s52, v88, 31
	s_and_b32 s52, s51, s52
	s_delay_alu instid0(SALU_CYCLE_1)
	s_mov_b32 exec_lo, s52
; %bb.58:                               ;   in Loop: Header=BB12_3 Depth=1
	ds_store_b32 v74, v5
; %bb.59:                               ;   in Loop: Header=BB12_3 Depth=1
	s_or_b32 exec_lo, exec_lo, s51
.LBB12_60:                              ;   in Loop: Header=BB12_3 Depth=1
	s_and_not1_saveexec_b32 s50, s50
	s_cbranch_execz .LBB12_62
; %bb.61:                               ;   in Loop: Header=BB12_3 Depth=1
	v_lshl_add_u64 v[22:23], v[18:19], 2, s[0:1]
	global_load_b32 v22, v[22:23], off
	s_wait_loadcnt 0x0
	v_div_scale_f32 v23, null, v22, v22, 1.0
	s_delay_alu instid0(VALU_DEP_1) | instskip(SKIP_1) | instid1(TRANS32_DEP_1)
	v_rcp_f32_e32 v25, v23
	v_nop
	v_fma_f32 v82, -v23, v25, 1.0
	s_delay_alu instid0(VALU_DEP_1) | instskip(SKIP_1) | instid1(VALU_DEP_1)
	v_fmac_f32_e32 v25, v82, v25
	v_div_scale_f32 v82, vcc_lo, 1.0, v22, 1.0
	v_mul_f32_e32 v83, v82, v25
	s_delay_alu instid0(VALU_DEP_1) | instskip(NEXT) | instid1(VALU_DEP_1)
	v_fma_f32 v84, -v23, v83, v82
	v_fmac_f32_e32 v83, v84, v25
	s_delay_alu instid0(VALU_DEP_1) | instskip(NEXT) | instid1(VALU_DEP_1)
	v_fma_f32 v23, -v23, v83, v82
	v_div_fmas_f32 v23, v23, v25, v83
	s_delay_alu instid0(VALU_DEP_1)
	v_div_fixup_f32 v22, v23, v22, 1.0
	ds_store_b32 v74, v22
.LBB12_62:                              ;   in Loop: Header=BB12_3 Depth=1
	s_or_b32 exec_lo, exec_lo, s50
.LBB12_63:                              ;   in Loop: Header=BB12_3 Depth=1
	s_and_not1_saveexec_b32 s50, s68
	s_cbranch_execz .LBB12_65
; %bb.64:                               ;   in Loop: Header=BB12_3 Depth=1
	v_lshl_add_u64 v[22:23], v[18:19], 2, s[0:1]
	global_load_b32 v22, v[22:23], off
	s_wait_loadcnt 0x0
	v_xor_b32_e32 v22, 0x80000000, v22
	ds_store_b32 v74, v22
.LBB12_65:                              ;   in Loop: Header=BB12_3 Depth=1
	s_or_b32 exec_lo, exec_lo, s50
.LBB12_66:                              ;   in Loop: Header=BB12_3 Depth=1
	s_delay_alu instid0(SALU_CYCLE_1)
	s_and_not1_b32 vcc_lo, exec_lo, s92
	s_wait_loadcnt_dscnt 0x0
	s_barrier_signal -1
	s_barrier_wait -1
	s_cbranch_vccnz .LBB12_1104
; %bb.67:                               ;   in Loop: Header=BB12_3 Depth=1
	s_and_saveexec_b32 s0, s17
	s_cbranch_execz .LBB12_69
; %bb.68:                               ;   in Loop: Header=BB12_3 Depth=1
	ds_load_b64 v[22:23], v5
	ds_load_b32 v25, v5 offset:260
	s_wait_dscnt 0x0
	v_mul_f32_e32 v22, v22, v25
	s_delay_alu instid0(VALU_DEP_1)
	v_mul_f32_e32 v22, v23, v22
	ds_store_2addr_b32 v5, v22, v22 offset0:1 offset1:64
.LBB12_69:                              ;   in Loop: Header=BB12_3 Depth=1
	s_or_b32 exec_lo, exec_lo, s0
	v_mov_b32_e32 v22, 0
	s_wait_dscnt 0x0
	s_barrier_signal -1
	s_barrier_wait -1
	s_and_saveexec_b32 s0, s2
	s_cbranch_execz .LBB12_73
; %bb.70:                               ;   in Loop: Header=BB12_3 Depth=1
	ds_load_b32 v22, v27 offset:8
	ds_load_b32 v23, v28
	s_wait_dscnt 0x0
	v_fma_f32 v22, v22, v23, 0
	s_and_saveexec_b32 s1, s18
	s_cbranch_execz .LBB12_72
; %bb.71:                               ;   in Loop: Header=BB12_3 Depth=1
	ds_load_b32 v23, v29 offset:264
	ds_load_b32 v25, v5 offset:4
	s_wait_dscnt 0x0
	v_fmac_f32_e32 v22, v23, v25
.LBB12_72:                              ;   in Loop: Header=BB12_3 Depth=1
	s_or_b32 exec_lo, exec_lo, s1
	s_delay_alu instid0(VALU_DEP_1)
	v_xor_b32_e32 v22, 0x80000000, v22
.LBB12_73:                              ;   in Loop: Header=BB12_3 Depth=1
	s_or_b32 exec_lo, exec_lo, s0
	s_and_saveexec_b32 s0, s93
	s_cbranch_execz .LBB12_75
; %bb.74:                               ;   in Loop: Header=BB12_3 Depth=1
	ds_load_b32 v23, v5 offset:520
	s_wait_dscnt 0x0
	v_mul_f32_e32 v22, v22, v23
	ds_store_b32 v3, v22
.LBB12_75:                              ;   in Loop: Header=BB12_3 Depth=1
	s_or_b32 exec_lo, exec_lo, s0
	s_wait_dscnt 0x0
	s_barrier_signal -1
	s_barrier_wait -1
	s_and_saveexec_b32 s0, s94
	s_cbranch_execz .LBB12_77
; %bb.76:                               ;   in Loop: Header=BB12_3 Depth=1
	ds_load_b32 v23, v5 offset:524
	ds_load_b32 v25, v3
	s_wait_dscnt 0x0
	v_fmac_f32_e32 v22, v23, v25
.LBB12_77:                              ;   in Loop: Header=BB12_3 Depth=1
	s_or_b32 exec_lo, exec_lo, s0
	s_barrier_signal -1
	s_barrier_wait -1
	s_and_saveexec_b32 s0, s94
	s_cbranch_execz .LBB12_79
; %bb.78:                               ;   in Loop: Header=BB12_3 Depth=1
	ds_load_b32 v23, v5 offset:780
	s_wait_dscnt 0x0
	v_mul_f32_e32 v22, v22, v23
	ds_store_b32 v3, v22
.LBB12_79:                              ;   in Loop: Header=BB12_3 Depth=1
	s_or_b32 exec_lo, exec_lo, s0
	s_wait_dscnt 0x0
	s_barrier_signal -1
	s_barrier_wait -1
	s_barrier_signal -1
	s_barrier_wait -1
	s_and_saveexec_b32 s0, s2
; %bb.80:                               ;   in Loop: Header=BB12_3 Depth=1
	v_xor_b32_e32 v22, 0x80000000, v22
	ds_store_b32 v27, v22 offset:8
; %bb.81:                               ;   in Loop: Header=BB12_3 Depth=1
	s_or_b32 exec_lo, exec_lo, s0
	s_wait_dscnt 0x0
	s_barrier_signal -1
	s_barrier_wait -1
	s_barrier_signal -1
	s_barrier_wait -1
	s_and_saveexec_b32 s0, s95
	s_cbranch_execz .LBB12_83
; %bb.82:                               ;   in Loop: Header=BB12_3 Depth=1
	ds_load_b32 v22, v33 offset:8
	s_wait_dscnt 0x0
	ds_store_b32 v29, v22 offset:512
	ds_load_b32 v22, v33 offset:12
	s_wait_dscnt 0x0
	ds_store_b32 v29, v22 offset:768
.LBB12_83:                              ;   in Loop: Header=BB12_3 Depth=1
	s_or_b32 exec_lo, exec_lo, s0
	s_wait_dscnt 0x0
	s_barrier_signal -1
	s_barrier_wait -1
	s_and_saveexec_b32 s0, s17
	s_cbranch_execz .LBB12_85
; %bb.84:                               ;   in Loop: Header=BB12_3 Depth=1
	ds_load_b64 v[22:23], v5 offset:520
	ds_load_b32 v25, v5 offset:780
	s_wait_dscnt 0x0
	v_mul_f32_e32 v22, v22, v25
	s_delay_alu instid0(VALU_DEP_1)
	v_mul_f32_e32 v22, v23, v22
	ds_store_2addr_b32 v5, v22, v22 offset0:131 offset1:194
.LBB12_85:                              ;   in Loop: Header=BB12_3 Depth=1
	s_or_b32 exec_lo, exec_lo, s0
	v_mov_b32_e32 v22, 0
	s_wait_dscnt 0x0
	s_barrier_signal -1
	s_barrier_wait -1
	s_and_saveexec_b32 s0, s4
	s_cbranch_execz .LBB12_91
; %bb.86:                               ;   in Loop: Header=BB12_3 Depth=1
	ds_load_b32 v22, v35 offset:16
	ds_load_b32 v23, v30
	s_wait_dscnt 0x0
	v_fma_f32 v22, v22, v23, 0
	s_and_saveexec_b32 s1, s19
	s_cbranch_execnz .LBB12_1207
; %bb.87:                               ;   in Loop: Header=BB12_3 Depth=1
	s_or_b32 exec_lo, exec_lo, s1
	s_and_saveexec_b32 s1, s20
	s_cbranch_execnz .LBB12_1208
.LBB12_88:                              ;   in Loop: Header=BB12_3 Depth=1
	s_or_b32 exec_lo, exec_lo, s1
	s_and_saveexec_b32 s1, s2
	s_cbranch_execz .LBB12_90
.LBB12_89:                              ;   in Loop: Header=BB12_3 Depth=1
	ds_load_b32 v23, v37 offset:784
	ds_load_b32 v25, v5 offset:12
	s_wait_dscnt 0x0
	v_fmac_f32_e32 v22, v23, v25
.LBB12_90:                              ;   in Loop: Header=BB12_3 Depth=1
	s_or_b32 exec_lo, exec_lo, s1
	s_delay_alu instid0(VALU_DEP_1)
	v_xor_b32_e32 v22, 0x80000000, v22
.LBB12_91:                              ;   in Loop: Header=BB12_3 Depth=1
	s_or_b32 exec_lo, exec_lo, s0
	s_and_saveexec_b32 s0, s96
	s_cbranch_execz .LBB12_93
; %bb.92:                               ;   in Loop: Header=BB12_3 Depth=1
	ds_load_b32 v23, v5 offset:1040
	s_wait_dscnt 0x0
	v_mul_f32_e32 v22, v22, v23
	ds_store_b32 v34, v22
.LBB12_93:                              ;   in Loop: Header=BB12_3 Depth=1
	s_or_b32 exec_lo, exec_lo, s0
	s_wait_dscnt 0x0
	s_barrier_signal -1
	s_barrier_wait -1
	s_and_saveexec_b32 s0, s97
	s_cbranch_execz .LBB12_95
; %bb.94:                               ;   in Loop: Header=BB12_3 Depth=1
	ds_load_b32 v23, v32 offset:1040
	ds_load_b32 v25, v34
	s_wait_dscnt 0x0
	v_fmac_f32_e32 v22, v23, v25
.LBB12_95:                              ;   in Loop: Header=BB12_3 Depth=1
	s_or_b32 exec_lo, exec_lo, s0
	s_barrier_signal -1
	s_barrier_wait -1
	s_and_saveexec_b32 s0, s98
	s_cbranch_execz .LBB12_97
; %bb.96:                               ;   in Loop: Header=BB12_3 Depth=1
	ds_load_b32 v23, v5 offset:1300
	s_wait_dscnt 0x0
	v_mul_f32_e32 v22, v22, v23
	ds_store_b32 v34, v22
.LBB12_97:                              ;   in Loop: Header=BB12_3 Depth=1
	s_or_b32 exec_lo, exec_lo, s0
	s_wait_dscnt 0x0
	s_barrier_signal -1
	s_barrier_wait -1
	s_and_saveexec_b32 s0, s99
	s_cbranch_execz .LBB12_99
; %bb.98:                               ;   in Loop: Header=BB12_3 Depth=1
	ds_load_b32 v23, v32 offset:1296
	ds_load_b32 v25, v34
	s_wait_dscnt 0x0
	v_fmac_f32_e32 v22, v23, v25
.LBB12_99:                              ;   in Loop: Header=BB12_3 Depth=1
	s_or_b32 exec_lo, exec_lo, s0
	s_barrier_signal -1
	s_barrier_wait -1
	s_and_saveexec_b32 s0, s100
	s_cbranch_execz .LBB12_101
; %bb.100:                              ;   in Loop: Header=BB12_3 Depth=1
	ds_load_b32 v23, v5 offset:1560
	s_wait_dscnt 0x0
	v_mul_f32_e32 v22, v22, v23
	ds_store_b32 v34, v22
.LBB12_101:                             ;   in Loop: Header=BB12_3 Depth=1
	s_or_b32 exec_lo, exec_lo, s0
	s_wait_dscnt 0x0
	s_barrier_signal -1
	s_barrier_wait -1
	s_and_saveexec_b32 s0, s101
	s_cbranch_execz .LBB12_103
; %bb.102:                              ;   in Loop: Header=BB12_3 Depth=1
	ds_load_b32 v23, v5 offset:1564
	ds_load_b32 v25, v34
	s_wait_dscnt 0x0
	v_fmac_f32_e32 v22, v23, v25
.LBB12_103:                             ;   in Loop: Header=BB12_3 Depth=1
	s_or_b32 exec_lo, exec_lo, s0
	s_barrier_signal -1
	s_barrier_wait -1
	s_and_saveexec_b32 s0, s101
	s_cbranch_execz .LBB12_105
; %bb.104:                              ;   in Loop: Header=BB12_3 Depth=1
	ds_load_b32 v23, v5 offset:1820
	s_wait_dscnt 0x0
	v_mul_f32_e32 v22, v22, v23
	ds_store_b32 v34, v22
.LBB12_105:                             ;   in Loop: Header=BB12_3 Depth=1
	s_or_b32 exec_lo, exec_lo, s0
	s_wait_dscnt 0x0
	s_barrier_signal -1
	s_barrier_wait -1
	s_barrier_signal -1
	s_barrier_wait -1
	s_and_saveexec_b32 s0, s4
; %bb.106:                              ;   in Loop: Header=BB12_3 Depth=1
	v_xor_b32_e32 v22, 0x80000000, v22
	ds_store_b32 v35, v22 offset:16
; %bb.107:                              ;   in Loop: Header=BB12_3 Depth=1
	s_or_b32 exec_lo, exec_lo, s0
	s_wait_dscnt 0x0
	s_barrier_signal -1
	s_barrier_wait -1
	s_barrier_signal -1
	s_barrier_wait -1
	s_and_saveexec_b32 s0, s102
	s_cbranch_execz .LBB12_109
; %bb.108:                              ;   in Loop: Header=BB12_3 Depth=1
	ds_load_b32 v22, v38 offset:16
	s_wait_dscnt 0x0
	ds_store_b32 v40, v22 offset:1024
	ds_load_b32 v22, v38 offset:20
	s_wait_dscnt 0x0
	ds_store_b32 v40, v22 offset:1280
	;; [unrolled: 3-line block ×4, first 2 shown]
.LBB12_109:                             ;   in Loop: Header=BB12_3 Depth=1
	s_or_b32 exec_lo, exec_lo, s0
	s_wait_dscnt 0x0
	s_barrier_signal -1
	s_barrier_wait -1
	s_and_saveexec_b32 s0, s17
	s_cbranch_execz .LBB12_111
; %bb.110:                              ;   in Loop: Header=BB12_3 Depth=1
	ds_load_b64 v[22:23], v5 offset:1040
	ds_load_b32 v25, v5 offset:1300
	s_wait_dscnt 0x0
	v_mul_f32_e32 v22, v22, v25
	s_delay_alu instid0(VALU_DEP_1)
	v_mul_f32_e32 v22, v23, v22
	v_add_nc_u32_e64 v23, 0x400, 0
	ds_store_2addr_b32 v23, v22, v22 offset0:5 offset1:68
.LBB12_111:                             ;   in Loop: Header=BB12_3 Depth=1
	s_or_b32 exec_lo, exec_lo, s0
	v_mov_b32_e32 v22, 0
	s_wait_dscnt 0x0
	s_barrier_signal -1
	s_barrier_wait -1
	s_and_saveexec_b32 s0, s2
	s_cbranch_execz .LBB12_115
; %bb.112:                              ;   in Loop: Header=BB12_3 Depth=1
	ds_load_b32 v22, v27 offset:1048
	ds_load_b32 v23, v28 offset:1040
	s_wait_dscnt 0x0
	v_fma_f32 v22, v22, v23, 0
	s_and_saveexec_b32 s1, s18
	s_cbranch_execz .LBB12_114
; %bb.113:                              ;   in Loop: Header=BB12_3 Depth=1
	ds_load_b32 v23, v40 offset:1304
	ds_load_b32 v25, v5 offset:1044
	s_wait_dscnt 0x0
	v_fmac_f32_e32 v22, v23, v25
.LBB12_114:                             ;   in Loop: Header=BB12_3 Depth=1
	s_or_b32 exec_lo, exec_lo, s1
	s_delay_alu instid0(VALU_DEP_1)
	v_xor_b32_e32 v22, 0x80000000, v22
.LBB12_115:                             ;   in Loop: Header=BB12_3 Depth=1
	s_or_b32 exec_lo, exec_lo, s0
	s_and_saveexec_b32 s0, s93
	s_cbranch_execz .LBB12_117
; %bb.116:                              ;   in Loop: Header=BB12_3 Depth=1
	ds_load_b32 v23, v5 offset:1560
	s_wait_dscnt 0x0
	v_mul_f32_e32 v22, v22, v23
	ds_store_b32 v3, v22
.LBB12_117:                             ;   in Loop: Header=BB12_3 Depth=1
	s_or_b32 exec_lo, exec_lo, s0
	s_wait_dscnt 0x0
	s_barrier_signal -1
	s_barrier_wait -1
	s_and_saveexec_b32 s0, s94
	s_cbranch_execz .LBB12_119
; %bb.118:                              ;   in Loop: Header=BB12_3 Depth=1
	ds_load_b32 v23, v5 offset:1564
	ds_load_b32 v25, v3
	s_wait_dscnt 0x0
	v_fmac_f32_e32 v22, v23, v25
.LBB12_119:                             ;   in Loop: Header=BB12_3 Depth=1
	s_or_b32 exec_lo, exec_lo, s0
	s_barrier_signal -1
	s_barrier_wait -1
	s_and_saveexec_b32 s0, s94
	s_cbranch_execz .LBB12_121
; %bb.120:                              ;   in Loop: Header=BB12_3 Depth=1
	ds_load_b32 v23, v5 offset:1820
	s_wait_dscnt 0x0
	v_mul_f32_e32 v22, v22, v23
	ds_store_b32 v3, v22
.LBB12_121:                             ;   in Loop: Header=BB12_3 Depth=1
	s_or_b32 exec_lo, exec_lo, s0
	s_wait_dscnt 0x0
	s_barrier_signal -1
	s_barrier_wait -1
	s_barrier_signal -1
	s_barrier_wait -1
	s_and_saveexec_b32 s0, s2
; %bb.122:                              ;   in Loop: Header=BB12_3 Depth=1
	v_xor_b32_e32 v22, 0x80000000, v22
	ds_store_b32 v27, v22 offset:1048
; %bb.123:                              ;   in Loop: Header=BB12_3 Depth=1
	s_or_b32 exec_lo, exec_lo, s0
	s_wait_dscnt 0x0
	s_barrier_signal -1
	s_barrier_wait -1
	s_barrier_signal -1
	s_barrier_wait -1
	s_and_saveexec_b32 s0, s95
	s_cbranch_execz .LBB12_125
; %bb.124:                              ;   in Loop: Header=BB12_3 Depth=1
	ds_load_b32 v22, v42 offset:1048
	s_wait_dscnt 0x0
	ds_store_b32 v40, v22 offset:1552
	ds_load_b32 v22, v42 offset:1052
	s_wait_dscnt 0x0
	ds_store_b32 v40, v22 offset:1808
.LBB12_125:                             ;   in Loop: Header=BB12_3 Depth=1
	s_or_b32 exec_lo, exec_lo, s0
	s_wait_dscnt 0x0
	s_barrier_signal -1
	s_barrier_wait -1
	s_and_saveexec_b32 s0, s17
	s_cbranch_execz .LBB12_127
; %bb.126:                              ;   in Loop: Header=BB12_3 Depth=1
	ds_load_b64 v[22:23], v5 offset:1560
	ds_load_b32 v25, v5 offset:1820
	s_wait_dscnt 0x0
	v_mul_f32_e32 v22, v22, v25
	s_delay_alu instid0(VALU_DEP_1)
	v_mul_f32_e32 v22, v23, v22
	v_add_nc_u32_e64 v23, 0x400, 0
	ds_store_2addr_b32 v23, v22, v22 offset0:135 offset1:198
.LBB12_127:                             ;   in Loop: Header=BB12_3 Depth=1
	s_or_b32 exec_lo, exec_lo, s0
	v_mov_b32_e32 v22, 0
	s_wait_dscnt 0x0
	s_barrier_signal -1
	s_barrier_wait -1
	s_and_saveexec_b32 s0, s5
	s_cbranch_execz .LBB12_137
; %bb.128:                              ;   in Loop: Header=BB12_3 Depth=1
	ds_load_b32 v22, v44 offset:32
	ds_load_b32 v23, v39
	s_wait_dscnt 0x0
	v_fma_f32 v22, v22, v23, 0
	s_and_saveexec_b32 s1, s21
	s_cbranch_execnz .LBB12_1209
; %bb.129:                              ;   in Loop: Header=BB12_3 Depth=1
	s_or_b32 exec_lo, exec_lo, s1
	s_and_saveexec_b32 s1, s22
	s_cbranch_execnz .LBB12_1210
.LBB12_130:                             ;   in Loop: Header=BB12_3 Depth=1
	s_or_b32 exec_lo, exec_lo, s1
	s_and_saveexec_b32 s1, s23
	s_cbranch_execnz .LBB12_1211
.LBB12_131:                             ;   in Loop: Header=BB12_3 Depth=1
	s_or_b32 exec_lo, exec_lo, s1
	s_and_saveexec_b32 s1, s24
	s_cbranch_execnz .LBB12_1212
.LBB12_132:                             ;   in Loop: Header=BB12_3 Depth=1
	s_or_b32 exec_lo, exec_lo, s1
	s_and_saveexec_b32 s1, s25
	s_cbranch_execnz .LBB12_1213
.LBB12_133:                             ;   in Loop: Header=BB12_3 Depth=1
	s_or_b32 exec_lo, exec_lo, s1
	s_and_saveexec_b32 s1, s4
	s_cbranch_execnz .LBB12_1214
.LBB12_134:                             ;   in Loop: Header=BB12_3 Depth=1
	s_or_b32 exec_lo, exec_lo, s1
	s_and_saveexec_b32 s1, s20
	s_cbranch_execz .LBB12_136
.LBB12_135:                             ;   in Loop: Header=BB12_3 Depth=1
	ds_load_b32 v23, v46 offset:1824
	ds_load_b32 v25, v5 offset:28
	s_wait_dscnt 0x0
	v_fmac_f32_e32 v22, v23, v25
.LBB12_136:                             ;   in Loop: Header=BB12_3 Depth=1
	s_or_b32 exec_lo, exec_lo, s1
	s_delay_alu instid0(VALU_DEP_1)
	v_xor_b32_e32 v22, 0x80000000, v22
.LBB12_137:                             ;   in Loop: Header=BB12_3 Depth=1
	s_or_b32 exec_lo, exec_lo, s0
	s_and_saveexec_b32 s0, s103
	s_cbranch_execz .LBB12_139
; %bb.138:                              ;   in Loop: Header=BB12_3 Depth=1
	ds_load_b32 v23, v5 offset:2080
	s_wait_dscnt 0x0
	v_mul_f32_e32 v22, v22, v23
	ds_store_b32 v43, v22
.LBB12_139:                             ;   in Loop: Header=BB12_3 Depth=1
	s_or_b32 exec_lo, exec_lo, s0
	s_wait_dscnt 0x0
	s_barrier_signal -1
	s_barrier_wait -1
	s_and_saveexec_b32 s0, s104
	s_cbranch_execz .LBB12_141
; %bb.140:                              ;   in Loop: Header=BB12_3 Depth=1
	ds_load_b32 v23, v41 offset:2080
	ds_load_b32 v25, v43
	s_wait_dscnt 0x0
	v_fmac_f32_e32 v22, v23, v25
.LBB12_141:                             ;   in Loop: Header=BB12_3 Depth=1
	s_or_b32 exec_lo, exec_lo, s0
	s_barrier_signal -1
	s_barrier_wait -1
	s_and_saveexec_b32 s0, vcc_hi
	s_cbranch_execz .LBB12_143
; %bb.142:                              ;   in Loop: Header=BB12_3 Depth=1
	ds_load_b32 v23, v5 offset:2340
	s_wait_dscnt 0x0
	v_mul_f32_e32 v22, v22, v23
	ds_store_b32 v43, v22
.LBB12_143:                             ;   in Loop: Header=BB12_3 Depth=1
	s_or_b32 exec_lo, exec_lo, s0
	s_wait_dscnt 0x0
	s_barrier_signal -1
	s_barrier_wait -1
	s_and_saveexec_b32 s0, s38
	s_cbranch_execz .LBB12_145
; %bb.144:                              ;   in Loop: Header=BB12_3 Depth=1
	ds_load_b32 v23, v41 offset:2336
	ds_load_b32 v25, v43
	s_wait_dscnt 0x0
	v_fmac_f32_e32 v22, v23, v25
.LBB12_145:                             ;   in Loop: Header=BB12_3 Depth=1
	s_or_b32 exec_lo, exec_lo, s0
	s_barrier_signal -1
	s_barrier_wait -1
	s_and_saveexec_b32 s0, s39
	s_cbranch_execz .LBB12_147
; %bb.146:                              ;   in Loop: Header=BB12_3 Depth=1
	ds_load_b32 v23, v5 offset:2600
	s_wait_dscnt 0x0
	v_mul_f32_e32 v22, v22, v23
	ds_store_b32 v43, v22
.LBB12_147:                             ;   in Loop: Header=BB12_3 Depth=1
	s_or_b32 exec_lo, exec_lo, s0
	s_wait_dscnt 0x0
	s_barrier_signal -1
	s_barrier_wait -1
	s_and_saveexec_b32 s0, s40
	s_cbranch_execz .LBB12_149
; %bb.148:                              ;   in Loop: Header=BB12_3 Depth=1
	ds_load_b32 v23, v41 offset:2592
	ds_load_b32 v25, v43
	s_wait_dscnt 0x0
	v_fmac_f32_e32 v22, v23, v25
.LBB12_149:                             ;   in Loop: Header=BB12_3 Depth=1
	s_or_b32 exec_lo, exec_lo, s0
	s_barrier_signal -1
	s_barrier_wait -1
	s_and_saveexec_b32 s0, s41
	;; [unrolled: 23-line block ×6, first 2 shown]
	s_cbranch_execz .LBB12_167
; %bb.166:                              ;   in Loop: Header=BB12_3 Depth=1
	ds_load_b32 v23, v5 offset:3900
	s_wait_dscnt 0x0
	v_mul_f32_e32 v22, v22, v23
	ds_store_b32 v43, v22
.LBB12_167:                             ;   in Loop: Header=BB12_3 Depth=1
	s_or_b32 exec_lo, exec_lo, s0
	s_wait_dscnt 0x0
	s_barrier_signal -1
	s_barrier_wait -1
	s_barrier_signal -1
	s_barrier_wait -1
	s_and_saveexec_b32 s0, s5
; %bb.168:                              ;   in Loop: Header=BB12_3 Depth=1
	v_xor_b32_e32 v22, 0x80000000, v22
	ds_store_b32 v44, v22 offset:32
; %bb.169:                              ;   in Loop: Header=BB12_3 Depth=1
	s_or_b32 exec_lo, exec_lo, s0
	s_wait_dscnt 0x0
	s_barrier_signal -1
	s_barrier_wait -1
	s_barrier_signal -1
	s_barrier_wait -1
	s_and_saveexec_b32 s0, s49
	s_cbranch_execz .LBB12_171
; %bb.170:                              ;   in Loop: Header=BB12_3 Depth=1
	ds_load_b32 v22, v47 offset:32
	s_wait_dscnt 0x0
	ds_store_b32 v48, v22 offset:2048
	ds_load_b32 v22, v47 offset:36
	s_wait_dscnt 0x0
	ds_store_b32 v48, v22 offset:2304
	;; [unrolled: 3-line block ×8, first 2 shown]
.LBB12_171:                             ;   in Loop: Header=BB12_3 Depth=1
	s_or_b32 exec_lo, exec_lo, s0
	s_wait_dscnt 0x0
	s_barrier_signal -1
	s_barrier_wait -1
	s_and_saveexec_b32 s0, s17
	s_cbranch_execz .LBB12_173
; %bb.172:                              ;   in Loop: Header=BB12_3 Depth=1
	ds_load_b64 v[22:23], v5 offset:2080
	ds_load_b32 v25, v5 offset:2340
	s_wait_dscnt 0x0
	v_mul_f32_e32 v22, v22, v25
	s_delay_alu instid0(VALU_DEP_1)
	v_mul_f32_e32 v22, v23, v22
	v_add_nc_u32_e64 v23, 0x800, 0
	ds_store_2addr_b32 v23, v22, v22 offset0:9 offset1:72
.LBB12_173:                             ;   in Loop: Header=BB12_3 Depth=1
	s_or_b32 exec_lo, exec_lo, s0
	v_mov_b32_e32 v22, 0
	s_wait_dscnt 0x0
	s_barrier_signal -1
	s_barrier_wait -1
	s_and_saveexec_b32 s0, s2
	s_cbranch_execz .LBB12_177
; %bb.174:                              ;   in Loop: Header=BB12_3 Depth=1
	ds_load_b32 v22, v27 offset:2088
	ds_load_b32 v23, v28 offset:2080
	s_wait_dscnt 0x0
	v_fma_f32 v22, v22, v23, 0
	s_and_saveexec_b32 s1, s18
	s_cbranch_execz .LBB12_176
; %bb.175:                              ;   in Loop: Header=BB12_3 Depth=1
	ds_load_b32 v23, v48 offset:2344
	ds_load_b32 v25, v5 offset:2084
	s_wait_dscnt 0x0
	v_fmac_f32_e32 v22, v23, v25
.LBB12_176:                             ;   in Loop: Header=BB12_3 Depth=1
	s_or_b32 exec_lo, exec_lo, s1
	s_delay_alu instid0(VALU_DEP_1)
	v_xor_b32_e32 v22, 0x80000000, v22
.LBB12_177:                             ;   in Loop: Header=BB12_3 Depth=1
	s_or_b32 exec_lo, exec_lo, s0
	s_and_saveexec_b32 s0, s93
	s_cbranch_execz .LBB12_179
; %bb.178:                              ;   in Loop: Header=BB12_3 Depth=1
	ds_load_b32 v23, v5 offset:2600
	s_wait_dscnt 0x0
	v_mul_f32_e32 v22, v22, v23
	ds_store_b32 v3, v22
.LBB12_179:                             ;   in Loop: Header=BB12_3 Depth=1
	s_or_b32 exec_lo, exec_lo, s0
	s_wait_dscnt 0x0
	s_barrier_signal -1
	s_barrier_wait -1
	s_and_saveexec_b32 s0, s94
	s_cbranch_execz .LBB12_181
; %bb.180:                              ;   in Loop: Header=BB12_3 Depth=1
	ds_load_b32 v23, v5 offset:2604
	ds_load_b32 v25, v3
	s_wait_dscnt 0x0
	v_fmac_f32_e32 v22, v23, v25
.LBB12_181:                             ;   in Loop: Header=BB12_3 Depth=1
	s_or_b32 exec_lo, exec_lo, s0
	s_barrier_signal -1
	s_barrier_wait -1
	s_and_saveexec_b32 s0, s94
	s_cbranch_execz .LBB12_183
; %bb.182:                              ;   in Loop: Header=BB12_3 Depth=1
	ds_load_b32 v23, v5 offset:2860
	s_wait_dscnt 0x0
	v_mul_f32_e32 v22, v22, v23
	ds_store_b32 v3, v22
.LBB12_183:                             ;   in Loop: Header=BB12_3 Depth=1
	s_or_b32 exec_lo, exec_lo, s0
	s_wait_dscnt 0x0
	s_barrier_signal -1
	s_barrier_wait -1
	s_barrier_signal -1
	s_barrier_wait -1
	s_and_saveexec_b32 s0, s2
; %bb.184:                              ;   in Loop: Header=BB12_3 Depth=1
	v_xor_b32_e32 v22, 0x80000000, v22
	ds_store_b32 v27, v22 offset:2088
; %bb.185:                              ;   in Loop: Header=BB12_3 Depth=1
	s_or_b32 exec_lo, exec_lo, s0
	s_wait_dscnt 0x0
	s_barrier_signal -1
	s_barrier_wait -1
	s_barrier_signal -1
	s_barrier_wait -1
	s_and_saveexec_b32 s0, s95
	s_cbranch_execz .LBB12_187
; %bb.186:                              ;   in Loop: Header=BB12_3 Depth=1
	ds_load_b32 v22, v49 offset:2088
	s_wait_dscnt 0x0
	ds_store_b32 v48, v22 offset:2592
	ds_load_b32 v22, v49 offset:2092
	s_wait_dscnt 0x0
	ds_store_b32 v48, v22 offset:2848
.LBB12_187:                             ;   in Loop: Header=BB12_3 Depth=1
	s_or_b32 exec_lo, exec_lo, s0
	s_wait_dscnt 0x0
	s_barrier_signal -1
	s_barrier_wait -1
	s_and_saveexec_b32 s0, s17
	s_cbranch_execz .LBB12_189
; %bb.188:                              ;   in Loop: Header=BB12_3 Depth=1
	ds_load_b64 v[22:23], v5 offset:2600
	ds_load_b32 v25, v5 offset:2860
	s_wait_dscnt 0x0
	v_mul_f32_e32 v22, v22, v25
	s_delay_alu instid0(VALU_DEP_1)
	v_mul_f32_e32 v22, v23, v22
	v_add_nc_u32_e64 v23, 0x800, 0
	ds_store_2addr_b32 v23, v22, v22 offset0:139 offset1:202
.LBB12_189:                             ;   in Loop: Header=BB12_3 Depth=1
	s_or_b32 exec_lo, exec_lo, s0
	v_mov_b32_e32 v22, 0
	s_wait_dscnt 0x0
	s_barrier_signal -1
	s_barrier_wait -1
	s_and_saveexec_b32 s0, s4
	s_cbranch_execz .LBB12_195
; %bb.190:                              ;   in Loop: Header=BB12_3 Depth=1
	ds_load_b32 v22, v35 offset:2096
	ds_load_b32 v23, v30 offset:2080
	s_wait_dscnt 0x0
	v_fma_f32 v22, v22, v23, 0
	s_and_saveexec_b32 s1, s19
	s_cbranch_execnz .LBB12_1215
; %bb.191:                              ;   in Loop: Header=BB12_3 Depth=1
	s_or_b32 exec_lo, exec_lo, s1
	s_and_saveexec_b32 s1, s20
	s_cbranch_execnz .LBB12_1216
.LBB12_192:                             ;   in Loop: Header=BB12_3 Depth=1
	s_or_b32 exec_lo, exec_lo, s1
	s_and_saveexec_b32 s1, s2
	s_cbranch_execz .LBB12_194
.LBB12_193:                             ;   in Loop: Header=BB12_3 Depth=1
	ds_load_b32 v23, v50 offset:2864
	ds_load_b32 v25, v5 offset:2092
	s_wait_dscnt 0x0
	v_fmac_f32_e32 v22, v23, v25
.LBB12_194:                             ;   in Loop: Header=BB12_3 Depth=1
	s_or_b32 exec_lo, exec_lo, s1
	s_delay_alu instid0(VALU_DEP_1)
	v_xor_b32_e32 v22, 0x80000000, v22
.LBB12_195:                             ;   in Loop: Header=BB12_3 Depth=1
	s_or_b32 exec_lo, exec_lo, s0
	s_and_saveexec_b32 s0, s96
	s_cbranch_execz .LBB12_197
; %bb.196:                              ;   in Loop: Header=BB12_3 Depth=1
	ds_load_b32 v23, v5 offset:3120
	s_wait_dscnt 0x0
	v_mul_f32_e32 v22, v22, v23
	ds_store_b32 v34, v22
.LBB12_197:                             ;   in Loop: Header=BB12_3 Depth=1
	s_or_b32 exec_lo, exec_lo, s0
	s_wait_dscnt 0x0
	s_barrier_signal -1
	s_barrier_wait -1
	s_and_saveexec_b32 s0, s97
	s_cbranch_execz .LBB12_199
; %bb.198:                              ;   in Loop: Header=BB12_3 Depth=1
	ds_load_b32 v23, v32 offset:3120
	ds_load_b32 v25, v34
	s_wait_dscnt 0x0
	v_fmac_f32_e32 v22, v23, v25
.LBB12_199:                             ;   in Loop: Header=BB12_3 Depth=1
	s_or_b32 exec_lo, exec_lo, s0
	s_barrier_signal -1
	s_barrier_wait -1
	s_and_saveexec_b32 s0, s98
	s_cbranch_execz .LBB12_201
; %bb.200:                              ;   in Loop: Header=BB12_3 Depth=1
	ds_load_b32 v23, v5 offset:3380
	s_wait_dscnt 0x0
	v_mul_f32_e32 v22, v22, v23
	ds_store_b32 v34, v22
.LBB12_201:                             ;   in Loop: Header=BB12_3 Depth=1
	s_or_b32 exec_lo, exec_lo, s0
	s_wait_dscnt 0x0
	s_barrier_signal -1
	s_barrier_wait -1
	s_and_saveexec_b32 s0, s99
	s_cbranch_execz .LBB12_203
; %bb.202:                              ;   in Loop: Header=BB12_3 Depth=1
	ds_load_b32 v23, v32 offset:3376
	ds_load_b32 v25, v34
	s_wait_dscnt 0x0
	v_fmac_f32_e32 v22, v23, v25
.LBB12_203:                             ;   in Loop: Header=BB12_3 Depth=1
	s_or_b32 exec_lo, exec_lo, s0
	s_barrier_signal -1
	s_barrier_wait -1
	;; [unrolled: 23-line block ×3, first 2 shown]
	s_and_saveexec_b32 s0, s101
	s_cbranch_execz .LBB12_209
; %bb.208:                              ;   in Loop: Header=BB12_3 Depth=1
	ds_load_b32 v23, v5 offset:3900
	s_wait_dscnt 0x0
	v_mul_f32_e32 v22, v22, v23
	ds_store_b32 v34, v22
.LBB12_209:                             ;   in Loop: Header=BB12_3 Depth=1
	s_or_b32 exec_lo, exec_lo, s0
	s_wait_dscnt 0x0
	s_barrier_signal -1
	s_barrier_wait -1
	s_barrier_signal -1
	s_barrier_wait -1
	s_and_saveexec_b32 s0, s4
; %bb.210:                              ;   in Loop: Header=BB12_3 Depth=1
	v_xor_b32_e32 v22, 0x80000000, v22
	ds_store_b32 v35, v22 offset:2096
; %bb.211:                              ;   in Loop: Header=BB12_3 Depth=1
	s_or_b32 exec_lo, exec_lo, s0
	s_wait_dscnt 0x0
	s_barrier_signal -1
	s_barrier_wait -1
	s_barrier_signal -1
	s_barrier_wait -1
	s_and_saveexec_b32 s0, s102
	s_cbranch_execz .LBB12_213
; %bb.212:                              ;   in Loop: Header=BB12_3 Depth=1
	ds_load_b32 v22, v51 offset:2096
	s_wait_dscnt 0x0
	ds_store_b32 v52, v22 offset:3104
	ds_load_b32 v22, v51 offset:2100
	s_wait_dscnt 0x0
	ds_store_b32 v52, v22 offset:3360
	;; [unrolled: 3-line block ×4, first 2 shown]
.LBB12_213:                             ;   in Loop: Header=BB12_3 Depth=1
	s_or_b32 exec_lo, exec_lo, s0
	s_wait_dscnt 0x0
	s_barrier_signal -1
	s_barrier_wait -1
	s_and_saveexec_b32 s0, s17
	s_cbranch_execz .LBB12_215
; %bb.214:                              ;   in Loop: Header=BB12_3 Depth=1
	ds_load_b64 v[22:23], v5 offset:3120
	ds_load_b32 v25, v5 offset:3380
	s_wait_dscnt 0x0
	v_mul_f32_e32 v22, v22, v25
	s_delay_alu instid0(VALU_DEP_1)
	v_mul_f32_e32 v22, v23, v22
	v_add_nc_u32_e64 v23, 0xc00, 0
	ds_store_2addr_b32 v23, v22, v22 offset0:13 offset1:76
.LBB12_215:                             ;   in Loop: Header=BB12_3 Depth=1
	s_or_b32 exec_lo, exec_lo, s0
	v_mov_b32_e32 v22, 0
	s_wait_dscnt 0x0
	s_barrier_signal -1
	s_barrier_wait -1
	s_and_saveexec_b32 s0, s2
	s_cbranch_execz .LBB12_219
; %bb.216:                              ;   in Loop: Header=BB12_3 Depth=1
	ds_load_b32 v22, v27 offset:3128
	ds_load_b32 v23, v28 offset:3120
	s_wait_dscnt 0x0
	v_fma_f32 v22, v22, v23, 0
	s_and_saveexec_b32 s1, s18
	s_cbranch_execz .LBB12_218
; %bb.217:                              ;   in Loop: Header=BB12_3 Depth=1
	ds_load_b32 v23, v52 offset:3384
	ds_load_b32 v25, v5 offset:3124
	s_wait_dscnt 0x0
	v_fmac_f32_e32 v22, v23, v25
.LBB12_218:                             ;   in Loop: Header=BB12_3 Depth=1
	s_or_b32 exec_lo, exec_lo, s1
	s_delay_alu instid0(VALU_DEP_1)
	v_xor_b32_e32 v22, 0x80000000, v22
.LBB12_219:                             ;   in Loop: Header=BB12_3 Depth=1
	s_or_b32 exec_lo, exec_lo, s0
	s_and_saveexec_b32 s0, s93
	s_cbranch_execz .LBB12_221
; %bb.220:                              ;   in Loop: Header=BB12_3 Depth=1
	ds_load_b32 v23, v5 offset:3640
	s_wait_dscnt 0x0
	v_mul_f32_e32 v22, v22, v23
	ds_store_b32 v3, v22
.LBB12_221:                             ;   in Loop: Header=BB12_3 Depth=1
	s_or_b32 exec_lo, exec_lo, s0
	s_wait_dscnt 0x0
	s_barrier_signal -1
	s_barrier_wait -1
	s_and_saveexec_b32 s0, s94
	s_cbranch_execz .LBB12_223
; %bb.222:                              ;   in Loop: Header=BB12_3 Depth=1
	ds_load_b32 v23, v5 offset:3644
	ds_load_b32 v25, v3
	s_wait_dscnt 0x0
	v_fmac_f32_e32 v22, v23, v25
.LBB12_223:                             ;   in Loop: Header=BB12_3 Depth=1
	s_or_b32 exec_lo, exec_lo, s0
	s_barrier_signal -1
	s_barrier_wait -1
	s_and_saveexec_b32 s0, s94
	s_cbranch_execz .LBB12_225
; %bb.224:                              ;   in Loop: Header=BB12_3 Depth=1
	ds_load_b32 v23, v5 offset:3900
	s_wait_dscnt 0x0
	v_mul_f32_e32 v22, v22, v23
	ds_store_b32 v3, v22
.LBB12_225:                             ;   in Loop: Header=BB12_3 Depth=1
	s_or_b32 exec_lo, exec_lo, s0
	s_wait_dscnt 0x0
	s_barrier_signal -1
	s_barrier_wait -1
	s_barrier_signal -1
	s_barrier_wait -1
	s_and_saveexec_b32 s0, s2
; %bb.226:                              ;   in Loop: Header=BB12_3 Depth=1
	v_xor_b32_e32 v22, 0x80000000, v22
	ds_store_b32 v27, v22 offset:3128
; %bb.227:                              ;   in Loop: Header=BB12_3 Depth=1
	s_or_b32 exec_lo, exec_lo, s0
	s_wait_dscnt 0x0
	s_barrier_signal -1
	s_barrier_wait -1
	s_barrier_signal -1
	s_barrier_wait -1
	s_and_saveexec_b32 s0, s95
	s_cbranch_execz .LBB12_229
; %bb.228:                              ;   in Loop: Header=BB12_3 Depth=1
	ds_load_b32 v22, v54 offset:3128
	s_wait_dscnt 0x0
	ds_store_b32 v52, v22 offset:3632
	ds_load_b32 v22, v54 offset:3132
	s_wait_dscnt 0x0
	ds_store_b32 v52, v22 offset:3888
.LBB12_229:                             ;   in Loop: Header=BB12_3 Depth=1
	s_or_b32 exec_lo, exec_lo, s0
	s_wait_dscnt 0x0
	s_barrier_signal -1
	s_barrier_wait -1
	s_and_saveexec_b32 s0, s17
	s_cbranch_execz .LBB12_231
; %bb.230:                              ;   in Loop: Header=BB12_3 Depth=1
	ds_load_b64 v[22:23], v5 offset:3640
	ds_load_b32 v25, v5 offset:3900
	s_wait_dscnt 0x0
	v_mul_f32_e32 v22, v22, v25
	s_delay_alu instid0(VALU_DEP_1)
	v_mul_f32_e32 v22, v23, v22
	v_add_nc_u32_e64 v23, 0xc00, 0
	ds_store_2addr_b32 v23, v22, v22 offset0:143 offset1:206
.LBB12_231:                             ;   in Loop: Header=BB12_3 Depth=1
	s_or_b32 exec_lo, exec_lo, s0
	v_mov_b32_e32 v22, 0
	s_wait_dscnt 0x0
	s_barrier_signal -1
	s_barrier_wait -1
	s_and_saveexec_b32 s0, s6
	s_cbranch_execz .LBB12_259
; %bb.232:                              ;   in Loop: Header=BB12_3 Depth=1
	ds_load_b32 v22, v57 offset:64
	ds_load_b32 v23, v53
	s_wait_dscnt 0x0
	v_fma_f32 v22, v22, v23, 0
	s_mov_b32 s1, exec_lo
	v_readlane_b32 s50, v89, 26
	s_and_b32 s50, s1, s50
	s_delay_alu instid0(SALU_CYCLE_1)
	s_mov_b32 exec_lo, s50
	s_cbranch_execz .LBB12_234
; %bb.233:                              ;   in Loop: Header=BB12_3 Depth=1
	ds_load_b32 v23, v58 offset:320
	ds_load_b32 v25, v53 offset:4
	s_wait_dscnt 0x0
	v_fmac_f32_e32 v22, v23, v25
.LBB12_234:                             ;   in Loop: Header=BB12_3 Depth=1
	s_or_b32 exec_lo, exec_lo, s1
	s_delay_alu instid0(SALU_CYCLE_1) | instskip(SKIP_2) | instid1(SALU_CYCLE_1)
	s_mov_b32 s1, exec_lo
	v_readlane_b32 s50, v89, 27
	s_and_b32 s50, s1, s50
	s_mov_b32 exec_lo, s50
	s_cbranch_execz .LBB12_236
; %bb.235:                              ;   in Loop: Header=BB12_3 Depth=1
	ds_load_b32 v23, v58 offset:576
	ds_load_b32 v25, v53 offset:8
	s_wait_dscnt 0x0
	v_fmac_f32_e32 v22, v23, v25
.LBB12_236:                             ;   in Loop: Header=BB12_3 Depth=1
	s_or_b32 exec_lo, exec_lo, s1
	s_delay_alu instid0(SALU_CYCLE_1) | instskip(SKIP_2) | instid1(SALU_CYCLE_1)
	s_mov_b32 s1, exec_lo
	v_readlane_b32 s50, v89, 28
	s_and_b32 s50, s1, s50
	;; [unrolled: 13-line block ×10, first 2 shown]
	s_mov_b32 exec_lo, s50
	s_cbranch_execnz .LBB12_1217
; %bb.253:                              ;   in Loop: Header=BB12_3 Depth=1
	s_or_b32 exec_lo, exec_lo, s1
	s_and_saveexec_b32 s1, s5
	s_cbranch_execnz .LBB12_1218
.LBB12_254:                             ;   in Loop: Header=BB12_3 Depth=1
	s_or_b32 exec_lo, exec_lo, s1
	s_and_saveexec_b32 s1, s22
	s_cbranch_execnz .LBB12_1219
.LBB12_255:                             ;   in Loop: Header=BB12_3 Depth=1
	s_or_b32 exec_lo, exec_lo, s1
	s_and_saveexec_b32 s1, s24
	s_cbranch_execnz .LBB12_1220
.LBB12_256:                             ;   in Loop: Header=BB12_3 Depth=1
	s_or_b32 exec_lo, exec_lo, s1
	s_and_saveexec_b32 s1, s4
	s_cbranch_execz .LBB12_258
.LBB12_257:                             ;   in Loop: Header=BB12_3 Depth=1
	ds_load_b32 v23, v29 offset:3904
	ds_load_b32 v25, v5 offset:60
	s_wait_dscnt 0x0
	v_fmac_f32_e32 v22, v23, v25
.LBB12_258:                             ;   in Loop: Header=BB12_3 Depth=1
	s_or_b32 exec_lo, exec_lo, s1
	s_delay_alu instid0(VALU_DEP_1)
	v_xor_b32_e32 v22, 0x80000000, v22
.LBB12_259:                             ;   in Loop: Header=BB12_3 Depth=1
	s_or_b32 exec_lo, exec_lo, s0
	s_delay_alu instid0(SALU_CYCLE_1) | instskip(SKIP_2) | instid1(SALU_CYCLE_1)
	s_mov_b32 s0, exec_lo
	v_readlane_b32 s1, v91, 6
	s_and_b32 s1, s0, s1
	s_mov_b32 exec_lo, s1
	s_cbranch_execz .LBB12_261
; %bb.260:                              ;   in Loop: Header=BB12_3 Depth=1
	ds_load_b32 v23, v5 offset:4160
	s_wait_dscnt 0x0
	v_mul_f32_e32 v22, v22, v23
	ds_store_b32 v56, v22
.LBB12_261:                             ;   in Loop: Header=BB12_3 Depth=1
	s_or_b32 exec_lo, exec_lo, s0
	s_wait_dscnt 0x0
	s_barrier_signal -1
	s_barrier_wait -1
	s_mov_b32 s0, exec_lo
	v_readlane_b32 s1, v91, 7
	s_and_b32 s1, s0, s1
	s_delay_alu instid0(SALU_CYCLE_1)
	s_mov_b32 exec_lo, s1
	s_cbranch_execz .LBB12_263
; %bb.262:                              ;   in Loop: Header=BB12_3 Depth=1
	ds_load_b32 v23, v55 offset:4160
	ds_load_b32 v25, v56
	s_wait_dscnt 0x0
	v_fmac_f32_e32 v22, v23, v25
.LBB12_263:                             ;   in Loop: Header=BB12_3 Depth=1
	s_or_b32 exec_lo, exec_lo, s0
	s_barrier_signal -1
	s_barrier_wait -1
	s_mov_b32 s0, exec_lo
	v_readlane_b32 s1, v91, 8
	s_and_b32 s1, s0, s1
	s_delay_alu instid0(SALU_CYCLE_1)
	s_mov_b32 exec_lo, s1
	s_cbranch_execz .LBB12_265
; %bb.264:                              ;   in Loop: Header=BB12_3 Depth=1
	ds_load_b32 v23, v5 offset:4420
	s_wait_dscnt 0x0
	v_mul_f32_e32 v22, v22, v23
	ds_store_b32 v56, v22
.LBB12_265:                             ;   in Loop: Header=BB12_3 Depth=1
	s_or_b32 exec_lo, exec_lo, s0
	s_wait_dscnt 0x0
	s_barrier_signal -1
	s_barrier_wait -1
	s_mov_b32 s0, exec_lo
	v_readlane_b32 s1, v91, 9
	s_and_b32 s1, s0, s1
	s_delay_alu instid0(SALU_CYCLE_1)
	s_mov_b32 exec_lo, s1
	s_cbranch_execz .LBB12_267
; %bb.266:                              ;   in Loop: Header=BB12_3 Depth=1
	ds_load_b32 v23, v55 offset:4416
	ds_load_b32 v25, v56
	s_wait_dscnt 0x0
	v_fmac_f32_e32 v22, v23, v25
.LBB12_267:                             ;   in Loop: Header=BB12_3 Depth=1
	s_or_b32 exec_lo, exec_lo, s0
	s_barrier_signal -1
	s_barrier_wait -1
	s_and_saveexec_b32 s0, s54
	s_cbranch_execz .LBB12_269
; %bb.268:                              ;   in Loop: Header=BB12_3 Depth=1
	ds_load_b32 v23, v5 offset:4680
	s_wait_dscnt 0x0
	v_mul_f32_e32 v22, v22, v23
	ds_store_b32 v56, v22
.LBB12_269:                             ;   in Loop: Header=BB12_3 Depth=1
	s_or_b32 exec_lo, exec_lo, s0
	s_wait_dscnt 0x0
	s_barrier_signal -1
	s_barrier_wait -1
	s_and_saveexec_b32 s0, s55
	s_cbranch_execz .LBB12_271
; %bb.270:                              ;   in Loop: Header=BB12_3 Depth=1
	ds_load_b32 v23, v55 offset:4672
	ds_load_b32 v25, v56
	s_wait_dscnt 0x0
	v_fmac_f32_e32 v22, v23, v25
.LBB12_271:                             ;   in Loop: Header=BB12_3 Depth=1
	s_or_b32 exec_lo, exec_lo, s0
	s_barrier_signal -1
	s_barrier_wait -1
	s_and_saveexec_b32 s0, s56
	s_cbranch_execz .LBB12_273
; %bb.272:                              ;   in Loop: Header=BB12_3 Depth=1
	ds_load_b32 v23, v5 offset:4940
	s_wait_dscnt 0x0
	v_mul_f32_e32 v22, v22, v23
	ds_store_b32 v56, v22
.LBB12_273:                             ;   in Loop: Header=BB12_3 Depth=1
	s_or_b32 exec_lo, exec_lo, s0
	s_wait_dscnt 0x0
	s_barrier_signal -1
	s_barrier_wait -1
	s_and_saveexec_b32 s0, s57
	;; [unrolled: 23-line block ×13, first 2 shown]
	s_cbranch_execz .LBB12_319
; %bb.318:                              ;   in Loop: Header=BB12_3 Depth=1
	ds_load_b32 v23, v5 offset:7804
	ds_load_b32 v25, v56
	s_wait_dscnt 0x0
	v_fmac_f32_e32 v22, v23, v25
.LBB12_319:                             ;   in Loop: Header=BB12_3 Depth=1
	s_or_b32 exec_lo, exec_lo, s0
	s_barrier_signal -1
	s_barrier_wait -1
	s_and_saveexec_b32 s0, s88
	s_cbranch_execz .LBB12_321
; %bb.320:                              ;   in Loop: Header=BB12_3 Depth=1
	ds_load_b32 v23, v5 offset:8060
	s_wait_dscnt 0x0
	v_mul_f32_e32 v22, v22, v23
	ds_store_b32 v56, v22
.LBB12_321:                             ;   in Loop: Header=BB12_3 Depth=1
	s_or_b32 exec_lo, exec_lo, s0
	s_wait_dscnt 0x0
	s_barrier_signal -1
	s_barrier_wait -1
	s_barrier_signal -1
	s_barrier_wait -1
	s_and_saveexec_b32 s0, s6
; %bb.322:                              ;   in Loop: Header=BB12_3 Depth=1
	v_xor_b32_e32 v22, 0x80000000, v22
	ds_store_b32 v57, v22 offset:64
; %bb.323:                              ;   in Loop: Header=BB12_3 Depth=1
	s_or_b32 exec_lo, exec_lo, s0
	s_wait_dscnt 0x0
	s_barrier_signal -1
	s_barrier_wait -1
	s_barrier_signal -1
	s_barrier_wait -1
	s_and_saveexec_b32 s0, s91
	s_cbranch_execz .LBB12_325
; %bb.324:                              ;   in Loop: Header=BB12_3 Depth=1
	ds_load_b32 v22, v33 offset:64
	s_wait_dscnt 0x0
	ds_store_b32 v37, v22 offset:4096
	ds_load_b32 v22, v33 offset:68
	s_wait_dscnt 0x0
	ds_store_b32 v37, v22 offset:4352
	;; [unrolled: 3-line block ×16, first 2 shown]
.LBB12_325:                             ;   in Loop: Header=BB12_3 Depth=1
	s_or_b32 exec_lo, exec_lo, s0
	s_wait_dscnt 0x0
	s_barrier_signal -1
	s_barrier_wait -1
	s_and_saveexec_b32 s0, s17
	s_cbranch_execz .LBB12_327
; %bb.326:                              ;   in Loop: Header=BB12_3 Depth=1
	ds_load_b64 v[22:23], v5 offset:4160
	ds_load_b32 v25, v5 offset:4420
	s_wait_dscnt 0x0
	v_mul_f32_e32 v22, v22, v25
	s_delay_alu instid0(VALU_DEP_1)
	v_mul_f32_e32 v22, v23, v22
	v_add_nc_u32_e64 v23, 0x1000, 0
	ds_store_2addr_b32 v23, v22, v22 offset0:17 offset1:80
.LBB12_327:                             ;   in Loop: Header=BB12_3 Depth=1
	s_or_b32 exec_lo, exec_lo, s0
	v_mov_b32_e32 v22, 0
	s_wait_dscnt 0x0
	s_barrier_signal -1
	s_barrier_wait -1
	s_and_saveexec_b32 s0, s2
	s_cbranch_execz .LBB12_331
; %bb.328:                              ;   in Loop: Header=BB12_3 Depth=1
	ds_load_b32 v22, v27 offset:4168
	ds_load_b32 v23, v28 offset:4160
	s_wait_dscnt 0x0
	v_fma_f32 v22, v22, v23, 0
	s_and_saveexec_b32 s1, s18
	s_cbranch_execz .LBB12_330
; %bb.329:                              ;   in Loop: Header=BB12_3 Depth=1
	ds_load_b32 v23, v29 offset:4424
	ds_load_b32 v25, v5 offset:4164
	s_wait_dscnt 0x0
	v_fmac_f32_e32 v22, v23, v25
.LBB12_330:                             ;   in Loop: Header=BB12_3 Depth=1
	s_or_b32 exec_lo, exec_lo, s1
	s_delay_alu instid0(VALU_DEP_1)
	v_xor_b32_e32 v22, 0x80000000, v22
.LBB12_331:                             ;   in Loop: Header=BB12_3 Depth=1
	s_or_b32 exec_lo, exec_lo, s0
	s_and_saveexec_b32 s0, s93
	s_cbranch_execz .LBB12_333
; %bb.332:                              ;   in Loop: Header=BB12_3 Depth=1
	ds_load_b32 v23, v5 offset:4680
	s_wait_dscnt 0x0
	v_mul_f32_e32 v22, v22, v23
	ds_store_b32 v3, v22
.LBB12_333:                             ;   in Loop: Header=BB12_3 Depth=1
	s_or_b32 exec_lo, exec_lo, s0
	s_wait_dscnt 0x0
	s_barrier_signal -1
	s_barrier_wait -1
	s_and_saveexec_b32 s0, s94
	s_cbranch_execz .LBB12_335
; %bb.334:                              ;   in Loop: Header=BB12_3 Depth=1
	ds_load_b32 v23, v5 offset:4684
	ds_load_b32 v25, v3
	s_wait_dscnt 0x0
	v_fmac_f32_e32 v22, v23, v25
.LBB12_335:                             ;   in Loop: Header=BB12_3 Depth=1
	s_or_b32 exec_lo, exec_lo, s0
	s_barrier_signal -1
	s_barrier_wait -1
	s_and_saveexec_b32 s0, s94
	s_cbranch_execz .LBB12_337
; %bb.336:                              ;   in Loop: Header=BB12_3 Depth=1
	ds_load_b32 v23, v5 offset:4940
	s_wait_dscnt 0x0
	v_mul_f32_e32 v22, v22, v23
	ds_store_b32 v3, v22
.LBB12_337:                             ;   in Loop: Header=BB12_3 Depth=1
	s_or_b32 exec_lo, exec_lo, s0
	s_wait_dscnt 0x0
	s_barrier_signal -1
	s_barrier_wait -1
	s_barrier_signal -1
	s_barrier_wait -1
	s_and_saveexec_b32 s0, s2
; %bb.338:                              ;   in Loop: Header=BB12_3 Depth=1
	v_xor_b32_e32 v22, 0x80000000, v22
	ds_store_b32 v27, v22 offset:4168
; %bb.339:                              ;   in Loop: Header=BB12_3 Depth=1
	s_or_b32 exec_lo, exec_lo, s0
	s_wait_dscnt 0x0
	s_barrier_signal -1
	s_barrier_wait -1
	s_barrier_signal -1
	s_barrier_wait -1
	s_and_saveexec_b32 s0, s95
	s_cbranch_execz .LBB12_341
; %bb.340:                              ;   in Loop: Header=BB12_3 Depth=1
	ds_load_b32 v22, v33 offset:4168
	s_wait_dscnt 0x0
	ds_store_b32 v29, v22 offset:4672
	ds_load_b32 v22, v33 offset:4172
	s_wait_dscnt 0x0
	ds_store_b32 v29, v22 offset:4928
.LBB12_341:                             ;   in Loop: Header=BB12_3 Depth=1
	s_or_b32 exec_lo, exec_lo, s0
	s_wait_dscnt 0x0
	s_barrier_signal -1
	s_barrier_wait -1
	s_and_saveexec_b32 s0, s17
	s_cbranch_execz .LBB12_343
; %bb.342:                              ;   in Loop: Header=BB12_3 Depth=1
	ds_load_b64 v[22:23], v5 offset:4680
	ds_load_b32 v25, v5 offset:4940
	s_wait_dscnt 0x0
	v_mul_f32_e32 v22, v22, v25
	s_delay_alu instid0(VALU_DEP_1)
	v_mul_f32_e32 v22, v23, v22
	v_add_nc_u32_e64 v23, 0x1000, 0
	ds_store_2addr_b32 v23, v22, v22 offset0:147 offset1:210
.LBB12_343:                             ;   in Loop: Header=BB12_3 Depth=1
	s_or_b32 exec_lo, exec_lo, s0
	v_mov_b32_e32 v22, 0
	s_wait_dscnt 0x0
	s_barrier_signal -1
	s_barrier_wait -1
	s_and_saveexec_b32 s0, s4
	s_cbranch_execz .LBB12_349
; %bb.344:                              ;   in Loop: Header=BB12_3 Depth=1
	ds_load_b32 v22, v35 offset:4176
	ds_load_b32 v23, v30 offset:4160
	s_wait_dscnt 0x0
	v_fma_f32 v22, v22, v23, 0
	s_and_saveexec_b32 s1, s19
	s_cbranch_execnz .LBB12_1221
; %bb.345:                              ;   in Loop: Header=BB12_3 Depth=1
	s_or_b32 exec_lo, exec_lo, s1
	s_and_saveexec_b32 s1, s20
	s_cbranch_execnz .LBB12_1222
.LBB12_346:                             ;   in Loop: Header=BB12_3 Depth=1
	s_or_b32 exec_lo, exec_lo, s1
	s_and_saveexec_b32 s1, s2
	s_cbranch_execz .LBB12_348
.LBB12_347:                             ;   in Loop: Header=BB12_3 Depth=1
	ds_load_b32 v23, v37 offset:4944
	ds_load_b32 v25, v5 offset:4172
	s_wait_dscnt 0x0
	v_fmac_f32_e32 v22, v23, v25
.LBB12_348:                             ;   in Loop: Header=BB12_3 Depth=1
	s_or_b32 exec_lo, exec_lo, s1
	s_delay_alu instid0(VALU_DEP_1)
	v_xor_b32_e32 v22, 0x80000000, v22
.LBB12_349:                             ;   in Loop: Header=BB12_3 Depth=1
	s_or_b32 exec_lo, exec_lo, s0
	s_and_saveexec_b32 s0, s96
	s_cbranch_execz .LBB12_351
; %bb.350:                              ;   in Loop: Header=BB12_3 Depth=1
	ds_load_b32 v23, v5 offset:5200
	s_wait_dscnt 0x0
	v_mul_f32_e32 v22, v22, v23
	ds_store_b32 v34, v22
.LBB12_351:                             ;   in Loop: Header=BB12_3 Depth=1
	s_or_b32 exec_lo, exec_lo, s0
	s_wait_dscnt 0x0
	s_barrier_signal -1
	s_barrier_wait -1
	s_and_saveexec_b32 s0, s97
	s_cbranch_execz .LBB12_353
; %bb.352:                              ;   in Loop: Header=BB12_3 Depth=1
	ds_load_b32 v23, v32 offset:5200
	ds_load_b32 v25, v34
	s_wait_dscnt 0x0
	v_fmac_f32_e32 v22, v23, v25
.LBB12_353:                             ;   in Loop: Header=BB12_3 Depth=1
	s_or_b32 exec_lo, exec_lo, s0
	s_barrier_signal -1
	s_barrier_wait -1
	s_and_saveexec_b32 s0, s98
	s_cbranch_execz .LBB12_355
; %bb.354:                              ;   in Loop: Header=BB12_3 Depth=1
	ds_load_b32 v23, v5 offset:5460
	s_wait_dscnt 0x0
	v_mul_f32_e32 v22, v22, v23
	ds_store_b32 v34, v22
.LBB12_355:                             ;   in Loop: Header=BB12_3 Depth=1
	s_or_b32 exec_lo, exec_lo, s0
	s_wait_dscnt 0x0
	s_barrier_signal -1
	s_barrier_wait -1
	s_and_saveexec_b32 s0, s99
	s_cbranch_execz .LBB12_357
; %bb.356:                              ;   in Loop: Header=BB12_3 Depth=1
	ds_load_b32 v23, v32 offset:5456
	ds_load_b32 v25, v34
	s_wait_dscnt 0x0
	v_fmac_f32_e32 v22, v23, v25
.LBB12_357:                             ;   in Loop: Header=BB12_3 Depth=1
	s_or_b32 exec_lo, exec_lo, s0
	s_barrier_signal -1
	s_barrier_wait -1
	;; [unrolled: 23-line block ×3, first 2 shown]
	s_and_saveexec_b32 s0, s101
	s_cbranch_execz .LBB12_363
; %bb.362:                              ;   in Loop: Header=BB12_3 Depth=1
	ds_load_b32 v23, v5 offset:5980
	s_wait_dscnt 0x0
	v_mul_f32_e32 v22, v22, v23
	ds_store_b32 v34, v22
.LBB12_363:                             ;   in Loop: Header=BB12_3 Depth=1
	s_or_b32 exec_lo, exec_lo, s0
	s_wait_dscnt 0x0
	s_barrier_signal -1
	s_barrier_wait -1
	s_barrier_signal -1
	s_barrier_wait -1
	s_and_saveexec_b32 s0, s4
; %bb.364:                              ;   in Loop: Header=BB12_3 Depth=1
	v_xor_b32_e32 v22, 0x80000000, v22
	ds_store_b32 v35, v22 offset:4176
; %bb.365:                              ;   in Loop: Header=BB12_3 Depth=1
	s_or_b32 exec_lo, exec_lo, s0
	s_wait_dscnt 0x0
	s_barrier_signal -1
	s_barrier_wait -1
	s_barrier_signal -1
	s_barrier_wait -1
	s_and_saveexec_b32 s0, s102
	s_cbranch_execz .LBB12_367
; %bb.366:                              ;   in Loop: Header=BB12_3 Depth=1
	ds_load_b32 v22, v38 offset:4176
	s_wait_dscnt 0x0
	ds_store_b32 v40, v22 offset:5184
	ds_load_b32 v22, v38 offset:4180
	s_wait_dscnt 0x0
	ds_store_b32 v40, v22 offset:5440
	;; [unrolled: 3-line block ×4, first 2 shown]
.LBB12_367:                             ;   in Loop: Header=BB12_3 Depth=1
	s_or_b32 exec_lo, exec_lo, s0
	s_wait_dscnt 0x0
	s_barrier_signal -1
	s_barrier_wait -1
	s_and_saveexec_b32 s0, s17
	s_cbranch_execz .LBB12_369
; %bb.368:                              ;   in Loop: Header=BB12_3 Depth=1
	ds_load_b64 v[22:23], v5 offset:5200
	ds_load_b32 v25, v5 offset:5460
	s_wait_dscnt 0x0
	v_mul_f32_e32 v22, v22, v25
	s_delay_alu instid0(VALU_DEP_1)
	v_mul_f32_e32 v22, v23, v22
	v_add_nc_u32_e64 v23, 0x1400, 0
	ds_store_2addr_b32 v23, v22, v22 offset0:21 offset1:84
.LBB12_369:                             ;   in Loop: Header=BB12_3 Depth=1
	s_or_b32 exec_lo, exec_lo, s0
	v_mov_b32_e32 v22, 0
	s_wait_dscnt 0x0
	s_barrier_signal -1
	s_barrier_wait -1
	s_and_saveexec_b32 s0, s2
	s_cbranch_execz .LBB12_373
; %bb.370:                              ;   in Loop: Header=BB12_3 Depth=1
	ds_load_b32 v22, v27 offset:5208
	ds_load_b32 v23, v28 offset:5200
	s_wait_dscnt 0x0
	v_fma_f32 v22, v22, v23, 0
	s_and_saveexec_b32 s1, s18
	s_cbranch_execz .LBB12_372
; %bb.371:                              ;   in Loop: Header=BB12_3 Depth=1
	ds_load_b32 v23, v40 offset:5464
	ds_load_b32 v25, v5 offset:5204
	s_wait_dscnt 0x0
	v_fmac_f32_e32 v22, v23, v25
.LBB12_372:                             ;   in Loop: Header=BB12_3 Depth=1
	s_or_b32 exec_lo, exec_lo, s1
	s_delay_alu instid0(VALU_DEP_1)
	v_xor_b32_e32 v22, 0x80000000, v22
.LBB12_373:                             ;   in Loop: Header=BB12_3 Depth=1
	s_or_b32 exec_lo, exec_lo, s0
	s_and_saveexec_b32 s0, s93
	s_cbranch_execz .LBB12_375
; %bb.374:                              ;   in Loop: Header=BB12_3 Depth=1
	ds_load_b32 v23, v5 offset:5720
	s_wait_dscnt 0x0
	v_mul_f32_e32 v22, v22, v23
	ds_store_b32 v3, v22
.LBB12_375:                             ;   in Loop: Header=BB12_3 Depth=1
	s_or_b32 exec_lo, exec_lo, s0
	s_wait_dscnt 0x0
	s_barrier_signal -1
	s_barrier_wait -1
	s_and_saveexec_b32 s0, s94
	s_cbranch_execz .LBB12_377
; %bb.376:                              ;   in Loop: Header=BB12_3 Depth=1
	ds_load_b32 v23, v5 offset:5724
	ds_load_b32 v25, v3
	s_wait_dscnt 0x0
	v_fmac_f32_e32 v22, v23, v25
.LBB12_377:                             ;   in Loop: Header=BB12_3 Depth=1
	s_or_b32 exec_lo, exec_lo, s0
	s_barrier_signal -1
	s_barrier_wait -1
	s_and_saveexec_b32 s0, s94
	s_cbranch_execz .LBB12_379
; %bb.378:                              ;   in Loop: Header=BB12_3 Depth=1
	ds_load_b32 v23, v5 offset:5980
	s_wait_dscnt 0x0
	v_mul_f32_e32 v22, v22, v23
	ds_store_b32 v3, v22
.LBB12_379:                             ;   in Loop: Header=BB12_3 Depth=1
	s_or_b32 exec_lo, exec_lo, s0
	s_wait_dscnt 0x0
	s_barrier_signal -1
	s_barrier_wait -1
	s_barrier_signal -1
	s_barrier_wait -1
	s_and_saveexec_b32 s0, s2
; %bb.380:                              ;   in Loop: Header=BB12_3 Depth=1
	v_xor_b32_e32 v22, 0x80000000, v22
	ds_store_b32 v27, v22 offset:5208
; %bb.381:                              ;   in Loop: Header=BB12_3 Depth=1
	s_or_b32 exec_lo, exec_lo, s0
	s_wait_dscnt 0x0
	s_barrier_signal -1
	s_barrier_wait -1
	s_barrier_signal -1
	s_barrier_wait -1
	s_and_saveexec_b32 s0, s95
	s_cbranch_execz .LBB12_383
; %bb.382:                              ;   in Loop: Header=BB12_3 Depth=1
	ds_load_b32 v22, v42 offset:5208
	s_wait_dscnt 0x0
	ds_store_b32 v40, v22 offset:5712
	ds_load_b32 v22, v42 offset:5212
	s_wait_dscnt 0x0
	ds_store_b32 v40, v22 offset:5968
.LBB12_383:                             ;   in Loop: Header=BB12_3 Depth=1
	s_or_b32 exec_lo, exec_lo, s0
	s_wait_dscnt 0x0
	s_barrier_signal -1
	s_barrier_wait -1
	s_and_saveexec_b32 s0, s17
	s_cbranch_execz .LBB12_385
; %bb.384:                              ;   in Loop: Header=BB12_3 Depth=1
	ds_load_b64 v[22:23], v5 offset:5720
	ds_load_b32 v25, v5 offset:5980
	s_wait_dscnt 0x0
	v_mul_f32_e32 v22, v22, v25
	s_delay_alu instid0(VALU_DEP_1)
	v_mul_f32_e32 v22, v23, v22
	v_add_nc_u32_e64 v23, 0x1400, 0
	ds_store_2addr_b32 v23, v22, v22 offset0:151 offset1:214
.LBB12_385:                             ;   in Loop: Header=BB12_3 Depth=1
	s_or_b32 exec_lo, exec_lo, s0
	v_mov_b32_e32 v22, 0
	s_wait_dscnt 0x0
	s_barrier_signal -1
	s_barrier_wait -1
	s_and_saveexec_b32 s0, s5
	s_cbranch_execz .LBB12_395
; %bb.386:                              ;   in Loop: Header=BB12_3 Depth=1
	ds_load_b32 v22, v44 offset:4192
	ds_load_b32 v23, v39 offset:4160
	s_wait_dscnt 0x0
	v_fma_f32 v22, v22, v23, 0
	s_and_saveexec_b32 s1, s21
	s_cbranch_execnz .LBB12_1223
; %bb.387:                              ;   in Loop: Header=BB12_3 Depth=1
	s_or_b32 exec_lo, exec_lo, s1
	s_and_saveexec_b32 s1, s22
	s_cbranch_execnz .LBB12_1224
.LBB12_388:                             ;   in Loop: Header=BB12_3 Depth=1
	s_or_b32 exec_lo, exec_lo, s1
	s_and_saveexec_b32 s1, s23
	s_cbranch_execnz .LBB12_1225
.LBB12_389:                             ;   in Loop: Header=BB12_3 Depth=1
	s_or_b32 exec_lo, exec_lo, s1
	s_and_saveexec_b32 s1, s24
	s_cbranch_execnz .LBB12_1226
.LBB12_390:                             ;   in Loop: Header=BB12_3 Depth=1
	s_or_b32 exec_lo, exec_lo, s1
	s_and_saveexec_b32 s1, s25
	s_cbranch_execnz .LBB12_1227
.LBB12_391:                             ;   in Loop: Header=BB12_3 Depth=1
	s_or_b32 exec_lo, exec_lo, s1
	s_and_saveexec_b32 s1, s4
	s_cbranch_execnz .LBB12_1228
.LBB12_392:                             ;   in Loop: Header=BB12_3 Depth=1
	s_or_b32 exec_lo, exec_lo, s1
	s_and_saveexec_b32 s1, s20
	s_cbranch_execz .LBB12_394
.LBB12_393:                             ;   in Loop: Header=BB12_3 Depth=1
	ds_load_b32 v23, v46 offset:5984
	ds_load_b32 v25, v5 offset:4188
	s_wait_dscnt 0x0
	v_fmac_f32_e32 v22, v23, v25
.LBB12_394:                             ;   in Loop: Header=BB12_3 Depth=1
	s_or_b32 exec_lo, exec_lo, s1
	s_delay_alu instid0(VALU_DEP_1)
	v_xor_b32_e32 v22, 0x80000000, v22
.LBB12_395:                             ;   in Loop: Header=BB12_3 Depth=1
	s_or_b32 exec_lo, exec_lo, s0
	s_and_saveexec_b32 s0, s103
	s_cbranch_execz .LBB12_397
; %bb.396:                              ;   in Loop: Header=BB12_3 Depth=1
	ds_load_b32 v23, v5 offset:6240
	s_wait_dscnt 0x0
	v_mul_f32_e32 v22, v22, v23
	ds_store_b32 v43, v22
.LBB12_397:                             ;   in Loop: Header=BB12_3 Depth=1
	s_or_b32 exec_lo, exec_lo, s0
	s_wait_dscnt 0x0
	s_barrier_signal -1
	s_barrier_wait -1
	s_and_saveexec_b32 s0, s104
	s_cbranch_execz .LBB12_399
; %bb.398:                              ;   in Loop: Header=BB12_3 Depth=1
	ds_load_b32 v23, v41 offset:6240
	ds_load_b32 v25, v43
	s_wait_dscnt 0x0
	v_fmac_f32_e32 v22, v23, v25
.LBB12_399:                             ;   in Loop: Header=BB12_3 Depth=1
	s_or_b32 exec_lo, exec_lo, s0
	s_barrier_signal -1
	s_barrier_wait -1
	s_and_saveexec_b32 s0, vcc_hi
	s_cbranch_execz .LBB12_401
; %bb.400:                              ;   in Loop: Header=BB12_3 Depth=1
	ds_load_b32 v23, v5 offset:6500
	s_wait_dscnt 0x0
	v_mul_f32_e32 v22, v22, v23
	ds_store_b32 v43, v22
.LBB12_401:                             ;   in Loop: Header=BB12_3 Depth=1
	s_or_b32 exec_lo, exec_lo, s0
	s_wait_dscnt 0x0
	s_barrier_signal -1
	s_barrier_wait -1
	s_and_saveexec_b32 s0, s38
	s_cbranch_execz .LBB12_403
; %bb.402:                              ;   in Loop: Header=BB12_3 Depth=1
	ds_load_b32 v23, v41 offset:6496
	ds_load_b32 v25, v43
	s_wait_dscnt 0x0
	v_fmac_f32_e32 v22, v23, v25
.LBB12_403:                             ;   in Loop: Header=BB12_3 Depth=1
	s_or_b32 exec_lo, exec_lo, s0
	s_barrier_signal -1
	s_barrier_wait -1
	s_and_saveexec_b32 s0, s39
	s_cbranch_execz .LBB12_405
; %bb.404:                              ;   in Loop: Header=BB12_3 Depth=1
	ds_load_b32 v23, v5 offset:6760
	s_wait_dscnt 0x0
	v_mul_f32_e32 v22, v22, v23
	ds_store_b32 v43, v22
.LBB12_405:                             ;   in Loop: Header=BB12_3 Depth=1
	s_or_b32 exec_lo, exec_lo, s0
	s_wait_dscnt 0x0
	s_barrier_signal -1
	s_barrier_wait -1
	s_and_saveexec_b32 s0, s40
	s_cbranch_execz .LBB12_407
; %bb.406:                              ;   in Loop: Header=BB12_3 Depth=1
	ds_load_b32 v23, v41 offset:6752
	ds_load_b32 v25, v43
	s_wait_dscnt 0x0
	v_fmac_f32_e32 v22, v23, v25
.LBB12_407:                             ;   in Loop: Header=BB12_3 Depth=1
	s_or_b32 exec_lo, exec_lo, s0
	s_barrier_signal -1
	s_barrier_wait -1
	s_and_saveexec_b32 s0, s41
	;; [unrolled: 23-line block ×6, first 2 shown]
	s_cbranch_execz .LBB12_425
; %bb.424:                              ;   in Loop: Header=BB12_3 Depth=1
	ds_load_b32 v23, v5 offset:8060
	s_wait_dscnt 0x0
	v_mul_f32_e32 v22, v22, v23
	ds_store_b32 v43, v22
.LBB12_425:                             ;   in Loop: Header=BB12_3 Depth=1
	s_or_b32 exec_lo, exec_lo, s0
	s_wait_dscnt 0x0
	s_barrier_signal -1
	s_barrier_wait -1
	s_barrier_signal -1
	s_barrier_wait -1
	s_and_saveexec_b32 s0, s5
; %bb.426:                              ;   in Loop: Header=BB12_3 Depth=1
	v_xor_b32_e32 v22, 0x80000000, v22
	ds_store_b32 v44, v22 offset:4192
; %bb.427:                              ;   in Loop: Header=BB12_3 Depth=1
	s_or_b32 exec_lo, exec_lo, s0
	s_wait_dscnt 0x0
	s_barrier_signal -1
	s_barrier_wait -1
	s_barrier_signal -1
	s_barrier_wait -1
	s_and_saveexec_b32 s0, s49
	s_cbranch_execz .LBB12_429
; %bb.428:                              ;   in Loop: Header=BB12_3 Depth=1
	ds_load_b32 v22, v47 offset:4192
	s_wait_dscnt 0x0
	ds_store_b32 v48, v22 offset:6208
	ds_load_b32 v22, v47 offset:4196
	s_wait_dscnt 0x0
	ds_store_b32 v48, v22 offset:6464
	;; [unrolled: 3-line block ×8, first 2 shown]
.LBB12_429:                             ;   in Loop: Header=BB12_3 Depth=1
	s_or_b32 exec_lo, exec_lo, s0
	s_wait_dscnt 0x0
	s_barrier_signal -1
	s_barrier_wait -1
	s_and_saveexec_b32 s0, s17
	s_cbranch_execz .LBB12_431
; %bb.430:                              ;   in Loop: Header=BB12_3 Depth=1
	ds_load_b64 v[22:23], v5 offset:6240
	ds_load_b32 v25, v5 offset:6500
	s_wait_dscnt 0x0
	v_mul_f32_e32 v22, v22, v25
	s_delay_alu instid0(VALU_DEP_1)
	v_mul_f32_e32 v22, v23, v22
	v_add_nc_u32_e64 v23, 0x1800, 0
	ds_store_2addr_b32 v23, v22, v22 offset0:25 offset1:88
.LBB12_431:                             ;   in Loop: Header=BB12_3 Depth=1
	s_or_b32 exec_lo, exec_lo, s0
	v_mov_b32_e32 v22, 0
	s_wait_dscnt 0x0
	s_barrier_signal -1
	s_barrier_wait -1
	s_and_saveexec_b32 s0, s2
	s_cbranch_execz .LBB12_435
; %bb.432:                              ;   in Loop: Header=BB12_3 Depth=1
	ds_load_b32 v22, v27 offset:6248
	ds_load_b32 v23, v28 offset:6240
	s_wait_dscnt 0x0
	v_fma_f32 v22, v22, v23, 0
	s_and_saveexec_b32 s1, s18
	s_cbranch_execz .LBB12_434
; %bb.433:                              ;   in Loop: Header=BB12_3 Depth=1
	ds_load_b32 v23, v48 offset:6504
	ds_load_b32 v25, v5 offset:6244
	s_wait_dscnt 0x0
	v_fmac_f32_e32 v22, v23, v25
.LBB12_434:                             ;   in Loop: Header=BB12_3 Depth=1
	s_or_b32 exec_lo, exec_lo, s1
	s_delay_alu instid0(VALU_DEP_1)
	v_xor_b32_e32 v22, 0x80000000, v22
.LBB12_435:                             ;   in Loop: Header=BB12_3 Depth=1
	s_or_b32 exec_lo, exec_lo, s0
	s_and_saveexec_b32 s0, s93
	s_cbranch_execz .LBB12_437
; %bb.436:                              ;   in Loop: Header=BB12_3 Depth=1
	ds_load_b32 v23, v5 offset:6760
	s_wait_dscnt 0x0
	v_mul_f32_e32 v22, v22, v23
	ds_store_b32 v3, v22
.LBB12_437:                             ;   in Loop: Header=BB12_3 Depth=1
	s_or_b32 exec_lo, exec_lo, s0
	s_wait_dscnt 0x0
	s_barrier_signal -1
	s_barrier_wait -1
	s_and_saveexec_b32 s0, s94
	s_cbranch_execz .LBB12_439
; %bb.438:                              ;   in Loop: Header=BB12_3 Depth=1
	ds_load_b32 v23, v5 offset:6764
	ds_load_b32 v25, v3
	s_wait_dscnt 0x0
	v_fmac_f32_e32 v22, v23, v25
.LBB12_439:                             ;   in Loop: Header=BB12_3 Depth=1
	s_or_b32 exec_lo, exec_lo, s0
	s_barrier_signal -1
	s_barrier_wait -1
	s_and_saveexec_b32 s0, s94
	s_cbranch_execz .LBB12_441
; %bb.440:                              ;   in Loop: Header=BB12_3 Depth=1
	ds_load_b32 v23, v5 offset:7020
	s_wait_dscnt 0x0
	v_mul_f32_e32 v22, v22, v23
	ds_store_b32 v3, v22
.LBB12_441:                             ;   in Loop: Header=BB12_3 Depth=1
	s_or_b32 exec_lo, exec_lo, s0
	s_wait_dscnt 0x0
	s_barrier_signal -1
	s_barrier_wait -1
	s_barrier_signal -1
	s_barrier_wait -1
	s_and_saveexec_b32 s0, s2
; %bb.442:                              ;   in Loop: Header=BB12_3 Depth=1
	v_xor_b32_e32 v22, 0x80000000, v22
	ds_store_b32 v27, v22 offset:6248
; %bb.443:                              ;   in Loop: Header=BB12_3 Depth=1
	s_or_b32 exec_lo, exec_lo, s0
	s_wait_dscnt 0x0
	s_barrier_signal -1
	s_barrier_wait -1
	s_barrier_signal -1
	s_barrier_wait -1
	s_and_saveexec_b32 s0, s95
	s_cbranch_execz .LBB12_445
; %bb.444:                              ;   in Loop: Header=BB12_3 Depth=1
	ds_load_b32 v22, v49 offset:6248
	s_wait_dscnt 0x0
	ds_store_b32 v48, v22 offset:6752
	ds_load_b32 v22, v49 offset:6252
	s_wait_dscnt 0x0
	ds_store_b32 v48, v22 offset:7008
.LBB12_445:                             ;   in Loop: Header=BB12_3 Depth=1
	s_or_b32 exec_lo, exec_lo, s0
	s_wait_dscnt 0x0
	s_barrier_signal -1
	s_barrier_wait -1
	s_and_saveexec_b32 s0, s17
	s_cbranch_execz .LBB12_447
; %bb.446:                              ;   in Loop: Header=BB12_3 Depth=1
	ds_load_b64 v[22:23], v5 offset:6760
	ds_load_b32 v25, v5 offset:7020
	s_wait_dscnt 0x0
	v_mul_f32_e32 v22, v22, v25
	s_delay_alu instid0(VALU_DEP_1)
	v_mul_f32_e32 v22, v23, v22
	v_add_nc_u32_e64 v23, 0x1800, 0
	ds_store_2addr_b32 v23, v22, v22 offset0:155 offset1:218
.LBB12_447:                             ;   in Loop: Header=BB12_3 Depth=1
	s_or_b32 exec_lo, exec_lo, s0
	v_mov_b32_e32 v22, 0
	s_wait_dscnt 0x0
	s_barrier_signal -1
	s_barrier_wait -1
	s_and_saveexec_b32 s0, s4
	s_cbranch_execz .LBB12_453
; %bb.448:                              ;   in Loop: Header=BB12_3 Depth=1
	ds_load_b32 v22, v35 offset:6256
	ds_load_b32 v23, v30 offset:6240
	s_wait_dscnt 0x0
	v_fma_f32 v22, v22, v23, 0
	s_and_saveexec_b32 s1, s19
	s_cbranch_execnz .LBB12_1229
; %bb.449:                              ;   in Loop: Header=BB12_3 Depth=1
	s_or_b32 exec_lo, exec_lo, s1
	s_and_saveexec_b32 s1, s20
	s_cbranch_execnz .LBB12_1230
.LBB12_450:                             ;   in Loop: Header=BB12_3 Depth=1
	s_or_b32 exec_lo, exec_lo, s1
	s_and_saveexec_b32 s1, s2
	s_cbranch_execz .LBB12_452
.LBB12_451:                             ;   in Loop: Header=BB12_3 Depth=1
	ds_load_b32 v23, v50 offset:7024
	ds_load_b32 v25, v5 offset:6252
	s_wait_dscnt 0x0
	v_fmac_f32_e32 v22, v23, v25
.LBB12_452:                             ;   in Loop: Header=BB12_3 Depth=1
	s_or_b32 exec_lo, exec_lo, s1
	s_delay_alu instid0(VALU_DEP_1)
	v_xor_b32_e32 v22, 0x80000000, v22
.LBB12_453:                             ;   in Loop: Header=BB12_3 Depth=1
	s_or_b32 exec_lo, exec_lo, s0
	s_and_saveexec_b32 s0, s96
	s_cbranch_execz .LBB12_455
; %bb.454:                              ;   in Loop: Header=BB12_3 Depth=1
	ds_load_b32 v23, v5 offset:7280
	s_wait_dscnt 0x0
	v_mul_f32_e32 v22, v22, v23
	ds_store_b32 v34, v22
.LBB12_455:                             ;   in Loop: Header=BB12_3 Depth=1
	s_or_b32 exec_lo, exec_lo, s0
	s_wait_dscnt 0x0
	s_barrier_signal -1
	s_barrier_wait -1
	s_and_saveexec_b32 s0, s97
	s_cbranch_execz .LBB12_457
; %bb.456:                              ;   in Loop: Header=BB12_3 Depth=1
	ds_load_b32 v23, v32 offset:7280
	ds_load_b32 v25, v34
	s_wait_dscnt 0x0
	v_fmac_f32_e32 v22, v23, v25
.LBB12_457:                             ;   in Loop: Header=BB12_3 Depth=1
	s_or_b32 exec_lo, exec_lo, s0
	s_barrier_signal -1
	s_barrier_wait -1
	s_and_saveexec_b32 s0, s98
	s_cbranch_execz .LBB12_459
; %bb.458:                              ;   in Loop: Header=BB12_3 Depth=1
	ds_load_b32 v23, v5 offset:7540
	s_wait_dscnt 0x0
	v_mul_f32_e32 v22, v22, v23
	ds_store_b32 v34, v22
.LBB12_459:                             ;   in Loop: Header=BB12_3 Depth=1
	s_or_b32 exec_lo, exec_lo, s0
	s_wait_dscnt 0x0
	s_barrier_signal -1
	s_barrier_wait -1
	s_and_saveexec_b32 s0, s99
	s_cbranch_execz .LBB12_461
; %bb.460:                              ;   in Loop: Header=BB12_3 Depth=1
	ds_load_b32 v23, v32 offset:7536
	ds_load_b32 v25, v34
	s_wait_dscnt 0x0
	v_fmac_f32_e32 v22, v23, v25
.LBB12_461:                             ;   in Loop: Header=BB12_3 Depth=1
	s_or_b32 exec_lo, exec_lo, s0
	s_barrier_signal -1
	s_barrier_wait -1
	s_and_saveexec_b32 s0, s100
	s_cbranch_execz .LBB12_463
; %bb.462:                              ;   in Loop: Header=BB12_3 Depth=1
	ds_load_b32 v23, v5 offset:7800
	s_wait_dscnt 0x0
	v_mul_f32_e32 v22, v22, v23
	ds_store_b32 v34, v22
.LBB12_463:                             ;   in Loop: Header=BB12_3 Depth=1
	s_or_b32 exec_lo, exec_lo, s0
	s_wait_dscnt 0x0
	s_barrier_signal -1
	s_barrier_wait -1
	s_and_saveexec_b32 s0, s101
	s_cbranch_execz .LBB12_465
; %bb.464:                              ;   in Loop: Header=BB12_3 Depth=1
	ds_load_b32 v23, v5 offset:7804
	ds_load_b32 v25, v34
	s_wait_dscnt 0x0
	v_fmac_f32_e32 v22, v23, v25
.LBB12_465:                             ;   in Loop: Header=BB12_3 Depth=1
	s_or_b32 exec_lo, exec_lo, s0
	s_barrier_signal -1
	s_barrier_wait -1
	s_and_saveexec_b32 s0, s101
	s_cbranch_execz .LBB12_467
; %bb.466:                              ;   in Loop: Header=BB12_3 Depth=1
	ds_load_b32 v23, v5 offset:8060
	s_wait_dscnt 0x0
	v_mul_f32_e32 v22, v22, v23
	ds_store_b32 v34, v22
.LBB12_467:                             ;   in Loop: Header=BB12_3 Depth=1
	s_or_b32 exec_lo, exec_lo, s0
	s_wait_dscnt 0x0
	s_barrier_signal -1
	s_barrier_wait -1
	s_barrier_signal -1
	s_barrier_wait -1
	s_and_saveexec_b32 s0, s4
; %bb.468:                              ;   in Loop: Header=BB12_3 Depth=1
	v_xor_b32_e32 v22, 0x80000000, v22
	ds_store_b32 v35, v22 offset:6256
; %bb.469:                              ;   in Loop: Header=BB12_3 Depth=1
	s_or_b32 exec_lo, exec_lo, s0
	s_wait_dscnt 0x0
	s_barrier_signal -1
	s_barrier_wait -1
	s_barrier_signal -1
	s_barrier_wait -1
	s_and_saveexec_b32 s0, s102
	s_cbranch_execz .LBB12_471
; %bb.470:                              ;   in Loop: Header=BB12_3 Depth=1
	ds_load_b32 v22, v51 offset:6256
	s_wait_dscnt 0x0
	ds_store_b32 v52, v22 offset:7264
	ds_load_b32 v22, v51 offset:6260
	s_wait_dscnt 0x0
	ds_store_b32 v52, v22 offset:7520
	;; [unrolled: 3-line block ×4, first 2 shown]
.LBB12_471:                             ;   in Loop: Header=BB12_3 Depth=1
	s_or_b32 exec_lo, exec_lo, s0
	s_wait_dscnt 0x0
	s_barrier_signal -1
	s_barrier_wait -1
	s_and_saveexec_b32 s0, s17
	s_cbranch_execz .LBB12_473
; %bb.472:                              ;   in Loop: Header=BB12_3 Depth=1
	ds_load_b64 v[22:23], v5 offset:7280
	ds_load_b32 v25, v5 offset:7540
	s_wait_dscnt 0x0
	v_mul_f32_e32 v22, v22, v25
	s_delay_alu instid0(VALU_DEP_1)
	v_mul_f32_e32 v22, v23, v22
	v_add_nc_u32_e64 v23, 0x1c00, 0
	ds_store_2addr_b32 v23, v22, v22 offset0:29 offset1:92
.LBB12_473:                             ;   in Loop: Header=BB12_3 Depth=1
	s_or_b32 exec_lo, exec_lo, s0
	v_mov_b32_e32 v22, 0
	s_wait_dscnt 0x0
	s_barrier_signal -1
	s_barrier_wait -1
	s_and_saveexec_b32 s0, s2
	s_cbranch_execz .LBB12_477
; %bb.474:                              ;   in Loop: Header=BB12_3 Depth=1
	ds_load_b32 v22, v27 offset:7288
	ds_load_b32 v23, v28 offset:7280
	s_wait_dscnt 0x0
	v_fma_f32 v22, v22, v23, 0
	s_and_saveexec_b32 s1, s18
	s_cbranch_execz .LBB12_476
; %bb.475:                              ;   in Loop: Header=BB12_3 Depth=1
	ds_load_b32 v23, v52 offset:7544
	ds_load_b32 v25, v5 offset:7284
	s_wait_dscnt 0x0
	v_fmac_f32_e32 v22, v23, v25
.LBB12_476:                             ;   in Loop: Header=BB12_3 Depth=1
	s_or_b32 exec_lo, exec_lo, s1
	s_delay_alu instid0(VALU_DEP_1)
	v_xor_b32_e32 v22, 0x80000000, v22
.LBB12_477:                             ;   in Loop: Header=BB12_3 Depth=1
	s_or_b32 exec_lo, exec_lo, s0
	s_and_saveexec_b32 s0, s93
	s_cbranch_execz .LBB12_479
; %bb.478:                              ;   in Loop: Header=BB12_3 Depth=1
	ds_load_b32 v23, v5 offset:7800
	s_wait_dscnt 0x0
	v_mul_f32_e32 v22, v22, v23
	ds_store_b32 v3, v22
.LBB12_479:                             ;   in Loop: Header=BB12_3 Depth=1
	s_or_b32 exec_lo, exec_lo, s0
	s_wait_dscnt 0x0
	s_barrier_signal -1
	s_barrier_wait -1
	s_and_saveexec_b32 s0, s94
	s_cbranch_execz .LBB12_481
; %bb.480:                              ;   in Loop: Header=BB12_3 Depth=1
	ds_load_b32 v23, v5 offset:7804
	ds_load_b32 v25, v3
	s_wait_dscnt 0x0
	v_fmac_f32_e32 v22, v23, v25
.LBB12_481:                             ;   in Loop: Header=BB12_3 Depth=1
	s_or_b32 exec_lo, exec_lo, s0
	s_barrier_signal -1
	s_barrier_wait -1
	s_and_saveexec_b32 s0, s94
	s_cbranch_execz .LBB12_483
; %bb.482:                              ;   in Loop: Header=BB12_3 Depth=1
	ds_load_b32 v23, v5 offset:8060
	s_wait_dscnt 0x0
	v_mul_f32_e32 v22, v22, v23
	ds_store_b32 v3, v22
.LBB12_483:                             ;   in Loop: Header=BB12_3 Depth=1
	s_or_b32 exec_lo, exec_lo, s0
	s_wait_dscnt 0x0
	s_barrier_signal -1
	s_barrier_wait -1
	s_barrier_signal -1
	s_barrier_wait -1
	s_and_saveexec_b32 s0, s2
; %bb.484:                              ;   in Loop: Header=BB12_3 Depth=1
	v_xor_b32_e32 v22, 0x80000000, v22
	ds_store_b32 v27, v22 offset:7288
; %bb.485:                              ;   in Loop: Header=BB12_3 Depth=1
	s_or_b32 exec_lo, exec_lo, s0
	s_wait_dscnt 0x0
	s_barrier_signal -1
	s_barrier_wait -1
	s_barrier_signal -1
	s_barrier_wait -1
	s_and_saveexec_b32 s0, s95
	s_cbranch_execz .LBB12_487
; %bb.486:                              ;   in Loop: Header=BB12_3 Depth=1
	ds_load_b32 v22, v54 offset:7288
	s_wait_dscnt 0x0
	ds_store_b32 v52, v22 offset:7792
	ds_load_b32 v22, v54 offset:7292
	s_wait_dscnt 0x0
	ds_store_b32 v52, v22 offset:8048
.LBB12_487:                             ;   in Loop: Header=BB12_3 Depth=1
	s_or_b32 exec_lo, exec_lo, s0
	s_wait_dscnt 0x0
	s_barrier_signal -1
	s_barrier_wait -1
	s_and_saveexec_b32 s0, s17
	s_cbranch_execz .LBB12_489
; %bb.488:                              ;   in Loop: Header=BB12_3 Depth=1
	ds_load_b64 v[22:23], v5 offset:7800
	ds_load_b32 v25, v5 offset:8060
	s_wait_dscnt 0x0
	v_mul_f32_e32 v22, v22, v25
	s_delay_alu instid0(VALU_DEP_1)
	v_mul_f32_e32 v22, v23, v22
	v_add_nc_u32_e64 v23, 0x1c00, 0
	ds_store_2addr_b32 v23, v22, v22 offset0:159 offset1:222
.LBB12_489:                             ;   in Loop: Header=BB12_3 Depth=1
	s_or_b32 exec_lo, exec_lo, s0
	v_mov_b32_e32 v22, 0
	s_wait_dscnt 0x0
	s_barrier_signal -1
	s_barrier_wait -1
	s_and_saveexec_b32 s0, s7
	s_cbranch_execz .LBB12_551
; %bb.490:                              ;   in Loop: Header=BB12_3 Depth=1
	v_add_nc_u32_e32 v23, v60, v59
	ds_load_b32 v22, v63 offset:128
	ds_load_b32 v25, v23
	s_wait_dscnt 0x0
	v_fma_f32 v22, v22, v25, 0
	s_mov_b32 s1, exec_lo
	v_readlane_b32 s50, v88, 5
	s_and_b32 s50, s1, s50
	s_delay_alu instid0(SALU_CYCLE_1)
	s_mov_b32 exec_lo, s50
	s_cbranch_execz .LBB12_492
; %bb.491:                              ;   in Loop: Header=BB12_3 Depth=1
	ds_load_b32 v25, v63 offset:384
	ds_load_b32 v82, v23 offset:4
	s_wait_dscnt 0x0
	v_fmac_f32_e32 v22, v25, v82
.LBB12_492:                             ;   in Loop: Header=BB12_3 Depth=1
	s_or_b32 exec_lo, exec_lo, s1
	s_delay_alu instid0(SALU_CYCLE_1) | instskip(SKIP_2) | instid1(SALU_CYCLE_1)
	s_mov_b32 s1, exec_lo
	v_readlane_b32 s50, v88, 6
	s_and_b32 s50, s1, s50
	s_mov_b32 exec_lo, s50
	s_cbranch_execz .LBB12_494
; %bb.493:                              ;   in Loop: Header=BB12_3 Depth=1
	ds_load_b32 v25, v63 offset:640
	ds_load_b32 v82, v23 offset:8
	s_wait_dscnt 0x0
	v_fmac_f32_e32 v22, v25, v82
.LBB12_494:                             ;   in Loop: Header=BB12_3 Depth=1
	s_or_b32 exec_lo, exec_lo, s1
	s_delay_alu instid0(SALU_CYCLE_1) | instskip(SKIP_2) | instid1(SALU_CYCLE_1)
	s_mov_b32 s1, exec_lo
	v_readlane_b32 s50, v88, 7
	s_and_b32 s50, s1, s50
	;; [unrolled: 13-line block ×22, first 2 shown]
	s_mov_b32 exec_lo, s50
	s_cbranch_execz .LBB12_536
; %bb.535:                              ;   in Loop: Header=BB12_3 Depth=1
	ds_load_b32 v25, v63 offset:6016
	ds_load_b32 v82, v23 offset:92
	s_wait_dscnt 0x0
	v_fmac_f32_e32 v22, v25, v82
.LBB12_536:                             ;   in Loop: Header=BB12_3 Depth=1
	s_or_b32 exec_lo, exec_lo, s1
	s_and_saveexec_b32 s1, s6
	s_cbranch_execz .LBB12_538
; %bb.537:                              ;   in Loop: Header=BB12_3 Depth=1
	ds_load_b32 v25, v63 offset:6272
	ds_load_b32 v82, v23 offset:96
	s_wait_dscnt 0x0
	v_fmac_f32_e32 v22, v25, v82
.LBB12_538:                             ;   in Loop: Header=BB12_3 Depth=1
	s_or_b32 exec_lo, exec_lo, s1
	s_delay_alu instid0(SALU_CYCLE_1) | instskip(SKIP_2) | instid1(SALU_CYCLE_1)
	s_mov_b32 s1, exec_lo
	v_readlane_b32 s50, v89, 27
	s_and_b32 s50, s1, s50
	s_mov_b32 exec_lo, s50
	s_cbranch_execz .LBB12_540
; %bb.539:                              ;   in Loop: Header=BB12_3 Depth=1
	ds_load_b32 v25, v63 offset:6528
	ds_load_b32 v82, v23 offset:100
	s_wait_dscnt 0x0
	v_fmac_f32_e32 v22, v25, v82
.LBB12_540:                             ;   in Loop: Header=BB12_3 Depth=1
	s_or_b32 exec_lo, exec_lo, s1
	s_delay_alu instid0(SALU_CYCLE_1) | instskip(SKIP_2) | instid1(SALU_CYCLE_1)
	s_mov_b32 s1, exec_lo
	v_readlane_b32 s50, v89, 29
	s_and_b32 s50, s1, s50
	s_mov_b32 exec_lo, s50
	;; [unrolled: 13-line block ×5, first 2 shown]
	s_cbranch_execnz .LBB12_1231
; %bb.547:                              ;   in Loop: Header=BB12_3 Depth=1
	s_or_b32 exec_lo, exec_lo, s1
	s_and_saveexec_b32 s1, s5
	s_cbranch_execnz .LBB12_1232
.LBB12_548:                             ;   in Loop: Header=BB12_3 Depth=1
	s_or_b32 exec_lo, exec_lo, s1
	s_and_saveexec_b32 s1, s24
	s_cbranch_execz .LBB12_550
.LBB12_549:                             ;   in Loop: Header=BB12_3 Depth=1
	ds_load_b32 v23, v29 offset:8064
	ds_load_b32 v25, v5 offset:124
	s_wait_dscnt 0x0
	v_fmac_f32_e32 v22, v23, v25
.LBB12_550:                             ;   in Loop: Header=BB12_3 Depth=1
	s_or_b32 exec_lo, exec_lo, s1
	s_delay_alu instid0(VALU_DEP_1)
	v_xor_b32_e32 v22, 0x80000000, v22
.LBB12_551:                             ;   in Loop: Header=BB12_3 Depth=1
	s_or_b32 exec_lo, exec_lo, s0
	s_delay_alu instid0(SALU_CYCLE_1) | instskip(SKIP_2) | instid1(SALU_CYCLE_1)
	s_mov_b32 s0, exec_lo
	v_readlane_b32 s1, v91, 10
	s_and_b32 s1, s0, s1
	s_mov_b32 exec_lo, s1
	s_cbranch_execz .LBB12_553
; %bb.552:                              ;   in Loop: Header=BB12_3 Depth=1
	ds_load_b32 v23, v5 offset:8320
	s_wait_dscnt 0x0
	v_mul_f32_e32 v22, v22, v23
	ds_store_b32 v62, v22
.LBB12_553:                             ;   in Loop: Header=BB12_3 Depth=1
	s_or_b32 exec_lo, exec_lo, s0
	s_wait_dscnt 0x0
	s_barrier_signal -1
	s_barrier_wait -1
	s_mov_b32 s0, exec_lo
	v_readlane_b32 s1, v91, 11
	s_and_b32 s1, s0, s1
	s_delay_alu instid0(SALU_CYCLE_1)
	s_mov_b32 exec_lo, s1
	s_cbranch_execz .LBB12_555
; %bb.554:                              ;   in Loop: Header=BB12_3 Depth=1
	ds_load_b32 v23, v61 offset:8320
	ds_load_b32 v25, v62
	s_wait_dscnt 0x0
	v_fmac_f32_e32 v22, v23, v25
.LBB12_555:                             ;   in Loop: Header=BB12_3 Depth=1
	s_or_b32 exec_lo, exec_lo, s0
	s_barrier_signal -1
	s_barrier_wait -1
	s_mov_b32 s0, exec_lo
	v_readlane_b32 s1, v91, 12
	s_and_b32 s1, s0, s1
	s_delay_alu instid0(SALU_CYCLE_1)
	s_mov_b32 exec_lo, s1
	s_cbranch_execz .LBB12_557
; %bb.556:                              ;   in Loop: Header=BB12_3 Depth=1
	ds_load_b32 v23, v5 offset:8580
	s_wait_dscnt 0x0
	v_mul_f32_e32 v22, v22, v23
	ds_store_b32 v62, v22
.LBB12_557:                             ;   in Loop: Header=BB12_3 Depth=1
	s_or_b32 exec_lo, exec_lo, s0
	s_wait_dscnt 0x0
	s_barrier_signal -1
	s_barrier_wait -1
	s_mov_b32 s0, exec_lo
	v_readlane_b32 s1, v91, 13
	s_and_b32 s1, s0, s1
	s_delay_alu instid0(SALU_CYCLE_1)
	s_mov_b32 exec_lo, s1
	s_cbranch_execz .LBB12_559
; %bb.558:                              ;   in Loop: Header=BB12_3 Depth=1
	ds_load_b32 v23, v61 offset:8576
	ds_load_b32 v25, v62
	s_wait_dscnt 0x0
	v_fmac_f32_e32 v22, v23, v25
.LBB12_559:                             ;   in Loop: Header=BB12_3 Depth=1
	s_or_b32 exec_lo, exec_lo, s0
	s_barrier_signal -1
	s_barrier_wait -1
	s_mov_b32 s0, exec_lo
	v_readlane_b32 s1, v91, 14
	s_and_b32 s1, s0, s1
	s_delay_alu instid0(SALU_CYCLE_1)
	;; [unrolled: 31-line block ×30, first 2 shown]
	s_mov_b32 exec_lo, s1
	s_cbranch_execz .LBB12_673
; %bb.672:                              ;   in Loop: Header=BB12_3 Depth=1
	ds_load_b32 v23, v5 offset:16120
	s_wait_dscnt 0x0
	v_mul_f32_e32 v22, v22, v23
	ds_store_b32 v62, v22
.LBB12_673:                             ;   in Loop: Header=BB12_3 Depth=1
	s_or_b32 exec_lo, exec_lo, s0
	s_wait_dscnt 0x0
	s_barrier_signal -1
	s_barrier_wait -1
	s_and_saveexec_b32 s0, s13
	s_cbranch_execz .LBB12_675
; %bb.674:                              ;   in Loop: Header=BB12_3 Depth=1
	ds_load_b32 v23, v5 offset:16124
	ds_load_b32 v25, v62
	s_wait_dscnt 0x0
	v_fmac_f32_e32 v22, v23, v25
.LBB12_675:                             ;   in Loop: Header=BB12_3 Depth=1
	s_or_b32 exec_lo, exec_lo, s0
	s_barrier_signal -1
	s_barrier_wait -1
	s_and_saveexec_b32 s0, s13
	s_cbranch_execz .LBB12_677
; %bb.676:                              ;   in Loop: Header=BB12_3 Depth=1
	ds_load_b32 v23, v5 offset:16380
	s_wait_dscnt 0x0
	v_mul_f32_e32 v22, v22, v23
	ds_store_b32 v62, v22
.LBB12_677:                             ;   in Loop: Header=BB12_3 Depth=1
	s_or_b32 exec_lo, exec_lo, s0
	s_wait_dscnt 0x0
	s_barrier_signal -1
	s_barrier_wait -1
	s_barrier_signal -1
	s_barrier_wait -1
	s_and_saveexec_b32 s0, s7
; %bb.678:                              ;   in Loop: Header=BB12_3 Depth=1
	v_xor_b32_e32 v22, 0x80000000, v22
	ds_store_b32 v63, v22 offset:128
; %bb.679:                              ;   in Loop: Header=BB12_3 Depth=1
	s_or_b32 exec_lo, exec_lo, s0
	s_wait_dscnt 0x0
	s_barrier_signal -1
	s_barrier_wait -1
	s_barrier_signal -1
	s_barrier_wait -1
	s_mov_b32 s0, exec_lo
	v_readlane_b32 s1, v89, 7
	s_and_b32 s1, s0, s1
	s_delay_alu instid0(SALU_CYCLE_1)
	s_mov_b32 exec_lo, s1
	s_cbranch_execz .LBB12_681
; %bb.680:                              ;   in Loop: Header=BB12_3 Depth=1
	ds_load_b32 v22, v31 offset:128
	s_wait_dscnt 0x0
	ds_store_b32 v64, v22 offset:8192
	ds_load_b32 v22, v31 offset:132
	s_wait_dscnt 0x0
	ds_store_b32 v64, v22 offset:8448
	ds_load_b32 v22, v31 offset:136
	s_wait_dscnt 0x0
	ds_store_b32 v64, v22 offset:8704
	ds_load_b32 v22, v31 offset:140
	s_wait_dscnt 0x0
	ds_store_b32 v64, v22 offset:8960
	ds_load_b32 v22, v31 offset:144
	s_wait_dscnt 0x0
	ds_store_b32 v64, v22 offset:9216
	ds_load_b32 v22, v31 offset:148
	s_wait_dscnt 0x0
	ds_store_b32 v64, v22 offset:9472
	ds_load_b32 v22, v31 offset:152
	s_wait_dscnt 0x0
	ds_store_b32 v64, v22 offset:9728
	ds_load_b32 v22, v31 offset:156
	s_wait_dscnt 0x0
	ds_store_b32 v64, v22 offset:9984
	ds_load_b32 v22, v31 offset:160
	s_wait_dscnt 0x0
	ds_store_b32 v64, v22 offset:10240
	ds_load_b32 v22, v31 offset:164
	s_wait_dscnt 0x0
	ds_store_b32 v64, v22 offset:10496
	ds_load_b32 v22, v31 offset:168
	s_wait_dscnt 0x0
	ds_store_b32 v64, v22 offset:10752
	ds_load_b32 v22, v31 offset:172
	s_wait_dscnt 0x0
	ds_store_b32 v64, v22 offset:11008
	ds_load_b32 v22, v31 offset:176
	s_wait_dscnt 0x0
	ds_store_b32 v64, v22 offset:11264
	ds_load_b32 v22, v31 offset:180
	s_wait_dscnt 0x0
	ds_store_b32 v64, v22 offset:11520
	ds_load_b32 v22, v31 offset:184
	s_wait_dscnt 0x0
	ds_store_b32 v64, v22 offset:11776
	ds_load_b32 v22, v31 offset:188
	s_wait_dscnt 0x0
	ds_store_b32 v64, v22 offset:12032
	ds_load_b32 v22, v31 offset:192
	s_wait_dscnt 0x0
	ds_store_b32 v64, v22 offset:12288
	ds_load_b32 v22, v31 offset:196
	s_wait_dscnt 0x0
	ds_store_b32 v64, v22 offset:12544
	ds_load_b32 v22, v31 offset:200
	s_wait_dscnt 0x0
	ds_store_b32 v64, v22 offset:12800
	ds_load_b32 v22, v31 offset:204
	s_wait_dscnt 0x0
	ds_store_b32 v64, v22 offset:13056
	ds_load_b32 v22, v31 offset:208
	s_wait_dscnt 0x0
	ds_store_b32 v64, v22 offset:13312
	ds_load_b32 v22, v31 offset:212
	s_wait_dscnt 0x0
	ds_store_b32 v64, v22 offset:13568
	ds_load_b32 v22, v31 offset:216
	s_wait_dscnt 0x0
	ds_store_b32 v64, v22 offset:13824
	ds_load_b32 v22, v31 offset:220
	s_wait_dscnt 0x0
	ds_store_b32 v64, v22 offset:14080
	ds_load_b32 v22, v31 offset:224
	s_wait_dscnt 0x0
	ds_store_b32 v64, v22 offset:14336
	ds_load_b32 v22, v31 offset:228
	s_wait_dscnt 0x0
	ds_store_b32 v64, v22 offset:14592
	ds_load_b32 v22, v31 offset:232
	s_wait_dscnt 0x0
	ds_store_b32 v64, v22 offset:14848
	ds_load_b32 v22, v31 offset:236
	s_wait_dscnt 0x0
	ds_store_b32 v64, v22 offset:15104
	ds_load_b32 v22, v31 offset:240
	s_wait_dscnt 0x0
	ds_store_b32 v64, v22 offset:15360
	ds_load_b32 v22, v31 offset:244
	s_wait_dscnt 0x0
	ds_store_b32 v64, v22 offset:15616
	ds_load_b32 v22, v31 offset:248
	s_wait_dscnt 0x0
	ds_store_b32 v64, v22 offset:15872
	ds_load_b32 v22, v31 offset:252
	s_wait_dscnt 0x0
	ds_store_b32 v64, v22 offset:16128
.LBB12_681:                             ;   in Loop: Header=BB12_3 Depth=1
	s_or_b32 exec_lo, exec_lo, s0
	s_wait_dscnt 0x0
	s_barrier_signal -1
	s_barrier_wait -1
	s_and_saveexec_b32 s0, s17
	s_cbranch_execz .LBB12_683
; %bb.682:                              ;   in Loop: Header=BB12_3 Depth=1
	ds_load_b64 v[22:23], v5 offset:8320
	ds_load_b32 v25, v5 offset:8580
	s_wait_dscnt 0x0
	v_mul_f32_e32 v22, v22, v25
	s_delay_alu instid0(VALU_DEP_1)
	v_mul_f32_e32 v22, v23, v22
	v_add_nc_u32_e64 v23, 0x2000, 0
	ds_store_2addr_b32 v23, v22, v22 offset0:33 offset1:96
.LBB12_683:                             ;   in Loop: Header=BB12_3 Depth=1
	s_or_b32 exec_lo, exec_lo, s0
	v_mov_b32_e32 v22, 0
	s_wait_dscnt 0x0
	s_barrier_signal -1
	s_barrier_wait -1
	s_and_saveexec_b32 s0, s2
	s_cbranch_execz .LBB12_687
; %bb.684:                              ;   in Loop: Header=BB12_3 Depth=1
	ds_load_b32 v22, v27 offset:8328
	ds_load_b32 v23, v28 offset:8320
	s_wait_dscnt 0x0
	v_fma_f32 v22, v22, v23, 0
	s_and_saveexec_b32 s1, s18
	s_cbranch_execz .LBB12_686
; %bb.685:                              ;   in Loop: Header=BB12_3 Depth=1
	ds_load_b32 v23, v29 offset:8584
	ds_load_b32 v25, v5 offset:8324
	s_wait_dscnt 0x0
	v_fmac_f32_e32 v22, v23, v25
.LBB12_686:                             ;   in Loop: Header=BB12_3 Depth=1
	s_or_b32 exec_lo, exec_lo, s1
	s_delay_alu instid0(VALU_DEP_1)
	v_xor_b32_e32 v22, 0x80000000, v22
.LBB12_687:                             ;   in Loop: Header=BB12_3 Depth=1
	s_or_b32 exec_lo, exec_lo, s0
	s_and_saveexec_b32 s0, s93
	s_cbranch_execz .LBB12_689
; %bb.688:                              ;   in Loop: Header=BB12_3 Depth=1
	ds_load_b32 v23, v5 offset:8840
	s_wait_dscnt 0x0
	v_mul_f32_e32 v22, v22, v23
	ds_store_b32 v3, v22
.LBB12_689:                             ;   in Loop: Header=BB12_3 Depth=1
	s_or_b32 exec_lo, exec_lo, s0
	s_wait_dscnt 0x0
	s_barrier_signal -1
	s_barrier_wait -1
	s_and_saveexec_b32 s0, s94
	s_cbranch_execz .LBB12_691
; %bb.690:                              ;   in Loop: Header=BB12_3 Depth=1
	ds_load_b32 v23, v5 offset:8844
	ds_load_b32 v25, v3
	s_wait_dscnt 0x0
	v_fmac_f32_e32 v22, v23, v25
.LBB12_691:                             ;   in Loop: Header=BB12_3 Depth=1
	s_or_b32 exec_lo, exec_lo, s0
	s_barrier_signal -1
	s_barrier_wait -1
	s_and_saveexec_b32 s0, s94
	s_cbranch_execz .LBB12_693
; %bb.692:                              ;   in Loop: Header=BB12_3 Depth=1
	ds_load_b32 v23, v5 offset:9100
	s_wait_dscnt 0x0
	v_mul_f32_e32 v22, v22, v23
	ds_store_b32 v3, v22
.LBB12_693:                             ;   in Loop: Header=BB12_3 Depth=1
	s_or_b32 exec_lo, exec_lo, s0
	s_wait_dscnt 0x0
	s_barrier_signal -1
	s_barrier_wait -1
	s_barrier_signal -1
	s_barrier_wait -1
	s_and_saveexec_b32 s0, s2
; %bb.694:                              ;   in Loop: Header=BB12_3 Depth=1
	v_xor_b32_e32 v22, 0x80000000, v22
	ds_store_b32 v27, v22 offset:8328
; %bb.695:                              ;   in Loop: Header=BB12_3 Depth=1
	s_or_b32 exec_lo, exec_lo, s0
	s_wait_dscnt 0x0
	s_barrier_signal -1
	s_barrier_wait -1
	s_barrier_signal -1
	s_barrier_wait -1
	s_and_saveexec_b32 s0, s95
	s_cbranch_execz .LBB12_697
; %bb.696:                              ;   in Loop: Header=BB12_3 Depth=1
	ds_load_b32 v22, v33 offset:8328
	s_wait_dscnt 0x0
	ds_store_b32 v29, v22 offset:8832
	ds_load_b32 v22, v33 offset:8332
	s_wait_dscnt 0x0
	ds_store_b32 v29, v22 offset:9088
.LBB12_697:                             ;   in Loop: Header=BB12_3 Depth=1
	s_or_b32 exec_lo, exec_lo, s0
	s_wait_dscnt 0x0
	s_barrier_signal -1
	s_barrier_wait -1
	s_and_saveexec_b32 s0, s17
	s_cbranch_execz .LBB12_699
; %bb.698:                              ;   in Loop: Header=BB12_3 Depth=1
	ds_load_b64 v[22:23], v5 offset:8840
	ds_load_b32 v25, v5 offset:9100
	s_wait_dscnt 0x0
	v_mul_f32_e32 v22, v22, v25
	s_delay_alu instid0(VALU_DEP_1)
	v_mul_f32_e32 v22, v23, v22
	v_add_nc_u32_e64 v23, 0x2000, 0
	ds_store_2addr_b32 v23, v22, v22 offset0:163 offset1:226
.LBB12_699:                             ;   in Loop: Header=BB12_3 Depth=1
	s_or_b32 exec_lo, exec_lo, s0
	v_mov_b32_e32 v22, 0
	s_wait_dscnt 0x0
	s_barrier_signal -1
	s_barrier_wait -1
	s_and_saveexec_b32 s0, s4
	s_cbranch_execz .LBB12_705
; %bb.700:                              ;   in Loop: Header=BB12_3 Depth=1
	ds_load_b32 v22, v35 offset:8336
	ds_load_b32 v23, v30 offset:8320
	s_wait_dscnt 0x0
	v_fma_f32 v22, v22, v23, 0
	s_and_saveexec_b32 s1, s19
	s_cbranch_execnz .LBB12_1233
; %bb.701:                              ;   in Loop: Header=BB12_3 Depth=1
	s_or_b32 exec_lo, exec_lo, s1
	s_and_saveexec_b32 s1, s20
	s_cbranch_execnz .LBB12_1234
.LBB12_702:                             ;   in Loop: Header=BB12_3 Depth=1
	s_or_b32 exec_lo, exec_lo, s1
	s_and_saveexec_b32 s1, s2
	s_cbranch_execz .LBB12_704
.LBB12_703:                             ;   in Loop: Header=BB12_3 Depth=1
	ds_load_b32 v23, v37 offset:9104
	ds_load_b32 v25, v5 offset:8332
	s_wait_dscnt 0x0
	v_fmac_f32_e32 v22, v23, v25
.LBB12_704:                             ;   in Loop: Header=BB12_3 Depth=1
	s_or_b32 exec_lo, exec_lo, s1
	s_delay_alu instid0(VALU_DEP_1)
	v_xor_b32_e32 v22, 0x80000000, v22
.LBB12_705:                             ;   in Loop: Header=BB12_3 Depth=1
	s_or_b32 exec_lo, exec_lo, s0
	s_and_saveexec_b32 s0, s96
	s_cbranch_execz .LBB12_707
; %bb.706:                              ;   in Loop: Header=BB12_3 Depth=1
	ds_load_b32 v23, v5 offset:9360
	s_wait_dscnt 0x0
	v_mul_f32_e32 v22, v22, v23
	ds_store_b32 v34, v22
.LBB12_707:                             ;   in Loop: Header=BB12_3 Depth=1
	s_or_b32 exec_lo, exec_lo, s0
	s_wait_dscnt 0x0
	s_barrier_signal -1
	s_barrier_wait -1
	s_and_saveexec_b32 s0, s97
	s_cbranch_execz .LBB12_709
; %bb.708:                              ;   in Loop: Header=BB12_3 Depth=1
	ds_load_b32 v23, v32 offset:9360
	ds_load_b32 v25, v34
	s_wait_dscnt 0x0
	v_fmac_f32_e32 v22, v23, v25
.LBB12_709:                             ;   in Loop: Header=BB12_3 Depth=1
	s_or_b32 exec_lo, exec_lo, s0
	s_barrier_signal -1
	s_barrier_wait -1
	s_and_saveexec_b32 s0, s98
	s_cbranch_execz .LBB12_711
; %bb.710:                              ;   in Loop: Header=BB12_3 Depth=1
	ds_load_b32 v23, v5 offset:9620
	s_wait_dscnt 0x0
	v_mul_f32_e32 v22, v22, v23
	ds_store_b32 v34, v22
.LBB12_711:                             ;   in Loop: Header=BB12_3 Depth=1
	s_or_b32 exec_lo, exec_lo, s0
	s_wait_dscnt 0x0
	s_barrier_signal -1
	s_barrier_wait -1
	s_and_saveexec_b32 s0, s99
	s_cbranch_execz .LBB12_713
; %bb.712:                              ;   in Loop: Header=BB12_3 Depth=1
	ds_load_b32 v23, v32 offset:9616
	ds_load_b32 v25, v34
	s_wait_dscnt 0x0
	v_fmac_f32_e32 v22, v23, v25
.LBB12_713:                             ;   in Loop: Header=BB12_3 Depth=1
	s_or_b32 exec_lo, exec_lo, s0
	s_barrier_signal -1
	s_barrier_wait -1
	;; [unrolled: 23-line block ×3, first 2 shown]
	s_and_saveexec_b32 s0, s101
	s_cbranch_execz .LBB12_719
; %bb.718:                              ;   in Loop: Header=BB12_3 Depth=1
	ds_load_b32 v23, v5 offset:10140
	s_wait_dscnt 0x0
	v_mul_f32_e32 v22, v22, v23
	ds_store_b32 v34, v22
.LBB12_719:                             ;   in Loop: Header=BB12_3 Depth=1
	s_or_b32 exec_lo, exec_lo, s0
	s_wait_dscnt 0x0
	s_barrier_signal -1
	s_barrier_wait -1
	s_barrier_signal -1
	s_barrier_wait -1
	s_and_saveexec_b32 s0, s4
; %bb.720:                              ;   in Loop: Header=BB12_3 Depth=1
	v_xor_b32_e32 v22, 0x80000000, v22
	ds_store_b32 v35, v22 offset:8336
; %bb.721:                              ;   in Loop: Header=BB12_3 Depth=1
	s_or_b32 exec_lo, exec_lo, s0
	s_wait_dscnt 0x0
	s_barrier_signal -1
	s_barrier_wait -1
	s_barrier_signal -1
	s_barrier_wait -1
	s_and_saveexec_b32 s0, s102
	s_cbranch_execz .LBB12_723
; %bb.722:                              ;   in Loop: Header=BB12_3 Depth=1
	ds_load_b32 v22, v38 offset:8336
	s_wait_dscnt 0x0
	ds_store_b32 v40, v22 offset:9344
	ds_load_b32 v22, v38 offset:8340
	s_wait_dscnt 0x0
	ds_store_b32 v40, v22 offset:9600
	;; [unrolled: 3-line block ×4, first 2 shown]
.LBB12_723:                             ;   in Loop: Header=BB12_3 Depth=1
	s_or_b32 exec_lo, exec_lo, s0
	s_wait_dscnt 0x0
	s_barrier_signal -1
	s_barrier_wait -1
	s_and_saveexec_b32 s0, s17
	s_cbranch_execz .LBB12_725
; %bb.724:                              ;   in Loop: Header=BB12_3 Depth=1
	ds_load_b64 v[22:23], v5 offset:9360
	ds_load_b32 v25, v5 offset:9620
	s_wait_dscnt 0x0
	v_mul_f32_e32 v22, v22, v25
	s_delay_alu instid0(VALU_DEP_1)
	v_mul_f32_e32 v22, v23, v22
	v_add_nc_u32_e64 v23, 0x2400, 0
	ds_store_2addr_b32 v23, v22, v22 offset0:37 offset1:100
.LBB12_725:                             ;   in Loop: Header=BB12_3 Depth=1
	s_or_b32 exec_lo, exec_lo, s0
	v_mov_b32_e32 v22, 0
	s_wait_dscnt 0x0
	s_barrier_signal -1
	s_barrier_wait -1
	s_and_saveexec_b32 s0, s2
	s_cbranch_execz .LBB12_729
; %bb.726:                              ;   in Loop: Header=BB12_3 Depth=1
	ds_load_b32 v22, v27 offset:9368
	ds_load_b32 v23, v28 offset:9360
	s_wait_dscnt 0x0
	v_fma_f32 v22, v22, v23, 0
	s_and_saveexec_b32 s1, s18
	s_cbranch_execz .LBB12_728
; %bb.727:                              ;   in Loop: Header=BB12_3 Depth=1
	ds_load_b32 v23, v40 offset:9624
	ds_load_b32 v25, v5 offset:9364
	s_wait_dscnt 0x0
	v_fmac_f32_e32 v22, v23, v25
.LBB12_728:                             ;   in Loop: Header=BB12_3 Depth=1
	s_or_b32 exec_lo, exec_lo, s1
	s_delay_alu instid0(VALU_DEP_1)
	v_xor_b32_e32 v22, 0x80000000, v22
.LBB12_729:                             ;   in Loop: Header=BB12_3 Depth=1
	s_or_b32 exec_lo, exec_lo, s0
	s_and_saveexec_b32 s0, s93
	s_cbranch_execz .LBB12_731
; %bb.730:                              ;   in Loop: Header=BB12_3 Depth=1
	ds_load_b32 v23, v5 offset:9880
	s_wait_dscnt 0x0
	v_mul_f32_e32 v22, v22, v23
	ds_store_b32 v3, v22
.LBB12_731:                             ;   in Loop: Header=BB12_3 Depth=1
	s_or_b32 exec_lo, exec_lo, s0
	s_wait_dscnt 0x0
	s_barrier_signal -1
	s_barrier_wait -1
	s_and_saveexec_b32 s0, s94
	s_cbranch_execz .LBB12_733
; %bb.732:                              ;   in Loop: Header=BB12_3 Depth=1
	ds_load_b32 v23, v5 offset:9884
	ds_load_b32 v25, v3
	s_wait_dscnt 0x0
	v_fmac_f32_e32 v22, v23, v25
.LBB12_733:                             ;   in Loop: Header=BB12_3 Depth=1
	s_or_b32 exec_lo, exec_lo, s0
	s_barrier_signal -1
	s_barrier_wait -1
	s_and_saveexec_b32 s0, s94
	s_cbranch_execz .LBB12_735
; %bb.734:                              ;   in Loop: Header=BB12_3 Depth=1
	ds_load_b32 v23, v5 offset:10140
	s_wait_dscnt 0x0
	v_mul_f32_e32 v22, v22, v23
	ds_store_b32 v3, v22
.LBB12_735:                             ;   in Loop: Header=BB12_3 Depth=1
	s_or_b32 exec_lo, exec_lo, s0
	s_wait_dscnt 0x0
	s_barrier_signal -1
	s_barrier_wait -1
	s_barrier_signal -1
	s_barrier_wait -1
	s_and_saveexec_b32 s0, s2
; %bb.736:                              ;   in Loop: Header=BB12_3 Depth=1
	v_xor_b32_e32 v22, 0x80000000, v22
	ds_store_b32 v27, v22 offset:9368
; %bb.737:                              ;   in Loop: Header=BB12_3 Depth=1
	s_or_b32 exec_lo, exec_lo, s0
	s_wait_dscnt 0x0
	s_barrier_signal -1
	s_barrier_wait -1
	s_barrier_signal -1
	s_barrier_wait -1
	s_and_saveexec_b32 s0, s95
	s_cbranch_execz .LBB12_739
; %bb.738:                              ;   in Loop: Header=BB12_3 Depth=1
	ds_load_b32 v22, v42 offset:9368
	s_wait_dscnt 0x0
	ds_store_b32 v40, v22 offset:9872
	ds_load_b32 v22, v42 offset:9372
	s_wait_dscnt 0x0
	ds_store_b32 v40, v22 offset:10128
.LBB12_739:                             ;   in Loop: Header=BB12_3 Depth=1
	s_or_b32 exec_lo, exec_lo, s0
	s_wait_dscnt 0x0
	s_barrier_signal -1
	s_barrier_wait -1
	s_and_saveexec_b32 s0, s17
	s_cbranch_execz .LBB12_741
; %bb.740:                              ;   in Loop: Header=BB12_3 Depth=1
	ds_load_b64 v[22:23], v5 offset:9880
	ds_load_b32 v25, v5 offset:10140
	s_wait_dscnt 0x0
	v_mul_f32_e32 v22, v22, v25
	s_delay_alu instid0(VALU_DEP_1)
	v_mul_f32_e32 v22, v23, v22
	v_add_nc_u32_e64 v23, 0x2400, 0
	ds_store_2addr_b32 v23, v22, v22 offset0:167 offset1:230
.LBB12_741:                             ;   in Loop: Header=BB12_3 Depth=1
	s_or_b32 exec_lo, exec_lo, s0
	v_mov_b32_e32 v22, 0
	s_wait_dscnt 0x0
	s_barrier_signal -1
	s_barrier_wait -1
	s_and_saveexec_b32 s0, s5
	s_cbranch_execz .LBB12_751
; %bb.742:                              ;   in Loop: Header=BB12_3 Depth=1
	ds_load_b32 v22, v44 offset:8352
	ds_load_b32 v23, v39 offset:8320
	s_wait_dscnt 0x0
	v_fma_f32 v22, v22, v23, 0
	s_and_saveexec_b32 s1, s21
	s_cbranch_execnz .LBB12_1235
; %bb.743:                              ;   in Loop: Header=BB12_3 Depth=1
	s_or_b32 exec_lo, exec_lo, s1
	s_and_saveexec_b32 s1, s22
	s_cbranch_execnz .LBB12_1236
.LBB12_744:                             ;   in Loop: Header=BB12_3 Depth=1
	s_or_b32 exec_lo, exec_lo, s1
	s_and_saveexec_b32 s1, s23
	s_cbranch_execnz .LBB12_1237
.LBB12_745:                             ;   in Loop: Header=BB12_3 Depth=1
	s_or_b32 exec_lo, exec_lo, s1
	s_and_saveexec_b32 s1, s24
	s_cbranch_execnz .LBB12_1238
.LBB12_746:                             ;   in Loop: Header=BB12_3 Depth=1
	s_or_b32 exec_lo, exec_lo, s1
	s_and_saveexec_b32 s1, s25
	s_cbranch_execnz .LBB12_1239
.LBB12_747:                             ;   in Loop: Header=BB12_3 Depth=1
	s_or_b32 exec_lo, exec_lo, s1
	s_and_saveexec_b32 s1, s4
	s_cbranch_execnz .LBB12_1240
.LBB12_748:                             ;   in Loop: Header=BB12_3 Depth=1
	s_or_b32 exec_lo, exec_lo, s1
	s_and_saveexec_b32 s1, s20
	s_cbranch_execz .LBB12_750
.LBB12_749:                             ;   in Loop: Header=BB12_3 Depth=1
	ds_load_b32 v23, v46 offset:10144
	ds_load_b32 v25, v5 offset:8348
	s_wait_dscnt 0x0
	v_fmac_f32_e32 v22, v23, v25
.LBB12_750:                             ;   in Loop: Header=BB12_3 Depth=1
	s_or_b32 exec_lo, exec_lo, s1
	s_delay_alu instid0(VALU_DEP_1)
	v_xor_b32_e32 v22, 0x80000000, v22
.LBB12_751:                             ;   in Loop: Header=BB12_3 Depth=1
	s_or_b32 exec_lo, exec_lo, s0
	s_and_saveexec_b32 s0, s103
	s_cbranch_execz .LBB12_753
; %bb.752:                              ;   in Loop: Header=BB12_3 Depth=1
	ds_load_b32 v23, v5 offset:10400
	s_wait_dscnt 0x0
	v_mul_f32_e32 v22, v22, v23
	ds_store_b32 v43, v22
.LBB12_753:                             ;   in Loop: Header=BB12_3 Depth=1
	s_or_b32 exec_lo, exec_lo, s0
	s_wait_dscnt 0x0
	s_barrier_signal -1
	s_barrier_wait -1
	s_and_saveexec_b32 s0, s104
	s_cbranch_execz .LBB12_755
; %bb.754:                              ;   in Loop: Header=BB12_3 Depth=1
	ds_load_b32 v23, v41 offset:10400
	ds_load_b32 v25, v43
	s_wait_dscnt 0x0
	v_fmac_f32_e32 v22, v23, v25
.LBB12_755:                             ;   in Loop: Header=BB12_3 Depth=1
	s_or_b32 exec_lo, exec_lo, s0
	s_barrier_signal -1
	s_barrier_wait -1
	s_and_saveexec_b32 s0, vcc_hi
	s_cbranch_execz .LBB12_757
; %bb.756:                              ;   in Loop: Header=BB12_3 Depth=1
	ds_load_b32 v23, v5 offset:10660
	s_wait_dscnt 0x0
	v_mul_f32_e32 v22, v22, v23
	ds_store_b32 v43, v22
.LBB12_757:                             ;   in Loop: Header=BB12_3 Depth=1
	s_or_b32 exec_lo, exec_lo, s0
	s_wait_dscnt 0x0
	s_barrier_signal -1
	s_barrier_wait -1
	s_and_saveexec_b32 s0, s38
	s_cbranch_execz .LBB12_759
; %bb.758:                              ;   in Loop: Header=BB12_3 Depth=1
	ds_load_b32 v23, v41 offset:10656
	ds_load_b32 v25, v43
	s_wait_dscnt 0x0
	v_fmac_f32_e32 v22, v23, v25
.LBB12_759:                             ;   in Loop: Header=BB12_3 Depth=1
	s_or_b32 exec_lo, exec_lo, s0
	s_barrier_signal -1
	s_barrier_wait -1
	s_and_saveexec_b32 s0, s39
	s_cbranch_execz .LBB12_761
; %bb.760:                              ;   in Loop: Header=BB12_3 Depth=1
	ds_load_b32 v23, v5 offset:10920
	s_wait_dscnt 0x0
	v_mul_f32_e32 v22, v22, v23
	ds_store_b32 v43, v22
.LBB12_761:                             ;   in Loop: Header=BB12_3 Depth=1
	s_or_b32 exec_lo, exec_lo, s0
	s_wait_dscnt 0x0
	s_barrier_signal -1
	s_barrier_wait -1
	s_and_saveexec_b32 s0, s40
	s_cbranch_execz .LBB12_763
; %bb.762:                              ;   in Loop: Header=BB12_3 Depth=1
	ds_load_b32 v23, v41 offset:10912
	ds_load_b32 v25, v43
	s_wait_dscnt 0x0
	v_fmac_f32_e32 v22, v23, v25
.LBB12_763:                             ;   in Loop: Header=BB12_3 Depth=1
	s_or_b32 exec_lo, exec_lo, s0
	s_barrier_signal -1
	s_barrier_wait -1
	s_and_saveexec_b32 s0, s41
	s_cbranch_execz .LBB12_765
; %bb.764:                              ;   in Loop: Header=BB12_3 Depth=1
	ds_load_b32 v23, v5 offset:11180
	s_wait_dscnt 0x0
	v_mul_f32_e32 v22, v22, v23
	ds_store_b32 v43, v22
.LBB12_765:                             ;   in Loop: Header=BB12_3 Depth=1
	s_or_b32 exec_lo, exec_lo, s0
	s_wait_dscnt 0x0
	s_barrier_signal -1
	s_barrier_wait -1
	s_and_saveexec_b32 s0, s42
	s_cbranch_execz .LBB12_767
; %bb.766:                              ;   in Loop: Header=BB12_3 Depth=1
	ds_load_b32 v23, v41 offset:11168
	ds_load_b32 v25, v43
	s_wait_dscnt 0x0
	v_fmac_f32_e32 v22, v23, v25
.LBB12_767:                             ;   in Loop: Header=BB12_3 Depth=1
	s_or_b32 exec_lo, exec_lo, s0
	s_barrier_signal -1
	s_barrier_wait -1
	s_and_saveexec_b32 s0, s43
	s_cbranch_execz .LBB12_769
; %bb.768:                              ;   in Loop: Header=BB12_3 Depth=1
	ds_load_b32 v23, v5 offset:11440
	s_wait_dscnt 0x0
	v_mul_f32_e32 v22, v22, v23
	ds_store_b32 v43, v22
.LBB12_769:                             ;   in Loop: Header=BB12_3 Depth=1
	s_or_b32 exec_lo, exec_lo, s0
	s_wait_dscnt 0x0
	s_barrier_signal -1
	s_barrier_wait -1
	s_and_saveexec_b32 s0, s44
	s_cbranch_execz .LBB12_771
; %bb.770:                              ;   in Loop: Header=BB12_3 Depth=1
	ds_load_b32 v23, v41 offset:11424
	ds_load_b32 v25, v43
	s_wait_dscnt 0x0
	v_fmac_f32_e32 v22, v23, v25
.LBB12_771:                             ;   in Loop: Header=BB12_3 Depth=1
	s_or_b32 exec_lo, exec_lo, s0
	s_barrier_signal -1
	s_barrier_wait -1
	s_and_saveexec_b32 s0, s45
	s_cbranch_execz .LBB12_773
; %bb.772:                              ;   in Loop: Header=BB12_3 Depth=1
	ds_load_b32 v23, v5 offset:11700
	s_wait_dscnt 0x0
	v_mul_f32_e32 v22, v22, v23
	ds_store_b32 v43, v22
.LBB12_773:                             ;   in Loop: Header=BB12_3 Depth=1
	s_or_b32 exec_lo, exec_lo, s0
	s_wait_dscnt 0x0
	s_barrier_signal -1
	s_barrier_wait -1
	s_and_saveexec_b32 s0, s46
	s_cbranch_execz .LBB12_775
; %bb.774:                              ;   in Loop: Header=BB12_3 Depth=1
	ds_load_b32 v23, v41 offset:11680
	ds_load_b32 v25, v43
	s_wait_dscnt 0x0
	v_fmac_f32_e32 v22, v23, v25
.LBB12_775:                             ;   in Loop: Header=BB12_3 Depth=1
	s_or_b32 exec_lo, exec_lo, s0
	s_barrier_signal -1
	s_barrier_wait -1
	s_and_saveexec_b32 s0, s47
	s_cbranch_execz .LBB12_777
; %bb.776:                              ;   in Loop: Header=BB12_3 Depth=1
	ds_load_b32 v23, v5 offset:11960
	s_wait_dscnt 0x0
	v_mul_f32_e32 v22, v22, v23
	ds_store_b32 v43, v22
.LBB12_777:                             ;   in Loop: Header=BB12_3 Depth=1
	s_or_b32 exec_lo, exec_lo, s0
	s_wait_dscnt 0x0
	s_barrier_signal -1
	s_barrier_wait -1
	s_and_saveexec_b32 s0, s48
	s_cbranch_execz .LBB12_779
; %bb.778:                              ;   in Loop: Header=BB12_3 Depth=1
	ds_load_b32 v23, v5 offset:11964
	ds_load_b32 v25, v43
	s_wait_dscnt 0x0
	v_fmac_f32_e32 v22, v23, v25
.LBB12_779:                             ;   in Loop: Header=BB12_3 Depth=1
	s_or_b32 exec_lo, exec_lo, s0
	s_barrier_signal -1
	s_barrier_wait -1
	s_and_saveexec_b32 s0, s48
	s_cbranch_execz .LBB12_781
; %bb.780:                              ;   in Loop: Header=BB12_3 Depth=1
	ds_load_b32 v23, v5 offset:12220
	s_wait_dscnt 0x0
	v_mul_f32_e32 v22, v22, v23
	ds_store_b32 v43, v22
.LBB12_781:                             ;   in Loop: Header=BB12_3 Depth=1
	s_or_b32 exec_lo, exec_lo, s0
	s_wait_dscnt 0x0
	s_barrier_signal -1
	s_barrier_wait -1
	s_barrier_signal -1
	s_barrier_wait -1
	s_and_saveexec_b32 s0, s5
; %bb.782:                              ;   in Loop: Header=BB12_3 Depth=1
	v_xor_b32_e32 v22, 0x80000000, v22
	ds_store_b32 v44, v22 offset:8352
; %bb.783:                              ;   in Loop: Header=BB12_3 Depth=1
	s_or_b32 exec_lo, exec_lo, s0
	s_wait_dscnt 0x0
	s_barrier_signal -1
	s_barrier_wait -1
	s_barrier_signal -1
	s_barrier_wait -1
	s_and_saveexec_b32 s0, s49
	s_cbranch_execz .LBB12_785
; %bb.784:                              ;   in Loop: Header=BB12_3 Depth=1
	ds_load_b32 v22, v47 offset:8352
	s_wait_dscnt 0x0
	ds_store_b32 v48, v22 offset:10368
	ds_load_b32 v22, v47 offset:8356
	s_wait_dscnt 0x0
	ds_store_b32 v48, v22 offset:10624
	;; [unrolled: 3-line block ×8, first 2 shown]
.LBB12_785:                             ;   in Loop: Header=BB12_3 Depth=1
	s_or_b32 exec_lo, exec_lo, s0
	s_wait_dscnt 0x0
	s_barrier_signal -1
	s_barrier_wait -1
	s_and_saveexec_b32 s0, s17
	s_cbranch_execz .LBB12_787
; %bb.786:                              ;   in Loop: Header=BB12_3 Depth=1
	ds_load_b64 v[22:23], v5 offset:10400
	ds_load_b32 v25, v5 offset:10660
	s_wait_dscnt 0x0
	v_mul_f32_e32 v22, v22, v25
	s_delay_alu instid0(VALU_DEP_1)
	v_mul_f32_e32 v22, v23, v22
	v_add_nc_u32_e64 v23, 0x2800, 0
	ds_store_2addr_b32 v23, v22, v22 offset0:41 offset1:104
.LBB12_787:                             ;   in Loop: Header=BB12_3 Depth=1
	s_or_b32 exec_lo, exec_lo, s0
	v_mov_b32_e32 v22, 0
	s_wait_dscnt 0x0
	s_barrier_signal -1
	s_barrier_wait -1
	s_and_saveexec_b32 s0, s2
	s_cbranch_execz .LBB12_791
; %bb.788:                              ;   in Loop: Header=BB12_3 Depth=1
	ds_load_b32 v22, v27 offset:10408
	ds_load_b32 v23, v28 offset:10400
	s_wait_dscnt 0x0
	v_fma_f32 v22, v22, v23, 0
	s_and_saveexec_b32 s1, s18
	s_cbranch_execz .LBB12_790
; %bb.789:                              ;   in Loop: Header=BB12_3 Depth=1
	ds_load_b32 v23, v48 offset:10664
	ds_load_b32 v25, v5 offset:10404
	s_wait_dscnt 0x0
	v_fmac_f32_e32 v22, v23, v25
.LBB12_790:                             ;   in Loop: Header=BB12_3 Depth=1
	s_or_b32 exec_lo, exec_lo, s1
	s_delay_alu instid0(VALU_DEP_1)
	v_xor_b32_e32 v22, 0x80000000, v22
.LBB12_791:                             ;   in Loop: Header=BB12_3 Depth=1
	s_or_b32 exec_lo, exec_lo, s0
	s_and_saveexec_b32 s0, s93
	s_cbranch_execz .LBB12_793
; %bb.792:                              ;   in Loop: Header=BB12_3 Depth=1
	ds_load_b32 v23, v5 offset:10920
	s_wait_dscnt 0x0
	v_mul_f32_e32 v22, v22, v23
	ds_store_b32 v3, v22
.LBB12_793:                             ;   in Loop: Header=BB12_3 Depth=1
	s_or_b32 exec_lo, exec_lo, s0
	s_wait_dscnt 0x0
	s_barrier_signal -1
	s_barrier_wait -1
	s_and_saveexec_b32 s0, s94
	s_cbranch_execz .LBB12_795
; %bb.794:                              ;   in Loop: Header=BB12_3 Depth=1
	ds_load_b32 v23, v5 offset:10924
	ds_load_b32 v25, v3
	s_wait_dscnt 0x0
	v_fmac_f32_e32 v22, v23, v25
.LBB12_795:                             ;   in Loop: Header=BB12_3 Depth=1
	s_or_b32 exec_lo, exec_lo, s0
	s_barrier_signal -1
	s_barrier_wait -1
	s_and_saveexec_b32 s0, s94
	s_cbranch_execz .LBB12_797
; %bb.796:                              ;   in Loop: Header=BB12_3 Depth=1
	ds_load_b32 v23, v5 offset:11180
	s_wait_dscnt 0x0
	v_mul_f32_e32 v22, v22, v23
	ds_store_b32 v3, v22
.LBB12_797:                             ;   in Loop: Header=BB12_3 Depth=1
	s_or_b32 exec_lo, exec_lo, s0
	s_wait_dscnt 0x0
	s_barrier_signal -1
	s_barrier_wait -1
	s_barrier_signal -1
	s_barrier_wait -1
	s_and_saveexec_b32 s0, s2
; %bb.798:                              ;   in Loop: Header=BB12_3 Depth=1
	v_xor_b32_e32 v22, 0x80000000, v22
	ds_store_b32 v27, v22 offset:10408
; %bb.799:                              ;   in Loop: Header=BB12_3 Depth=1
	s_or_b32 exec_lo, exec_lo, s0
	s_wait_dscnt 0x0
	s_barrier_signal -1
	s_barrier_wait -1
	s_barrier_signal -1
	s_barrier_wait -1
	s_and_saveexec_b32 s0, s95
	s_cbranch_execz .LBB12_801
; %bb.800:                              ;   in Loop: Header=BB12_3 Depth=1
	ds_load_b32 v22, v49 offset:10408
	s_wait_dscnt 0x0
	ds_store_b32 v48, v22 offset:10912
	ds_load_b32 v22, v49 offset:10412
	s_wait_dscnt 0x0
	ds_store_b32 v48, v22 offset:11168
.LBB12_801:                             ;   in Loop: Header=BB12_3 Depth=1
	s_or_b32 exec_lo, exec_lo, s0
	s_wait_dscnt 0x0
	s_barrier_signal -1
	s_barrier_wait -1
	s_and_saveexec_b32 s0, s17
	s_cbranch_execz .LBB12_803
; %bb.802:                              ;   in Loop: Header=BB12_3 Depth=1
	ds_load_b64 v[22:23], v5 offset:10920
	ds_load_b32 v25, v5 offset:11180
	s_wait_dscnt 0x0
	v_mul_f32_e32 v22, v22, v25
	s_delay_alu instid0(VALU_DEP_1)
	v_mul_f32_e32 v22, v23, v22
	v_add_nc_u32_e64 v23, 0x2800, 0
	ds_store_2addr_b32 v23, v22, v22 offset0:171 offset1:234
.LBB12_803:                             ;   in Loop: Header=BB12_3 Depth=1
	s_or_b32 exec_lo, exec_lo, s0
	v_mov_b32_e32 v22, 0
	s_wait_dscnt 0x0
	s_barrier_signal -1
	s_barrier_wait -1
	s_and_saveexec_b32 s0, s4
	s_cbranch_execz .LBB12_809
; %bb.804:                              ;   in Loop: Header=BB12_3 Depth=1
	ds_load_b32 v22, v35 offset:10416
	ds_load_b32 v23, v30 offset:10400
	s_wait_dscnt 0x0
	v_fma_f32 v22, v22, v23, 0
	s_and_saveexec_b32 s1, s19
	s_cbranch_execnz .LBB12_1241
; %bb.805:                              ;   in Loop: Header=BB12_3 Depth=1
	s_or_b32 exec_lo, exec_lo, s1
	s_and_saveexec_b32 s1, s20
	s_cbranch_execnz .LBB12_1242
.LBB12_806:                             ;   in Loop: Header=BB12_3 Depth=1
	s_or_b32 exec_lo, exec_lo, s1
	s_and_saveexec_b32 s1, s2
	s_cbranch_execz .LBB12_808
.LBB12_807:                             ;   in Loop: Header=BB12_3 Depth=1
	ds_load_b32 v23, v50 offset:11184
	ds_load_b32 v25, v5 offset:10412
	s_wait_dscnt 0x0
	v_fmac_f32_e32 v22, v23, v25
.LBB12_808:                             ;   in Loop: Header=BB12_3 Depth=1
	s_or_b32 exec_lo, exec_lo, s1
	s_delay_alu instid0(VALU_DEP_1)
	v_xor_b32_e32 v22, 0x80000000, v22
.LBB12_809:                             ;   in Loop: Header=BB12_3 Depth=1
	s_or_b32 exec_lo, exec_lo, s0
	s_and_saveexec_b32 s0, s96
	s_cbranch_execz .LBB12_811
; %bb.810:                              ;   in Loop: Header=BB12_3 Depth=1
	ds_load_b32 v23, v5 offset:11440
	s_wait_dscnt 0x0
	v_mul_f32_e32 v22, v22, v23
	ds_store_b32 v34, v22
.LBB12_811:                             ;   in Loop: Header=BB12_3 Depth=1
	s_or_b32 exec_lo, exec_lo, s0
	s_wait_dscnt 0x0
	s_barrier_signal -1
	s_barrier_wait -1
	s_and_saveexec_b32 s0, s97
	s_cbranch_execz .LBB12_813
; %bb.812:                              ;   in Loop: Header=BB12_3 Depth=1
	ds_load_b32 v23, v32 offset:11440
	ds_load_b32 v25, v34
	s_wait_dscnt 0x0
	v_fmac_f32_e32 v22, v23, v25
.LBB12_813:                             ;   in Loop: Header=BB12_3 Depth=1
	s_or_b32 exec_lo, exec_lo, s0
	s_barrier_signal -1
	s_barrier_wait -1
	s_and_saveexec_b32 s0, s98
	s_cbranch_execz .LBB12_815
; %bb.814:                              ;   in Loop: Header=BB12_3 Depth=1
	ds_load_b32 v23, v5 offset:11700
	s_wait_dscnt 0x0
	v_mul_f32_e32 v22, v22, v23
	ds_store_b32 v34, v22
.LBB12_815:                             ;   in Loop: Header=BB12_3 Depth=1
	s_or_b32 exec_lo, exec_lo, s0
	s_wait_dscnt 0x0
	s_barrier_signal -1
	s_barrier_wait -1
	s_and_saveexec_b32 s0, s99
	s_cbranch_execz .LBB12_817
; %bb.816:                              ;   in Loop: Header=BB12_3 Depth=1
	ds_load_b32 v23, v32 offset:11696
	ds_load_b32 v25, v34
	s_wait_dscnt 0x0
	v_fmac_f32_e32 v22, v23, v25
.LBB12_817:                             ;   in Loop: Header=BB12_3 Depth=1
	s_or_b32 exec_lo, exec_lo, s0
	s_barrier_signal -1
	s_barrier_wait -1
	;; [unrolled: 23-line block ×3, first 2 shown]
	s_and_saveexec_b32 s0, s101
	s_cbranch_execz .LBB12_823
; %bb.822:                              ;   in Loop: Header=BB12_3 Depth=1
	ds_load_b32 v23, v5 offset:12220
	s_wait_dscnt 0x0
	v_mul_f32_e32 v22, v22, v23
	ds_store_b32 v34, v22
.LBB12_823:                             ;   in Loop: Header=BB12_3 Depth=1
	s_or_b32 exec_lo, exec_lo, s0
	s_wait_dscnt 0x0
	s_barrier_signal -1
	s_barrier_wait -1
	s_barrier_signal -1
	s_barrier_wait -1
	s_and_saveexec_b32 s0, s4
; %bb.824:                              ;   in Loop: Header=BB12_3 Depth=1
	v_xor_b32_e32 v22, 0x80000000, v22
	ds_store_b32 v35, v22 offset:10416
; %bb.825:                              ;   in Loop: Header=BB12_3 Depth=1
	s_or_b32 exec_lo, exec_lo, s0
	s_wait_dscnt 0x0
	s_barrier_signal -1
	s_barrier_wait -1
	s_barrier_signal -1
	s_barrier_wait -1
	s_and_saveexec_b32 s0, s102
	s_cbranch_execz .LBB12_827
; %bb.826:                              ;   in Loop: Header=BB12_3 Depth=1
	ds_load_b32 v22, v51 offset:10416
	s_wait_dscnt 0x0
	ds_store_b32 v52, v22 offset:11424
	ds_load_b32 v22, v51 offset:10420
	s_wait_dscnt 0x0
	ds_store_b32 v52, v22 offset:11680
	;; [unrolled: 3-line block ×4, first 2 shown]
.LBB12_827:                             ;   in Loop: Header=BB12_3 Depth=1
	s_or_b32 exec_lo, exec_lo, s0
	s_wait_dscnt 0x0
	s_barrier_signal -1
	s_barrier_wait -1
	s_and_saveexec_b32 s0, s17
	s_cbranch_execz .LBB12_829
; %bb.828:                              ;   in Loop: Header=BB12_3 Depth=1
	ds_load_b64 v[22:23], v5 offset:11440
	ds_load_b32 v25, v5 offset:11700
	s_wait_dscnt 0x0
	v_mul_f32_e32 v22, v22, v25
	s_delay_alu instid0(VALU_DEP_1)
	v_mul_f32_e32 v22, v23, v22
	v_add_nc_u32_e64 v23, 0x2c00, 0
	ds_store_2addr_b32 v23, v22, v22 offset0:45 offset1:108
.LBB12_829:                             ;   in Loop: Header=BB12_3 Depth=1
	s_or_b32 exec_lo, exec_lo, s0
	v_mov_b32_e32 v22, 0
	s_wait_dscnt 0x0
	s_barrier_signal -1
	s_barrier_wait -1
	s_and_saveexec_b32 s0, s2
	s_cbranch_execz .LBB12_833
; %bb.830:                              ;   in Loop: Header=BB12_3 Depth=1
	ds_load_b32 v22, v27 offset:11448
	ds_load_b32 v23, v28 offset:11440
	s_wait_dscnt 0x0
	v_fma_f32 v22, v22, v23, 0
	s_and_saveexec_b32 s1, s18
	s_cbranch_execz .LBB12_832
; %bb.831:                              ;   in Loop: Header=BB12_3 Depth=1
	ds_load_b32 v23, v52 offset:11704
	ds_load_b32 v25, v5 offset:11444
	s_wait_dscnt 0x0
	v_fmac_f32_e32 v22, v23, v25
.LBB12_832:                             ;   in Loop: Header=BB12_3 Depth=1
	s_or_b32 exec_lo, exec_lo, s1
	s_delay_alu instid0(VALU_DEP_1)
	v_xor_b32_e32 v22, 0x80000000, v22
.LBB12_833:                             ;   in Loop: Header=BB12_3 Depth=1
	s_or_b32 exec_lo, exec_lo, s0
	s_and_saveexec_b32 s0, s93
	s_cbranch_execz .LBB12_835
; %bb.834:                              ;   in Loop: Header=BB12_3 Depth=1
	ds_load_b32 v23, v5 offset:11960
	s_wait_dscnt 0x0
	v_mul_f32_e32 v22, v22, v23
	ds_store_b32 v3, v22
.LBB12_835:                             ;   in Loop: Header=BB12_3 Depth=1
	s_or_b32 exec_lo, exec_lo, s0
	s_wait_dscnt 0x0
	s_barrier_signal -1
	s_barrier_wait -1
	s_and_saveexec_b32 s0, s94
	s_cbranch_execz .LBB12_837
; %bb.836:                              ;   in Loop: Header=BB12_3 Depth=1
	ds_load_b32 v23, v5 offset:11964
	ds_load_b32 v25, v3
	s_wait_dscnt 0x0
	v_fmac_f32_e32 v22, v23, v25
.LBB12_837:                             ;   in Loop: Header=BB12_3 Depth=1
	s_or_b32 exec_lo, exec_lo, s0
	s_barrier_signal -1
	s_barrier_wait -1
	s_and_saveexec_b32 s0, s94
	s_cbranch_execz .LBB12_839
; %bb.838:                              ;   in Loop: Header=BB12_3 Depth=1
	ds_load_b32 v23, v5 offset:12220
	s_wait_dscnt 0x0
	v_mul_f32_e32 v22, v22, v23
	ds_store_b32 v3, v22
.LBB12_839:                             ;   in Loop: Header=BB12_3 Depth=1
	s_or_b32 exec_lo, exec_lo, s0
	s_wait_dscnt 0x0
	s_barrier_signal -1
	s_barrier_wait -1
	s_barrier_signal -1
	s_barrier_wait -1
	s_and_saveexec_b32 s0, s2
; %bb.840:                              ;   in Loop: Header=BB12_3 Depth=1
	v_xor_b32_e32 v22, 0x80000000, v22
	ds_store_b32 v27, v22 offset:11448
; %bb.841:                              ;   in Loop: Header=BB12_3 Depth=1
	s_or_b32 exec_lo, exec_lo, s0
	s_wait_dscnt 0x0
	s_barrier_signal -1
	s_barrier_wait -1
	s_barrier_signal -1
	s_barrier_wait -1
	s_and_saveexec_b32 s0, s95
	s_cbranch_execz .LBB12_843
; %bb.842:                              ;   in Loop: Header=BB12_3 Depth=1
	ds_load_b32 v22, v54 offset:11448
	s_wait_dscnt 0x0
	ds_store_b32 v52, v22 offset:11952
	ds_load_b32 v22, v54 offset:11452
	s_wait_dscnt 0x0
	ds_store_b32 v52, v22 offset:12208
.LBB12_843:                             ;   in Loop: Header=BB12_3 Depth=1
	s_or_b32 exec_lo, exec_lo, s0
	s_wait_dscnt 0x0
	s_barrier_signal -1
	s_barrier_wait -1
	s_and_saveexec_b32 s0, s17
	s_cbranch_execz .LBB12_845
; %bb.844:                              ;   in Loop: Header=BB12_3 Depth=1
	ds_load_b64 v[22:23], v5 offset:11960
	ds_load_b32 v25, v5 offset:12220
	s_wait_dscnt 0x0
	v_mul_f32_e32 v22, v22, v25
	s_delay_alu instid0(VALU_DEP_1)
	v_mul_f32_e32 v22, v23, v22
	v_add_nc_u32_e64 v23, 0x2c00, 0
	ds_store_2addr_b32 v23, v22, v22 offset0:175 offset1:238
.LBB12_845:                             ;   in Loop: Header=BB12_3 Depth=1
	s_or_b32 exec_lo, exec_lo, s0
	v_mov_b32_e32 v22, 0
	s_wait_dscnt 0x0
	s_barrier_signal -1
	s_barrier_wait -1
	s_and_saveexec_b32 s0, s6
	s_cbranch_execz .LBB12_873
; %bb.846:                              ;   in Loop: Header=BB12_3 Depth=1
	ds_load_b32 v22, v57 offset:8384
	ds_load_b32 v23, v53 offset:8320
	s_wait_dscnt 0x0
	v_fma_f32 v22, v22, v23, 0
	s_mov_b32 s1, exec_lo
	v_readlane_b32 s50, v89, 26
	s_and_b32 s50, s1, s50
	s_delay_alu instid0(SALU_CYCLE_1)
	s_mov_b32 exec_lo, s50
	s_cbranch_execz .LBB12_848
; %bb.847:                              ;   in Loop: Header=BB12_3 Depth=1
	ds_load_b32 v23, v58 offset:8640
	ds_load_b32 v25, v53 offset:8324
	s_wait_dscnt 0x0
	v_fmac_f32_e32 v22, v23, v25
.LBB12_848:                             ;   in Loop: Header=BB12_3 Depth=1
	s_or_b32 exec_lo, exec_lo, s1
	s_delay_alu instid0(SALU_CYCLE_1) | instskip(SKIP_2) | instid1(SALU_CYCLE_1)
	s_mov_b32 s1, exec_lo
	v_readlane_b32 s50, v89, 27
	s_and_b32 s50, s1, s50
	s_mov_b32 exec_lo, s50
	s_cbranch_execz .LBB12_850
; %bb.849:                              ;   in Loop: Header=BB12_3 Depth=1
	ds_load_b32 v23, v58 offset:8896
	ds_load_b32 v25, v53 offset:8328
	s_wait_dscnt 0x0
	v_fmac_f32_e32 v22, v23, v25
.LBB12_850:                             ;   in Loop: Header=BB12_3 Depth=1
	s_or_b32 exec_lo, exec_lo, s1
	s_delay_alu instid0(SALU_CYCLE_1) | instskip(SKIP_2) | instid1(SALU_CYCLE_1)
	s_mov_b32 s1, exec_lo
	v_readlane_b32 s50, v89, 28
	s_and_b32 s50, s1, s50
	;; [unrolled: 13-line block ×10, first 2 shown]
	s_mov_b32 exec_lo, s50
	s_cbranch_execnz .LBB12_1243
; %bb.867:                              ;   in Loop: Header=BB12_3 Depth=1
	s_or_b32 exec_lo, exec_lo, s1
	s_and_saveexec_b32 s1, s5
	s_cbranch_execnz .LBB12_1244
.LBB12_868:                             ;   in Loop: Header=BB12_3 Depth=1
	s_or_b32 exec_lo, exec_lo, s1
	s_and_saveexec_b32 s1, s22
	s_cbranch_execnz .LBB12_1245
.LBB12_869:                             ;   in Loop: Header=BB12_3 Depth=1
	s_or_b32 exec_lo, exec_lo, s1
	s_and_saveexec_b32 s1, s24
	s_cbranch_execnz .LBB12_1246
.LBB12_870:                             ;   in Loop: Header=BB12_3 Depth=1
	s_or_b32 exec_lo, exec_lo, s1
	s_and_saveexec_b32 s1, s4
	s_cbranch_execz .LBB12_872
.LBB12_871:                             ;   in Loop: Header=BB12_3 Depth=1
	ds_load_b32 v23, v29 offset:12224
	ds_load_b32 v25, v5 offset:8380
	s_wait_dscnt 0x0
	v_fmac_f32_e32 v22, v23, v25
.LBB12_872:                             ;   in Loop: Header=BB12_3 Depth=1
	s_or_b32 exec_lo, exec_lo, s1
	s_delay_alu instid0(VALU_DEP_1)
	v_xor_b32_e32 v22, 0x80000000, v22
.LBB12_873:                             ;   in Loop: Header=BB12_3 Depth=1
	s_or_b32 exec_lo, exec_lo, s0
	s_delay_alu instid0(SALU_CYCLE_1) | instskip(SKIP_2) | instid1(SALU_CYCLE_1)
	s_mov_b32 s0, exec_lo
	v_readlane_b32 s1, v91, 6
	s_and_b32 s1, s0, s1
	s_mov_b32 exec_lo, s1
	s_cbranch_execz .LBB12_875
; %bb.874:                              ;   in Loop: Header=BB12_3 Depth=1
	ds_load_b32 v23, v5 offset:12480
	s_wait_dscnt 0x0
	v_mul_f32_e32 v22, v22, v23
	ds_store_b32 v56, v22
.LBB12_875:                             ;   in Loop: Header=BB12_3 Depth=1
	s_or_b32 exec_lo, exec_lo, s0
	s_wait_dscnt 0x0
	s_barrier_signal -1
	s_barrier_wait -1
	s_mov_b32 s0, exec_lo
	v_readlane_b32 s1, v91, 7
	s_and_b32 s1, s0, s1
	s_delay_alu instid0(SALU_CYCLE_1)
	s_mov_b32 exec_lo, s1
	s_cbranch_execz .LBB12_877
; %bb.876:                              ;   in Loop: Header=BB12_3 Depth=1
	ds_load_b32 v23, v55 offset:12480
	ds_load_b32 v25, v56
	s_wait_dscnt 0x0
	v_fmac_f32_e32 v22, v23, v25
.LBB12_877:                             ;   in Loop: Header=BB12_3 Depth=1
	s_or_b32 exec_lo, exec_lo, s0
	s_barrier_signal -1
	s_barrier_wait -1
	s_mov_b32 s0, exec_lo
	v_readlane_b32 s1, v91, 8
	s_and_b32 s1, s0, s1
	s_delay_alu instid0(SALU_CYCLE_1)
	s_mov_b32 exec_lo, s1
	s_cbranch_execz .LBB12_879
; %bb.878:                              ;   in Loop: Header=BB12_3 Depth=1
	ds_load_b32 v23, v5 offset:12740
	s_wait_dscnt 0x0
	v_mul_f32_e32 v22, v22, v23
	ds_store_b32 v56, v22
.LBB12_879:                             ;   in Loop: Header=BB12_3 Depth=1
	s_or_b32 exec_lo, exec_lo, s0
	s_wait_dscnt 0x0
	s_barrier_signal -1
	s_barrier_wait -1
	s_mov_b32 s0, exec_lo
	v_readlane_b32 s1, v91, 9
	s_and_b32 s1, s0, s1
	s_delay_alu instid0(SALU_CYCLE_1)
	s_mov_b32 exec_lo, s1
	s_cbranch_execz .LBB12_881
; %bb.880:                              ;   in Loop: Header=BB12_3 Depth=1
	ds_load_b32 v23, v55 offset:12736
	ds_load_b32 v25, v56
	s_wait_dscnt 0x0
	v_fmac_f32_e32 v22, v23, v25
.LBB12_881:                             ;   in Loop: Header=BB12_3 Depth=1
	s_or_b32 exec_lo, exec_lo, s0
	s_barrier_signal -1
	s_barrier_wait -1
	s_and_saveexec_b32 s0, s54
	s_cbranch_execz .LBB12_883
; %bb.882:                              ;   in Loop: Header=BB12_3 Depth=1
	ds_load_b32 v23, v5 offset:13000
	s_wait_dscnt 0x0
	v_mul_f32_e32 v22, v22, v23
	ds_store_b32 v56, v22
.LBB12_883:                             ;   in Loop: Header=BB12_3 Depth=1
	s_or_b32 exec_lo, exec_lo, s0
	s_wait_dscnt 0x0
	s_barrier_signal -1
	s_barrier_wait -1
	s_and_saveexec_b32 s0, s55
	s_cbranch_execz .LBB12_885
; %bb.884:                              ;   in Loop: Header=BB12_3 Depth=1
	ds_load_b32 v23, v55 offset:12992
	ds_load_b32 v25, v56
	s_wait_dscnt 0x0
	v_fmac_f32_e32 v22, v23, v25
.LBB12_885:                             ;   in Loop: Header=BB12_3 Depth=1
	s_or_b32 exec_lo, exec_lo, s0
	s_barrier_signal -1
	s_barrier_wait -1
	s_and_saveexec_b32 s0, s56
	s_cbranch_execz .LBB12_887
; %bb.886:                              ;   in Loop: Header=BB12_3 Depth=1
	ds_load_b32 v23, v5 offset:13260
	s_wait_dscnt 0x0
	v_mul_f32_e32 v22, v22, v23
	ds_store_b32 v56, v22
.LBB12_887:                             ;   in Loop: Header=BB12_3 Depth=1
	s_or_b32 exec_lo, exec_lo, s0
	s_wait_dscnt 0x0
	s_barrier_signal -1
	s_barrier_wait -1
	s_and_saveexec_b32 s0, s57
	;; [unrolled: 23-line block ×13, first 2 shown]
	s_cbranch_execz .LBB12_933
; %bb.932:                              ;   in Loop: Header=BB12_3 Depth=1
	ds_load_b32 v23, v5 offset:16124
	ds_load_b32 v25, v56
	s_wait_dscnt 0x0
	v_fmac_f32_e32 v22, v23, v25
.LBB12_933:                             ;   in Loop: Header=BB12_3 Depth=1
	s_or_b32 exec_lo, exec_lo, s0
	s_barrier_signal -1
	s_barrier_wait -1
	s_and_saveexec_b32 s0, s88
	s_cbranch_execz .LBB12_935
; %bb.934:                              ;   in Loop: Header=BB12_3 Depth=1
	ds_load_b32 v23, v5 offset:16380
	s_wait_dscnt 0x0
	v_mul_f32_e32 v22, v22, v23
	ds_store_b32 v56, v22
.LBB12_935:                             ;   in Loop: Header=BB12_3 Depth=1
	s_or_b32 exec_lo, exec_lo, s0
	s_wait_dscnt 0x0
	s_barrier_signal -1
	s_barrier_wait -1
	s_barrier_signal -1
	s_barrier_wait -1
	s_and_saveexec_b32 s0, s6
; %bb.936:                              ;   in Loop: Header=BB12_3 Depth=1
	v_xor_b32_e32 v22, 0x80000000, v22
	ds_store_b32 v57, v22 offset:8384
; %bb.937:                              ;   in Loop: Header=BB12_3 Depth=1
	s_or_b32 exec_lo, exec_lo, s0
	s_wait_dscnt 0x0
	s_barrier_signal -1
	s_barrier_wait -1
	s_barrier_signal -1
	s_barrier_wait -1
	s_and_saveexec_b32 s0, s91
	s_cbranch_execz .LBB12_939
; %bb.938:                              ;   in Loop: Header=BB12_3 Depth=1
	ds_load_b32 v22, v33 offset:8384
	s_wait_dscnt 0x0
	ds_store_b32 v37, v22 offset:12416
	ds_load_b32 v22, v33 offset:8388
	s_wait_dscnt 0x0
	ds_store_b32 v37, v22 offset:12672
	;; [unrolled: 3-line block ×16, first 2 shown]
.LBB12_939:                             ;   in Loop: Header=BB12_3 Depth=1
	s_or_b32 exec_lo, exec_lo, s0
	s_wait_dscnt 0x0
	s_barrier_signal -1
	s_barrier_wait -1
	s_and_saveexec_b32 s0, s17
	s_cbranch_execz .LBB12_941
; %bb.940:                              ;   in Loop: Header=BB12_3 Depth=1
	ds_load_b64 v[22:23], v5 offset:12480
	ds_load_b32 v25, v5 offset:12740
	s_wait_dscnt 0x0
	v_mul_f32_e32 v22, v22, v25
	s_delay_alu instid0(VALU_DEP_1)
	v_mul_f32_e32 v22, v23, v22
	v_add_nc_u32_e64 v23, 0x3000, 0
	ds_store_2addr_b32 v23, v22, v22 offset0:49 offset1:112
.LBB12_941:                             ;   in Loop: Header=BB12_3 Depth=1
	s_or_b32 exec_lo, exec_lo, s0
	v_mov_b32_e32 v22, 0
	s_wait_dscnt 0x0
	s_barrier_signal -1
	s_barrier_wait -1
	s_and_saveexec_b32 s0, s2
	s_cbranch_execz .LBB12_945
; %bb.942:                              ;   in Loop: Header=BB12_3 Depth=1
	ds_load_b32 v22, v27 offset:12488
	ds_load_b32 v23, v28 offset:12480
	s_wait_dscnt 0x0
	v_fma_f32 v22, v22, v23, 0
	s_and_saveexec_b32 s1, s18
	s_cbranch_execz .LBB12_944
; %bb.943:                              ;   in Loop: Header=BB12_3 Depth=1
	ds_load_b32 v23, v29 offset:12744
	ds_load_b32 v25, v5 offset:12484
	s_wait_dscnt 0x0
	v_fmac_f32_e32 v22, v23, v25
.LBB12_944:                             ;   in Loop: Header=BB12_3 Depth=1
	s_or_b32 exec_lo, exec_lo, s1
	s_delay_alu instid0(VALU_DEP_1)
	v_xor_b32_e32 v22, 0x80000000, v22
.LBB12_945:                             ;   in Loop: Header=BB12_3 Depth=1
	s_or_b32 exec_lo, exec_lo, s0
	s_and_saveexec_b32 s0, s93
	s_cbranch_execz .LBB12_947
; %bb.946:                              ;   in Loop: Header=BB12_3 Depth=1
	ds_load_b32 v23, v5 offset:13000
	s_wait_dscnt 0x0
	v_mul_f32_e32 v22, v22, v23
	ds_store_b32 v3, v22
.LBB12_947:                             ;   in Loop: Header=BB12_3 Depth=1
	s_or_b32 exec_lo, exec_lo, s0
	s_wait_dscnt 0x0
	s_barrier_signal -1
	s_barrier_wait -1
	s_and_saveexec_b32 s0, s94
	s_cbranch_execz .LBB12_949
; %bb.948:                              ;   in Loop: Header=BB12_3 Depth=1
	ds_load_b32 v23, v5 offset:13004
	ds_load_b32 v25, v3
	s_wait_dscnt 0x0
	v_fmac_f32_e32 v22, v23, v25
.LBB12_949:                             ;   in Loop: Header=BB12_3 Depth=1
	s_or_b32 exec_lo, exec_lo, s0
	s_barrier_signal -1
	s_barrier_wait -1
	s_and_saveexec_b32 s0, s94
	s_cbranch_execz .LBB12_951
; %bb.950:                              ;   in Loop: Header=BB12_3 Depth=1
	ds_load_b32 v23, v5 offset:13260
	s_wait_dscnt 0x0
	v_mul_f32_e32 v22, v22, v23
	ds_store_b32 v3, v22
.LBB12_951:                             ;   in Loop: Header=BB12_3 Depth=1
	s_or_b32 exec_lo, exec_lo, s0
	s_wait_dscnt 0x0
	s_barrier_signal -1
	s_barrier_wait -1
	s_barrier_signal -1
	s_barrier_wait -1
	s_and_saveexec_b32 s0, s2
; %bb.952:                              ;   in Loop: Header=BB12_3 Depth=1
	v_xor_b32_e32 v22, 0x80000000, v22
	ds_store_b32 v27, v22 offset:12488
; %bb.953:                              ;   in Loop: Header=BB12_3 Depth=1
	s_or_b32 exec_lo, exec_lo, s0
	s_wait_dscnt 0x0
	s_barrier_signal -1
	s_barrier_wait -1
	s_barrier_signal -1
	s_barrier_wait -1
	s_and_saveexec_b32 s0, s95
	s_cbranch_execz .LBB12_955
; %bb.954:                              ;   in Loop: Header=BB12_3 Depth=1
	ds_load_b32 v22, v33 offset:12488
	s_wait_dscnt 0x0
	ds_store_b32 v29, v22 offset:12992
	ds_load_b32 v22, v33 offset:12492
	s_wait_dscnt 0x0
	ds_store_b32 v29, v22 offset:13248
.LBB12_955:                             ;   in Loop: Header=BB12_3 Depth=1
	s_or_b32 exec_lo, exec_lo, s0
	s_wait_dscnt 0x0
	s_barrier_signal -1
	s_barrier_wait -1
	s_and_saveexec_b32 s0, s17
	s_cbranch_execz .LBB12_957
; %bb.956:                              ;   in Loop: Header=BB12_3 Depth=1
	ds_load_b64 v[22:23], v5 offset:13000
	ds_load_b32 v25, v5 offset:13260
	s_wait_dscnt 0x0
	v_mul_f32_e32 v22, v22, v25
	s_delay_alu instid0(VALU_DEP_1)
	v_mul_f32_e32 v22, v23, v22
	v_add_nc_u32_e64 v23, 0x3000, 0
	ds_store_2addr_b32 v23, v22, v22 offset0:179 offset1:242
.LBB12_957:                             ;   in Loop: Header=BB12_3 Depth=1
	s_or_b32 exec_lo, exec_lo, s0
	v_mov_b32_e32 v22, 0
	s_wait_dscnt 0x0
	s_barrier_signal -1
	s_barrier_wait -1
	s_and_saveexec_b32 s0, s4
	s_cbranch_execz .LBB12_963
; %bb.958:                              ;   in Loop: Header=BB12_3 Depth=1
	ds_load_b32 v22, v35 offset:12496
	ds_load_b32 v23, v30 offset:12480
	s_wait_dscnt 0x0
	v_fma_f32 v22, v22, v23, 0
	s_and_saveexec_b32 s1, s19
	s_cbranch_execnz .LBB12_1247
; %bb.959:                              ;   in Loop: Header=BB12_3 Depth=1
	s_or_b32 exec_lo, exec_lo, s1
	s_and_saveexec_b32 s1, s20
	s_cbranch_execnz .LBB12_1248
.LBB12_960:                             ;   in Loop: Header=BB12_3 Depth=1
	s_or_b32 exec_lo, exec_lo, s1
	s_and_saveexec_b32 s1, s2
	s_cbranch_execz .LBB12_962
.LBB12_961:                             ;   in Loop: Header=BB12_3 Depth=1
	ds_load_b32 v23, v37 offset:13264
	ds_load_b32 v25, v5 offset:12492
	s_wait_dscnt 0x0
	v_fmac_f32_e32 v22, v23, v25
.LBB12_962:                             ;   in Loop: Header=BB12_3 Depth=1
	s_or_b32 exec_lo, exec_lo, s1
	s_delay_alu instid0(VALU_DEP_1)
	v_xor_b32_e32 v22, 0x80000000, v22
.LBB12_963:                             ;   in Loop: Header=BB12_3 Depth=1
	s_or_b32 exec_lo, exec_lo, s0
	s_and_saveexec_b32 s0, s96
	s_cbranch_execz .LBB12_965
; %bb.964:                              ;   in Loop: Header=BB12_3 Depth=1
	ds_load_b32 v23, v5 offset:13520
	s_wait_dscnt 0x0
	v_mul_f32_e32 v22, v22, v23
	ds_store_b32 v34, v22
.LBB12_965:                             ;   in Loop: Header=BB12_3 Depth=1
	s_or_b32 exec_lo, exec_lo, s0
	s_wait_dscnt 0x0
	s_barrier_signal -1
	s_barrier_wait -1
	s_and_saveexec_b32 s0, s97
	s_cbranch_execz .LBB12_967
; %bb.966:                              ;   in Loop: Header=BB12_3 Depth=1
	ds_load_b32 v23, v32 offset:13520
	ds_load_b32 v25, v34
	s_wait_dscnt 0x0
	v_fmac_f32_e32 v22, v23, v25
.LBB12_967:                             ;   in Loop: Header=BB12_3 Depth=1
	s_or_b32 exec_lo, exec_lo, s0
	s_barrier_signal -1
	s_barrier_wait -1
	s_and_saveexec_b32 s0, s98
	s_cbranch_execz .LBB12_969
; %bb.968:                              ;   in Loop: Header=BB12_3 Depth=1
	ds_load_b32 v23, v5 offset:13780
	s_wait_dscnt 0x0
	v_mul_f32_e32 v22, v22, v23
	ds_store_b32 v34, v22
.LBB12_969:                             ;   in Loop: Header=BB12_3 Depth=1
	s_or_b32 exec_lo, exec_lo, s0
	s_wait_dscnt 0x0
	s_barrier_signal -1
	s_barrier_wait -1
	s_and_saveexec_b32 s0, s99
	s_cbranch_execz .LBB12_971
; %bb.970:                              ;   in Loop: Header=BB12_3 Depth=1
	ds_load_b32 v23, v32 offset:13776
	ds_load_b32 v25, v34
	s_wait_dscnt 0x0
	v_fmac_f32_e32 v22, v23, v25
.LBB12_971:                             ;   in Loop: Header=BB12_3 Depth=1
	s_or_b32 exec_lo, exec_lo, s0
	s_barrier_signal -1
	s_barrier_wait -1
	;; [unrolled: 23-line block ×3, first 2 shown]
	s_and_saveexec_b32 s0, s101
	s_cbranch_execz .LBB12_977
; %bb.976:                              ;   in Loop: Header=BB12_3 Depth=1
	ds_load_b32 v23, v5 offset:14300
	s_wait_dscnt 0x0
	v_mul_f32_e32 v22, v22, v23
	ds_store_b32 v34, v22
.LBB12_977:                             ;   in Loop: Header=BB12_3 Depth=1
	s_or_b32 exec_lo, exec_lo, s0
	s_wait_dscnt 0x0
	s_barrier_signal -1
	s_barrier_wait -1
	s_barrier_signal -1
	s_barrier_wait -1
	s_and_saveexec_b32 s0, s4
; %bb.978:                              ;   in Loop: Header=BB12_3 Depth=1
	v_xor_b32_e32 v22, 0x80000000, v22
	ds_store_b32 v35, v22 offset:12496
; %bb.979:                              ;   in Loop: Header=BB12_3 Depth=1
	s_or_b32 exec_lo, exec_lo, s0
	s_wait_dscnt 0x0
	s_barrier_signal -1
	s_barrier_wait -1
	s_barrier_signal -1
	s_barrier_wait -1
	s_and_saveexec_b32 s0, s102
	s_cbranch_execz .LBB12_981
; %bb.980:                              ;   in Loop: Header=BB12_3 Depth=1
	ds_load_b32 v22, v38 offset:12496
	s_wait_dscnt 0x0
	ds_store_b32 v40, v22 offset:13504
	ds_load_b32 v22, v38 offset:12500
	s_wait_dscnt 0x0
	ds_store_b32 v40, v22 offset:13760
	;; [unrolled: 3-line block ×4, first 2 shown]
.LBB12_981:                             ;   in Loop: Header=BB12_3 Depth=1
	s_or_b32 exec_lo, exec_lo, s0
	s_wait_dscnt 0x0
	s_barrier_signal -1
	s_barrier_wait -1
	s_and_saveexec_b32 s0, s17
	s_cbranch_execz .LBB12_983
; %bb.982:                              ;   in Loop: Header=BB12_3 Depth=1
	ds_load_b64 v[22:23], v5 offset:13520
	ds_load_b32 v25, v5 offset:13780
	s_wait_dscnt 0x0
	v_mul_f32_e32 v22, v22, v25
	s_delay_alu instid0(VALU_DEP_1)
	v_mul_f32_e32 v22, v23, v22
	v_add_nc_u32_e64 v23, 0x3400, 0
	ds_store_2addr_b32 v23, v22, v22 offset0:53 offset1:116
.LBB12_983:                             ;   in Loop: Header=BB12_3 Depth=1
	s_or_b32 exec_lo, exec_lo, s0
	v_mov_b32_e32 v22, 0
	s_wait_dscnt 0x0
	s_barrier_signal -1
	s_barrier_wait -1
	s_and_saveexec_b32 s0, s2
	s_cbranch_execz .LBB12_987
; %bb.984:                              ;   in Loop: Header=BB12_3 Depth=1
	ds_load_b32 v22, v27 offset:13528
	ds_load_b32 v23, v28 offset:13520
	s_wait_dscnt 0x0
	v_fma_f32 v22, v22, v23, 0
	s_and_saveexec_b32 s1, s18
	s_cbranch_execz .LBB12_986
; %bb.985:                              ;   in Loop: Header=BB12_3 Depth=1
	ds_load_b32 v23, v40 offset:13784
	ds_load_b32 v25, v5 offset:13524
	s_wait_dscnt 0x0
	v_fmac_f32_e32 v22, v23, v25
.LBB12_986:                             ;   in Loop: Header=BB12_3 Depth=1
	s_or_b32 exec_lo, exec_lo, s1
	s_delay_alu instid0(VALU_DEP_1)
	v_xor_b32_e32 v22, 0x80000000, v22
.LBB12_987:                             ;   in Loop: Header=BB12_3 Depth=1
	s_or_b32 exec_lo, exec_lo, s0
	s_and_saveexec_b32 s0, s93
	s_cbranch_execz .LBB12_989
; %bb.988:                              ;   in Loop: Header=BB12_3 Depth=1
	ds_load_b32 v23, v5 offset:14040
	s_wait_dscnt 0x0
	v_mul_f32_e32 v22, v22, v23
	ds_store_b32 v3, v22
.LBB12_989:                             ;   in Loop: Header=BB12_3 Depth=1
	s_or_b32 exec_lo, exec_lo, s0
	s_wait_dscnt 0x0
	s_barrier_signal -1
	s_barrier_wait -1
	s_and_saveexec_b32 s0, s94
	s_cbranch_execz .LBB12_991
; %bb.990:                              ;   in Loop: Header=BB12_3 Depth=1
	ds_load_b32 v23, v5 offset:14044
	ds_load_b32 v25, v3
	s_wait_dscnt 0x0
	v_fmac_f32_e32 v22, v23, v25
.LBB12_991:                             ;   in Loop: Header=BB12_3 Depth=1
	s_or_b32 exec_lo, exec_lo, s0
	s_barrier_signal -1
	s_barrier_wait -1
	s_and_saveexec_b32 s0, s94
	s_cbranch_execz .LBB12_993
; %bb.992:                              ;   in Loop: Header=BB12_3 Depth=1
	ds_load_b32 v23, v5 offset:14300
	s_wait_dscnt 0x0
	v_mul_f32_e32 v22, v22, v23
	ds_store_b32 v3, v22
.LBB12_993:                             ;   in Loop: Header=BB12_3 Depth=1
	s_or_b32 exec_lo, exec_lo, s0
	s_wait_dscnt 0x0
	s_barrier_signal -1
	s_barrier_wait -1
	s_barrier_signal -1
	s_barrier_wait -1
	s_and_saveexec_b32 s0, s2
; %bb.994:                              ;   in Loop: Header=BB12_3 Depth=1
	v_xor_b32_e32 v22, 0x80000000, v22
	ds_store_b32 v27, v22 offset:13528
; %bb.995:                              ;   in Loop: Header=BB12_3 Depth=1
	s_or_b32 exec_lo, exec_lo, s0
	s_wait_dscnt 0x0
	s_barrier_signal -1
	s_barrier_wait -1
	s_barrier_signal -1
	s_barrier_wait -1
	s_and_saveexec_b32 s0, s95
	s_cbranch_execz .LBB12_997
; %bb.996:                              ;   in Loop: Header=BB12_3 Depth=1
	ds_load_b32 v22, v42 offset:13528
	s_wait_dscnt 0x0
	ds_store_b32 v40, v22 offset:14032
	ds_load_b32 v22, v42 offset:13532
	s_wait_dscnt 0x0
	ds_store_b32 v40, v22 offset:14288
.LBB12_997:                             ;   in Loop: Header=BB12_3 Depth=1
	s_or_b32 exec_lo, exec_lo, s0
	s_wait_dscnt 0x0
	s_barrier_signal -1
	s_barrier_wait -1
	s_and_saveexec_b32 s0, s17
	s_cbranch_execz .LBB12_999
; %bb.998:                              ;   in Loop: Header=BB12_3 Depth=1
	ds_load_b64 v[22:23], v5 offset:14040
	ds_load_b32 v25, v5 offset:14300
	s_wait_dscnt 0x0
	v_mul_f32_e32 v22, v22, v25
	s_delay_alu instid0(VALU_DEP_1)
	v_mul_f32_e32 v22, v23, v22
	v_add_nc_u32_e64 v23, 0x3400, 0
	ds_store_2addr_b32 v23, v22, v22 offset0:183 offset1:246
.LBB12_999:                             ;   in Loop: Header=BB12_3 Depth=1
	s_or_b32 exec_lo, exec_lo, s0
	v_mov_b32_e32 v22, 0
	s_wait_dscnt 0x0
	s_barrier_signal -1
	s_barrier_wait -1
	s_and_saveexec_b32 s0, s5
	s_cbranch_execz .LBB12_1009
; %bb.1000:                             ;   in Loop: Header=BB12_3 Depth=1
	ds_load_b32 v22, v44 offset:12512
	ds_load_b32 v23, v39 offset:12480
	s_wait_dscnt 0x0
	v_fma_f32 v22, v22, v23, 0
	s_and_saveexec_b32 s1, s21
	s_cbranch_execnz .LBB12_1249
; %bb.1001:                             ;   in Loop: Header=BB12_3 Depth=1
	s_or_b32 exec_lo, exec_lo, s1
	s_and_saveexec_b32 s1, s22
	s_cbranch_execnz .LBB12_1250
.LBB12_1002:                            ;   in Loop: Header=BB12_3 Depth=1
	s_or_b32 exec_lo, exec_lo, s1
	s_and_saveexec_b32 s1, s23
	s_cbranch_execnz .LBB12_1251
.LBB12_1003:                            ;   in Loop: Header=BB12_3 Depth=1
	s_or_b32 exec_lo, exec_lo, s1
	s_and_saveexec_b32 s1, s24
	s_cbranch_execnz .LBB12_1252
.LBB12_1004:                            ;   in Loop: Header=BB12_3 Depth=1
	s_or_b32 exec_lo, exec_lo, s1
	s_and_saveexec_b32 s1, s25
	s_cbranch_execnz .LBB12_1253
.LBB12_1005:                            ;   in Loop: Header=BB12_3 Depth=1
	s_or_b32 exec_lo, exec_lo, s1
	s_and_saveexec_b32 s1, s4
	s_cbranch_execnz .LBB12_1254
.LBB12_1006:                            ;   in Loop: Header=BB12_3 Depth=1
	s_or_b32 exec_lo, exec_lo, s1
	s_and_saveexec_b32 s1, s20
	s_cbranch_execz .LBB12_1008
.LBB12_1007:                            ;   in Loop: Header=BB12_3 Depth=1
	ds_load_b32 v23, v46 offset:14304
	ds_load_b32 v25, v5 offset:12508
	s_wait_dscnt 0x0
	v_fmac_f32_e32 v22, v23, v25
.LBB12_1008:                            ;   in Loop: Header=BB12_3 Depth=1
	s_or_b32 exec_lo, exec_lo, s1
	s_delay_alu instid0(VALU_DEP_1)
	v_xor_b32_e32 v22, 0x80000000, v22
.LBB12_1009:                            ;   in Loop: Header=BB12_3 Depth=1
	s_or_b32 exec_lo, exec_lo, s0
	s_and_saveexec_b32 s0, s103
	s_cbranch_execz .LBB12_1011
; %bb.1010:                             ;   in Loop: Header=BB12_3 Depth=1
	ds_load_b32 v23, v5 offset:14560
	s_wait_dscnt 0x0
	v_mul_f32_e32 v22, v22, v23
	ds_store_b32 v43, v22
.LBB12_1011:                            ;   in Loop: Header=BB12_3 Depth=1
	s_or_b32 exec_lo, exec_lo, s0
	s_wait_dscnt 0x0
	s_barrier_signal -1
	s_barrier_wait -1
	s_and_saveexec_b32 s0, s104
	s_cbranch_execz .LBB12_1013
; %bb.1012:                             ;   in Loop: Header=BB12_3 Depth=1
	ds_load_b32 v23, v41 offset:14560
	ds_load_b32 v25, v43
	s_wait_dscnt 0x0
	v_fmac_f32_e32 v22, v23, v25
.LBB12_1013:                            ;   in Loop: Header=BB12_3 Depth=1
	s_or_b32 exec_lo, exec_lo, s0
	s_barrier_signal -1
	s_barrier_wait -1
	s_and_saveexec_b32 s0, vcc_hi
	s_cbranch_execz .LBB12_1015
; %bb.1014:                             ;   in Loop: Header=BB12_3 Depth=1
	ds_load_b32 v23, v5 offset:14820
	s_wait_dscnt 0x0
	v_mul_f32_e32 v22, v22, v23
	ds_store_b32 v43, v22
.LBB12_1015:                            ;   in Loop: Header=BB12_3 Depth=1
	s_or_b32 exec_lo, exec_lo, s0
	s_wait_dscnt 0x0
	s_barrier_signal -1
	s_barrier_wait -1
	s_and_saveexec_b32 s0, s38
	s_cbranch_execz .LBB12_1017
; %bb.1016:                             ;   in Loop: Header=BB12_3 Depth=1
	ds_load_b32 v23, v41 offset:14816
	ds_load_b32 v25, v43
	s_wait_dscnt 0x0
	v_fmac_f32_e32 v22, v23, v25
.LBB12_1017:                            ;   in Loop: Header=BB12_3 Depth=1
	s_or_b32 exec_lo, exec_lo, s0
	s_barrier_signal -1
	s_barrier_wait -1
	s_and_saveexec_b32 s0, s39
	s_cbranch_execz .LBB12_1019
; %bb.1018:                             ;   in Loop: Header=BB12_3 Depth=1
	ds_load_b32 v23, v5 offset:15080
	s_wait_dscnt 0x0
	v_mul_f32_e32 v22, v22, v23
	ds_store_b32 v43, v22
.LBB12_1019:                            ;   in Loop: Header=BB12_3 Depth=1
	s_or_b32 exec_lo, exec_lo, s0
	s_wait_dscnt 0x0
	s_barrier_signal -1
	s_barrier_wait -1
	s_and_saveexec_b32 s0, s40
	s_cbranch_execz .LBB12_1021
; %bb.1020:                             ;   in Loop: Header=BB12_3 Depth=1
	ds_load_b32 v23, v41 offset:15072
	ds_load_b32 v25, v43
	s_wait_dscnt 0x0
	v_fmac_f32_e32 v22, v23, v25
.LBB12_1021:                            ;   in Loop: Header=BB12_3 Depth=1
	s_or_b32 exec_lo, exec_lo, s0
	s_barrier_signal -1
	s_barrier_wait -1
	s_and_saveexec_b32 s0, s41
	;; [unrolled: 23-line block ×6, first 2 shown]
	s_cbranch_execz .LBB12_1039
; %bb.1038:                             ;   in Loop: Header=BB12_3 Depth=1
	ds_load_b32 v23, v5 offset:16380
	s_wait_dscnt 0x0
	v_mul_f32_e32 v22, v22, v23
	ds_store_b32 v43, v22
.LBB12_1039:                            ;   in Loop: Header=BB12_3 Depth=1
	s_or_b32 exec_lo, exec_lo, s0
	s_wait_dscnt 0x0
	s_barrier_signal -1
	s_barrier_wait -1
	s_barrier_signal -1
	s_barrier_wait -1
	s_and_saveexec_b32 s0, s5
; %bb.1040:                             ;   in Loop: Header=BB12_3 Depth=1
	v_xor_b32_e32 v22, 0x80000000, v22
	ds_store_b32 v44, v22 offset:12512
; %bb.1041:                             ;   in Loop: Header=BB12_3 Depth=1
	s_or_b32 exec_lo, exec_lo, s0
	s_wait_dscnt 0x0
	s_barrier_signal -1
	s_barrier_wait -1
	s_barrier_signal -1
	s_barrier_wait -1
	s_and_saveexec_b32 s0, s49
	s_cbranch_execz .LBB12_1043
; %bb.1042:                             ;   in Loop: Header=BB12_3 Depth=1
	ds_load_b32 v22, v47 offset:12512
	s_wait_dscnt 0x0
	ds_store_b32 v48, v22 offset:14528
	ds_load_b32 v22, v47 offset:12516
	s_wait_dscnt 0x0
	ds_store_b32 v48, v22 offset:14784
	ds_load_b32 v22, v47 offset:12520
	s_wait_dscnt 0x0
	ds_store_b32 v48, v22 offset:15040
	ds_load_b32 v22, v47 offset:12524
	s_wait_dscnt 0x0
	ds_store_b32 v48, v22 offset:15296
	ds_load_b32 v22, v47 offset:12528
	s_wait_dscnt 0x0
	ds_store_b32 v48, v22 offset:15552
	ds_load_b32 v22, v47 offset:12532
	s_wait_dscnt 0x0
	ds_store_b32 v48, v22 offset:15808
	ds_load_b32 v22, v47 offset:12536
	s_wait_dscnt 0x0
	ds_store_b32 v48, v22 offset:16064
	ds_load_b32 v22, v47 offset:12540
	s_wait_dscnt 0x0
	ds_store_b32 v48, v22 offset:16320
.LBB12_1043:                            ;   in Loop: Header=BB12_3 Depth=1
	s_or_b32 exec_lo, exec_lo, s0
	s_wait_dscnt 0x0
	s_barrier_signal -1
	s_barrier_wait -1
	s_and_saveexec_b32 s0, s17
	s_cbranch_execz .LBB12_1045
; %bb.1044:                             ;   in Loop: Header=BB12_3 Depth=1
	ds_load_b64 v[22:23], v5 offset:14560
	ds_load_b32 v25, v5 offset:14820
	s_wait_dscnt 0x0
	v_mul_f32_e32 v22, v22, v25
	s_delay_alu instid0(VALU_DEP_1)
	v_mul_f32_e32 v22, v23, v22
	v_add_nc_u32_e64 v23, 0x3800, 0
	ds_store_2addr_b32 v23, v22, v22 offset0:57 offset1:120
.LBB12_1045:                            ;   in Loop: Header=BB12_3 Depth=1
	s_or_b32 exec_lo, exec_lo, s0
	v_mov_b32_e32 v22, 0
	s_wait_dscnt 0x0
	s_barrier_signal -1
	s_barrier_wait -1
	s_and_saveexec_b32 s0, s2
	s_cbranch_execz .LBB12_1049
; %bb.1046:                             ;   in Loop: Header=BB12_3 Depth=1
	ds_load_b32 v22, v27 offset:14568
	ds_load_b32 v23, v28 offset:14560
	s_wait_dscnt 0x0
	v_fma_f32 v22, v22, v23, 0
	s_and_saveexec_b32 s1, s18
	s_cbranch_execz .LBB12_1048
; %bb.1047:                             ;   in Loop: Header=BB12_3 Depth=1
	ds_load_b32 v23, v48 offset:14824
	ds_load_b32 v25, v5 offset:14564
	s_wait_dscnt 0x0
	v_fmac_f32_e32 v22, v23, v25
.LBB12_1048:                            ;   in Loop: Header=BB12_3 Depth=1
	s_or_b32 exec_lo, exec_lo, s1
	s_delay_alu instid0(VALU_DEP_1)
	v_xor_b32_e32 v22, 0x80000000, v22
.LBB12_1049:                            ;   in Loop: Header=BB12_3 Depth=1
	s_or_b32 exec_lo, exec_lo, s0
	s_and_saveexec_b32 s0, s93
	s_cbranch_execz .LBB12_1051
; %bb.1050:                             ;   in Loop: Header=BB12_3 Depth=1
	ds_load_b32 v23, v5 offset:15080
	s_wait_dscnt 0x0
	v_mul_f32_e32 v22, v22, v23
	ds_store_b32 v3, v22
.LBB12_1051:                            ;   in Loop: Header=BB12_3 Depth=1
	s_or_b32 exec_lo, exec_lo, s0
	s_wait_dscnt 0x0
	s_barrier_signal -1
	s_barrier_wait -1
	s_and_saveexec_b32 s0, s94
	s_cbranch_execz .LBB12_1053
; %bb.1052:                             ;   in Loop: Header=BB12_3 Depth=1
	ds_load_b32 v23, v5 offset:15084
	ds_load_b32 v25, v3
	s_wait_dscnt 0x0
	v_fmac_f32_e32 v22, v23, v25
.LBB12_1053:                            ;   in Loop: Header=BB12_3 Depth=1
	s_or_b32 exec_lo, exec_lo, s0
	s_barrier_signal -1
	s_barrier_wait -1
	s_and_saveexec_b32 s0, s94
	s_cbranch_execz .LBB12_1055
; %bb.1054:                             ;   in Loop: Header=BB12_3 Depth=1
	ds_load_b32 v23, v5 offset:15340
	s_wait_dscnt 0x0
	v_mul_f32_e32 v22, v22, v23
	ds_store_b32 v3, v22
.LBB12_1055:                            ;   in Loop: Header=BB12_3 Depth=1
	s_or_b32 exec_lo, exec_lo, s0
	s_wait_dscnt 0x0
	s_barrier_signal -1
	s_barrier_wait -1
	s_barrier_signal -1
	s_barrier_wait -1
	s_and_saveexec_b32 s0, s2
; %bb.1056:                             ;   in Loop: Header=BB12_3 Depth=1
	v_xor_b32_e32 v22, 0x80000000, v22
	ds_store_b32 v27, v22 offset:14568
; %bb.1057:                             ;   in Loop: Header=BB12_3 Depth=1
	s_or_b32 exec_lo, exec_lo, s0
	s_wait_dscnt 0x0
	s_barrier_signal -1
	s_barrier_wait -1
	s_barrier_signal -1
	s_barrier_wait -1
	s_and_saveexec_b32 s0, s95
	s_cbranch_execz .LBB12_1059
; %bb.1058:                             ;   in Loop: Header=BB12_3 Depth=1
	ds_load_b32 v22, v49 offset:14568
	s_wait_dscnt 0x0
	ds_store_b32 v48, v22 offset:15072
	ds_load_b32 v22, v49 offset:14572
	s_wait_dscnt 0x0
	ds_store_b32 v48, v22 offset:15328
.LBB12_1059:                            ;   in Loop: Header=BB12_3 Depth=1
	s_or_b32 exec_lo, exec_lo, s0
	s_wait_dscnt 0x0
	s_barrier_signal -1
	s_barrier_wait -1
	s_and_saveexec_b32 s0, s17
	s_cbranch_execz .LBB12_1061
; %bb.1060:                             ;   in Loop: Header=BB12_3 Depth=1
	ds_load_b64 v[22:23], v5 offset:15080
	ds_load_b32 v25, v5 offset:15340
	s_wait_dscnt 0x0
	v_mul_f32_e32 v22, v22, v25
	s_delay_alu instid0(VALU_DEP_1)
	v_mul_f32_e32 v22, v23, v22
	v_add_nc_u32_e64 v23, 0x3800, 0
	ds_store_2addr_b32 v23, v22, v22 offset0:187 offset1:250
.LBB12_1061:                            ;   in Loop: Header=BB12_3 Depth=1
	s_or_b32 exec_lo, exec_lo, s0
	v_mov_b32_e32 v22, 0
	s_wait_dscnt 0x0
	s_barrier_signal -1
	s_barrier_wait -1
	s_and_saveexec_b32 s0, s4
	s_cbranch_execz .LBB12_1067
; %bb.1062:                             ;   in Loop: Header=BB12_3 Depth=1
	ds_load_b32 v22, v35 offset:14576
	ds_load_b32 v23, v30 offset:14560
	s_wait_dscnt 0x0
	v_fma_f32 v22, v22, v23, 0
	s_and_saveexec_b32 s1, s19
	s_cbranch_execnz .LBB12_1255
; %bb.1063:                             ;   in Loop: Header=BB12_3 Depth=1
	s_or_b32 exec_lo, exec_lo, s1
	s_and_saveexec_b32 s1, s20
	s_cbranch_execnz .LBB12_1256
.LBB12_1064:                            ;   in Loop: Header=BB12_3 Depth=1
	s_or_b32 exec_lo, exec_lo, s1
	s_and_saveexec_b32 s1, s2
	s_cbranch_execz .LBB12_1066
.LBB12_1065:                            ;   in Loop: Header=BB12_3 Depth=1
	ds_load_b32 v23, v50 offset:15344
	ds_load_b32 v25, v5 offset:14572
	s_wait_dscnt 0x0
	v_fmac_f32_e32 v22, v23, v25
.LBB12_1066:                            ;   in Loop: Header=BB12_3 Depth=1
	s_or_b32 exec_lo, exec_lo, s1
	s_delay_alu instid0(VALU_DEP_1)
	v_xor_b32_e32 v22, 0x80000000, v22
.LBB12_1067:                            ;   in Loop: Header=BB12_3 Depth=1
	s_or_b32 exec_lo, exec_lo, s0
	s_and_saveexec_b32 s0, s96
	s_cbranch_execz .LBB12_1069
; %bb.1068:                             ;   in Loop: Header=BB12_3 Depth=1
	ds_load_b32 v23, v5 offset:15600
	s_wait_dscnt 0x0
	v_mul_f32_e32 v22, v22, v23
	ds_store_b32 v34, v22
.LBB12_1069:                            ;   in Loop: Header=BB12_3 Depth=1
	s_or_b32 exec_lo, exec_lo, s0
	s_wait_dscnt 0x0
	s_barrier_signal -1
	s_barrier_wait -1
	s_and_saveexec_b32 s0, s97
	s_cbranch_execz .LBB12_1071
; %bb.1070:                             ;   in Loop: Header=BB12_3 Depth=1
	ds_load_b32 v23, v32 offset:15600
	ds_load_b32 v25, v34
	s_wait_dscnt 0x0
	v_fmac_f32_e32 v22, v23, v25
.LBB12_1071:                            ;   in Loop: Header=BB12_3 Depth=1
	s_or_b32 exec_lo, exec_lo, s0
	s_barrier_signal -1
	s_barrier_wait -1
	s_and_saveexec_b32 s0, s98
	s_cbranch_execz .LBB12_1073
; %bb.1072:                             ;   in Loop: Header=BB12_3 Depth=1
	ds_load_b32 v23, v5 offset:15860
	s_wait_dscnt 0x0
	v_mul_f32_e32 v22, v22, v23
	ds_store_b32 v34, v22
.LBB12_1073:                            ;   in Loop: Header=BB12_3 Depth=1
	s_or_b32 exec_lo, exec_lo, s0
	s_wait_dscnt 0x0
	s_barrier_signal -1
	s_barrier_wait -1
	s_and_saveexec_b32 s0, s99
	s_cbranch_execz .LBB12_1075
; %bb.1074:                             ;   in Loop: Header=BB12_3 Depth=1
	ds_load_b32 v23, v32 offset:15856
	ds_load_b32 v25, v34
	s_wait_dscnt 0x0
	v_fmac_f32_e32 v22, v23, v25
.LBB12_1075:                            ;   in Loop: Header=BB12_3 Depth=1
	s_or_b32 exec_lo, exec_lo, s0
	s_barrier_signal -1
	s_barrier_wait -1
	;; [unrolled: 23-line block ×3, first 2 shown]
	s_and_saveexec_b32 s0, s101
	s_cbranch_execz .LBB12_1081
; %bb.1080:                             ;   in Loop: Header=BB12_3 Depth=1
	ds_load_b32 v23, v5 offset:16380
	s_wait_dscnt 0x0
	v_mul_f32_e32 v22, v22, v23
	ds_store_b32 v34, v22
.LBB12_1081:                            ;   in Loop: Header=BB12_3 Depth=1
	s_or_b32 exec_lo, exec_lo, s0
	s_wait_dscnt 0x0
	s_barrier_signal -1
	s_barrier_wait -1
	s_barrier_signal -1
	s_barrier_wait -1
	s_and_saveexec_b32 s0, s4
; %bb.1082:                             ;   in Loop: Header=BB12_3 Depth=1
	v_xor_b32_e32 v22, 0x80000000, v22
	ds_store_b32 v35, v22 offset:14576
; %bb.1083:                             ;   in Loop: Header=BB12_3 Depth=1
	s_or_b32 exec_lo, exec_lo, s0
	s_wait_dscnt 0x0
	s_barrier_signal -1
	s_barrier_wait -1
	s_barrier_signal -1
	s_barrier_wait -1
	s_and_saveexec_b32 s0, s102
	s_cbranch_execz .LBB12_1085
; %bb.1084:                             ;   in Loop: Header=BB12_3 Depth=1
	ds_load_b32 v22, v51 offset:14576
	s_wait_dscnt 0x0
	ds_store_b32 v52, v22 offset:15584
	ds_load_b32 v22, v51 offset:14580
	s_wait_dscnt 0x0
	ds_store_b32 v52, v22 offset:15840
	;; [unrolled: 3-line block ×4, first 2 shown]
.LBB12_1085:                            ;   in Loop: Header=BB12_3 Depth=1
	s_or_b32 exec_lo, exec_lo, s0
	s_wait_dscnt 0x0
	s_barrier_signal -1
	s_barrier_wait -1
	s_and_saveexec_b32 s0, s17
	s_cbranch_execz .LBB12_1087
; %bb.1086:                             ;   in Loop: Header=BB12_3 Depth=1
	ds_load_b64 v[22:23], v5 offset:15600
	ds_load_b32 v25, v5 offset:15860
	s_wait_dscnt 0x0
	v_mul_f32_e32 v22, v22, v25
	s_delay_alu instid0(VALU_DEP_1)
	v_mul_f32_e32 v22, v23, v22
	v_add_nc_u32_e64 v23, 0x3c00, 0
	ds_store_2addr_b32 v23, v22, v22 offset0:61 offset1:124
.LBB12_1087:                            ;   in Loop: Header=BB12_3 Depth=1
	s_or_b32 exec_lo, exec_lo, s0
	v_mov_b32_e32 v22, 0
	s_wait_dscnt 0x0
	s_barrier_signal -1
	s_barrier_wait -1
	s_and_saveexec_b32 s0, s2
	s_cbranch_execz .LBB12_1091
; %bb.1088:                             ;   in Loop: Header=BB12_3 Depth=1
	ds_load_b32 v22, v27 offset:15608
	ds_load_b32 v23, v28 offset:15600
	s_wait_dscnt 0x0
	v_fma_f32 v22, v22, v23, 0
	s_and_saveexec_b32 s1, s18
	s_cbranch_execz .LBB12_1090
; %bb.1089:                             ;   in Loop: Header=BB12_3 Depth=1
	ds_load_b32 v23, v52 offset:15864
	ds_load_b32 v25, v5 offset:15604
	s_wait_dscnt 0x0
	v_fmac_f32_e32 v22, v23, v25
.LBB12_1090:                            ;   in Loop: Header=BB12_3 Depth=1
	s_or_b32 exec_lo, exec_lo, s1
	s_delay_alu instid0(VALU_DEP_1)
	v_xor_b32_e32 v22, 0x80000000, v22
.LBB12_1091:                            ;   in Loop: Header=BB12_3 Depth=1
	s_or_b32 exec_lo, exec_lo, s0
	s_and_saveexec_b32 s0, s93
	s_cbranch_execz .LBB12_1093
; %bb.1092:                             ;   in Loop: Header=BB12_3 Depth=1
	ds_load_b32 v23, v5 offset:16120
	s_wait_dscnt 0x0
	v_mul_f32_e32 v22, v22, v23
	ds_store_b32 v3, v22
.LBB12_1093:                            ;   in Loop: Header=BB12_3 Depth=1
	s_or_b32 exec_lo, exec_lo, s0
	s_wait_dscnt 0x0
	s_barrier_signal -1
	s_barrier_wait -1
	s_and_saveexec_b32 s0, s94
	s_cbranch_execz .LBB12_1095
; %bb.1094:                             ;   in Loop: Header=BB12_3 Depth=1
	ds_load_b32 v23, v5 offset:16124
	ds_load_b32 v25, v3
	s_wait_dscnt 0x0
	v_fmac_f32_e32 v22, v23, v25
.LBB12_1095:                            ;   in Loop: Header=BB12_3 Depth=1
	s_or_b32 exec_lo, exec_lo, s0
	s_barrier_signal -1
	s_barrier_wait -1
	s_and_saveexec_b32 s0, s94
	s_cbranch_execz .LBB12_1097
; %bb.1096:                             ;   in Loop: Header=BB12_3 Depth=1
	ds_load_b32 v23, v5 offset:16380
	s_wait_dscnt 0x0
	v_mul_f32_e32 v22, v22, v23
	ds_store_b32 v3, v22
.LBB12_1097:                            ;   in Loop: Header=BB12_3 Depth=1
	s_or_b32 exec_lo, exec_lo, s0
	s_wait_dscnt 0x0
	s_barrier_signal -1
	s_barrier_wait -1
	s_barrier_signal -1
	s_barrier_wait -1
	s_and_saveexec_b32 s0, s2
; %bb.1098:                             ;   in Loop: Header=BB12_3 Depth=1
	v_xor_b32_e32 v22, 0x80000000, v22
	ds_store_b32 v27, v22 offset:15608
; %bb.1099:                             ;   in Loop: Header=BB12_3 Depth=1
	s_or_b32 exec_lo, exec_lo, s0
	s_wait_dscnt 0x0
	s_barrier_signal -1
	s_barrier_wait -1
	s_barrier_signal -1
	s_barrier_wait -1
	s_and_saveexec_b32 s0, s95
	s_cbranch_execz .LBB12_1101
; %bb.1100:                             ;   in Loop: Header=BB12_3 Depth=1
	ds_load_b32 v22, v54 offset:15608
	s_wait_dscnt 0x0
	ds_store_b32 v52, v22 offset:16112
	ds_load_b32 v22, v54 offset:15612
	s_wait_dscnt 0x0
	ds_store_b32 v52, v22 offset:16368
.LBB12_1101:                            ;   in Loop: Header=BB12_3 Depth=1
	s_or_b32 exec_lo, exec_lo, s0
	s_wait_dscnt 0x0
	s_barrier_signal -1
	s_barrier_wait -1
	s_and_saveexec_b32 s0, s17
	s_cbranch_execz .LBB12_1103
; %bb.1102:                             ;   in Loop: Header=BB12_3 Depth=1
	ds_load_b64 v[22:23], v5 offset:16120
	ds_load_b32 v25, v5 offset:16380
	s_wait_dscnt 0x0
	v_mul_f32_e32 v22, v22, v25
	s_delay_alu instid0(VALU_DEP_1)
	v_mul_f32_e32 v22, v23, v22
	v_add_nc_u32_e64 v23, 0x3c00, 0
	ds_store_2addr_b32 v23, v22, v22 offset0:191 offset1:254
.LBB12_1103:                            ;   in Loop: Header=BB12_3 Depth=1
	s_or_b32 exec_lo, exec_lo, s0
.LBB12_1104:                            ;   in Loop: Header=BB12_3 Depth=1
	v_readlane_b32 s50, v91, 4
	v_readlane_b32 s51, v91, 5
	s_wait_kmcnt 0x0
	s_mul_u64 s[0:1], s[80:81], s[84:85]
	v_mov_b32_e32 v82, 0
	s_lshl_b64 s[0:1], s[0:1], 2
	s_wait_dscnt 0x0
	s_add_nc_u64 s[0:1], s[50:51], s[0:1]
	s_barrier_signal -1
	s_barrier_wait -1
	s_and_saveexec_b32 s50, s76
	s_cbranch_execz .LBB12_1106
; %bb.1105:                             ;   in Loop: Header=BB12_3 Depth=1
	v_lshl_add_u64 v[22:23], v[0:1], 2, s[0:1]
	global_load_b32 v22, v[22:23], off
	s_wait_loadcnt 0x0
	v_mul_f32_e64 v82, v22, -v24
.LBB12_1106:                            ;   in Loop: Header=BB12_3 Depth=1
	s_or_b32 exec_lo, exec_lo, s50
	s_delay_alu instid0(SALU_CYCLE_1)
	s_and_not1_b32 vcc_lo, exec_lo, s77
	s_cbranch_vccnz .LBB12_1132
; %bb.1107:                             ;   in Loop: Header=BB12_3 Depth=1
	v_mov_b32_e32 v83, -1
	s_lshl_b64 s[50:51], s[84:85], 2
	s_mov_b32 s75, 0
	s_add_nc_u64 s[68:69], s[82:83], s[50:51]
	s_branch .LBB12_1110
.LBB12_1108:                            ;   in Loop: Header=BB12_1110 Depth=2
	s_wait_xcnt 0x0
	ds_load_b32 v22, v66 offset:192
	s_wait_loadcnt_dscnt 0x0
	v_fmac_f32_e32 v82, v24, v22
.LBB12_1109:                            ;   in Loop: Header=BB12_1110 Depth=2
	s_or_b32 exec_lo, exec_lo, s50
	s_add_co_i32 s75, s75, 1
	s_delay_alu instid0(SALU_CYCLE_1)
	s_cmp_eq_u32 s75, s67
	s_cbranch_scc1 .LBB12_1132
.LBB12_1110:                            ;   Parent Loop BB12_3 Depth=1
                                        ; =>  This Loop Header: Depth=2
                                        ;       Child Loop BB12_1112 Depth 3
	v_cmp_gt_i32_e32 vcc_lo, s75, v83
	s_and_b32 s51, s61, vcc_lo
	s_delay_alu instid0(SALU_CYCLE_1)
	s_and_saveexec_b32 s50, s51
	s_cbranch_execz .LBB12_1113
; %bb.1111:                             ;   in Loop: Header=BB12_1110 Depth=2
	global_load_b32 v83, v5, s[68:69]
	s_wait_loadcnt 0x0
	v_cmp_le_i32_e32 vcc_lo, s75, v83
	s_cbranch_vccnz .LBB12_1113
.LBB12_1112:                            ;   Parent Loop BB12_3 Depth=1
                                        ;     Parent Loop BB12_1110 Depth=2
                                        ; =>    This Inner Loop Header: Depth=3
	global_wb scope:SCOPE_DEV
	s_wait_storecnt 0x0
	global_inv scope:SCOPE_DEV
	global_load_b32 v83, v5, s[68:69]
	s_wait_loadcnt 0x0
	v_cmp_gt_i32_e32 vcc_lo, s75, v83
	s_cbranch_vccnz .LBB12_1112
.LBB12_1113:                            ;   in Loop: Header=BB12_1110 Depth=2
	s_or_b32 exec_lo, exec_lo, s50
	s_sub_co_i32 s50, s89, s75
	global_wb scope:SCOPE_DEV
	s_wait_storecnt 0x0
	global_inv scope:SCOPE_DEV
	s_lshl_b32 s51, s50, 6
	s_wait_loadcnt 0x0
	s_barrier_signal -1
	s_barrier_wait -1
	s_and_saveexec_b32 s52, s62
	s_cbranch_execz .LBB12_1117
; %bb.1114:                             ;   in Loop: Header=BB12_1110 Depth=2
	s_ashr_i32 s53, s51, 31
	s_delay_alu instid0(SALU_CYCLE_1) | instskip(SKIP_2) | instid1(VALU_DEP_1)
	v_dual_mov_b32 v24, 0 :: v_dual_mov_b32 v23, s53
	v_or_b32_e32 v22, s51, v4
	s_mov_b32 s53, exec_lo
	v_cmpx_gt_i64_e64 s[86:87], v[22:23]
	s_cbranch_execz .LBB12_1116
; %bb.1115:                             ;   in Loop: Header=BB12_1110 Depth=2
	v_mul_u64_e32 v[22:23], s[78:79], v[22:23]
	s_delay_alu instid0(VALU_DEP_1)
	v_lshl_add_u64 v[22:23], v[22:23], 2, s[0:1]
	global_load_b32 v24, v[22:23], off
.LBB12_1116:                            ;   in Loop: Header=BB12_1110 Depth=2
	s_wait_xcnt 0x0
	s_or_b32 exec_lo, exec_lo, s53
	s_wait_loadcnt 0x0
	ds_store_b32 v65, v24
.LBB12_1117:                            ;   in Loop: Header=BB12_1110 Depth=2
	s_or_b32 exec_lo, exec_lo, s52
	v_add_nc_u32_e32 v24, s51, v26
	s_cmp_lg_u32 s50, s74
	s_wait_dscnt 0x0
	s_cselect_b32 s51, -1, 0
	s_barrier_signal -1
	v_ashrrev_i32_e32 v25, 31, v24
	v_cmp_gt_i32_e32 vcc_lo, s86, v24
	s_barrier_wait -1
	s_delay_alu instid0(VALU_DEP_2) | instskip(SKIP_2) | instid1(SALU_CYCLE_1)
	v_lshl_add_u64 v[22:23], v[24:25], 2, v[20:21]
	v_cndmask_b32_e64 v25, 0, 1, s51
	s_and_b32 s52, vcc_lo, s8
	s_and_saveexec_b32 s50, s52
	s_cbranch_execz .LBB12_1121
; %bb.1118:                             ;   in Loop: Header=BB12_1110 Depth=2
	v_mov_b32_e32 v84, v78
	s_and_not1_b32 vcc_lo, exec_lo, s51
	s_cbranch_vccnz .LBB12_1120
; %bb.1119:                             ;   in Loop: Header=BB12_1110 Depth=2
	global_load_b32 v84, v[22:23], off
.LBB12_1120:                            ;   in Loop: Header=BB12_1110 Depth=2
	ds_load_b32 v85, v66
	s_wait_loadcnt_dscnt 0x0
	v_fmac_f32_e32 v82, v84, v85
.LBB12_1121:                            ;   in Loop: Header=BB12_1110 Depth=2
	s_or_b32 exec_lo, exec_lo, s50
	v_add_nc_u32_e32 v84, 16, v24
	s_delay_alu instid0(VALU_DEP_1) | instskip(SKIP_1) | instid1(SALU_CYCLE_1)
	v_cmp_gt_i32_e32 vcc_lo, s86, v84
	s_and_b32 s51, vcc_lo, s8
	s_and_saveexec_b32 s50, s51
	s_cbranch_execz .LBB12_1125
; %bb.1122:                             ;   in Loop: Header=BB12_1110 Depth=2
	v_cmp_ne_u32_e32 vcc_lo, 1, v25
	v_mov_b32_e32 v84, v79
	s_cbranch_vccnz .LBB12_1124
; %bb.1123:                             ;   in Loop: Header=BB12_1110 Depth=2
	global_load_b32 v84, v[22:23], off offset:64
.LBB12_1124:                            ;   in Loop: Header=BB12_1110 Depth=2
	ds_load_b32 v85, v66 offset:64
	s_wait_loadcnt_dscnt 0x0
	v_fmac_f32_e32 v82, v84, v85
.LBB12_1125:                            ;   in Loop: Header=BB12_1110 Depth=2
	s_or_b32 exec_lo, exec_lo, s50
	v_add_nc_u32_e32 v84, 32, v24
	s_delay_alu instid0(VALU_DEP_1) | instskip(SKIP_1) | instid1(SALU_CYCLE_1)
	v_cmp_gt_i32_e32 vcc_lo, s86, v84
	s_and_b32 s51, vcc_lo, s8
	s_and_saveexec_b32 s50, s51
	s_cbranch_execz .LBB12_1129
; %bb.1126:                             ;   in Loop: Header=BB12_1110 Depth=2
	v_cmp_ne_u32_e32 vcc_lo, 1, v25
	v_mov_b32_e32 v84, v80
	s_cbranch_vccnz .LBB12_1128
; %bb.1127:                             ;   in Loop: Header=BB12_1110 Depth=2
	global_load_b32 v84, v[22:23], off offset:128
.LBB12_1128:                            ;   in Loop: Header=BB12_1110 Depth=2
	ds_load_b32 v85, v66 offset:128
	s_wait_loadcnt_dscnt 0x0
	v_fmac_f32_e32 v82, v84, v85
.LBB12_1129:                            ;   in Loop: Header=BB12_1110 Depth=2
	s_or_b32 exec_lo, exec_lo, s50
	v_add_nc_u32_e32 v24, 48, v24
	s_delay_alu instid0(VALU_DEP_1) | instskip(SKIP_1) | instid1(SALU_CYCLE_1)
	v_cmp_gt_i32_e32 vcc_lo, s86, v24
	s_and_b32 s51, vcc_lo, s8
	s_and_saveexec_b32 s50, s51
	s_cbranch_execz .LBB12_1109
; %bb.1130:                             ;   in Loop: Header=BB12_1110 Depth=2
	v_cmp_ne_u32_e32 vcc_lo, 1, v25
	v_mov_b32_e32 v24, v81
	s_cbranch_vccnz .LBB12_1108
; %bb.1131:                             ;   in Loop: Header=BB12_1110 Depth=2
	global_load_b32 v24, v[22:23], off offset:192
	s_branch .LBB12_1108
.LBB12_1132:                            ;   in Loop: Header=BB12_3 Depth=1
	ds_store_b32 v67, v82
	s_wait_dscnt 0x0
	s_barrier_signal -1
	s_barrier_wait -1
	s_and_saveexec_b32 s68, s3
	s_cbranch_execz .LBB12_1134
; %bb.1133:                             ;   in Loop: Header=BB12_3 Depth=1
	ds_load_2addr_stride64_b32 v[20:21], v68 offset0:1 offset1:2
	ds_load_2addr_stride64_b32 v[22:23], v68 offset0:3 offset1:4
	;; [unrolled: 1-line block ×4, first 2 shown]
	v_readlane_b32 s50, v89, 8
	s_wait_dscnt 0x3
	v_add_f32_e32 v20, v82, v20
	s_delay_alu instid0(VALU_DEP_1) | instskip(SKIP_1) | instid1(VALU_DEP_1)
	v_add_f32_e32 v20, v20, v21
	s_wait_dscnt 0x2
	v_add_f32_e32 v20, v20, v22
	s_delay_alu instid0(VALU_DEP_1) | instskip(SKIP_1) | instid1(VALU_DEP_1)
	v_add_f32_e32 v20, v20, v23
	s_wait_dscnt 0x1
	v_add_f32_e32 v22, v20, v24
	ds_load_2addr_stride64_b32 v[20:21], v68 offset0:9 offset1:10
	v_add_f32_e32 v22, v22, v25
	s_wait_dscnt 0x1
	s_delay_alu instid0(VALU_DEP_1)
	v_add_f32_e32 v24, v22, v84
	ds_load_2addr_stride64_b32 v[22:23], v68 offset0:11 offset1:12
	v_add_f32_e32 v82, v24, v85
	ds_load_2addr_stride64_b32 v[24:25], v68 offset0:13 offset1:14
	ds_load_b32 v83, v68 offset:3840
	s_wait_dscnt 0x3
	v_add_f32_e32 v20, v82, v20
	s_delay_alu instid0(VALU_DEP_1) | instskip(SKIP_1) | instid1(VALU_DEP_1)
	v_add_f32_e32 v20, v20, v21
	s_wait_dscnt 0x2
	v_add_f32_e32 v20, v20, v22
	s_delay_alu instid0(VALU_DEP_1) | instskip(SKIP_1) | instid1(VALU_DEP_1)
	v_add_f32_e32 v20, v20, v23
	;; [unrolled: 4-line block ×3, first 2 shown]
	s_wait_dscnt 0x0
	v_add_f32_e32 v20, v20, v83
	s_delay_alu instid0(VALU_DEP_1)
	v_cndmask_b32_e64 v82, -v20, 0, s50
.LBB12_1134:                            ;   in Loop: Header=BB12_3 Depth=1
	s_or_b32 exec_lo, exec_lo, s68
	s_delay_alu instid0(SALU_CYCLE_1)
	s_and_not1_b32 vcc_lo, exec_lo, s92
	s_cbranch_vccnz .LBB12_1144
; %bb.1135:                             ;   in Loop: Header=BB12_3 Depth=1
	s_and_saveexec_b32 s50, s3
; %bb.1136:                             ;   in Loop: Header=BB12_3 Depth=1
	ds_store_b32 v70, v82
; %bb.1137:                             ;   in Loop: Header=BB12_3 Depth=1
	s_or_b32 exec_lo, exec_lo, s50
	v_mov_b32_e32 v20, 0
	s_wait_dscnt 0x0
	s_barrier_signal -1
	s_barrier_wait -1
	s_and_saveexec_b32 s50, s9
	s_cbranch_execnz .LBB12_1200
; %bb.1138:                             ;   in Loop: Header=BB12_3 Depth=1
	s_or_b32 exec_lo, exec_lo, s50
	s_and_saveexec_b32 s50, s10
	s_cbranch_execnz .LBB12_1201
.LBB12_1139:                            ;   in Loop: Header=BB12_3 Depth=1
	s_or_b32 exec_lo, exec_lo, s50
	s_and_saveexec_b32 s50, s11
	s_cbranch_execnz .LBB12_1202
.LBB12_1140:                            ;   in Loop: Header=BB12_3 Depth=1
	s_or_b32 exec_lo, exec_lo, s50
	s_and_saveexec_b32 s50, s12
	s_cbranch_execz .LBB12_1142
.LBB12_1141:                            ;   in Loop: Header=BB12_3 Depth=1
	ds_load_b32 v21, v69 offset:12288
	ds_load_b32 v22, v66 offset:192
	s_wait_dscnt 0x0
	v_fmac_f32_e32 v20, v21, v22
.LBB12_1142:                            ;   in Loop: Header=BB12_3 Depth=1
	s_or_b32 exec_lo, exec_lo, s50
	s_mov_b32 s69, 0
	s_mov_b32 s68, 0
	ds_store_b32 v67, v20
	s_wait_dscnt 0x0
	s_barrier_signal -1
	s_barrier_wait -1
                                        ; implicit-def: $vgpr21
	s_and_saveexec_b32 s75, s3
	s_cbranch_execz .LBB12_1203
; %bb.1143:                             ;   in Loop: Header=BB12_3 Depth=1
	ds_load_2addr_stride64_b32 v[22:23], v68 offset0:1 offset1:2
	ds_load_2addr_stride64_b32 v[24:25], v68 offset0:3 offset1:4
	;; [unrolled: 1-line block ×4, first 2 shown]
	s_mov_b32 s68, exec_lo
	s_wait_dscnt 0x3
	v_add_f32_e32 v20, v20, v22
	s_delay_alu instid0(VALU_DEP_1) | instskip(SKIP_1) | instid1(VALU_DEP_1)
	v_add_f32_e32 v20, v23, v20
	s_wait_dscnt 0x2
	v_add_f32_e32 v20, v24, v20
	s_delay_alu instid0(VALU_DEP_1) | instskip(SKIP_1) | instid1(VALU_DEP_1)
	v_add_f32_e32 v20, v25, v20
	s_wait_dscnt 0x1
	v_add_f32_e32 v22, v84, v20
	ds_load_2addr_stride64_b32 v[20:21], v68 offset0:9 offset1:10
	v_add_f32_e32 v22, v85, v22
	s_wait_dscnt 0x1
	s_delay_alu instid0(VALU_DEP_1)
	v_add_f32_e32 v24, v86, v22
	ds_load_2addr_stride64_b32 v[22:23], v68 offset0:11 offset1:12
	v_add_f32_e32 v83, v87, v24
	ds_load_2addr_stride64_b32 v[24:25], v68 offset0:13 offset1:14
	ds_load_b32 v84, v68 offset:3840
	s_wait_dscnt 0x3
	v_add_f32_e32 v20, v20, v83
	s_delay_alu instid0(VALU_DEP_1) | instskip(SKIP_1) | instid1(VALU_DEP_1)
	v_add_f32_e32 v20, v21, v20
	s_wait_dscnt 0x2
	v_add_f32_e32 v20, v22, v20
	s_delay_alu instid0(VALU_DEP_1) | instskip(SKIP_1) | instid1(VALU_DEP_1)
	v_add_f32_e32 v20, v23, v20
	s_wait_dscnt 0x1
	v_add_f32_e32 v20, v24, v20
	s_delay_alu instid0(VALU_DEP_1) | instskip(SKIP_1) | instid1(VALU_DEP_1)
	v_add_f32_e32 v20, v25, v20
	s_wait_dscnt 0x0
	v_add_f32_e32 v21, v84, v20
	s_or_b32 exec_lo, exec_lo, s75
	s_delay_alu instid0(SALU_CYCLE_1)
	s_and_b32 vcc_lo, exec_lo, s69
	s_cbranch_vccnz .LBB12_1145
	s_branch .LBB12_1204
.LBB12_1144:                            ;   in Loop: Header=BB12_3 Depth=1
	s_mov_b32 s68, 0
                                        ; implicit-def: $vgpr21
	s_cbranch_execz .LBB12_1204
.LBB12_1145:                            ;   in Loop: Header=BB12_3 Depth=1
	v_dual_mov_b32 v20, v77 :: v_dual_mov_b32 v21, v76
	s_mov_b32 s69, 63
	s_branch .LBB12_1147
.LBB12_1146:                            ;   in Loop: Header=BB12_1147 Depth=2
	s_or_b32 exec_lo, exec_lo, s50
	v_add_nc_u32_e32 v21, 0xfffffc00, v21
	v_add_nc_u32_e32 v20, 4, v20
	s_add_co_i32 s69, s69, -4
	s_cmp_lg_u32 s75, 0
	s_barrier_signal -1
	s_barrier_wait -1
	s_cbranch_scc0 .LBB12_1163
.LBB12_1147:                            ;   Parent Loop BB12_3 Depth=1
                                        ; =>  This Inner Loop Header: Depth=2
	s_delay_alu instid0(VALU_DEP_1) | instskip(SKIP_2) | instid1(SALU_CYCLE_1)
	v_cmp_eq_u32_e32 vcc_lo, 0, v20
	v_add_nc_u32_e32 v22, v54, v29
	s_and_b32 s51, s3, vcc_lo
	s_and_saveexec_b32 s50, s51
	s_cbranch_execz .LBB12_1149
; %bb.1148:                             ;   in Loop: Header=BB12_1147 Depth=2
	ds_load_b32 v23, v22
	s_wait_dscnt 0x0
	v_mul_f32_e32 v82, v82, v23
	ds_store_b32 v5, v82 offset:20736
.LBB12_1149:                            ;   in Loop: Header=BB12_1147 Depth=2
	s_or_b32 exec_lo, exec_lo, s50
	v_cmp_gt_u32_e32 vcc_lo, s69, v2
	s_wait_dscnt 0x0
	s_barrier_signal -1
	s_barrier_wait -1
	s_and_b32 s51, s3, vcc_lo
	s_delay_alu instid0(SALU_CYCLE_1)
	s_and_saveexec_b32 s50, s51
	s_cbranch_execz .LBB12_1151
; %bb.1150:                             ;   in Loop: Header=BB12_1147 Depth=2
	ds_load_b32 v23, v21 offset:768
	ds_load_b32 v24, v5 offset:20736
	s_wait_dscnt 0x0
	v_fmac_f32_e32 v82, v23, v24
.LBB12_1151:                            ;   in Loop: Header=BB12_1147 Depth=2
	s_or_b32 exec_lo, exec_lo, s50
	s_add_co_i32 s50, s69, -1
	s_delay_alu instid0(SALU_CYCLE_1) | instskip(SKIP_3) | instid1(SALU_CYCLE_1)
	v_cmp_eq_u32_e32 vcc_lo, s50, v2
	s_barrier_signal -1
	s_barrier_wait -1
	s_and_b32 s52, s3, vcc_lo
	s_and_saveexec_b32 s51, s52
	s_cbranch_execz .LBB12_1153
; %bb.1152:                             ;   in Loop: Header=BB12_1147 Depth=2
	ds_load_b32 v23, v22
	s_wait_dscnt 0x0
	v_mul_f32_e32 v82, v82, v23
	ds_store_b32 v5, v82 offset:20736
.LBB12_1153:                            ;   in Loop: Header=BB12_1147 Depth=2
	s_or_b32 exec_lo, exec_lo, s51
	v_cmp_gt_u32_e32 vcc_lo, s50, v2
	s_wait_dscnt 0x0
	s_barrier_signal -1
	s_barrier_wait -1
	s_and_b32 s51, s3, vcc_lo
	s_delay_alu instid0(SALU_CYCLE_1)
	s_and_saveexec_b32 s50, s51
	s_cbranch_execz .LBB12_1155
; %bb.1154:                             ;   in Loop: Header=BB12_1147 Depth=2
	ds_load_b32 v23, v21 offset:512
	ds_load_b32 v24, v5 offset:20736
	s_wait_dscnt 0x0
	v_fmac_f32_e32 v82, v23, v24
.LBB12_1155:                            ;   in Loop: Header=BB12_1147 Depth=2
	s_or_b32 exec_lo, exec_lo, s50
	s_add_co_i32 s50, s69, -2
	s_delay_alu instid0(SALU_CYCLE_1) | instskip(SKIP_3) | instid1(SALU_CYCLE_1)
	v_cmp_eq_u32_e32 vcc_lo, s50, v2
	s_barrier_signal -1
	s_barrier_wait -1
	;; [unrolled: 30-line block ×3, first 2 shown]
	s_and_b32 s51, s3, vcc_lo
	s_and_saveexec_b32 s50, s51
	s_cbranch_execz .LBB12_1161
; %bb.1160:                             ;   in Loop: Header=BB12_1147 Depth=2
	ds_load_b32 v22, v22
	s_wait_dscnt 0x0
	v_mul_f32_e32 v82, v82, v22
	ds_store_b32 v5, v82 offset:20736
.LBB12_1161:                            ;   in Loop: Header=BB12_1147 Depth=2
	s_or_b32 exec_lo, exec_lo, s50
	v_cmp_gt_u32_e32 vcc_lo, s75, v2
	s_wait_dscnt 0x0
	s_barrier_signal -1
	s_barrier_wait -1
	s_and_b32 s51, s3, vcc_lo
	s_delay_alu instid0(SALU_CYCLE_1)
	s_and_saveexec_b32 s50, s51
	s_cbranch_execz .LBB12_1146
; %bb.1162:                             ;   in Loop: Header=BB12_1147 Depth=2
	ds_load_b32 v22, v21
	ds_load_b32 v23, v5 offset:20736
	s_wait_dscnt 0x0
	v_fmac_f32_e32 v82, v22, v23
	s_branch .LBB12_1146
.LBB12_1163:                            ;   in Loop: Header=BB12_3 Depth=1
	s_and_b32 vcc_lo, exec_lo, s90
	s_mov_b32 s50, -1
	s_cbranch_vccnz .LBB12_1205
; %bb.1164:                             ;   in Loop: Header=BB12_3 Depth=1
	s_and_not1_b32 vcc_lo, exec_lo, s50
	s_cbranch_vccz .LBB12_1206
.LBB12_1165:                            ;   in Loop: Header=BB12_3 Depth=1
	s_and_saveexec_b32 s50, s68
	s_cbranch_execz .LBB12_1167
.LBB12_1166:                            ;   in Loop: Header=BB12_3 Depth=1
	v_lshl_add_u64 v[20:21], v[10:11], 2, s[0:1]
	global_store_b32 v[20:21], v82, off
.LBB12_1167:                            ;   in Loop: Header=BB12_3 Depth=1
	s_wait_xcnt 0x0
	s_or_b32 exec_lo, exec_lo, s50
	global_wb scope:SCOPE_DEV
	s_wait_storecnt 0x0
	global_inv scope:SCOPE_DEV
	s_wait_loadcnt 0x0
	s_barrier_signal -1
	s_barrier_wait -1
	s_and_saveexec_b32 s0, s61
	s_cbranch_execz .LBB12_2
; %bb.1168:                             ;   in Loop: Header=BB12_3 Depth=1
	s_lshl_b64 s[50:51], s[84:85], 2
	s_delay_alu instid0(SALU_CYCLE_1)
	s_add_nc_u64 s[50:51], s[82:83], s[50:51]
	global_load_b32 v20, v5, s[50:51]
	s_wait_loadcnt 0x0
	v_add_nc_u32_e32 v20, 1, v20
	global_store_b32 v5, v20, s[50:51]
	s_branch .LBB12_2
.LBB12_1169:                            ;   in Loop: Header=BB12_3 Depth=1
	s_mov_b32 s50, exec_lo
	v_readlane_b32 s51, v89, 18
	s_and_b32 s51, s50, s51
	s_delay_alu instid0(SALU_CYCLE_1)
	s_xor_b32 s50, s51, s50
	s_mov_b32 exec_lo, s51
	s_cbranch_execz .LBB12_1173
; %bb.1170:                             ;   in Loop: Header=BB12_3 Depth=1
	s_mov_b32 s51, exec_lo
	v_readlane_b32 s52, v88, 28
	s_and_b32 s52, s51, s52
	s_delay_alu instid0(SALU_CYCLE_1)
	s_mov_b32 exec_lo, s52
; %bb.1171:                             ;   in Loop: Header=BB12_3 Depth=1
	ds_store_b32 v71, v5
; %bb.1172:                             ;   in Loop: Header=BB12_3 Depth=1
	s_or_b32 exec_lo, exec_lo, s51
.LBB12_1173:                            ;   in Loop: Header=BB12_3 Depth=1
	s_and_not1_saveexec_b32 s50, s50
	s_cbranch_execz .LBB12_1175
; %bb.1174:                             ;   in Loop: Header=BB12_3 Depth=1
	v_lshl_add_u64 v[22:23], v[12:13], 2, s[0:1]
	global_load_b32 v22, v[22:23], off
	s_wait_loadcnt 0x0
	v_div_scale_f32 v23, null, v22, v22, 1.0
	s_delay_alu instid0(VALU_DEP_1) | instskip(SKIP_1) | instid1(TRANS32_DEP_1)
	v_rcp_f32_e32 v25, v23
	v_nop
	v_fma_f32 v82, -v23, v25, 1.0
	s_delay_alu instid0(VALU_DEP_1) | instskip(SKIP_1) | instid1(VALU_DEP_1)
	v_fmac_f32_e32 v25, v82, v25
	v_div_scale_f32 v82, vcc_lo, 1.0, v22, 1.0
	v_mul_f32_e32 v83, v82, v25
	s_delay_alu instid0(VALU_DEP_1) | instskip(NEXT) | instid1(VALU_DEP_1)
	v_fma_f32 v84, -v23, v83, v82
	v_fmac_f32_e32 v83, v84, v25
	s_delay_alu instid0(VALU_DEP_1) | instskip(NEXT) | instid1(VALU_DEP_1)
	v_fma_f32 v23, -v23, v83, v82
	v_div_fmas_f32 v23, v23, v25, v83
	s_delay_alu instid0(VALU_DEP_1)
	v_div_fixup_f32 v22, v23, v22, 1.0
	ds_store_b32 v71, v22
.LBB12_1175:                            ;   in Loop: Header=BB12_3 Depth=1
	s_or_b32 exec_lo, exec_lo, s50
	s_and_not1_saveexec_b32 s50, s68
	s_cbranch_execz .LBB12_16
.LBB12_1176:                            ;   in Loop: Header=BB12_3 Depth=1
	v_lshl_add_u64 v[22:23], v[12:13], 2, s[0:1]
	global_load_b32 v22, v[22:23], off
	s_wait_loadcnt 0x0
	v_xor_b32_e32 v22, 0x80000000, v22
	ds_store_b32 v71, v22
	s_or_b32 exec_lo, exec_lo, s50
	s_and_saveexec_b32 s50, s10
	s_delay_alu instid0(SALU_CYCLE_1)
	s_xor_b32 s68, exec_lo, s50
	s_cbranch_execz .LBB12_17
.LBB12_1177:                            ;   in Loop: Header=BB12_3 Depth=1
	s_mov_b32 s50, exec_lo
	v_readlane_b32 s51, v89, 20
	s_and_b32 s51, s50, s51
	s_delay_alu instid0(SALU_CYCLE_1)
	s_xor_b32 s50, s51, s50
	s_mov_b32 exec_lo, s51
	s_cbranch_execz .LBB12_1181
; %bb.1178:                             ;   in Loop: Header=BB12_3 Depth=1
	s_mov_b32 s51, exec_lo
	v_readlane_b32 s52, v88, 29
	s_and_b32 s52, s51, s52
	s_delay_alu instid0(SALU_CYCLE_1)
	s_mov_b32 exec_lo, s52
; %bb.1179:                             ;   in Loop: Header=BB12_3 Depth=1
	ds_store_b32 v72, v5
; %bb.1180:                             ;   in Loop: Header=BB12_3 Depth=1
	s_or_b32 exec_lo, exec_lo, s51
.LBB12_1181:                            ;   in Loop: Header=BB12_3 Depth=1
	s_and_not1_saveexec_b32 s50, s50
	s_cbranch_execz .LBB12_1183
; %bb.1182:                             ;   in Loop: Header=BB12_3 Depth=1
	v_lshl_add_u64 v[22:23], v[14:15], 2, s[0:1]
	global_load_b32 v22, v[22:23], off
	s_wait_loadcnt 0x0
	v_div_scale_f32 v23, null, v22, v22, 1.0
	s_delay_alu instid0(VALU_DEP_1) | instskip(SKIP_1) | instid1(TRANS32_DEP_1)
	v_rcp_f32_e32 v25, v23
	v_nop
	v_fma_f32 v82, -v23, v25, 1.0
	s_delay_alu instid0(VALU_DEP_1) | instskip(SKIP_1) | instid1(VALU_DEP_1)
	v_fmac_f32_e32 v25, v82, v25
	v_div_scale_f32 v82, vcc_lo, 1.0, v22, 1.0
	v_mul_f32_e32 v83, v82, v25
	s_delay_alu instid0(VALU_DEP_1) | instskip(NEXT) | instid1(VALU_DEP_1)
	v_fma_f32 v84, -v23, v83, v82
	v_fmac_f32_e32 v83, v84, v25
	s_delay_alu instid0(VALU_DEP_1) | instskip(NEXT) | instid1(VALU_DEP_1)
	v_fma_f32 v23, -v23, v83, v82
	v_div_fmas_f32 v23, v23, v25, v83
	s_delay_alu instid0(VALU_DEP_1)
	v_div_fixup_f32 v22, v23, v22, 1.0
	ds_store_b32 v72, v22
.LBB12_1183:                            ;   in Loop: Header=BB12_3 Depth=1
	s_or_b32 exec_lo, exec_lo, s50
	s_and_not1_saveexec_b32 s50, s68
	s_cbranch_execz .LBB12_18
.LBB12_1184:                            ;   in Loop: Header=BB12_3 Depth=1
	v_lshl_add_u64 v[22:23], v[14:15], 2, s[0:1]
	global_load_b32 v22, v[22:23], off
	s_wait_loadcnt 0x0
	v_xor_b32_e32 v22, 0x80000000, v22
	ds_store_b32 v72, v22
	s_or_b32 exec_lo, exec_lo, s50
	s_and_saveexec_b32 s50, s11
	s_delay_alu instid0(SALU_CYCLE_1)
	s_xor_b32 s68, exec_lo, s50
	s_cbranch_execz .LBB12_19
.LBB12_1185:                            ;   in Loop: Header=BB12_3 Depth=1
	s_mov_b32 s50, exec_lo
	v_readlane_b32 s51, v89, 22
	s_and_b32 s51, s50, s51
	s_delay_alu instid0(SALU_CYCLE_1)
	s_xor_b32 s50, s51, s50
	s_mov_b32 exec_lo, s51
	s_cbranch_execz .LBB12_1189
; %bb.1186:                             ;   in Loop: Header=BB12_3 Depth=1
	s_mov_b32 s51, exec_lo
	v_readlane_b32 s52, v88, 30
	s_and_b32 s52, s51, s52
	s_delay_alu instid0(SALU_CYCLE_1)
	s_mov_b32 exec_lo, s52
; %bb.1187:                             ;   in Loop: Header=BB12_3 Depth=1
	ds_store_b32 v73, v5
; %bb.1188:                             ;   in Loop: Header=BB12_3 Depth=1
	s_or_b32 exec_lo, exec_lo, s51
.LBB12_1189:                            ;   in Loop: Header=BB12_3 Depth=1
	s_and_not1_saveexec_b32 s50, s50
	s_cbranch_execz .LBB12_1191
; %bb.1190:                             ;   in Loop: Header=BB12_3 Depth=1
	v_lshl_add_u64 v[22:23], v[16:17], 2, s[0:1]
	global_load_b32 v22, v[22:23], off
	s_wait_loadcnt 0x0
	v_div_scale_f32 v23, null, v22, v22, 1.0
	s_delay_alu instid0(VALU_DEP_1) | instskip(SKIP_1) | instid1(TRANS32_DEP_1)
	v_rcp_f32_e32 v25, v23
	v_nop
	v_fma_f32 v82, -v23, v25, 1.0
	s_delay_alu instid0(VALU_DEP_1) | instskip(SKIP_1) | instid1(VALU_DEP_1)
	v_fmac_f32_e32 v25, v82, v25
	v_div_scale_f32 v82, vcc_lo, 1.0, v22, 1.0
	v_mul_f32_e32 v83, v82, v25
	s_delay_alu instid0(VALU_DEP_1) | instskip(NEXT) | instid1(VALU_DEP_1)
	v_fma_f32 v84, -v23, v83, v82
	v_fmac_f32_e32 v83, v84, v25
	s_delay_alu instid0(VALU_DEP_1) | instskip(NEXT) | instid1(VALU_DEP_1)
	v_fma_f32 v23, -v23, v83, v82
	v_div_fmas_f32 v23, v23, v25, v83
	s_delay_alu instid0(VALU_DEP_1)
	v_div_fixup_f32 v22, v23, v22, 1.0
	ds_store_b32 v73, v22
.LBB12_1191:                            ;   in Loop: Header=BB12_3 Depth=1
	s_or_b32 exec_lo, exec_lo, s50
	s_and_not1_saveexec_b32 s50, s68
	s_cbranch_execz .LBB12_20
.LBB12_1192:                            ;   in Loop: Header=BB12_3 Depth=1
	v_lshl_add_u64 v[22:23], v[16:17], 2, s[0:1]
	global_load_b32 v22, v[22:23], off
	s_wait_loadcnt 0x0
	v_xor_b32_e32 v22, 0x80000000, v22
	ds_store_b32 v73, v22
	s_or_b32 exec_lo, exec_lo, s50
	s_and_saveexec_b32 s50, s12
	s_delay_alu instid0(SALU_CYCLE_1)
	s_xor_b32 s68, exec_lo, s50
	s_cbranch_execz .LBB12_21
.LBB12_1193:                            ;   in Loop: Header=BB12_3 Depth=1
	s_mov_b32 s50, exec_lo
	v_readlane_b32 s51, v89, 24
	s_and_b32 s51, s50, s51
	s_delay_alu instid0(SALU_CYCLE_1)
	s_xor_b32 s50, s51, s50
	s_mov_b32 exec_lo, s51
	s_cbranch_execz .LBB12_1197
; %bb.1194:                             ;   in Loop: Header=BB12_3 Depth=1
	s_mov_b32 s51, exec_lo
	v_readlane_b32 s52, v88, 31
	s_and_b32 s52, s51, s52
	s_delay_alu instid0(SALU_CYCLE_1)
	s_mov_b32 exec_lo, s52
; %bb.1195:                             ;   in Loop: Header=BB12_3 Depth=1
	ds_store_b32 v74, v5
; %bb.1196:                             ;   in Loop: Header=BB12_3 Depth=1
	s_or_b32 exec_lo, exec_lo, s51
.LBB12_1197:                            ;   in Loop: Header=BB12_3 Depth=1
	s_and_not1_saveexec_b32 s50, s50
	s_cbranch_execz .LBB12_1199
; %bb.1198:                             ;   in Loop: Header=BB12_3 Depth=1
	v_lshl_add_u64 v[22:23], v[18:19], 2, s[0:1]
	global_load_b32 v22, v[22:23], off
	s_wait_loadcnt 0x0
	v_div_scale_f32 v23, null, v22, v22, 1.0
	s_delay_alu instid0(VALU_DEP_1) | instskip(SKIP_1) | instid1(TRANS32_DEP_1)
	v_rcp_f32_e32 v25, v23
	v_nop
	v_fma_f32 v82, -v23, v25, 1.0
	s_delay_alu instid0(VALU_DEP_1) | instskip(SKIP_1) | instid1(VALU_DEP_1)
	v_fmac_f32_e32 v25, v82, v25
	v_div_scale_f32 v82, vcc_lo, 1.0, v22, 1.0
	v_mul_f32_e32 v83, v82, v25
	s_delay_alu instid0(VALU_DEP_1) | instskip(NEXT) | instid1(VALU_DEP_1)
	v_fma_f32 v84, -v23, v83, v82
	v_fmac_f32_e32 v83, v84, v25
	s_delay_alu instid0(VALU_DEP_1) | instskip(NEXT) | instid1(VALU_DEP_1)
	v_fma_f32 v23, -v23, v83, v82
	v_div_fmas_f32 v23, v23, v25, v83
	s_delay_alu instid0(VALU_DEP_1)
	v_div_fixup_f32 v22, v23, v22, 1.0
	ds_store_b32 v74, v22
.LBB12_1199:                            ;   in Loop: Header=BB12_3 Depth=1
	s_or_b32 exec_lo, exec_lo, s50
	s_and_not1_saveexec_b32 s50, s68
	s_cbranch_execnz .LBB12_22
	s_branch .LBB12_23
.LBB12_1200:                            ;   in Loop: Header=BB12_3 Depth=1
	ds_load_b32 v20, v69
	ds_load_b32 v21, v66
	s_wait_dscnt 0x0
	v_fma_f32 v20, v20, v21, 0
	s_or_b32 exec_lo, exec_lo, s50
	s_and_saveexec_b32 s50, s10
	s_cbranch_execz .LBB12_1139
.LBB12_1201:                            ;   in Loop: Header=BB12_3 Depth=1
	ds_load_b32 v21, v69 offset:4096
	ds_load_b32 v22, v66 offset:64
	s_wait_dscnt 0x0
	v_fmac_f32_e32 v20, v21, v22
	s_or_b32 exec_lo, exec_lo, s50
	s_and_saveexec_b32 s50, s11
	s_cbranch_execz .LBB12_1140
.LBB12_1202:                            ;   in Loop: Header=BB12_3 Depth=1
	ds_load_b32 v21, v69 offset:8192
	ds_load_b32 v22, v66 offset:128
	s_wait_dscnt 0x0
	v_fmac_f32_e32 v20, v21, v22
	s_or_b32 exec_lo, exec_lo, s50
	s_and_saveexec_b32 s50, s12
	s_cbranch_execnz .LBB12_1141
	s_branch .LBB12_1142
.LBB12_1203:                            ;   in Loop: Header=BB12_3 Depth=1
	s_or_b32 exec_lo, exec_lo, s75
	s_delay_alu instid0(SALU_CYCLE_1)
	s_and_b32 vcc_lo, exec_lo, s69
	s_cbranch_vccnz .LBB12_1145
.LBB12_1204:                            ;   in Loop: Header=BB12_3 Depth=1
	v_mov_b32_e32 v82, v21
	s_and_saveexec_b32 s50, s68
	s_cbranch_execnz .LBB12_1166
	s_branch .LBB12_1167
.LBB12_1205:                            ;   in Loop: Header=BB12_3 Depth=1
	s_and_not1_b32 s51, s68, exec_lo
	s_and_b32 s52, s3, exec_lo
	s_delay_alu instid0(SALU_CYCLE_1)
	s_or_b32 s68, s51, s52
	s_cbranch_execnz .LBB12_1165
.LBB12_1206:                            ;   in Loop: Header=BB12_3 Depth=1
	v_readlane_b32 s51, v89, 9
	s_and_not1_b32 s50, s68, exec_lo
	s_and_b32 s51, s51, exec_lo
	s_delay_alu instid0(SALU_CYCLE_1) | instskip(NEXT) | instid1(SALU_CYCLE_1)
	s_or_b32 s68, s50, s51
	s_and_saveexec_b32 s50, s68
	s_cbranch_execnz .LBB12_1166
	s_branch .LBB12_1167
.LBB12_1207:                            ;   in Loop: Header=BB12_3 Depth=1
	ds_load_b32 v23, v36 offset:272
	ds_load_b32 v25, v30 offset:4
	s_wait_dscnt 0x0
	v_fmac_f32_e32 v22, v23, v25
	s_or_b32 exec_lo, exec_lo, s1
	s_and_saveexec_b32 s1, s20
	s_cbranch_execz .LBB12_88
.LBB12_1208:                            ;   in Loop: Header=BB12_3 Depth=1
	ds_load_b32 v23, v35 offset:528
	ds_load_b32 v25, v30 offset:8
	s_wait_dscnt 0x0
	v_fmac_f32_e32 v22, v23, v25
	s_or_b32 exec_lo, exec_lo, s1
	s_and_saveexec_b32 s1, s2
	s_cbranch_execnz .LBB12_89
	s_branch .LBB12_90
.LBB12_1209:                            ;   in Loop: Header=BB12_3 Depth=1
	ds_load_b32 v23, v45 offset:288
	ds_load_b32 v25, v39 offset:4
	s_wait_dscnt 0x0
	v_fmac_f32_e32 v22, v23, v25
	s_or_b32 exec_lo, exec_lo, s1
	s_and_saveexec_b32 s1, s22
	s_cbranch_execz .LBB12_130
.LBB12_1210:                            ;   in Loop: Header=BB12_3 Depth=1
	ds_load_b32 v23, v45 offset:544
	ds_load_b32 v25, v39 offset:8
	s_wait_dscnt 0x0
	v_fmac_f32_e32 v22, v23, v25
	s_or_b32 exec_lo, exec_lo, s1
	s_and_saveexec_b32 s1, s23
	s_cbranch_execz .LBB12_131
.LBB12_1211:                            ;   in Loop: Header=BB12_3 Depth=1
	ds_load_b32 v23, v45 offset:800
	ds_load_b32 v25, v39 offset:12
	s_wait_dscnt 0x0
	v_fmac_f32_e32 v22, v23, v25
	s_or_b32 exec_lo, exec_lo, s1
	s_and_saveexec_b32 s1, s24
	s_cbranch_execz .LBB12_132
.LBB12_1212:                            ;   in Loop: Header=BB12_3 Depth=1
	ds_load_b32 v23, v44 offset:1056
	ds_load_b32 v25, v39 offset:16
	s_wait_dscnt 0x0
	v_fmac_f32_e32 v22, v23, v25
	s_or_b32 exec_lo, exec_lo, s1
	s_and_saveexec_b32 s1, s25
	s_cbranch_execz .LBB12_133
.LBB12_1213:                            ;   in Loop: Header=BB12_3 Depth=1
	ds_load_b32 v23, v45 offset:1312
	ds_load_b32 v25, v39 offset:20
	s_wait_dscnt 0x0
	v_fmac_f32_e32 v22, v23, v25
	s_or_b32 exec_lo, exec_lo, s1
	s_and_saveexec_b32 s1, s4
	s_cbranch_execz .LBB12_134
.LBB12_1214:                            ;   in Loop: Header=BB12_3 Depth=1
	ds_load_b32 v23, v44 offset:1568
	ds_load_b32 v25, v39 offset:24
	s_wait_dscnt 0x0
	v_fmac_f32_e32 v22, v23, v25
	s_or_b32 exec_lo, exec_lo, s1
	s_and_saveexec_b32 s1, s20
	s_cbranch_execnz .LBB12_135
	s_branch .LBB12_136
.LBB12_1215:                            ;   in Loop: Header=BB12_3 Depth=1
	ds_load_b32 v23, v36 offset:2352
	ds_load_b32 v25, v30 offset:2084
	s_wait_dscnt 0x0
	v_fmac_f32_e32 v22, v23, v25
	s_or_b32 exec_lo, exec_lo, s1
	s_and_saveexec_b32 s1, s20
	s_cbranch_execz .LBB12_192
.LBB12_1216:                            ;   in Loop: Header=BB12_3 Depth=1
	ds_load_b32 v23, v35 offset:2608
	ds_load_b32 v25, v30 offset:2088
	s_wait_dscnt 0x0
	v_fmac_f32_e32 v22, v23, v25
	s_or_b32 exec_lo, exec_lo, s1
	s_and_saveexec_b32 s1, s2
	s_cbranch_execnz .LBB12_193
	s_branch .LBB12_194
.LBB12_1217:                            ;   in Loop: Header=BB12_3 Depth=1
	ds_load_b32 v23, v58 offset:2880
	ds_load_b32 v25, v53 offset:44
	s_wait_dscnt 0x0
	v_fmac_f32_e32 v22, v23, v25
	s_or_b32 exec_lo, exec_lo, s1
	s_and_saveexec_b32 s1, s5
	s_cbranch_execz .LBB12_254
.LBB12_1218:                            ;   in Loop: Header=BB12_3 Depth=1
	ds_load_b32 v23, v57 offset:3136
	ds_load_b32 v25, v53 offset:48
	s_wait_dscnt 0x0
	v_fmac_f32_e32 v22, v23, v25
	s_or_b32 exec_lo, exec_lo, s1
	s_and_saveexec_b32 s1, s22
	s_cbranch_execz .LBB12_255
.LBB12_1219:                            ;   in Loop: Header=BB12_3 Depth=1
	ds_load_b32 v23, v58 offset:3392
	ds_load_b32 v25, v53 offset:52
	s_wait_dscnt 0x0
	v_fmac_f32_e32 v22, v23, v25
	s_or_b32 exec_lo, exec_lo, s1
	s_and_saveexec_b32 s1, s24
	s_cbranch_execz .LBB12_256
.LBB12_1220:                            ;   in Loop: Header=BB12_3 Depth=1
	ds_load_b32 v23, v57 offset:3648
	ds_load_b32 v25, v53 offset:56
	s_wait_dscnt 0x0
	v_fmac_f32_e32 v22, v23, v25
	s_or_b32 exec_lo, exec_lo, s1
	s_and_saveexec_b32 s1, s4
	s_cbranch_execnz .LBB12_257
	s_branch .LBB12_258
.LBB12_1221:                            ;   in Loop: Header=BB12_3 Depth=1
	ds_load_b32 v23, v36 offset:4432
	ds_load_b32 v25, v30 offset:4164
	s_wait_dscnt 0x0
	v_fmac_f32_e32 v22, v23, v25
	s_or_b32 exec_lo, exec_lo, s1
	s_and_saveexec_b32 s1, s20
	s_cbranch_execz .LBB12_346
.LBB12_1222:                            ;   in Loop: Header=BB12_3 Depth=1
	ds_load_b32 v23, v35 offset:4688
	ds_load_b32 v25, v30 offset:4168
	s_wait_dscnt 0x0
	v_fmac_f32_e32 v22, v23, v25
	s_or_b32 exec_lo, exec_lo, s1
	s_and_saveexec_b32 s1, s2
	s_cbranch_execnz .LBB12_347
	s_branch .LBB12_348
.LBB12_1223:                            ;   in Loop: Header=BB12_3 Depth=1
	ds_load_b32 v23, v45 offset:4448
	ds_load_b32 v25, v39 offset:4164
	s_wait_dscnt 0x0
	v_fmac_f32_e32 v22, v23, v25
	s_or_b32 exec_lo, exec_lo, s1
	s_and_saveexec_b32 s1, s22
	s_cbranch_execz .LBB12_388
.LBB12_1224:                            ;   in Loop: Header=BB12_3 Depth=1
	ds_load_b32 v23, v45 offset:4704
	ds_load_b32 v25, v39 offset:4168
	s_wait_dscnt 0x0
	v_fmac_f32_e32 v22, v23, v25
	s_or_b32 exec_lo, exec_lo, s1
	s_and_saveexec_b32 s1, s23
	s_cbranch_execz .LBB12_389
.LBB12_1225:                            ;   in Loop: Header=BB12_3 Depth=1
	ds_load_b32 v23, v45 offset:4960
	ds_load_b32 v25, v39 offset:4172
	s_wait_dscnt 0x0
	v_fmac_f32_e32 v22, v23, v25
	s_or_b32 exec_lo, exec_lo, s1
	s_and_saveexec_b32 s1, s24
	s_cbranch_execz .LBB12_390
.LBB12_1226:                            ;   in Loop: Header=BB12_3 Depth=1
	ds_load_b32 v23, v44 offset:5216
	ds_load_b32 v25, v39 offset:4176
	s_wait_dscnt 0x0
	v_fmac_f32_e32 v22, v23, v25
	s_or_b32 exec_lo, exec_lo, s1
	s_and_saveexec_b32 s1, s25
	s_cbranch_execz .LBB12_391
.LBB12_1227:                            ;   in Loop: Header=BB12_3 Depth=1
	ds_load_b32 v23, v45 offset:5472
	ds_load_b32 v25, v39 offset:4180
	s_wait_dscnt 0x0
	v_fmac_f32_e32 v22, v23, v25
	s_or_b32 exec_lo, exec_lo, s1
	s_and_saveexec_b32 s1, s4
	s_cbranch_execz .LBB12_392
.LBB12_1228:                            ;   in Loop: Header=BB12_3 Depth=1
	ds_load_b32 v23, v44 offset:5728
	ds_load_b32 v25, v39 offset:4184
	s_wait_dscnt 0x0
	v_fmac_f32_e32 v22, v23, v25
	s_or_b32 exec_lo, exec_lo, s1
	s_and_saveexec_b32 s1, s20
	s_cbranch_execnz .LBB12_393
	s_branch .LBB12_394
.LBB12_1229:                            ;   in Loop: Header=BB12_3 Depth=1
	ds_load_b32 v23, v36 offset:6512
	ds_load_b32 v25, v30 offset:6244
	s_wait_dscnt 0x0
	v_fmac_f32_e32 v22, v23, v25
	s_or_b32 exec_lo, exec_lo, s1
	s_and_saveexec_b32 s1, s20
	s_cbranch_execz .LBB12_450
.LBB12_1230:                            ;   in Loop: Header=BB12_3 Depth=1
	ds_load_b32 v23, v35 offset:6768
	ds_load_b32 v25, v30 offset:6248
	s_wait_dscnt 0x0
	v_fmac_f32_e32 v22, v23, v25
	s_or_b32 exec_lo, exec_lo, s1
	s_and_saveexec_b32 s1, s2
	s_cbranch_execnz .LBB12_451
	s_branch .LBB12_452
.LBB12_1231:                            ;   in Loop: Header=BB12_3 Depth=1
	ds_load_b32 v25, v63 offset:7552
	ds_load_b32 v82, v23 offset:116
	s_wait_dscnt 0x0
	v_fmac_f32_e32 v22, v25, v82
	s_or_b32 exec_lo, exec_lo, s1
	s_and_saveexec_b32 s1, s5
	s_cbranch_execz .LBB12_548
.LBB12_1232:                            ;   in Loop: Header=BB12_3 Depth=1
	ds_load_b32 v25, v63 offset:7808
	ds_load_b32 v23, v23 offset:120
	s_wait_dscnt 0x0
	v_fmac_f32_e32 v22, v25, v23
	s_or_b32 exec_lo, exec_lo, s1
	s_and_saveexec_b32 s1, s24
	s_cbranch_execnz .LBB12_549
	s_branch .LBB12_550
.LBB12_1233:                            ;   in Loop: Header=BB12_3 Depth=1
	ds_load_b32 v23, v36 offset:8592
	ds_load_b32 v25, v30 offset:8324
	s_wait_dscnt 0x0
	v_fmac_f32_e32 v22, v23, v25
	s_or_b32 exec_lo, exec_lo, s1
	s_and_saveexec_b32 s1, s20
	s_cbranch_execz .LBB12_702
.LBB12_1234:                            ;   in Loop: Header=BB12_3 Depth=1
	ds_load_b32 v23, v35 offset:8848
	ds_load_b32 v25, v30 offset:8328
	s_wait_dscnt 0x0
	v_fmac_f32_e32 v22, v23, v25
	s_or_b32 exec_lo, exec_lo, s1
	s_and_saveexec_b32 s1, s2
	s_cbranch_execnz .LBB12_703
	s_branch .LBB12_704
.LBB12_1235:                            ;   in Loop: Header=BB12_3 Depth=1
	ds_load_b32 v23, v45 offset:8608
	ds_load_b32 v25, v39 offset:8324
	s_wait_dscnt 0x0
	v_fmac_f32_e32 v22, v23, v25
	s_or_b32 exec_lo, exec_lo, s1
	s_and_saveexec_b32 s1, s22
	s_cbranch_execz .LBB12_744
.LBB12_1236:                            ;   in Loop: Header=BB12_3 Depth=1
	ds_load_b32 v23, v45 offset:8864
	ds_load_b32 v25, v39 offset:8328
	s_wait_dscnt 0x0
	v_fmac_f32_e32 v22, v23, v25
	s_or_b32 exec_lo, exec_lo, s1
	s_and_saveexec_b32 s1, s23
	s_cbranch_execz .LBB12_745
.LBB12_1237:                            ;   in Loop: Header=BB12_3 Depth=1
	ds_load_b32 v23, v45 offset:9120
	ds_load_b32 v25, v39 offset:8332
	s_wait_dscnt 0x0
	v_fmac_f32_e32 v22, v23, v25
	s_or_b32 exec_lo, exec_lo, s1
	s_and_saveexec_b32 s1, s24
	s_cbranch_execz .LBB12_746
.LBB12_1238:                            ;   in Loop: Header=BB12_3 Depth=1
	ds_load_b32 v23, v44 offset:9376
	ds_load_b32 v25, v39 offset:8336
	s_wait_dscnt 0x0
	v_fmac_f32_e32 v22, v23, v25
	s_or_b32 exec_lo, exec_lo, s1
	s_and_saveexec_b32 s1, s25
	s_cbranch_execz .LBB12_747
.LBB12_1239:                            ;   in Loop: Header=BB12_3 Depth=1
	ds_load_b32 v23, v45 offset:9632
	ds_load_b32 v25, v39 offset:8340
	s_wait_dscnt 0x0
	v_fmac_f32_e32 v22, v23, v25
	s_or_b32 exec_lo, exec_lo, s1
	s_and_saveexec_b32 s1, s4
	s_cbranch_execz .LBB12_748
.LBB12_1240:                            ;   in Loop: Header=BB12_3 Depth=1
	ds_load_b32 v23, v44 offset:9888
	ds_load_b32 v25, v39 offset:8344
	s_wait_dscnt 0x0
	v_fmac_f32_e32 v22, v23, v25
	s_or_b32 exec_lo, exec_lo, s1
	s_and_saveexec_b32 s1, s20
	s_cbranch_execnz .LBB12_749
	s_branch .LBB12_750
.LBB12_1241:                            ;   in Loop: Header=BB12_3 Depth=1
	ds_load_b32 v23, v36 offset:10672
	ds_load_b32 v25, v30 offset:10404
	s_wait_dscnt 0x0
	v_fmac_f32_e32 v22, v23, v25
	s_or_b32 exec_lo, exec_lo, s1
	s_and_saveexec_b32 s1, s20
	s_cbranch_execz .LBB12_806
.LBB12_1242:                            ;   in Loop: Header=BB12_3 Depth=1
	ds_load_b32 v23, v35 offset:10928
	ds_load_b32 v25, v30 offset:10408
	s_wait_dscnt 0x0
	v_fmac_f32_e32 v22, v23, v25
	s_or_b32 exec_lo, exec_lo, s1
	s_and_saveexec_b32 s1, s2
	s_cbranch_execnz .LBB12_807
	s_branch .LBB12_808
.LBB12_1243:                            ;   in Loop: Header=BB12_3 Depth=1
	ds_load_b32 v23, v58 offset:11200
	ds_load_b32 v25, v53 offset:8364
	s_wait_dscnt 0x0
	v_fmac_f32_e32 v22, v23, v25
	s_or_b32 exec_lo, exec_lo, s1
	s_and_saveexec_b32 s1, s5
	s_cbranch_execz .LBB12_868
.LBB12_1244:                            ;   in Loop: Header=BB12_3 Depth=1
	ds_load_b32 v23, v57 offset:11456
	ds_load_b32 v25, v53 offset:8368
	s_wait_dscnt 0x0
	v_fmac_f32_e32 v22, v23, v25
	s_or_b32 exec_lo, exec_lo, s1
	s_and_saveexec_b32 s1, s22
	s_cbranch_execz .LBB12_869
.LBB12_1245:                            ;   in Loop: Header=BB12_3 Depth=1
	ds_load_b32 v23, v58 offset:11712
	ds_load_b32 v25, v53 offset:8372
	s_wait_dscnt 0x0
	v_fmac_f32_e32 v22, v23, v25
	s_or_b32 exec_lo, exec_lo, s1
	s_and_saveexec_b32 s1, s24
	s_cbranch_execz .LBB12_870
.LBB12_1246:                            ;   in Loop: Header=BB12_3 Depth=1
	ds_load_b32 v23, v57 offset:11968
	ds_load_b32 v25, v53 offset:8376
	s_wait_dscnt 0x0
	v_fmac_f32_e32 v22, v23, v25
	s_or_b32 exec_lo, exec_lo, s1
	s_and_saveexec_b32 s1, s4
	s_cbranch_execnz .LBB12_871
	s_branch .LBB12_872
.LBB12_1247:                            ;   in Loop: Header=BB12_3 Depth=1
	ds_load_b32 v23, v36 offset:12752
	ds_load_b32 v25, v30 offset:12484
	s_wait_dscnt 0x0
	v_fmac_f32_e32 v22, v23, v25
	s_or_b32 exec_lo, exec_lo, s1
	s_and_saveexec_b32 s1, s20
	s_cbranch_execz .LBB12_960
.LBB12_1248:                            ;   in Loop: Header=BB12_3 Depth=1
	ds_load_b32 v23, v35 offset:13008
	ds_load_b32 v25, v30 offset:12488
	s_wait_dscnt 0x0
	v_fmac_f32_e32 v22, v23, v25
	s_or_b32 exec_lo, exec_lo, s1
	s_and_saveexec_b32 s1, s2
	s_cbranch_execnz .LBB12_961
	s_branch .LBB12_962
.LBB12_1249:                            ;   in Loop: Header=BB12_3 Depth=1
	ds_load_b32 v23, v45 offset:12768
	ds_load_b32 v25, v39 offset:12484
	s_wait_dscnt 0x0
	v_fmac_f32_e32 v22, v23, v25
	s_or_b32 exec_lo, exec_lo, s1
	s_and_saveexec_b32 s1, s22
	s_cbranch_execz .LBB12_1002
.LBB12_1250:                            ;   in Loop: Header=BB12_3 Depth=1
	ds_load_b32 v23, v45 offset:13024
	ds_load_b32 v25, v39 offset:12488
	s_wait_dscnt 0x0
	v_fmac_f32_e32 v22, v23, v25
	s_or_b32 exec_lo, exec_lo, s1
	s_and_saveexec_b32 s1, s23
	s_cbranch_execz .LBB12_1003
.LBB12_1251:                            ;   in Loop: Header=BB12_3 Depth=1
	ds_load_b32 v23, v45 offset:13280
	ds_load_b32 v25, v39 offset:12492
	s_wait_dscnt 0x0
	v_fmac_f32_e32 v22, v23, v25
	s_or_b32 exec_lo, exec_lo, s1
	s_and_saveexec_b32 s1, s24
	s_cbranch_execz .LBB12_1004
.LBB12_1252:                            ;   in Loop: Header=BB12_3 Depth=1
	ds_load_b32 v23, v44 offset:13536
	ds_load_b32 v25, v39 offset:12496
	s_wait_dscnt 0x0
	v_fmac_f32_e32 v22, v23, v25
	s_or_b32 exec_lo, exec_lo, s1
	s_and_saveexec_b32 s1, s25
	s_cbranch_execz .LBB12_1005
.LBB12_1253:                            ;   in Loop: Header=BB12_3 Depth=1
	ds_load_b32 v23, v45 offset:13792
	ds_load_b32 v25, v39 offset:12500
	s_wait_dscnt 0x0
	v_fmac_f32_e32 v22, v23, v25
	s_or_b32 exec_lo, exec_lo, s1
	s_and_saveexec_b32 s1, s4
	s_cbranch_execz .LBB12_1006
.LBB12_1254:                            ;   in Loop: Header=BB12_3 Depth=1
	ds_load_b32 v23, v44 offset:14048
	ds_load_b32 v25, v39 offset:12504
	s_wait_dscnt 0x0
	v_fmac_f32_e32 v22, v23, v25
	s_or_b32 exec_lo, exec_lo, s1
	s_and_saveexec_b32 s1, s20
	s_cbranch_execnz .LBB12_1007
	s_branch .LBB12_1008
.LBB12_1255:                            ;   in Loop: Header=BB12_3 Depth=1
	ds_load_b32 v23, v36 offset:14832
	ds_load_b32 v25, v30 offset:14564
	s_wait_dscnt 0x0
	v_fmac_f32_e32 v22, v23, v25
	s_or_b32 exec_lo, exec_lo, s1
	s_and_saveexec_b32 s1, s20
	s_cbranch_execz .LBB12_1064
.LBB12_1256:                            ;   in Loop: Header=BB12_3 Depth=1
	ds_load_b32 v23, v35 offset:15088
	ds_load_b32 v25, v30 offset:14568
	s_wait_dscnt 0x0
	v_fmac_f32_e32 v22, v23, v25
	s_or_b32 exec_lo, exec_lo, s1
	s_and_saveexec_b32 s1, s2
	s_cbranch_execnz .LBB12_1065
	s_branch .LBB12_1066
.LBB12_1257:
	s_endpgm
	.section	.rodata,"a",@progbits
	.p2align	6, 0x0
	.amdhsa_kernel _ZL19rocblas_trsv_deviceILi64ELi16ELb1ELb1ELb1ELb0EfPKfS1_PfEviT7_lllT6_T8_lllPii
		.amdhsa_group_segment_fixed_size 20740
		.amdhsa_private_segment_fixed_size 0
		.amdhsa_kernarg_size 352
		.amdhsa_user_sgpr_count 2
		.amdhsa_user_sgpr_dispatch_ptr 0
		.amdhsa_user_sgpr_queue_ptr 0
		.amdhsa_user_sgpr_kernarg_segment_ptr 1
		.amdhsa_user_sgpr_dispatch_id 0
		.amdhsa_user_sgpr_kernarg_preload_length 0
		.amdhsa_user_sgpr_kernarg_preload_offset 0
		.amdhsa_user_sgpr_private_segment_size 0
		.amdhsa_wavefront_size32 1
		.amdhsa_uses_dynamic_stack 0
		.amdhsa_enable_private_segment 0
		.amdhsa_system_sgpr_workgroup_id_x 1
		.amdhsa_system_sgpr_workgroup_id_y 0
		.amdhsa_system_sgpr_workgroup_id_z 1
		.amdhsa_system_sgpr_workgroup_info 0
		.amdhsa_system_vgpr_workitem_id 1
		.amdhsa_next_free_vgpr 92
		.amdhsa_next_free_sgpr 105
		.amdhsa_named_barrier_count 0
		.amdhsa_reserve_vcc 1
		.amdhsa_float_round_mode_32 0
		.amdhsa_float_round_mode_16_64 0
		.amdhsa_float_denorm_mode_32 3
		.amdhsa_float_denorm_mode_16_64 3
		.amdhsa_fp16_overflow 0
		.amdhsa_memory_ordered 1
		.amdhsa_forward_progress 1
		.amdhsa_inst_pref_size 255
		.amdhsa_round_robin_scheduling 0
		.amdhsa_exception_fp_ieee_invalid_op 0
		.amdhsa_exception_fp_denorm_src 0
		.amdhsa_exception_fp_ieee_div_zero 0
		.amdhsa_exception_fp_ieee_overflow 0
		.amdhsa_exception_fp_ieee_underflow 0
		.amdhsa_exception_fp_ieee_inexact 0
		.amdhsa_exception_int_div_zero 0
	.end_amdhsa_kernel
	.section	.text._ZL19rocblas_trsv_deviceILi64ELi16ELb1ELb1ELb1ELb0EfPKfS1_PfEviT7_lllT6_T8_lllPii,"axG",@progbits,_ZL19rocblas_trsv_deviceILi64ELi16ELb1ELb1ELb1ELb0EfPKfS1_PfEviT7_lllT6_T8_lllPii,comdat
.Lfunc_end12:
	.size	_ZL19rocblas_trsv_deviceILi64ELi16ELb1ELb1ELb1ELb0EfPKfS1_PfEviT7_lllT6_T8_lllPii, .Lfunc_end12-_ZL19rocblas_trsv_deviceILi64ELi16ELb1ELb1ELb1ELb0EfPKfS1_PfEviT7_lllT6_T8_lllPii
                                        ; -- End function
	.set _ZL19rocblas_trsv_deviceILi64ELi16ELb1ELb1ELb1ELb0EfPKfS1_PfEviT7_lllT6_T8_lllPii.num_vgpr, 92
	.set _ZL19rocblas_trsv_deviceILi64ELi16ELb1ELb1ELb1ELb0EfPKfS1_PfEviT7_lllT6_T8_lllPii.num_agpr, 0
	.set _ZL19rocblas_trsv_deviceILi64ELi16ELb1ELb1ELb1ELb0EfPKfS1_PfEviT7_lllT6_T8_lllPii.numbered_sgpr, 105
	.set _ZL19rocblas_trsv_deviceILi64ELi16ELb1ELb1ELb1ELb0EfPKfS1_PfEviT7_lllT6_T8_lllPii.num_named_barrier, 0
	.set _ZL19rocblas_trsv_deviceILi64ELi16ELb1ELb1ELb1ELb0EfPKfS1_PfEviT7_lllT6_T8_lllPii.private_seg_size, 0
	.set _ZL19rocblas_trsv_deviceILi64ELi16ELb1ELb1ELb1ELb0EfPKfS1_PfEviT7_lllT6_T8_lllPii.uses_vcc, 1
	.set _ZL19rocblas_trsv_deviceILi64ELi16ELb1ELb1ELb1ELb0EfPKfS1_PfEviT7_lllT6_T8_lllPii.uses_flat_scratch, 0
	.set _ZL19rocblas_trsv_deviceILi64ELi16ELb1ELb1ELb1ELb0EfPKfS1_PfEviT7_lllT6_T8_lllPii.has_dyn_sized_stack, 0
	.set _ZL19rocblas_trsv_deviceILi64ELi16ELb1ELb1ELb1ELb0EfPKfS1_PfEviT7_lllT6_T8_lllPii.has_recursion, 0
	.set _ZL19rocblas_trsv_deviceILi64ELi16ELb1ELb1ELb1ELb0EfPKfS1_PfEviT7_lllT6_T8_lllPii.has_indirect_call, 0
	.section	.AMDGPU.csdata,"",@progbits
; Kernel info:
; codeLenInByte = 40080
; TotalNumSgprs: 107
; NumVgprs: 92
; ScratchSize: 0
; MemoryBound: 0
; FloatMode: 240
; IeeeMode: 1
; LDSByteSize: 20740 bytes/workgroup (compile time only)
; SGPRBlocks: 0
; VGPRBlocks: 5
; NumSGPRsForWavesPerEU: 107
; NumVGPRsForWavesPerEU: 92
; NamedBarCnt: 0
; Occupancy: 10
; WaveLimiterHint : 0
; COMPUTE_PGM_RSRC2:SCRATCH_EN: 0
; COMPUTE_PGM_RSRC2:USER_SGPR: 2
; COMPUTE_PGM_RSRC2:TRAP_HANDLER: 0
; COMPUTE_PGM_RSRC2:TGID_X_EN: 1
; COMPUTE_PGM_RSRC2:TGID_Y_EN: 0
; COMPUTE_PGM_RSRC2:TGID_Z_EN: 1
; COMPUTE_PGM_RSRC2:TIDIG_COMP_CNT: 1
	.section	.text._ZL19rocblas_trsv_deviceILi64ELi16ELb0ELb0ELb0ELb1EffPKfPfEviT7_lllT6_T8_lllPii,"axG",@progbits,_ZL19rocblas_trsv_deviceILi64ELi16ELb0ELb0ELb0ELb1EffPKfPfEviT7_lllT6_T8_lllPii,comdat
	.globl	_ZL19rocblas_trsv_deviceILi64ELi16ELb0ELb0ELb0ELb1EffPKfPfEviT7_lllT6_T8_lllPii ; -- Begin function _ZL19rocblas_trsv_deviceILi64ELi16ELb0ELb0ELb0ELb1EffPKfPfEviT7_lllT6_T8_lllPii
	.p2align	8
	.type	_ZL19rocblas_trsv_deviceILi64ELi16ELb0ELb0ELb0ELb1EffPKfPfEviT7_lllT6_T8_lllPii,@function
_ZL19rocblas_trsv_deviceILi64ELi16ELb0ELb0ELb0ELb1EffPKfPfEviT7_lllT6_T8_lllPii: ; @_ZL19rocblas_trsv_deviceILi64ELi16ELb0ELb0ELb0ELb1EffPKfPfEviT7_lllT6_T8_lllPii
; %bb.0:
	s_load_b32 s6, s[0:1], 0x58
	s_bfe_u32 s2, ttmp6, 0x40014
	s_lshr_b32 s3, ttmp7, 16
	s_add_co_i32 s2, s2, 1
	s_bfe_u32 s5, ttmp6, 0x40008
	s_mul_i32 s4, s3, s2
	s_getreg_b32 s2, hwreg(HW_REG_IB_STS2, 6, 4)
	s_add_co_i32 s5, s5, s4
	s_cmp_eq_u32 s2, 0
	s_mov_b32 s81, 0
	s_cselect_b32 s80, s3, s5
                                        ; implicit-def: $vgpr76 : SGPR spill to VGPR lane
	s_wait_kmcnt 0x0
	s_cmp_ge_u32 s80, s6
	v_writelane_b32 v76, s6, 0
	s_cbranch_scc1 .LBB13_1163
; %bb.1:
	s_clause 0x4
	s_load_b256 s[64:71], s[0:1], 0x8
	s_load_b256 s[72:79], s[0:1], 0x30
	s_load_b32 s3, s[0:1], 0x6c
	s_load_b32 s98, s[0:1], 0x60
	s_load_b32 s82, s[0:1], 0x0
	s_bfe_u32 s4, ttmp6, 0x4000c
	s_and_b32 s5, ttmp6, 15
	s_add_co_i32 s4, s4, 1
	v_bfe_u32 v2, v0, 10, 10
	s_mul_i32 s4, ttmp9, s4
	v_and_b32_e32 v4, 0x3ff, v0
	s_add_co_i32 s5, s5, s4
	v_dual_mov_b32 v7, 0 :: v_dual_bitop2_b32 v1, 1, v0 bitop3:0x40
	v_dual_add_nc_u32 v28, 16, v2 :: v_dual_bitop2_b32 v14, 3, v0 bitop3:0x40
	s_delay_alu instid0(VALU_DEP_3) | instskip(SKIP_1) | instid1(VALU_DEP_4)
	v_lshl_add_u32 v66, v2, 6, v4
	v_dual_add_nc_u32 v26, 32, v2 :: v_dual_bitop2_b32 v15, 7, v0 bitop3:0x40
	v_cmp_eq_u32_e32 vcc_lo, 1, v1
	s_wait_kmcnt 0x0
	s_lshl_b64 s[14:15], s[66:67], 2
	s_lshl_b64 s[12:13], s[74:75], 2
	s_cmp_eq_u32 s2, 0
	v_dual_add_nc_u32 v24, 48, v2 :: v_dual_bitop2_b32 v16, 15, v0 bitop3:0x40
	s_cselect_b32 s97, ttmp9, s5
	s_add_co_i32 s2, s82, -1
	s_ashr_i32 s83, s82, 31
	s_ashr_i32 s4, s2, 31
	s_lshr_b32 s5, s83, 26
	s_lshr_b32 s4, s4, 26
	s_add_co_i32 s5, s82, s5
	s_add_co_i32 s98, s98, -1
	s_add_co_i32 s2, s2, s4
	s_and_not1_b32 s5, s5, 63
	s_sub_co_i32 s11, s98, s97
	s_ashr_i32 s2, s2, 6
	s_and_b32 s3, s3, 0xffff
	s_sub_co_i32 s55, s82, s5
	s_cmp_eq_u32 s2, s11
	v_mad_u32_u24 v6, v2, s3, v4
	s_cselect_b32 s2, -1, 0
	s_cmp_lg_u32 s55, 0
	v_cmp_ne_u32_e64 s7, 15, v16
	s_cselect_b32 s4, -1, 0
	v_cmp_gt_u32_e64 s8, 14, v16
	s_and_b32 s20, s4, s2
	s_add_nc_u64 s[4:5], s[68:69], 1
	s_xor_b32 s99, s20, -1
	s_cmp_lg_u32 s97, 0
	v_cmp_gt_u32_e64 s2, 4, v66
	s_cselect_b32 s6, -1, 0
	s_lshl_b32 s18, s11, 6
	v_writelane_b32 v76, s6, 1
	s_ashr_i32 s19, s18, 31
	s_cmp_gt_i32 s97, 4
	s_mul_u64 s[16:17], s[4:5], s[18:19]
	v_cmp_eq_u32_e64 s4, 0, v1
	s_cselect_b32 s3, -1, 0
	v_cmp_eq_u32_e64 s5, 3, v14
	s_and_b32 s101, s3, s99
	v_cmp_gt_u32_e64 s3, 16, v66
	v_cmp_eq_u32_e64 s6, 2, v14
	s_and_b32 s103, s4, s2
	v_cmp_gt_u32_e64 s4, 2, v14
	s_and_b32 s102, vcc_lo, s2
	v_cmp_ne_u32_e32 vcc_lo, 3, v14
	s_and_b32 s104, s5, s3
	s_and_b32 s31, s6, s3
	s_and_b32 s33, s4, s3
	v_cmp_eq_u32_e64 s5, 0, v14
	v_cmp_gt_u32_e64 s4, 64, v66
	v_cmp_eq_u32_e64 s6, 7, v15
	s_and_b32 vcc_hi, vcc_lo, s3
	v_cmp_eq_u32_e32 vcc_lo, 1, v14
	s_and_b32 s35, s5, s3
	v_cmp_eq_u32_e64 s5, 6, v15
	s_and_b32 s36, s6, s4
	v_cmp_gt_u32_e64 s6, 6, v15
	s_and_b32 s34, vcc_lo, s3
	v_cmp_ne_u32_e32 vcc_lo, 7, v15
	s_and_b32 s38, s5, s4
	v_cmp_gt_u32_e64 s5, 5, v15
	s_and_b32 s39, s6, s4
	v_cmp_eq_u32_e64 s6, 4, v15
	s_and_b32 s37, vcc_lo, s4
	v_cmp_eq_u32_e32 vcc_lo, 5, v15
	s_and_b32 s41, s5, s4
	v_cmp_eq_u32_e64 s5, 3, v15
	s_and_b32 s42, s6, s4
	v_cmp_gt_u32_e64 s6, 3, v15
	s_and_b32 s40, vcc_lo, s4
	v_cmp_gt_u32_e32 vcc_lo, 4, v15
	s_and_b32 s44, s5, s4
	v_cmp_gt_u32_e64 s5, 2, v15
	s_and_b32 s45, s6, s4
	v_cmp_eq_u32_e64 s6, 1, v15
	s_and_b32 s43, vcc_lo, s4
	v_cmp_eq_u32_e32 vcc_lo, 2, v15
	s_and_b32 s47, s5, s4
	v_cmp_gt_u32_e64 s5, 0x100, v66
	s_and_b32 s48, s6, s4
	v_cmp_eq_u32_e64 s6, 15, v16
	s_and_b32 s46, vcc_lo, s4
	v_cmp_eq_u32_e32 vcc_lo, 0, v15
	v_dual_add_nc_u32 v3, s18, v2 :: v_dual_add_nc_u32 v8, s18, v4
	s_and_b32 s6, s6, s5
	v_and_b32_e32 v17, 31, v0
	v_writelane_b32 v76, s6, 2
	s_and_b32 s49, vcc_lo, s4
	v_cmp_eq_u32_e32 vcc_lo, 14, v16
	s_and_b32 s6, s7, s5
	v_add_nc_u32_e32 v18, 64, v3
	v_writelane_b32 v76, s6, 3
	v_cmp_eq_u32_e64 s6, 13, v16
	s_and_b32 s7, vcc_lo, s5
	v_cmp_gt_u32_e32 vcc_lo, 13, v16
	v_cmp_gt_u32_e64 s10, 30, v17
	v_writelane_b32 v76, s7, 4
	s_and_b32 s7, s8, s5
	s_and_b32 s6, s6, s5
	s_and_b32 s9, vcc_lo, s5
	v_cmp_eq_u32_e64 s8, 11, v16
	v_writelane_b32 v76, s7, 5
	v_cmp_eq_u32_e64 s7, 12, v16
	v_cmp_gt_u32_e32 vcc_lo, 11, v16
	v_add_nc_u64_e32 v[12:13], s[18:19], v[6:7]
                                        ; implicit-def: $vgpr75 : SGPR spill to VGPR lane
                                        ; implicit-def: $vgpr74 : SGPR spill to VGPR lane
	s_clause 0x1
	s_load_b32 s22, s[0:1], 0x28
	s_load_b64 s[66:67], s[0:1], 0x50
	v_writelane_b32 v76, s6, 6
	v_cmp_gt_u32_e64 s6, 12, v16
	s_and_b32 s7, s7, s5
	v_dual_ashrrev_i32 v19, 31, v18 :: v_dual_lshrrev_b32 v20, 10, v0
	v_writelane_b32 v76, s9, 7
	s_and_b32 s6, s6, s5
	v_cmp_eq_u32_e64 s9, 30, v17
	v_dual_lshrrev_b32 v5, 1, v66 :: v_dual_ashrrev_i32 v9, 31, v8
	v_writelane_b32 v76, s7, 8
	v_cmp_gt_u32_e64 s7, 10, v16
	v_mul_u64_e32 v[10:11], s[68:69], v[18:19]
	s_delay_alu instid0(VALU_DEP_4)
	v_lshlrev_b32_e32 v19, 8, v5
	v_bitop3_b32 v67, v0, v20, 0x3ff bitop3:0xa8
	v_writelane_b32 v76, s6, 9
	s_and_b32 s6, s8, s5
	s_and_b32 s8, vcc_lo, s5
	s_and_b32 s57, s7, s5
	v_cmp_eq_u32_e64 s7, 7, v16
	v_writelane_b32 v76, s6, 10
	v_cmp_eq_u32_e64 s6, 10, v16
	v_cmp_eq_u32_e32 vcc_lo, 9, v16
	v_lshlrev_b32_e32 v0, 6, v66
	s_and_b32 s62, s7, s5
	v_writelane_b32 v76, s8, 11
	s_and_b32 s30, s6, s5
	v_cmp_eq_u32_e64 s6, 8, v16
	v_cmp_gt_u32_e64 s8, 9, v16
	v_cmp_gt_u32_e64 s7, 5, v16
	s_and_b32 s26, vcc_lo, s5
	v_cmp_gt_u32_e32 vcc_lo, 8, v16
	s_and_b32 s60, s6, s5
	v_cmp_gt_u32_e64 s6, 7, v16
	s_and_b32 s28, s8, s5
	v_cmp_eq_u32_e64 s8, 6, v16
	s_and_b32 s27, s7, s5
	v_cmp_eq_u32_e64 s7, 2, v16
	;; [unrolled: 2-line block ×3, first 2 shown]
	s_and_b32 s21, s8, s5
	v_cmp_gt_u32_e64 s8, 4, v16
	s_and_b32 s61, vcc_lo, s5
	v_cmp_gt_u32_e32 vcc_lo, 6, v16
	s_and_b32 s25, s6, s5
	v_cmp_eq_u32_e64 s6, 3, v16
	s_and_b32 s100, s8, s5
	v_cmp_eq_u32_e64 s8, 1, v16
	;; [unrolled: 2-line block ×3, first 2 shown]
	s_and_b32 s96, s6, s5
	v_cmp_gt_u32_e64 s6, 2, v16
	s_and_b32 s23, vcc_lo, s5
	v_cmp_eq_u32_e32 vcc_lo, 4, v16
	s_and_b32 s53, s8, s5
	v_cmp_ne_u32_e64 s8, 31, v17
	s_and_b32 s52, s6, s5
	v_cmp_gt_u32_e64 s6, 0x400, v66
	s_and_b32 s29, vcc_lo, s5
	v_cmp_gt_u32_e32 vcc_lo, 3, v16
	v_dual_sub_nc_u32 v30, 0, v19 :: v_dual_lshlrev_b32 v31, 2, v1
	s_and_b32 s7, s7, s6
	v_dual_lshlrev_b32 v32, 2, v4 :: v_dual_lshrrev_b32 v20, 3, v66
	v_writelane_b32 v76, s7, 12
	s_and_b32 s7, s8, s6
	s_and_b32 s50, vcc_lo, s5
	v_cmp_eq_u32_e32 vcc_lo, 0, v16
	v_cmp_eq_u32_e64 s8, 28, v17
	v_writelane_b32 v76, s7, 13
	s_and_b32 s7, s9, s6
	v_cmp_gt_u32_e64 s9, 28, v17
	s_and_b32 s54, vcc_lo, s5
	v_cmp_eq_u32_e32 vcc_lo, 29, v17
	v_writelane_b32 v76, s7, 14
	s_and_b32 s7, s10, s6
	v_cmp_eq_u32_e64 s10, 27, v17
	v_and_b32_e32 v1, 0x1fffc, v66
	s_and_b32 s18, vcc_lo, s6
	v_writelane_b32 v76, s7, 15
	v_cmp_gt_u32_e64 s7, 29, v17
	v_cmp_gt_u32_e32 vcc_lo, 27, v17
	v_and_b32_e32 v0, 0x7fff00, v0
	v_dual_lshlrev_b32 v33, 2, v14 :: v_dual_sub_nc_u32 v34, v31, v19
	v_writelane_b32 v76, s18, 16
	s_and_b32 s7, s7, s6
	v_dual_mov_b32 v60, 1.0 :: v_dual_add_nc_u32 v35, 0x4000, v1
	s_delay_alu instid0(VALU_DEP_3)
	v_dual_sub_nc_u32 v36, 0, v0 :: v_dual_sub_nc_u32 v37, v33, v0
	v_writelane_b32 v76, s7, 17
	s_and_b32 s7, s8, s6
	v_dual_lshlrev_b32 v1, 8, v20 :: v_dual_lshlrev_b32 v38, 2, v15
	v_lshrrev_b32_e32 v0, 4, v66
	v_writelane_b32 v76, s7, 18
	s_and_b32 s7, s9, s6
	s_delay_alu instid0(VALU_DEP_3)
	v_dual_lshrrev_b32 v14, 5, v66 :: v_dual_sub_nc_u32 v41, v38, v1
	v_sub_nc_u32_e32 v40, 0, v1
	v_writelane_b32 v76, s7, 19
	s_and_b32 s7, s10, s6
	v_lshlrev_b32_e32 v1, 8, v0
	v_lshl_add_u32 v43, v0, 2, 0x4000
	v_lshlrev_b32_e32 v0, 8, v14
	v_writelane_b32 v76, s7, 20
	s_and_b32 s7, vcc_lo, s6
	v_cmp_eq_u32_e32 vcc_lo, 26, v17
	v_lshl_add_u32 v47, v14, 2, 0x4000
	v_add_nc_u32_e32 v14, 0x50, v3
	v_writelane_b32 v76, s7, 21
	v_add_nc_u32_e32 v15, 0x60, v3
	s_and_b32 s7, vcc_lo, s6
	v_cmp_gt_u32_e32 vcc_lo, 26, v17
                                        ; implicit-def: $vgpr73 : SGPR spill to VGPR lane
	v_dual_lshlrev_b32 v42, 2, v16 :: v_dual_lshlrev_b32 v44, 2, v17
	v_writelane_b32 v76, s7, 22
	v_dual_mov_b32 v27, v7 :: v_dual_bitop2_b32 v68, v28, v4 bitop3:0x54
	s_and_b32 s7, vcc_lo, s6
	v_cmp_eq_u32_e32 vcc_lo, 25, v17
	v_writelane_b32 v76, s7, 23
	v_lshl_add_u32 v39, v20, 2, 0x4000
	v_dual_sub_nc_u32 v45, 0, v1 :: v_dual_sub_nc_u32 v46, v42, v1
	s_and_b32 s7, vcc_lo, s6
	v_cmp_gt_u32_e32 vcc_lo, 25, v17
	v_writelane_b32 v76, s7, 24
	v_dual_sub_nc_u32 v48, 0, v0 :: v_dual_sub_nc_u32 v49, v44, v0
	v_mul_u64_e32 v[0:1], s[76:77], v[8:9]
	s_and_b32 s7, vcc_lo, s6
	v_cmp_eq_u32_e32 vcc_lo, 24, v17
	v_writelane_b32 v76, s7, 25
	v_mul_u64_e32 v[12:13], s[76:77], v[12:13]
	v_lshl_add_u32 v51, v2, 2, 0x5000
                                        ; implicit-def: $vgpr72 : SGPR spill to VGPR lane
	s_add_nc_u64 s[74:75], s[64:65], s[14:15]
	s_and_b32 s7, vcc_lo, s6
	v_cmp_gt_u32_e32 vcc_lo, 24, v17
	v_writelane_b32 v76, s7, 26
	s_add_nc_u64 s[72:73], s[72:73], s[12:13]
	v_lshl_add_u32 v5, v5, 2, 0x4000
	v_lshl_add_u32 v50, v6, 2, 0x5000
	s_and_b32 s7, vcc_lo, s6
	v_cmp_eq_u32_e32 vcc_lo, 23, v17
	v_writelane_b32 v76, s7, 27
	v_lshl_add_u32 v52, v66, 2, 0x4000
	v_or_b32_e32 v53, 0x4000, v32
	v_lshl_add_u32 v54, v2, 8, v32
	s_and_b32 s7, vcc_lo, s6
	v_cmp_gt_u32_e32 vcc_lo, 23, v17
	v_writelane_b32 v76, s7, 28
	v_add_nc_u32_e32 v55, v51, v32
	v_lshl_add_u32 v56, v26, 8, v32
	v_lshl_add_u32 v57, v24, 8, v32
	s_and_b32 s7, vcc_lo, s6
	v_cmp_eq_u32_e32 vcc_lo, 22, v17
	v_writelane_b32 v76, s7, 29
	v_dual_mov_b32 v23, v7 :: v_dual_add_nc_u32 v58, 0x3c00, v32
	v_subrev_nc_u32_e32 v59, 63, v4
	s_and_b32 s7, vcc_lo, s6
	v_cmp_gt_u32_e32 vcc_lo, 22, v17
	v_writelane_b32 v76, s7, 30
	v_add_nc_u32_e64 v61, 0x3c00, 0
	v_cmp_gt_u32_e64 s12, 2, v66
	v_cmp_gt_u32_e64 s13, 12, v66
	s_and_b32 s7, vcc_lo, s6
	v_cmp_eq_u32_e32 vcc_lo, 21, v17
	v_writelane_b32 v76, s7, 31
	v_cmp_gt_u32_e64 s14, 8, v66
	v_cmp_gt_u32_e64 s15, 56, v66
	s_mul_u64 s[90:91], s[68:69], 0xc0
	s_and_b32 s7, vcc_lo, s6
	v_cmp_gt_u32_e32 vcc_lo, 21, v17
	v_writelane_b32 v75, s7, 0
                                        ; implicit-def: $vgpr62
                                        ; implicit-def: $vgpr63
                                        ; implicit-def: $vgpr64
                                        ; implicit-def: $vgpr65
	v_dual_mov_b32 v29, v7 :: v_dual_lshlrev_b32 v22, 2, v4
	v_mov_b32_e32 v25, v7
	s_and_b32 s7, vcc_lo, s6
	v_cmp_eq_u32_e32 vcc_lo, 20, v17
	v_writelane_b32 v75, s7, 1
	s_delay_alu instid0(VALU_DEP_3)
	v_mul_u64_e32 v[20:21], s[68:69], v[24:25]
	s_and_b32 s7, vcc_lo, s6
	v_cmp_gt_u32_e32 vcc_lo, 20, v17
	v_writelane_b32 v75, s7, 2
	s_and_b32 s7, vcc_lo, s6
	v_cmp_eq_u32_e32 vcc_lo, 19, v17
	v_writelane_b32 v75, s7, 3
	s_and_b32 s7, vcc_lo, s6
	v_cmp_gt_u32_e32 vcc_lo, 19, v17
	v_writelane_b32 v75, s7, 4
	s_and_b32 s7, vcc_lo, s6
	v_cmp_eq_u32_e32 vcc_lo, 18, v17
	v_writelane_b32 v75, s7, 5
	s_and_b32 s7, vcc_lo, s6
	v_cmp_gt_u32_e32 vcc_lo, 18, v17
	v_writelane_b32 v75, s7, 6
	s_and_b32 s7, vcc_lo, s6
	v_cmp_eq_u32_e32 vcc_lo, 17, v17
	v_writelane_b32 v75, s7, 7
	s_and_b32 s7, vcc_lo, s6
	v_cmp_gt_u32_e32 vcc_lo, 17, v17
	v_writelane_b32 v75, s7, 8
	s_and_b32 s7, vcc_lo, s6
	v_cmp_eq_u32_e32 vcc_lo, 16, v17
	v_writelane_b32 v75, s7, 9
	s_and_b32 s7, vcc_lo, s6
	v_cmp_gt_u32_e32 vcc_lo, 16, v17
	v_writelane_b32 v75, s7, 10
	s_and_b32 s7, vcc_lo, s6
	v_cmp_eq_u32_e32 vcc_lo, 15, v17
	v_writelane_b32 v75, s7, 11
	s_and_b32 s7, vcc_lo, s6
	v_cmp_gt_u32_e32 vcc_lo, 15, v17
	v_writelane_b32 v75, s7, 12
	s_and_b32 s7, vcc_lo, s6
	v_cmp_eq_u32_e32 vcc_lo, 14, v17
	v_writelane_b32 v75, s7, 13
	s_and_b32 s7, vcc_lo, s6
	v_cmp_gt_u32_e32 vcc_lo, 14, v17
	v_writelane_b32 v75, s7, 14
	s_and_b32 s7, vcc_lo, s6
	v_cmp_eq_u32_e32 vcc_lo, 13, v17
	v_writelane_b32 v75, s7, 15
	s_and_b32 s7, vcc_lo, s6
	v_cmp_gt_u32_e32 vcc_lo, 13, v17
	v_writelane_b32 v75, s7, 16
	s_and_b32 s7, vcc_lo, s6
	v_cmp_eq_u32_e32 vcc_lo, 12, v17
	v_writelane_b32 v75, s7, 17
	s_and_b32 s7, vcc_lo, s6
	v_cmp_gt_u32_e32 vcc_lo, 12, v17
	v_writelane_b32 v75, s7, 18
	s_and_b32 s7, vcc_lo, s6
	v_cmp_eq_u32_e32 vcc_lo, 11, v17
	v_writelane_b32 v75, s7, 19
	s_and_b32 s7, vcc_lo, s6
	v_cmp_gt_u32_e32 vcc_lo, 11, v17
	v_writelane_b32 v75, s7, 20
	s_and_b32 s7, vcc_lo, s6
	v_cmp_eq_u32_e32 vcc_lo, 10, v17
	v_writelane_b32 v75, s7, 21
	s_and_b32 s7, vcc_lo, s6
	v_cmp_gt_u32_e32 vcc_lo, 10, v17
	v_writelane_b32 v75, s7, 22
	s_and_b32 s7, vcc_lo, s6
	v_cmp_eq_u32_e32 vcc_lo, 9, v17
	v_writelane_b32 v75, s7, 23
	s_and_b32 s7, vcc_lo, s6
	v_cmp_gt_u32_e32 vcc_lo, 9, v17
	v_writelane_b32 v75, s7, 24
	s_and_b32 s7, vcc_lo, s6
	v_cmp_eq_u32_e32 vcc_lo, 8, v17
	v_writelane_b32 v75, s7, 25
	s_and_b32 s7, vcc_lo, s6
	v_cmp_gt_u32_e32 vcc_lo, 8, v17
	v_writelane_b32 v75, s7, 26
	s_and_b32 s7, vcc_lo, s6
	v_cmp_eq_u32_e32 vcc_lo, 7, v17
	v_writelane_b32 v75, s7, 27
	s_and_b32 s7, vcc_lo, s6
	v_cmp_gt_u32_e32 vcc_lo, 7, v17
	v_writelane_b32 v75, s7, 28
	s_and_b32 s7, vcc_lo, s6
	v_cmp_eq_u32_e32 vcc_lo, 6, v17
	v_writelane_b32 v75, s7, 29
	s_and_b32 s7, vcc_lo, s6
	v_cmp_gt_u32_e32 vcc_lo, 6, v17
	v_writelane_b32 v75, s7, 30
	s_and_b32 s7, vcc_lo, s6
	v_cmp_eq_u32_e32 vcc_lo, 5, v17
	v_writelane_b32 v75, s7, 31
	s_and_b32 s7, vcc_lo, s6
	v_cmp_gt_u32_e32 vcc_lo, 5, v17
	v_writelane_b32 v74, s7, 0
	s_and_b32 s7, vcc_lo, s6
	v_cmp_eq_u32_e32 vcc_lo, 4, v17
	v_writelane_b32 v74, s7, 1
	s_and_b32 s7, vcc_lo, s6
	v_cmp_gt_u32_e32 vcc_lo, 4, v17
	v_writelane_b32 v74, s7, 2
	s_and_b32 s7, vcc_lo, s6
	v_cmp_eq_u32_e32 vcc_lo, 3, v17
	v_writelane_b32 v74, s7, 3
	s_and_b32 s7, vcc_lo, s6
	v_cmp_gt_u32_e32 vcc_lo, 3, v17
	v_writelane_b32 v74, s7, 4
	s_and_b32 s7, vcc_lo, s6
	v_cmp_eq_u32_e32 vcc_lo, 2, v17
	v_writelane_b32 v74, s7, 5
	s_and_b32 s7, vcc_lo, s6
	v_cmp_gt_u32_e32 vcc_lo, 2, v17
	v_writelane_b32 v74, s7, 6
	s_and_b32 s7, vcc_lo, s6
	v_cmp_eq_u32_e32 vcc_lo, 1, v17
	v_writelane_b32 v74, s7, 7
	s_and_b32 s7, vcc_lo, s6
	v_cmp_eq_u32_e32 vcc_lo, 0, v17
	v_writelane_b32 v74, s7, 8
	v_cmp_eq_u32_e64 s7, 0, v2
	v_mul_u64_e32 v[16:17], s[68:69], v[28:29]
	v_or_b32_e32 v29, v26, v4
	s_and_b32 s10, vcc_lo, s6
	v_cmp_le_i32_e32 vcc_lo, s55, v4
	s_and_b32 s8, vcc_lo, s20
	s_delay_alu instid0(SALU_CYCLE_1) | instskip(SKIP_1) | instid1(SALU_CYCLE_1)
	v_writelane_b32 v74, s8, 9
	s_xor_b32 s8, s8, -1
	s_and_b32 s9, s7, s8
	v_cmp_le_i32_e64 s8, s55, v2
	s_cmp_gt_i32 s97, 0
	s_wait_kmcnt 0x0
	v_writelane_b32 v74, s22, 10
	s_cselect_b32 s20, -1, 0
	s_add_co_i32 s64, s11, 1
	s_or_b32 s18, s8, vcc_lo
	v_cmp_le_i32_e64 s8, s55, v28
	s_lshl_b64 s[84:85], s[16:17], 2
	v_cmp_eq_u32_e64 s11, 0, v67
	v_cmp_gt_u32_e64 s16, 48, v66
	v_cmp_gt_u32_e64 s17, 40, v66
	s_or_b32 s19, s8, vcc_lo
	v_cmp_le_i32_e64 s8, s55, v26
	s_lshl_b64 s[86:87], s[68:69], 6
	s_lshl_b64 s[88:89], s[68:69], 7
	s_or_b32 s56, s8, vcc_lo
	v_cmp_le_i32_e64 s8, s55, v24
	s_or_b32 s8, s8, vcc_lo
	v_cmp_gt_i32_e32 vcc_lo, s55, v4
	v_cmp_eq_u32_e64 s55, 0, v6
	s_and_b32 s0, s7, vcc_lo
	v_cmp_gt_i32_e32 vcc_lo, s82, v18
	v_writelane_b32 v74, s0, 11
	v_cmp_gt_i32_e64 s0, s82, v8
	v_mul_u64_e32 v[18:19], s[68:69], v[26:27]
	v_or_b32_e32 v27, v24, v4
	s_and_b32 s1, s0, vcc_lo
	v_cmp_gt_i32_e32 vcc_lo, s82, v14
	v_writelane_b32 v74, s1, 12
	v_dual_mov_b32 v3, v7 :: v_dual_add_nc_u32 v14, 0x70, v3
	s_and_b32 s1, s0, vcc_lo
	v_cmp_gt_i32_e32 vcc_lo, s82, v15
	v_writelane_b32 v74, s1, 13
	s_and_b32 s1, s0, vcc_lo
	v_cmp_gt_i32_e32 vcc_lo, s82, v14
	v_writelane_b32 v74, s1, 14
	v_mul_u64_e32 v[14:15], s[68:69], v[2:3]
	v_lshl_add_u32 v3, v28, 8, v32
	s_and_b32 s1, s0, vcc_lo
	s_delay_alu instid0(SALU_CYCLE_1) | instskip(SKIP_1) | instid1(VALU_DEP_1)
	v_writelane_b32 v74, s1, 15
	v_cmp_le_u32_e64 s1, v2, v4
	v_writelane_b32 v74, s1, 16
	s_or_b32 s1, s18, s1
	v_cmp_gt_u32_e64 s18, 32, v66
	v_writelane_b32 v74, s1, 17
	v_cmp_le_u32_e64 s1, v28, v4
	s_delay_alu instid0(VALU_DEP_1) | instskip(SKIP_4) | instid1(VALU_DEP_1)
	v_writelane_b32 v74, s1, 18
	s_or_b32 s1, s19, s1
	v_cmp_gt_u32_e64 s19, 24, v66
	v_writelane_b32 v74, s1, 19
	v_cmp_le_u32_e64 s1, v26, v4
	v_writelane_b32 v74, s1, 20
	s_or_b32 s1, s56, s1
	v_cmp_gt_u32_e64 s56, 64, v6
	v_writelane_b32 v74, s1, 21
	v_cmp_le_u32_e64 s1, v24, v4
	s_delay_alu instid0(VALU_DEP_1) | instskip(SKIP_1) | instid1(SALU_CYCLE_1)
	v_writelane_b32 v74, s1, 22
	s_or_b32 s1, s8, s1
	v_writelane_b32 v74, s1, 23
	v_cmp_gt_u32_e64 s1, 0xf0, v66
	s_delay_alu instid0(VALU_DEP_1) | instskip(SKIP_1) | instid1(VALU_DEP_1)
	v_writelane_b32 v74, s1, 24
	v_cmp_gt_u32_e64 s1, 0xe0, v66
	v_writelane_b32 v74, s1, 25
	v_cmp_gt_u32_e64 s1, 0xd0, v66
	s_delay_alu instid0(VALU_DEP_1) | instskip(SKIP_1) | instid1(VALU_DEP_1)
	v_writelane_b32 v74, s1, 26
	v_cmp_gt_u32_e64 s1, 0xc0, v66
	;; [unrolled: 5-line block ×17, first 2 shown]
	v_writelane_b32 v73, s1, 25
	v_cmp_le_u32_e64 s1, v4, v2
	s_delay_alu instid0(VALU_DEP_1) | instskip(SKIP_1) | instid1(VALU_DEP_1)
	v_writelane_b32 v73, s1, 26
	v_cmp_le_u32_e64 s1, v4, v28
	v_writelane_b32 v73, s1, 27
	v_cmp_le_u32_e64 s1, v4, v26
	s_delay_alu instid0(VALU_DEP_1) | instskip(SKIP_1) | instid1(VALU_DEP_1)
	v_writelane_b32 v73, s1, 28
	v_cmp_le_u32_e64 s1, v4, v24
	v_writelane_b32 v73, s1, 29
	v_cmp_gt_u32_e64 s1, 64, v67
	s_delay_alu instid0(VALU_DEP_1) | instskip(SKIP_1) | instid1(VALU_DEP_1)
	v_writelane_b32 v73, s1, 30
	v_cmp_gt_u32_e64 s1, 64, v68
	v_writelane_b32 v73, s1, 31
	v_cmp_gt_u32_e64 s1, 64, v29
	s_delay_alu instid0(VALU_DEP_1) | instskip(SKIP_1) | instid1(VALU_DEP_1)
	v_writelane_b32 v72, s1, 0
	v_cmp_gt_u32_e64 s1, 64, v27
	v_writelane_b32 v72, s1, 1
	s_branch .LBB13_3
.LBB13_2:                               ;   in Loop: Header=BB13_3 Depth=1
	s_wait_xcnt 0x0
	s_or_b32 exec_lo, exec_lo, s1
	v_readlane_b32 s1, v76, 0
	s_add_co_i32 s80, s80, 0x10000
	global_wb scope:SCOPE_DEV
	s_wait_storecnt 0x0
	global_inv scope:SCOPE_DEV
	s_cmp_lt_u32 s80, s1
	s_cbranch_scc0 .LBB13_1163
.LBB13_3:                               ; =>This Loop Header: Depth=1
                                        ;     Child Loop BB13_1043 Depth 2
                                        ;       Child Loop BB13_1045 Depth 3
                                        ;     Child Loop BB13_1083 Depth 2
	v_readlane_b32 s1, v76, 1
	s_mul_u64 s[92:93], s[70:71], s[80:81]
	s_delay_alu instid0(SALU_CYCLE_1) | instskip(NEXT) | instid1(SALU_CYCLE_1)
	s_lshl_b64 s[92:93], s[92:93], 2
	s_add_nc_u64 s[92:93], s[74:75], s[92:93]
	s_and_not1_b32 vcc_lo, exec_lo, s1
	s_cbranch_vccnz .LBB13_13
; %bb.4:                                ;   in Loop: Header=BB13_3 Depth=1
	v_lshl_add_u64 v[24:25], v[10:11], 2, s[92:93]
	v_dual_mov_b32 v63, 0 :: v_dual_mov_b32 v62, 0
	s_barrier_signal -1
	s_delay_alu instid0(VALU_DEP_2) | instskip(SKIP_4) | instid1(SALU_CYCLE_1)
	v_lshl_add_u64 v[24:25], v[8:9], 2, v[24:25]
	s_barrier_wait -1
	s_mov_b32 s1, exec_lo
	v_readlane_b32 s8, v74, 12
	s_and_b32 s8, s1, s8
	s_mov_b32 exec_lo, s8
	s_cbranch_execz .LBB13_6
; %bb.5:                                ;   in Loop: Header=BB13_3 Depth=1
	global_load_b32 v62, v[24:25], off
.LBB13_6:                               ;   in Loop: Header=BB13_3 Depth=1
	s_wait_xcnt 0x0
	s_or_b32 exec_lo, exec_lo, s1
	s_wait_loadcnt 0x0
	s_barrier_signal -1
	s_barrier_wait -1
	s_mov_b32 s1, exec_lo
	v_readlane_b32 s8, v74, 13
	s_and_b32 s8, s1, s8
	s_delay_alu instid0(SALU_CYCLE_1)
	s_mov_b32 exec_lo, s8
	s_cbranch_execz .LBB13_8
; %bb.7:                                ;   in Loop: Header=BB13_3 Depth=1
	v_add_nc_u64_e32 v[26:27], s[86:87], v[24:25]
	global_load_b32 v63, v[26:27], off
.LBB13_8:                               ;   in Loop: Header=BB13_3 Depth=1
	s_wait_xcnt 0x0
	s_or_b32 exec_lo, exec_lo, s1
	v_dual_mov_b32 v65, 0 :: v_dual_mov_b32 v64, 0
	s_wait_loadcnt 0x0
	s_barrier_signal -1
	s_barrier_wait -1
	s_mov_b32 s1, exec_lo
	v_readlane_b32 s8, v74, 14
	s_and_b32 s8, s1, s8
	s_delay_alu instid0(SALU_CYCLE_1)
	s_mov_b32 exec_lo, s8
	s_cbranch_execz .LBB13_10
; %bb.9:                                ;   in Loop: Header=BB13_3 Depth=1
	v_add_nc_u64_e32 v[26:27], s[88:89], v[24:25]
	global_load_b32 v64, v[26:27], off
.LBB13_10:                              ;   in Loop: Header=BB13_3 Depth=1
	s_wait_xcnt 0x0
	s_or_b32 exec_lo, exec_lo, s1
	s_wait_loadcnt 0x0
	s_barrier_signal -1
	s_barrier_wait -1
	s_mov_b32 s1, exec_lo
	v_readlane_b32 s8, v74, 15
	s_and_b32 s8, s1, s8
	s_delay_alu instid0(SALU_CYCLE_1)
	s_mov_b32 exec_lo, s8
	s_cbranch_execz .LBB13_12
; %bb.11:                               ;   in Loop: Header=BB13_3 Depth=1
	v_add_nc_u64_e32 v[24:25], s[90:91], v[24:25]
	global_load_b32 v65, v[24:25], off
.LBB13_12:                              ;   in Loop: Header=BB13_3 Depth=1
	s_wait_xcnt 0x0
	s_or_b32 exec_lo, exec_lo, s1
.LBB13_13:                              ;   in Loop: Header=BB13_3 Depth=1
	s_add_nc_u64 s[94:95], s[92:93], s[84:85]
	s_and_not1_b32 vcc_lo, exec_lo, s99
	v_add_nc_u64_e32 v[24:25], s[94:95], v[22:23]
	s_mov_b32 s1, -1
	s_cbranch_vccnz .LBB13_37
; %bb.14:                               ;   in Loop: Header=BB13_3 Depth=1
	s_mov_b32 s1, 0
	s_mov_b32 s8, exec_lo
	v_readlane_b32 s22, v74, 16
	s_and_b32 s22, s8, s22
	s_delay_alu instid0(SALU_CYCLE_1)
	s_xor_b32 s8, s22, s8
	s_mov_b32 exec_lo, s22
	s_cbranch_execnz .LBB13_1105
; %bb.15:                               ;   in Loop: Header=BB13_3 Depth=1
	s_or_saveexec_b32 s8, s8
	v_mov_b32_e32 v26, 0
	s_xor_b32 exec_lo, exec_lo, s8
	s_cbranch_execnz .LBB13_1106
.LBB13_16:                              ;   in Loop: Header=BB13_3 Depth=1
	s_or_b32 exec_lo, exec_lo, s8
	s_and_saveexec_b32 s8, s1
.LBB13_17:                              ;   in Loop: Header=BB13_3 Depth=1
	ds_store_b32 v54, v26
.LBB13_18:                              ;   in Loop: Header=BB13_3 Depth=1
	s_or_b32 exec_lo, exec_lo, s8
	s_delay_alu instid0(SALU_CYCLE_1) | instskip(SKIP_2) | instid1(SALU_CYCLE_1)
	s_mov_b32 s1, exec_lo
	v_readlane_b32 s8, v74, 18
	s_and_b32 s8, s1, s8
	s_xor_b32 s1, s8, s1
	s_mov_b32 exec_lo, s8
	s_cbranch_execz .LBB13_22
; %bb.19:                               ;   in Loop: Header=BB13_3 Depth=1
	s_mov_b32 s8, exec_lo
	v_readlane_b32 s22, v73, 31
	s_and_b32 s22, s8, s22
	s_delay_alu instid0(SALU_CYCLE_1)
	s_mov_b32 exec_lo, s22
; %bb.20:                               ;   in Loop: Header=BB13_3 Depth=1
	ds_store_b32 v3, v7
; %bb.21:                               ;   in Loop: Header=BB13_3 Depth=1
	s_or_b32 exec_lo, exec_lo, s8
.LBB13_22:                              ;   in Loop: Header=BB13_3 Depth=1
	s_and_not1_saveexec_b32 s1, s1
	s_cbranch_execz .LBB13_24
; %bb.23:                               ;   in Loop: Header=BB13_3 Depth=1
	v_lshl_add_u64 v[26:27], v[16:17], 2, v[24:25]
	global_load_b32 v26, v[26:27], off
	s_wait_loadcnt 0x0
	v_xor_b32_e32 v26, 0x80000000, v26
	ds_store_b32 v3, v26
.LBB13_24:                              ;   in Loop: Header=BB13_3 Depth=1
	s_or_b32 exec_lo, exec_lo, s1
	s_delay_alu instid0(SALU_CYCLE_1) | instskip(SKIP_2) | instid1(SALU_CYCLE_1)
	s_mov_b32 s1, exec_lo
	v_readlane_b32 s8, v74, 20
	s_and_b32 s8, s1, s8
	s_xor_b32 s1, s8, s1
	s_mov_b32 exec_lo, s8
	s_cbranch_execz .LBB13_28
; %bb.25:                               ;   in Loop: Header=BB13_3 Depth=1
	s_mov_b32 s8, exec_lo
	v_readlane_b32 s22, v72, 0
	s_and_b32 s22, s8, s22
	s_delay_alu instid0(SALU_CYCLE_1)
	s_mov_b32 exec_lo, s22
; %bb.26:                               ;   in Loop: Header=BB13_3 Depth=1
	ds_store_b32 v56, v7
; %bb.27:                               ;   in Loop: Header=BB13_3 Depth=1
	s_or_b32 exec_lo, exec_lo, s8
.LBB13_28:                              ;   in Loop: Header=BB13_3 Depth=1
	s_and_not1_saveexec_b32 s1, s1
	s_cbranch_execz .LBB13_30
; %bb.29:                               ;   in Loop: Header=BB13_3 Depth=1
	v_lshl_add_u64 v[26:27], v[18:19], 2, v[24:25]
	global_load_b32 v26, v[26:27], off
	s_wait_loadcnt 0x0
	v_xor_b32_e32 v26, 0x80000000, v26
	ds_store_b32 v56, v26
.LBB13_30:                              ;   in Loop: Header=BB13_3 Depth=1
	;; [unrolled: 28-line block ×3, first 2 shown]
	s_or_b32 exec_lo, exec_lo, s1
	s_mov_b32 s1, 0
.LBB13_37:                              ;   in Loop: Header=BB13_3 Depth=1
	s_delay_alu instid0(SALU_CYCLE_1)
	s_and_b32 vcc_lo, exec_lo, s1
	s_cbranch_vccz .LBB13_61
; %bb.38:                               ;   in Loop: Header=BB13_3 Depth=1
	s_mov_b32 s1, 0
	s_mov_b32 s8, exec_lo
	v_readlane_b32 s22, v74, 17
	s_and_b32 s22, s8, s22
	s_delay_alu instid0(SALU_CYCLE_1)
	s_xor_b32 s8, s22, s8
	s_mov_b32 exec_lo, s22
	s_cbranch_execnz .LBB13_1107
; %bb.39:                               ;   in Loop: Header=BB13_3 Depth=1
	s_or_saveexec_b32 s8, s8
	v_mov_b32_e32 v26, 0
	s_xor_b32 exec_lo, exec_lo, s8
	s_cbranch_execnz .LBB13_1108
.LBB13_40:                              ;   in Loop: Header=BB13_3 Depth=1
	s_or_b32 exec_lo, exec_lo, s8
	s_and_saveexec_b32 s8, s1
.LBB13_41:                              ;   in Loop: Header=BB13_3 Depth=1
	ds_store_b32 v54, v26
.LBB13_42:                              ;   in Loop: Header=BB13_3 Depth=1
	s_or_b32 exec_lo, exec_lo, s8
	s_delay_alu instid0(SALU_CYCLE_1) | instskip(SKIP_2) | instid1(SALU_CYCLE_1)
	s_mov_b32 s1, exec_lo
	v_readlane_b32 s8, v74, 19
	s_and_b32 s8, s1, s8
	s_xor_b32 s1, s8, s1
	s_mov_b32 exec_lo, s8
	s_cbranch_execz .LBB13_46
; %bb.43:                               ;   in Loop: Header=BB13_3 Depth=1
	s_mov_b32 s8, exec_lo
	v_readlane_b32 s22, v73, 31
	s_and_b32 s22, s8, s22
	s_delay_alu instid0(SALU_CYCLE_1)
	s_mov_b32 exec_lo, s22
; %bb.44:                               ;   in Loop: Header=BB13_3 Depth=1
	ds_store_b32 v3, v7
; %bb.45:                               ;   in Loop: Header=BB13_3 Depth=1
	s_or_b32 exec_lo, exec_lo, s8
.LBB13_46:                              ;   in Loop: Header=BB13_3 Depth=1
	s_and_not1_saveexec_b32 s1, s1
	s_cbranch_execz .LBB13_48
; %bb.47:                               ;   in Loop: Header=BB13_3 Depth=1
	v_lshl_add_u64 v[26:27], v[16:17], 2, v[24:25]
	global_load_b32 v26, v[26:27], off
	s_wait_loadcnt 0x0
	v_xor_b32_e32 v26, 0x80000000, v26
	ds_store_b32 v3, v26
.LBB13_48:                              ;   in Loop: Header=BB13_3 Depth=1
	s_or_b32 exec_lo, exec_lo, s1
	s_delay_alu instid0(SALU_CYCLE_1) | instskip(SKIP_2) | instid1(SALU_CYCLE_1)
	s_mov_b32 s1, exec_lo
	v_readlane_b32 s8, v74, 21
	s_and_b32 s8, s1, s8
	s_xor_b32 s1, s8, s1
	s_mov_b32 exec_lo, s8
	s_cbranch_execz .LBB13_52
; %bb.49:                               ;   in Loop: Header=BB13_3 Depth=1
	s_mov_b32 s8, exec_lo
	v_readlane_b32 s22, v72, 0
	s_and_b32 s22, s8, s22
	s_delay_alu instid0(SALU_CYCLE_1)
	s_mov_b32 exec_lo, s22
; %bb.50:                               ;   in Loop: Header=BB13_3 Depth=1
	ds_store_b32 v56, v7
; %bb.51:                               ;   in Loop: Header=BB13_3 Depth=1
	s_or_b32 exec_lo, exec_lo, s8
.LBB13_52:                              ;   in Loop: Header=BB13_3 Depth=1
	s_and_not1_saveexec_b32 s1, s1
	s_cbranch_execz .LBB13_54
; %bb.53:                               ;   in Loop: Header=BB13_3 Depth=1
	v_lshl_add_u64 v[26:27], v[18:19], 2, v[24:25]
	global_load_b32 v26, v[26:27], off
	s_wait_loadcnt 0x0
	v_xor_b32_e32 v26, 0x80000000, v26
	ds_store_b32 v56, v26
.LBB13_54:                              ;   in Loop: Header=BB13_3 Depth=1
	s_or_b32 exec_lo, exec_lo, s1
	s_delay_alu instid0(SALU_CYCLE_1) | instskip(SKIP_2) | instid1(SALU_CYCLE_1)
	s_mov_b32 s1, exec_lo
	v_readlane_b32 s8, v74, 23
	s_and_b32 s8, s1, s8
	s_xor_b32 s1, s8, s1
	s_mov_b32 exec_lo, s8
	s_cbranch_execz .LBB13_58
; %bb.55:                               ;   in Loop: Header=BB13_3 Depth=1
	s_mov_b32 s8, exec_lo
	v_readlane_b32 s22, v72, 1
	s_and_b32 s22, s8, s22
	s_delay_alu instid0(SALU_CYCLE_1)
	s_mov_b32 exec_lo, s22
; %bb.56:                               ;   in Loop: Header=BB13_3 Depth=1
	ds_store_b32 v57, v7
; %bb.57:                               ;   in Loop: Header=BB13_3 Depth=1
	s_or_b32 exec_lo, exec_lo, s8
                                        ; implicit-def: $vgpr24_vgpr25
.LBB13_58:                              ;   in Loop: Header=BB13_3 Depth=1
	s_and_not1_saveexec_b32 s1, s1
	s_cbranch_execz .LBB13_60
; %bb.59:                               ;   in Loop: Header=BB13_3 Depth=1
	v_lshl_add_u64 v[24:25], v[20:21], 2, v[24:25]
	global_load_b32 v24, v[24:25], off
	s_wait_loadcnt 0x0
	v_xor_b32_e32 v24, 0x80000000, v24
	ds_store_b32 v57, v24
.LBB13_60:                              ;   in Loop: Header=BB13_3 Depth=1
	s_or_b32 exec_lo, exec_lo, s1
.LBB13_61:                              ;   in Loop: Header=BB13_3 Depth=1
	s_delay_alu instid0(SALU_CYCLE_1)
	s_and_not1_b32 vcc_lo, exec_lo, s101
	s_wait_loadcnt_dscnt 0x0
	s_barrier_signal -1
	s_barrier_wait -1
	s_cbranch_vccnz .LBB13_1037
; %bb.62:                               ;   in Loop: Header=BB13_3 Depth=1
	s_and_saveexec_b32 s1, s11
; %bb.63:                               ;   in Loop: Header=BB13_3 Depth=1
	ds_store_2addr_b32 v61, v60, v60 offset0:190 offset1:255
; %bb.64:                               ;   in Loop: Header=BB13_3 Depth=1
	s_or_b32 exec_lo, exec_lo, s1
	v_mov_b32_e32 v24, 0
	s_wait_dscnt 0x0
	s_barrier_signal -1
	s_barrier_wait -1
	global_wb scope:SCOPE_DEV
	s_wait_storecnt 0x0
	global_inv scope:SCOPE_DEV
	s_and_saveexec_b32 s1, s2
	s_cbranch_execz .LBB13_68
; %bb.65:                               ;   in Loop: Header=BB13_3 Depth=1
	ds_load_b32 v24, v31 offset:16112
	ds_load_b32 v25, v30 offset:16376
	s_wait_dscnt 0x0
	v_fma_f32 v24, v24, v25, 0
	s_and_saveexec_b32 s8, s12
	s_cbranch_execz .LBB13_67
; %bb.66:                               ;   in Loop: Header=BB13_3 Depth=1
	ds_load_b32 v25, v32 offset:16368
	ds_load_b32 v26, v7 offset:16380
	s_wait_dscnt 0x0
	v_fmac_f32_e32 v24, v25, v26
.LBB13_67:                              ;   in Loop: Header=BB13_3 Depth=1
	s_or_b32 exec_lo, exec_lo, s8
.LBB13_68:                              ;   in Loop: Header=BB13_3 Depth=1
	s_delay_alu instid0(SALU_CYCLE_1)
	s_or_b32 exec_lo, exec_lo, s1
	s_and_saveexec_b32 s1, s102
; %bb.69:                               ;   in Loop: Header=BB13_3 Depth=1
	s_delay_alu instid0(VALU_DEP_1)
	v_xor_b32_e32 v25, 0x80000000, v24
	ds_store_b32 v5, v25
; %bb.70:                               ;   in Loop: Header=BB13_3 Depth=1
	s_or_b32 exec_lo, exec_lo, s1
	s_wait_loadcnt_dscnt 0x0
	s_barrier_signal -1
	s_barrier_wait -1
	s_and_saveexec_b32 s1, s103
	s_cbranch_execz .LBB13_72
; %bb.71:                               ;   in Loop: Header=BB13_3 Depth=1
	ds_load_b32 v25, v7 offset:15856
	ds_load_b32 v26, v5
	s_wait_dscnt 0x0
	v_fma_f32 v24, -v25, v26, v24
.LBB13_72:                              ;   in Loop: Header=BB13_3 Depth=1
	s_or_b32 exec_lo, exec_lo, s1
	s_barrier_signal -1
	s_barrier_wait -1
	s_and_saveexec_b32 s1, s103
; %bb.73:                               ;   in Loop: Header=BB13_3 Depth=1
	v_xor_b32_e32 v25, 0x80000000, v24
	ds_store_b32 v5, v25
; %bb.74:                               ;   in Loop: Header=BB13_3 Depth=1
	s_or_b32 exec_lo, exec_lo, s1
	s_wait_dscnt 0x0
	s_barrier_signal -1
	s_barrier_wait -1
	s_barrier_signal -1
	s_barrier_wait -1
	s_and_saveexec_b32 s1, s2
; %bb.75:                               ;   in Loop: Header=BB13_3 Depth=1
	ds_store_b32 v34, v24 offset:16368
; %bb.76:                               ;   in Loop: Header=BB13_3 Depth=1
	s_or_b32 exec_lo, exec_lo, s1
	s_wait_dscnt 0x0
	s_barrier_signal -1
	s_barrier_wait -1
	s_barrier_signal -1
	s_barrier_wait -1
	s_and_saveexec_b32 s1, s11
; %bb.77:                               ;   in Loop: Header=BB13_3 Depth=1
	ds_store_2addr_b32 v61, v60, v60 offset0:60 offset1:125
; %bb.78:                               ;   in Loop: Header=BB13_3 Depth=1
	s_or_b32 exec_lo, exec_lo, s1
	v_mov_b32_e32 v24, 0
	s_wait_dscnt 0x0
	s_barrier_signal -1
	s_barrier_wait -1
	global_wb scope:SCOPE_DEV
	s_wait_storecnt 0x0
	global_inv scope:SCOPE_DEV
	s_and_saveexec_b32 s1, s3
	s_cbranch_execz .LBB13_84
; %bb.79:                               ;   in Loop: Header=BB13_3 Depth=1
	ds_load_b32 v24, v33 offset:15584
	ds_load_b32 v25, v36 offset:16368
	s_wait_dscnt 0x0
	v_fma_f32 v24, v24, v25, 0
	s_and_saveexec_b32 s8, s13
	s_cbranch_execnz .LBB13_1113
; %bb.80:                               ;   in Loop: Header=BB13_3 Depth=1
	s_or_b32 exec_lo, exec_lo, s8
	s_and_saveexec_b32 s8, s14
	s_cbranch_execnz .LBB13_1114
.LBB13_81:                              ;   in Loop: Header=BB13_3 Depth=1
	s_or_b32 exec_lo, exec_lo, s8
	s_and_saveexec_b32 s8, s2
	s_cbranch_execz .LBB13_83
.LBB13_82:                              ;   in Loop: Header=BB13_3 Depth=1
	ds_load_b32 v25, v32 offset:16352
	ds_load_b32 v26, v7 offset:16380
	s_wait_dscnt 0x0
	v_fmac_f32_e32 v24, v25, v26
.LBB13_83:                              ;   in Loop: Header=BB13_3 Depth=1
	s_or_b32 exec_lo, exec_lo, s8
.LBB13_84:                              ;   in Loop: Header=BB13_3 Depth=1
	s_delay_alu instid0(SALU_CYCLE_1)
	s_or_b32 exec_lo, exec_lo, s1
	s_and_saveexec_b32 s1, s104
; %bb.85:                               ;   in Loop: Header=BB13_3 Depth=1
	s_delay_alu instid0(VALU_DEP_1)
	v_xor_b32_e32 v25, 0x80000000, v24
	ds_store_b32 v35, v25
; %bb.86:                               ;   in Loop: Header=BB13_3 Depth=1
	s_or_b32 exec_lo, exec_lo, s1
	s_wait_loadcnt_dscnt 0x0
	s_barrier_signal -1
	s_barrier_wait -1
	s_and_saveexec_b32 s1, vcc_hi
	s_cbranch_execz .LBB13_88
; %bb.87:                               ;   in Loop: Header=BB13_3 Depth=1
	ds_load_b32 v25, v33 offset:15328
	ds_load_b32 v26, v35
	s_wait_dscnt 0x0
	v_fma_f32 v24, -v25, v26, v24
.LBB13_88:                              ;   in Loop: Header=BB13_3 Depth=1
	s_or_b32 exec_lo, exec_lo, s1
	s_barrier_signal -1
	s_barrier_wait -1
	s_and_saveexec_b32 s1, s31
; %bb.89:                               ;   in Loop: Header=BB13_3 Depth=1
	v_xor_b32_e32 v25, 0x80000000, v24
	ds_store_b32 v35, v25
; %bb.90:                               ;   in Loop: Header=BB13_3 Depth=1
	s_or_b32 exec_lo, exec_lo, s1
	s_wait_dscnt 0x0
	s_barrier_signal -1
	s_barrier_wait -1
	s_and_saveexec_b32 s1, s33
	s_cbranch_execz .LBB13_92
; %bb.91:                               ;   in Loop: Header=BB13_3 Depth=1
	ds_load_b32 v25, v33 offset:15072
	ds_load_b32 v26, v35
	s_wait_dscnt 0x0
	v_fma_f32 v24, -v25, v26, v24
.LBB13_92:                              ;   in Loop: Header=BB13_3 Depth=1
	s_or_b32 exec_lo, exec_lo, s1
	s_barrier_signal -1
	s_barrier_wait -1
	s_and_saveexec_b32 s1, s34
; %bb.93:                               ;   in Loop: Header=BB13_3 Depth=1
	v_xor_b32_e32 v25, 0x80000000, v24
	ds_store_b32 v35, v25
; %bb.94:                               ;   in Loop: Header=BB13_3 Depth=1
	s_or_b32 exec_lo, exec_lo, s1
	s_wait_dscnt 0x0
	s_barrier_signal -1
	s_barrier_wait -1
	s_and_saveexec_b32 s1, s35
	s_cbranch_execz .LBB13_96
; %bb.95:                               ;   in Loop: Header=BB13_3 Depth=1
	ds_load_b32 v25, v7 offset:14816
	ds_load_b32 v26, v35
	s_wait_dscnt 0x0
	v_fma_f32 v24, -v25, v26, v24
.LBB13_96:                              ;   in Loop: Header=BB13_3 Depth=1
	s_or_b32 exec_lo, exec_lo, s1
	s_barrier_signal -1
	s_barrier_wait -1
	s_and_saveexec_b32 s1, s35
; %bb.97:                               ;   in Loop: Header=BB13_3 Depth=1
	v_xor_b32_e32 v25, 0x80000000, v24
	ds_store_b32 v35, v25
; %bb.98:                               ;   in Loop: Header=BB13_3 Depth=1
	s_or_b32 exec_lo, exec_lo, s1
	s_wait_dscnt 0x0
	s_barrier_signal -1
	s_barrier_wait -1
	s_barrier_signal -1
	s_barrier_wait -1
	s_and_saveexec_b32 s1, s3
; %bb.99:                               ;   in Loop: Header=BB13_3 Depth=1
	ds_store_b32 v37, v24 offset:16352
; %bb.100:                              ;   in Loop: Header=BB13_3 Depth=1
	s_or_b32 exec_lo, exec_lo, s1
	s_wait_dscnt 0x0
	s_barrier_signal -1
	s_barrier_wait -1
	s_barrier_signal -1
	s_barrier_wait -1
	s_and_saveexec_b32 s1, s11
; %bb.101:                              ;   in Loop: Header=BB13_3 Depth=1
	v_add_nc_u32_e64 v24, 0x3800, 0
	ds_store_2addr_b32 v24, v60, v60 offset0:186 offset1:251
; %bb.102:                              ;   in Loop: Header=BB13_3 Depth=1
	s_or_b32 exec_lo, exec_lo, s1
	v_mov_b32_e32 v24, 0
	s_wait_dscnt 0x0
	s_barrier_signal -1
	s_barrier_wait -1
	global_wb scope:SCOPE_DEV
	s_wait_storecnt 0x0
	global_inv scope:SCOPE_DEV
	s_and_saveexec_b32 s1, s2
	s_cbranch_execz .LBB13_106
; %bb.103:                              ;   in Loop: Header=BB13_3 Depth=1
	ds_load_b32 v24, v31 offset:15072
	ds_load_b32 v25, v30 offset:15336
	s_wait_dscnt 0x0
	v_fma_f32 v24, v24, v25, 0
	s_and_saveexec_b32 s8, s12
	s_cbranch_execz .LBB13_105
; %bb.104:                              ;   in Loop: Header=BB13_3 Depth=1
	ds_load_b32 v25, v32 offset:15328
	ds_load_b32 v26, v7 offset:15340
	s_wait_dscnt 0x0
	v_fmac_f32_e32 v24, v25, v26
.LBB13_105:                             ;   in Loop: Header=BB13_3 Depth=1
	s_or_b32 exec_lo, exec_lo, s8
.LBB13_106:                             ;   in Loop: Header=BB13_3 Depth=1
	s_delay_alu instid0(SALU_CYCLE_1)
	s_or_b32 exec_lo, exec_lo, s1
	s_and_saveexec_b32 s1, s102
; %bb.107:                              ;   in Loop: Header=BB13_3 Depth=1
	s_delay_alu instid0(VALU_DEP_1)
	v_xor_b32_e32 v25, 0x80000000, v24
	ds_store_b32 v5, v25
; %bb.108:                              ;   in Loop: Header=BB13_3 Depth=1
	s_or_b32 exec_lo, exec_lo, s1
	s_wait_loadcnt_dscnt 0x0
	s_barrier_signal -1
	s_barrier_wait -1
	s_and_saveexec_b32 s1, s103
	s_cbranch_execz .LBB13_110
; %bb.109:                              ;   in Loop: Header=BB13_3 Depth=1
	ds_load_b32 v25, v7 offset:14816
	ds_load_b32 v26, v5
	s_wait_dscnt 0x0
	v_fma_f32 v24, -v25, v26, v24
.LBB13_110:                             ;   in Loop: Header=BB13_3 Depth=1
	s_or_b32 exec_lo, exec_lo, s1
	s_barrier_signal -1
	s_barrier_wait -1
	s_and_saveexec_b32 s1, s103
; %bb.111:                              ;   in Loop: Header=BB13_3 Depth=1
	v_xor_b32_e32 v25, 0x80000000, v24
	ds_store_b32 v5, v25
; %bb.112:                              ;   in Loop: Header=BB13_3 Depth=1
	s_or_b32 exec_lo, exec_lo, s1
	s_wait_dscnt 0x0
	s_barrier_signal -1
	s_barrier_wait -1
	s_barrier_signal -1
	s_barrier_wait -1
	s_and_saveexec_b32 s1, s2
; %bb.113:                              ;   in Loop: Header=BB13_3 Depth=1
	ds_store_b32 v34, v24 offset:15328
; %bb.114:                              ;   in Loop: Header=BB13_3 Depth=1
	s_or_b32 exec_lo, exec_lo, s1
	s_wait_dscnt 0x0
	s_barrier_signal -1
	s_barrier_wait -1
	s_barrier_signal -1
	s_barrier_wait -1
	s_and_saveexec_b32 s1, s11
; %bb.115:                              ;   in Loop: Header=BB13_3 Depth=1
	v_add_nc_u32_e64 v24, 0x3800, 0
	ds_store_2addr_b32 v24, v60, v60 offset0:56 offset1:121
; %bb.116:                              ;   in Loop: Header=BB13_3 Depth=1
	s_or_b32 exec_lo, exec_lo, s1
	v_mov_b32_e32 v24, 0
	s_wait_dscnt 0x0
	s_barrier_signal -1
	s_barrier_wait -1
	global_wb scope:SCOPE_DEV
	s_wait_storecnt 0x0
	global_inv scope:SCOPE_DEV
	s_and_saveexec_b32 s1, s4
	s_cbranch_execz .LBB13_126
; %bb.117:                              ;   in Loop: Header=BB13_3 Depth=1
	ds_load_b32 v24, v38 offset:14528
	ds_load_b32 v25, v40 offset:16352
	s_wait_dscnt 0x0
	v_fma_f32 v24, v24, v25, 0
	s_and_saveexec_b32 s8, s15
	s_cbranch_execnz .LBB13_1115
; %bb.118:                              ;   in Loop: Header=BB13_3 Depth=1
	s_or_b32 exec_lo, exec_lo, s8
	s_and_saveexec_b32 s8, s16
	s_cbranch_execnz .LBB13_1116
.LBB13_119:                             ;   in Loop: Header=BB13_3 Depth=1
	s_or_b32 exec_lo, exec_lo, s8
	s_and_saveexec_b32 s8, s17
	s_cbranch_execnz .LBB13_1117
.LBB13_120:                             ;   in Loop: Header=BB13_3 Depth=1
	s_or_b32 exec_lo, exec_lo, s8
	s_and_saveexec_b32 s8, s18
	s_cbranch_execnz .LBB13_1118
.LBB13_121:                             ;   in Loop: Header=BB13_3 Depth=1
	s_or_b32 exec_lo, exec_lo, s8
	s_and_saveexec_b32 s8, s19
	s_cbranch_execnz .LBB13_1119
.LBB13_122:                             ;   in Loop: Header=BB13_3 Depth=1
	s_or_b32 exec_lo, exec_lo, s8
	s_and_saveexec_b32 s8, s3
	s_cbranch_execnz .LBB13_1120
.LBB13_123:                             ;   in Loop: Header=BB13_3 Depth=1
	s_or_b32 exec_lo, exec_lo, s8
	s_and_saveexec_b32 s8, s14
	s_cbranch_execz .LBB13_125
.LBB13_124:                             ;   in Loop: Header=BB13_3 Depth=1
	ds_load_b32 v25, v32 offset:16320
	ds_load_b32 v26, v7 offset:16380
	s_wait_dscnt 0x0
	v_fmac_f32_e32 v24, v25, v26
.LBB13_125:                             ;   in Loop: Header=BB13_3 Depth=1
	s_or_b32 exec_lo, exec_lo, s8
.LBB13_126:                             ;   in Loop: Header=BB13_3 Depth=1
	s_delay_alu instid0(SALU_CYCLE_1)
	s_or_b32 exec_lo, exec_lo, s1
	s_and_saveexec_b32 s1, s36
; %bb.127:                              ;   in Loop: Header=BB13_3 Depth=1
	s_delay_alu instid0(VALU_DEP_1)
	v_xor_b32_e32 v25, 0x80000000, v24
	ds_store_b32 v39, v25
; %bb.128:                              ;   in Loop: Header=BB13_3 Depth=1
	s_or_b32 exec_lo, exec_lo, s1
	s_wait_loadcnt_dscnt 0x0
	s_barrier_signal -1
	s_barrier_wait -1
	s_and_saveexec_b32 s1, s37
	s_cbranch_execz .LBB13_130
; %bb.129:                              ;   in Loop: Header=BB13_3 Depth=1
	ds_load_b32 v25, v38 offset:14272
	ds_load_b32 v26, v39
	s_wait_dscnt 0x0
	v_fma_f32 v24, -v25, v26, v24
.LBB13_130:                             ;   in Loop: Header=BB13_3 Depth=1
	s_or_b32 exec_lo, exec_lo, s1
	s_barrier_signal -1
	s_barrier_wait -1
	s_and_saveexec_b32 s1, s38
; %bb.131:                              ;   in Loop: Header=BB13_3 Depth=1
	v_xor_b32_e32 v25, 0x80000000, v24
	ds_store_b32 v39, v25
; %bb.132:                              ;   in Loop: Header=BB13_3 Depth=1
	s_or_b32 exec_lo, exec_lo, s1
	s_wait_dscnt 0x0
	s_barrier_signal -1
	s_barrier_wait -1
	s_and_saveexec_b32 s1, s39
	s_cbranch_execz .LBB13_134
; %bb.133:                              ;   in Loop: Header=BB13_3 Depth=1
	ds_load_b32 v25, v38 offset:14016
	ds_load_b32 v26, v39
	s_wait_dscnt 0x0
	v_fma_f32 v24, -v25, v26, v24
.LBB13_134:                             ;   in Loop: Header=BB13_3 Depth=1
	s_or_b32 exec_lo, exec_lo, s1
	s_barrier_signal -1
	s_barrier_wait -1
	s_and_saveexec_b32 s1, s40
; %bb.135:                              ;   in Loop: Header=BB13_3 Depth=1
	v_xor_b32_e32 v25, 0x80000000, v24
	ds_store_b32 v39, v25
; %bb.136:                              ;   in Loop: Header=BB13_3 Depth=1
	s_or_b32 exec_lo, exec_lo, s1
	s_wait_dscnt 0x0
	;; [unrolled: 20-line block ×7, first 2 shown]
	s_barrier_signal -1
	s_barrier_wait -1
	s_barrier_signal -1
	s_barrier_wait -1
	s_and_saveexec_b32 s1, s4
; %bb.157:                              ;   in Loop: Header=BB13_3 Depth=1
	ds_store_b32 v41, v24 offset:16320
; %bb.158:                              ;   in Loop: Header=BB13_3 Depth=1
	s_or_b32 exec_lo, exec_lo, s1
	s_wait_dscnt 0x0
	s_barrier_signal -1
	s_barrier_wait -1
	s_barrier_signal -1
	s_barrier_wait -1
	s_and_saveexec_b32 s1, s11
; %bb.159:                              ;   in Loop: Header=BB13_3 Depth=1
	v_add_nc_u32_e64 v24, 0x3400, 0
	ds_store_2addr_b32 v24, v60, v60 offset0:182 offset1:247
; %bb.160:                              ;   in Loop: Header=BB13_3 Depth=1
	s_or_b32 exec_lo, exec_lo, s1
	v_mov_b32_e32 v24, 0
	s_wait_dscnt 0x0
	s_barrier_signal -1
	s_barrier_wait -1
	global_wb scope:SCOPE_DEV
	s_wait_storecnt 0x0
	global_inv scope:SCOPE_DEV
	s_and_saveexec_b32 s1, s2
	s_cbranch_execz .LBB13_164
; %bb.161:                              ;   in Loop: Header=BB13_3 Depth=1
	ds_load_b32 v24, v31 offset:14032
	ds_load_b32 v25, v30 offset:14296
	s_wait_dscnt 0x0
	v_fma_f32 v24, v24, v25, 0
	s_and_saveexec_b32 s8, s12
	s_cbranch_execz .LBB13_163
; %bb.162:                              ;   in Loop: Header=BB13_3 Depth=1
	ds_load_b32 v25, v32 offset:14288
	ds_load_b32 v26, v7 offset:14300
	s_wait_dscnt 0x0
	v_fmac_f32_e32 v24, v25, v26
.LBB13_163:                             ;   in Loop: Header=BB13_3 Depth=1
	s_or_b32 exec_lo, exec_lo, s8
.LBB13_164:                             ;   in Loop: Header=BB13_3 Depth=1
	s_delay_alu instid0(SALU_CYCLE_1)
	s_or_b32 exec_lo, exec_lo, s1
	s_and_saveexec_b32 s1, s102
; %bb.165:                              ;   in Loop: Header=BB13_3 Depth=1
	s_delay_alu instid0(VALU_DEP_1)
	v_xor_b32_e32 v25, 0x80000000, v24
	ds_store_b32 v5, v25
; %bb.166:                              ;   in Loop: Header=BB13_3 Depth=1
	s_or_b32 exec_lo, exec_lo, s1
	s_wait_loadcnt_dscnt 0x0
	s_barrier_signal -1
	s_barrier_wait -1
	s_and_saveexec_b32 s1, s103
	s_cbranch_execz .LBB13_168
; %bb.167:                              ;   in Loop: Header=BB13_3 Depth=1
	ds_load_b32 v25, v7 offset:13776
	ds_load_b32 v26, v5
	s_wait_dscnt 0x0
	v_fma_f32 v24, -v25, v26, v24
.LBB13_168:                             ;   in Loop: Header=BB13_3 Depth=1
	s_or_b32 exec_lo, exec_lo, s1
	s_barrier_signal -1
	s_barrier_wait -1
	s_and_saveexec_b32 s1, s103
; %bb.169:                              ;   in Loop: Header=BB13_3 Depth=1
	v_xor_b32_e32 v25, 0x80000000, v24
	ds_store_b32 v5, v25
; %bb.170:                              ;   in Loop: Header=BB13_3 Depth=1
	s_or_b32 exec_lo, exec_lo, s1
	s_wait_dscnt 0x0
	s_barrier_signal -1
	s_barrier_wait -1
	s_barrier_signal -1
	s_barrier_wait -1
	s_and_saveexec_b32 s1, s2
; %bb.171:                              ;   in Loop: Header=BB13_3 Depth=1
	ds_store_b32 v34, v24 offset:14288
; %bb.172:                              ;   in Loop: Header=BB13_3 Depth=1
	s_or_b32 exec_lo, exec_lo, s1
	s_wait_dscnt 0x0
	s_barrier_signal -1
	s_barrier_wait -1
	s_barrier_signal -1
	s_barrier_wait -1
	s_and_saveexec_b32 s1, s11
; %bb.173:                              ;   in Loop: Header=BB13_3 Depth=1
	v_add_nc_u32_e64 v24, 0x3400, 0
	ds_store_2addr_b32 v24, v60, v60 offset0:52 offset1:117
; %bb.174:                              ;   in Loop: Header=BB13_3 Depth=1
	s_or_b32 exec_lo, exec_lo, s1
	v_mov_b32_e32 v24, 0
	s_wait_dscnt 0x0
	s_barrier_signal -1
	s_barrier_wait -1
	global_wb scope:SCOPE_DEV
	s_wait_storecnt 0x0
	global_inv scope:SCOPE_DEV
	s_and_saveexec_b32 s1, s3
	s_cbranch_execz .LBB13_180
; %bb.175:                              ;   in Loop: Header=BB13_3 Depth=1
	ds_load_b32 v24, v33 offset:13504
	ds_load_b32 v25, v36 offset:14288
	s_wait_dscnt 0x0
	v_fma_f32 v24, v24, v25, 0
	s_and_saveexec_b32 s8, s13
	s_cbranch_execnz .LBB13_1121
; %bb.176:                              ;   in Loop: Header=BB13_3 Depth=1
	s_or_b32 exec_lo, exec_lo, s8
	s_and_saveexec_b32 s8, s14
	s_cbranch_execnz .LBB13_1122
.LBB13_177:                             ;   in Loop: Header=BB13_3 Depth=1
	s_or_b32 exec_lo, exec_lo, s8
	s_and_saveexec_b32 s8, s2
	s_cbranch_execz .LBB13_179
.LBB13_178:                             ;   in Loop: Header=BB13_3 Depth=1
	ds_load_b32 v25, v32 offset:14272
	ds_load_b32 v26, v7 offset:14300
	s_wait_dscnt 0x0
	v_fmac_f32_e32 v24, v25, v26
.LBB13_179:                             ;   in Loop: Header=BB13_3 Depth=1
	s_or_b32 exec_lo, exec_lo, s8
.LBB13_180:                             ;   in Loop: Header=BB13_3 Depth=1
	s_delay_alu instid0(SALU_CYCLE_1)
	s_or_b32 exec_lo, exec_lo, s1
	s_and_saveexec_b32 s1, s104
; %bb.181:                              ;   in Loop: Header=BB13_3 Depth=1
	s_delay_alu instid0(VALU_DEP_1)
	v_xor_b32_e32 v25, 0x80000000, v24
	ds_store_b32 v35, v25
; %bb.182:                              ;   in Loop: Header=BB13_3 Depth=1
	s_or_b32 exec_lo, exec_lo, s1
	s_wait_loadcnt_dscnt 0x0
	s_barrier_signal -1
	s_barrier_wait -1
	s_and_saveexec_b32 s1, vcc_hi
	s_cbranch_execz .LBB13_184
; %bb.183:                              ;   in Loop: Header=BB13_3 Depth=1
	ds_load_b32 v25, v33 offset:13248
	ds_load_b32 v26, v35
	s_wait_dscnt 0x0
	v_fma_f32 v24, -v25, v26, v24
.LBB13_184:                             ;   in Loop: Header=BB13_3 Depth=1
	s_or_b32 exec_lo, exec_lo, s1
	s_barrier_signal -1
	s_barrier_wait -1
	s_and_saveexec_b32 s1, s31
; %bb.185:                              ;   in Loop: Header=BB13_3 Depth=1
	v_xor_b32_e32 v25, 0x80000000, v24
	ds_store_b32 v35, v25
; %bb.186:                              ;   in Loop: Header=BB13_3 Depth=1
	s_or_b32 exec_lo, exec_lo, s1
	s_wait_dscnt 0x0
	s_barrier_signal -1
	s_barrier_wait -1
	s_and_saveexec_b32 s1, s33
	s_cbranch_execz .LBB13_188
; %bb.187:                              ;   in Loop: Header=BB13_3 Depth=1
	ds_load_b32 v25, v33 offset:12992
	ds_load_b32 v26, v35
	s_wait_dscnt 0x0
	v_fma_f32 v24, -v25, v26, v24
.LBB13_188:                             ;   in Loop: Header=BB13_3 Depth=1
	s_or_b32 exec_lo, exec_lo, s1
	s_barrier_signal -1
	s_barrier_wait -1
	s_and_saveexec_b32 s1, s34
; %bb.189:                              ;   in Loop: Header=BB13_3 Depth=1
	v_xor_b32_e32 v25, 0x80000000, v24
	ds_store_b32 v35, v25
; %bb.190:                              ;   in Loop: Header=BB13_3 Depth=1
	s_or_b32 exec_lo, exec_lo, s1
	s_wait_dscnt 0x0
	s_barrier_signal -1
	s_barrier_wait -1
	s_and_saveexec_b32 s1, s35
	s_cbranch_execz .LBB13_192
; %bb.191:                              ;   in Loop: Header=BB13_3 Depth=1
	ds_load_b32 v25, v7 offset:12736
	ds_load_b32 v26, v35
	s_wait_dscnt 0x0
	v_fma_f32 v24, -v25, v26, v24
.LBB13_192:                             ;   in Loop: Header=BB13_3 Depth=1
	s_or_b32 exec_lo, exec_lo, s1
	s_barrier_signal -1
	s_barrier_wait -1
	s_and_saveexec_b32 s1, s35
; %bb.193:                              ;   in Loop: Header=BB13_3 Depth=1
	v_xor_b32_e32 v25, 0x80000000, v24
	ds_store_b32 v35, v25
; %bb.194:                              ;   in Loop: Header=BB13_3 Depth=1
	s_or_b32 exec_lo, exec_lo, s1
	s_wait_dscnt 0x0
	s_barrier_signal -1
	s_barrier_wait -1
	s_barrier_signal -1
	s_barrier_wait -1
	s_and_saveexec_b32 s1, s3
; %bb.195:                              ;   in Loop: Header=BB13_3 Depth=1
	ds_store_b32 v37, v24 offset:14272
; %bb.196:                              ;   in Loop: Header=BB13_3 Depth=1
	s_or_b32 exec_lo, exec_lo, s1
	s_wait_dscnt 0x0
	s_barrier_signal -1
	s_barrier_wait -1
	s_barrier_signal -1
	s_barrier_wait -1
	s_and_saveexec_b32 s1, s11
; %bb.197:                              ;   in Loop: Header=BB13_3 Depth=1
	v_add_nc_u32_e64 v24, 0x3000, 0
	ds_store_2addr_b32 v24, v60, v60 offset0:178 offset1:243
; %bb.198:                              ;   in Loop: Header=BB13_3 Depth=1
	s_or_b32 exec_lo, exec_lo, s1
	v_mov_b32_e32 v24, 0
	s_wait_dscnt 0x0
	s_barrier_signal -1
	s_barrier_wait -1
	global_wb scope:SCOPE_DEV
	s_wait_storecnt 0x0
	global_inv scope:SCOPE_DEV
	s_and_saveexec_b32 s1, s2
	s_cbranch_execz .LBB13_202
; %bb.199:                              ;   in Loop: Header=BB13_3 Depth=1
	ds_load_b32 v24, v31 offset:12992
	ds_load_b32 v25, v30 offset:13256
	s_wait_dscnt 0x0
	v_fma_f32 v24, v24, v25, 0
	s_and_saveexec_b32 s8, s12
	s_cbranch_execz .LBB13_201
; %bb.200:                              ;   in Loop: Header=BB13_3 Depth=1
	ds_load_b32 v25, v32 offset:13248
	ds_load_b32 v26, v7 offset:13260
	s_wait_dscnt 0x0
	v_fmac_f32_e32 v24, v25, v26
.LBB13_201:                             ;   in Loop: Header=BB13_3 Depth=1
	s_or_b32 exec_lo, exec_lo, s8
.LBB13_202:                             ;   in Loop: Header=BB13_3 Depth=1
	s_delay_alu instid0(SALU_CYCLE_1)
	s_or_b32 exec_lo, exec_lo, s1
	s_and_saveexec_b32 s1, s102
; %bb.203:                              ;   in Loop: Header=BB13_3 Depth=1
	s_delay_alu instid0(VALU_DEP_1)
	v_xor_b32_e32 v25, 0x80000000, v24
	ds_store_b32 v5, v25
; %bb.204:                              ;   in Loop: Header=BB13_3 Depth=1
	s_or_b32 exec_lo, exec_lo, s1
	s_wait_loadcnt_dscnt 0x0
	s_barrier_signal -1
	s_barrier_wait -1
	s_and_saveexec_b32 s1, s103
	s_cbranch_execz .LBB13_206
; %bb.205:                              ;   in Loop: Header=BB13_3 Depth=1
	ds_load_b32 v25, v7 offset:12736
	ds_load_b32 v26, v5
	s_wait_dscnt 0x0
	v_fma_f32 v24, -v25, v26, v24
.LBB13_206:                             ;   in Loop: Header=BB13_3 Depth=1
	s_or_b32 exec_lo, exec_lo, s1
	s_barrier_signal -1
	s_barrier_wait -1
	s_and_saveexec_b32 s1, s103
; %bb.207:                              ;   in Loop: Header=BB13_3 Depth=1
	v_xor_b32_e32 v25, 0x80000000, v24
	ds_store_b32 v5, v25
; %bb.208:                              ;   in Loop: Header=BB13_3 Depth=1
	s_or_b32 exec_lo, exec_lo, s1
	s_wait_dscnt 0x0
	s_barrier_signal -1
	s_barrier_wait -1
	s_barrier_signal -1
	s_barrier_wait -1
	s_and_saveexec_b32 s1, s2
; %bb.209:                              ;   in Loop: Header=BB13_3 Depth=1
	ds_store_b32 v34, v24 offset:13248
; %bb.210:                              ;   in Loop: Header=BB13_3 Depth=1
	s_or_b32 exec_lo, exec_lo, s1
	s_wait_dscnt 0x0
	s_barrier_signal -1
	s_barrier_wait -1
	s_barrier_signal -1
	s_barrier_wait -1
	s_and_saveexec_b32 s1, s11
; %bb.211:                              ;   in Loop: Header=BB13_3 Depth=1
	v_add_nc_u32_e64 v24, 0x3000, 0
	ds_store_2addr_b32 v24, v60, v60 offset0:48 offset1:113
; %bb.212:                              ;   in Loop: Header=BB13_3 Depth=1
	s_or_b32 exec_lo, exec_lo, s1
	v_mov_b32_e32 v24, 0
	s_wait_dscnt 0x0
	s_barrier_signal -1
	s_barrier_wait -1
	global_wb scope:SCOPE_DEV
	s_wait_storecnt 0x0
	global_inv scope:SCOPE_DEV
	s_and_saveexec_b32 s1, s5
	s_cbranch_execz .LBB13_240
; %bb.213:                              ;   in Loop: Header=BB13_3 Depth=1
	ds_load_b32 v24, v42 offset:12416
	ds_load_b32 v25, v45 offset:16320
	s_wait_dscnt 0x0
	v_fma_f32 v24, v24, v25, 0
	s_mov_b32 s8, exec_lo
	v_readlane_b32 s22, v74, 24
	s_and_b32 s22, s8, s22
	s_delay_alu instid0(SALU_CYCLE_1)
	s_mov_b32 exec_lo, s22
	s_cbranch_execz .LBB13_215
; %bb.214:                              ;   in Loop: Header=BB13_3 Depth=1
	ds_load_b32 v25, v42 offset:12672
	ds_load_b32 v26, v45 offset:16324
	s_wait_dscnt 0x0
	v_fmac_f32_e32 v24, v25, v26
.LBB13_215:                             ;   in Loop: Header=BB13_3 Depth=1
	s_or_b32 exec_lo, exec_lo, s8
	s_delay_alu instid0(SALU_CYCLE_1) | instskip(SKIP_2) | instid1(SALU_CYCLE_1)
	s_mov_b32 s8, exec_lo
	v_readlane_b32 s22, v74, 25
	s_and_b32 s22, s8, s22
	s_mov_b32 exec_lo, s22
	s_cbranch_execz .LBB13_217
; %bb.216:                              ;   in Loop: Header=BB13_3 Depth=1
	ds_load_b32 v25, v42 offset:12928
	ds_load_b32 v26, v45 offset:16328
	s_wait_dscnt 0x0
	v_fmac_f32_e32 v24, v25, v26
.LBB13_217:                             ;   in Loop: Header=BB13_3 Depth=1
	s_or_b32 exec_lo, exec_lo, s8
	s_delay_alu instid0(SALU_CYCLE_1) | instskip(SKIP_2) | instid1(SALU_CYCLE_1)
	s_mov_b32 s8, exec_lo
	v_readlane_b32 s22, v74, 26
	s_and_b32 s22, s8, s22
	;; [unrolled: 13-line block ×10, first 2 shown]
	s_mov_b32 exec_lo, s22
	s_cbranch_execnz .LBB13_1123
; %bb.234:                              ;   in Loop: Header=BB13_3 Depth=1
	s_or_b32 exec_lo, exec_lo, s8
	s_and_saveexec_b32 s8, s4
	s_cbranch_execnz .LBB13_1124
.LBB13_235:                             ;   in Loop: Header=BB13_3 Depth=1
	s_or_b32 exec_lo, exec_lo, s8
	s_and_saveexec_b32 s8, s16
	s_cbranch_execnz .LBB13_1125
.LBB13_236:                             ;   in Loop: Header=BB13_3 Depth=1
	s_or_b32 exec_lo, exec_lo, s8
	s_and_saveexec_b32 s8, s18
	s_cbranch_execnz .LBB13_1126
.LBB13_237:                             ;   in Loop: Header=BB13_3 Depth=1
	s_or_b32 exec_lo, exec_lo, s8
	s_and_saveexec_b32 s8, s3
	s_cbranch_execz .LBB13_239
.LBB13_238:                             ;   in Loop: Header=BB13_3 Depth=1
	ds_load_b32 v25, v32 offset:16256
	ds_load_b32 v26, v7 offset:16380
	s_wait_dscnt 0x0
	v_fmac_f32_e32 v24, v25, v26
.LBB13_239:                             ;   in Loop: Header=BB13_3 Depth=1
	s_or_b32 exec_lo, exec_lo, s8
.LBB13_240:                             ;   in Loop: Header=BB13_3 Depth=1
	s_delay_alu instid0(SALU_CYCLE_1) | instskip(NEXT) | instid1(SALU_CYCLE_1)
	s_or_b32 exec_lo, exec_lo, s1
	s_mov_b32 s1, exec_lo
	v_readlane_b32 s8, v76, 2
	s_and_b32 s8, s1, s8
	s_delay_alu instid0(SALU_CYCLE_1)
	s_mov_b32 exec_lo, s8
; %bb.241:                              ;   in Loop: Header=BB13_3 Depth=1
	v_xor_b32_e32 v25, 0x80000000, v24
	ds_store_b32 v43, v25
; %bb.242:                              ;   in Loop: Header=BB13_3 Depth=1
	s_or_b32 exec_lo, exec_lo, s1
	s_wait_loadcnt_dscnt 0x0
	s_barrier_signal -1
	s_barrier_wait -1
	s_mov_b32 s1, exec_lo
	v_readlane_b32 s8, v76, 3
	s_and_b32 s8, s1, s8
	s_delay_alu instid0(SALU_CYCLE_1)
	s_mov_b32 exec_lo, s8
	s_cbranch_execz .LBB13_244
; %bb.243:                              ;   in Loop: Header=BB13_3 Depth=1
	ds_load_b32 v25, v42 offset:12160
	ds_load_b32 v26, v43
	s_wait_dscnt 0x0
	v_fma_f32 v24, -v25, v26, v24
.LBB13_244:                             ;   in Loop: Header=BB13_3 Depth=1
	s_or_b32 exec_lo, exec_lo, s1
	s_barrier_signal -1
	s_barrier_wait -1
	s_mov_b32 s1, exec_lo
	v_readlane_b32 s8, v76, 4
	s_and_b32 s8, s1, s8
	s_delay_alu instid0(SALU_CYCLE_1)
	s_mov_b32 exec_lo, s8
; %bb.245:                              ;   in Loop: Header=BB13_3 Depth=1
	v_xor_b32_e32 v25, 0x80000000, v24
	ds_store_b32 v43, v25
; %bb.246:                              ;   in Loop: Header=BB13_3 Depth=1
	s_or_b32 exec_lo, exec_lo, s1
	s_wait_dscnt 0x0
	s_barrier_signal -1
	s_barrier_wait -1
	s_mov_b32 s1, exec_lo
	v_readlane_b32 s8, v76, 5
	s_and_b32 s8, s1, s8
	s_delay_alu instid0(SALU_CYCLE_1)
	s_mov_b32 exec_lo, s8
	s_cbranch_execz .LBB13_248
; %bb.247:                              ;   in Loop: Header=BB13_3 Depth=1
	ds_load_b32 v25, v42 offset:11904
	ds_load_b32 v26, v43
	s_wait_dscnt 0x0
	v_fma_f32 v24, -v25, v26, v24
.LBB13_248:                             ;   in Loop: Header=BB13_3 Depth=1
	s_or_b32 exec_lo, exec_lo, s1
	s_barrier_signal -1
	s_barrier_wait -1
	s_mov_b32 s1, exec_lo
	v_readlane_b32 s8, v76, 6
	s_and_b32 s8, s1, s8
	s_delay_alu instid0(SALU_CYCLE_1)
	s_mov_b32 exec_lo, s8
; %bb.249:                              ;   in Loop: Header=BB13_3 Depth=1
	v_xor_b32_e32 v25, 0x80000000, v24
	ds_store_b32 v43, v25
; %bb.250:                              ;   in Loop: Header=BB13_3 Depth=1
	s_or_b32 exec_lo, exec_lo, s1
	s_wait_dscnt 0x0
	;; [unrolled: 28-line block ×4, first 2 shown]
	s_barrier_signal -1
	s_barrier_wait -1
	s_mov_b32 s1, exec_lo
	v_readlane_b32 s8, v76, 11
	s_and_b32 s8, s1, s8
	s_delay_alu instid0(SALU_CYCLE_1)
	s_mov_b32 exec_lo, s8
	s_cbranch_execz .LBB13_260
; %bb.259:                              ;   in Loop: Header=BB13_3 Depth=1
	ds_load_b32 v25, v42 offset:11136
	ds_load_b32 v26, v43
	s_wait_dscnt 0x0
	v_fma_f32 v24, -v25, v26, v24
.LBB13_260:                             ;   in Loop: Header=BB13_3 Depth=1
	s_or_b32 exec_lo, exec_lo, s1
	s_barrier_signal -1
	s_barrier_wait -1
	s_and_saveexec_b32 s1, s30
; %bb.261:                              ;   in Loop: Header=BB13_3 Depth=1
	v_xor_b32_e32 v25, 0x80000000, v24
	ds_store_b32 v43, v25
; %bb.262:                              ;   in Loop: Header=BB13_3 Depth=1
	s_or_b32 exec_lo, exec_lo, s1
	s_wait_dscnt 0x0
	s_barrier_signal -1
	s_barrier_wait -1
	s_and_saveexec_b32 s1, s57
	s_cbranch_execz .LBB13_264
; %bb.263:                              ;   in Loop: Header=BB13_3 Depth=1
	ds_load_b32 v25, v42 offset:10880
	ds_load_b32 v26, v43
	s_wait_dscnt 0x0
	v_fma_f32 v24, -v25, v26, v24
.LBB13_264:                             ;   in Loop: Header=BB13_3 Depth=1
	s_or_b32 exec_lo, exec_lo, s1
	s_barrier_signal -1
	s_barrier_wait -1
	s_and_saveexec_b32 s1, s26
; %bb.265:                              ;   in Loop: Header=BB13_3 Depth=1
	v_xor_b32_e32 v25, 0x80000000, v24
	ds_store_b32 v43, v25
; %bb.266:                              ;   in Loop: Header=BB13_3 Depth=1
	s_or_b32 exec_lo, exec_lo, s1
	s_wait_dscnt 0x0
	s_barrier_signal -1
	s_barrier_wait -1
	s_and_saveexec_b32 s1, s28
	;; [unrolled: 20-line block ×10, first 2 shown]
	s_cbranch_execz .LBB13_300
; %bb.299:                              ;   in Loop: Header=BB13_3 Depth=1
	ds_load_b32 v25, v7 offset:8576
	ds_load_b32 v26, v43
	s_wait_dscnt 0x0
	v_fma_f32 v24, -v25, v26, v24
.LBB13_300:                             ;   in Loop: Header=BB13_3 Depth=1
	s_or_b32 exec_lo, exec_lo, s1
	s_barrier_signal -1
	s_barrier_wait -1
	s_and_saveexec_b32 s1, s54
; %bb.301:                              ;   in Loop: Header=BB13_3 Depth=1
	v_xor_b32_e32 v25, 0x80000000, v24
	ds_store_b32 v43, v25
; %bb.302:                              ;   in Loop: Header=BB13_3 Depth=1
	s_or_b32 exec_lo, exec_lo, s1
	s_wait_dscnt 0x0
	s_barrier_signal -1
	s_barrier_wait -1
	s_barrier_signal -1
	s_barrier_wait -1
	s_and_saveexec_b32 s1, s5
; %bb.303:                              ;   in Loop: Header=BB13_3 Depth=1
	ds_store_b32 v46, v24 offset:16256
; %bb.304:                              ;   in Loop: Header=BB13_3 Depth=1
	s_or_b32 exec_lo, exec_lo, s1
	s_wait_dscnt 0x0
	s_barrier_signal -1
	s_barrier_wait -1
	s_barrier_signal -1
	s_barrier_wait -1
	s_and_saveexec_b32 s1, s11
; %bb.305:                              ;   in Loop: Header=BB13_3 Depth=1
	v_add_nc_u32_e64 v24, 0x2c00, 0
	ds_store_2addr_b32 v24, v60, v60 offset0:174 offset1:239
; %bb.306:                              ;   in Loop: Header=BB13_3 Depth=1
	s_or_b32 exec_lo, exec_lo, s1
	v_mov_b32_e32 v24, 0
	s_wait_dscnt 0x0
	s_barrier_signal -1
	s_barrier_wait -1
	global_wb scope:SCOPE_DEV
	s_wait_storecnt 0x0
	global_inv scope:SCOPE_DEV
	s_and_saveexec_b32 s1, s2
	s_cbranch_execz .LBB13_310
; %bb.307:                              ;   in Loop: Header=BB13_3 Depth=1
	ds_load_b32 v24, v31 offset:11952
	ds_load_b32 v25, v30 offset:12216
	s_wait_dscnt 0x0
	v_fma_f32 v24, v24, v25, 0
	s_and_saveexec_b32 s8, s12
	s_cbranch_execz .LBB13_309
; %bb.308:                              ;   in Loop: Header=BB13_3 Depth=1
	ds_load_b32 v25, v32 offset:12208
	ds_load_b32 v26, v7 offset:12220
	s_wait_dscnt 0x0
	v_fmac_f32_e32 v24, v25, v26
.LBB13_309:                             ;   in Loop: Header=BB13_3 Depth=1
	s_or_b32 exec_lo, exec_lo, s8
.LBB13_310:                             ;   in Loop: Header=BB13_3 Depth=1
	s_delay_alu instid0(SALU_CYCLE_1)
	s_or_b32 exec_lo, exec_lo, s1
	s_and_saveexec_b32 s1, s102
; %bb.311:                              ;   in Loop: Header=BB13_3 Depth=1
	s_delay_alu instid0(VALU_DEP_1)
	v_xor_b32_e32 v25, 0x80000000, v24
	ds_store_b32 v5, v25
; %bb.312:                              ;   in Loop: Header=BB13_3 Depth=1
	s_or_b32 exec_lo, exec_lo, s1
	s_wait_loadcnt_dscnt 0x0
	s_barrier_signal -1
	s_barrier_wait -1
	s_and_saveexec_b32 s1, s103
	s_cbranch_execz .LBB13_314
; %bb.313:                              ;   in Loop: Header=BB13_3 Depth=1
	ds_load_b32 v25, v7 offset:11696
	ds_load_b32 v26, v5
	s_wait_dscnt 0x0
	v_fma_f32 v24, -v25, v26, v24
.LBB13_314:                             ;   in Loop: Header=BB13_3 Depth=1
	s_or_b32 exec_lo, exec_lo, s1
	s_barrier_signal -1
	s_barrier_wait -1
	s_and_saveexec_b32 s1, s103
; %bb.315:                              ;   in Loop: Header=BB13_3 Depth=1
	v_xor_b32_e32 v25, 0x80000000, v24
	ds_store_b32 v5, v25
; %bb.316:                              ;   in Loop: Header=BB13_3 Depth=1
	s_or_b32 exec_lo, exec_lo, s1
	s_wait_dscnt 0x0
	s_barrier_signal -1
	s_barrier_wait -1
	s_barrier_signal -1
	s_barrier_wait -1
	s_and_saveexec_b32 s1, s2
; %bb.317:                              ;   in Loop: Header=BB13_3 Depth=1
	ds_store_b32 v34, v24 offset:12208
; %bb.318:                              ;   in Loop: Header=BB13_3 Depth=1
	s_or_b32 exec_lo, exec_lo, s1
	s_wait_dscnt 0x0
	s_barrier_signal -1
	s_barrier_wait -1
	s_barrier_signal -1
	s_barrier_wait -1
	s_and_saveexec_b32 s1, s11
; %bb.319:                              ;   in Loop: Header=BB13_3 Depth=1
	v_add_nc_u32_e64 v24, 0x2c00, 0
	ds_store_2addr_b32 v24, v60, v60 offset0:44 offset1:109
; %bb.320:                              ;   in Loop: Header=BB13_3 Depth=1
	s_or_b32 exec_lo, exec_lo, s1
	v_mov_b32_e32 v24, 0
	s_wait_dscnt 0x0
	s_barrier_signal -1
	s_barrier_wait -1
	global_wb scope:SCOPE_DEV
	s_wait_storecnt 0x0
	global_inv scope:SCOPE_DEV
	s_and_saveexec_b32 s1, s3
	s_cbranch_execz .LBB13_326
; %bb.321:                              ;   in Loop: Header=BB13_3 Depth=1
	ds_load_b32 v24, v33 offset:11424
	ds_load_b32 v25, v36 offset:12208
	s_wait_dscnt 0x0
	v_fma_f32 v24, v24, v25, 0
	s_and_saveexec_b32 s8, s13
	s_cbranch_execnz .LBB13_1127
; %bb.322:                              ;   in Loop: Header=BB13_3 Depth=1
	s_or_b32 exec_lo, exec_lo, s8
	s_and_saveexec_b32 s8, s14
	s_cbranch_execnz .LBB13_1128
.LBB13_323:                             ;   in Loop: Header=BB13_3 Depth=1
	s_or_b32 exec_lo, exec_lo, s8
	s_and_saveexec_b32 s8, s2
	s_cbranch_execz .LBB13_325
.LBB13_324:                             ;   in Loop: Header=BB13_3 Depth=1
	ds_load_b32 v25, v32 offset:12192
	ds_load_b32 v26, v7 offset:12220
	s_wait_dscnt 0x0
	v_fmac_f32_e32 v24, v25, v26
.LBB13_325:                             ;   in Loop: Header=BB13_3 Depth=1
	s_or_b32 exec_lo, exec_lo, s8
.LBB13_326:                             ;   in Loop: Header=BB13_3 Depth=1
	s_delay_alu instid0(SALU_CYCLE_1)
	s_or_b32 exec_lo, exec_lo, s1
	s_and_saveexec_b32 s1, s104
; %bb.327:                              ;   in Loop: Header=BB13_3 Depth=1
	s_delay_alu instid0(VALU_DEP_1)
	v_xor_b32_e32 v25, 0x80000000, v24
	ds_store_b32 v35, v25
; %bb.328:                              ;   in Loop: Header=BB13_3 Depth=1
	s_or_b32 exec_lo, exec_lo, s1
	s_wait_loadcnt_dscnt 0x0
	s_barrier_signal -1
	s_barrier_wait -1
	s_and_saveexec_b32 s1, vcc_hi
	s_cbranch_execz .LBB13_330
; %bb.329:                              ;   in Loop: Header=BB13_3 Depth=1
	ds_load_b32 v25, v33 offset:11168
	ds_load_b32 v26, v35
	s_wait_dscnt 0x0
	v_fma_f32 v24, -v25, v26, v24
.LBB13_330:                             ;   in Loop: Header=BB13_3 Depth=1
	s_or_b32 exec_lo, exec_lo, s1
	s_barrier_signal -1
	s_barrier_wait -1
	s_and_saveexec_b32 s1, s31
; %bb.331:                              ;   in Loop: Header=BB13_3 Depth=1
	v_xor_b32_e32 v25, 0x80000000, v24
	ds_store_b32 v35, v25
; %bb.332:                              ;   in Loop: Header=BB13_3 Depth=1
	s_or_b32 exec_lo, exec_lo, s1
	s_wait_dscnt 0x0
	s_barrier_signal -1
	s_barrier_wait -1
	s_and_saveexec_b32 s1, s33
	s_cbranch_execz .LBB13_334
; %bb.333:                              ;   in Loop: Header=BB13_3 Depth=1
	ds_load_b32 v25, v33 offset:10912
	ds_load_b32 v26, v35
	s_wait_dscnt 0x0
	v_fma_f32 v24, -v25, v26, v24
.LBB13_334:                             ;   in Loop: Header=BB13_3 Depth=1
	s_or_b32 exec_lo, exec_lo, s1
	s_barrier_signal -1
	s_barrier_wait -1
	s_and_saveexec_b32 s1, s34
; %bb.335:                              ;   in Loop: Header=BB13_3 Depth=1
	v_xor_b32_e32 v25, 0x80000000, v24
	ds_store_b32 v35, v25
; %bb.336:                              ;   in Loop: Header=BB13_3 Depth=1
	s_or_b32 exec_lo, exec_lo, s1
	s_wait_dscnt 0x0
	s_barrier_signal -1
	s_barrier_wait -1
	s_and_saveexec_b32 s1, s35
	s_cbranch_execz .LBB13_338
; %bb.337:                              ;   in Loop: Header=BB13_3 Depth=1
	ds_load_b32 v25, v7 offset:10656
	ds_load_b32 v26, v35
	s_wait_dscnt 0x0
	v_fma_f32 v24, -v25, v26, v24
.LBB13_338:                             ;   in Loop: Header=BB13_3 Depth=1
	s_or_b32 exec_lo, exec_lo, s1
	s_barrier_signal -1
	s_barrier_wait -1
	s_and_saveexec_b32 s1, s35
; %bb.339:                              ;   in Loop: Header=BB13_3 Depth=1
	v_xor_b32_e32 v25, 0x80000000, v24
	ds_store_b32 v35, v25
; %bb.340:                              ;   in Loop: Header=BB13_3 Depth=1
	s_or_b32 exec_lo, exec_lo, s1
	s_wait_dscnt 0x0
	s_barrier_signal -1
	s_barrier_wait -1
	s_barrier_signal -1
	s_barrier_wait -1
	s_and_saveexec_b32 s1, s3
; %bb.341:                              ;   in Loop: Header=BB13_3 Depth=1
	ds_store_b32 v37, v24 offset:12192
; %bb.342:                              ;   in Loop: Header=BB13_3 Depth=1
	s_or_b32 exec_lo, exec_lo, s1
	s_wait_dscnt 0x0
	s_barrier_signal -1
	s_barrier_wait -1
	s_barrier_signal -1
	s_barrier_wait -1
	s_and_saveexec_b32 s1, s11
; %bb.343:                              ;   in Loop: Header=BB13_3 Depth=1
	v_add_nc_u32_e64 v24, 0x2800, 0
	ds_store_2addr_b32 v24, v60, v60 offset0:170 offset1:235
; %bb.344:                              ;   in Loop: Header=BB13_3 Depth=1
	s_or_b32 exec_lo, exec_lo, s1
	v_mov_b32_e32 v24, 0
	s_wait_dscnt 0x0
	s_barrier_signal -1
	s_barrier_wait -1
	global_wb scope:SCOPE_DEV
	s_wait_storecnt 0x0
	global_inv scope:SCOPE_DEV
	s_and_saveexec_b32 s1, s2
	s_cbranch_execz .LBB13_348
; %bb.345:                              ;   in Loop: Header=BB13_3 Depth=1
	ds_load_b32 v24, v31 offset:10912
	ds_load_b32 v25, v30 offset:11176
	s_wait_dscnt 0x0
	v_fma_f32 v24, v24, v25, 0
	s_and_saveexec_b32 s8, s12
	s_cbranch_execz .LBB13_347
; %bb.346:                              ;   in Loop: Header=BB13_3 Depth=1
	ds_load_b32 v25, v32 offset:11168
	ds_load_b32 v26, v7 offset:11180
	s_wait_dscnt 0x0
	v_fmac_f32_e32 v24, v25, v26
.LBB13_347:                             ;   in Loop: Header=BB13_3 Depth=1
	s_or_b32 exec_lo, exec_lo, s8
.LBB13_348:                             ;   in Loop: Header=BB13_3 Depth=1
	s_delay_alu instid0(SALU_CYCLE_1)
	s_or_b32 exec_lo, exec_lo, s1
	s_and_saveexec_b32 s1, s102
; %bb.349:                              ;   in Loop: Header=BB13_3 Depth=1
	s_delay_alu instid0(VALU_DEP_1)
	v_xor_b32_e32 v25, 0x80000000, v24
	ds_store_b32 v5, v25
; %bb.350:                              ;   in Loop: Header=BB13_3 Depth=1
	s_or_b32 exec_lo, exec_lo, s1
	s_wait_loadcnt_dscnt 0x0
	s_barrier_signal -1
	s_barrier_wait -1
	s_and_saveexec_b32 s1, s103
	s_cbranch_execz .LBB13_352
; %bb.351:                              ;   in Loop: Header=BB13_3 Depth=1
	ds_load_b32 v25, v7 offset:10656
	ds_load_b32 v26, v5
	s_wait_dscnt 0x0
	v_fma_f32 v24, -v25, v26, v24
.LBB13_352:                             ;   in Loop: Header=BB13_3 Depth=1
	s_or_b32 exec_lo, exec_lo, s1
	s_barrier_signal -1
	s_barrier_wait -1
	s_and_saveexec_b32 s1, s103
; %bb.353:                              ;   in Loop: Header=BB13_3 Depth=1
	v_xor_b32_e32 v25, 0x80000000, v24
	ds_store_b32 v5, v25
; %bb.354:                              ;   in Loop: Header=BB13_3 Depth=1
	s_or_b32 exec_lo, exec_lo, s1
	s_wait_dscnt 0x0
	s_barrier_signal -1
	s_barrier_wait -1
	s_barrier_signal -1
	s_barrier_wait -1
	s_and_saveexec_b32 s1, s2
; %bb.355:                              ;   in Loop: Header=BB13_3 Depth=1
	ds_store_b32 v34, v24 offset:11168
; %bb.356:                              ;   in Loop: Header=BB13_3 Depth=1
	s_or_b32 exec_lo, exec_lo, s1
	s_wait_dscnt 0x0
	s_barrier_signal -1
	s_barrier_wait -1
	s_barrier_signal -1
	s_barrier_wait -1
	s_and_saveexec_b32 s1, s11
; %bb.357:                              ;   in Loop: Header=BB13_3 Depth=1
	v_add_nc_u32_e64 v24, 0x2800, 0
	ds_store_2addr_b32 v24, v60, v60 offset0:40 offset1:105
; %bb.358:                              ;   in Loop: Header=BB13_3 Depth=1
	s_or_b32 exec_lo, exec_lo, s1
	v_mov_b32_e32 v24, 0
	s_wait_dscnt 0x0
	s_barrier_signal -1
	s_barrier_wait -1
	global_wb scope:SCOPE_DEV
	s_wait_storecnt 0x0
	global_inv scope:SCOPE_DEV
	s_and_saveexec_b32 s1, s4
	s_cbranch_execz .LBB13_368
; %bb.359:                              ;   in Loop: Header=BB13_3 Depth=1
	ds_load_b32 v24, v38 offset:10368
	ds_load_b32 v25, v40 offset:12192
	s_wait_dscnt 0x0
	v_fma_f32 v24, v24, v25, 0
	s_and_saveexec_b32 s8, s15
	s_cbranch_execnz .LBB13_1129
; %bb.360:                              ;   in Loop: Header=BB13_3 Depth=1
	s_or_b32 exec_lo, exec_lo, s8
	s_and_saveexec_b32 s8, s16
	s_cbranch_execnz .LBB13_1130
.LBB13_361:                             ;   in Loop: Header=BB13_3 Depth=1
	s_or_b32 exec_lo, exec_lo, s8
	s_and_saveexec_b32 s8, s17
	s_cbranch_execnz .LBB13_1131
.LBB13_362:                             ;   in Loop: Header=BB13_3 Depth=1
	s_or_b32 exec_lo, exec_lo, s8
	s_and_saveexec_b32 s8, s18
	s_cbranch_execnz .LBB13_1132
.LBB13_363:                             ;   in Loop: Header=BB13_3 Depth=1
	s_or_b32 exec_lo, exec_lo, s8
	s_and_saveexec_b32 s8, s19
	s_cbranch_execnz .LBB13_1133
.LBB13_364:                             ;   in Loop: Header=BB13_3 Depth=1
	s_or_b32 exec_lo, exec_lo, s8
	s_and_saveexec_b32 s8, s3
	s_cbranch_execnz .LBB13_1134
.LBB13_365:                             ;   in Loop: Header=BB13_3 Depth=1
	s_or_b32 exec_lo, exec_lo, s8
	s_and_saveexec_b32 s8, s14
	s_cbranch_execz .LBB13_367
.LBB13_366:                             ;   in Loop: Header=BB13_3 Depth=1
	ds_load_b32 v25, v32 offset:12160
	ds_load_b32 v26, v7 offset:12220
	s_wait_dscnt 0x0
	v_fmac_f32_e32 v24, v25, v26
.LBB13_367:                             ;   in Loop: Header=BB13_3 Depth=1
	s_or_b32 exec_lo, exec_lo, s8
.LBB13_368:                             ;   in Loop: Header=BB13_3 Depth=1
	s_delay_alu instid0(SALU_CYCLE_1)
	s_or_b32 exec_lo, exec_lo, s1
	s_and_saveexec_b32 s1, s36
; %bb.369:                              ;   in Loop: Header=BB13_3 Depth=1
	s_delay_alu instid0(VALU_DEP_1)
	v_xor_b32_e32 v25, 0x80000000, v24
	ds_store_b32 v39, v25
; %bb.370:                              ;   in Loop: Header=BB13_3 Depth=1
	s_or_b32 exec_lo, exec_lo, s1
	s_wait_loadcnt_dscnt 0x0
	s_barrier_signal -1
	s_barrier_wait -1
	s_and_saveexec_b32 s1, s37
	s_cbranch_execz .LBB13_372
; %bb.371:                              ;   in Loop: Header=BB13_3 Depth=1
	ds_load_b32 v25, v38 offset:10112
	ds_load_b32 v26, v39
	s_wait_dscnt 0x0
	v_fma_f32 v24, -v25, v26, v24
.LBB13_372:                             ;   in Loop: Header=BB13_3 Depth=1
	s_or_b32 exec_lo, exec_lo, s1
	s_barrier_signal -1
	s_barrier_wait -1
	s_and_saveexec_b32 s1, s38
; %bb.373:                              ;   in Loop: Header=BB13_3 Depth=1
	v_xor_b32_e32 v25, 0x80000000, v24
	ds_store_b32 v39, v25
; %bb.374:                              ;   in Loop: Header=BB13_3 Depth=1
	s_or_b32 exec_lo, exec_lo, s1
	s_wait_dscnt 0x0
	s_barrier_signal -1
	s_barrier_wait -1
	s_and_saveexec_b32 s1, s39
	s_cbranch_execz .LBB13_376
; %bb.375:                              ;   in Loop: Header=BB13_3 Depth=1
	ds_load_b32 v25, v38 offset:9856
	ds_load_b32 v26, v39
	s_wait_dscnt 0x0
	v_fma_f32 v24, -v25, v26, v24
.LBB13_376:                             ;   in Loop: Header=BB13_3 Depth=1
	s_or_b32 exec_lo, exec_lo, s1
	s_barrier_signal -1
	s_barrier_wait -1
	s_and_saveexec_b32 s1, s40
; %bb.377:                              ;   in Loop: Header=BB13_3 Depth=1
	v_xor_b32_e32 v25, 0x80000000, v24
	ds_store_b32 v39, v25
; %bb.378:                              ;   in Loop: Header=BB13_3 Depth=1
	s_or_b32 exec_lo, exec_lo, s1
	s_wait_dscnt 0x0
	;; [unrolled: 20-line block ×7, first 2 shown]
	s_barrier_signal -1
	s_barrier_wait -1
	s_barrier_signal -1
	s_barrier_wait -1
	s_and_saveexec_b32 s1, s4
; %bb.399:                              ;   in Loop: Header=BB13_3 Depth=1
	ds_store_b32 v41, v24 offset:12160
; %bb.400:                              ;   in Loop: Header=BB13_3 Depth=1
	s_or_b32 exec_lo, exec_lo, s1
	s_wait_dscnt 0x0
	s_barrier_signal -1
	s_barrier_wait -1
	s_barrier_signal -1
	s_barrier_wait -1
	s_and_saveexec_b32 s1, s11
; %bb.401:                              ;   in Loop: Header=BB13_3 Depth=1
	v_add_nc_u32_e64 v24, 0x2400, 0
	ds_store_2addr_b32 v24, v60, v60 offset0:166 offset1:231
; %bb.402:                              ;   in Loop: Header=BB13_3 Depth=1
	s_or_b32 exec_lo, exec_lo, s1
	v_mov_b32_e32 v24, 0
	s_wait_dscnt 0x0
	s_barrier_signal -1
	s_barrier_wait -1
	global_wb scope:SCOPE_DEV
	s_wait_storecnt 0x0
	global_inv scope:SCOPE_DEV
	s_and_saveexec_b32 s1, s2
	s_cbranch_execz .LBB13_406
; %bb.403:                              ;   in Loop: Header=BB13_3 Depth=1
	ds_load_b32 v24, v31 offset:9872
	ds_load_b32 v25, v30 offset:10136
	s_wait_dscnt 0x0
	v_fma_f32 v24, v24, v25, 0
	s_and_saveexec_b32 s8, s12
	s_cbranch_execz .LBB13_405
; %bb.404:                              ;   in Loop: Header=BB13_3 Depth=1
	ds_load_b32 v25, v32 offset:10128
	ds_load_b32 v26, v7 offset:10140
	s_wait_dscnt 0x0
	v_fmac_f32_e32 v24, v25, v26
.LBB13_405:                             ;   in Loop: Header=BB13_3 Depth=1
	s_or_b32 exec_lo, exec_lo, s8
.LBB13_406:                             ;   in Loop: Header=BB13_3 Depth=1
	s_delay_alu instid0(SALU_CYCLE_1)
	s_or_b32 exec_lo, exec_lo, s1
	s_and_saveexec_b32 s1, s102
; %bb.407:                              ;   in Loop: Header=BB13_3 Depth=1
	s_delay_alu instid0(VALU_DEP_1)
	v_xor_b32_e32 v25, 0x80000000, v24
	ds_store_b32 v5, v25
; %bb.408:                              ;   in Loop: Header=BB13_3 Depth=1
	s_or_b32 exec_lo, exec_lo, s1
	s_wait_loadcnt_dscnt 0x0
	s_barrier_signal -1
	s_barrier_wait -1
	s_and_saveexec_b32 s1, s103
	s_cbranch_execz .LBB13_410
; %bb.409:                              ;   in Loop: Header=BB13_3 Depth=1
	ds_load_b32 v25, v7 offset:9616
	ds_load_b32 v26, v5
	s_wait_dscnt 0x0
	v_fma_f32 v24, -v25, v26, v24
.LBB13_410:                             ;   in Loop: Header=BB13_3 Depth=1
	s_or_b32 exec_lo, exec_lo, s1
	s_barrier_signal -1
	s_barrier_wait -1
	s_and_saveexec_b32 s1, s103
; %bb.411:                              ;   in Loop: Header=BB13_3 Depth=1
	v_xor_b32_e32 v25, 0x80000000, v24
	ds_store_b32 v5, v25
; %bb.412:                              ;   in Loop: Header=BB13_3 Depth=1
	s_or_b32 exec_lo, exec_lo, s1
	s_wait_dscnt 0x0
	s_barrier_signal -1
	s_barrier_wait -1
	s_barrier_signal -1
	s_barrier_wait -1
	s_and_saveexec_b32 s1, s2
; %bb.413:                              ;   in Loop: Header=BB13_3 Depth=1
	ds_store_b32 v34, v24 offset:10128
; %bb.414:                              ;   in Loop: Header=BB13_3 Depth=1
	s_or_b32 exec_lo, exec_lo, s1
	s_wait_dscnt 0x0
	s_barrier_signal -1
	s_barrier_wait -1
	s_barrier_signal -1
	s_barrier_wait -1
	s_and_saveexec_b32 s1, s11
; %bb.415:                              ;   in Loop: Header=BB13_3 Depth=1
	v_add_nc_u32_e64 v24, 0x2400, 0
	ds_store_2addr_b32 v24, v60, v60 offset0:36 offset1:101
; %bb.416:                              ;   in Loop: Header=BB13_3 Depth=1
	s_or_b32 exec_lo, exec_lo, s1
	v_mov_b32_e32 v24, 0
	s_wait_dscnt 0x0
	s_barrier_signal -1
	s_barrier_wait -1
	global_wb scope:SCOPE_DEV
	s_wait_storecnt 0x0
	global_inv scope:SCOPE_DEV
	s_and_saveexec_b32 s1, s3
	s_cbranch_execz .LBB13_422
; %bb.417:                              ;   in Loop: Header=BB13_3 Depth=1
	ds_load_b32 v24, v33 offset:9344
	ds_load_b32 v25, v36 offset:10128
	s_wait_dscnt 0x0
	v_fma_f32 v24, v24, v25, 0
	s_and_saveexec_b32 s8, s13
	s_cbranch_execnz .LBB13_1135
; %bb.418:                              ;   in Loop: Header=BB13_3 Depth=1
	s_or_b32 exec_lo, exec_lo, s8
	s_and_saveexec_b32 s8, s14
	s_cbranch_execnz .LBB13_1136
.LBB13_419:                             ;   in Loop: Header=BB13_3 Depth=1
	s_or_b32 exec_lo, exec_lo, s8
	s_and_saveexec_b32 s8, s2
	s_cbranch_execz .LBB13_421
.LBB13_420:                             ;   in Loop: Header=BB13_3 Depth=1
	ds_load_b32 v25, v32 offset:10112
	ds_load_b32 v26, v7 offset:10140
	s_wait_dscnt 0x0
	v_fmac_f32_e32 v24, v25, v26
.LBB13_421:                             ;   in Loop: Header=BB13_3 Depth=1
	s_or_b32 exec_lo, exec_lo, s8
.LBB13_422:                             ;   in Loop: Header=BB13_3 Depth=1
	s_delay_alu instid0(SALU_CYCLE_1)
	s_or_b32 exec_lo, exec_lo, s1
	s_and_saveexec_b32 s1, s104
; %bb.423:                              ;   in Loop: Header=BB13_3 Depth=1
	s_delay_alu instid0(VALU_DEP_1)
	v_xor_b32_e32 v25, 0x80000000, v24
	ds_store_b32 v35, v25
; %bb.424:                              ;   in Loop: Header=BB13_3 Depth=1
	s_or_b32 exec_lo, exec_lo, s1
	s_wait_loadcnt_dscnt 0x0
	s_barrier_signal -1
	s_barrier_wait -1
	s_and_saveexec_b32 s1, vcc_hi
	s_cbranch_execz .LBB13_426
; %bb.425:                              ;   in Loop: Header=BB13_3 Depth=1
	ds_load_b32 v25, v33 offset:9088
	ds_load_b32 v26, v35
	s_wait_dscnt 0x0
	v_fma_f32 v24, -v25, v26, v24
.LBB13_426:                             ;   in Loop: Header=BB13_3 Depth=1
	s_or_b32 exec_lo, exec_lo, s1
	s_barrier_signal -1
	s_barrier_wait -1
	s_and_saveexec_b32 s1, s31
; %bb.427:                              ;   in Loop: Header=BB13_3 Depth=1
	v_xor_b32_e32 v25, 0x80000000, v24
	ds_store_b32 v35, v25
; %bb.428:                              ;   in Loop: Header=BB13_3 Depth=1
	s_or_b32 exec_lo, exec_lo, s1
	s_wait_dscnt 0x0
	s_barrier_signal -1
	s_barrier_wait -1
	s_and_saveexec_b32 s1, s33
	s_cbranch_execz .LBB13_430
; %bb.429:                              ;   in Loop: Header=BB13_3 Depth=1
	ds_load_b32 v25, v33 offset:8832
	ds_load_b32 v26, v35
	s_wait_dscnt 0x0
	v_fma_f32 v24, -v25, v26, v24
.LBB13_430:                             ;   in Loop: Header=BB13_3 Depth=1
	s_or_b32 exec_lo, exec_lo, s1
	s_barrier_signal -1
	s_barrier_wait -1
	s_and_saveexec_b32 s1, s34
; %bb.431:                              ;   in Loop: Header=BB13_3 Depth=1
	v_xor_b32_e32 v25, 0x80000000, v24
	ds_store_b32 v35, v25
; %bb.432:                              ;   in Loop: Header=BB13_3 Depth=1
	s_or_b32 exec_lo, exec_lo, s1
	s_wait_dscnt 0x0
	s_barrier_signal -1
	s_barrier_wait -1
	s_and_saveexec_b32 s1, s35
	s_cbranch_execz .LBB13_434
; %bb.433:                              ;   in Loop: Header=BB13_3 Depth=1
	ds_load_b32 v25, v7 offset:8576
	ds_load_b32 v26, v35
	s_wait_dscnt 0x0
	v_fma_f32 v24, -v25, v26, v24
.LBB13_434:                             ;   in Loop: Header=BB13_3 Depth=1
	s_or_b32 exec_lo, exec_lo, s1
	s_barrier_signal -1
	s_barrier_wait -1
	s_and_saveexec_b32 s1, s35
; %bb.435:                              ;   in Loop: Header=BB13_3 Depth=1
	v_xor_b32_e32 v25, 0x80000000, v24
	ds_store_b32 v35, v25
; %bb.436:                              ;   in Loop: Header=BB13_3 Depth=1
	s_or_b32 exec_lo, exec_lo, s1
	s_wait_dscnt 0x0
	s_barrier_signal -1
	s_barrier_wait -1
	s_barrier_signal -1
	s_barrier_wait -1
	s_and_saveexec_b32 s1, s3
; %bb.437:                              ;   in Loop: Header=BB13_3 Depth=1
	ds_store_b32 v37, v24 offset:10112
; %bb.438:                              ;   in Loop: Header=BB13_3 Depth=1
	s_or_b32 exec_lo, exec_lo, s1
	s_wait_dscnt 0x0
	s_barrier_signal -1
	s_barrier_wait -1
	s_barrier_signal -1
	s_barrier_wait -1
	s_and_saveexec_b32 s1, s11
; %bb.439:                              ;   in Loop: Header=BB13_3 Depth=1
	v_add_nc_u32_e64 v24, 0x2000, 0
	ds_store_2addr_b32 v24, v60, v60 offset0:162 offset1:227
; %bb.440:                              ;   in Loop: Header=BB13_3 Depth=1
	s_or_b32 exec_lo, exec_lo, s1
	v_mov_b32_e32 v24, 0
	s_wait_dscnt 0x0
	s_barrier_signal -1
	s_barrier_wait -1
	global_wb scope:SCOPE_DEV
	s_wait_storecnt 0x0
	global_inv scope:SCOPE_DEV
	s_and_saveexec_b32 s1, s2
	s_cbranch_execz .LBB13_444
; %bb.441:                              ;   in Loop: Header=BB13_3 Depth=1
	ds_load_b32 v24, v31 offset:8832
	ds_load_b32 v25, v30 offset:9096
	s_wait_dscnt 0x0
	v_fma_f32 v24, v24, v25, 0
	s_and_saveexec_b32 s8, s12
	s_cbranch_execz .LBB13_443
; %bb.442:                              ;   in Loop: Header=BB13_3 Depth=1
	ds_load_b32 v25, v32 offset:9088
	ds_load_b32 v26, v7 offset:9100
	s_wait_dscnt 0x0
	v_fmac_f32_e32 v24, v25, v26
.LBB13_443:                             ;   in Loop: Header=BB13_3 Depth=1
	s_or_b32 exec_lo, exec_lo, s8
.LBB13_444:                             ;   in Loop: Header=BB13_3 Depth=1
	s_delay_alu instid0(SALU_CYCLE_1)
	s_or_b32 exec_lo, exec_lo, s1
	s_and_saveexec_b32 s1, s102
; %bb.445:                              ;   in Loop: Header=BB13_3 Depth=1
	s_delay_alu instid0(VALU_DEP_1)
	v_xor_b32_e32 v25, 0x80000000, v24
	ds_store_b32 v5, v25
; %bb.446:                              ;   in Loop: Header=BB13_3 Depth=1
	s_or_b32 exec_lo, exec_lo, s1
	s_wait_loadcnt_dscnt 0x0
	s_barrier_signal -1
	s_barrier_wait -1
	s_and_saveexec_b32 s1, s103
	s_cbranch_execz .LBB13_448
; %bb.447:                              ;   in Loop: Header=BB13_3 Depth=1
	ds_load_b32 v25, v7 offset:8576
	ds_load_b32 v26, v5
	s_wait_dscnt 0x0
	v_fma_f32 v24, -v25, v26, v24
.LBB13_448:                             ;   in Loop: Header=BB13_3 Depth=1
	s_or_b32 exec_lo, exec_lo, s1
	s_barrier_signal -1
	s_barrier_wait -1
	s_and_saveexec_b32 s1, s103
; %bb.449:                              ;   in Loop: Header=BB13_3 Depth=1
	v_xor_b32_e32 v25, 0x80000000, v24
	ds_store_b32 v5, v25
; %bb.450:                              ;   in Loop: Header=BB13_3 Depth=1
	s_or_b32 exec_lo, exec_lo, s1
	s_wait_dscnt 0x0
	s_barrier_signal -1
	s_barrier_wait -1
	s_barrier_signal -1
	s_barrier_wait -1
	s_and_saveexec_b32 s1, s2
; %bb.451:                              ;   in Loop: Header=BB13_3 Depth=1
	ds_store_b32 v34, v24 offset:9088
; %bb.452:                              ;   in Loop: Header=BB13_3 Depth=1
	s_or_b32 exec_lo, exec_lo, s1
	s_wait_dscnt 0x0
	s_barrier_signal -1
	s_barrier_wait -1
	s_barrier_signal -1
	s_barrier_wait -1
	s_and_saveexec_b32 s1, s11
; %bb.453:                              ;   in Loop: Header=BB13_3 Depth=1
	v_add_nc_u32_e64 v24, 0x2000, 0
	ds_store_2addr_b32 v24, v60, v60 offset0:32 offset1:97
; %bb.454:                              ;   in Loop: Header=BB13_3 Depth=1
	s_or_b32 exec_lo, exec_lo, s1
	v_mov_b32_e32 v24, 0
	s_wait_dscnt 0x0
	s_barrier_signal -1
	s_barrier_wait -1
	global_wb scope:SCOPE_DEV
	s_wait_storecnt 0x0
	global_inv scope:SCOPE_DEV
	s_and_saveexec_b32 s94, s6
	s_cbranch_execz .LBB13_516
; %bb.455:                              ;   in Loop: Header=BB13_3 Depth=1
	ds_load_b32 v24, v44 offset:8192
	ds_load_b32 v25, v48 offset:16256
	s_wait_dscnt 0x0
	v_fma_f32 v24, v24, v25, 0
	s_mov_b32 s1, exec_lo
	v_readlane_b32 s8, v73, 3
	s_and_b32 s8, s1, s8
	s_delay_alu instid0(SALU_CYCLE_1)
	s_mov_b32 exec_lo, s8
	s_cbranch_execz .LBB13_457
; %bb.456:                              ;   in Loop: Header=BB13_3 Depth=1
	ds_load_b32 v25, v44 offset:8448
	ds_load_b32 v26, v48 offset:16260
	s_wait_dscnt 0x0
	v_fmac_f32_e32 v24, v25, v26
.LBB13_457:                             ;   in Loop: Header=BB13_3 Depth=1
	s_or_b32 exec_lo, exec_lo, s1
	s_delay_alu instid0(SALU_CYCLE_1) | instskip(SKIP_2) | instid1(SALU_CYCLE_1)
	s_mov_b32 s1, exec_lo
	v_readlane_b32 s8, v73, 4
	s_and_b32 s8, s1, s8
	s_mov_b32 exec_lo, s8
	s_cbranch_execz .LBB13_459
; %bb.458:                              ;   in Loop: Header=BB13_3 Depth=1
	ds_load_b32 v25, v44 offset:8704
	ds_load_b32 v26, v48 offset:16264
	s_wait_dscnt 0x0
	v_fmac_f32_e32 v24, v25, v26
.LBB13_459:                             ;   in Loop: Header=BB13_3 Depth=1
	s_or_b32 exec_lo, exec_lo, s1
	s_delay_alu instid0(SALU_CYCLE_1) | instskip(SKIP_2) | instid1(SALU_CYCLE_1)
	s_mov_b32 s1, exec_lo
	v_readlane_b32 s8, v73, 5
	s_and_b32 s8, s1, s8
	;; [unrolled: 13-line block ×22, first 2 shown]
	s_mov_b32 exec_lo, s8
	s_cbranch_execz .LBB13_501
; %bb.500:                              ;   in Loop: Header=BB13_3 Depth=1
	ds_load_b32 v25, v44 offset:14080
	ds_load_b32 v26, v48 offset:16348
	s_wait_dscnt 0x0
	v_fmac_f32_e32 v24, v25, v26
.LBB13_501:                             ;   in Loop: Header=BB13_3 Depth=1
	s_or_b32 exec_lo, exec_lo, s1
	s_and_saveexec_b32 s1, s5
	s_cbranch_execz .LBB13_503
; %bb.502:                              ;   in Loop: Header=BB13_3 Depth=1
	ds_load_b32 v25, v44 offset:14336
	ds_load_b32 v26, v48 offset:16352
	s_wait_dscnt 0x0
	v_fmac_f32_e32 v24, v25, v26
.LBB13_503:                             ;   in Loop: Header=BB13_3 Depth=1
	s_or_b32 exec_lo, exec_lo, s1
	s_delay_alu instid0(SALU_CYCLE_1) | instskip(SKIP_2) | instid1(SALU_CYCLE_1)
	s_mov_b32 s1, exec_lo
	v_readlane_b32 s8, v74, 25
	s_and_b32 s8, s1, s8
	s_mov_b32 exec_lo, s8
	s_cbranch_execz .LBB13_505
; %bb.504:                              ;   in Loop: Header=BB13_3 Depth=1
	ds_load_b32 v25, v44 offset:14592
	ds_load_b32 v26, v48 offset:16356
	s_wait_dscnt 0x0
	v_fmac_f32_e32 v24, v25, v26
.LBB13_505:                             ;   in Loop: Header=BB13_3 Depth=1
	s_or_b32 exec_lo, exec_lo, s1
	s_delay_alu instid0(SALU_CYCLE_1) | instskip(SKIP_2) | instid1(SALU_CYCLE_1)
	s_mov_b32 s1, exec_lo
	v_readlane_b32 s8, v74, 27
	s_and_b32 s8, s1, s8
	s_mov_b32 exec_lo, s8
	;; [unrolled: 13-line block ×5, first 2 shown]
	s_cbranch_execnz .LBB13_1137
; %bb.512:                              ;   in Loop: Header=BB13_3 Depth=1
	s_or_b32 exec_lo, exec_lo, s1
	s_and_saveexec_b32 s1, s4
	s_cbranch_execnz .LBB13_1138
.LBB13_513:                             ;   in Loop: Header=BB13_3 Depth=1
	s_or_b32 exec_lo, exec_lo, s1
	s_and_saveexec_b32 s1, s18
	s_cbranch_execz .LBB13_515
.LBB13_514:                             ;   in Loop: Header=BB13_3 Depth=1
	ds_load_b32 v25, v32 offset:16128
	ds_load_b32 v26, v7 offset:16380
	s_wait_dscnt 0x0
	v_fmac_f32_e32 v24, v25, v26
.LBB13_515:                             ;   in Loop: Header=BB13_3 Depth=1
	s_or_b32 exec_lo, exec_lo, s1
.LBB13_516:                             ;   in Loop: Header=BB13_3 Depth=1
	s_delay_alu instid0(SALU_CYCLE_1) | instskip(NEXT) | instid1(SALU_CYCLE_1)
	s_or_b32 exec_lo, exec_lo, s94
	s_mov_b32 s1, exec_lo
	v_readlane_b32 s8, v76, 12
	s_and_b32 s8, s1, s8
	s_delay_alu instid0(SALU_CYCLE_1)
	s_mov_b32 exec_lo, s8
; %bb.517:                              ;   in Loop: Header=BB13_3 Depth=1
	v_xor_b32_e32 v25, 0x80000000, v24
	ds_store_b32 v47, v25
; %bb.518:                              ;   in Loop: Header=BB13_3 Depth=1
	s_or_b32 exec_lo, exec_lo, s1
	s_wait_loadcnt_dscnt 0x0
	s_barrier_signal -1
	s_barrier_wait -1
	s_mov_b32 s1, exec_lo
	v_readlane_b32 s8, v76, 13
	s_and_b32 s8, s1, s8
	s_delay_alu instid0(SALU_CYCLE_1)
	s_mov_b32 exec_lo, s8
	s_cbranch_execz .LBB13_520
; %bb.519:                              ;   in Loop: Header=BB13_3 Depth=1
	ds_load_b32 v25, v44 offset:7936
	ds_load_b32 v26, v47
	s_wait_dscnt 0x0
	v_fma_f32 v24, -v25, v26, v24
.LBB13_520:                             ;   in Loop: Header=BB13_3 Depth=1
	s_or_b32 exec_lo, exec_lo, s1
	s_barrier_signal -1
	s_barrier_wait -1
	s_mov_b32 s1, exec_lo
	v_readlane_b32 s8, v76, 14
	s_and_b32 s8, s1, s8
	s_delay_alu instid0(SALU_CYCLE_1)
	s_mov_b32 exec_lo, s8
; %bb.521:                              ;   in Loop: Header=BB13_3 Depth=1
	v_xor_b32_e32 v25, 0x80000000, v24
	ds_store_b32 v47, v25
; %bb.522:                              ;   in Loop: Header=BB13_3 Depth=1
	s_or_b32 exec_lo, exec_lo, s1
	s_wait_dscnt 0x0
	s_barrier_signal -1
	s_barrier_wait -1
	s_mov_b32 s1, exec_lo
	v_readlane_b32 s8, v76, 15
	s_and_b32 s8, s1, s8
	s_delay_alu instid0(SALU_CYCLE_1)
	s_mov_b32 exec_lo, s8
	s_cbranch_execz .LBB13_524
; %bb.523:                              ;   in Loop: Header=BB13_3 Depth=1
	ds_load_b32 v25, v44 offset:7680
	ds_load_b32 v26, v47
	s_wait_dscnt 0x0
	v_fma_f32 v24, -v25, v26, v24
.LBB13_524:                             ;   in Loop: Header=BB13_3 Depth=1
	s_or_b32 exec_lo, exec_lo, s1
	s_barrier_signal -1
	s_barrier_wait -1
	s_mov_b32 s1, exec_lo
	v_readlane_b32 s8, v76, 16
	s_and_b32 s8, s1, s8
	s_delay_alu instid0(SALU_CYCLE_1)
	s_mov_b32 exec_lo, s8
; %bb.525:                              ;   in Loop: Header=BB13_3 Depth=1
	v_xor_b32_e32 v25, 0x80000000, v24
	ds_store_b32 v47, v25
; %bb.526:                              ;   in Loop: Header=BB13_3 Depth=1
	s_or_b32 exec_lo, exec_lo, s1
	s_wait_dscnt 0x0
	;; [unrolled: 28-line block ×30, first 2 shown]
	s_barrier_signal -1
	s_barrier_wait -1
	s_and_saveexec_b32 s1, s10
	s_cbranch_execz .LBB13_640
; %bb.639:                              ;   in Loop: Header=BB13_3 Depth=1
	ds_load_b32 v25, v7 offset:256
	ds_load_b32 v26, v47
	s_wait_dscnt 0x0
	v_fma_f32 v24, -v25, v26, v24
.LBB13_640:                             ;   in Loop: Header=BB13_3 Depth=1
	s_or_b32 exec_lo, exec_lo, s1
	s_barrier_signal -1
	s_barrier_wait -1
	s_and_saveexec_b32 s1, s10
; %bb.641:                              ;   in Loop: Header=BB13_3 Depth=1
	v_xor_b32_e32 v25, 0x80000000, v24
	ds_store_b32 v47, v25
; %bb.642:                              ;   in Loop: Header=BB13_3 Depth=1
	s_or_b32 exec_lo, exec_lo, s1
	s_wait_dscnt 0x0
	s_barrier_signal -1
	s_barrier_wait -1
	s_barrier_signal -1
	s_barrier_wait -1
	s_and_saveexec_b32 s1, s6
; %bb.643:                              ;   in Loop: Header=BB13_3 Depth=1
	ds_store_b32 v49, v24 offset:16128
; %bb.644:                              ;   in Loop: Header=BB13_3 Depth=1
	s_or_b32 exec_lo, exec_lo, s1
	s_wait_dscnt 0x0
	s_barrier_signal -1
	s_barrier_wait -1
	s_barrier_signal -1
	s_barrier_wait -1
	s_and_saveexec_b32 s1, s11
; %bb.645:                              ;   in Loop: Header=BB13_3 Depth=1
	v_add_nc_u32_e64 v24, 0x1c00, 0
	ds_store_2addr_b32 v24, v60, v60 offset0:158 offset1:223
; %bb.646:                              ;   in Loop: Header=BB13_3 Depth=1
	s_or_b32 exec_lo, exec_lo, s1
	v_mov_b32_e32 v24, 0
	s_wait_dscnt 0x0
	s_barrier_signal -1
	s_barrier_wait -1
	global_wb scope:SCOPE_DEV
	s_wait_storecnt 0x0
	global_inv scope:SCOPE_DEV
	s_and_saveexec_b32 s1, s2
	s_cbranch_execz .LBB13_650
; %bb.647:                              ;   in Loop: Header=BB13_3 Depth=1
	ds_load_b32 v24, v31 offset:7792
	ds_load_b32 v25, v30 offset:8056
	s_wait_dscnt 0x0
	v_fma_f32 v24, v24, v25, 0
	s_and_saveexec_b32 s8, s12
	s_cbranch_execz .LBB13_649
; %bb.648:                              ;   in Loop: Header=BB13_3 Depth=1
	ds_load_b32 v25, v32 offset:8048
	ds_load_b32 v26, v7 offset:8060
	s_wait_dscnt 0x0
	v_fmac_f32_e32 v24, v25, v26
.LBB13_649:                             ;   in Loop: Header=BB13_3 Depth=1
	s_or_b32 exec_lo, exec_lo, s8
.LBB13_650:                             ;   in Loop: Header=BB13_3 Depth=1
	s_delay_alu instid0(SALU_CYCLE_1)
	s_or_b32 exec_lo, exec_lo, s1
	s_and_saveexec_b32 s1, s102
; %bb.651:                              ;   in Loop: Header=BB13_3 Depth=1
	s_delay_alu instid0(VALU_DEP_1)
	v_xor_b32_e32 v25, 0x80000000, v24
	ds_store_b32 v5, v25
; %bb.652:                              ;   in Loop: Header=BB13_3 Depth=1
	s_or_b32 exec_lo, exec_lo, s1
	s_wait_loadcnt_dscnt 0x0
	s_barrier_signal -1
	s_barrier_wait -1
	s_and_saveexec_b32 s1, s103
	s_cbranch_execz .LBB13_654
; %bb.653:                              ;   in Loop: Header=BB13_3 Depth=1
	ds_load_b32 v25, v7 offset:7536
	ds_load_b32 v26, v5
	s_wait_dscnt 0x0
	v_fma_f32 v24, -v25, v26, v24
.LBB13_654:                             ;   in Loop: Header=BB13_3 Depth=1
	s_or_b32 exec_lo, exec_lo, s1
	s_barrier_signal -1
	s_barrier_wait -1
	s_and_saveexec_b32 s1, s103
; %bb.655:                              ;   in Loop: Header=BB13_3 Depth=1
	v_xor_b32_e32 v25, 0x80000000, v24
	ds_store_b32 v5, v25
; %bb.656:                              ;   in Loop: Header=BB13_3 Depth=1
	s_or_b32 exec_lo, exec_lo, s1
	s_wait_dscnt 0x0
	s_barrier_signal -1
	s_barrier_wait -1
	s_barrier_signal -1
	s_barrier_wait -1
	s_and_saveexec_b32 s1, s2
; %bb.657:                              ;   in Loop: Header=BB13_3 Depth=1
	ds_store_b32 v34, v24 offset:8048
; %bb.658:                              ;   in Loop: Header=BB13_3 Depth=1
	s_or_b32 exec_lo, exec_lo, s1
	s_wait_dscnt 0x0
	s_barrier_signal -1
	s_barrier_wait -1
	s_barrier_signal -1
	s_barrier_wait -1
	s_and_saveexec_b32 s1, s11
; %bb.659:                              ;   in Loop: Header=BB13_3 Depth=1
	v_add_nc_u32_e64 v24, 0x1c00, 0
	ds_store_2addr_b32 v24, v60, v60 offset0:28 offset1:93
; %bb.660:                              ;   in Loop: Header=BB13_3 Depth=1
	s_or_b32 exec_lo, exec_lo, s1
	v_mov_b32_e32 v24, 0
	s_wait_dscnt 0x0
	s_barrier_signal -1
	s_barrier_wait -1
	global_wb scope:SCOPE_DEV
	s_wait_storecnt 0x0
	global_inv scope:SCOPE_DEV
	s_and_saveexec_b32 s1, s3
	s_cbranch_execz .LBB13_666
; %bb.661:                              ;   in Loop: Header=BB13_3 Depth=1
	ds_load_b32 v24, v33 offset:7264
	ds_load_b32 v25, v36 offset:8048
	s_wait_dscnt 0x0
	v_fma_f32 v24, v24, v25, 0
	s_and_saveexec_b32 s8, s13
	s_cbranch_execnz .LBB13_1139
; %bb.662:                              ;   in Loop: Header=BB13_3 Depth=1
	s_or_b32 exec_lo, exec_lo, s8
	s_and_saveexec_b32 s8, s14
	s_cbranch_execnz .LBB13_1140
.LBB13_663:                             ;   in Loop: Header=BB13_3 Depth=1
	s_or_b32 exec_lo, exec_lo, s8
	s_and_saveexec_b32 s8, s2
	s_cbranch_execz .LBB13_665
.LBB13_664:                             ;   in Loop: Header=BB13_3 Depth=1
	ds_load_b32 v25, v32 offset:8032
	ds_load_b32 v26, v7 offset:8060
	s_wait_dscnt 0x0
	v_fmac_f32_e32 v24, v25, v26
.LBB13_665:                             ;   in Loop: Header=BB13_3 Depth=1
	s_or_b32 exec_lo, exec_lo, s8
.LBB13_666:                             ;   in Loop: Header=BB13_3 Depth=1
	s_delay_alu instid0(SALU_CYCLE_1)
	s_or_b32 exec_lo, exec_lo, s1
	s_and_saveexec_b32 s1, s104
; %bb.667:                              ;   in Loop: Header=BB13_3 Depth=1
	s_delay_alu instid0(VALU_DEP_1)
	v_xor_b32_e32 v25, 0x80000000, v24
	ds_store_b32 v35, v25
; %bb.668:                              ;   in Loop: Header=BB13_3 Depth=1
	s_or_b32 exec_lo, exec_lo, s1
	s_wait_loadcnt_dscnt 0x0
	s_barrier_signal -1
	s_barrier_wait -1
	s_and_saveexec_b32 s1, vcc_hi
	s_cbranch_execz .LBB13_670
; %bb.669:                              ;   in Loop: Header=BB13_3 Depth=1
	ds_load_b32 v25, v33 offset:7008
	ds_load_b32 v26, v35
	s_wait_dscnt 0x0
	v_fma_f32 v24, -v25, v26, v24
.LBB13_670:                             ;   in Loop: Header=BB13_3 Depth=1
	s_or_b32 exec_lo, exec_lo, s1
	s_barrier_signal -1
	s_barrier_wait -1
	s_and_saveexec_b32 s1, s31
; %bb.671:                              ;   in Loop: Header=BB13_3 Depth=1
	v_xor_b32_e32 v25, 0x80000000, v24
	ds_store_b32 v35, v25
; %bb.672:                              ;   in Loop: Header=BB13_3 Depth=1
	s_or_b32 exec_lo, exec_lo, s1
	s_wait_dscnt 0x0
	s_barrier_signal -1
	s_barrier_wait -1
	s_and_saveexec_b32 s1, s33
	s_cbranch_execz .LBB13_674
; %bb.673:                              ;   in Loop: Header=BB13_3 Depth=1
	ds_load_b32 v25, v33 offset:6752
	ds_load_b32 v26, v35
	s_wait_dscnt 0x0
	v_fma_f32 v24, -v25, v26, v24
.LBB13_674:                             ;   in Loop: Header=BB13_3 Depth=1
	s_or_b32 exec_lo, exec_lo, s1
	s_barrier_signal -1
	s_barrier_wait -1
	s_and_saveexec_b32 s1, s34
; %bb.675:                              ;   in Loop: Header=BB13_3 Depth=1
	v_xor_b32_e32 v25, 0x80000000, v24
	ds_store_b32 v35, v25
; %bb.676:                              ;   in Loop: Header=BB13_3 Depth=1
	s_or_b32 exec_lo, exec_lo, s1
	s_wait_dscnt 0x0
	s_barrier_signal -1
	s_barrier_wait -1
	s_and_saveexec_b32 s1, s35
	s_cbranch_execz .LBB13_678
; %bb.677:                              ;   in Loop: Header=BB13_3 Depth=1
	ds_load_b32 v25, v7 offset:6496
	ds_load_b32 v26, v35
	s_wait_dscnt 0x0
	v_fma_f32 v24, -v25, v26, v24
.LBB13_678:                             ;   in Loop: Header=BB13_3 Depth=1
	s_or_b32 exec_lo, exec_lo, s1
	s_barrier_signal -1
	s_barrier_wait -1
	s_and_saveexec_b32 s1, s35
; %bb.679:                              ;   in Loop: Header=BB13_3 Depth=1
	v_xor_b32_e32 v25, 0x80000000, v24
	ds_store_b32 v35, v25
; %bb.680:                              ;   in Loop: Header=BB13_3 Depth=1
	s_or_b32 exec_lo, exec_lo, s1
	s_wait_dscnt 0x0
	s_barrier_signal -1
	s_barrier_wait -1
	s_barrier_signal -1
	s_barrier_wait -1
	s_and_saveexec_b32 s1, s3
; %bb.681:                              ;   in Loop: Header=BB13_3 Depth=1
	ds_store_b32 v37, v24 offset:8032
; %bb.682:                              ;   in Loop: Header=BB13_3 Depth=1
	s_or_b32 exec_lo, exec_lo, s1
	s_wait_dscnt 0x0
	s_barrier_signal -1
	s_barrier_wait -1
	s_barrier_signal -1
	s_barrier_wait -1
	s_and_saveexec_b32 s1, s11
; %bb.683:                              ;   in Loop: Header=BB13_3 Depth=1
	v_add_nc_u32_e64 v24, 0x1800, 0
	ds_store_2addr_b32 v24, v60, v60 offset0:154 offset1:219
; %bb.684:                              ;   in Loop: Header=BB13_3 Depth=1
	s_or_b32 exec_lo, exec_lo, s1
	v_mov_b32_e32 v24, 0
	s_wait_dscnt 0x0
	s_barrier_signal -1
	s_barrier_wait -1
	global_wb scope:SCOPE_DEV
	s_wait_storecnt 0x0
	global_inv scope:SCOPE_DEV
	s_and_saveexec_b32 s1, s2
	s_cbranch_execz .LBB13_688
; %bb.685:                              ;   in Loop: Header=BB13_3 Depth=1
	ds_load_b32 v24, v31 offset:6752
	ds_load_b32 v25, v30 offset:7016
	s_wait_dscnt 0x0
	v_fma_f32 v24, v24, v25, 0
	s_and_saveexec_b32 s8, s12
	s_cbranch_execz .LBB13_687
; %bb.686:                              ;   in Loop: Header=BB13_3 Depth=1
	ds_load_b32 v25, v32 offset:7008
	ds_load_b32 v26, v7 offset:7020
	s_wait_dscnt 0x0
	v_fmac_f32_e32 v24, v25, v26
.LBB13_687:                             ;   in Loop: Header=BB13_3 Depth=1
	s_or_b32 exec_lo, exec_lo, s8
.LBB13_688:                             ;   in Loop: Header=BB13_3 Depth=1
	s_delay_alu instid0(SALU_CYCLE_1)
	s_or_b32 exec_lo, exec_lo, s1
	s_and_saveexec_b32 s1, s102
; %bb.689:                              ;   in Loop: Header=BB13_3 Depth=1
	s_delay_alu instid0(VALU_DEP_1)
	v_xor_b32_e32 v25, 0x80000000, v24
	ds_store_b32 v5, v25
; %bb.690:                              ;   in Loop: Header=BB13_3 Depth=1
	s_or_b32 exec_lo, exec_lo, s1
	s_wait_loadcnt_dscnt 0x0
	s_barrier_signal -1
	s_barrier_wait -1
	s_and_saveexec_b32 s1, s103
	s_cbranch_execz .LBB13_692
; %bb.691:                              ;   in Loop: Header=BB13_3 Depth=1
	ds_load_b32 v25, v7 offset:6496
	ds_load_b32 v26, v5
	s_wait_dscnt 0x0
	v_fma_f32 v24, -v25, v26, v24
.LBB13_692:                             ;   in Loop: Header=BB13_3 Depth=1
	s_or_b32 exec_lo, exec_lo, s1
	s_barrier_signal -1
	s_barrier_wait -1
	s_and_saveexec_b32 s1, s103
; %bb.693:                              ;   in Loop: Header=BB13_3 Depth=1
	v_xor_b32_e32 v25, 0x80000000, v24
	ds_store_b32 v5, v25
; %bb.694:                              ;   in Loop: Header=BB13_3 Depth=1
	s_or_b32 exec_lo, exec_lo, s1
	s_wait_dscnt 0x0
	s_barrier_signal -1
	s_barrier_wait -1
	s_barrier_signal -1
	s_barrier_wait -1
	s_and_saveexec_b32 s1, s2
; %bb.695:                              ;   in Loop: Header=BB13_3 Depth=1
	ds_store_b32 v34, v24 offset:7008
; %bb.696:                              ;   in Loop: Header=BB13_3 Depth=1
	s_or_b32 exec_lo, exec_lo, s1
	s_wait_dscnt 0x0
	s_barrier_signal -1
	s_barrier_wait -1
	s_barrier_signal -1
	s_barrier_wait -1
	s_and_saveexec_b32 s1, s11
; %bb.697:                              ;   in Loop: Header=BB13_3 Depth=1
	v_add_nc_u32_e64 v24, 0x1800, 0
	ds_store_2addr_b32 v24, v60, v60 offset0:24 offset1:89
; %bb.698:                              ;   in Loop: Header=BB13_3 Depth=1
	s_or_b32 exec_lo, exec_lo, s1
	v_mov_b32_e32 v24, 0
	s_wait_dscnt 0x0
	s_barrier_signal -1
	s_barrier_wait -1
	global_wb scope:SCOPE_DEV
	s_wait_storecnt 0x0
	global_inv scope:SCOPE_DEV
	s_and_saveexec_b32 s1, s4
	s_cbranch_execz .LBB13_708
; %bb.699:                              ;   in Loop: Header=BB13_3 Depth=1
	ds_load_b32 v24, v38 offset:6208
	ds_load_b32 v25, v40 offset:8032
	s_wait_dscnt 0x0
	v_fma_f32 v24, v24, v25, 0
	s_and_saveexec_b32 s8, s15
	s_cbranch_execnz .LBB13_1141
; %bb.700:                              ;   in Loop: Header=BB13_3 Depth=1
	s_or_b32 exec_lo, exec_lo, s8
	s_and_saveexec_b32 s8, s16
	s_cbranch_execnz .LBB13_1142
.LBB13_701:                             ;   in Loop: Header=BB13_3 Depth=1
	s_or_b32 exec_lo, exec_lo, s8
	s_and_saveexec_b32 s8, s17
	s_cbranch_execnz .LBB13_1143
.LBB13_702:                             ;   in Loop: Header=BB13_3 Depth=1
	s_or_b32 exec_lo, exec_lo, s8
	s_and_saveexec_b32 s8, s18
	s_cbranch_execnz .LBB13_1144
.LBB13_703:                             ;   in Loop: Header=BB13_3 Depth=1
	s_or_b32 exec_lo, exec_lo, s8
	s_and_saveexec_b32 s8, s19
	s_cbranch_execnz .LBB13_1145
.LBB13_704:                             ;   in Loop: Header=BB13_3 Depth=1
	s_or_b32 exec_lo, exec_lo, s8
	s_and_saveexec_b32 s8, s3
	s_cbranch_execnz .LBB13_1146
.LBB13_705:                             ;   in Loop: Header=BB13_3 Depth=1
	s_or_b32 exec_lo, exec_lo, s8
	s_and_saveexec_b32 s8, s14
	s_cbranch_execz .LBB13_707
.LBB13_706:                             ;   in Loop: Header=BB13_3 Depth=1
	ds_load_b32 v25, v32 offset:8000
	ds_load_b32 v26, v7 offset:8060
	s_wait_dscnt 0x0
	v_fmac_f32_e32 v24, v25, v26
.LBB13_707:                             ;   in Loop: Header=BB13_3 Depth=1
	s_or_b32 exec_lo, exec_lo, s8
.LBB13_708:                             ;   in Loop: Header=BB13_3 Depth=1
	s_delay_alu instid0(SALU_CYCLE_1)
	s_or_b32 exec_lo, exec_lo, s1
	s_and_saveexec_b32 s1, s36
; %bb.709:                              ;   in Loop: Header=BB13_3 Depth=1
	s_delay_alu instid0(VALU_DEP_1)
	v_xor_b32_e32 v25, 0x80000000, v24
	ds_store_b32 v39, v25
; %bb.710:                              ;   in Loop: Header=BB13_3 Depth=1
	s_or_b32 exec_lo, exec_lo, s1
	s_wait_loadcnt_dscnt 0x0
	s_barrier_signal -1
	s_barrier_wait -1
	s_and_saveexec_b32 s1, s37
	s_cbranch_execz .LBB13_712
; %bb.711:                              ;   in Loop: Header=BB13_3 Depth=1
	ds_load_b32 v25, v38 offset:5952
	ds_load_b32 v26, v39
	s_wait_dscnt 0x0
	v_fma_f32 v24, -v25, v26, v24
.LBB13_712:                             ;   in Loop: Header=BB13_3 Depth=1
	s_or_b32 exec_lo, exec_lo, s1
	s_barrier_signal -1
	s_barrier_wait -1
	s_and_saveexec_b32 s1, s38
; %bb.713:                              ;   in Loop: Header=BB13_3 Depth=1
	v_xor_b32_e32 v25, 0x80000000, v24
	ds_store_b32 v39, v25
; %bb.714:                              ;   in Loop: Header=BB13_3 Depth=1
	s_or_b32 exec_lo, exec_lo, s1
	s_wait_dscnt 0x0
	s_barrier_signal -1
	s_barrier_wait -1
	s_and_saveexec_b32 s1, s39
	s_cbranch_execz .LBB13_716
; %bb.715:                              ;   in Loop: Header=BB13_3 Depth=1
	ds_load_b32 v25, v38 offset:5696
	ds_load_b32 v26, v39
	s_wait_dscnt 0x0
	v_fma_f32 v24, -v25, v26, v24
.LBB13_716:                             ;   in Loop: Header=BB13_3 Depth=1
	s_or_b32 exec_lo, exec_lo, s1
	s_barrier_signal -1
	s_barrier_wait -1
	s_and_saveexec_b32 s1, s40
; %bb.717:                              ;   in Loop: Header=BB13_3 Depth=1
	v_xor_b32_e32 v25, 0x80000000, v24
	ds_store_b32 v39, v25
; %bb.718:                              ;   in Loop: Header=BB13_3 Depth=1
	s_or_b32 exec_lo, exec_lo, s1
	s_wait_dscnt 0x0
	;; [unrolled: 20-line block ×7, first 2 shown]
	s_barrier_signal -1
	s_barrier_wait -1
	s_barrier_signal -1
	s_barrier_wait -1
	s_and_saveexec_b32 s1, s4
; %bb.739:                              ;   in Loop: Header=BB13_3 Depth=1
	ds_store_b32 v41, v24 offset:8000
; %bb.740:                              ;   in Loop: Header=BB13_3 Depth=1
	s_or_b32 exec_lo, exec_lo, s1
	s_wait_dscnt 0x0
	s_barrier_signal -1
	s_barrier_wait -1
	s_barrier_signal -1
	s_barrier_wait -1
	s_and_saveexec_b32 s1, s11
; %bb.741:                              ;   in Loop: Header=BB13_3 Depth=1
	v_add_nc_u32_e64 v24, 0x1400, 0
	ds_store_2addr_b32 v24, v60, v60 offset0:150 offset1:215
; %bb.742:                              ;   in Loop: Header=BB13_3 Depth=1
	s_or_b32 exec_lo, exec_lo, s1
	v_mov_b32_e32 v24, 0
	s_wait_dscnt 0x0
	s_barrier_signal -1
	s_barrier_wait -1
	global_wb scope:SCOPE_DEV
	s_wait_storecnt 0x0
	global_inv scope:SCOPE_DEV
	s_and_saveexec_b32 s1, s2
	s_cbranch_execz .LBB13_746
; %bb.743:                              ;   in Loop: Header=BB13_3 Depth=1
	ds_load_b32 v24, v31 offset:5712
	ds_load_b32 v25, v30 offset:5976
	s_wait_dscnt 0x0
	v_fma_f32 v24, v24, v25, 0
	s_and_saveexec_b32 s8, s12
	s_cbranch_execz .LBB13_745
; %bb.744:                              ;   in Loop: Header=BB13_3 Depth=1
	ds_load_b32 v25, v32 offset:5968
	ds_load_b32 v26, v7 offset:5980
	s_wait_dscnt 0x0
	v_fmac_f32_e32 v24, v25, v26
.LBB13_745:                             ;   in Loop: Header=BB13_3 Depth=1
	s_or_b32 exec_lo, exec_lo, s8
.LBB13_746:                             ;   in Loop: Header=BB13_3 Depth=1
	s_delay_alu instid0(SALU_CYCLE_1)
	s_or_b32 exec_lo, exec_lo, s1
	s_and_saveexec_b32 s1, s102
; %bb.747:                              ;   in Loop: Header=BB13_3 Depth=1
	s_delay_alu instid0(VALU_DEP_1)
	v_xor_b32_e32 v25, 0x80000000, v24
	ds_store_b32 v5, v25
; %bb.748:                              ;   in Loop: Header=BB13_3 Depth=1
	s_or_b32 exec_lo, exec_lo, s1
	s_wait_loadcnt_dscnt 0x0
	s_barrier_signal -1
	s_barrier_wait -1
	s_and_saveexec_b32 s1, s103
	s_cbranch_execz .LBB13_750
; %bb.749:                              ;   in Loop: Header=BB13_3 Depth=1
	ds_load_b32 v25, v7 offset:5456
	ds_load_b32 v26, v5
	s_wait_dscnt 0x0
	v_fma_f32 v24, -v25, v26, v24
.LBB13_750:                             ;   in Loop: Header=BB13_3 Depth=1
	s_or_b32 exec_lo, exec_lo, s1
	s_barrier_signal -1
	s_barrier_wait -1
	s_and_saveexec_b32 s1, s103
; %bb.751:                              ;   in Loop: Header=BB13_3 Depth=1
	v_xor_b32_e32 v25, 0x80000000, v24
	ds_store_b32 v5, v25
; %bb.752:                              ;   in Loop: Header=BB13_3 Depth=1
	s_or_b32 exec_lo, exec_lo, s1
	s_wait_dscnt 0x0
	s_barrier_signal -1
	s_barrier_wait -1
	s_barrier_signal -1
	s_barrier_wait -1
	s_and_saveexec_b32 s1, s2
; %bb.753:                              ;   in Loop: Header=BB13_3 Depth=1
	ds_store_b32 v34, v24 offset:5968
; %bb.754:                              ;   in Loop: Header=BB13_3 Depth=1
	s_or_b32 exec_lo, exec_lo, s1
	s_wait_dscnt 0x0
	s_barrier_signal -1
	s_barrier_wait -1
	s_barrier_signal -1
	s_barrier_wait -1
	s_and_saveexec_b32 s1, s11
; %bb.755:                              ;   in Loop: Header=BB13_3 Depth=1
	v_add_nc_u32_e64 v24, 0x1400, 0
	ds_store_2addr_b32 v24, v60, v60 offset0:20 offset1:85
; %bb.756:                              ;   in Loop: Header=BB13_3 Depth=1
	s_or_b32 exec_lo, exec_lo, s1
	v_mov_b32_e32 v24, 0
	s_wait_dscnt 0x0
	s_barrier_signal -1
	s_barrier_wait -1
	global_wb scope:SCOPE_DEV
	s_wait_storecnt 0x0
	global_inv scope:SCOPE_DEV
	s_and_saveexec_b32 s1, s3
	s_cbranch_execz .LBB13_762
; %bb.757:                              ;   in Loop: Header=BB13_3 Depth=1
	ds_load_b32 v24, v33 offset:5184
	ds_load_b32 v25, v36 offset:5968
	s_wait_dscnt 0x0
	v_fma_f32 v24, v24, v25, 0
	s_and_saveexec_b32 s8, s13
	s_cbranch_execnz .LBB13_1147
; %bb.758:                              ;   in Loop: Header=BB13_3 Depth=1
	s_or_b32 exec_lo, exec_lo, s8
	s_and_saveexec_b32 s8, s14
	s_cbranch_execnz .LBB13_1148
.LBB13_759:                             ;   in Loop: Header=BB13_3 Depth=1
	s_or_b32 exec_lo, exec_lo, s8
	s_and_saveexec_b32 s8, s2
	s_cbranch_execz .LBB13_761
.LBB13_760:                             ;   in Loop: Header=BB13_3 Depth=1
	ds_load_b32 v25, v32 offset:5952
	ds_load_b32 v26, v7 offset:5980
	s_wait_dscnt 0x0
	v_fmac_f32_e32 v24, v25, v26
.LBB13_761:                             ;   in Loop: Header=BB13_3 Depth=1
	s_or_b32 exec_lo, exec_lo, s8
.LBB13_762:                             ;   in Loop: Header=BB13_3 Depth=1
	s_delay_alu instid0(SALU_CYCLE_1)
	s_or_b32 exec_lo, exec_lo, s1
	s_and_saveexec_b32 s1, s104
; %bb.763:                              ;   in Loop: Header=BB13_3 Depth=1
	s_delay_alu instid0(VALU_DEP_1)
	v_xor_b32_e32 v25, 0x80000000, v24
	ds_store_b32 v35, v25
; %bb.764:                              ;   in Loop: Header=BB13_3 Depth=1
	s_or_b32 exec_lo, exec_lo, s1
	s_wait_loadcnt_dscnt 0x0
	s_barrier_signal -1
	s_barrier_wait -1
	s_and_saveexec_b32 s1, vcc_hi
	s_cbranch_execz .LBB13_766
; %bb.765:                              ;   in Loop: Header=BB13_3 Depth=1
	ds_load_b32 v25, v33 offset:4928
	ds_load_b32 v26, v35
	s_wait_dscnt 0x0
	v_fma_f32 v24, -v25, v26, v24
.LBB13_766:                             ;   in Loop: Header=BB13_3 Depth=1
	s_or_b32 exec_lo, exec_lo, s1
	s_barrier_signal -1
	s_barrier_wait -1
	s_and_saveexec_b32 s1, s31
; %bb.767:                              ;   in Loop: Header=BB13_3 Depth=1
	v_xor_b32_e32 v25, 0x80000000, v24
	ds_store_b32 v35, v25
; %bb.768:                              ;   in Loop: Header=BB13_3 Depth=1
	s_or_b32 exec_lo, exec_lo, s1
	s_wait_dscnt 0x0
	s_barrier_signal -1
	s_barrier_wait -1
	s_and_saveexec_b32 s1, s33
	s_cbranch_execz .LBB13_770
; %bb.769:                              ;   in Loop: Header=BB13_3 Depth=1
	ds_load_b32 v25, v33 offset:4672
	ds_load_b32 v26, v35
	s_wait_dscnt 0x0
	v_fma_f32 v24, -v25, v26, v24
.LBB13_770:                             ;   in Loop: Header=BB13_3 Depth=1
	s_or_b32 exec_lo, exec_lo, s1
	s_barrier_signal -1
	s_barrier_wait -1
	s_and_saveexec_b32 s1, s34
; %bb.771:                              ;   in Loop: Header=BB13_3 Depth=1
	v_xor_b32_e32 v25, 0x80000000, v24
	ds_store_b32 v35, v25
; %bb.772:                              ;   in Loop: Header=BB13_3 Depth=1
	s_or_b32 exec_lo, exec_lo, s1
	s_wait_dscnt 0x0
	s_barrier_signal -1
	s_barrier_wait -1
	s_and_saveexec_b32 s1, s35
	s_cbranch_execz .LBB13_774
; %bb.773:                              ;   in Loop: Header=BB13_3 Depth=1
	ds_load_b32 v25, v7 offset:4416
	ds_load_b32 v26, v35
	s_wait_dscnt 0x0
	v_fma_f32 v24, -v25, v26, v24
.LBB13_774:                             ;   in Loop: Header=BB13_3 Depth=1
	s_or_b32 exec_lo, exec_lo, s1
	s_barrier_signal -1
	s_barrier_wait -1
	s_and_saveexec_b32 s1, s35
; %bb.775:                              ;   in Loop: Header=BB13_3 Depth=1
	v_xor_b32_e32 v25, 0x80000000, v24
	ds_store_b32 v35, v25
; %bb.776:                              ;   in Loop: Header=BB13_3 Depth=1
	s_or_b32 exec_lo, exec_lo, s1
	s_wait_dscnt 0x0
	s_barrier_signal -1
	s_barrier_wait -1
	s_barrier_signal -1
	s_barrier_wait -1
	s_and_saveexec_b32 s1, s3
; %bb.777:                              ;   in Loop: Header=BB13_3 Depth=1
	ds_store_b32 v37, v24 offset:5952
; %bb.778:                              ;   in Loop: Header=BB13_3 Depth=1
	s_or_b32 exec_lo, exec_lo, s1
	s_wait_dscnt 0x0
	s_barrier_signal -1
	s_barrier_wait -1
	s_barrier_signal -1
	s_barrier_wait -1
	s_and_saveexec_b32 s1, s11
; %bb.779:                              ;   in Loop: Header=BB13_3 Depth=1
	v_add_nc_u32_e64 v24, 0x1000, 0
	ds_store_2addr_b32 v24, v60, v60 offset0:146 offset1:211
; %bb.780:                              ;   in Loop: Header=BB13_3 Depth=1
	s_or_b32 exec_lo, exec_lo, s1
	v_mov_b32_e32 v24, 0
	s_wait_dscnt 0x0
	s_barrier_signal -1
	s_barrier_wait -1
	global_wb scope:SCOPE_DEV
	s_wait_storecnt 0x0
	global_inv scope:SCOPE_DEV
	s_and_saveexec_b32 s1, s2
	s_cbranch_execz .LBB13_784
; %bb.781:                              ;   in Loop: Header=BB13_3 Depth=1
	ds_load_b32 v24, v31 offset:4672
	ds_load_b32 v25, v30 offset:4936
	s_wait_dscnt 0x0
	v_fma_f32 v24, v24, v25, 0
	s_and_saveexec_b32 s8, s12
	s_cbranch_execz .LBB13_783
; %bb.782:                              ;   in Loop: Header=BB13_3 Depth=1
	ds_load_b32 v25, v32 offset:4928
	ds_load_b32 v26, v7 offset:4940
	s_wait_dscnt 0x0
	v_fmac_f32_e32 v24, v25, v26
.LBB13_783:                             ;   in Loop: Header=BB13_3 Depth=1
	s_or_b32 exec_lo, exec_lo, s8
.LBB13_784:                             ;   in Loop: Header=BB13_3 Depth=1
	s_delay_alu instid0(SALU_CYCLE_1)
	s_or_b32 exec_lo, exec_lo, s1
	s_and_saveexec_b32 s1, s102
; %bb.785:                              ;   in Loop: Header=BB13_3 Depth=1
	s_delay_alu instid0(VALU_DEP_1)
	v_xor_b32_e32 v25, 0x80000000, v24
	ds_store_b32 v5, v25
; %bb.786:                              ;   in Loop: Header=BB13_3 Depth=1
	s_or_b32 exec_lo, exec_lo, s1
	s_wait_loadcnt_dscnt 0x0
	s_barrier_signal -1
	s_barrier_wait -1
	s_and_saveexec_b32 s1, s103
	s_cbranch_execz .LBB13_788
; %bb.787:                              ;   in Loop: Header=BB13_3 Depth=1
	ds_load_b32 v25, v7 offset:4416
	ds_load_b32 v26, v5
	s_wait_dscnt 0x0
	v_fma_f32 v24, -v25, v26, v24
.LBB13_788:                             ;   in Loop: Header=BB13_3 Depth=1
	s_or_b32 exec_lo, exec_lo, s1
	s_barrier_signal -1
	s_barrier_wait -1
	s_and_saveexec_b32 s1, s103
; %bb.789:                              ;   in Loop: Header=BB13_3 Depth=1
	v_xor_b32_e32 v25, 0x80000000, v24
	ds_store_b32 v5, v25
; %bb.790:                              ;   in Loop: Header=BB13_3 Depth=1
	s_or_b32 exec_lo, exec_lo, s1
	s_wait_dscnt 0x0
	s_barrier_signal -1
	s_barrier_wait -1
	s_barrier_signal -1
	s_barrier_wait -1
	s_and_saveexec_b32 s1, s2
; %bb.791:                              ;   in Loop: Header=BB13_3 Depth=1
	ds_store_b32 v34, v24 offset:4928
; %bb.792:                              ;   in Loop: Header=BB13_3 Depth=1
	s_or_b32 exec_lo, exec_lo, s1
	s_wait_dscnt 0x0
	s_barrier_signal -1
	s_barrier_wait -1
	s_barrier_signal -1
	s_barrier_wait -1
	s_and_saveexec_b32 s1, s11
; %bb.793:                              ;   in Loop: Header=BB13_3 Depth=1
	v_add_nc_u32_e64 v24, 0x1000, 0
	ds_store_2addr_b32 v24, v60, v60 offset0:16 offset1:81
; %bb.794:                              ;   in Loop: Header=BB13_3 Depth=1
	s_or_b32 exec_lo, exec_lo, s1
	v_mov_b32_e32 v24, 0
	s_wait_dscnt 0x0
	s_barrier_signal -1
	s_barrier_wait -1
	global_wb scope:SCOPE_DEV
	s_wait_storecnt 0x0
	global_inv scope:SCOPE_DEV
	s_and_saveexec_b32 s1, s5
	s_cbranch_execz .LBB13_822
; %bb.795:                              ;   in Loop: Header=BB13_3 Depth=1
	ds_load_b32 v24, v42 offset:4096
	ds_load_b32 v25, v45 offset:8000
	s_wait_dscnt 0x0
	v_fma_f32 v24, v24, v25, 0
	s_mov_b32 s8, exec_lo
	v_readlane_b32 s22, v74, 24
	s_and_b32 s22, s8, s22
	s_delay_alu instid0(SALU_CYCLE_1)
	s_mov_b32 exec_lo, s22
	s_cbranch_execz .LBB13_797
; %bb.796:                              ;   in Loop: Header=BB13_3 Depth=1
	ds_load_b32 v25, v42 offset:4352
	ds_load_b32 v26, v45 offset:8004
	s_wait_dscnt 0x0
	v_fmac_f32_e32 v24, v25, v26
.LBB13_797:                             ;   in Loop: Header=BB13_3 Depth=1
	s_or_b32 exec_lo, exec_lo, s8
	s_delay_alu instid0(SALU_CYCLE_1) | instskip(SKIP_2) | instid1(SALU_CYCLE_1)
	s_mov_b32 s8, exec_lo
	v_readlane_b32 s22, v74, 25
	s_and_b32 s22, s8, s22
	s_mov_b32 exec_lo, s22
	s_cbranch_execz .LBB13_799
; %bb.798:                              ;   in Loop: Header=BB13_3 Depth=1
	ds_load_b32 v25, v42 offset:4608
	ds_load_b32 v26, v45 offset:8008
	s_wait_dscnt 0x0
	v_fmac_f32_e32 v24, v25, v26
.LBB13_799:                             ;   in Loop: Header=BB13_3 Depth=1
	s_or_b32 exec_lo, exec_lo, s8
	s_delay_alu instid0(SALU_CYCLE_1) | instskip(SKIP_2) | instid1(SALU_CYCLE_1)
	s_mov_b32 s8, exec_lo
	v_readlane_b32 s22, v74, 26
	s_and_b32 s22, s8, s22
	;; [unrolled: 13-line block ×10, first 2 shown]
	s_mov_b32 exec_lo, s22
	s_cbranch_execnz .LBB13_1149
; %bb.816:                              ;   in Loop: Header=BB13_3 Depth=1
	s_or_b32 exec_lo, exec_lo, s8
	s_and_saveexec_b32 s8, s4
	s_cbranch_execnz .LBB13_1150
.LBB13_817:                             ;   in Loop: Header=BB13_3 Depth=1
	s_or_b32 exec_lo, exec_lo, s8
	s_and_saveexec_b32 s8, s16
	s_cbranch_execnz .LBB13_1151
.LBB13_818:                             ;   in Loop: Header=BB13_3 Depth=1
	s_or_b32 exec_lo, exec_lo, s8
	s_and_saveexec_b32 s8, s18
	s_cbranch_execnz .LBB13_1152
.LBB13_819:                             ;   in Loop: Header=BB13_3 Depth=1
	s_or_b32 exec_lo, exec_lo, s8
	s_and_saveexec_b32 s8, s3
	s_cbranch_execz .LBB13_821
.LBB13_820:                             ;   in Loop: Header=BB13_3 Depth=1
	ds_load_b32 v25, v32 offset:7936
	ds_load_b32 v26, v7 offset:8060
	s_wait_dscnt 0x0
	v_fmac_f32_e32 v24, v25, v26
.LBB13_821:                             ;   in Loop: Header=BB13_3 Depth=1
	s_or_b32 exec_lo, exec_lo, s8
.LBB13_822:                             ;   in Loop: Header=BB13_3 Depth=1
	s_delay_alu instid0(SALU_CYCLE_1) | instskip(NEXT) | instid1(SALU_CYCLE_1)
	s_or_b32 exec_lo, exec_lo, s1
	s_mov_b32 s1, exec_lo
	v_readlane_b32 s8, v76, 2
	s_and_b32 s8, s1, s8
	s_delay_alu instid0(SALU_CYCLE_1)
	s_mov_b32 exec_lo, s8
; %bb.823:                              ;   in Loop: Header=BB13_3 Depth=1
	v_xor_b32_e32 v25, 0x80000000, v24
	ds_store_b32 v43, v25
; %bb.824:                              ;   in Loop: Header=BB13_3 Depth=1
	s_or_b32 exec_lo, exec_lo, s1
	s_wait_loadcnt_dscnt 0x0
	s_barrier_signal -1
	s_barrier_wait -1
	s_mov_b32 s1, exec_lo
	v_readlane_b32 s8, v76, 3
	s_and_b32 s8, s1, s8
	s_delay_alu instid0(SALU_CYCLE_1)
	s_mov_b32 exec_lo, s8
	s_cbranch_execz .LBB13_826
; %bb.825:                              ;   in Loop: Header=BB13_3 Depth=1
	ds_load_b32 v25, v42 offset:3840
	ds_load_b32 v26, v43
	s_wait_dscnt 0x0
	v_fma_f32 v24, -v25, v26, v24
.LBB13_826:                             ;   in Loop: Header=BB13_3 Depth=1
	s_or_b32 exec_lo, exec_lo, s1
	s_barrier_signal -1
	s_barrier_wait -1
	s_mov_b32 s1, exec_lo
	v_readlane_b32 s8, v76, 4
	s_and_b32 s8, s1, s8
	s_delay_alu instid0(SALU_CYCLE_1)
	s_mov_b32 exec_lo, s8
; %bb.827:                              ;   in Loop: Header=BB13_3 Depth=1
	v_xor_b32_e32 v25, 0x80000000, v24
	ds_store_b32 v43, v25
; %bb.828:                              ;   in Loop: Header=BB13_3 Depth=1
	s_or_b32 exec_lo, exec_lo, s1
	s_wait_dscnt 0x0
	s_barrier_signal -1
	s_barrier_wait -1
	s_mov_b32 s1, exec_lo
	v_readlane_b32 s8, v76, 5
	s_and_b32 s8, s1, s8
	s_delay_alu instid0(SALU_CYCLE_1)
	s_mov_b32 exec_lo, s8
	s_cbranch_execz .LBB13_830
; %bb.829:                              ;   in Loop: Header=BB13_3 Depth=1
	ds_load_b32 v25, v42 offset:3584
	ds_load_b32 v26, v43
	s_wait_dscnt 0x0
	v_fma_f32 v24, -v25, v26, v24
.LBB13_830:                             ;   in Loop: Header=BB13_3 Depth=1
	s_or_b32 exec_lo, exec_lo, s1
	s_barrier_signal -1
	s_barrier_wait -1
	s_mov_b32 s1, exec_lo
	v_readlane_b32 s8, v76, 6
	s_and_b32 s8, s1, s8
	s_delay_alu instid0(SALU_CYCLE_1)
	s_mov_b32 exec_lo, s8
; %bb.831:                              ;   in Loop: Header=BB13_3 Depth=1
	v_xor_b32_e32 v25, 0x80000000, v24
	ds_store_b32 v43, v25
; %bb.832:                              ;   in Loop: Header=BB13_3 Depth=1
	s_or_b32 exec_lo, exec_lo, s1
	s_wait_dscnt 0x0
	;; [unrolled: 28-line block ×4, first 2 shown]
	s_barrier_signal -1
	s_barrier_wait -1
	s_mov_b32 s1, exec_lo
	v_readlane_b32 s8, v76, 11
	s_and_b32 s8, s1, s8
	s_delay_alu instid0(SALU_CYCLE_1)
	s_mov_b32 exec_lo, s8
	s_cbranch_execz .LBB13_842
; %bb.841:                              ;   in Loop: Header=BB13_3 Depth=1
	ds_load_b32 v25, v42 offset:2816
	ds_load_b32 v26, v43
	s_wait_dscnt 0x0
	v_fma_f32 v24, -v25, v26, v24
.LBB13_842:                             ;   in Loop: Header=BB13_3 Depth=1
	s_or_b32 exec_lo, exec_lo, s1
	s_barrier_signal -1
	s_barrier_wait -1
	s_and_saveexec_b32 s1, s30
; %bb.843:                              ;   in Loop: Header=BB13_3 Depth=1
	v_xor_b32_e32 v25, 0x80000000, v24
	ds_store_b32 v43, v25
; %bb.844:                              ;   in Loop: Header=BB13_3 Depth=1
	s_or_b32 exec_lo, exec_lo, s1
	s_wait_dscnt 0x0
	s_barrier_signal -1
	s_barrier_wait -1
	s_and_saveexec_b32 s1, s57
	s_cbranch_execz .LBB13_846
; %bb.845:                              ;   in Loop: Header=BB13_3 Depth=1
	ds_load_b32 v25, v42 offset:2560
	ds_load_b32 v26, v43
	s_wait_dscnt 0x0
	v_fma_f32 v24, -v25, v26, v24
.LBB13_846:                             ;   in Loop: Header=BB13_3 Depth=1
	s_or_b32 exec_lo, exec_lo, s1
	s_barrier_signal -1
	s_barrier_wait -1
	s_and_saveexec_b32 s1, s26
; %bb.847:                              ;   in Loop: Header=BB13_3 Depth=1
	v_xor_b32_e32 v25, 0x80000000, v24
	ds_store_b32 v43, v25
; %bb.848:                              ;   in Loop: Header=BB13_3 Depth=1
	s_or_b32 exec_lo, exec_lo, s1
	s_wait_dscnt 0x0
	s_barrier_signal -1
	s_barrier_wait -1
	s_and_saveexec_b32 s1, s28
	;; [unrolled: 20-line block ×10, first 2 shown]
	s_cbranch_execz .LBB13_882
; %bb.881:                              ;   in Loop: Header=BB13_3 Depth=1
	ds_load_b32 v25, v7 offset:256
	ds_load_b32 v26, v43
	s_wait_dscnt 0x0
	v_fma_f32 v24, -v25, v26, v24
.LBB13_882:                             ;   in Loop: Header=BB13_3 Depth=1
	s_or_b32 exec_lo, exec_lo, s1
	s_barrier_signal -1
	s_barrier_wait -1
	s_and_saveexec_b32 s1, s54
; %bb.883:                              ;   in Loop: Header=BB13_3 Depth=1
	v_xor_b32_e32 v25, 0x80000000, v24
	ds_store_b32 v43, v25
; %bb.884:                              ;   in Loop: Header=BB13_3 Depth=1
	s_or_b32 exec_lo, exec_lo, s1
	s_wait_dscnt 0x0
	s_barrier_signal -1
	s_barrier_wait -1
	s_barrier_signal -1
	s_barrier_wait -1
	s_and_saveexec_b32 s1, s5
; %bb.885:                              ;   in Loop: Header=BB13_3 Depth=1
	ds_store_b32 v46, v24 offset:7936
; %bb.886:                              ;   in Loop: Header=BB13_3 Depth=1
	s_or_b32 exec_lo, exec_lo, s1
	s_wait_dscnt 0x0
	s_barrier_signal -1
	s_barrier_wait -1
	s_barrier_signal -1
	s_barrier_wait -1
	s_and_saveexec_b32 s1, s11
; %bb.887:                              ;   in Loop: Header=BB13_3 Depth=1
	v_add_nc_u32_e64 v24, 0xc00, 0
	ds_store_2addr_b32 v24, v60, v60 offset0:142 offset1:207
; %bb.888:                              ;   in Loop: Header=BB13_3 Depth=1
	s_or_b32 exec_lo, exec_lo, s1
	v_mov_b32_e32 v24, 0
	s_wait_dscnt 0x0
	s_barrier_signal -1
	s_barrier_wait -1
	global_wb scope:SCOPE_DEV
	s_wait_storecnt 0x0
	global_inv scope:SCOPE_DEV
	s_and_saveexec_b32 s1, s2
	s_cbranch_execz .LBB13_892
; %bb.889:                              ;   in Loop: Header=BB13_3 Depth=1
	ds_load_b32 v24, v31 offset:3632
	ds_load_b32 v25, v30 offset:3896
	s_wait_dscnt 0x0
	v_fma_f32 v24, v24, v25, 0
	s_and_saveexec_b32 s8, s12
	s_cbranch_execz .LBB13_891
; %bb.890:                              ;   in Loop: Header=BB13_3 Depth=1
	ds_load_b32 v25, v32 offset:3888
	ds_load_b32 v26, v7 offset:3900
	s_wait_dscnt 0x0
	v_fmac_f32_e32 v24, v25, v26
.LBB13_891:                             ;   in Loop: Header=BB13_3 Depth=1
	s_or_b32 exec_lo, exec_lo, s8
.LBB13_892:                             ;   in Loop: Header=BB13_3 Depth=1
	s_delay_alu instid0(SALU_CYCLE_1)
	s_or_b32 exec_lo, exec_lo, s1
	s_and_saveexec_b32 s1, s102
; %bb.893:                              ;   in Loop: Header=BB13_3 Depth=1
	s_delay_alu instid0(VALU_DEP_1)
	v_xor_b32_e32 v25, 0x80000000, v24
	ds_store_b32 v5, v25
; %bb.894:                              ;   in Loop: Header=BB13_3 Depth=1
	s_or_b32 exec_lo, exec_lo, s1
	s_wait_loadcnt_dscnt 0x0
	s_barrier_signal -1
	s_barrier_wait -1
	s_and_saveexec_b32 s1, s103
	s_cbranch_execz .LBB13_896
; %bb.895:                              ;   in Loop: Header=BB13_3 Depth=1
	ds_load_b32 v25, v7 offset:3376
	ds_load_b32 v26, v5
	s_wait_dscnt 0x0
	v_fma_f32 v24, -v25, v26, v24
.LBB13_896:                             ;   in Loop: Header=BB13_3 Depth=1
	s_or_b32 exec_lo, exec_lo, s1
	s_barrier_signal -1
	s_barrier_wait -1
	s_and_saveexec_b32 s1, s103
; %bb.897:                              ;   in Loop: Header=BB13_3 Depth=1
	v_xor_b32_e32 v25, 0x80000000, v24
	ds_store_b32 v5, v25
; %bb.898:                              ;   in Loop: Header=BB13_3 Depth=1
	s_or_b32 exec_lo, exec_lo, s1
	s_wait_dscnt 0x0
	s_barrier_signal -1
	s_barrier_wait -1
	s_barrier_signal -1
	s_barrier_wait -1
	s_and_saveexec_b32 s1, s2
; %bb.899:                              ;   in Loop: Header=BB13_3 Depth=1
	ds_store_b32 v34, v24 offset:3888
; %bb.900:                              ;   in Loop: Header=BB13_3 Depth=1
	s_or_b32 exec_lo, exec_lo, s1
	s_wait_dscnt 0x0
	s_barrier_signal -1
	s_barrier_wait -1
	s_barrier_signal -1
	s_barrier_wait -1
	s_and_saveexec_b32 s1, s11
; %bb.901:                              ;   in Loop: Header=BB13_3 Depth=1
	v_add_nc_u32_e64 v24, 0xc00, 0
	ds_store_2addr_b32 v24, v60, v60 offset0:12 offset1:77
; %bb.902:                              ;   in Loop: Header=BB13_3 Depth=1
	s_or_b32 exec_lo, exec_lo, s1
	v_mov_b32_e32 v24, 0
	s_wait_dscnt 0x0
	s_barrier_signal -1
	s_barrier_wait -1
	global_wb scope:SCOPE_DEV
	s_wait_storecnt 0x0
	global_inv scope:SCOPE_DEV
	s_and_saveexec_b32 s1, s3
	s_cbranch_execz .LBB13_908
; %bb.903:                              ;   in Loop: Header=BB13_3 Depth=1
	ds_load_b32 v24, v33 offset:3104
	ds_load_b32 v25, v36 offset:3888
	s_wait_dscnt 0x0
	v_fma_f32 v24, v24, v25, 0
	s_and_saveexec_b32 s8, s13
	s_cbranch_execnz .LBB13_1153
; %bb.904:                              ;   in Loop: Header=BB13_3 Depth=1
	s_or_b32 exec_lo, exec_lo, s8
	s_and_saveexec_b32 s8, s14
	s_cbranch_execnz .LBB13_1154
.LBB13_905:                             ;   in Loop: Header=BB13_3 Depth=1
	s_or_b32 exec_lo, exec_lo, s8
	s_and_saveexec_b32 s8, s2
	s_cbranch_execz .LBB13_907
.LBB13_906:                             ;   in Loop: Header=BB13_3 Depth=1
	ds_load_b32 v25, v32 offset:3872
	ds_load_b32 v26, v7 offset:3900
	s_wait_dscnt 0x0
	v_fmac_f32_e32 v24, v25, v26
.LBB13_907:                             ;   in Loop: Header=BB13_3 Depth=1
	s_or_b32 exec_lo, exec_lo, s8
.LBB13_908:                             ;   in Loop: Header=BB13_3 Depth=1
	s_delay_alu instid0(SALU_CYCLE_1)
	s_or_b32 exec_lo, exec_lo, s1
	s_and_saveexec_b32 s1, s104
; %bb.909:                              ;   in Loop: Header=BB13_3 Depth=1
	s_delay_alu instid0(VALU_DEP_1)
	v_xor_b32_e32 v25, 0x80000000, v24
	ds_store_b32 v35, v25
; %bb.910:                              ;   in Loop: Header=BB13_3 Depth=1
	s_or_b32 exec_lo, exec_lo, s1
	s_wait_loadcnt_dscnt 0x0
	s_barrier_signal -1
	s_barrier_wait -1
	s_and_saveexec_b32 s1, vcc_hi
	s_cbranch_execz .LBB13_912
; %bb.911:                              ;   in Loop: Header=BB13_3 Depth=1
	ds_load_b32 v25, v33 offset:2848
	ds_load_b32 v26, v35
	s_wait_dscnt 0x0
	v_fma_f32 v24, -v25, v26, v24
.LBB13_912:                             ;   in Loop: Header=BB13_3 Depth=1
	s_or_b32 exec_lo, exec_lo, s1
	s_barrier_signal -1
	s_barrier_wait -1
	s_and_saveexec_b32 s1, s31
; %bb.913:                              ;   in Loop: Header=BB13_3 Depth=1
	v_xor_b32_e32 v25, 0x80000000, v24
	ds_store_b32 v35, v25
; %bb.914:                              ;   in Loop: Header=BB13_3 Depth=1
	s_or_b32 exec_lo, exec_lo, s1
	s_wait_dscnt 0x0
	s_barrier_signal -1
	s_barrier_wait -1
	s_and_saveexec_b32 s1, s33
	s_cbranch_execz .LBB13_916
; %bb.915:                              ;   in Loop: Header=BB13_3 Depth=1
	ds_load_b32 v25, v33 offset:2592
	ds_load_b32 v26, v35
	s_wait_dscnt 0x0
	v_fma_f32 v24, -v25, v26, v24
.LBB13_916:                             ;   in Loop: Header=BB13_3 Depth=1
	s_or_b32 exec_lo, exec_lo, s1
	s_barrier_signal -1
	s_barrier_wait -1
	s_and_saveexec_b32 s1, s34
; %bb.917:                              ;   in Loop: Header=BB13_3 Depth=1
	v_xor_b32_e32 v25, 0x80000000, v24
	ds_store_b32 v35, v25
; %bb.918:                              ;   in Loop: Header=BB13_3 Depth=1
	s_or_b32 exec_lo, exec_lo, s1
	s_wait_dscnt 0x0
	s_barrier_signal -1
	s_barrier_wait -1
	s_and_saveexec_b32 s1, s35
	s_cbranch_execz .LBB13_920
; %bb.919:                              ;   in Loop: Header=BB13_3 Depth=1
	ds_load_b32 v25, v7 offset:2336
	ds_load_b32 v26, v35
	s_wait_dscnt 0x0
	v_fma_f32 v24, -v25, v26, v24
.LBB13_920:                             ;   in Loop: Header=BB13_3 Depth=1
	s_or_b32 exec_lo, exec_lo, s1
	s_barrier_signal -1
	s_barrier_wait -1
	s_and_saveexec_b32 s1, s35
; %bb.921:                              ;   in Loop: Header=BB13_3 Depth=1
	v_xor_b32_e32 v25, 0x80000000, v24
	ds_store_b32 v35, v25
; %bb.922:                              ;   in Loop: Header=BB13_3 Depth=1
	s_or_b32 exec_lo, exec_lo, s1
	s_wait_dscnt 0x0
	s_barrier_signal -1
	s_barrier_wait -1
	s_barrier_signal -1
	s_barrier_wait -1
	s_and_saveexec_b32 s1, s3
; %bb.923:                              ;   in Loop: Header=BB13_3 Depth=1
	ds_store_b32 v37, v24 offset:3872
; %bb.924:                              ;   in Loop: Header=BB13_3 Depth=1
	s_or_b32 exec_lo, exec_lo, s1
	s_wait_dscnt 0x0
	s_barrier_signal -1
	s_barrier_wait -1
	s_barrier_signal -1
	s_barrier_wait -1
	s_and_saveexec_b32 s1, s11
; %bb.925:                              ;   in Loop: Header=BB13_3 Depth=1
	v_add_nc_u32_e64 v24, 0x800, 0
	ds_store_2addr_b32 v24, v60, v60 offset0:138 offset1:203
; %bb.926:                              ;   in Loop: Header=BB13_3 Depth=1
	s_or_b32 exec_lo, exec_lo, s1
	v_mov_b32_e32 v24, 0
	s_wait_dscnt 0x0
	s_barrier_signal -1
	s_barrier_wait -1
	global_wb scope:SCOPE_DEV
	s_wait_storecnt 0x0
	global_inv scope:SCOPE_DEV
	s_and_saveexec_b32 s1, s2
	s_cbranch_execz .LBB13_930
; %bb.927:                              ;   in Loop: Header=BB13_3 Depth=1
	ds_load_b32 v24, v31 offset:2592
	ds_load_b32 v25, v30 offset:2856
	s_wait_dscnt 0x0
	v_fma_f32 v24, v24, v25, 0
	s_and_saveexec_b32 s8, s12
	s_cbranch_execz .LBB13_929
; %bb.928:                              ;   in Loop: Header=BB13_3 Depth=1
	ds_load_b32 v25, v32 offset:2848
	ds_load_b32 v26, v7 offset:2860
	s_wait_dscnt 0x0
	v_fmac_f32_e32 v24, v25, v26
.LBB13_929:                             ;   in Loop: Header=BB13_3 Depth=1
	s_or_b32 exec_lo, exec_lo, s8
.LBB13_930:                             ;   in Loop: Header=BB13_3 Depth=1
	s_delay_alu instid0(SALU_CYCLE_1)
	s_or_b32 exec_lo, exec_lo, s1
	s_and_saveexec_b32 s1, s102
; %bb.931:                              ;   in Loop: Header=BB13_3 Depth=1
	s_delay_alu instid0(VALU_DEP_1)
	v_xor_b32_e32 v25, 0x80000000, v24
	ds_store_b32 v5, v25
; %bb.932:                              ;   in Loop: Header=BB13_3 Depth=1
	s_or_b32 exec_lo, exec_lo, s1
	s_wait_loadcnt_dscnt 0x0
	s_barrier_signal -1
	s_barrier_wait -1
	s_and_saveexec_b32 s1, s103
	s_cbranch_execz .LBB13_934
; %bb.933:                              ;   in Loop: Header=BB13_3 Depth=1
	ds_load_b32 v25, v7 offset:2336
	ds_load_b32 v26, v5
	s_wait_dscnt 0x0
	v_fma_f32 v24, -v25, v26, v24
.LBB13_934:                             ;   in Loop: Header=BB13_3 Depth=1
	s_or_b32 exec_lo, exec_lo, s1
	s_barrier_signal -1
	s_barrier_wait -1
	s_and_saveexec_b32 s1, s103
; %bb.935:                              ;   in Loop: Header=BB13_3 Depth=1
	v_xor_b32_e32 v25, 0x80000000, v24
	ds_store_b32 v5, v25
; %bb.936:                              ;   in Loop: Header=BB13_3 Depth=1
	s_or_b32 exec_lo, exec_lo, s1
	s_wait_dscnt 0x0
	s_barrier_signal -1
	s_barrier_wait -1
	s_barrier_signal -1
	s_barrier_wait -1
	s_and_saveexec_b32 s1, s2
; %bb.937:                              ;   in Loop: Header=BB13_3 Depth=1
	ds_store_b32 v34, v24 offset:2848
; %bb.938:                              ;   in Loop: Header=BB13_3 Depth=1
	s_or_b32 exec_lo, exec_lo, s1
	s_wait_dscnt 0x0
	s_barrier_signal -1
	s_barrier_wait -1
	s_barrier_signal -1
	s_barrier_wait -1
	s_and_saveexec_b32 s1, s11
; %bb.939:                              ;   in Loop: Header=BB13_3 Depth=1
	v_add_nc_u32_e64 v24, 0x800, 0
	ds_store_2addr_b32 v24, v60, v60 offset0:8 offset1:73
; %bb.940:                              ;   in Loop: Header=BB13_3 Depth=1
	s_or_b32 exec_lo, exec_lo, s1
	v_mov_b32_e32 v24, 0
	s_wait_dscnt 0x0
	s_barrier_signal -1
	s_barrier_wait -1
	global_wb scope:SCOPE_DEV
	s_wait_storecnt 0x0
	global_inv scope:SCOPE_DEV
	s_and_saveexec_b32 s1, s4
	s_cbranch_execz .LBB13_950
; %bb.941:                              ;   in Loop: Header=BB13_3 Depth=1
	ds_load_b32 v24, v38 offset:2048
	ds_load_b32 v25, v40 offset:3872
	s_wait_dscnt 0x0
	v_fma_f32 v24, v24, v25, 0
	s_and_saveexec_b32 s8, s15
	s_cbranch_execnz .LBB13_1155
; %bb.942:                              ;   in Loop: Header=BB13_3 Depth=1
	s_or_b32 exec_lo, exec_lo, s8
	s_and_saveexec_b32 s8, s16
	s_cbranch_execnz .LBB13_1156
.LBB13_943:                             ;   in Loop: Header=BB13_3 Depth=1
	s_or_b32 exec_lo, exec_lo, s8
	s_and_saveexec_b32 s8, s17
	s_cbranch_execnz .LBB13_1157
.LBB13_944:                             ;   in Loop: Header=BB13_3 Depth=1
	s_or_b32 exec_lo, exec_lo, s8
	s_and_saveexec_b32 s8, s18
	s_cbranch_execnz .LBB13_1158
.LBB13_945:                             ;   in Loop: Header=BB13_3 Depth=1
	s_or_b32 exec_lo, exec_lo, s8
	s_and_saveexec_b32 s8, s19
	s_cbranch_execnz .LBB13_1159
.LBB13_946:                             ;   in Loop: Header=BB13_3 Depth=1
	s_or_b32 exec_lo, exec_lo, s8
	s_and_saveexec_b32 s8, s3
	s_cbranch_execnz .LBB13_1160
.LBB13_947:                             ;   in Loop: Header=BB13_3 Depth=1
	s_or_b32 exec_lo, exec_lo, s8
	s_and_saveexec_b32 s8, s14
	s_cbranch_execz .LBB13_949
.LBB13_948:                             ;   in Loop: Header=BB13_3 Depth=1
	ds_load_b32 v25, v32 offset:3840
	ds_load_b32 v26, v7 offset:3900
	s_wait_dscnt 0x0
	v_fmac_f32_e32 v24, v25, v26
.LBB13_949:                             ;   in Loop: Header=BB13_3 Depth=1
	s_or_b32 exec_lo, exec_lo, s8
.LBB13_950:                             ;   in Loop: Header=BB13_3 Depth=1
	s_delay_alu instid0(SALU_CYCLE_1)
	s_or_b32 exec_lo, exec_lo, s1
	s_and_saveexec_b32 s1, s36
; %bb.951:                              ;   in Loop: Header=BB13_3 Depth=1
	s_delay_alu instid0(VALU_DEP_1)
	v_xor_b32_e32 v25, 0x80000000, v24
	ds_store_b32 v39, v25
; %bb.952:                              ;   in Loop: Header=BB13_3 Depth=1
	s_or_b32 exec_lo, exec_lo, s1
	s_wait_loadcnt_dscnt 0x0
	s_barrier_signal -1
	s_barrier_wait -1
	s_and_saveexec_b32 s1, s37
	s_cbranch_execz .LBB13_954
; %bb.953:                              ;   in Loop: Header=BB13_3 Depth=1
	ds_load_b32 v25, v38 offset:1792
	ds_load_b32 v26, v39
	s_wait_dscnt 0x0
	v_fma_f32 v24, -v25, v26, v24
.LBB13_954:                             ;   in Loop: Header=BB13_3 Depth=1
	s_or_b32 exec_lo, exec_lo, s1
	s_barrier_signal -1
	s_barrier_wait -1
	s_and_saveexec_b32 s1, s38
; %bb.955:                              ;   in Loop: Header=BB13_3 Depth=1
	v_xor_b32_e32 v25, 0x80000000, v24
	ds_store_b32 v39, v25
; %bb.956:                              ;   in Loop: Header=BB13_3 Depth=1
	s_or_b32 exec_lo, exec_lo, s1
	s_wait_dscnt 0x0
	s_barrier_signal -1
	s_barrier_wait -1
	s_and_saveexec_b32 s1, s39
	s_cbranch_execz .LBB13_958
; %bb.957:                              ;   in Loop: Header=BB13_3 Depth=1
	ds_load_b32 v25, v38 offset:1536
	ds_load_b32 v26, v39
	s_wait_dscnt 0x0
	v_fma_f32 v24, -v25, v26, v24
.LBB13_958:                             ;   in Loop: Header=BB13_3 Depth=1
	s_or_b32 exec_lo, exec_lo, s1
	s_barrier_signal -1
	s_barrier_wait -1
	s_and_saveexec_b32 s1, s40
; %bb.959:                              ;   in Loop: Header=BB13_3 Depth=1
	v_xor_b32_e32 v25, 0x80000000, v24
	ds_store_b32 v39, v25
; %bb.960:                              ;   in Loop: Header=BB13_3 Depth=1
	s_or_b32 exec_lo, exec_lo, s1
	s_wait_dscnt 0x0
	;; [unrolled: 20-line block ×7, first 2 shown]
	s_barrier_signal -1
	s_barrier_wait -1
	s_barrier_signal -1
	s_barrier_wait -1
	s_and_saveexec_b32 s1, s4
; %bb.981:                              ;   in Loop: Header=BB13_3 Depth=1
	ds_store_b32 v41, v24 offset:3840
; %bb.982:                              ;   in Loop: Header=BB13_3 Depth=1
	s_or_b32 exec_lo, exec_lo, s1
	s_wait_dscnt 0x0
	s_barrier_signal -1
	s_barrier_wait -1
	s_barrier_signal -1
	s_barrier_wait -1
	s_and_saveexec_b32 s1, s11
; %bb.983:                              ;   in Loop: Header=BB13_3 Depth=1
	v_add_nc_u32_e64 v24, 0x400, 0
	ds_store_2addr_b32 v24, v60, v60 offset0:134 offset1:199
; %bb.984:                              ;   in Loop: Header=BB13_3 Depth=1
	s_or_b32 exec_lo, exec_lo, s1
	v_mov_b32_e32 v24, 0
	s_wait_dscnt 0x0
	s_barrier_signal -1
	s_barrier_wait -1
	global_wb scope:SCOPE_DEV
	s_wait_storecnt 0x0
	global_inv scope:SCOPE_DEV
	s_and_saveexec_b32 s1, s2
	s_cbranch_execz .LBB13_988
; %bb.985:                              ;   in Loop: Header=BB13_3 Depth=1
	ds_load_b32 v24, v31 offset:1552
	ds_load_b32 v25, v30 offset:1816
	s_wait_dscnt 0x0
	v_fma_f32 v24, v24, v25, 0
	s_and_saveexec_b32 s8, s12
	s_cbranch_execz .LBB13_987
; %bb.986:                              ;   in Loop: Header=BB13_3 Depth=1
	ds_load_b32 v25, v32 offset:1808
	ds_load_b32 v26, v7 offset:1820
	s_wait_dscnt 0x0
	v_fmac_f32_e32 v24, v25, v26
.LBB13_987:                             ;   in Loop: Header=BB13_3 Depth=1
	s_or_b32 exec_lo, exec_lo, s8
.LBB13_988:                             ;   in Loop: Header=BB13_3 Depth=1
	s_delay_alu instid0(SALU_CYCLE_1)
	s_or_b32 exec_lo, exec_lo, s1
	s_and_saveexec_b32 s1, s102
; %bb.989:                              ;   in Loop: Header=BB13_3 Depth=1
	s_delay_alu instid0(VALU_DEP_1)
	v_xor_b32_e32 v25, 0x80000000, v24
	ds_store_b32 v5, v25
; %bb.990:                              ;   in Loop: Header=BB13_3 Depth=1
	s_or_b32 exec_lo, exec_lo, s1
	s_wait_loadcnt_dscnt 0x0
	s_barrier_signal -1
	s_barrier_wait -1
	s_and_saveexec_b32 s1, s103
	s_cbranch_execz .LBB13_992
; %bb.991:                              ;   in Loop: Header=BB13_3 Depth=1
	ds_load_b32 v25, v7 offset:1296
	ds_load_b32 v26, v5
	s_wait_dscnt 0x0
	v_fma_f32 v24, -v25, v26, v24
.LBB13_992:                             ;   in Loop: Header=BB13_3 Depth=1
	s_or_b32 exec_lo, exec_lo, s1
	s_barrier_signal -1
	s_barrier_wait -1
	s_and_saveexec_b32 s1, s103
; %bb.993:                              ;   in Loop: Header=BB13_3 Depth=1
	v_xor_b32_e32 v25, 0x80000000, v24
	ds_store_b32 v5, v25
; %bb.994:                              ;   in Loop: Header=BB13_3 Depth=1
	s_or_b32 exec_lo, exec_lo, s1
	s_wait_dscnt 0x0
	s_barrier_signal -1
	s_barrier_wait -1
	s_barrier_signal -1
	s_barrier_wait -1
	s_and_saveexec_b32 s1, s2
; %bb.995:                              ;   in Loop: Header=BB13_3 Depth=1
	ds_store_b32 v34, v24 offset:1808
; %bb.996:                              ;   in Loop: Header=BB13_3 Depth=1
	s_or_b32 exec_lo, exec_lo, s1
	s_wait_dscnt 0x0
	s_barrier_signal -1
	s_barrier_wait -1
	s_barrier_signal -1
	s_barrier_wait -1
	s_and_saveexec_b32 s1, s11
; %bb.997:                              ;   in Loop: Header=BB13_3 Depth=1
	v_add_nc_u32_e64 v24, 0x400, 0
	ds_store_2addr_b32 v24, v60, v60 offset0:4 offset1:69
; %bb.998:                              ;   in Loop: Header=BB13_3 Depth=1
	s_or_b32 exec_lo, exec_lo, s1
	v_mov_b32_e32 v24, 0
	s_wait_dscnt 0x0
	s_barrier_signal -1
	s_barrier_wait -1
	global_wb scope:SCOPE_DEV
	s_wait_storecnt 0x0
	global_inv scope:SCOPE_DEV
	s_and_saveexec_b32 s1, s3
	s_cbranch_execz .LBB13_1004
; %bb.999:                              ;   in Loop: Header=BB13_3 Depth=1
	ds_load_b32 v24, v33 offset:1024
	ds_load_b32 v25, v36 offset:1808
	s_wait_dscnt 0x0
	v_fma_f32 v24, v24, v25, 0
	s_and_saveexec_b32 s8, s13
	s_cbranch_execnz .LBB13_1161
; %bb.1000:                             ;   in Loop: Header=BB13_3 Depth=1
	s_or_b32 exec_lo, exec_lo, s8
	s_and_saveexec_b32 s8, s14
	s_cbranch_execnz .LBB13_1162
.LBB13_1001:                            ;   in Loop: Header=BB13_3 Depth=1
	s_or_b32 exec_lo, exec_lo, s8
	s_and_saveexec_b32 s8, s2
	s_cbranch_execz .LBB13_1003
.LBB13_1002:                            ;   in Loop: Header=BB13_3 Depth=1
	ds_load_b32 v25, v32 offset:1792
	ds_load_b32 v26, v7 offset:1820
	s_wait_dscnt 0x0
	v_fmac_f32_e32 v24, v25, v26
.LBB13_1003:                            ;   in Loop: Header=BB13_3 Depth=1
	s_or_b32 exec_lo, exec_lo, s8
.LBB13_1004:                            ;   in Loop: Header=BB13_3 Depth=1
	s_delay_alu instid0(SALU_CYCLE_1)
	s_or_b32 exec_lo, exec_lo, s1
	s_and_saveexec_b32 s1, s104
; %bb.1005:                             ;   in Loop: Header=BB13_3 Depth=1
	s_delay_alu instid0(VALU_DEP_1)
	v_xor_b32_e32 v25, 0x80000000, v24
	ds_store_b32 v35, v25
; %bb.1006:                             ;   in Loop: Header=BB13_3 Depth=1
	s_or_b32 exec_lo, exec_lo, s1
	s_wait_loadcnt_dscnt 0x0
	s_barrier_signal -1
	s_barrier_wait -1
	s_and_saveexec_b32 s1, vcc_hi
	s_cbranch_execz .LBB13_1008
; %bb.1007:                             ;   in Loop: Header=BB13_3 Depth=1
	ds_load_b32 v25, v33 offset:768
	ds_load_b32 v26, v35
	s_wait_dscnt 0x0
	v_fma_f32 v24, -v25, v26, v24
.LBB13_1008:                            ;   in Loop: Header=BB13_3 Depth=1
	s_or_b32 exec_lo, exec_lo, s1
	s_barrier_signal -1
	s_barrier_wait -1
	s_and_saveexec_b32 s1, s31
; %bb.1009:                             ;   in Loop: Header=BB13_3 Depth=1
	v_xor_b32_e32 v25, 0x80000000, v24
	ds_store_b32 v35, v25
; %bb.1010:                             ;   in Loop: Header=BB13_3 Depth=1
	s_or_b32 exec_lo, exec_lo, s1
	s_wait_dscnt 0x0
	s_barrier_signal -1
	s_barrier_wait -1
	s_and_saveexec_b32 s1, s33
	s_cbranch_execz .LBB13_1012
; %bb.1011:                             ;   in Loop: Header=BB13_3 Depth=1
	ds_load_b32 v25, v33 offset:512
	ds_load_b32 v26, v35
	s_wait_dscnt 0x0
	v_fma_f32 v24, -v25, v26, v24
.LBB13_1012:                            ;   in Loop: Header=BB13_3 Depth=1
	s_or_b32 exec_lo, exec_lo, s1
	s_barrier_signal -1
	s_barrier_wait -1
	s_and_saveexec_b32 s1, s34
; %bb.1013:                             ;   in Loop: Header=BB13_3 Depth=1
	v_xor_b32_e32 v25, 0x80000000, v24
	ds_store_b32 v35, v25
; %bb.1014:                             ;   in Loop: Header=BB13_3 Depth=1
	s_or_b32 exec_lo, exec_lo, s1
	s_wait_dscnt 0x0
	s_barrier_signal -1
	s_barrier_wait -1
	s_and_saveexec_b32 s1, s35
	s_cbranch_execz .LBB13_1016
; %bb.1015:                             ;   in Loop: Header=BB13_3 Depth=1
	ds_load_b32 v25, v7 offset:256
	ds_load_b32 v26, v35
	s_wait_dscnt 0x0
	v_fma_f32 v24, -v25, v26, v24
.LBB13_1016:                            ;   in Loop: Header=BB13_3 Depth=1
	s_or_b32 exec_lo, exec_lo, s1
	s_barrier_signal -1
	s_barrier_wait -1
	s_and_saveexec_b32 s1, s35
; %bb.1017:                             ;   in Loop: Header=BB13_3 Depth=1
	v_xor_b32_e32 v25, 0x80000000, v24
	ds_store_b32 v35, v25
; %bb.1018:                             ;   in Loop: Header=BB13_3 Depth=1
	s_or_b32 exec_lo, exec_lo, s1
	s_wait_dscnt 0x0
	s_barrier_signal -1
	s_barrier_wait -1
	s_barrier_signal -1
	s_barrier_wait -1
	s_and_saveexec_b32 s1, s3
; %bb.1019:                             ;   in Loop: Header=BB13_3 Depth=1
	ds_store_b32 v37, v24 offset:1792
; %bb.1020:                             ;   in Loop: Header=BB13_3 Depth=1
	s_or_b32 exec_lo, exec_lo, s1
	s_wait_dscnt 0x0
	s_barrier_signal -1
	s_barrier_wait -1
	s_barrier_signal -1
	s_barrier_wait -1
	s_and_saveexec_b32 s1, s11
; %bb.1021:                             ;   in Loop: Header=BB13_3 Depth=1
	ds_store_2addr_b32 v7, v60, v60 offset0:130 offset1:195
; %bb.1022:                             ;   in Loop: Header=BB13_3 Depth=1
	s_or_b32 exec_lo, exec_lo, s1
	v_mov_b32_e32 v24, 0
	s_wait_dscnt 0x0
	s_barrier_signal -1
	s_barrier_wait -1
	global_wb scope:SCOPE_DEV
	s_wait_storecnt 0x0
	global_inv scope:SCOPE_DEV
	s_and_saveexec_b32 s1, s2
	s_cbranch_execz .LBB13_1026
; %bb.1023:                             ;   in Loop: Header=BB13_3 Depth=1
	ds_load_b32 v24, v31 offset:512
	ds_load_b32 v25, v30 offset:776
	s_wait_dscnt 0x0
	v_fma_f32 v24, v24, v25, 0
	s_and_saveexec_b32 s8, s12
	s_cbranch_execz .LBB13_1025
; %bb.1024:                             ;   in Loop: Header=BB13_3 Depth=1
	ds_load_b32 v25, v32 offset:768
	ds_load_b32 v26, v7 offset:780
	s_wait_dscnt 0x0
	v_fmac_f32_e32 v24, v25, v26
.LBB13_1025:                            ;   in Loop: Header=BB13_3 Depth=1
	s_or_b32 exec_lo, exec_lo, s8
.LBB13_1026:                            ;   in Loop: Header=BB13_3 Depth=1
	s_delay_alu instid0(SALU_CYCLE_1)
	s_or_b32 exec_lo, exec_lo, s1
	s_and_saveexec_b32 s1, s102
; %bb.1027:                             ;   in Loop: Header=BB13_3 Depth=1
	s_delay_alu instid0(VALU_DEP_1)
	v_xor_b32_e32 v25, 0x80000000, v24
	ds_store_b32 v5, v25
; %bb.1028:                             ;   in Loop: Header=BB13_3 Depth=1
	s_or_b32 exec_lo, exec_lo, s1
	s_wait_loadcnt_dscnt 0x0
	s_barrier_signal -1
	s_barrier_wait -1
	s_and_saveexec_b32 s1, s103
	s_cbranch_execz .LBB13_1030
; %bb.1029:                             ;   in Loop: Header=BB13_3 Depth=1
	ds_load_b32 v25, v7 offset:256
	ds_load_b32 v26, v5
	s_wait_dscnt 0x0
	v_fma_f32 v24, -v25, v26, v24
.LBB13_1030:                            ;   in Loop: Header=BB13_3 Depth=1
	s_or_b32 exec_lo, exec_lo, s1
	s_barrier_signal -1
	s_barrier_wait -1
	s_and_saveexec_b32 s1, s103
; %bb.1031:                             ;   in Loop: Header=BB13_3 Depth=1
	v_xor_b32_e32 v25, 0x80000000, v24
	ds_store_b32 v5, v25
; %bb.1032:                             ;   in Loop: Header=BB13_3 Depth=1
	s_or_b32 exec_lo, exec_lo, s1
	s_wait_dscnt 0x0
	s_barrier_signal -1
	s_barrier_wait -1
	s_barrier_signal -1
	s_barrier_wait -1
	s_and_saveexec_b32 s1, s2
; %bb.1033:                             ;   in Loop: Header=BB13_3 Depth=1
	ds_store_b32 v34, v24 offset:768
; %bb.1034:                             ;   in Loop: Header=BB13_3 Depth=1
	s_or_b32 exec_lo, exec_lo, s1
	s_wait_dscnt 0x0
	s_barrier_signal -1
	s_barrier_wait -1
	s_barrier_signal -1
	s_barrier_wait -1
	s_and_saveexec_b32 s1, s11
; %bb.1035:                             ;   in Loop: Header=BB13_3 Depth=1
	ds_store_2addr_b32 v7, v60, v60 offset1:65
; %bb.1036:                             ;   in Loop: Header=BB13_3 Depth=1
	s_or_b32 exec_lo, exec_lo, s1
.LBB13_1037:                            ;   in Loop: Header=BB13_3 Depth=1
	s_mul_u64 s[94:95], s[78:79], s[80:81]
	v_mov_b32_e32 v66, 0
	s_lshl_b64 s[94:95], s[94:95], 2
	s_wait_dscnt 0x0
	s_add_nc_u64 s[94:95], s[72:73], s[94:95]
	s_barrier_signal -1
	s_barrier_wait -1
	s_and_saveexec_b32 s1, s9
	s_cbranch_execz .LBB13_1039
; %bb.1038:                             ;   in Loop: Header=BB13_3 Depth=1
	v_lshl_add_u64 v[24:25], v[0:1], 2, s[94:95]
	v_readlane_b32 s8, v74, 10
	global_load_b32 v24, v[24:25], off
	s_wait_loadcnt 0x0
	v_mul_f32_e64 v66, v24, -s8
.LBB13_1039:                            ;   in Loop: Header=BB13_3 Depth=1
	s_or_b32 exec_lo, exec_lo, s1
	s_delay_alu instid0(SALU_CYCLE_1)
	s_and_not1_b32 vcc_lo, exec_lo, s20
	s_cbranch_vccnz .LBB13_1065
; %bb.1040:                             ;   in Loop: Header=BB13_3 Depth=1
	v_lshl_add_u64 v[24:25], v[8:9], 2, s[92:93]
	v_mov_b32_e32 v67, -1
	s_lshl_b64 s[58:59], s[80:81], 2
	s_mov_b32 s1, 0
	s_add_nc_u64 s[92:93], s[66:67], s[58:59]
	s_branch .LBB13_1043
.LBB13_1041:                            ;   in Loop: Header=BB13_1043 Depth=2
	s_wait_xcnt 0x0
	ds_load_b32 v26, v51 offset:192
	s_wait_loadcnt_dscnt 0x0
	v_fmac_f32_e32 v66, v28, v26
.LBB13_1042:                            ;   in Loop: Header=BB13_1043 Depth=2
	s_or_b32 exec_lo, exec_lo, s8
	s_add_co_i32 s1, s1, 1
	s_delay_alu instid0(SALU_CYCLE_1)
	s_cmp_eq_u32 s1, s97
	s_cbranch_scc1 .LBB13_1065
.LBB13_1043:                            ;   Parent Loop BB13_3 Depth=1
                                        ; =>  This Loop Header: Depth=2
                                        ;       Child Loop BB13_1045 Depth 3
	v_cmp_gt_i32_e32 vcc_lo, s1, v67
	s_and_b32 s22, s55, vcc_lo
	s_delay_alu instid0(SALU_CYCLE_1)
	s_and_saveexec_b32 s8, s22
	s_cbranch_execz .LBB13_1046
; %bb.1044:                             ;   in Loop: Header=BB13_1043 Depth=2
	global_load_b32 v67, v7, s[92:93]
	s_wait_loadcnt 0x0
	v_cmp_le_i32_e32 vcc_lo, s1, v67
	s_cbranch_vccnz .LBB13_1046
.LBB13_1045:                            ;   Parent Loop BB13_3 Depth=1
                                        ;     Parent Loop BB13_1043 Depth=2
                                        ; =>    This Inner Loop Header: Depth=3
	global_wb scope:SCOPE_DEV
	s_wait_storecnt 0x0
	global_inv scope:SCOPE_DEV
	global_load_b32 v67, v7, s[92:93]
	s_wait_loadcnt 0x0
	v_cmp_gt_i32_e32 vcc_lo, s1, v67
	s_cbranch_vccnz .LBB13_1045
.LBB13_1046:                            ;   in Loop: Header=BB13_1043 Depth=2
	s_or_b32 exec_lo, exec_lo, s8
	s_sub_co_i32 s8, s98, s1
	global_wb scope:SCOPE_DEV
	s_wait_storecnt 0x0
	global_inv scope:SCOPE_DEV
	s_lshl_b32 s65, s8, 6
	s_wait_loadcnt 0x0
	s_barrier_signal -1
	s_barrier_wait -1
	s_and_saveexec_b32 s22, s56
	s_cbranch_execz .LBB13_1050
; %bb.1047:                             ;   in Loop: Header=BB13_1043 Depth=2
	s_ashr_i32 s24, s65, 31
	s_delay_alu instid0(SALU_CYCLE_1) | instskip(SKIP_2) | instid1(VALU_DEP_1)
	v_dual_mov_b32 v28, 0 :: v_dual_mov_b32 v27, s24
	v_or_b32_e32 v26, s65, v6
	s_mov_b32 s24, exec_lo
	v_cmpx_gt_i64_e64 s[82:83], v[26:27]
	s_cbranch_execz .LBB13_1049
; %bb.1048:                             ;   in Loop: Header=BB13_1043 Depth=2
	v_mul_u64_e32 v[26:27], s[76:77], v[26:27]
	s_delay_alu instid0(VALU_DEP_1)
	v_lshl_add_u64 v[26:27], v[26:27], 2, s[94:95]
	global_load_b32 v28, v[26:27], off
.LBB13_1049:                            ;   in Loop: Header=BB13_1043 Depth=2
	s_wait_xcnt 0x0
	s_or_b32 exec_lo, exec_lo, s24
	s_wait_loadcnt 0x0
	ds_store_b32 v50, v28
.LBB13_1050:                            ;   in Loop: Header=BB13_1043 Depth=2
	s_or_b32 exec_lo, exec_lo, s22
	v_add_nc_u32_e32 v28, s65, v2
	s_cmp_lg_u32 s8, s64
	s_wait_dscnt 0x0
	s_cselect_b32 s22, -1, 0
	s_barrier_signal -1
	v_ashrrev_i32_e32 v29, 31, v28
	v_cmp_gt_i32_e32 vcc_lo, s82, v28
	s_barrier_wait -1
	s_delay_alu instid0(VALU_DEP_2) | instskip(SKIP_2) | instid1(VALU_DEP_2)
	v_mul_u64_e32 v[26:27], s[68:69], v[28:29]
	v_cndmask_b32_e64 v29, 0, 1, s22
	s_and_b32 s24, s0, vcc_lo
	v_lshl_add_u64 v[26:27], v[26:27], 2, v[24:25]
	s_and_saveexec_b32 s8, s24
	s_cbranch_execz .LBB13_1054
; %bb.1051:                             ;   in Loop: Header=BB13_1043 Depth=2
	v_mov_b32_e32 v68, v62
	s_and_not1_b32 vcc_lo, exec_lo, s22
	s_cbranch_vccnz .LBB13_1053
; %bb.1052:                             ;   in Loop: Header=BB13_1043 Depth=2
	global_load_b32 v68, v[26:27], off
.LBB13_1053:                            ;   in Loop: Header=BB13_1043 Depth=2
	ds_load_b32 v69, v51
	s_wait_loadcnt_dscnt 0x0
	v_fmac_f32_e32 v66, v68, v69
.LBB13_1054:                            ;   in Loop: Header=BB13_1043 Depth=2
	s_or_b32 exec_lo, exec_lo, s8
	v_add_nc_u32_e32 v68, 16, v28
	s_delay_alu instid0(VALU_DEP_1) | instskip(SKIP_1) | instid1(SALU_CYCLE_1)
	v_cmp_gt_i32_e32 vcc_lo, s82, v68
	s_and_b32 s22, s0, vcc_lo
	s_and_saveexec_b32 s8, s22
	s_cbranch_execz .LBB13_1058
; %bb.1055:                             ;   in Loop: Header=BB13_1043 Depth=2
	v_cmp_ne_u32_e32 vcc_lo, 1, v29
	v_mov_b32_e32 v68, v63
	s_cbranch_vccnz .LBB13_1057
; %bb.1056:                             ;   in Loop: Header=BB13_1043 Depth=2
	v_add_nc_u64_e32 v[68:69], s[86:87], v[26:27]
	global_load_b32 v68, v[68:69], off
.LBB13_1057:                            ;   in Loop: Header=BB13_1043 Depth=2
	s_wait_xcnt 0x0
	ds_load_b32 v69, v51 offset:64
	s_wait_loadcnt_dscnt 0x0
	v_fmac_f32_e32 v66, v68, v69
.LBB13_1058:                            ;   in Loop: Header=BB13_1043 Depth=2
	s_or_b32 exec_lo, exec_lo, s8
	v_add_nc_u32_e32 v68, 32, v28
	s_delay_alu instid0(VALU_DEP_1) | instskip(SKIP_1) | instid1(SALU_CYCLE_1)
	v_cmp_gt_i32_e32 vcc_lo, s82, v68
	s_and_b32 s22, s0, vcc_lo
	s_and_saveexec_b32 s8, s22
	s_cbranch_execz .LBB13_1062
; %bb.1059:                             ;   in Loop: Header=BB13_1043 Depth=2
	v_cmp_ne_u32_e32 vcc_lo, 1, v29
	v_mov_b32_e32 v68, v64
	s_cbranch_vccnz .LBB13_1061
; %bb.1060:                             ;   in Loop: Header=BB13_1043 Depth=2
	v_add_nc_u64_e32 v[68:69], s[88:89], v[26:27]
	global_load_b32 v68, v[68:69], off
.LBB13_1061:                            ;   in Loop: Header=BB13_1043 Depth=2
	s_wait_xcnt 0x0
	ds_load_b32 v69, v51 offset:128
	s_wait_loadcnt_dscnt 0x0
	v_fmac_f32_e32 v66, v68, v69
.LBB13_1062:                            ;   in Loop: Header=BB13_1043 Depth=2
	s_or_b32 exec_lo, exec_lo, s8
	v_add_nc_u32_e32 v28, 48, v28
	s_delay_alu instid0(VALU_DEP_1) | instskip(SKIP_1) | instid1(SALU_CYCLE_1)
	v_cmp_gt_i32_e32 vcc_lo, s82, v28
	s_and_b32 s22, s0, vcc_lo
	s_and_saveexec_b32 s8, s22
	s_cbranch_execz .LBB13_1042
; %bb.1063:                             ;   in Loop: Header=BB13_1043 Depth=2
	v_cmp_ne_u32_e32 vcc_lo, 1, v29
	v_mov_b32_e32 v28, v65
	s_cbranch_vccnz .LBB13_1041
; %bb.1064:                             ;   in Loop: Header=BB13_1043 Depth=2
	v_add_nc_u64_e32 v[26:27], s[90:91], v[26:27]
	global_load_b32 v28, v[26:27], off
	s_branch .LBB13_1041
.LBB13_1065:                            ;   in Loop: Header=BB13_3 Depth=1
	ds_store_b32 v52, v66
	s_wait_dscnt 0x0
	s_barrier_signal -1
	s_barrier_wait -1
	s_and_saveexec_b32 s1, s7
	s_cbranch_execz .LBB13_1067
; %bb.1066:                             ;   in Loop: Header=BB13_3 Depth=1
	ds_load_2addr_stride64_b32 v[24:25], v53 offset0:1 offset1:2
	ds_load_2addr_stride64_b32 v[26:27], v53 offset0:3 offset1:4
	;; [unrolled: 1-line block ×4, first 2 shown]
	v_readlane_b32 s8, v74, 9
	s_wait_dscnt 0x3
	v_add_f32_e32 v24, v66, v24
	s_delay_alu instid0(VALU_DEP_1) | instskip(SKIP_1) | instid1(VALU_DEP_1)
	v_add_f32_e32 v24, v24, v25
	s_wait_dscnt 0x2
	v_add_f32_e32 v24, v24, v26
	s_delay_alu instid0(VALU_DEP_1) | instskip(SKIP_1) | instid1(VALU_DEP_1)
	v_add_f32_e32 v24, v24, v27
	s_wait_dscnt 0x1
	v_add_f32_e32 v26, v24, v28
	ds_load_2addr_stride64_b32 v[24:25], v53 offset0:9 offset1:10
	v_add_f32_e32 v26, v26, v29
	s_wait_dscnt 0x1
	s_delay_alu instid0(VALU_DEP_1)
	v_add_f32_e32 v28, v26, v68
	ds_load_2addr_stride64_b32 v[26:27], v53 offset0:11 offset1:12
	v_add_f32_e32 v66, v28, v69
	ds_load_2addr_stride64_b32 v[28:29], v53 offset0:13 offset1:14
	ds_load_b32 v67, v53 offset:3840
	s_wait_dscnt 0x3
	v_add_f32_e32 v24, v66, v24
	s_delay_alu instid0(VALU_DEP_1) | instskip(SKIP_1) | instid1(VALU_DEP_1)
	v_add_f32_e32 v24, v24, v25
	s_wait_dscnt 0x2
	v_add_f32_e32 v24, v24, v26
	s_delay_alu instid0(VALU_DEP_1) | instskip(SKIP_1) | instid1(VALU_DEP_1)
	v_add_f32_e32 v24, v24, v27
	;; [unrolled: 4-line block ×3, first 2 shown]
	s_wait_dscnt 0x0
	v_add_f32_e32 v24, v24, v67
	s_delay_alu instid0(VALU_DEP_1)
	v_cndmask_b32_e64 v66, -v24, 0, s8
.LBB13_1067:                            ;   in Loop: Header=BB13_3 Depth=1
	s_or_b32 exec_lo, exec_lo, s1
	s_delay_alu instid0(SALU_CYCLE_1)
	s_and_not1_b32 vcc_lo, exec_lo, s101
	s_cbranch_vccnz .LBB13_1080
; %bb.1068:                             ;   in Loop: Header=BB13_3 Depth=1
	s_and_saveexec_b32 s1, s7
; %bb.1069:                             ;   in Loop: Header=BB13_3 Depth=1
	ds_store_b32 v55, v66
; %bb.1070:                             ;   in Loop: Header=BB13_3 Depth=1
	s_or_b32 exec_lo, exec_lo, s1
	v_mov_b32_e32 v24, 0
	s_wait_dscnt 0x0
	s_barrier_signal -1
	s_barrier_wait -1
	s_mov_b32 s1, exec_lo
	v_readlane_b32 s8, v73, 26
	s_and_b32 s8, s1, s8
	s_delay_alu instid0(SALU_CYCLE_1)
	s_mov_b32 exec_lo, s8
	s_cbranch_execz .LBB13_1072
; %bb.1071:                             ;   in Loop: Header=BB13_3 Depth=1
	ds_load_b32 v24, v54
	ds_load_b32 v25, v51
	s_wait_dscnt 0x0
	v_fma_f32 v24, v24, v25, 0
.LBB13_1072:                            ;   in Loop: Header=BB13_3 Depth=1
	s_or_b32 exec_lo, exec_lo, s1
	s_delay_alu instid0(SALU_CYCLE_1) | instskip(SKIP_2) | instid1(SALU_CYCLE_1)
	s_mov_b32 s1, exec_lo
	v_readlane_b32 s8, v73, 27
	s_and_b32 s8, s1, s8
	s_mov_b32 exec_lo, s8
	s_cbranch_execz .LBB13_1074
; %bb.1073:                             ;   in Loop: Header=BB13_3 Depth=1
	ds_load_b32 v25, v54 offset:4096
	ds_load_b32 v26, v51 offset:64
	s_wait_dscnt 0x0
	v_fmac_f32_e32 v24, v25, v26
.LBB13_1074:                            ;   in Loop: Header=BB13_3 Depth=1
	s_or_b32 exec_lo, exec_lo, s1
	s_delay_alu instid0(SALU_CYCLE_1) | instskip(SKIP_2) | instid1(SALU_CYCLE_1)
	s_mov_b32 s1, exec_lo
	v_readlane_b32 s8, v73, 28
	s_and_b32 s8, s1, s8
	s_mov_b32 exec_lo, s8
	s_cbranch_execz .LBB13_1076
; %bb.1075:                             ;   in Loop: Header=BB13_3 Depth=1
	ds_load_b32 v25, v54 offset:8192
	ds_load_b32 v26, v51 offset:128
	s_wait_dscnt 0x0
	v_fmac_f32_e32 v24, v25, v26
.LBB13_1076:                            ;   in Loop: Header=BB13_3 Depth=1
	;; [unrolled: 13-line block ×3, first 2 shown]
	s_or_b32 exec_lo, exec_lo, s1
	s_mov_b32 s1, 0
	s_mov_b32 s92, 0
	ds_store_b32 v52, v24
	s_wait_dscnt 0x0
	s_barrier_signal -1
	s_barrier_wait -1
                                        ; implicit-def: $vgpr25
	s_and_saveexec_b32 s93, s7
	s_cbranch_execz .LBB13_1109
; %bb.1079:                             ;   in Loop: Header=BB13_3 Depth=1
	ds_load_2addr_stride64_b32 v[26:27], v53 offset0:1 offset1:2
	ds_load_2addr_stride64_b32 v[28:29], v53 offset0:3 offset1:4
	;; [unrolled: 1-line block ×4, first 2 shown]
	s_mov_b32 s92, exec_lo
	s_wait_dscnt 0x3
	v_add_f32_e32 v24, v24, v26
	s_delay_alu instid0(VALU_DEP_1) | instskip(SKIP_1) | instid1(VALU_DEP_1)
	v_add_f32_e32 v24, v27, v24
	s_wait_dscnt 0x2
	v_add_f32_e32 v24, v28, v24
	s_delay_alu instid0(VALU_DEP_1) | instskip(SKIP_1) | instid1(VALU_DEP_1)
	v_add_f32_e32 v24, v29, v24
	s_wait_dscnt 0x1
	v_add_f32_e32 v26, v68, v24
	ds_load_2addr_stride64_b32 v[24:25], v53 offset0:9 offset1:10
	v_add_f32_e32 v26, v69, v26
	s_wait_dscnt 0x1
	s_delay_alu instid0(VALU_DEP_1)
	v_add_f32_e32 v28, v70, v26
	ds_load_2addr_stride64_b32 v[26:27], v53 offset0:11 offset1:12
	v_add_f32_e32 v67, v71, v28
	ds_load_2addr_stride64_b32 v[28:29], v53 offset0:13 offset1:14
	ds_load_b32 v68, v53 offset:3840
	s_wait_dscnt 0x3
	v_add_f32_e32 v24, v24, v67
	s_delay_alu instid0(VALU_DEP_1) | instskip(SKIP_1) | instid1(VALU_DEP_1)
	v_add_f32_e32 v24, v25, v24
	s_wait_dscnt 0x2
	v_add_f32_e32 v24, v26, v24
	s_delay_alu instid0(VALU_DEP_1) | instskip(SKIP_1) | instid1(VALU_DEP_1)
	v_add_f32_e32 v24, v27, v24
	;; [unrolled: 4-line block ×3, first 2 shown]
	s_wait_dscnt 0x0
	v_add_f32_e32 v25, v68, v24
	s_or_b32 exec_lo, exec_lo, s93
	s_delay_alu instid0(SALU_CYCLE_1)
	s_and_b32 vcc_lo, exec_lo, s1
	s_cbranch_vccnz .LBB13_1081
	s_branch .LBB13_1110
.LBB13_1080:                            ;   in Loop: Header=BB13_3 Depth=1
	s_mov_b32 s92, 0
                                        ; implicit-def: $vgpr25
	s_cbranch_execz .LBB13_1110
.LBB13_1081:                            ;   in Loop: Header=BB13_3 Depth=1
	v_dual_mov_b32 v24, v59 :: v_dual_mov_b32 v25, v58
	s_mov_b32 s1, 63
	s_branch .LBB13_1083
.LBB13_1082:                            ;   in Loop: Header=BB13_1083 Depth=2
	s_or_b32 exec_lo, exec_lo, s22
	v_add_nc_u32_e32 v25, 0xfffffc00, v25
	v_add_nc_u32_e32 v24, 4, v24
	s_add_co_i32 s1, s1, -4
	s_cmp_lg_u32 s8, 0
	s_barrier_signal -1
	s_barrier_wait -1
	s_cbranch_scc0 .LBB13_1099
.LBB13_1083:                            ;   Parent Loop BB13_3 Depth=1
                                        ; =>  This Inner Loop Header: Depth=2
	s_delay_alu instid0(VALU_DEP_1) | instskip(SKIP_1) | instid1(SALU_CYCLE_1)
	v_cmp_eq_u32_e32 vcc_lo, 0, v24
	s_and_b32 s22, s7, vcc_lo
	s_and_saveexec_b32 s8, s22
; %bb.1084:                             ;   in Loop: Header=BB13_1083 Depth=2
	ds_store_b32 v7, v66 offset:20736
; %bb.1085:                             ;   in Loop: Header=BB13_1083 Depth=2
	s_or_b32 exec_lo, exec_lo, s8
	v_cmp_gt_u32_e32 vcc_lo, s1, v4
	s_wait_dscnt 0x0
	s_barrier_signal -1
	s_barrier_wait -1
	s_and_b32 s22, s7, vcc_lo
	s_delay_alu instid0(SALU_CYCLE_1)
	s_and_saveexec_b32 s8, s22
	s_cbranch_execz .LBB13_1087
; %bb.1086:                             ;   in Loop: Header=BB13_1083 Depth=2
	ds_load_b32 v26, v25 offset:768
	ds_load_b32 v27, v7 offset:20736
	s_wait_dscnt 0x0
	v_fmac_f32_e32 v66, v26, v27
.LBB13_1087:                            ;   in Loop: Header=BB13_1083 Depth=2
	s_or_b32 exec_lo, exec_lo, s8
	s_add_co_i32 s8, s1, -1
	s_delay_alu instid0(SALU_CYCLE_1) | instskip(SKIP_3) | instid1(SALU_CYCLE_1)
	v_cmp_eq_u32_e32 vcc_lo, s8, v4
	s_barrier_signal -1
	s_barrier_wait -1
	s_and_b32 s24, s7, vcc_lo
	s_and_saveexec_b32 s22, s24
; %bb.1088:                             ;   in Loop: Header=BB13_1083 Depth=2
	ds_store_b32 v7, v66 offset:20736
; %bb.1089:                             ;   in Loop: Header=BB13_1083 Depth=2
	s_or_b32 exec_lo, exec_lo, s22
	v_cmp_gt_u32_e32 vcc_lo, s8, v4
	s_wait_dscnt 0x0
	s_barrier_signal -1
	s_barrier_wait -1
	s_and_b32 s22, s7, vcc_lo
	s_delay_alu instid0(SALU_CYCLE_1)
	s_and_saveexec_b32 s8, s22
	s_cbranch_execz .LBB13_1091
; %bb.1090:                             ;   in Loop: Header=BB13_1083 Depth=2
	ds_load_b32 v26, v25 offset:512
	ds_load_b32 v27, v7 offset:20736
	s_wait_dscnt 0x0
	v_fmac_f32_e32 v66, v26, v27
.LBB13_1091:                            ;   in Loop: Header=BB13_1083 Depth=2
	s_or_b32 exec_lo, exec_lo, s8
	s_add_co_i32 s8, s1, -2
	s_delay_alu instid0(SALU_CYCLE_1) | instskip(SKIP_3) | instid1(SALU_CYCLE_1)
	v_cmp_eq_u32_e32 vcc_lo, s8, v4
	s_barrier_signal -1
	s_barrier_wait -1
	;; [unrolled: 26-line block ×3, first 2 shown]
	s_and_b32 s24, s7, vcc_lo
	s_and_saveexec_b32 s22, s24
; %bb.1096:                             ;   in Loop: Header=BB13_1083 Depth=2
	ds_store_b32 v7, v66 offset:20736
; %bb.1097:                             ;   in Loop: Header=BB13_1083 Depth=2
	s_or_b32 exec_lo, exec_lo, s22
	v_cmp_gt_u32_e32 vcc_lo, s8, v4
	s_wait_dscnt 0x0
	s_barrier_signal -1
	s_barrier_wait -1
	s_and_b32 s24, s7, vcc_lo
	s_delay_alu instid0(SALU_CYCLE_1)
	s_and_saveexec_b32 s22, s24
	s_cbranch_execz .LBB13_1082
; %bb.1098:                             ;   in Loop: Header=BB13_1083 Depth=2
	ds_load_b32 v26, v25
	ds_load_b32 v27, v7 offset:20736
	s_wait_dscnt 0x0
	v_fmac_f32_e32 v66, v26, v27
	s_branch .LBB13_1082
.LBB13_1099:                            ;   in Loop: Header=BB13_3 Depth=1
	s_and_b32 vcc_lo, exec_lo, s99
	s_mov_b32 s1, -1
	s_cbranch_vccnz .LBB13_1111
; %bb.1100:                             ;   in Loop: Header=BB13_3 Depth=1
	s_and_not1_b32 vcc_lo, exec_lo, s1
	s_cbranch_vccz .LBB13_1112
.LBB13_1101:                            ;   in Loop: Header=BB13_3 Depth=1
	s_and_saveexec_b32 s1, s92
	s_cbranch_execz .LBB13_1103
.LBB13_1102:                            ;   in Loop: Header=BB13_3 Depth=1
	v_lshl_add_u64 v[24:25], v[12:13], 2, s[94:95]
	global_store_b32 v[24:25], v66, off
.LBB13_1103:                            ;   in Loop: Header=BB13_3 Depth=1
	s_wait_xcnt 0x0
	s_or_b32 exec_lo, exec_lo, s1
	global_wb scope:SCOPE_DEV
	s_wait_storecnt 0x0
	global_inv scope:SCOPE_DEV
	s_wait_loadcnt 0x0
	s_barrier_signal -1
	s_barrier_wait -1
	s_and_saveexec_b32 s1, s55
	s_cbranch_execz .LBB13_2
; %bb.1104:                             ;   in Loop: Header=BB13_3 Depth=1
	s_lshl_b64 s[58:59], s[80:81], 2
	s_delay_alu instid0(SALU_CYCLE_1)
	s_add_nc_u64 s[58:59], s[66:67], s[58:59]
	global_load_b32 v24, v7, s[58:59]
	s_wait_loadcnt 0x0
	v_add_nc_u32_e32 v24, 1, v24
	global_store_b32 v7, v24, s[58:59]
	s_branch .LBB13_2
.LBB13_1105:                            ;   in Loop: Header=BB13_3 Depth=1
	v_readlane_b32 s1, v73, 30
	s_and_b32 s1, s1, exec_lo
	s_or_saveexec_b32 s8, s8
	v_mov_b32_e32 v26, 0
	s_xor_b32 exec_lo, exec_lo, s8
	s_cbranch_execz .LBB13_16
.LBB13_1106:                            ;   in Loop: Header=BB13_3 Depth=1
	v_lshl_add_u64 v[26:27], v[14:15], 2, v[24:25]
	s_or_b32 s1, s1, exec_lo
	global_load_b32 v26, v[26:27], off
	s_wait_loadcnt 0x0
	v_xor_b32_e32 v26, 0x80000000, v26
	s_or_b32 exec_lo, exec_lo, s8
	s_and_saveexec_b32 s8, s1
	s_cbranch_execnz .LBB13_17
	s_branch .LBB13_18
.LBB13_1107:                            ;   in Loop: Header=BB13_3 Depth=1
	v_readlane_b32 s1, v73, 30
	s_and_b32 s1, s1, exec_lo
	s_or_saveexec_b32 s8, s8
	v_mov_b32_e32 v26, 0
	s_xor_b32 exec_lo, exec_lo, s8
	s_cbranch_execz .LBB13_40
.LBB13_1108:                            ;   in Loop: Header=BB13_3 Depth=1
	v_lshl_add_u64 v[26:27], v[14:15], 2, v[24:25]
	s_or_b32 s1, s1, exec_lo
	global_load_b32 v26, v[26:27], off
	s_wait_loadcnt 0x0
	v_xor_b32_e32 v26, 0x80000000, v26
	s_or_b32 exec_lo, exec_lo, s8
	s_and_saveexec_b32 s8, s1
	s_cbranch_execnz .LBB13_41
	s_branch .LBB13_42
.LBB13_1109:                            ;   in Loop: Header=BB13_3 Depth=1
	s_or_b32 exec_lo, exec_lo, s93
	s_delay_alu instid0(SALU_CYCLE_1)
	s_and_b32 vcc_lo, exec_lo, s1
	s_cbranch_vccnz .LBB13_1081
.LBB13_1110:                            ;   in Loop: Header=BB13_3 Depth=1
	v_mov_b32_e32 v66, v25
	s_and_saveexec_b32 s1, s92
	s_cbranch_execnz .LBB13_1102
	s_branch .LBB13_1103
.LBB13_1111:                            ;   in Loop: Header=BB13_3 Depth=1
	s_and_not1_b32 s8, s92, exec_lo
	s_and_b32 s22, s7, exec_lo
	s_delay_alu instid0(SALU_CYCLE_1)
	s_or_b32 s92, s8, s22
	s_cbranch_execnz .LBB13_1101
.LBB13_1112:                            ;   in Loop: Header=BB13_3 Depth=1
	v_readlane_b32 s8, v74, 11
	s_and_not1_b32 s1, s92, exec_lo
	s_and_b32 s8, s8, exec_lo
	s_delay_alu instid0(SALU_CYCLE_1) | instskip(NEXT) | instid1(SALU_CYCLE_1)
	s_or_b32 s92, s1, s8
	s_and_saveexec_b32 s1, s92
	s_cbranch_execnz .LBB13_1102
	s_branch .LBB13_1103
.LBB13_1113:                            ;   in Loop: Header=BB13_3 Depth=1
	ds_load_b32 v25, v33 offset:15840
	ds_load_b32 v26, v36 offset:16372
	s_wait_dscnt 0x0
	v_fmac_f32_e32 v24, v25, v26
	s_or_b32 exec_lo, exec_lo, s8
	s_and_saveexec_b32 s8, s14
	s_cbranch_execz .LBB13_81
.LBB13_1114:                            ;   in Loop: Header=BB13_3 Depth=1
	ds_load_b32 v25, v33 offset:16096
	ds_load_b32 v26, v36 offset:16376
	s_wait_dscnt 0x0
	v_fmac_f32_e32 v24, v25, v26
	s_or_b32 exec_lo, exec_lo, s8
	s_and_saveexec_b32 s8, s2
	s_cbranch_execnz .LBB13_82
	s_branch .LBB13_83
.LBB13_1115:                            ;   in Loop: Header=BB13_3 Depth=1
	ds_load_b32 v25, v38 offset:14784
	ds_load_b32 v26, v40 offset:16356
	s_wait_dscnt 0x0
	v_fmac_f32_e32 v24, v25, v26
	s_or_b32 exec_lo, exec_lo, s8
	s_and_saveexec_b32 s8, s16
	s_cbranch_execz .LBB13_119
.LBB13_1116:                            ;   in Loop: Header=BB13_3 Depth=1
	ds_load_b32 v25, v38 offset:15040
	ds_load_b32 v26, v40 offset:16360
	s_wait_dscnt 0x0
	v_fmac_f32_e32 v24, v25, v26
	s_or_b32 exec_lo, exec_lo, s8
	s_and_saveexec_b32 s8, s17
	s_cbranch_execz .LBB13_120
.LBB13_1117:                            ;   in Loop: Header=BB13_3 Depth=1
	ds_load_b32 v25, v38 offset:15296
	ds_load_b32 v26, v40 offset:16364
	s_wait_dscnt 0x0
	v_fmac_f32_e32 v24, v25, v26
	s_or_b32 exec_lo, exec_lo, s8
	s_and_saveexec_b32 s8, s18
	s_cbranch_execz .LBB13_121
.LBB13_1118:                            ;   in Loop: Header=BB13_3 Depth=1
	ds_load_b32 v25, v38 offset:15552
	ds_load_b32 v26, v40 offset:16368
	s_wait_dscnt 0x0
	v_fmac_f32_e32 v24, v25, v26
	s_or_b32 exec_lo, exec_lo, s8
	s_and_saveexec_b32 s8, s19
	s_cbranch_execz .LBB13_122
.LBB13_1119:                            ;   in Loop: Header=BB13_3 Depth=1
	ds_load_b32 v25, v38 offset:15808
	ds_load_b32 v26, v40 offset:16372
	s_wait_dscnt 0x0
	v_fmac_f32_e32 v24, v25, v26
	s_or_b32 exec_lo, exec_lo, s8
	s_and_saveexec_b32 s8, s3
	s_cbranch_execz .LBB13_123
.LBB13_1120:                            ;   in Loop: Header=BB13_3 Depth=1
	ds_load_b32 v25, v38 offset:16064
	ds_load_b32 v26, v40 offset:16376
	s_wait_dscnt 0x0
	v_fmac_f32_e32 v24, v25, v26
	s_or_b32 exec_lo, exec_lo, s8
	s_and_saveexec_b32 s8, s14
	s_cbranch_execnz .LBB13_124
	s_branch .LBB13_125
.LBB13_1121:                            ;   in Loop: Header=BB13_3 Depth=1
	ds_load_b32 v25, v33 offset:13760
	ds_load_b32 v26, v36 offset:14292
	s_wait_dscnt 0x0
	v_fmac_f32_e32 v24, v25, v26
	s_or_b32 exec_lo, exec_lo, s8
	s_and_saveexec_b32 s8, s14
	s_cbranch_execz .LBB13_177
.LBB13_1122:                            ;   in Loop: Header=BB13_3 Depth=1
	ds_load_b32 v25, v33 offset:14016
	ds_load_b32 v26, v36 offset:14296
	s_wait_dscnt 0x0
	v_fmac_f32_e32 v24, v25, v26
	s_or_b32 exec_lo, exec_lo, s8
	s_and_saveexec_b32 s8, s2
	s_cbranch_execnz .LBB13_178
	s_branch .LBB13_179
.LBB13_1123:                            ;   in Loop: Header=BB13_3 Depth=1
	ds_load_b32 v25, v42 offset:15232
	ds_load_b32 v26, v45 offset:16364
	s_wait_dscnt 0x0
	v_fmac_f32_e32 v24, v25, v26
	s_or_b32 exec_lo, exec_lo, s8
	s_and_saveexec_b32 s8, s4
	s_cbranch_execz .LBB13_235
.LBB13_1124:                            ;   in Loop: Header=BB13_3 Depth=1
	ds_load_b32 v25, v42 offset:15488
	ds_load_b32 v26, v45 offset:16368
	s_wait_dscnt 0x0
	v_fmac_f32_e32 v24, v25, v26
	s_or_b32 exec_lo, exec_lo, s8
	s_and_saveexec_b32 s8, s16
	s_cbranch_execz .LBB13_236
.LBB13_1125:                            ;   in Loop: Header=BB13_3 Depth=1
	ds_load_b32 v25, v42 offset:15744
	ds_load_b32 v26, v45 offset:16372
	s_wait_dscnt 0x0
	v_fmac_f32_e32 v24, v25, v26
	s_or_b32 exec_lo, exec_lo, s8
	s_and_saveexec_b32 s8, s18
	s_cbranch_execz .LBB13_237
.LBB13_1126:                            ;   in Loop: Header=BB13_3 Depth=1
	ds_load_b32 v25, v42 offset:16000
	ds_load_b32 v26, v45 offset:16376
	s_wait_dscnt 0x0
	v_fmac_f32_e32 v24, v25, v26
	s_or_b32 exec_lo, exec_lo, s8
	s_and_saveexec_b32 s8, s3
	s_cbranch_execnz .LBB13_238
	s_branch .LBB13_239
.LBB13_1127:                            ;   in Loop: Header=BB13_3 Depth=1
	ds_load_b32 v25, v33 offset:11680
	ds_load_b32 v26, v36 offset:12212
	s_wait_dscnt 0x0
	v_fmac_f32_e32 v24, v25, v26
	s_or_b32 exec_lo, exec_lo, s8
	s_and_saveexec_b32 s8, s14
	s_cbranch_execz .LBB13_323
.LBB13_1128:                            ;   in Loop: Header=BB13_3 Depth=1
	ds_load_b32 v25, v33 offset:11936
	ds_load_b32 v26, v36 offset:12216
	s_wait_dscnt 0x0
	v_fmac_f32_e32 v24, v25, v26
	s_or_b32 exec_lo, exec_lo, s8
	s_and_saveexec_b32 s8, s2
	s_cbranch_execnz .LBB13_324
	s_branch .LBB13_325
.LBB13_1129:                            ;   in Loop: Header=BB13_3 Depth=1
	ds_load_b32 v25, v38 offset:10624
	ds_load_b32 v26, v40 offset:12196
	s_wait_dscnt 0x0
	v_fmac_f32_e32 v24, v25, v26
	s_or_b32 exec_lo, exec_lo, s8
	s_and_saveexec_b32 s8, s16
	s_cbranch_execz .LBB13_361
.LBB13_1130:                            ;   in Loop: Header=BB13_3 Depth=1
	ds_load_b32 v25, v38 offset:10880
	ds_load_b32 v26, v40 offset:12200
	s_wait_dscnt 0x0
	v_fmac_f32_e32 v24, v25, v26
	s_or_b32 exec_lo, exec_lo, s8
	s_and_saveexec_b32 s8, s17
	s_cbranch_execz .LBB13_362
.LBB13_1131:                            ;   in Loop: Header=BB13_3 Depth=1
	ds_load_b32 v25, v38 offset:11136
	ds_load_b32 v26, v40 offset:12204
	s_wait_dscnt 0x0
	v_fmac_f32_e32 v24, v25, v26
	s_or_b32 exec_lo, exec_lo, s8
	s_and_saveexec_b32 s8, s18
	s_cbranch_execz .LBB13_363
.LBB13_1132:                            ;   in Loop: Header=BB13_3 Depth=1
	ds_load_b32 v25, v38 offset:11392
	ds_load_b32 v26, v40 offset:12208
	s_wait_dscnt 0x0
	v_fmac_f32_e32 v24, v25, v26
	s_or_b32 exec_lo, exec_lo, s8
	s_and_saveexec_b32 s8, s19
	s_cbranch_execz .LBB13_364
.LBB13_1133:                            ;   in Loop: Header=BB13_3 Depth=1
	ds_load_b32 v25, v38 offset:11648
	ds_load_b32 v26, v40 offset:12212
	s_wait_dscnt 0x0
	v_fmac_f32_e32 v24, v25, v26
	s_or_b32 exec_lo, exec_lo, s8
	s_and_saveexec_b32 s8, s3
	s_cbranch_execz .LBB13_365
.LBB13_1134:                            ;   in Loop: Header=BB13_3 Depth=1
	ds_load_b32 v25, v38 offset:11904
	ds_load_b32 v26, v40 offset:12216
	s_wait_dscnt 0x0
	v_fmac_f32_e32 v24, v25, v26
	s_or_b32 exec_lo, exec_lo, s8
	s_and_saveexec_b32 s8, s14
	s_cbranch_execnz .LBB13_366
	s_branch .LBB13_367
.LBB13_1135:                            ;   in Loop: Header=BB13_3 Depth=1
	ds_load_b32 v25, v33 offset:9600
	ds_load_b32 v26, v36 offset:10132
	s_wait_dscnt 0x0
	v_fmac_f32_e32 v24, v25, v26
	s_or_b32 exec_lo, exec_lo, s8
	s_and_saveexec_b32 s8, s14
	s_cbranch_execz .LBB13_419
.LBB13_1136:                            ;   in Loop: Header=BB13_3 Depth=1
	ds_load_b32 v25, v33 offset:9856
	ds_load_b32 v26, v36 offset:10136
	s_wait_dscnt 0x0
	v_fmac_f32_e32 v24, v25, v26
	s_or_b32 exec_lo, exec_lo, s8
	s_and_saveexec_b32 s8, s2
	s_cbranch_execnz .LBB13_420
	s_branch .LBB13_421
.LBB13_1137:                            ;   in Loop: Header=BB13_3 Depth=1
	ds_load_b32 v25, v44 offset:15616
	ds_load_b32 v26, v48 offset:16372
	s_wait_dscnt 0x0
	v_fmac_f32_e32 v24, v25, v26
	s_or_b32 exec_lo, exec_lo, s1
	s_and_saveexec_b32 s1, s4
	s_cbranch_execz .LBB13_513
.LBB13_1138:                            ;   in Loop: Header=BB13_3 Depth=1
	ds_load_b32 v25, v44 offset:15872
	ds_load_b32 v26, v48 offset:16376
	s_wait_dscnt 0x0
	v_fmac_f32_e32 v24, v25, v26
	s_or_b32 exec_lo, exec_lo, s1
	s_and_saveexec_b32 s1, s18
	s_cbranch_execnz .LBB13_514
	s_branch .LBB13_515
.LBB13_1139:                            ;   in Loop: Header=BB13_3 Depth=1
	ds_load_b32 v25, v33 offset:7520
	ds_load_b32 v26, v36 offset:8052
	s_wait_dscnt 0x0
	v_fmac_f32_e32 v24, v25, v26
	s_or_b32 exec_lo, exec_lo, s8
	s_and_saveexec_b32 s8, s14
	s_cbranch_execz .LBB13_663
.LBB13_1140:                            ;   in Loop: Header=BB13_3 Depth=1
	ds_load_b32 v25, v33 offset:7776
	ds_load_b32 v26, v36 offset:8056
	s_wait_dscnt 0x0
	v_fmac_f32_e32 v24, v25, v26
	s_or_b32 exec_lo, exec_lo, s8
	s_and_saveexec_b32 s8, s2
	s_cbranch_execnz .LBB13_664
	s_branch .LBB13_665
.LBB13_1141:                            ;   in Loop: Header=BB13_3 Depth=1
	ds_load_b32 v25, v38 offset:6464
	ds_load_b32 v26, v40 offset:8036
	s_wait_dscnt 0x0
	v_fmac_f32_e32 v24, v25, v26
	s_or_b32 exec_lo, exec_lo, s8
	s_and_saveexec_b32 s8, s16
	s_cbranch_execz .LBB13_701
.LBB13_1142:                            ;   in Loop: Header=BB13_3 Depth=1
	ds_load_b32 v25, v38 offset:6720
	ds_load_b32 v26, v40 offset:8040
	s_wait_dscnt 0x0
	v_fmac_f32_e32 v24, v25, v26
	s_or_b32 exec_lo, exec_lo, s8
	s_and_saveexec_b32 s8, s17
	s_cbranch_execz .LBB13_702
.LBB13_1143:                            ;   in Loop: Header=BB13_3 Depth=1
	ds_load_b32 v25, v38 offset:6976
	ds_load_b32 v26, v40 offset:8044
	s_wait_dscnt 0x0
	v_fmac_f32_e32 v24, v25, v26
	s_or_b32 exec_lo, exec_lo, s8
	s_and_saveexec_b32 s8, s18
	s_cbranch_execz .LBB13_703
.LBB13_1144:                            ;   in Loop: Header=BB13_3 Depth=1
	ds_load_b32 v25, v38 offset:7232
	ds_load_b32 v26, v40 offset:8048
	s_wait_dscnt 0x0
	v_fmac_f32_e32 v24, v25, v26
	s_or_b32 exec_lo, exec_lo, s8
	s_and_saveexec_b32 s8, s19
	s_cbranch_execz .LBB13_704
.LBB13_1145:                            ;   in Loop: Header=BB13_3 Depth=1
	ds_load_b32 v25, v38 offset:7488
	ds_load_b32 v26, v40 offset:8052
	s_wait_dscnt 0x0
	v_fmac_f32_e32 v24, v25, v26
	s_or_b32 exec_lo, exec_lo, s8
	s_and_saveexec_b32 s8, s3
	s_cbranch_execz .LBB13_705
.LBB13_1146:                            ;   in Loop: Header=BB13_3 Depth=1
	ds_load_b32 v25, v38 offset:7744
	ds_load_b32 v26, v40 offset:8056
	s_wait_dscnt 0x0
	v_fmac_f32_e32 v24, v25, v26
	s_or_b32 exec_lo, exec_lo, s8
	s_and_saveexec_b32 s8, s14
	s_cbranch_execnz .LBB13_706
	s_branch .LBB13_707
.LBB13_1147:                            ;   in Loop: Header=BB13_3 Depth=1
	ds_load_b32 v25, v33 offset:5440
	ds_load_b32 v26, v36 offset:5972
	s_wait_dscnt 0x0
	v_fmac_f32_e32 v24, v25, v26
	s_or_b32 exec_lo, exec_lo, s8
	s_and_saveexec_b32 s8, s14
	s_cbranch_execz .LBB13_759
.LBB13_1148:                            ;   in Loop: Header=BB13_3 Depth=1
	ds_load_b32 v25, v33 offset:5696
	ds_load_b32 v26, v36 offset:5976
	s_wait_dscnt 0x0
	v_fmac_f32_e32 v24, v25, v26
	s_or_b32 exec_lo, exec_lo, s8
	s_and_saveexec_b32 s8, s2
	s_cbranch_execnz .LBB13_760
	s_branch .LBB13_761
.LBB13_1149:                            ;   in Loop: Header=BB13_3 Depth=1
	ds_load_b32 v25, v42 offset:6912
	ds_load_b32 v26, v45 offset:8044
	s_wait_dscnt 0x0
	v_fmac_f32_e32 v24, v25, v26
	s_or_b32 exec_lo, exec_lo, s8
	s_and_saveexec_b32 s8, s4
	s_cbranch_execz .LBB13_817
.LBB13_1150:                            ;   in Loop: Header=BB13_3 Depth=1
	ds_load_b32 v25, v42 offset:7168
	ds_load_b32 v26, v45 offset:8048
	s_wait_dscnt 0x0
	v_fmac_f32_e32 v24, v25, v26
	s_or_b32 exec_lo, exec_lo, s8
	s_and_saveexec_b32 s8, s16
	s_cbranch_execz .LBB13_818
.LBB13_1151:                            ;   in Loop: Header=BB13_3 Depth=1
	ds_load_b32 v25, v42 offset:7424
	ds_load_b32 v26, v45 offset:8052
	s_wait_dscnt 0x0
	v_fmac_f32_e32 v24, v25, v26
	s_or_b32 exec_lo, exec_lo, s8
	s_and_saveexec_b32 s8, s18
	s_cbranch_execz .LBB13_819
.LBB13_1152:                            ;   in Loop: Header=BB13_3 Depth=1
	ds_load_b32 v25, v42 offset:7680
	ds_load_b32 v26, v45 offset:8056
	s_wait_dscnt 0x0
	v_fmac_f32_e32 v24, v25, v26
	s_or_b32 exec_lo, exec_lo, s8
	s_and_saveexec_b32 s8, s3
	s_cbranch_execnz .LBB13_820
	s_branch .LBB13_821
.LBB13_1153:                            ;   in Loop: Header=BB13_3 Depth=1
	ds_load_b32 v25, v33 offset:3360
	ds_load_b32 v26, v36 offset:3892
	s_wait_dscnt 0x0
	v_fmac_f32_e32 v24, v25, v26
	s_or_b32 exec_lo, exec_lo, s8
	s_and_saveexec_b32 s8, s14
	s_cbranch_execz .LBB13_905
.LBB13_1154:                            ;   in Loop: Header=BB13_3 Depth=1
	ds_load_b32 v25, v33 offset:3616
	ds_load_b32 v26, v36 offset:3896
	s_wait_dscnt 0x0
	v_fmac_f32_e32 v24, v25, v26
	s_or_b32 exec_lo, exec_lo, s8
	s_and_saveexec_b32 s8, s2
	s_cbranch_execnz .LBB13_906
	s_branch .LBB13_907
.LBB13_1155:                            ;   in Loop: Header=BB13_3 Depth=1
	ds_load_b32 v25, v38 offset:2304
	ds_load_b32 v26, v40 offset:3876
	s_wait_dscnt 0x0
	v_fmac_f32_e32 v24, v25, v26
	s_or_b32 exec_lo, exec_lo, s8
	s_and_saveexec_b32 s8, s16
	s_cbranch_execz .LBB13_943
.LBB13_1156:                            ;   in Loop: Header=BB13_3 Depth=1
	ds_load_b32 v25, v38 offset:2560
	ds_load_b32 v26, v40 offset:3880
	s_wait_dscnt 0x0
	v_fmac_f32_e32 v24, v25, v26
	s_or_b32 exec_lo, exec_lo, s8
	s_and_saveexec_b32 s8, s17
	s_cbranch_execz .LBB13_944
.LBB13_1157:                            ;   in Loop: Header=BB13_3 Depth=1
	ds_load_b32 v25, v38 offset:2816
	ds_load_b32 v26, v40 offset:3884
	s_wait_dscnt 0x0
	v_fmac_f32_e32 v24, v25, v26
	s_or_b32 exec_lo, exec_lo, s8
	s_and_saveexec_b32 s8, s18
	s_cbranch_execz .LBB13_945
.LBB13_1158:                            ;   in Loop: Header=BB13_3 Depth=1
	ds_load_b32 v25, v38 offset:3072
	ds_load_b32 v26, v40 offset:3888
	s_wait_dscnt 0x0
	v_fmac_f32_e32 v24, v25, v26
	s_or_b32 exec_lo, exec_lo, s8
	s_and_saveexec_b32 s8, s19
	s_cbranch_execz .LBB13_946
.LBB13_1159:                            ;   in Loop: Header=BB13_3 Depth=1
	ds_load_b32 v25, v38 offset:3328
	ds_load_b32 v26, v40 offset:3892
	s_wait_dscnt 0x0
	v_fmac_f32_e32 v24, v25, v26
	s_or_b32 exec_lo, exec_lo, s8
	s_and_saveexec_b32 s8, s3
	s_cbranch_execz .LBB13_947
.LBB13_1160:                            ;   in Loop: Header=BB13_3 Depth=1
	ds_load_b32 v25, v38 offset:3584
	ds_load_b32 v26, v40 offset:3896
	s_wait_dscnt 0x0
	v_fmac_f32_e32 v24, v25, v26
	s_or_b32 exec_lo, exec_lo, s8
	s_and_saveexec_b32 s8, s14
	s_cbranch_execnz .LBB13_948
	s_branch .LBB13_949
.LBB13_1161:                            ;   in Loop: Header=BB13_3 Depth=1
	ds_load_b32 v25, v33 offset:1280
	ds_load_b32 v26, v36 offset:1812
	s_wait_dscnt 0x0
	v_fmac_f32_e32 v24, v25, v26
	s_or_b32 exec_lo, exec_lo, s8
	s_and_saveexec_b32 s8, s14
	s_cbranch_execz .LBB13_1001
.LBB13_1162:                            ;   in Loop: Header=BB13_3 Depth=1
	ds_load_b32 v25, v33 offset:1536
	ds_load_b32 v26, v36 offset:1816
	s_wait_dscnt 0x0
	v_fmac_f32_e32 v24, v25, v26
	s_or_b32 exec_lo, exec_lo, s8
	s_and_saveexec_b32 s8, s2
	s_cbranch_execnz .LBB13_1002
	s_branch .LBB13_1003
.LBB13_1163:
	s_endpgm
	.section	.rodata,"a",@progbits
	.p2align	6, 0x0
	.amdhsa_kernel _ZL19rocblas_trsv_deviceILi64ELi16ELb0ELb0ELb0ELb1EffPKfPfEviT7_lllT6_T8_lllPii
		.amdhsa_group_segment_fixed_size 20740
		.amdhsa_private_segment_fixed_size 0
		.amdhsa_kernarg_size 352
		.amdhsa_user_sgpr_count 2
		.amdhsa_user_sgpr_dispatch_ptr 0
		.amdhsa_user_sgpr_queue_ptr 0
		.amdhsa_user_sgpr_kernarg_segment_ptr 1
		.amdhsa_user_sgpr_dispatch_id 0
		.amdhsa_user_sgpr_kernarg_preload_length 0
		.amdhsa_user_sgpr_kernarg_preload_offset 0
		.amdhsa_user_sgpr_private_segment_size 0
		.amdhsa_wavefront_size32 1
		.amdhsa_uses_dynamic_stack 0
		.amdhsa_enable_private_segment 0
		.amdhsa_system_sgpr_workgroup_id_x 1
		.amdhsa_system_sgpr_workgroup_id_y 0
		.amdhsa_system_sgpr_workgroup_id_z 1
		.amdhsa_system_sgpr_workgroup_info 0
		.amdhsa_system_vgpr_workitem_id 1
		.amdhsa_next_free_vgpr 77
		.amdhsa_next_free_sgpr 105
		.amdhsa_named_barrier_count 0
		.amdhsa_reserve_vcc 1
		.amdhsa_float_round_mode_32 0
		.amdhsa_float_round_mode_16_64 0
		.amdhsa_float_denorm_mode_32 3
		.amdhsa_float_denorm_mode_16_64 3
		.amdhsa_fp16_overflow 0
		.amdhsa_memory_ordered 1
		.amdhsa_forward_progress 1
		.amdhsa_inst_pref_size 254
		.amdhsa_round_robin_scheduling 0
		.amdhsa_exception_fp_ieee_invalid_op 0
		.amdhsa_exception_fp_denorm_src 0
		.amdhsa_exception_fp_ieee_div_zero 0
		.amdhsa_exception_fp_ieee_overflow 0
		.amdhsa_exception_fp_ieee_underflow 0
		.amdhsa_exception_fp_ieee_inexact 0
		.amdhsa_exception_int_div_zero 0
	.end_amdhsa_kernel
	.section	.text._ZL19rocblas_trsv_deviceILi64ELi16ELb0ELb0ELb0ELb1EffPKfPfEviT7_lllT6_T8_lllPii,"axG",@progbits,_ZL19rocblas_trsv_deviceILi64ELi16ELb0ELb0ELb0ELb1EffPKfPfEviT7_lllT6_T8_lllPii,comdat
.Lfunc_end13:
	.size	_ZL19rocblas_trsv_deviceILi64ELi16ELb0ELb0ELb0ELb1EffPKfPfEviT7_lllT6_T8_lllPii, .Lfunc_end13-_ZL19rocblas_trsv_deviceILi64ELi16ELb0ELb0ELb0ELb1EffPKfPfEviT7_lllT6_T8_lllPii
                                        ; -- End function
	.set _ZL19rocblas_trsv_deviceILi64ELi16ELb0ELb0ELb0ELb1EffPKfPfEviT7_lllT6_T8_lllPii.num_vgpr, 77
	.set _ZL19rocblas_trsv_deviceILi64ELi16ELb0ELb0ELb0ELb1EffPKfPfEviT7_lllT6_T8_lllPii.num_agpr, 0
	.set _ZL19rocblas_trsv_deviceILi64ELi16ELb0ELb0ELb0ELb1EffPKfPfEviT7_lllT6_T8_lllPii.numbered_sgpr, 105
	.set _ZL19rocblas_trsv_deviceILi64ELi16ELb0ELb0ELb0ELb1EffPKfPfEviT7_lllT6_T8_lllPii.num_named_barrier, 0
	.set _ZL19rocblas_trsv_deviceILi64ELi16ELb0ELb0ELb0ELb1EffPKfPfEviT7_lllT6_T8_lllPii.private_seg_size, 0
	.set _ZL19rocblas_trsv_deviceILi64ELi16ELb0ELb0ELb0ELb1EffPKfPfEviT7_lllT6_T8_lllPii.uses_vcc, 1
	.set _ZL19rocblas_trsv_deviceILi64ELi16ELb0ELb0ELb0ELb1EffPKfPfEviT7_lllT6_T8_lllPii.uses_flat_scratch, 0
	.set _ZL19rocblas_trsv_deviceILi64ELi16ELb0ELb0ELb0ELb1EffPKfPfEviT7_lllT6_T8_lllPii.has_dyn_sized_stack, 0
	.set _ZL19rocblas_trsv_deviceILi64ELi16ELb0ELb0ELb0ELb1EffPKfPfEviT7_lllT6_T8_lllPii.has_recursion, 0
	.set _ZL19rocblas_trsv_deviceILi64ELi16ELb0ELb0ELb0ELb1EffPKfPfEviT7_lllT6_T8_lllPii.has_indirect_call, 0
	.section	.AMDGPU.csdata,"",@progbits
; Kernel info:
; codeLenInByte = 32448
; TotalNumSgprs: 107
; NumVgprs: 77
; ScratchSize: 0
; MemoryBound: 0
; FloatMode: 240
; IeeeMode: 1
; LDSByteSize: 20740 bytes/workgroup (compile time only)
; SGPRBlocks: 0
; VGPRBlocks: 4
; NumSGPRsForWavesPerEU: 107
; NumVGPRsForWavesPerEU: 77
; NamedBarCnt: 0
; Occupancy: 12
; WaveLimiterHint : 0
; COMPUTE_PGM_RSRC2:SCRATCH_EN: 0
; COMPUTE_PGM_RSRC2:USER_SGPR: 2
; COMPUTE_PGM_RSRC2:TRAP_HANDLER: 0
; COMPUTE_PGM_RSRC2:TGID_X_EN: 1
; COMPUTE_PGM_RSRC2:TGID_Y_EN: 0
; COMPUTE_PGM_RSRC2:TGID_Z_EN: 1
; COMPUTE_PGM_RSRC2:TIDIG_COMP_CNT: 1
	.section	.text._ZL19rocblas_trsv_deviceILi64ELi16ELb0ELb1ELb0ELb1EffPKfPfEviT7_lllT6_T8_lllPii,"axG",@progbits,_ZL19rocblas_trsv_deviceILi64ELi16ELb0ELb1ELb0ELb1EffPKfPfEviT7_lllT6_T8_lllPii,comdat
	.globl	_ZL19rocblas_trsv_deviceILi64ELi16ELb0ELb1ELb0ELb1EffPKfPfEviT7_lllT6_T8_lllPii ; -- Begin function _ZL19rocblas_trsv_deviceILi64ELi16ELb0ELb1ELb0ELb1EffPKfPfEviT7_lllT6_T8_lllPii
	.p2align	8
	.type	_ZL19rocblas_trsv_deviceILi64ELi16ELb0ELb1ELb0ELb1EffPKfPfEviT7_lllT6_T8_lllPii,@function
_ZL19rocblas_trsv_deviceILi64ELi16ELb0ELb1ELb0ELb1EffPKfPfEviT7_lllT6_T8_lllPii: ; @_ZL19rocblas_trsv_deviceILi64ELi16ELb0ELb1ELb0ELb1EffPKfPfEviT7_lllT6_T8_lllPii
; %bb.0:
	s_load_b32 s6, s[0:1], 0x58
	s_bfe_u32 s2, ttmp6, 0x40014
	s_lshr_b32 s3, ttmp7, 16
	s_add_co_i32 s2, s2, 1
	s_bfe_u32 s5, ttmp6, 0x40008
	s_mul_i32 s4, s3, s2
	s_getreg_b32 s2, hwreg(HW_REG_IB_STS2, 6, 4)
	s_add_co_i32 s5, s5, s4
	s_cmp_eq_u32 s2, 0
	s_mov_b32 s73, 0
	s_cselect_b32 s72, s3, s5
                                        ; implicit-def: $vgpr89 : SGPR spill to VGPR lane
	s_wait_kmcnt 0x0
	s_cmp_ge_u32 s72, s6
	v_writelane_b32 v89, s6, 0
	s_cbranch_scc1 .LBB14_1225
; %bb.1:
	s_clause 0x3
	s_load_b256 s[56:63], s[0:1], 0x8
	s_load_b256 s[64:71], s[0:1], 0x30
	s_load_b32 s3, s[0:1], 0x6c
	s_load_b32 s83, s[0:1], 0x0
	s_bfe_u32 s5, ttmp6, 0x4000c
	s_and_b32 s4, ttmp6, 15
	s_add_co_i32 s5, s5, 1
	v_bfe_u32 v4, v0, 10, 10
	s_mul_i32 s5, ttmp9, s5
	v_and_b32_e32 v6, 0x3ff, v0
	s_add_co_i32 s4, s4, s5
	s_delay_alu instid0(VALU_DEP_2) | instskip(NEXT) | instid1(VALU_DEP_2)
	v_dual_mov_b32 v3, 0 :: v_dual_add_nc_u32 v30, 32, v4
	v_dual_add_nc_u32 v28, 48, v4 :: v_dual_lshlrev_b32 v1, 6, v6
	v_lshl_add_u32 v32, v4, 6, v6
	v_cmp_gt_u32_e64 s6, 2, v6
	v_and_b32_e32 v22, 7, v0
	v_and_b32_e32 v23, 15, v0
	v_lshl_add_u32 v12, v28, 6, v6
	s_wait_kmcnt 0x0
	s_lshl_b64 s[14:15], s[58:59], 2
	s_lshl_b64 s[16:17], s[66:67], 2
	s_cmp_eq_u32 s2, 0
                                        ; implicit-def: $vgpr88 : SGPR spill to VGPR lane
                                        ; implicit-def: $vgpr87 : SGPR spill to VGPR lane
	v_cmp_gt_u32_e64 s42, 0xf0, v32
	s_cselect_b32 s84, ttmp9, s4
	s_and_b32 s2, s3, 0xffff
	s_add_co_i32 s3, s83, -1
	s_ashr_i32 s4, s83, 31
	s_ashr_i32 s5, s3, 31
	s_lshr_b32 s4, s4, 26
	s_lshr_b32 s5, s5, 26
	s_add_co_i32 s4, s83, s4
	s_add_co_i32 s3, s3, s5
	s_and_not1_b32 s4, s4, 63
	s_ashr_i32 s3, s3, 6
	s_sub_co_i32 s13, s83, s4
	s_cmp_eq_u32 s3, s84
	v_mad_u32_u24 v8, v4, s2, v6
	s_cselect_b32 s2, -1, 0
	s_cmp_lg_u32 s13, 0
	v_sub_co_u32 v7, s3, s84, 1
	s_cselect_b32 s4, -1, 0
	s_lshl_b32 s18, s84, 6
	s_and_b32 s40, s4, s2
	v_dual_add_nc_u32 v5, s18, v4 :: v_dual_add_nc_u32 v26, 16, v4
	s_xor_b32 s3, s3, -1
	s_xor_b32 s86, s40, -1
	s_cmp_lt_i32 s84, 5
	s_delay_alu instid0(VALU_DEP_1) | instskip(SKIP_2) | instid1(VALU_DEP_2)
	v_dual_add_nc_u32 v2, v4, v1 :: v_dual_add_nc_u32 v10, v26, v1
	s_cselect_b32 vcc_lo, -1, 0
	v_lshl_add_u32 v11, v26, 6, v6
	v_dual_cndmask_b32 v21, v32, v2, vcc_lo :: v_dual_bitop2_b32 v14, 1, v0 bitop3:0x40
	v_writelane_b32 v89, s3, 1
	s_add_nc_u64 s[2:3], s[60:61], 1
	s_ashr_i32 s19, s18, 31
	s_or_b32 vcc_lo, vcc_lo, s40
	s_mul_u64 s[76:77], s[2:3], s[18:19]
	v_dual_cndmask_b32 v20, v11, v10, vcc_lo :: v_dual_bitop2_b32 v15, 3, v0 bitop3:0x40
	v_cmp_gt_u32_e64 s2, 4, v32
	v_cmp_eq_u32_e64 s4, 1, v14
	v_cmp_eq_u32_e64 s5, 0, v14
	;; [unrolled: 1-line block ×4, first 2 shown]
	v_add_nc_u32_e32 v10, v30, v1
	s_and_b32 s88, s4, s2
	s_and_b32 s89, s5, s2
	v_cmp_gt_u32_e64 s4, 16, v32
	v_cmp_eq_u32_e64 s5, 3, v15
	s_and_b32 s90, s3, s6
	v_cmp_ne_u32_e64 s6, 3, v15
	v_cmp_ne_u32_e64 s9, 7, v22
	s_and_b32 s93, s7, s4
	s_and_b32 s91, s5, s4
	v_cmp_eq_u32_e64 s5, 1, v15
	s_and_b32 s92, s6, s4
	v_cmp_eq_u32_e64 s6, 0, v15
	v_cmp_gt_u32_e64 s7, 4, v6
	v_cmp_gt_u32_e64 s8, 2, v15
	s_and_b32 s95, s5, s4
	v_cmp_gt_u32_e64 s5, 64, v32
	s_and_b32 s96, s6, s4
	v_cmp_eq_u32_e64 s6, 6, v22
	s_and_b32 s97, s3, s7
	v_cmp_gt_u32_e64 s7, 6, v22
	s_and_b32 s99, s9, s5
	v_cmp_eq_u32_e64 s9, 4, v22
	s_and_b32 s100, s6, s5
	v_cmp_eq_u32_e64 s6, 5, v22
	s_and_b32 s101, s7, s5
	v_cmp_gt_u32_e64 s7, 4, v22
	s_and_b32 s104, s9, s5
	v_cmp_gt_u32_e64 s9, 2, v22
	s_and_b32 s102, s6, s5
	v_cmp_eq_u32_e64 s6, 3, v22
	s_and_b32 vcc_hi, s7, s5
	v_cmp_gt_u32_e64 s7, 3, v22
	s_and_b32 s94, s8, s4
	v_cmp_eq_u32_e64 s8, 7, v22
	s_and_b32 s31, s6, s5
	v_cmp_eq_u32_e64 s6, 1, v22
	s_and_b32 s33, s7, s5
	s_and_b32 s35, s9, s5
	v_cmp_eq_u32_e64 s7, 0, v22
	v_add_nc_u32_e32 v1, v28, v1
	s_and_b32 s36, s6, s5
	v_cmp_gt_u32_e64 s6, 0x100, v32
	v_cmp_eq_u32_e64 s9, 15, v23
	s_and_b32 s98, s8, s5
	v_cmp_gt_u32_e64 s8, 5, v22
	v_cmp_ne_u32_e64 s10, 15, v23
	s_and_b32 s37, s7, s5
	s_and_b32 s7, s9, s6
	v_cmp_eq_u32_e64 s11, 14, v23
	v_writelane_b32 v89, s7, 2
	s_and_b32 s103, s8, s5
	v_cmp_eq_u32_e64 s8, 2, v22
	s_and_b32 s7, s10, s6
	v_cmp_gt_u32_e64 s9, 13, v23
	v_writelane_b32 v89, s7, 3
	s_and_b32 s7, s11, s6
	s_and_b32 s34, s8, s5
	v_cmp_gt_u32_e64 s8, 8, v6
	v_cmp_gt_u32_e64 s11, 12, v23
	v_writelane_b32 v89, s7, 4
	v_cmp_gt_u32_e64 s7, 14, v23
	v_cmp_eq_u32_e64 s10, 12, v23
	s_and_b32 s38, s3, s8
	v_cmp_eq_u32_e64 s8, 13, v23
	s_and_b32 s46, s11, s6
	s_and_b32 s7, s7, s6
	v_cmp_eq_u32_e64 s11, 9, v23
	v_writelane_b32 v89, s7, 5
	s_and_b32 s43, s8, s6
	v_cmp_eq_u32_e64 s7, 11, v23
	v_cmp_gt_u32_e64 s8, 11, v23
	s_and_b32 s51, s11, s6
	v_cmp_gt_u32_e64 s11, 7, v23
	s_and_b32 s44, s9, s6
	s_and_b32 s47, s7, s6
	;; [unrolled: 1-line block ×3, first 2 shown]
	v_cmp_gt_u32_e64 s7, 9, v23
	v_cmp_eq_u32_e64 s8, 8, v23
	s_and_b32 s24, s11, s6
	v_cmp_eq_u32_e64 s11, 4, v23
	v_cmp_eq_u32_e64 s9, 10, v23
	s_and_b32 s52, s7, s6
	s_and_b32 s53, s8, s6
	v_cmp_eq_u32_e64 s7, 6, v23
	v_cmp_gt_u32_e64 s8, 6, v23
	s_and_b32 s59, s11, s6
	v_cmp_gt_u32_e64 s11, 2, v23
	v_lshl_add_u32 v11, v30, 6, v6
	s_and_b32 s26, s7, s6
	s_and_b32 s28, s8, s6
	v_cmp_gt_u32_e64 s7, 4, v23
	v_cmp_eq_u32_e64 s8, 3, v23
	v_dual_cndmask_b32 v25, v11, v10, vcc_lo :: v_dual_bitop2_b32 v24, 31, v0 bitop3:0x40
	s_and_b32 s45, s10, s6
	v_cmp_gt_u32_e64 s10, 10, v23
	s_and_b32 s49, s9, s6
	v_cmp_gt_u32_e64 s9, 8, v23
	s_and_b32 s20, s7, s6
	s_and_b32 s21, s8, s6
	s_and_b32 s27, s11, s6
	v_cmp_eq_u32_e64 s8, 1, v23
	v_cmp_gt_u32_e64 s7, 0x400, v32
	v_cmp_eq_u32_e64 s11, 31, v24
	s_and_b32 s50, s10, s6
	v_cmp_eq_u32_e64 s10, 7, v23
	s_and_b32 s54, s9, s6
	v_cmp_eq_u32_e64 s9, 5, v23
	v_cmp_ne_u32_e64 s12, 31, v24
	s_and_b32 s29, s8, s6
	s_and_b32 s8, s11, s7
	;; [unrolled: 1-line block ×3, first 2 shown]
	v_cmp_gt_u32_e64 s10, 5, v23
	s_and_b32 s30, s9, s6
	v_cmp_gt_u32_e64 s9, 3, v23
	v_writelane_b32 v89, s8, 6
	s_and_b32 s8, s12, s7
	s_and_b32 s58, s10, s6
	v_cmp_eq_u32_e64 s10, 2, v23
	s_and_b32 s23, s9, s6
	v_cmp_eq_u32_e64 s9, 0, v23
	v_writelane_b32 v89, s8, 7
	v_cmp_eq_u32_e64 s8, 30, v24
	s_and_b32 s25, s10, s6
	v_cmp_gt_u32_e64 s10, 16, v6
	s_and_b32 s85, s9, s6
	v_cmp_gt_u32_e64 s9, 30, v24
	;; [unrolled: 2-line block ×3, first 2 shown]
	v_writelane_b32 v89, s8, 8
	s_and_b32 s82, s3, s10
	v_cmp_eq_u32_e64 s10, 29, v24
	s_and_b32 s8, s9, s7
	s_xor_b32 s87, vcc_lo, -1
	v_writelane_b32 v89, s8, 9
	v_dual_cndmask_b32 v33, v12, v1 :: v_dual_add_nc_u32 v2, s18, v8
	s_and_b32 s8, s10, s7
	v_cmp_eq_u32_e32 vcc_lo, 28, v24
	v_writelane_b32 v89, s8, 10
	s_and_b32 s8, s11, s7
	v_dual_mov_b32 v9, v3 :: v_dual_add_nc_u32 v18, s18, v6
	v_subrev_nc_u32_e32 v10, 64, v5
	v_writelane_b32 v89, s8, 11
	s_and_b32 s8, vcc_lo, s7
	v_cmp_gt_u32_e32 vcc_lo, 28, v24
	v_add_nc_u64_e32 v[16:17], s[18:19], v[8:9]
	v_dual_lshlrev_b32 v9, 2, v6 :: v_dual_lshrrev_b32 v1, 10, v0
	v_writelane_b32 v89, s8, 12
	s_and_b32 s8, vcc_lo, s7
	v_cmp_eq_u32_e32 vcc_lo, 27, v24
	v_dual_ashrrev_i32 v19, 31, v18 :: v_dual_lshrrev_b32 v27, 1, v32
	v_writelane_b32 v89, s8, 13
	v_ashrrev_i32_e32 v11, 31, v10
	s_and_b32 s8, vcc_lo, s7
	v_cmp_gt_u32_e32 vcc_lo, 27, v24
	v_bitop3_b32 v82, v0, v1, 0x3ff bitop3:0xa8
	v_writelane_b32 v89, s8, 14
	v_dual_lshlrev_b32 v0, 8, v27 :: v_dual_lshlrev_b32 v43, 2, v14
	v_lshlrev_b32_e32 v1, 6, v32
	s_and_b32 s8, vcc_lo, s7
	v_cmp_eq_u32_e32 vcc_lo, 26, v24
	v_writelane_b32 v89, s8, 15
	v_dual_lshlrev_b32 v48, 2, v15 :: v_dual_bitop2_b32 v14, -4, v32 bitop3:0x40
	v_dual_sub_nc_u32 v44, 0, v0 :: v_dual_sub_nc_u32 v46, v43, v0
	s_and_b32 s8, vcc_lo, s7
	v_cmp_gt_u32_e32 vcc_lo, 26, v24
	v_writelane_b32 v89, s8, 16
	v_and_b32_e32 v0, 0xffffff00, v1
	v_dual_lshrrev_b32 v1, 3, v32 :: v_dual_lshlrev_b32 v53, 2, v22
	s_and_b32 s8, vcc_lo, s7
	v_cmp_eq_u32_e32 vcc_lo, 25, v24
	v_writelane_b32 v89, s8, 17
	v_add_nc_u32_e32 v47, 0x4000, v14
	v_dual_sub_nc_u32 v50, 0, v0 :: v_dual_sub_nc_u32 v51, v48, v0
	s_and_b32 s8, vcc_lo, s7
	v_cmp_gt_u32_e32 vcc_lo, 25, v24
	v_writelane_b32 v89, s8, 18
	v_dual_lshlrev_b32 v0, 8, v1 :: v_dual_lshrrev_b32 v14, 4, v32
	v_lshl_add_u32 v54, v1, 2, 0x4000
	s_and_b32 s8, vcc_lo, s7
	v_cmp_eq_u32_e32 vcc_lo, 24, v24
	v_writelane_b32 v89, s8, 19
	v_dual_sub_nc_u32 v56, 0, v0 :: v_dual_sub_nc_u32 v57, v53, v0
	v_dual_lshlrev_b32 v0, 8, v14 :: v_dual_lshrrev_b32 v1, 5, v32
	s_and_b32 s8, vcc_lo, s7
	v_cmp_gt_u32_e32 vcc_lo, 24, v24
	v_writelane_b32 v89, s8, 20
	s_delay_alu instid0(VALU_DEP_3)
	v_dual_lshlrev_b32 v59, 2, v23 :: v_dual_sub_nc_u32 v61, 0, v0
	v_lshl_add_u32 v60, v14, 2, 0x4000
	s_and_b32 s8, vcc_lo, s7
	v_cmp_eq_u32_e32 vcc_lo, 23, v24
	v_writelane_b32 v89, s8, 21
	v_dual_lshlrev_b32 v14, 8, v1 :: v_dual_lshlrev_b32 v62, 2, v24
	v_sub_nc_u32_e32 v63, v59, v0
	s_and_b32 s8, vcc_lo, s7
	v_cmp_gt_u32_e32 vcc_lo, 23, v24
	v_writelane_b32 v89, s8, 22
	v_dual_lshlrev_b32 v76, 2, v4 :: v_dual_sub_nc_u32 v66, v62, v14
	v_sub_nc_u32_e32 v65, 0, v14
	s_and_b32 s8, vcc_lo, s7
	v_cmp_eq_u32_e32 vcc_lo, 22, v24
	v_writelane_b32 v89, s8, 23
	v_mul_u64_e32 v[14:15], s[68:69], v[2:3]
	v_subrev_nc_u32_e32 v2, 48, v5
	v_mul_u64_e32 v[12:13], s[60:61], v[18:19]
	s_and_b32 s8, vcc_lo, s7
	v_cmp_gt_u32_e32 vcc_lo, 22, v24
	v_writelane_b32 v89, s8, 24
	v_lshl_add_u32 v64, v1, 2, 0x4000
	v_mul_u64_e32 v[0:1], s[68:69], v[18:19]
	v_lshl_add_u32 v41, v27, 2, 0x4000
	s_and_b32 s8, vcc_lo, s7
	v_cmp_eq_u32_e32 vcc_lo, 21, v24
	v_writelane_b32 v89, s8, 25
                                        ; implicit-def: $vgpr86 : SGPR spill to VGPR lane
	v_mad_u32_u24 v34, 0xfc, v6, v9
	v_dual_mov_b32 v31, v3 :: v_dual_add_nc_u32 v70, 0x4000, v9
	v_or_b32_e32 v83, v30, v6
	s_and_b32 s8, vcc_lo, s7
	v_cmp_gt_u32_e32 vcc_lo, 21, v24
	v_writelane_b32 v89, s8, 26
	v_mad_i32_i24 v35, 0xffffff04, v6, v34
	v_dual_mov_b32 v29, v3 :: v_dual_lshlrev_b32 v74, 2, v25
	s_and_b32 s8, vcc_lo, s7
	v_cmp_eq_u32_e32 vcc_lo, 20, v24
	v_writelane_b32 v89, s8, 27
	v_mad_u32_u24 v36, 0xfc, v6, v35
	v_mul_u64_e32 v[16:17], s[68:69], v[16:17]
	v_lshlrev_b32_e32 v73, 2, v21
	s_and_b32 s8, vcc_lo, s7
	v_cmp_gt_u32_e32 vcc_lo, 20, v24
	v_writelane_b32 v89, s8, 28
	v_mad_i32_i24 v37, 0xffffff04, v6, v36
	v_mul_u64_e32 v[22:23], s[60:61], v[30:31]
	v_or_b32_e32 v67, 0x5000, v76
	s_and_b32 s8, vcc_lo, s7
	v_cmp_eq_u32_e32 vcc_lo, 19, v24
	v_writelane_b32 v89, s8, 29
	v_mad_u32_u24 v38, 0xfc, v6, v37
	v_mul_i32_i24_e32 v77, 0xffffff04, v6
	v_add_nc_u32_e32 v72, v67, v9
	s_and_b32 s8, vcc_lo, s7
	v_cmp_gt_u32_e32 vcc_lo, 19, v24
	v_writelane_b32 v89, s8, 30
	v_mad_i32_i24 v39, 0xffffff04, v6, v38
	v_dual_lshlrev_b32 v75, 2, v33 :: v_dual_bitop2_b32 v31, v28, v6 bitop3:0x54
	s_and_b32 s8, vcc_lo, s7
	v_cmp_eq_u32_e32 vcc_lo, 18, v24
	v_writelane_b32 v89, s8, 31
	v_mad_u32_u24 v40, 0xfc, v6, v39
	s_add_nc_u64 s[74:75], s[56:57], s[14:15]
	s_add_nc_u64 s[64:65], s[64:65], s[16:17]
	s_and_b32 s8, vcc_lo, s7
	v_cmp_gt_u32_e32 vcc_lo, 18, v24
	v_writelane_b32 v88, s8, 0
	v_mad_i32_i24 v42, 0xffffff04, v6, v40
	v_lshl_add_u32 v68, v8, 2, 0x5000
	v_lshl_add_u32 v69, v32, 2, 0x4000
	s_and_b32 s8, vcc_lo, s7
	v_cmp_eq_u32_e32 vcc_lo, 17, v24
	v_writelane_b32 v88, s8, 1
	v_mad_u32_u24 v45, 0xfc, v6, v42
	v_cmp_gt_u32_e64 s14, 8, v32
	v_cmp_gt_u32_e64 s15, 56, v32
	s_and_b32 s8, vcc_lo, s7
	v_cmp_gt_u32_e32 vcc_lo, 17, v24
	v_writelane_b32 v88, s8, 2
	v_mad_i32_i24 v49, 0xffffff04, v6, v45
	v_cmp_gt_u32_e64 s16, 48, v32
	v_cmp_gt_u32_e64 s17, 40, v32
	s_and_b32 s8, vcc_lo, s7
	v_cmp_eq_u32_e32 vcc_lo, 16, v24
	v_writelane_b32 v88, s8, 3
	v_mad_u32_u24 v52, 0xfc, v6, v49
	v_lshl_add_u32 v71, v4, 8, v49
	v_cmp_gt_u32_e64 s18, 32, v32
	s_and_b32 s8, vcc_lo, s7
	v_cmp_gt_u32_e32 vcc_lo, 16, v24
	v_writelane_b32 v88, s8, 4
	v_mad_i32_i24 v55, 0xffffff04, v6, v52
	v_cmp_gt_u32_e64 s19, 24, v32
	v_cmp_eq_u32_e64 s55, 0, v8
	s_and_b32 s8, vcc_lo, s7
	v_cmp_eq_u32_e32 vcc_lo, 15, v24
	v_writelane_b32 v88, s8, 5
	v_mad_u32_u24 v58, 0xfc, v6, v55
	v_cmp_gt_u32_e64 s56, 64, v8
                                        ; implicit-def: $vgpr78
                                        ; implicit-def: $vgpr79
                                        ; implicit-def: $vgpr80
                                        ; implicit-def: $vgpr81
	s_load_b64 s[66:67], s[0:1], 0x50
	s_and_b32 s8, vcc_lo, s7
	v_cmp_gt_u32_e32 vcc_lo, 15, v24
	v_writelane_b32 v88, s8, 6
	v_dual_mov_b32 v27, v3 :: v_dual_add_nc_u32 v76, v58, v76
	s_and_b32 s8, vcc_lo, s7
	v_cmp_eq_u32_e32 vcc_lo, 14, v24
	v_writelane_b32 v88, s8, 7
	s_and_b32 s8, vcc_lo, s7
	v_cmp_gt_u32_e32 vcc_lo, 14, v24
	v_writelane_b32 v88, s8, 8
	s_and_b32 s8, vcc_lo, s7
	v_cmp_eq_u32_e32 vcc_lo, 13, v24
	v_writelane_b32 v88, s8, 9
	s_and_b32 s8, vcc_lo, s7
	v_cmp_gt_u32_e32 vcc_lo, 13, v24
	v_writelane_b32 v88, s8, 10
	;; [unrolled: 6-line block ×13, first 2 shown]
	s_and_b32 s8, vcc_lo, s7
	v_cmp_eq_u32_e32 vcc_lo, 1, v24
	v_writelane_b32 v87, s8, 1
	s_and_b32 s8, vcc_lo, s7
	v_cmp_eq_u32_e32 vcc_lo, 0, v24
	v_writelane_b32 v87, s8, 2
	v_cmp_gt_u32_e64 s8, 32, v6
	v_mul_u64_e32 v[24:25], s[60:61], v[28:29]
	s_and_b32 s39, vcc_lo, s7
	v_cmp_le_i32_e32 vcc_lo, s13, v6
	s_and_b32 s8, s3, s8
	s_delay_alu instid0(SALU_CYCLE_1) | instskip(SKIP_1) | instid1(SALU_CYCLE_1)
	v_writelane_b32 v87, s8, 3
	s_and_b32 s9, vcc_lo, s40
	s_xor_b32 s8, s9, -1
	v_writelane_b32 v87, s9, 4
	s_and_b32 s40, s3, s8
	v_cmp_le_i32_e64 s8, s13, v4
	s_cmp_gt_i32 s84, 0
	s_cselect_b32 s41, -1, 0
	s_lshl_b64 s[76:77], s[76:77], 2
	s_or_b32 s9, s8, vcc_lo
	v_cmp_le_i32_e64 s8, s13, v26
	s_or_b32 s10, s8, vcc_lo
	v_cmp_le_i32_e64 s8, s13, v30
	;; [unrolled: 2-line block ×3, first 2 shown]
	s_or_b32 s12, s8, vcc_lo
	s_load_b32 s8, s[0:1], 0x28
	v_cmp_gt_i32_e32 vcc_lo, s13, v6
	v_cmp_gt_u32_e64 s13, 12, v32
	s_wait_xcnt 0x0
	s_and_b32 s0, s3, vcc_lo
	v_cmp_gt_i32_e32 vcc_lo, s83, v10
	s_wait_kmcnt 0x0
	v_writelane_b32 v87, s8, 5
	v_writelane_b32 v87, s0, 6
	v_cmp_gt_i32_e64 s0, s83, v18
	v_subrev_nc_u32_e32 v18, 32, v5
	s_and_b32 s1, vcc_lo, s0
	v_cmp_gt_i32_e32 vcc_lo, s83, v2
	v_writelane_b32 v87, s1, 7
	v_dual_mov_b32 v5, v3 :: v_dual_add_nc_u32 v2, -16, v5
	s_and_b32 s1, vcc_lo, s0
	v_cmp_gt_i32_e32 vcc_lo, s83, v18
	v_writelane_b32 v87, s1, 8
	s_delay_alu instid0(VALU_DEP_3)
	v_mul_u64_e32 v[18:19], s[60:61], v[4:5]
	v_lshlrev_b32_e32 v5, 2, v20
	v_mul_u64_e32 v[20:21], s[60:61], v[26:27]
	s_and_b32 s1, vcc_lo, s0
	v_cmp_gt_i32_e32 vcc_lo, s83, v2
	v_writelane_b32 v87, s1, 9
	v_or_b32_e32 v2, v26, v6
	s_and_b32 s1, vcc_lo, s0
	s_delay_alu instid0(SALU_CYCLE_1) | instskip(SKIP_2) | instid1(SALU_CYCLE_1)
	v_writelane_b32 v87, s1, 10
	v_cmp_ge_u32_e64 s1, v6, v4
	s_or_b32 s8, s9, s1
	v_writelane_b32 v87, s8, 11
	v_cmp_ge_u32_e64 s8, v6, v26
	v_mad_u32_u24 v26, 0xfc, v6, v77
	s_or_b32 s9, s10, s8
	s_delay_alu instid0(VALU_DEP_1) | instskip(SKIP_4) | instid1(SALU_CYCLE_1)
	v_mad_u32 v77, v26, 7, v9
	v_writelane_b32 v87, s9, 12
	v_cmp_ge_u32_e64 s9, v6, v30
	v_lshlrev_b32_e32 v26, 2, v6
	s_or_b32 s10, s11, s9
	v_writelane_b32 v87, s10, 13
	v_cmp_ge_u32_e64 s10, v6, v28
	v_mov_b32_e32 v28, 1.0
	s_or_b32 s11, s12, s10
	v_cmp_gt_u32_e64 s12, 2, v32
	v_writelane_b32 v87, s11, 14
	v_cmp_eq_u32_e64 s11, 0, v82
	v_writelane_b32 v87, s42, 15
	v_cmp_gt_u32_e64 s42, 0xe0, v32
	s_delay_alu instid0(VALU_DEP_1) | instskip(SKIP_1) | instid1(VALU_DEP_1)
	v_writelane_b32 v87, s42, 16
	v_cmp_gt_u32_e64 s42, 0xd0, v32
	v_writelane_b32 v87, s42, 17
	v_cmp_gt_u32_e64 s42, 0xc0, v32
	s_delay_alu instid0(VALU_DEP_1) | instskip(SKIP_1) | instid1(VALU_DEP_1)
	v_writelane_b32 v87, s42, 18
	v_cmp_gt_u32_e64 s42, 0xb0, v32
	;; [unrolled: 5-line block ×18, first 2 shown]
	v_writelane_b32 v86, s42, 19
	v_cmp_gt_u32_e64 s42, 64, v31
	s_delay_alu instid0(VALU_DEP_1)
	v_writelane_b32 v86, s42, 20
	s_branch .LBB14_3
.LBB14_2:                               ;   in Loop: Header=BB14_3 Depth=1
	s_wait_xcnt 0x0
	s_or_b32 exec_lo, exec_lo, s42
	v_readlane_b32 s42, v89, 0
	s_add_co_i32 s72, s72, 0x10000
	global_wb scope:SCOPE_DEV
	s_wait_storecnt 0x0
	global_inv scope:SCOPE_DEV
	s_cmp_lt_u32 s72, s42
	s_cbranch_scc0 .LBB14_1225
.LBB14_3:                               ; =>This Loop Header: Depth=1
                                        ;     Child Loop BB14_1094 Depth 2
                                        ;       Child Loop BB14_1096 Depth 3
                                        ;     Child Loop BB14_1131 Depth 2
	s_mul_u64 s[60:61], s[62:63], s[72:73]
	v_readlane_b32 s42, v89, 1
	s_lshl_b64 s[60:61], s[60:61], 2
	s_delay_alu instid0(SALU_CYCLE_1)
	s_add_nc_u64 s[78:79], s[74:75], s[60:61]
	s_and_not1_b32 vcc_lo, exec_lo, s42
	v_lshl_add_u64 v[30:31], v[12:13], 2, s[78:79]
	s_cbranch_vccnz .LBB14_13
; %bb.4:                                ;   in Loop: Header=BB14_3 Depth=1
	s_delay_alu instid0(VALU_DEP_1)
	v_lshl_add_u64 v[32:33], v[10:11], 2, v[30:31]
	v_dual_mov_b32 v79, 0 :: v_dual_mov_b32 v78, 0
	s_barrier_signal -1
	s_barrier_wait -1
	s_mov_b32 s42, exec_lo
	v_readlane_b32 s57, v87, 7
	s_and_b32 s57, s42, s57
	s_delay_alu instid0(SALU_CYCLE_1)
	s_mov_b32 exec_lo, s57
	s_cbranch_execz .LBB14_6
; %bb.5:                                ;   in Loop: Header=BB14_3 Depth=1
	global_load_b32 v78, v[32:33], off
.LBB14_6:                               ;   in Loop: Header=BB14_3 Depth=1
	s_wait_xcnt 0x0
	s_or_b32 exec_lo, exec_lo, s42
	s_wait_loadcnt 0x0
	s_barrier_signal -1
	s_barrier_wait -1
	s_mov_b32 s42, exec_lo
	v_readlane_b32 s57, v87, 8
	s_and_b32 s57, s42, s57
	s_delay_alu instid0(SALU_CYCLE_1)
	s_mov_b32 exec_lo, s57
	s_cbranch_execz .LBB14_8
; %bb.7:                                ;   in Loop: Header=BB14_3 Depth=1
	global_load_b32 v79, v[32:33], off offset:64
.LBB14_8:                               ;   in Loop: Header=BB14_3 Depth=1
	s_wait_xcnt 0x0
	s_or_b32 exec_lo, exec_lo, s42
	v_dual_mov_b32 v81, 0 :: v_dual_mov_b32 v80, 0
	s_wait_loadcnt 0x0
	s_barrier_signal -1
	s_barrier_wait -1
	s_mov_b32 s42, exec_lo
	v_readlane_b32 s57, v87, 9
	s_and_b32 s57, s42, s57
	s_delay_alu instid0(SALU_CYCLE_1)
	s_mov_b32 exec_lo, s57
	s_cbranch_execz .LBB14_10
; %bb.9:                                ;   in Loop: Header=BB14_3 Depth=1
	global_load_b32 v80, v[32:33], off offset:128
.LBB14_10:                              ;   in Loop: Header=BB14_3 Depth=1
	s_wait_xcnt 0x0
	s_or_b32 exec_lo, exec_lo, s42
	s_wait_loadcnt 0x0
	s_barrier_signal -1
	s_barrier_wait -1
	s_mov_b32 s42, exec_lo
	v_readlane_b32 s57, v87, 10
	s_and_b32 s57, s42, s57
	s_delay_alu instid0(SALU_CYCLE_1)
	s_mov_b32 exec_lo, s57
	s_cbranch_execz .LBB14_12
; %bb.11:                               ;   in Loop: Header=BB14_3 Depth=1
	global_load_b32 v81, v[32:33], off offset:192
.LBB14_12:                              ;   in Loop: Header=BB14_3 Depth=1
	s_wait_xcnt 0x0
	s_or_b32 exec_lo, exec_lo, s42
.LBB14_13:                              ;   in Loop: Header=BB14_3 Depth=1
	s_add_nc_u64 s[60:61], s[78:79], s[76:77]
	s_and_not1_b32 vcc_lo, exec_lo, s86
	v_add_nc_u64_e32 v[32:33], s[60:61], v[26:27]
	s_mov_b32 s42, -1
	s_cbranch_vccnz .LBB14_24
; %bb.14:                               ;   in Loop: Header=BB14_3 Depth=1
	s_and_saveexec_b32 s42, s1
	s_delay_alu instid0(SALU_CYCLE_1)
	s_xor_b32 s57, exec_lo, s42
	s_cbranch_execnz .LBB14_1152
; %bb.15:                               ;   in Loop: Header=BB14_3 Depth=1
	s_and_not1_saveexec_b32 s42, s57
	s_cbranch_execnz .LBB14_1155
.LBB14_16:                              ;   in Loop: Header=BB14_3 Depth=1
	s_or_b32 exec_lo, exec_lo, s42
	s_and_saveexec_b32 s42, s8
	s_delay_alu instid0(SALU_CYCLE_1)
	s_xor_b32 s57, exec_lo, s42
	s_cbranch_execnz .LBB14_1156
.LBB14_17:                              ;   in Loop: Header=BB14_3 Depth=1
	s_and_not1_saveexec_b32 s42, s57
	s_cbranch_execnz .LBB14_1159
.LBB14_18:                              ;   in Loop: Header=BB14_3 Depth=1
	s_or_b32 exec_lo, exec_lo, s42
	s_and_saveexec_b32 s42, s9
	s_delay_alu instid0(SALU_CYCLE_1)
	s_xor_b32 s57, exec_lo, s42
	s_cbranch_execnz .LBB14_1160
.LBB14_19:                              ;   in Loop: Header=BB14_3 Depth=1
	s_and_not1_saveexec_b32 s42, s57
	s_cbranch_execnz .LBB14_1163
.LBB14_20:                              ;   in Loop: Header=BB14_3 Depth=1
	s_or_b32 exec_lo, exec_lo, s42
	s_and_saveexec_b32 s42, s10
	s_delay_alu instid0(SALU_CYCLE_1)
	s_xor_b32 s57, exec_lo, s42
	s_cbranch_execnz .LBB14_1164
.LBB14_21:                              ;   in Loop: Header=BB14_3 Depth=1
	s_and_not1_saveexec_b32 s42, s57
	s_cbranch_execz .LBB14_23
.LBB14_22:                              ;   in Loop: Header=BB14_3 Depth=1
	v_lshl_add_u64 v[82:83], v[24:25], 2, v[32:33]
	global_load_b32 v2, v[82:83], off
	s_wait_loadcnt 0x0
	v_xor_b32_e32 v2, 0x80000000, v2
	ds_store_b32 v75, v2
.LBB14_23:                              ;   in Loop: Header=BB14_3 Depth=1
	s_or_b32 exec_lo, exec_lo, s42
	s_mov_b32 s42, 0
.LBB14_24:                              ;   in Loop: Header=BB14_3 Depth=1
	s_delay_alu instid0(SALU_CYCLE_1)
	s_and_b32 vcc_lo, exec_lo, s42
	s_cbranch_vccz .LBB14_50
; %bb.25:                               ;   in Loop: Header=BB14_3 Depth=1
	v_readlane_b32 s57, v87, 11
	s_and_saveexec_b32 s42, s57
	s_delay_alu instid0(SALU_CYCLE_1)
	s_xor_b32 s57, exec_lo, s42
	s_cbranch_execz .LBB14_29
; %bb.26:                               ;   in Loop: Header=BB14_3 Depth=1
	s_mov_b32 s42, exec_lo
	v_readlane_b32 s60, v86, 17
	s_and_b32 s60, s42, s60
	s_delay_alu instid0(SALU_CYCLE_1)
	s_mov_b32 exec_lo, s60
; %bb.27:                               ;   in Loop: Header=BB14_3 Depth=1
	ds_store_b32 v76, v3
; %bb.28:                               ;   in Loop: Header=BB14_3 Depth=1
	s_or_b32 exec_lo, exec_lo, s42
.LBB14_29:                              ;   in Loop: Header=BB14_3 Depth=1
	s_and_not1_saveexec_b32 s42, s57
	s_cbranch_execz .LBB14_31
; %bb.30:                               ;   in Loop: Header=BB14_3 Depth=1
	v_lshl_add_u64 v[82:83], v[18:19], 2, v[32:33]
	global_load_b32 v2, v[82:83], off
	s_wait_loadcnt 0x0
	v_xor_b32_e32 v2, 0x80000000, v2
	ds_store_b32 v76, v2
.LBB14_31:                              ;   in Loop: Header=BB14_3 Depth=1
	s_or_b32 exec_lo, exec_lo, s42
	v_readlane_b32 s57, v87, 12
	s_and_saveexec_b32 s42, s57
	s_delay_alu instid0(SALU_CYCLE_1)
	s_xor_b32 s57, exec_lo, s42
	s_cbranch_execz .LBB14_35
; %bb.32:                               ;   in Loop: Header=BB14_3 Depth=1
	s_mov_b32 s42, exec_lo
	v_readlane_b32 s60, v86, 18
	s_and_b32 s60, s42, s60
	s_delay_alu instid0(SALU_CYCLE_1)
	s_mov_b32 exec_lo, s60
; %bb.33:                               ;   in Loop: Header=BB14_3 Depth=1
	ds_store_b32 v5, v3
; %bb.34:                               ;   in Loop: Header=BB14_3 Depth=1
	s_or_b32 exec_lo, exec_lo, s42
.LBB14_35:                              ;   in Loop: Header=BB14_3 Depth=1
	s_and_not1_saveexec_b32 s42, s57
	s_cbranch_execz .LBB14_37
; %bb.36:                               ;   in Loop: Header=BB14_3 Depth=1
	v_lshl_add_u64 v[82:83], v[20:21], 2, v[32:33]
	global_load_b32 v2, v[82:83], off
	s_wait_loadcnt 0x0
	v_xor_b32_e32 v2, 0x80000000, v2
	ds_store_b32 v5, v2
.LBB14_37:                              ;   in Loop: Header=BB14_3 Depth=1
	s_or_b32 exec_lo, exec_lo, s42
	v_readlane_b32 s57, v87, 13
	s_and_saveexec_b32 s42, s57
	s_delay_alu instid0(SALU_CYCLE_1)
	s_xor_b32 s57, exec_lo, s42
	s_cbranch_execz .LBB14_41
; %bb.38:                               ;   in Loop: Header=BB14_3 Depth=1
	s_mov_b32 s42, exec_lo
	v_readlane_b32 s60, v86, 19
	s_and_b32 s60, s42, s60
	s_delay_alu instid0(SALU_CYCLE_1)
	s_mov_b32 exec_lo, s60
; %bb.39:                               ;   in Loop: Header=BB14_3 Depth=1
	ds_store_b32 v74, v3
; %bb.40:                               ;   in Loop: Header=BB14_3 Depth=1
	s_or_b32 exec_lo, exec_lo, s42
.LBB14_41:                              ;   in Loop: Header=BB14_3 Depth=1
	s_and_not1_saveexec_b32 s42, s57
	s_cbranch_execz .LBB14_43
; %bb.42:                               ;   in Loop: Header=BB14_3 Depth=1
	v_lshl_add_u64 v[82:83], v[22:23], 2, v[32:33]
	global_load_b32 v2, v[82:83], off
	s_wait_loadcnt 0x0
	v_xor_b32_e32 v2, 0x80000000, v2
	ds_store_b32 v74, v2
.LBB14_43:                              ;   in Loop: Header=BB14_3 Depth=1
	s_or_b32 exec_lo, exec_lo, s42
	v_readlane_b32 s57, v87, 14
	s_and_saveexec_b32 s42, s57
	s_delay_alu instid0(SALU_CYCLE_1)
	s_xor_b32 s57, exec_lo, s42
	s_cbranch_execz .LBB14_47
; %bb.44:                               ;   in Loop: Header=BB14_3 Depth=1
	s_mov_b32 s42, exec_lo
	v_readlane_b32 s60, v86, 20
	s_and_b32 s60, s42, s60
	s_delay_alu instid0(SALU_CYCLE_1)
	s_mov_b32 exec_lo, s60
; %bb.45:                               ;   in Loop: Header=BB14_3 Depth=1
	ds_store_b32 v75, v3
; %bb.46:                               ;   in Loop: Header=BB14_3 Depth=1
	s_or_b32 exec_lo, exec_lo, s42
                                        ; implicit-def: $vgpr32_vgpr33
.LBB14_47:                              ;   in Loop: Header=BB14_3 Depth=1
	s_and_not1_saveexec_b32 s42, s57
	s_cbranch_execz .LBB14_49
; %bb.48:                               ;   in Loop: Header=BB14_3 Depth=1
	v_lshl_add_u64 v[32:33], v[24:25], 2, v[32:33]
	global_load_b32 v2, v[32:33], off
	s_wait_loadcnt 0x0
	v_xor_b32_e32 v2, 0x80000000, v2
	ds_store_b32 v75, v2
.LBB14_49:                              ;   in Loop: Header=BB14_3 Depth=1
	s_or_b32 exec_lo, exec_lo, s42
.LBB14_50:                              ;   in Loop: Header=BB14_3 Depth=1
	s_delay_alu instid0(SALU_CYCLE_1)
	s_and_not1_b32 vcc_lo, exec_lo, s87
	s_wait_loadcnt_dscnt 0x0
	s_barrier_signal -1
	s_barrier_wait -1
	s_cbranch_vccnz .LBB14_1088
; %bb.51:                               ;   in Loop: Header=BB14_3 Depth=1
	s_and_saveexec_b32 s57, s11
	s_cbranch_execz .LBB14_53
; %bb.52:                               ;   in Loop: Header=BB14_3 Depth=1
	ds_load_b32 v29, v3 offset:16376
	ds_store_b32 v3, v28 offset:16380
	s_wait_dscnt 0x1
	ds_store_b64 v3, v[28:29] offset:16120
.LBB14_53:                              ;   in Loop: Header=BB14_3 Depth=1
	s_or_b32 exec_lo, exec_lo, s57
	v_mov_b32_e32 v2, 0
	s_wait_dscnt 0x0
	s_barrier_signal -1
	s_barrier_wait -1
	global_wb scope:SCOPE_DEV
	s_wait_storecnt 0x0
	global_inv scope:SCOPE_DEV
	s_and_saveexec_b32 s57, s2
	s_cbranch_execz .LBB14_57
; %bb.54:                               ;   in Loop: Header=BB14_3 Depth=1
	ds_load_b32 v2, v43 offset:16112
	ds_load_b32 v29, v44 offset:16376
	s_wait_dscnt 0x0
	v_fma_f32 v2, v2, v29, 0
	s_and_saveexec_b32 s42, s12
	s_cbranch_execz .LBB14_56
; %bb.55:                               ;   in Loop: Header=BB14_3 Depth=1
	ds_load_b32 v29, v9 offset:16368
	ds_load_b32 v32, v3 offset:16380
	s_wait_dscnt 0x0
	v_fmac_f32_e32 v2, v29, v32
.LBB14_56:                              ;   in Loop: Header=BB14_3 Depth=1
	s_or_b32 exec_lo, exec_lo, s42
.LBB14_57:                              ;   in Loop: Header=BB14_3 Depth=1
	s_delay_alu instid0(SALU_CYCLE_1)
	s_or_b32 exec_lo, exec_lo, s57
	s_and_saveexec_b32 s42, s88
; %bb.58:                               ;   in Loop: Header=BB14_3 Depth=1
	s_delay_alu instid0(VALU_DEP_1)
	v_xor_b32_e32 v29, 0x80000000, v2
	ds_store_b32 v41, v29
; %bb.59:                               ;   in Loop: Header=BB14_3 Depth=1
	s_or_b32 exec_lo, exec_lo, s42
	s_wait_loadcnt_dscnt 0x0
	s_barrier_signal -1
	s_barrier_wait -1
	s_and_saveexec_b32 s42, s89
	s_cbranch_execz .LBB14_61
; %bb.60:                               ;   in Loop: Header=BB14_3 Depth=1
	ds_load_b32 v29, v3 offset:15856
	ds_load_b32 v32, v41
	s_wait_dscnt 0x0
	v_fma_f32 v2, -v29, v32, v2
.LBB14_61:                              ;   in Loop: Header=BB14_3 Depth=1
	s_or_b32 exec_lo, exec_lo, s42
	s_barrier_signal -1
	s_barrier_wait -1
	s_and_saveexec_b32 s42, s89
; %bb.62:                               ;   in Loop: Header=BB14_3 Depth=1
	v_xor_b32_e32 v29, 0x80000000, v2
	ds_store_b32 v41, v29
; %bb.63:                               ;   in Loop: Header=BB14_3 Depth=1
	s_or_b32 exec_lo, exec_lo, s42
	s_wait_dscnt 0x0
	s_barrier_signal -1
	s_barrier_wait -1
	s_barrier_signal -1
	s_barrier_wait -1
	s_and_saveexec_b32 s42, s2
; %bb.64:                               ;   in Loop: Header=BB14_3 Depth=1
	ds_store_b32 v46, v2 offset:16368
; %bb.65:                               ;   in Loop: Header=BB14_3 Depth=1
	s_or_b32 exec_lo, exec_lo, s42
	s_wait_dscnt 0x0
	s_barrier_signal -1
	s_barrier_wait -1
	s_barrier_signal -1
	s_barrier_wait -1
	s_and_saveexec_b32 s42, s90
	s_cbranch_execz .LBB14_67
; %bb.66:                               ;   in Loop: Header=BB14_3 Depth=1
	ds_load_b32 v2, v34 offset:16112
	s_wait_dscnt 0x0
	ds_store_b32 v9, v2 offset:15608
	ds_load_b32 v2, v34 offset:16116
	s_wait_dscnt 0x0
	ds_store_b32 v9, v2 offset:15864
.LBB14_67:                              ;   in Loop: Header=BB14_3 Depth=1
	s_or_b32 exec_lo, exec_lo, s42
	s_wait_dscnt 0x0
	s_barrier_signal -1
	s_barrier_wait -1
	s_and_saveexec_b32 s42, s11
	s_cbranch_execz .LBB14_69
; %bb.68:                               ;   in Loop: Header=BB14_3 Depth=1
	ds_load_b32 v29, v3 offset:15856
	ds_store_b32 v3, v28 offset:15860
	s_wait_dscnt 0x1
	ds_store_b64 v3, v[28:29] offset:15600
.LBB14_69:                              ;   in Loop: Header=BB14_3 Depth=1
	s_or_b32 exec_lo, exec_lo, s42
	v_mov_b32_e32 v2, 0
	s_wait_dscnt 0x0
	s_barrier_signal -1
	s_barrier_wait -1
	global_wb scope:SCOPE_DEV
	s_wait_storecnt 0x0
	global_inv scope:SCOPE_DEV
	s_and_saveexec_b32 s60, s4
	s_cbranch_execz .LBB14_75
; %bb.70:                               ;   in Loop: Header=BB14_3 Depth=1
	ds_load_b32 v2, v48 offset:15584
	ds_load_b32 v29, v50 offset:16368
	s_wait_dscnt 0x0
	v_fma_f32 v2, v2, v29, 0
	s_and_saveexec_b32 s42, s13
	s_cbranch_execnz .LBB14_1175
; %bb.71:                               ;   in Loop: Header=BB14_3 Depth=1
	s_or_b32 exec_lo, exec_lo, s42
	s_and_saveexec_b32 s42, s14
	s_cbranch_execnz .LBB14_1176
.LBB14_72:                              ;   in Loop: Header=BB14_3 Depth=1
	s_or_b32 exec_lo, exec_lo, s42
	s_and_saveexec_b32 s42, s2
	s_cbranch_execz .LBB14_74
.LBB14_73:                              ;   in Loop: Header=BB14_3 Depth=1
	ds_load_b32 v29, v35 offset:16352
	ds_load_b32 v32, v3 offset:16380
	s_wait_dscnt 0x0
	v_fmac_f32_e32 v2, v29, v32
.LBB14_74:                              ;   in Loop: Header=BB14_3 Depth=1
	s_or_b32 exec_lo, exec_lo, s42
.LBB14_75:                              ;   in Loop: Header=BB14_3 Depth=1
	s_delay_alu instid0(SALU_CYCLE_1)
	s_or_b32 exec_lo, exec_lo, s60
	s_and_saveexec_b32 s42, s91
; %bb.76:                               ;   in Loop: Header=BB14_3 Depth=1
	s_delay_alu instid0(VALU_DEP_1)
	v_xor_b32_e32 v29, 0x80000000, v2
	ds_store_b32 v47, v29
; %bb.77:                               ;   in Loop: Header=BB14_3 Depth=1
	s_or_b32 exec_lo, exec_lo, s42
	s_wait_loadcnt_dscnt 0x0
	s_barrier_signal -1
	s_barrier_wait -1
	s_and_saveexec_b32 s42, s92
	s_cbranch_execz .LBB14_79
; %bb.78:                               ;   in Loop: Header=BB14_3 Depth=1
	ds_load_b32 v29, v48 offset:15328
	ds_load_b32 v32, v47
	s_wait_dscnt 0x0
	v_fma_f32 v2, -v29, v32, v2
.LBB14_79:                              ;   in Loop: Header=BB14_3 Depth=1
	s_or_b32 exec_lo, exec_lo, s42
	s_barrier_signal -1
	s_barrier_wait -1
	s_and_saveexec_b32 s42, s93
; %bb.80:                               ;   in Loop: Header=BB14_3 Depth=1
	v_xor_b32_e32 v29, 0x80000000, v2
	ds_store_b32 v47, v29
; %bb.81:                               ;   in Loop: Header=BB14_3 Depth=1
	s_or_b32 exec_lo, exec_lo, s42
	s_wait_dscnt 0x0
	s_barrier_signal -1
	s_barrier_wait -1
	s_and_saveexec_b32 s42, s94
	s_cbranch_execz .LBB14_83
; %bb.82:                               ;   in Loop: Header=BB14_3 Depth=1
	ds_load_b32 v29, v48 offset:15072
	ds_load_b32 v32, v47
	s_wait_dscnt 0x0
	v_fma_f32 v2, -v29, v32, v2
.LBB14_83:                              ;   in Loop: Header=BB14_3 Depth=1
	s_or_b32 exec_lo, exec_lo, s42
	s_barrier_signal -1
	s_barrier_wait -1
	s_and_saveexec_b32 s42, s95
; %bb.84:                               ;   in Loop: Header=BB14_3 Depth=1
	v_xor_b32_e32 v29, 0x80000000, v2
	ds_store_b32 v47, v29
; %bb.85:                               ;   in Loop: Header=BB14_3 Depth=1
	s_or_b32 exec_lo, exec_lo, s42
	s_wait_dscnt 0x0
	;; [unrolled: 20-line block ×3, first 2 shown]
	s_barrier_signal -1
	s_barrier_wait -1
	s_barrier_signal -1
	s_barrier_wait -1
	s_and_saveexec_b32 s42, s4
; %bb.90:                               ;   in Loop: Header=BB14_3 Depth=1
	ds_store_b32 v51, v2 offset:16352
; %bb.91:                               ;   in Loop: Header=BB14_3 Depth=1
	s_or_b32 exec_lo, exec_lo, s42
	s_wait_dscnt 0x0
	s_barrier_signal -1
	s_barrier_wait -1
	s_barrier_signal -1
	s_barrier_wait -1
	s_and_saveexec_b32 s57, s97
	s_cbranch_execz .LBB14_93
; %bb.92:                               ;   in Loop: Header=BB14_3 Depth=1
	ds_load_b32 v2, v36 offset:15584
	s_wait_dscnt 0x0
	ds_store_b32 v37, v2 offset:14576
	ds_load_b32 v2, v36 offset:15588
	s_wait_dscnt 0x0
	ds_store_b32 v37, v2 offset:14832
	;; [unrolled: 3-line block ×4, first 2 shown]
.LBB14_93:                              ;   in Loop: Header=BB14_3 Depth=1
	s_or_b32 exec_lo, exec_lo, s57
	s_wait_dscnt 0x0
	s_barrier_signal -1
	s_barrier_wait -1
	s_and_saveexec_b32 s42, s11
	s_cbranch_execz .LBB14_95
; %bb.94:                               ;   in Loop: Header=BB14_3 Depth=1
	ds_load_b32 v29, v3 offset:15336
	ds_store_b32 v3, v28 offset:15340
	s_wait_dscnt 0x1
	ds_store_b64 v3, v[28:29] offset:15080
.LBB14_95:                              ;   in Loop: Header=BB14_3 Depth=1
	s_or_b32 exec_lo, exec_lo, s42
	v_mov_b32_e32 v2, 0
	s_wait_dscnt 0x0
	s_barrier_signal -1
	s_barrier_wait -1
	global_wb scope:SCOPE_DEV
	s_wait_storecnt 0x0
	global_inv scope:SCOPE_DEV
	s_and_saveexec_b32 s57, s2
	s_cbranch_execz .LBB14_99
; %bb.96:                               ;   in Loop: Header=BB14_3 Depth=1
	ds_load_b32 v2, v43 offset:15072
	ds_load_b32 v29, v44 offset:15336
	s_wait_dscnt 0x0
	v_fma_f32 v2, v2, v29, 0
	s_and_saveexec_b32 s42, s12
	s_cbranch_execz .LBB14_98
; %bb.97:                               ;   in Loop: Header=BB14_3 Depth=1
	ds_load_b32 v29, v37 offset:15328
	ds_load_b32 v32, v3 offset:15340
	s_wait_dscnt 0x0
	v_fmac_f32_e32 v2, v29, v32
.LBB14_98:                              ;   in Loop: Header=BB14_3 Depth=1
	s_or_b32 exec_lo, exec_lo, s42
.LBB14_99:                              ;   in Loop: Header=BB14_3 Depth=1
	s_delay_alu instid0(SALU_CYCLE_1)
	s_or_b32 exec_lo, exec_lo, s57
	s_and_saveexec_b32 s42, s88
; %bb.100:                              ;   in Loop: Header=BB14_3 Depth=1
	s_delay_alu instid0(VALU_DEP_1)
	v_xor_b32_e32 v29, 0x80000000, v2
	ds_store_b32 v41, v29
; %bb.101:                              ;   in Loop: Header=BB14_3 Depth=1
	s_or_b32 exec_lo, exec_lo, s42
	s_wait_loadcnt_dscnt 0x0
	s_barrier_signal -1
	s_barrier_wait -1
	s_and_saveexec_b32 s42, s89
	s_cbranch_execz .LBB14_103
; %bb.102:                              ;   in Loop: Header=BB14_3 Depth=1
	ds_load_b32 v29, v3 offset:14816
	ds_load_b32 v32, v41
	s_wait_dscnt 0x0
	v_fma_f32 v2, -v29, v32, v2
.LBB14_103:                             ;   in Loop: Header=BB14_3 Depth=1
	s_or_b32 exec_lo, exec_lo, s42
	s_barrier_signal -1
	s_barrier_wait -1
	s_and_saveexec_b32 s42, s89
; %bb.104:                              ;   in Loop: Header=BB14_3 Depth=1
	v_xor_b32_e32 v29, 0x80000000, v2
	ds_store_b32 v41, v29
; %bb.105:                              ;   in Loop: Header=BB14_3 Depth=1
	s_or_b32 exec_lo, exec_lo, s42
	s_wait_dscnt 0x0
	s_barrier_signal -1
	s_barrier_wait -1
	s_barrier_signal -1
	s_barrier_wait -1
	s_and_saveexec_b32 s42, s2
; %bb.106:                              ;   in Loop: Header=BB14_3 Depth=1
	ds_store_b32 v46, v2 offset:15328
; %bb.107:                              ;   in Loop: Header=BB14_3 Depth=1
	s_or_b32 exec_lo, exec_lo, s42
	s_wait_dscnt 0x0
	s_barrier_signal -1
	s_barrier_wait -1
	s_barrier_signal -1
	s_barrier_wait -1
	s_and_saveexec_b32 s42, s90
	s_cbranch_execz .LBB14_109
; %bb.108:                              ;   in Loop: Header=BB14_3 Depth=1
	ds_load_b32 v2, v38 offset:15072
	s_wait_dscnt 0x0
	ds_store_b32 v37, v2 offset:14568
	ds_load_b32 v2, v38 offset:15076
	s_wait_dscnt 0x0
	ds_store_b32 v37, v2 offset:14824
.LBB14_109:                             ;   in Loop: Header=BB14_3 Depth=1
	s_or_b32 exec_lo, exec_lo, s42
	s_wait_dscnt 0x0
	s_barrier_signal -1
	s_barrier_wait -1
	s_and_saveexec_b32 s42, s11
	s_cbranch_execz .LBB14_111
; %bb.110:                              ;   in Loop: Header=BB14_3 Depth=1
	ds_load_b32 v29, v3 offset:14816
	ds_store_b32 v3, v28 offset:14820
	s_wait_dscnt 0x1
	ds_store_b64 v3, v[28:29] offset:14560
.LBB14_111:                             ;   in Loop: Header=BB14_3 Depth=1
	s_or_b32 exec_lo, exec_lo, s42
	v_mov_b32_e32 v2, 0
	s_wait_dscnt 0x0
	s_barrier_signal -1
	s_barrier_wait -1
	global_wb scope:SCOPE_DEV
	s_wait_storecnt 0x0
	global_inv scope:SCOPE_DEV
	s_and_saveexec_b32 s60, s5
	s_cbranch_execz .LBB14_121
; %bb.112:                              ;   in Loop: Header=BB14_3 Depth=1
	ds_load_b32 v2, v53 offset:14528
	ds_load_b32 v29, v56 offset:16352
	s_wait_dscnt 0x0
	v_fma_f32 v2, v2, v29, 0
	s_and_saveexec_b32 s42, s15
	s_cbranch_execnz .LBB14_1177
; %bb.113:                              ;   in Loop: Header=BB14_3 Depth=1
	s_or_b32 exec_lo, exec_lo, s42
	s_and_saveexec_b32 s42, s16
	s_cbranch_execnz .LBB14_1178
.LBB14_114:                             ;   in Loop: Header=BB14_3 Depth=1
	s_or_b32 exec_lo, exec_lo, s42
	s_and_saveexec_b32 s42, s17
	s_cbranch_execnz .LBB14_1179
.LBB14_115:                             ;   in Loop: Header=BB14_3 Depth=1
	s_or_b32 exec_lo, exec_lo, s42
	s_and_saveexec_b32 s42, s18
	s_cbranch_execnz .LBB14_1180
.LBB14_116:                             ;   in Loop: Header=BB14_3 Depth=1
	s_or_b32 exec_lo, exec_lo, s42
	s_and_saveexec_b32 s42, s19
	s_cbranch_execnz .LBB14_1181
.LBB14_117:                             ;   in Loop: Header=BB14_3 Depth=1
	s_or_b32 exec_lo, exec_lo, s42
	s_and_saveexec_b32 s42, s4
	s_cbranch_execnz .LBB14_1182
.LBB14_118:                             ;   in Loop: Header=BB14_3 Depth=1
	s_or_b32 exec_lo, exec_lo, s42
	s_and_saveexec_b32 s42, s14
	s_cbranch_execz .LBB14_120
.LBB14_119:                             ;   in Loop: Header=BB14_3 Depth=1
	ds_load_b32 v29, v39 offset:16320
	ds_load_b32 v32, v3 offset:16380
	s_wait_dscnt 0x0
	v_fmac_f32_e32 v2, v29, v32
.LBB14_120:                             ;   in Loop: Header=BB14_3 Depth=1
	s_or_b32 exec_lo, exec_lo, s42
.LBB14_121:                             ;   in Loop: Header=BB14_3 Depth=1
	s_delay_alu instid0(SALU_CYCLE_1)
	s_or_b32 exec_lo, exec_lo, s60
	s_and_saveexec_b32 s42, s98
; %bb.122:                              ;   in Loop: Header=BB14_3 Depth=1
	s_delay_alu instid0(VALU_DEP_1)
	v_xor_b32_e32 v29, 0x80000000, v2
	ds_store_b32 v54, v29
; %bb.123:                              ;   in Loop: Header=BB14_3 Depth=1
	s_or_b32 exec_lo, exec_lo, s42
	s_wait_loadcnt_dscnt 0x0
	s_barrier_signal -1
	s_barrier_wait -1
	s_and_saveexec_b32 s42, s99
	s_cbranch_execz .LBB14_125
; %bb.124:                              ;   in Loop: Header=BB14_3 Depth=1
	ds_load_b32 v29, v53 offset:14272
	ds_load_b32 v32, v54
	s_wait_dscnt 0x0
	v_fma_f32 v2, -v29, v32, v2
.LBB14_125:                             ;   in Loop: Header=BB14_3 Depth=1
	s_or_b32 exec_lo, exec_lo, s42
	s_barrier_signal -1
	s_barrier_wait -1
	s_and_saveexec_b32 s42, s100
; %bb.126:                              ;   in Loop: Header=BB14_3 Depth=1
	v_xor_b32_e32 v29, 0x80000000, v2
	ds_store_b32 v54, v29
; %bb.127:                              ;   in Loop: Header=BB14_3 Depth=1
	s_or_b32 exec_lo, exec_lo, s42
	s_wait_dscnt 0x0
	s_barrier_signal -1
	s_barrier_wait -1
	s_and_saveexec_b32 s42, s101
	s_cbranch_execz .LBB14_129
; %bb.128:                              ;   in Loop: Header=BB14_3 Depth=1
	ds_load_b32 v29, v53 offset:14016
	ds_load_b32 v32, v54
	s_wait_dscnt 0x0
	v_fma_f32 v2, -v29, v32, v2
.LBB14_129:                             ;   in Loop: Header=BB14_3 Depth=1
	s_or_b32 exec_lo, exec_lo, s42
	s_barrier_signal -1
	s_barrier_wait -1
	s_and_saveexec_b32 s42, s102
; %bb.130:                              ;   in Loop: Header=BB14_3 Depth=1
	v_xor_b32_e32 v29, 0x80000000, v2
	ds_store_b32 v54, v29
; %bb.131:                              ;   in Loop: Header=BB14_3 Depth=1
	s_or_b32 exec_lo, exec_lo, s42
	s_wait_dscnt 0x0
	s_barrier_signal -1
	s_barrier_wait -1
	s_and_saveexec_b32 s42, s103
	s_cbranch_execz .LBB14_133
; %bb.132:                              ;   in Loop: Header=BB14_3 Depth=1
	ds_load_b32 v29, v53 offset:13760
	ds_load_b32 v32, v54
	s_wait_dscnt 0x0
	v_fma_f32 v2, -v29, v32, v2
.LBB14_133:                             ;   in Loop: Header=BB14_3 Depth=1
	s_or_b32 exec_lo, exec_lo, s42
	s_barrier_signal -1
	s_barrier_wait -1
	s_and_saveexec_b32 s42, s104
; %bb.134:                              ;   in Loop: Header=BB14_3 Depth=1
	v_xor_b32_e32 v29, 0x80000000, v2
	ds_store_b32 v54, v29
; %bb.135:                              ;   in Loop: Header=BB14_3 Depth=1
	s_or_b32 exec_lo, exec_lo, s42
	s_wait_dscnt 0x0
	s_barrier_signal -1
	s_barrier_wait -1
	s_and_saveexec_b32 s42, vcc_hi
	s_cbranch_execz .LBB14_137
; %bb.136:                              ;   in Loop: Header=BB14_3 Depth=1
	ds_load_b32 v29, v53 offset:13504
	ds_load_b32 v32, v54
	s_wait_dscnt 0x0
	v_fma_f32 v2, -v29, v32, v2
.LBB14_137:                             ;   in Loop: Header=BB14_3 Depth=1
	s_or_b32 exec_lo, exec_lo, s42
	s_barrier_signal -1
	s_barrier_wait -1
	s_and_saveexec_b32 s42, s31
; %bb.138:                              ;   in Loop: Header=BB14_3 Depth=1
	v_xor_b32_e32 v29, 0x80000000, v2
	ds_store_b32 v54, v29
; %bb.139:                              ;   in Loop: Header=BB14_3 Depth=1
	s_or_b32 exec_lo, exec_lo, s42
	s_wait_dscnt 0x0
	s_barrier_signal -1
	s_barrier_wait -1
	s_and_saveexec_b32 s42, s33
	s_cbranch_execz .LBB14_141
; %bb.140:                              ;   in Loop: Header=BB14_3 Depth=1
	ds_load_b32 v29, v53 offset:13248
	ds_load_b32 v32, v54
	s_wait_dscnt 0x0
	v_fma_f32 v2, -v29, v32, v2
.LBB14_141:                             ;   in Loop: Header=BB14_3 Depth=1
	s_or_b32 exec_lo, exec_lo, s42
	s_barrier_signal -1
	s_barrier_wait -1
	s_and_saveexec_b32 s42, s34
; %bb.142:                              ;   in Loop: Header=BB14_3 Depth=1
	v_xor_b32_e32 v29, 0x80000000, v2
	ds_store_b32 v54, v29
; %bb.143:                              ;   in Loop: Header=BB14_3 Depth=1
	s_or_b32 exec_lo, exec_lo, s42
	s_wait_dscnt 0x0
	s_barrier_signal -1
	s_barrier_wait -1
	s_and_saveexec_b32 s42, s35
	;; [unrolled: 20-line block ×3, first 2 shown]
	s_cbranch_execz .LBB14_149
; %bb.148:                              ;   in Loop: Header=BB14_3 Depth=1
	ds_load_b32 v29, v3 offset:12736
	ds_load_b32 v32, v54
	s_wait_dscnt 0x0
	v_fma_f32 v2, -v29, v32, v2
.LBB14_149:                             ;   in Loop: Header=BB14_3 Depth=1
	s_or_b32 exec_lo, exec_lo, s42
	s_barrier_signal -1
	s_barrier_wait -1
	s_and_saveexec_b32 s42, s37
; %bb.150:                              ;   in Loop: Header=BB14_3 Depth=1
	v_xor_b32_e32 v29, 0x80000000, v2
	ds_store_b32 v54, v29
; %bb.151:                              ;   in Loop: Header=BB14_3 Depth=1
	s_or_b32 exec_lo, exec_lo, s42
	s_wait_dscnt 0x0
	s_barrier_signal -1
	s_barrier_wait -1
	s_barrier_signal -1
	s_barrier_wait -1
	s_and_saveexec_b32 s42, s5
; %bb.152:                              ;   in Loop: Header=BB14_3 Depth=1
	ds_store_b32 v57, v2 offset:16320
; %bb.153:                              ;   in Loop: Header=BB14_3 Depth=1
	s_or_b32 exec_lo, exec_lo, s42
	s_wait_dscnt 0x0
	s_barrier_signal -1
	s_barrier_wait -1
	s_barrier_signal -1
	s_barrier_wait -1
	s_and_saveexec_b32 s57, s38
	s_cbranch_execz .LBB14_155
; %bb.154:                              ;   in Loop: Header=BB14_3 Depth=1
	ds_load_b32 v2, v40 offset:14528
	s_wait_dscnt 0x0
	ds_store_b32 v42, v2 offset:12512
	ds_load_b32 v2, v40 offset:14532
	s_wait_dscnt 0x0
	ds_store_b32 v42, v2 offset:12768
	ds_load_b32 v2, v40 offset:14536
	s_wait_dscnt 0x0
	ds_store_b32 v42, v2 offset:13024
	ds_load_b32 v2, v40 offset:14540
	s_wait_dscnt 0x0
	ds_store_b32 v42, v2 offset:13280
	ds_load_b32 v2, v40 offset:14544
	s_wait_dscnt 0x0
	ds_store_b32 v42, v2 offset:13536
	ds_load_b32 v2, v40 offset:14548
	s_wait_dscnt 0x0
	ds_store_b32 v42, v2 offset:13792
	ds_load_b32 v2, v40 offset:14552
	s_wait_dscnt 0x0
	ds_store_b32 v42, v2 offset:14048
	ds_load_b32 v2, v40 offset:14556
	s_wait_dscnt 0x0
	ds_store_b32 v42, v2 offset:14304
.LBB14_155:                             ;   in Loop: Header=BB14_3 Depth=1
	s_or_b32 exec_lo, exec_lo, s57
	s_wait_dscnt 0x0
	s_barrier_signal -1
	s_barrier_wait -1
	s_and_saveexec_b32 s42, s11
	s_cbranch_execz .LBB14_157
; %bb.156:                              ;   in Loop: Header=BB14_3 Depth=1
	ds_load_b32 v29, v3 offset:14296
	ds_store_b32 v3, v28 offset:14300
	s_wait_dscnt 0x1
	ds_store_b64 v3, v[28:29] offset:14040
.LBB14_157:                             ;   in Loop: Header=BB14_3 Depth=1
	s_or_b32 exec_lo, exec_lo, s42
	v_mov_b32_e32 v2, 0
	s_wait_dscnt 0x0
	s_barrier_signal -1
	s_barrier_wait -1
	global_wb scope:SCOPE_DEV
	s_wait_storecnt 0x0
	global_inv scope:SCOPE_DEV
	s_and_saveexec_b32 s57, s2
	s_cbranch_execz .LBB14_161
; %bb.158:                              ;   in Loop: Header=BB14_3 Depth=1
	ds_load_b32 v2, v43 offset:14032
	ds_load_b32 v29, v44 offset:14296
	s_wait_dscnt 0x0
	v_fma_f32 v2, v2, v29, 0
	s_and_saveexec_b32 s42, s12
	s_cbranch_execz .LBB14_160
; %bb.159:                              ;   in Loop: Header=BB14_3 Depth=1
	ds_load_b32 v29, v42 offset:14288
	ds_load_b32 v32, v3 offset:14300
	s_wait_dscnt 0x0
	v_fmac_f32_e32 v2, v29, v32
.LBB14_160:                             ;   in Loop: Header=BB14_3 Depth=1
	s_or_b32 exec_lo, exec_lo, s42
.LBB14_161:                             ;   in Loop: Header=BB14_3 Depth=1
	s_delay_alu instid0(SALU_CYCLE_1)
	s_or_b32 exec_lo, exec_lo, s57
	s_and_saveexec_b32 s42, s88
; %bb.162:                              ;   in Loop: Header=BB14_3 Depth=1
	s_delay_alu instid0(VALU_DEP_1)
	v_xor_b32_e32 v29, 0x80000000, v2
	ds_store_b32 v41, v29
; %bb.163:                              ;   in Loop: Header=BB14_3 Depth=1
	s_or_b32 exec_lo, exec_lo, s42
	s_wait_loadcnt_dscnt 0x0
	s_barrier_signal -1
	s_barrier_wait -1
	s_and_saveexec_b32 s42, s89
	s_cbranch_execz .LBB14_165
; %bb.164:                              ;   in Loop: Header=BB14_3 Depth=1
	ds_load_b32 v29, v3 offset:13776
	ds_load_b32 v32, v41
	s_wait_dscnt 0x0
	v_fma_f32 v2, -v29, v32, v2
.LBB14_165:                             ;   in Loop: Header=BB14_3 Depth=1
	s_or_b32 exec_lo, exec_lo, s42
	s_barrier_signal -1
	s_barrier_wait -1
	s_and_saveexec_b32 s42, s89
; %bb.166:                              ;   in Loop: Header=BB14_3 Depth=1
	v_xor_b32_e32 v29, 0x80000000, v2
	ds_store_b32 v41, v29
; %bb.167:                              ;   in Loop: Header=BB14_3 Depth=1
	s_or_b32 exec_lo, exec_lo, s42
	s_wait_dscnt 0x0
	s_barrier_signal -1
	s_barrier_wait -1
	s_barrier_signal -1
	s_barrier_wait -1
	s_and_saveexec_b32 s42, s2
; %bb.168:                              ;   in Loop: Header=BB14_3 Depth=1
	ds_store_b32 v46, v2 offset:14288
; %bb.169:                              ;   in Loop: Header=BB14_3 Depth=1
	s_or_b32 exec_lo, exec_lo, s42
	s_wait_dscnt 0x0
	s_barrier_signal -1
	s_barrier_wait -1
	s_barrier_signal -1
	s_barrier_wait -1
	s_and_saveexec_b32 s42, s90
	s_cbranch_execz .LBB14_171
; %bb.170:                              ;   in Loop: Header=BB14_3 Depth=1
	ds_load_b32 v2, v45 offset:14032
	s_wait_dscnt 0x0
	ds_store_b32 v42, v2 offset:13528
	ds_load_b32 v2, v45 offset:14036
	s_wait_dscnt 0x0
	ds_store_b32 v42, v2 offset:13784
.LBB14_171:                             ;   in Loop: Header=BB14_3 Depth=1
	s_or_b32 exec_lo, exec_lo, s42
	s_wait_dscnt 0x0
	s_barrier_signal -1
	s_barrier_wait -1
	s_and_saveexec_b32 s42, s11
	s_cbranch_execz .LBB14_173
; %bb.172:                              ;   in Loop: Header=BB14_3 Depth=1
	ds_load_b32 v29, v3 offset:13776
	ds_store_b32 v3, v28 offset:13780
	s_wait_dscnt 0x1
	ds_store_b64 v3, v[28:29] offset:13520
.LBB14_173:                             ;   in Loop: Header=BB14_3 Depth=1
	s_or_b32 exec_lo, exec_lo, s42
	v_mov_b32_e32 v2, 0
	s_wait_dscnt 0x0
	s_barrier_signal -1
	s_barrier_wait -1
	global_wb scope:SCOPE_DEV
	s_wait_storecnt 0x0
	global_inv scope:SCOPE_DEV
	s_and_saveexec_b32 s60, s4
	s_cbranch_execz .LBB14_179
; %bb.174:                              ;   in Loop: Header=BB14_3 Depth=1
	ds_load_b32 v2, v48 offset:13504
	ds_load_b32 v29, v50 offset:14288
	s_wait_dscnt 0x0
	v_fma_f32 v2, v2, v29, 0
	s_and_saveexec_b32 s42, s13
	s_cbranch_execnz .LBB14_1183
; %bb.175:                              ;   in Loop: Header=BB14_3 Depth=1
	s_or_b32 exec_lo, exec_lo, s42
	s_and_saveexec_b32 s42, s14
	s_cbranch_execnz .LBB14_1184
.LBB14_176:                             ;   in Loop: Header=BB14_3 Depth=1
	s_or_b32 exec_lo, exec_lo, s42
	s_and_saveexec_b32 s42, s2
	s_cbranch_execz .LBB14_178
.LBB14_177:                             ;   in Loop: Header=BB14_3 Depth=1
	ds_load_b32 v29, v49 offset:14272
	ds_load_b32 v32, v3 offset:14300
	s_wait_dscnt 0x0
	v_fmac_f32_e32 v2, v29, v32
.LBB14_178:                             ;   in Loop: Header=BB14_3 Depth=1
	s_or_b32 exec_lo, exec_lo, s42
.LBB14_179:                             ;   in Loop: Header=BB14_3 Depth=1
	s_delay_alu instid0(SALU_CYCLE_1)
	s_or_b32 exec_lo, exec_lo, s60
	s_and_saveexec_b32 s42, s91
; %bb.180:                              ;   in Loop: Header=BB14_3 Depth=1
	s_delay_alu instid0(VALU_DEP_1)
	v_xor_b32_e32 v29, 0x80000000, v2
	ds_store_b32 v47, v29
; %bb.181:                              ;   in Loop: Header=BB14_3 Depth=1
	s_or_b32 exec_lo, exec_lo, s42
	s_wait_loadcnt_dscnt 0x0
	s_barrier_signal -1
	s_barrier_wait -1
	s_and_saveexec_b32 s42, s92
	s_cbranch_execz .LBB14_183
; %bb.182:                              ;   in Loop: Header=BB14_3 Depth=1
	ds_load_b32 v29, v48 offset:13248
	ds_load_b32 v32, v47
	s_wait_dscnt 0x0
	v_fma_f32 v2, -v29, v32, v2
.LBB14_183:                             ;   in Loop: Header=BB14_3 Depth=1
	s_or_b32 exec_lo, exec_lo, s42
	s_barrier_signal -1
	s_barrier_wait -1
	s_and_saveexec_b32 s42, s93
; %bb.184:                              ;   in Loop: Header=BB14_3 Depth=1
	v_xor_b32_e32 v29, 0x80000000, v2
	ds_store_b32 v47, v29
; %bb.185:                              ;   in Loop: Header=BB14_3 Depth=1
	s_or_b32 exec_lo, exec_lo, s42
	s_wait_dscnt 0x0
	s_barrier_signal -1
	s_barrier_wait -1
	s_and_saveexec_b32 s42, s94
	s_cbranch_execz .LBB14_187
; %bb.186:                              ;   in Loop: Header=BB14_3 Depth=1
	ds_load_b32 v29, v48 offset:12992
	ds_load_b32 v32, v47
	s_wait_dscnt 0x0
	v_fma_f32 v2, -v29, v32, v2
.LBB14_187:                             ;   in Loop: Header=BB14_3 Depth=1
	s_or_b32 exec_lo, exec_lo, s42
	s_barrier_signal -1
	s_barrier_wait -1
	s_and_saveexec_b32 s42, s95
; %bb.188:                              ;   in Loop: Header=BB14_3 Depth=1
	v_xor_b32_e32 v29, 0x80000000, v2
	ds_store_b32 v47, v29
; %bb.189:                              ;   in Loop: Header=BB14_3 Depth=1
	s_or_b32 exec_lo, exec_lo, s42
	s_wait_dscnt 0x0
	;; [unrolled: 20-line block ×3, first 2 shown]
	s_barrier_signal -1
	s_barrier_wait -1
	s_barrier_signal -1
	s_barrier_wait -1
	s_and_saveexec_b32 s42, s4
; %bb.194:                              ;   in Loop: Header=BB14_3 Depth=1
	ds_store_b32 v51, v2 offset:14272
; %bb.195:                              ;   in Loop: Header=BB14_3 Depth=1
	s_or_b32 exec_lo, exec_lo, s42
	s_wait_dscnt 0x0
	s_barrier_signal -1
	s_barrier_wait -1
	s_barrier_signal -1
	s_barrier_wait -1
	s_and_saveexec_b32 s57, s97
	s_cbranch_execz .LBB14_197
; %bb.196:                              ;   in Loop: Header=BB14_3 Depth=1
	ds_load_b32 v2, v52 offset:13504
	s_wait_dscnt 0x0
	ds_store_b32 v55, v2 offset:12496
	ds_load_b32 v2, v52 offset:13508
	s_wait_dscnt 0x0
	ds_store_b32 v55, v2 offset:12752
	;; [unrolled: 3-line block ×4, first 2 shown]
.LBB14_197:                             ;   in Loop: Header=BB14_3 Depth=1
	s_or_b32 exec_lo, exec_lo, s57
	s_wait_dscnt 0x0
	s_barrier_signal -1
	s_barrier_wait -1
	s_and_saveexec_b32 s42, s11
	s_cbranch_execz .LBB14_199
; %bb.198:                              ;   in Loop: Header=BB14_3 Depth=1
	ds_load_b32 v29, v3 offset:13256
	ds_store_b32 v3, v28 offset:13260
	s_wait_dscnt 0x1
	ds_store_b64 v3, v[28:29] offset:13000
.LBB14_199:                             ;   in Loop: Header=BB14_3 Depth=1
	s_or_b32 exec_lo, exec_lo, s42
	v_mov_b32_e32 v2, 0
	s_wait_dscnt 0x0
	s_barrier_signal -1
	s_barrier_wait -1
	global_wb scope:SCOPE_DEV
	s_wait_storecnt 0x0
	global_inv scope:SCOPE_DEV
	s_and_saveexec_b32 s57, s2
	s_cbranch_execz .LBB14_203
; %bb.200:                              ;   in Loop: Header=BB14_3 Depth=1
	ds_load_b32 v2, v43 offset:12992
	ds_load_b32 v29, v44 offset:13256
	s_wait_dscnt 0x0
	v_fma_f32 v2, v2, v29, 0
	s_and_saveexec_b32 s42, s12
	s_cbranch_execz .LBB14_202
; %bb.201:                              ;   in Loop: Header=BB14_3 Depth=1
	ds_load_b32 v29, v55 offset:13248
	ds_load_b32 v32, v3 offset:13260
	s_wait_dscnt 0x0
	v_fmac_f32_e32 v2, v29, v32
.LBB14_202:                             ;   in Loop: Header=BB14_3 Depth=1
	s_or_b32 exec_lo, exec_lo, s42
.LBB14_203:                             ;   in Loop: Header=BB14_3 Depth=1
	s_delay_alu instid0(SALU_CYCLE_1)
	s_or_b32 exec_lo, exec_lo, s57
	s_and_saveexec_b32 s42, s88
; %bb.204:                              ;   in Loop: Header=BB14_3 Depth=1
	s_delay_alu instid0(VALU_DEP_1)
	v_xor_b32_e32 v29, 0x80000000, v2
	ds_store_b32 v41, v29
; %bb.205:                              ;   in Loop: Header=BB14_3 Depth=1
	s_or_b32 exec_lo, exec_lo, s42
	s_wait_loadcnt_dscnt 0x0
	s_barrier_signal -1
	s_barrier_wait -1
	s_and_saveexec_b32 s42, s89
	s_cbranch_execz .LBB14_207
; %bb.206:                              ;   in Loop: Header=BB14_3 Depth=1
	ds_load_b32 v29, v3 offset:12736
	ds_load_b32 v32, v41
	s_wait_dscnt 0x0
	v_fma_f32 v2, -v29, v32, v2
.LBB14_207:                             ;   in Loop: Header=BB14_3 Depth=1
	s_or_b32 exec_lo, exec_lo, s42
	s_barrier_signal -1
	s_barrier_wait -1
	s_and_saveexec_b32 s42, s89
; %bb.208:                              ;   in Loop: Header=BB14_3 Depth=1
	v_xor_b32_e32 v29, 0x80000000, v2
	ds_store_b32 v41, v29
; %bb.209:                              ;   in Loop: Header=BB14_3 Depth=1
	s_or_b32 exec_lo, exec_lo, s42
	s_wait_dscnt 0x0
	s_barrier_signal -1
	s_barrier_wait -1
	s_barrier_signal -1
	s_barrier_wait -1
	s_and_saveexec_b32 s42, s2
; %bb.210:                              ;   in Loop: Header=BB14_3 Depth=1
	ds_store_b32 v46, v2 offset:13248
; %bb.211:                              ;   in Loop: Header=BB14_3 Depth=1
	s_or_b32 exec_lo, exec_lo, s42
	s_wait_dscnt 0x0
	s_barrier_signal -1
	s_barrier_wait -1
	s_barrier_signal -1
	s_barrier_wait -1
	s_and_saveexec_b32 s42, s90
	s_cbranch_execz .LBB14_213
; %bb.212:                              ;   in Loop: Header=BB14_3 Depth=1
	ds_load_b32 v2, v58 offset:12992
	s_wait_dscnt 0x0
	ds_store_b32 v55, v2 offset:12488
	ds_load_b32 v2, v58 offset:12996
	s_wait_dscnt 0x0
	ds_store_b32 v55, v2 offset:12744
.LBB14_213:                             ;   in Loop: Header=BB14_3 Depth=1
	s_or_b32 exec_lo, exec_lo, s42
	s_wait_dscnt 0x0
	s_barrier_signal -1
	s_barrier_wait -1
	s_and_saveexec_b32 s42, s11
	s_cbranch_execz .LBB14_215
; %bb.214:                              ;   in Loop: Header=BB14_3 Depth=1
	ds_load_b32 v29, v3 offset:12736
	ds_store_b32 v3, v28 offset:12740
	s_wait_dscnt 0x1
	ds_store_b64 v3, v[28:29] offset:12480
.LBB14_215:                             ;   in Loop: Header=BB14_3 Depth=1
	s_or_b32 exec_lo, exec_lo, s42
	v_mov_b32_e32 v2, 0
	s_wait_dscnt 0x0
	s_barrier_signal -1
	s_barrier_wait -1
	global_wb scope:SCOPE_DEV
	s_wait_storecnt 0x0
	global_inv scope:SCOPE_DEV
	s_and_saveexec_b32 s61, s6
	s_cbranch_execz .LBB14_243
; %bb.216:                              ;   in Loop: Header=BB14_3 Depth=1
	ds_load_b32 v2, v59 offset:12416
	ds_load_b32 v29, v61 offset:16320
	s_wait_dscnt 0x0
	v_fma_f32 v2, v2, v29, 0
	s_mov_b32 s42, exec_lo
	v_readlane_b32 s57, v87, 15
	s_and_b32 s57, s42, s57
	s_delay_alu instid0(SALU_CYCLE_1)
	s_mov_b32 exec_lo, s57
	s_cbranch_execz .LBB14_218
; %bb.217:                              ;   in Loop: Header=BB14_3 Depth=1
	ds_load_b32 v29, v59 offset:12672
	ds_load_b32 v32, v61 offset:16324
	s_wait_dscnt 0x0
	v_fmac_f32_e32 v2, v29, v32
.LBB14_218:                             ;   in Loop: Header=BB14_3 Depth=1
	s_or_b32 exec_lo, exec_lo, s42
	s_delay_alu instid0(SALU_CYCLE_1) | instskip(SKIP_2) | instid1(SALU_CYCLE_1)
	s_mov_b32 s42, exec_lo
	v_readlane_b32 s57, v87, 16
	s_and_b32 s57, s42, s57
	s_mov_b32 exec_lo, s57
	s_cbranch_execz .LBB14_220
; %bb.219:                              ;   in Loop: Header=BB14_3 Depth=1
	ds_load_b32 v29, v59 offset:12928
	ds_load_b32 v32, v61 offset:16328
	s_wait_dscnt 0x0
	v_fmac_f32_e32 v2, v29, v32
.LBB14_220:                             ;   in Loop: Header=BB14_3 Depth=1
	s_or_b32 exec_lo, exec_lo, s42
	s_delay_alu instid0(SALU_CYCLE_1) | instskip(SKIP_2) | instid1(SALU_CYCLE_1)
	s_mov_b32 s42, exec_lo
	v_readlane_b32 s57, v87, 17
	s_and_b32 s57, s42, s57
	;; [unrolled: 13-line block ×10, first 2 shown]
	s_mov_b32 exec_lo, s57
	s_cbranch_execnz .LBB14_1185
; %bb.237:                              ;   in Loop: Header=BB14_3 Depth=1
	s_or_b32 exec_lo, exec_lo, s42
	s_and_saveexec_b32 s42, s5
	s_cbranch_execnz .LBB14_1186
.LBB14_238:                             ;   in Loop: Header=BB14_3 Depth=1
	s_or_b32 exec_lo, exec_lo, s42
	s_and_saveexec_b32 s42, s16
	s_cbranch_execnz .LBB14_1187
.LBB14_239:                             ;   in Loop: Header=BB14_3 Depth=1
	s_or_b32 exec_lo, exec_lo, s42
	s_and_saveexec_b32 s42, s18
	s_cbranch_execnz .LBB14_1188
.LBB14_240:                             ;   in Loop: Header=BB14_3 Depth=1
	s_or_b32 exec_lo, exec_lo, s42
	s_and_saveexec_b32 s42, s4
	s_cbranch_execz .LBB14_242
.LBB14_241:                             ;   in Loop: Header=BB14_3 Depth=1
	ds_load_b32 v29, v9 offset:16256
	ds_load_b32 v32, v3 offset:16380
	s_wait_dscnt 0x0
	v_fmac_f32_e32 v2, v29, v32
.LBB14_242:                             ;   in Loop: Header=BB14_3 Depth=1
	s_or_b32 exec_lo, exec_lo, s42
.LBB14_243:                             ;   in Loop: Header=BB14_3 Depth=1
	s_delay_alu instid0(SALU_CYCLE_1) | instskip(NEXT) | instid1(SALU_CYCLE_1)
	s_or_b32 exec_lo, exec_lo, s61
	s_mov_b32 s42, exec_lo
	v_readlane_b32 s57, v89, 2
	s_and_b32 s57, s42, s57
	s_delay_alu instid0(SALU_CYCLE_1)
	s_mov_b32 exec_lo, s57
; %bb.244:                              ;   in Loop: Header=BB14_3 Depth=1
	v_xor_b32_e32 v29, 0x80000000, v2
	ds_store_b32 v60, v29
; %bb.245:                              ;   in Loop: Header=BB14_3 Depth=1
	s_or_b32 exec_lo, exec_lo, s42
	s_wait_loadcnt_dscnt 0x0
	s_barrier_signal -1
	s_barrier_wait -1
	s_mov_b32 s42, exec_lo
	v_readlane_b32 s57, v89, 3
	s_and_b32 s57, s42, s57
	s_delay_alu instid0(SALU_CYCLE_1)
	s_mov_b32 exec_lo, s57
	s_cbranch_execz .LBB14_247
; %bb.246:                              ;   in Loop: Header=BB14_3 Depth=1
	ds_load_b32 v29, v59 offset:12160
	ds_load_b32 v32, v60
	s_wait_dscnt 0x0
	v_fma_f32 v2, -v29, v32, v2
.LBB14_247:                             ;   in Loop: Header=BB14_3 Depth=1
	s_or_b32 exec_lo, exec_lo, s42
	s_barrier_signal -1
	s_barrier_wait -1
	s_mov_b32 s42, exec_lo
	v_readlane_b32 s57, v89, 4
	s_and_b32 s57, s42, s57
	s_delay_alu instid0(SALU_CYCLE_1)
	s_mov_b32 exec_lo, s57
; %bb.248:                              ;   in Loop: Header=BB14_3 Depth=1
	v_xor_b32_e32 v29, 0x80000000, v2
	ds_store_b32 v60, v29
; %bb.249:                              ;   in Loop: Header=BB14_3 Depth=1
	s_or_b32 exec_lo, exec_lo, s42
	s_wait_dscnt 0x0
	s_barrier_signal -1
	s_barrier_wait -1
	s_mov_b32 s42, exec_lo
	v_readlane_b32 s57, v89, 5
	s_and_b32 s57, s42, s57
	s_delay_alu instid0(SALU_CYCLE_1)
	s_mov_b32 exec_lo, s57
	s_cbranch_execz .LBB14_251
; %bb.250:                              ;   in Loop: Header=BB14_3 Depth=1
	ds_load_b32 v29, v59 offset:11904
	ds_load_b32 v32, v60
	s_wait_dscnt 0x0
	v_fma_f32 v2, -v29, v32, v2
.LBB14_251:                             ;   in Loop: Header=BB14_3 Depth=1
	s_or_b32 exec_lo, exec_lo, s42
	s_barrier_signal -1
	s_barrier_wait -1
	s_and_saveexec_b32 s42, s43
; %bb.252:                              ;   in Loop: Header=BB14_3 Depth=1
	v_xor_b32_e32 v29, 0x80000000, v2
	ds_store_b32 v60, v29
; %bb.253:                              ;   in Loop: Header=BB14_3 Depth=1
	s_or_b32 exec_lo, exec_lo, s42
	s_wait_dscnt 0x0
	s_barrier_signal -1
	s_barrier_wait -1
	s_and_saveexec_b32 s42, s44
	s_cbranch_execz .LBB14_255
; %bb.254:                              ;   in Loop: Header=BB14_3 Depth=1
	ds_load_b32 v29, v59 offset:11648
	ds_load_b32 v32, v60
	s_wait_dscnt 0x0
	v_fma_f32 v2, -v29, v32, v2
.LBB14_255:                             ;   in Loop: Header=BB14_3 Depth=1
	s_or_b32 exec_lo, exec_lo, s42
	s_barrier_signal -1
	s_barrier_wait -1
	s_and_saveexec_b32 s42, s45
; %bb.256:                              ;   in Loop: Header=BB14_3 Depth=1
	v_xor_b32_e32 v29, 0x80000000, v2
	ds_store_b32 v60, v29
; %bb.257:                              ;   in Loop: Header=BB14_3 Depth=1
	s_or_b32 exec_lo, exec_lo, s42
	s_wait_dscnt 0x0
	s_barrier_signal -1
	s_barrier_wait -1
	s_and_saveexec_b32 s42, s46
	;; [unrolled: 20-line block ×13, first 2 shown]
	s_cbranch_execz .LBB14_303
; %bb.302:                              ;   in Loop: Header=BB14_3 Depth=1
	ds_load_b32 v29, v3 offset:8576
	ds_load_b32 v32, v60
	s_wait_dscnt 0x0
	v_fma_f32 v2, -v29, v32, v2
.LBB14_303:                             ;   in Loop: Header=BB14_3 Depth=1
	s_or_b32 exec_lo, exec_lo, s42
	s_barrier_signal -1
	s_barrier_wait -1
	s_and_saveexec_b32 s42, s85
; %bb.304:                              ;   in Loop: Header=BB14_3 Depth=1
	v_xor_b32_e32 v29, 0x80000000, v2
	ds_store_b32 v60, v29
; %bb.305:                              ;   in Loop: Header=BB14_3 Depth=1
	s_or_b32 exec_lo, exec_lo, s42
	s_wait_dscnt 0x0
	s_barrier_signal -1
	s_barrier_wait -1
	s_barrier_signal -1
	s_barrier_wait -1
	s_and_saveexec_b32 s42, s6
; %bb.306:                              ;   in Loop: Header=BB14_3 Depth=1
	ds_store_b32 v63, v2 offset:16256
; %bb.307:                              ;   in Loop: Header=BB14_3 Depth=1
	s_or_b32 exec_lo, exec_lo, s42
	s_wait_dscnt 0x0
	s_barrier_signal -1
	s_barrier_wait -1
	s_barrier_signal -1
	s_barrier_wait -1
	s_and_saveexec_b32 s60, s82
	s_cbranch_execz .LBB14_309
; %bb.308:                              ;   in Loop: Header=BB14_3 Depth=1
	ds_load_b32 v2, v34 offset:12416
	s_wait_dscnt 0x0
	ds_store_b32 v35, v2 offset:8384
	ds_load_b32 v2, v34 offset:12420
	s_wait_dscnt 0x0
	ds_store_b32 v35, v2 offset:8640
	;; [unrolled: 3-line block ×16, first 2 shown]
.LBB14_309:                             ;   in Loop: Header=BB14_3 Depth=1
	s_or_b32 exec_lo, exec_lo, s60
	s_wait_dscnt 0x0
	s_barrier_signal -1
	s_barrier_wait -1
	s_and_saveexec_b32 s42, s11
	s_cbranch_execz .LBB14_311
; %bb.310:                              ;   in Loop: Header=BB14_3 Depth=1
	ds_load_b32 v29, v3 offset:12216
	ds_store_b32 v3, v28 offset:12220
	s_wait_dscnt 0x1
	ds_store_b64 v3, v[28:29] offset:11960
.LBB14_311:                             ;   in Loop: Header=BB14_3 Depth=1
	s_or_b32 exec_lo, exec_lo, s42
	v_mov_b32_e32 v2, 0
	s_wait_dscnt 0x0
	s_barrier_signal -1
	s_barrier_wait -1
	global_wb scope:SCOPE_DEV
	s_wait_storecnt 0x0
	global_inv scope:SCOPE_DEV
	s_and_saveexec_b32 s57, s2
	s_cbranch_execz .LBB14_315
; %bb.312:                              ;   in Loop: Header=BB14_3 Depth=1
	ds_load_b32 v2, v43 offset:11952
	ds_load_b32 v29, v44 offset:12216
	s_wait_dscnt 0x0
	v_fma_f32 v2, v2, v29, 0
	s_and_saveexec_b32 s42, s12
	s_cbranch_execz .LBB14_314
; %bb.313:                              ;   in Loop: Header=BB14_3 Depth=1
	ds_load_b32 v29, v9 offset:12208
	ds_load_b32 v32, v3 offset:12220
	s_wait_dscnt 0x0
	v_fmac_f32_e32 v2, v29, v32
.LBB14_314:                             ;   in Loop: Header=BB14_3 Depth=1
	s_or_b32 exec_lo, exec_lo, s42
.LBB14_315:                             ;   in Loop: Header=BB14_3 Depth=1
	s_delay_alu instid0(SALU_CYCLE_1)
	s_or_b32 exec_lo, exec_lo, s57
	s_and_saveexec_b32 s42, s88
; %bb.316:                              ;   in Loop: Header=BB14_3 Depth=1
	s_delay_alu instid0(VALU_DEP_1)
	v_xor_b32_e32 v29, 0x80000000, v2
	ds_store_b32 v41, v29
; %bb.317:                              ;   in Loop: Header=BB14_3 Depth=1
	s_or_b32 exec_lo, exec_lo, s42
	s_wait_loadcnt_dscnt 0x0
	s_barrier_signal -1
	s_barrier_wait -1
	s_and_saveexec_b32 s42, s89
	s_cbranch_execz .LBB14_319
; %bb.318:                              ;   in Loop: Header=BB14_3 Depth=1
	ds_load_b32 v29, v3 offset:11696
	ds_load_b32 v32, v41
	s_wait_dscnt 0x0
	v_fma_f32 v2, -v29, v32, v2
.LBB14_319:                             ;   in Loop: Header=BB14_3 Depth=1
	s_or_b32 exec_lo, exec_lo, s42
	s_barrier_signal -1
	s_barrier_wait -1
	s_and_saveexec_b32 s42, s89
; %bb.320:                              ;   in Loop: Header=BB14_3 Depth=1
	v_xor_b32_e32 v29, 0x80000000, v2
	ds_store_b32 v41, v29
; %bb.321:                              ;   in Loop: Header=BB14_3 Depth=1
	s_or_b32 exec_lo, exec_lo, s42
	s_wait_dscnt 0x0
	s_barrier_signal -1
	s_barrier_wait -1
	s_barrier_signal -1
	s_barrier_wait -1
	s_and_saveexec_b32 s42, s2
; %bb.322:                              ;   in Loop: Header=BB14_3 Depth=1
	ds_store_b32 v46, v2 offset:12208
; %bb.323:                              ;   in Loop: Header=BB14_3 Depth=1
	s_or_b32 exec_lo, exec_lo, s42
	s_wait_dscnt 0x0
	s_barrier_signal -1
	s_barrier_wait -1
	s_barrier_signal -1
	s_barrier_wait -1
	s_and_saveexec_b32 s42, s90
	s_cbranch_execz .LBB14_325
; %bb.324:                              ;   in Loop: Header=BB14_3 Depth=1
	ds_load_b32 v2, v34 offset:11952
	s_wait_dscnt 0x0
	ds_store_b32 v9, v2 offset:11448
	ds_load_b32 v2, v34 offset:11956
	s_wait_dscnt 0x0
	ds_store_b32 v9, v2 offset:11704
.LBB14_325:                             ;   in Loop: Header=BB14_3 Depth=1
	s_or_b32 exec_lo, exec_lo, s42
	s_wait_dscnt 0x0
	s_barrier_signal -1
	s_barrier_wait -1
	s_and_saveexec_b32 s42, s11
	s_cbranch_execz .LBB14_327
; %bb.326:                              ;   in Loop: Header=BB14_3 Depth=1
	ds_load_b32 v29, v3 offset:11696
	ds_store_b32 v3, v28 offset:11700
	s_wait_dscnt 0x1
	ds_store_b64 v3, v[28:29] offset:11440
.LBB14_327:                             ;   in Loop: Header=BB14_3 Depth=1
	s_or_b32 exec_lo, exec_lo, s42
	v_mov_b32_e32 v2, 0
	s_wait_dscnt 0x0
	s_barrier_signal -1
	s_barrier_wait -1
	global_wb scope:SCOPE_DEV
	s_wait_storecnt 0x0
	global_inv scope:SCOPE_DEV
	s_and_saveexec_b32 s60, s4
	s_cbranch_execz .LBB14_333
; %bb.328:                              ;   in Loop: Header=BB14_3 Depth=1
	ds_load_b32 v2, v48 offset:11424
	ds_load_b32 v29, v50 offset:12208
	s_wait_dscnt 0x0
	v_fma_f32 v2, v2, v29, 0
	s_and_saveexec_b32 s42, s13
	s_cbranch_execnz .LBB14_1189
; %bb.329:                              ;   in Loop: Header=BB14_3 Depth=1
	s_or_b32 exec_lo, exec_lo, s42
	s_and_saveexec_b32 s42, s14
	s_cbranch_execnz .LBB14_1190
.LBB14_330:                             ;   in Loop: Header=BB14_3 Depth=1
	s_or_b32 exec_lo, exec_lo, s42
	s_and_saveexec_b32 s42, s2
	s_cbranch_execz .LBB14_332
.LBB14_331:                             ;   in Loop: Header=BB14_3 Depth=1
	ds_load_b32 v29, v35 offset:12192
	ds_load_b32 v32, v3 offset:12220
	s_wait_dscnt 0x0
	v_fmac_f32_e32 v2, v29, v32
.LBB14_332:                             ;   in Loop: Header=BB14_3 Depth=1
	s_or_b32 exec_lo, exec_lo, s42
.LBB14_333:                             ;   in Loop: Header=BB14_3 Depth=1
	s_delay_alu instid0(SALU_CYCLE_1)
	s_or_b32 exec_lo, exec_lo, s60
	s_and_saveexec_b32 s42, s91
; %bb.334:                              ;   in Loop: Header=BB14_3 Depth=1
	s_delay_alu instid0(VALU_DEP_1)
	v_xor_b32_e32 v29, 0x80000000, v2
	ds_store_b32 v47, v29
; %bb.335:                              ;   in Loop: Header=BB14_3 Depth=1
	s_or_b32 exec_lo, exec_lo, s42
	s_wait_loadcnt_dscnt 0x0
	s_barrier_signal -1
	s_barrier_wait -1
	s_and_saveexec_b32 s42, s92
	s_cbranch_execz .LBB14_337
; %bb.336:                              ;   in Loop: Header=BB14_3 Depth=1
	ds_load_b32 v29, v48 offset:11168
	ds_load_b32 v32, v47
	s_wait_dscnt 0x0
	v_fma_f32 v2, -v29, v32, v2
.LBB14_337:                             ;   in Loop: Header=BB14_3 Depth=1
	s_or_b32 exec_lo, exec_lo, s42
	s_barrier_signal -1
	s_barrier_wait -1
	s_and_saveexec_b32 s42, s93
; %bb.338:                              ;   in Loop: Header=BB14_3 Depth=1
	v_xor_b32_e32 v29, 0x80000000, v2
	ds_store_b32 v47, v29
; %bb.339:                              ;   in Loop: Header=BB14_3 Depth=1
	s_or_b32 exec_lo, exec_lo, s42
	s_wait_dscnt 0x0
	s_barrier_signal -1
	s_barrier_wait -1
	s_and_saveexec_b32 s42, s94
	s_cbranch_execz .LBB14_341
; %bb.340:                              ;   in Loop: Header=BB14_3 Depth=1
	ds_load_b32 v29, v48 offset:10912
	ds_load_b32 v32, v47
	s_wait_dscnt 0x0
	v_fma_f32 v2, -v29, v32, v2
.LBB14_341:                             ;   in Loop: Header=BB14_3 Depth=1
	s_or_b32 exec_lo, exec_lo, s42
	s_barrier_signal -1
	s_barrier_wait -1
	s_and_saveexec_b32 s42, s95
; %bb.342:                              ;   in Loop: Header=BB14_3 Depth=1
	v_xor_b32_e32 v29, 0x80000000, v2
	ds_store_b32 v47, v29
; %bb.343:                              ;   in Loop: Header=BB14_3 Depth=1
	s_or_b32 exec_lo, exec_lo, s42
	s_wait_dscnt 0x0
	;; [unrolled: 20-line block ×3, first 2 shown]
	s_barrier_signal -1
	s_barrier_wait -1
	s_barrier_signal -1
	s_barrier_wait -1
	s_and_saveexec_b32 s42, s4
; %bb.348:                              ;   in Loop: Header=BB14_3 Depth=1
	ds_store_b32 v51, v2 offset:12192
; %bb.349:                              ;   in Loop: Header=BB14_3 Depth=1
	s_or_b32 exec_lo, exec_lo, s42
	s_wait_dscnt 0x0
	s_barrier_signal -1
	s_barrier_wait -1
	s_barrier_signal -1
	s_barrier_wait -1
	s_and_saveexec_b32 s57, s97
	s_cbranch_execz .LBB14_351
; %bb.350:                              ;   in Loop: Header=BB14_3 Depth=1
	ds_load_b32 v2, v36 offset:11424
	s_wait_dscnt 0x0
	ds_store_b32 v37, v2 offset:10416
	ds_load_b32 v2, v36 offset:11428
	s_wait_dscnt 0x0
	ds_store_b32 v37, v2 offset:10672
	;; [unrolled: 3-line block ×4, first 2 shown]
.LBB14_351:                             ;   in Loop: Header=BB14_3 Depth=1
	s_or_b32 exec_lo, exec_lo, s57
	s_wait_dscnt 0x0
	s_barrier_signal -1
	s_barrier_wait -1
	s_and_saveexec_b32 s42, s11
	s_cbranch_execz .LBB14_353
; %bb.352:                              ;   in Loop: Header=BB14_3 Depth=1
	ds_load_b32 v29, v3 offset:11176
	ds_store_b32 v3, v28 offset:11180
	s_wait_dscnt 0x1
	ds_store_b64 v3, v[28:29] offset:10920
.LBB14_353:                             ;   in Loop: Header=BB14_3 Depth=1
	s_or_b32 exec_lo, exec_lo, s42
	v_mov_b32_e32 v2, 0
	s_wait_dscnt 0x0
	s_barrier_signal -1
	s_barrier_wait -1
	global_wb scope:SCOPE_DEV
	s_wait_storecnt 0x0
	global_inv scope:SCOPE_DEV
	s_and_saveexec_b32 s57, s2
	s_cbranch_execz .LBB14_357
; %bb.354:                              ;   in Loop: Header=BB14_3 Depth=1
	ds_load_b32 v2, v43 offset:10912
	ds_load_b32 v29, v44 offset:11176
	s_wait_dscnt 0x0
	v_fma_f32 v2, v2, v29, 0
	s_and_saveexec_b32 s42, s12
	s_cbranch_execz .LBB14_356
; %bb.355:                              ;   in Loop: Header=BB14_3 Depth=1
	ds_load_b32 v29, v37 offset:11168
	ds_load_b32 v32, v3 offset:11180
	s_wait_dscnt 0x0
	v_fmac_f32_e32 v2, v29, v32
.LBB14_356:                             ;   in Loop: Header=BB14_3 Depth=1
	s_or_b32 exec_lo, exec_lo, s42
.LBB14_357:                             ;   in Loop: Header=BB14_3 Depth=1
	s_delay_alu instid0(SALU_CYCLE_1)
	s_or_b32 exec_lo, exec_lo, s57
	s_and_saveexec_b32 s42, s88
; %bb.358:                              ;   in Loop: Header=BB14_3 Depth=1
	s_delay_alu instid0(VALU_DEP_1)
	v_xor_b32_e32 v29, 0x80000000, v2
	ds_store_b32 v41, v29
; %bb.359:                              ;   in Loop: Header=BB14_3 Depth=1
	s_or_b32 exec_lo, exec_lo, s42
	s_wait_loadcnt_dscnt 0x0
	s_barrier_signal -1
	s_barrier_wait -1
	s_and_saveexec_b32 s42, s89
	s_cbranch_execz .LBB14_361
; %bb.360:                              ;   in Loop: Header=BB14_3 Depth=1
	ds_load_b32 v29, v3 offset:10656
	ds_load_b32 v32, v41
	s_wait_dscnt 0x0
	v_fma_f32 v2, -v29, v32, v2
.LBB14_361:                             ;   in Loop: Header=BB14_3 Depth=1
	s_or_b32 exec_lo, exec_lo, s42
	s_barrier_signal -1
	s_barrier_wait -1
	s_and_saveexec_b32 s42, s89
; %bb.362:                              ;   in Loop: Header=BB14_3 Depth=1
	v_xor_b32_e32 v29, 0x80000000, v2
	ds_store_b32 v41, v29
; %bb.363:                              ;   in Loop: Header=BB14_3 Depth=1
	s_or_b32 exec_lo, exec_lo, s42
	s_wait_dscnt 0x0
	s_barrier_signal -1
	s_barrier_wait -1
	s_barrier_signal -1
	s_barrier_wait -1
	s_and_saveexec_b32 s42, s2
; %bb.364:                              ;   in Loop: Header=BB14_3 Depth=1
	ds_store_b32 v46, v2 offset:11168
; %bb.365:                              ;   in Loop: Header=BB14_3 Depth=1
	s_or_b32 exec_lo, exec_lo, s42
	s_wait_dscnt 0x0
	s_barrier_signal -1
	s_barrier_wait -1
	s_barrier_signal -1
	s_barrier_wait -1
	s_and_saveexec_b32 s42, s90
	s_cbranch_execz .LBB14_367
; %bb.366:                              ;   in Loop: Header=BB14_3 Depth=1
	ds_load_b32 v2, v38 offset:10912
	s_wait_dscnt 0x0
	ds_store_b32 v37, v2 offset:10408
	ds_load_b32 v2, v38 offset:10916
	s_wait_dscnt 0x0
	ds_store_b32 v37, v2 offset:10664
.LBB14_367:                             ;   in Loop: Header=BB14_3 Depth=1
	s_or_b32 exec_lo, exec_lo, s42
	s_wait_dscnt 0x0
	s_barrier_signal -1
	s_barrier_wait -1
	s_and_saveexec_b32 s42, s11
	s_cbranch_execz .LBB14_369
; %bb.368:                              ;   in Loop: Header=BB14_3 Depth=1
	ds_load_b32 v29, v3 offset:10656
	ds_store_b32 v3, v28 offset:10660
	s_wait_dscnt 0x1
	ds_store_b64 v3, v[28:29] offset:10400
.LBB14_369:                             ;   in Loop: Header=BB14_3 Depth=1
	s_or_b32 exec_lo, exec_lo, s42
	v_mov_b32_e32 v2, 0
	s_wait_dscnt 0x0
	s_barrier_signal -1
	s_barrier_wait -1
	global_wb scope:SCOPE_DEV
	s_wait_storecnt 0x0
	global_inv scope:SCOPE_DEV
	s_and_saveexec_b32 s60, s5
	s_cbranch_execz .LBB14_379
; %bb.370:                              ;   in Loop: Header=BB14_3 Depth=1
	ds_load_b32 v2, v53 offset:10368
	ds_load_b32 v29, v56 offset:12192
	s_wait_dscnt 0x0
	v_fma_f32 v2, v2, v29, 0
	s_and_saveexec_b32 s42, s15
	s_cbranch_execnz .LBB14_1191
; %bb.371:                              ;   in Loop: Header=BB14_3 Depth=1
	s_or_b32 exec_lo, exec_lo, s42
	s_and_saveexec_b32 s42, s16
	s_cbranch_execnz .LBB14_1192
.LBB14_372:                             ;   in Loop: Header=BB14_3 Depth=1
	s_or_b32 exec_lo, exec_lo, s42
	s_and_saveexec_b32 s42, s17
	s_cbranch_execnz .LBB14_1193
.LBB14_373:                             ;   in Loop: Header=BB14_3 Depth=1
	s_or_b32 exec_lo, exec_lo, s42
	s_and_saveexec_b32 s42, s18
	s_cbranch_execnz .LBB14_1194
.LBB14_374:                             ;   in Loop: Header=BB14_3 Depth=1
	s_or_b32 exec_lo, exec_lo, s42
	s_and_saveexec_b32 s42, s19
	s_cbranch_execnz .LBB14_1195
.LBB14_375:                             ;   in Loop: Header=BB14_3 Depth=1
	s_or_b32 exec_lo, exec_lo, s42
	s_and_saveexec_b32 s42, s4
	s_cbranch_execnz .LBB14_1196
.LBB14_376:                             ;   in Loop: Header=BB14_3 Depth=1
	s_or_b32 exec_lo, exec_lo, s42
	s_and_saveexec_b32 s42, s14
	s_cbranch_execz .LBB14_378
.LBB14_377:                             ;   in Loop: Header=BB14_3 Depth=1
	ds_load_b32 v29, v39 offset:12160
	ds_load_b32 v32, v3 offset:12220
	s_wait_dscnt 0x0
	v_fmac_f32_e32 v2, v29, v32
.LBB14_378:                             ;   in Loop: Header=BB14_3 Depth=1
	s_or_b32 exec_lo, exec_lo, s42
.LBB14_379:                             ;   in Loop: Header=BB14_3 Depth=1
	s_delay_alu instid0(SALU_CYCLE_1)
	s_or_b32 exec_lo, exec_lo, s60
	s_and_saveexec_b32 s42, s98
; %bb.380:                              ;   in Loop: Header=BB14_3 Depth=1
	s_delay_alu instid0(VALU_DEP_1)
	v_xor_b32_e32 v29, 0x80000000, v2
	ds_store_b32 v54, v29
; %bb.381:                              ;   in Loop: Header=BB14_3 Depth=1
	s_or_b32 exec_lo, exec_lo, s42
	s_wait_loadcnt_dscnt 0x0
	s_barrier_signal -1
	s_barrier_wait -1
	s_and_saveexec_b32 s42, s99
	s_cbranch_execz .LBB14_383
; %bb.382:                              ;   in Loop: Header=BB14_3 Depth=1
	ds_load_b32 v29, v53 offset:10112
	ds_load_b32 v32, v54
	s_wait_dscnt 0x0
	v_fma_f32 v2, -v29, v32, v2
.LBB14_383:                             ;   in Loop: Header=BB14_3 Depth=1
	s_or_b32 exec_lo, exec_lo, s42
	s_barrier_signal -1
	s_barrier_wait -1
	s_and_saveexec_b32 s42, s100
; %bb.384:                              ;   in Loop: Header=BB14_3 Depth=1
	v_xor_b32_e32 v29, 0x80000000, v2
	ds_store_b32 v54, v29
; %bb.385:                              ;   in Loop: Header=BB14_3 Depth=1
	s_or_b32 exec_lo, exec_lo, s42
	s_wait_dscnt 0x0
	s_barrier_signal -1
	s_barrier_wait -1
	s_and_saveexec_b32 s42, s101
	s_cbranch_execz .LBB14_387
; %bb.386:                              ;   in Loop: Header=BB14_3 Depth=1
	ds_load_b32 v29, v53 offset:9856
	ds_load_b32 v32, v54
	s_wait_dscnt 0x0
	v_fma_f32 v2, -v29, v32, v2
.LBB14_387:                             ;   in Loop: Header=BB14_3 Depth=1
	s_or_b32 exec_lo, exec_lo, s42
	s_barrier_signal -1
	s_barrier_wait -1
	s_and_saveexec_b32 s42, s102
; %bb.388:                              ;   in Loop: Header=BB14_3 Depth=1
	v_xor_b32_e32 v29, 0x80000000, v2
	ds_store_b32 v54, v29
; %bb.389:                              ;   in Loop: Header=BB14_3 Depth=1
	s_or_b32 exec_lo, exec_lo, s42
	s_wait_dscnt 0x0
	;; [unrolled: 20-line block ×3, first 2 shown]
	s_barrier_signal -1
	s_barrier_wait -1
	s_and_saveexec_b32 s42, vcc_hi
	s_cbranch_execz .LBB14_395
; %bb.394:                              ;   in Loop: Header=BB14_3 Depth=1
	ds_load_b32 v29, v53 offset:9344
	ds_load_b32 v32, v54
	s_wait_dscnt 0x0
	v_fma_f32 v2, -v29, v32, v2
.LBB14_395:                             ;   in Loop: Header=BB14_3 Depth=1
	s_or_b32 exec_lo, exec_lo, s42
	s_barrier_signal -1
	s_barrier_wait -1
	s_and_saveexec_b32 s42, s31
; %bb.396:                              ;   in Loop: Header=BB14_3 Depth=1
	v_xor_b32_e32 v29, 0x80000000, v2
	ds_store_b32 v54, v29
; %bb.397:                              ;   in Loop: Header=BB14_3 Depth=1
	s_or_b32 exec_lo, exec_lo, s42
	s_wait_dscnt 0x0
	s_barrier_signal -1
	s_barrier_wait -1
	s_and_saveexec_b32 s42, s33
	s_cbranch_execz .LBB14_399
; %bb.398:                              ;   in Loop: Header=BB14_3 Depth=1
	ds_load_b32 v29, v53 offset:9088
	ds_load_b32 v32, v54
	s_wait_dscnt 0x0
	v_fma_f32 v2, -v29, v32, v2
.LBB14_399:                             ;   in Loop: Header=BB14_3 Depth=1
	s_or_b32 exec_lo, exec_lo, s42
	s_barrier_signal -1
	s_barrier_wait -1
	s_and_saveexec_b32 s42, s34
; %bb.400:                              ;   in Loop: Header=BB14_3 Depth=1
	v_xor_b32_e32 v29, 0x80000000, v2
	ds_store_b32 v54, v29
; %bb.401:                              ;   in Loop: Header=BB14_3 Depth=1
	s_or_b32 exec_lo, exec_lo, s42
	s_wait_dscnt 0x0
	s_barrier_signal -1
	s_barrier_wait -1
	s_and_saveexec_b32 s42, s35
	;; [unrolled: 20-line block ×3, first 2 shown]
	s_cbranch_execz .LBB14_407
; %bb.406:                              ;   in Loop: Header=BB14_3 Depth=1
	ds_load_b32 v29, v3 offset:8576
	ds_load_b32 v32, v54
	s_wait_dscnt 0x0
	v_fma_f32 v2, -v29, v32, v2
.LBB14_407:                             ;   in Loop: Header=BB14_3 Depth=1
	s_or_b32 exec_lo, exec_lo, s42
	s_barrier_signal -1
	s_barrier_wait -1
	s_and_saveexec_b32 s42, s37
; %bb.408:                              ;   in Loop: Header=BB14_3 Depth=1
	v_xor_b32_e32 v29, 0x80000000, v2
	ds_store_b32 v54, v29
; %bb.409:                              ;   in Loop: Header=BB14_3 Depth=1
	s_or_b32 exec_lo, exec_lo, s42
	s_wait_dscnt 0x0
	s_barrier_signal -1
	s_barrier_wait -1
	s_barrier_signal -1
	s_barrier_wait -1
	s_and_saveexec_b32 s42, s5
; %bb.410:                              ;   in Loop: Header=BB14_3 Depth=1
	ds_store_b32 v57, v2 offset:12160
; %bb.411:                              ;   in Loop: Header=BB14_3 Depth=1
	s_or_b32 exec_lo, exec_lo, s42
	s_wait_dscnt 0x0
	s_barrier_signal -1
	s_barrier_wait -1
	s_barrier_signal -1
	s_barrier_wait -1
	s_and_saveexec_b32 s57, s38
	s_cbranch_execz .LBB14_413
; %bb.412:                              ;   in Loop: Header=BB14_3 Depth=1
	ds_load_b32 v2, v40 offset:10368
	s_wait_dscnt 0x0
	ds_store_b32 v42, v2 offset:8352
	ds_load_b32 v2, v40 offset:10372
	s_wait_dscnt 0x0
	ds_store_b32 v42, v2 offset:8608
	;; [unrolled: 3-line block ×8, first 2 shown]
.LBB14_413:                             ;   in Loop: Header=BB14_3 Depth=1
	s_or_b32 exec_lo, exec_lo, s57
	s_wait_dscnt 0x0
	s_barrier_signal -1
	s_barrier_wait -1
	s_and_saveexec_b32 s42, s11
	s_cbranch_execz .LBB14_415
; %bb.414:                              ;   in Loop: Header=BB14_3 Depth=1
	ds_load_b32 v29, v3 offset:10136
	ds_store_b32 v3, v28 offset:10140
	s_wait_dscnt 0x1
	ds_store_b64 v3, v[28:29] offset:9880
.LBB14_415:                             ;   in Loop: Header=BB14_3 Depth=1
	s_or_b32 exec_lo, exec_lo, s42
	v_mov_b32_e32 v2, 0
	s_wait_dscnt 0x0
	s_barrier_signal -1
	s_barrier_wait -1
	global_wb scope:SCOPE_DEV
	s_wait_storecnt 0x0
	global_inv scope:SCOPE_DEV
	s_and_saveexec_b32 s57, s2
	s_cbranch_execz .LBB14_419
; %bb.416:                              ;   in Loop: Header=BB14_3 Depth=1
	ds_load_b32 v2, v43 offset:9872
	ds_load_b32 v29, v44 offset:10136
	s_wait_dscnt 0x0
	v_fma_f32 v2, v2, v29, 0
	s_and_saveexec_b32 s42, s12
	s_cbranch_execz .LBB14_418
; %bb.417:                              ;   in Loop: Header=BB14_3 Depth=1
	ds_load_b32 v29, v42 offset:10128
	ds_load_b32 v32, v3 offset:10140
	s_wait_dscnt 0x0
	v_fmac_f32_e32 v2, v29, v32
.LBB14_418:                             ;   in Loop: Header=BB14_3 Depth=1
	s_or_b32 exec_lo, exec_lo, s42
.LBB14_419:                             ;   in Loop: Header=BB14_3 Depth=1
	s_delay_alu instid0(SALU_CYCLE_1)
	s_or_b32 exec_lo, exec_lo, s57
	s_and_saveexec_b32 s42, s88
; %bb.420:                              ;   in Loop: Header=BB14_3 Depth=1
	s_delay_alu instid0(VALU_DEP_1)
	v_xor_b32_e32 v29, 0x80000000, v2
	ds_store_b32 v41, v29
; %bb.421:                              ;   in Loop: Header=BB14_3 Depth=1
	s_or_b32 exec_lo, exec_lo, s42
	s_wait_loadcnt_dscnt 0x0
	s_barrier_signal -1
	s_barrier_wait -1
	s_and_saveexec_b32 s42, s89
	s_cbranch_execz .LBB14_423
; %bb.422:                              ;   in Loop: Header=BB14_3 Depth=1
	ds_load_b32 v29, v3 offset:9616
	ds_load_b32 v32, v41
	s_wait_dscnt 0x0
	v_fma_f32 v2, -v29, v32, v2
.LBB14_423:                             ;   in Loop: Header=BB14_3 Depth=1
	s_or_b32 exec_lo, exec_lo, s42
	s_barrier_signal -1
	s_barrier_wait -1
	s_and_saveexec_b32 s42, s89
; %bb.424:                              ;   in Loop: Header=BB14_3 Depth=1
	v_xor_b32_e32 v29, 0x80000000, v2
	ds_store_b32 v41, v29
; %bb.425:                              ;   in Loop: Header=BB14_3 Depth=1
	s_or_b32 exec_lo, exec_lo, s42
	s_wait_dscnt 0x0
	s_barrier_signal -1
	s_barrier_wait -1
	s_barrier_signal -1
	s_barrier_wait -1
	s_and_saveexec_b32 s42, s2
; %bb.426:                              ;   in Loop: Header=BB14_3 Depth=1
	ds_store_b32 v46, v2 offset:10128
; %bb.427:                              ;   in Loop: Header=BB14_3 Depth=1
	s_or_b32 exec_lo, exec_lo, s42
	s_wait_dscnt 0x0
	s_barrier_signal -1
	s_barrier_wait -1
	s_barrier_signal -1
	s_barrier_wait -1
	s_and_saveexec_b32 s42, s90
	s_cbranch_execz .LBB14_429
; %bb.428:                              ;   in Loop: Header=BB14_3 Depth=1
	ds_load_b32 v2, v45 offset:9872
	s_wait_dscnt 0x0
	ds_store_b32 v42, v2 offset:9368
	ds_load_b32 v2, v45 offset:9876
	s_wait_dscnt 0x0
	ds_store_b32 v42, v2 offset:9624
.LBB14_429:                             ;   in Loop: Header=BB14_3 Depth=1
	s_or_b32 exec_lo, exec_lo, s42
	s_wait_dscnt 0x0
	s_barrier_signal -1
	s_barrier_wait -1
	s_and_saveexec_b32 s42, s11
	s_cbranch_execz .LBB14_431
; %bb.430:                              ;   in Loop: Header=BB14_3 Depth=1
	ds_load_b32 v29, v3 offset:9616
	ds_store_b32 v3, v28 offset:9620
	s_wait_dscnt 0x1
	ds_store_b64 v3, v[28:29] offset:9360
.LBB14_431:                             ;   in Loop: Header=BB14_3 Depth=1
	s_or_b32 exec_lo, exec_lo, s42
	v_mov_b32_e32 v2, 0
	s_wait_dscnt 0x0
	s_barrier_signal -1
	s_barrier_wait -1
	global_wb scope:SCOPE_DEV
	s_wait_storecnt 0x0
	global_inv scope:SCOPE_DEV
	s_and_saveexec_b32 s60, s4
	s_cbranch_execz .LBB14_437
; %bb.432:                              ;   in Loop: Header=BB14_3 Depth=1
	ds_load_b32 v2, v48 offset:9344
	ds_load_b32 v29, v50 offset:10128
	s_wait_dscnt 0x0
	v_fma_f32 v2, v2, v29, 0
	s_and_saveexec_b32 s42, s13
	s_cbranch_execnz .LBB14_1197
; %bb.433:                              ;   in Loop: Header=BB14_3 Depth=1
	s_or_b32 exec_lo, exec_lo, s42
	s_and_saveexec_b32 s42, s14
	s_cbranch_execnz .LBB14_1198
.LBB14_434:                             ;   in Loop: Header=BB14_3 Depth=1
	s_or_b32 exec_lo, exec_lo, s42
	s_and_saveexec_b32 s42, s2
	s_cbranch_execz .LBB14_436
.LBB14_435:                             ;   in Loop: Header=BB14_3 Depth=1
	ds_load_b32 v29, v49 offset:10112
	ds_load_b32 v32, v3 offset:10140
	s_wait_dscnt 0x0
	v_fmac_f32_e32 v2, v29, v32
.LBB14_436:                             ;   in Loop: Header=BB14_3 Depth=1
	s_or_b32 exec_lo, exec_lo, s42
.LBB14_437:                             ;   in Loop: Header=BB14_3 Depth=1
	s_delay_alu instid0(SALU_CYCLE_1)
	s_or_b32 exec_lo, exec_lo, s60
	s_and_saveexec_b32 s42, s91
; %bb.438:                              ;   in Loop: Header=BB14_3 Depth=1
	s_delay_alu instid0(VALU_DEP_1)
	v_xor_b32_e32 v29, 0x80000000, v2
	ds_store_b32 v47, v29
; %bb.439:                              ;   in Loop: Header=BB14_3 Depth=1
	s_or_b32 exec_lo, exec_lo, s42
	s_wait_loadcnt_dscnt 0x0
	s_barrier_signal -1
	s_barrier_wait -1
	s_and_saveexec_b32 s42, s92
	s_cbranch_execz .LBB14_441
; %bb.440:                              ;   in Loop: Header=BB14_3 Depth=1
	ds_load_b32 v29, v48 offset:9088
	ds_load_b32 v32, v47
	s_wait_dscnt 0x0
	v_fma_f32 v2, -v29, v32, v2
.LBB14_441:                             ;   in Loop: Header=BB14_3 Depth=1
	s_or_b32 exec_lo, exec_lo, s42
	s_barrier_signal -1
	s_barrier_wait -1
	s_and_saveexec_b32 s42, s93
; %bb.442:                              ;   in Loop: Header=BB14_3 Depth=1
	v_xor_b32_e32 v29, 0x80000000, v2
	ds_store_b32 v47, v29
; %bb.443:                              ;   in Loop: Header=BB14_3 Depth=1
	s_or_b32 exec_lo, exec_lo, s42
	s_wait_dscnt 0x0
	s_barrier_signal -1
	s_barrier_wait -1
	s_and_saveexec_b32 s42, s94
	s_cbranch_execz .LBB14_445
; %bb.444:                              ;   in Loop: Header=BB14_3 Depth=1
	ds_load_b32 v29, v48 offset:8832
	ds_load_b32 v32, v47
	s_wait_dscnt 0x0
	v_fma_f32 v2, -v29, v32, v2
.LBB14_445:                             ;   in Loop: Header=BB14_3 Depth=1
	s_or_b32 exec_lo, exec_lo, s42
	s_barrier_signal -1
	s_barrier_wait -1
	s_and_saveexec_b32 s42, s95
; %bb.446:                              ;   in Loop: Header=BB14_3 Depth=1
	v_xor_b32_e32 v29, 0x80000000, v2
	ds_store_b32 v47, v29
; %bb.447:                              ;   in Loop: Header=BB14_3 Depth=1
	s_or_b32 exec_lo, exec_lo, s42
	s_wait_dscnt 0x0
	;; [unrolled: 20-line block ×3, first 2 shown]
	s_barrier_signal -1
	s_barrier_wait -1
	s_barrier_signal -1
	s_barrier_wait -1
	s_and_saveexec_b32 s42, s4
; %bb.452:                              ;   in Loop: Header=BB14_3 Depth=1
	ds_store_b32 v51, v2 offset:10112
; %bb.453:                              ;   in Loop: Header=BB14_3 Depth=1
	s_or_b32 exec_lo, exec_lo, s42
	s_wait_dscnt 0x0
	s_barrier_signal -1
	s_barrier_wait -1
	s_barrier_signal -1
	s_barrier_wait -1
	s_and_saveexec_b32 s57, s97
	s_cbranch_execz .LBB14_455
; %bb.454:                              ;   in Loop: Header=BB14_3 Depth=1
	ds_load_b32 v2, v52 offset:9344
	s_wait_dscnt 0x0
	ds_store_b32 v55, v2 offset:8336
	ds_load_b32 v2, v52 offset:9348
	s_wait_dscnt 0x0
	ds_store_b32 v55, v2 offset:8592
	;; [unrolled: 3-line block ×4, first 2 shown]
.LBB14_455:                             ;   in Loop: Header=BB14_3 Depth=1
	s_or_b32 exec_lo, exec_lo, s57
	s_wait_dscnt 0x0
	s_barrier_signal -1
	s_barrier_wait -1
	s_and_saveexec_b32 s42, s11
	s_cbranch_execz .LBB14_457
; %bb.456:                              ;   in Loop: Header=BB14_3 Depth=1
	ds_load_b32 v29, v3 offset:9096
	ds_store_b32 v3, v28 offset:9100
	s_wait_dscnt 0x1
	ds_store_b64 v3, v[28:29] offset:8840
.LBB14_457:                             ;   in Loop: Header=BB14_3 Depth=1
	s_or_b32 exec_lo, exec_lo, s42
	v_mov_b32_e32 v2, 0
	s_wait_dscnt 0x0
	s_barrier_signal -1
	s_barrier_wait -1
	global_wb scope:SCOPE_DEV
	s_wait_storecnt 0x0
	global_inv scope:SCOPE_DEV
	s_and_saveexec_b32 s57, s2
	s_cbranch_execz .LBB14_461
; %bb.458:                              ;   in Loop: Header=BB14_3 Depth=1
	ds_load_b32 v2, v43 offset:8832
	ds_load_b32 v29, v44 offset:9096
	s_wait_dscnt 0x0
	v_fma_f32 v2, v2, v29, 0
	s_and_saveexec_b32 s42, s12
	s_cbranch_execz .LBB14_460
; %bb.459:                              ;   in Loop: Header=BB14_3 Depth=1
	ds_load_b32 v29, v55 offset:9088
	ds_load_b32 v32, v3 offset:9100
	s_wait_dscnt 0x0
	v_fmac_f32_e32 v2, v29, v32
.LBB14_460:                             ;   in Loop: Header=BB14_3 Depth=1
	s_or_b32 exec_lo, exec_lo, s42
.LBB14_461:                             ;   in Loop: Header=BB14_3 Depth=1
	s_delay_alu instid0(SALU_CYCLE_1)
	s_or_b32 exec_lo, exec_lo, s57
	s_and_saveexec_b32 s42, s88
; %bb.462:                              ;   in Loop: Header=BB14_3 Depth=1
	s_delay_alu instid0(VALU_DEP_1)
	v_xor_b32_e32 v29, 0x80000000, v2
	ds_store_b32 v41, v29
; %bb.463:                              ;   in Loop: Header=BB14_3 Depth=1
	s_or_b32 exec_lo, exec_lo, s42
	s_wait_loadcnt_dscnt 0x0
	s_barrier_signal -1
	s_barrier_wait -1
	s_and_saveexec_b32 s42, s89
	s_cbranch_execz .LBB14_465
; %bb.464:                              ;   in Loop: Header=BB14_3 Depth=1
	ds_load_b32 v29, v3 offset:8576
	ds_load_b32 v32, v41
	s_wait_dscnt 0x0
	v_fma_f32 v2, -v29, v32, v2
.LBB14_465:                             ;   in Loop: Header=BB14_3 Depth=1
	s_or_b32 exec_lo, exec_lo, s42
	s_barrier_signal -1
	s_barrier_wait -1
	s_and_saveexec_b32 s42, s89
; %bb.466:                              ;   in Loop: Header=BB14_3 Depth=1
	v_xor_b32_e32 v29, 0x80000000, v2
	ds_store_b32 v41, v29
; %bb.467:                              ;   in Loop: Header=BB14_3 Depth=1
	s_or_b32 exec_lo, exec_lo, s42
	s_wait_dscnt 0x0
	s_barrier_signal -1
	s_barrier_wait -1
	s_barrier_signal -1
	s_barrier_wait -1
	s_and_saveexec_b32 s42, s2
; %bb.468:                              ;   in Loop: Header=BB14_3 Depth=1
	ds_store_b32 v46, v2 offset:9088
; %bb.469:                              ;   in Loop: Header=BB14_3 Depth=1
	s_or_b32 exec_lo, exec_lo, s42
	s_wait_dscnt 0x0
	s_barrier_signal -1
	s_barrier_wait -1
	s_barrier_signal -1
	s_barrier_wait -1
	s_and_saveexec_b32 s42, s90
	s_cbranch_execz .LBB14_471
; %bb.470:                              ;   in Loop: Header=BB14_3 Depth=1
	ds_load_b32 v2, v58 offset:8832
	s_wait_dscnt 0x0
	ds_store_b32 v55, v2 offset:8328
	ds_load_b32 v2, v58 offset:8836
	s_wait_dscnt 0x0
	ds_store_b32 v55, v2 offset:8584
.LBB14_471:                             ;   in Loop: Header=BB14_3 Depth=1
	s_or_b32 exec_lo, exec_lo, s42
	s_wait_dscnt 0x0
	s_barrier_signal -1
	s_barrier_wait -1
	s_and_saveexec_b32 s42, s11
	s_cbranch_execz .LBB14_473
; %bb.472:                              ;   in Loop: Header=BB14_3 Depth=1
	ds_load_b32 v29, v3 offset:8576
	ds_store_b32 v3, v28 offset:8580
	s_wait_dscnt 0x1
	ds_store_b64 v3, v[28:29] offset:8320
.LBB14_473:                             ;   in Loop: Header=BB14_3 Depth=1
	s_or_b32 exec_lo, exec_lo, s42
	v_mov_b32_e32 v2, 0
	s_wait_dscnt 0x0
	s_barrier_signal -1
	s_barrier_wait -1
	global_wb scope:SCOPE_DEV
	s_wait_storecnt 0x0
	global_inv scope:SCOPE_DEV
	s_and_saveexec_b32 s61, s7
	s_cbranch_execz .LBB14_535
; %bb.474:                              ;   in Loop: Header=BB14_3 Depth=1
	ds_load_b32 v2, v62 offset:8192
	ds_load_b32 v29, v65 offset:16256
	s_wait_dscnt 0x0
	v_fma_f32 v2, v2, v29, 0
	s_mov_b32 s42, exec_lo
	v_readlane_b32 s57, v87, 26
	s_and_b32 s57, s42, s57
	s_delay_alu instid0(SALU_CYCLE_1)
	s_mov_b32 exec_lo, s57
	s_cbranch_execz .LBB14_476
; %bb.475:                              ;   in Loop: Header=BB14_3 Depth=1
	ds_load_b32 v29, v62 offset:8448
	ds_load_b32 v32, v65 offset:16260
	s_wait_dscnt 0x0
	v_fmac_f32_e32 v2, v29, v32
.LBB14_476:                             ;   in Loop: Header=BB14_3 Depth=1
	s_or_b32 exec_lo, exec_lo, s42
	s_delay_alu instid0(SALU_CYCLE_1) | instskip(SKIP_2) | instid1(SALU_CYCLE_1)
	s_mov_b32 s42, exec_lo
	v_readlane_b32 s57, v87, 27
	s_and_b32 s57, s42, s57
	s_mov_b32 exec_lo, s57
	s_cbranch_execz .LBB14_478
; %bb.477:                              ;   in Loop: Header=BB14_3 Depth=1
	ds_load_b32 v29, v62 offset:8704
	ds_load_b32 v32, v65 offset:16264
	s_wait_dscnt 0x0
	v_fmac_f32_e32 v2, v29, v32
.LBB14_478:                             ;   in Loop: Header=BB14_3 Depth=1
	s_or_b32 exec_lo, exec_lo, s42
	s_delay_alu instid0(SALU_CYCLE_1) | instskip(SKIP_2) | instid1(SALU_CYCLE_1)
	s_mov_b32 s42, exec_lo
	v_readlane_b32 s57, v87, 28
	s_and_b32 s57, s42, s57
	;; [unrolled: 13-line block ×22, first 2 shown]
	s_mov_b32 exec_lo, s57
	s_cbranch_execz .LBB14_520
; %bb.519:                              ;   in Loop: Header=BB14_3 Depth=1
	ds_load_b32 v29, v62 offset:14080
	ds_load_b32 v32, v65 offset:16348
	s_wait_dscnt 0x0
	v_fmac_f32_e32 v2, v29, v32
.LBB14_520:                             ;   in Loop: Header=BB14_3 Depth=1
	s_or_b32 exec_lo, exec_lo, s42
	s_and_saveexec_b32 s42, s6
	s_cbranch_execz .LBB14_522
; %bb.521:                              ;   in Loop: Header=BB14_3 Depth=1
	ds_load_b32 v29, v62 offset:14336
	ds_load_b32 v32, v65 offset:16352
	s_wait_dscnt 0x0
	v_fmac_f32_e32 v2, v29, v32
.LBB14_522:                             ;   in Loop: Header=BB14_3 Depth=1
	s_or_b32 exec_lo, exec_lo, s42
	s_delay_alu instid0(SALU_CYCLE_1) | instskip(SKIP_2) | instid1(SALU_CYCLE_1)
	s_mov_b32 s42, exec_lo
	v_readlane_b32 s57, v87, 16
	s_and_b32 s57, s42, s57
	s_mov_b32 exec_lo, s57
	s_cbranch_execz .LBB14_524
; %bb.523:                              ;   in Loop: Header=BB14_3 Depth=1
	ds_load_b32 v29, v62 offset:14592
	ds_load_b32 v32, v65 offset:16356
	s_wait_dscnt 0x0
	v_fmac_f32_e32 v2, v29, v32
.LBB14_524:                             ;   in Loop: Header=BB14_3 Depth=1
	s_or_b32 exec_lo, exec_lo, s42
	s_delay_alu instid0(SALU_CYCLE_1) | instskip(SKIP_2) | instid1(SALU_CYCLE_1)
	s_mov_b32 s42, exec_lo
	v_readlane_b32 s57, v87, 18
	s_and_b32 s57, s42, s57
	s_mov_b32 exec_lo, s57
	;; [unrolled: 13-line block ×5, first 2 shown]
	s_cbranch_execnz .LBB14_1199
; %bb.531:                              ;   in Loop: Header=BB14_3 Depth=1
	s_or_b32 exec_lo, exec_lo, s42
	s_and_saveexec_b32 s42, s5
	s_cbranch_execnz .LBB14_1200
.LBB14_532:                             ;   in Loop: Header=BB14_3 Depth=1
	s_or_b32 exec_lo, exec_lo, s42
	s_and_saveexec_b32 s42, s18
	s_cbranch_execz .LBB14_534
.LBB14_533:                             ;   in Loop: Header=BB14_3 Depth=1
	ds_load_b32 v29, v9 offset:16128
	ds_load_b32 v32, v3 offset:16380
	s_wait_dscnt 0x0
	v_fmac_f32_e32 v2, v29, v32
.LBB14_534:                             ;   in Loop: Header=BB14_3 Depth=1
	s_or_b32 exec_lo, exec_lo, s42
.LBB14_535:                             ;   in Loop: Header=BB14_3 Depth=1
	s_delay_alu instid0(SALU_CYCLE_1) | instskip(NEXT) | instid1(SALU_CYCLE_1)
	s_or_b32 exec_lo, exec_lo, s61
	s_mov_b32 s42, exec_lo
	v_readlane_b32 s57, v89, 6
	s_and_b32 s57, s42, s57
	s_delay_alu instid0(SALU_CYCLE_1)
	s_mov_b32 exec_lo, s57
; %bb.536:                              ;   in Loop: Header=BB14_3 Depth=1
	v_xor_b32_e32 v29, 0x80000000, v2
	ds_store_b32 v64, v29
; %bb.537:                              ;   in Loop: Header=BB14_3 Depth=1
	s_or_b32 exec_lo, exec_lo, s42
	s_wait_loadcnt_dscnt 0x0
	s_barrier_signal -1
	s_barrier_wait -1
	s_mov_b32 s42, exec_lo
	v_readlane_b32 s57, v89, 7
	s_and_b32 s57, s42, s57
	s_delay_alu instid0(SALU_CYCLE_1)
	s_mov_b32 exec_lo, s57
	s_cbranch_execz .LBB14_539
; %bb.538:                              ;   in Loop: Header=BB14_3 Depth=1
	ds_load_b32 v29, v62 offset:7936
	ds_load_b32 v32, v64
	s_wait_dscnt 0x0
	v_fma_f32 v2, -v29, v32, v2
.LBB14_539:                             ;   in Loop: Header=BB14_3 Depth=1
	s_or_b32 exec_lo, exec_lo, s42
	s_barrier_signal -1
	s_barrier_wait -1
	s_mov_b32 s42, exec_lo
	v_readlane_b32 s57, v89, 8
	s_and_b32 s57, s42, s57
	s_delay_alu instid0(SALU_CYCLE_1)
	s_mov_b32 exec_lo, s57
; %bb.540:                              ;   in Loop: Header=BB14_3 Depth=1
	v_xor_b32_e32 v29, 0x80000000, v2
	ds_store_b32 v64, v29
; %bb.541:                              ;   in Loop: Header=BB14_3 Depth=1
	s_or_b32 exec_lo, exec_lo, s42
	s_wait_dscnt 0x0
	s_barrier_signal -1
	s_barrier_wait -1
	s_mov_b32 s42, exec_lo
	v_readlane_b32 s57, v89, 9
	s_and_b32 s57, s42, s57
	s_delay_alu instid0(SALU_CYCLE_1)
	s_mov_b32 exec_lo, s57
	s_cbranch_execz .LBB14_543
; %bb.542:                              ;   in Loop: Header=BB14_3 Depth=1
	ds_load_b32 v29, v62 offset:7680
	ds_load_b32 v32, v64
	s_wait_dscnt 0x0
	v_fma_f32 v2, -v29, v32, v2
.LBB14_543:                             ;   in Loop: Header=BB14_3 Depth=1
	s_or_b32 exec_lo, exec_lo, s42
	s_barrier_signal -1
	s_barrier_wait -1
	s_mov_b32 s42, exec_lo
	v_readlane_b32 s57, v89, 10
	s_and_b32 s57, s42, s57
	s_delay_alu instid0(SALU_CYCLE_1)
	s_mov_b32 exec_lo, s57
; %bb.544:                              ;   in Loop: Header=BB14_3 Depth=1
	v_xor_b32_e32 v29, 0x80000000, v2
	ds_store_b32 v64, v29
; %bb.545:                              ;   in Loop: Header=BB14_3 Depth=1
	s_or_b32 exec_lo, exec_lo, s42
	s_wait_dscnt 0x0
	;; [unrolled: 28-line block ×30, first 2 shown]
	s_barrier_signal -1
	s_barrier_wait -1
	s_and_saveexec_b32 s42, s39
	s_cbranch_execz .LBB14_659
; %bb.658:                              ;   in Loop: Header=BB14_3 Depth=1
	ds_load_b32 v29, v3 offset:256
	ds_load_b32 v32, v64
	s_wait_dscnt 0x0
	v_fma_f32 v2, -v29, v32, v2
.LBB14_659:                             ;   in Loop: Header=BB14_3 Depth=1
	s_or_b32 exec_lo, exec_lo, s42
	s_barrier_signal -1
	s_barrier_wait -1
	s_and_saveexec_b32 s42, s39
; %bb.660:                              ;   in Loop: Header=BB14_3 Depth=1
	v_xor_b32_e32 v29, 0x80000000, v2
	ds_store_b32 v64, v29
; %bb.661:                              ;   in Loop: Header=BB14_3 Depth=1
	s_or_b32 exec_lo, exec_lo, s42
	s_wait_dscnt 0x0
	s_barrier_signal -1
	s_barrier_wait -1
	s_barrier_signal -1
	s_barrier_wait -1
	s_and_saveexec_b32 s42, s7
; %bb.662:                              ;   in Loop: Header=BB14_3 Depth=1
	ds_store_b32 v66, v2 offset:16128
; %bb.663:                              ;   in Loop: Header=BB14_3 Depth=1
	s_or_b32 exec_lo, exec_lo, s42
	s_wait_dscnt 0x0
	s_barrier_signal -1
	s_barrier_wait -1
	s_barrier_signal -1
	s_barrier_wait -1
	s_mov_b32 s60, exec_lo
	v_readlane_b32 s42, v87, 3
	s_and_b32 s42, s60, s42
	s_delay_alu instid0(SALU_CYCLE_1)
	s_mov_b32 exec_lo, s42
	s_cbranch_execz .LBB14_665
; %bb.664:                              ;   in Loop: Header=BB14_3 Depth=1
	ds_load_b32 v2, v34 offset:8192
	s_wait_dscnt 0x0
	ds_store_b32 v35, v2 offset:128
	ds_load_b32 v2, v34 offset:8196
	s_wait_dscnt 0x0
	ds_store_b32 v35, v2 offset:384
	;; [unrolled: 3-line block ×32, first 2 shown]
.LBB14_665:                             ;   in Loop: Header=BB14_3 Depth=1
	s_or_b32 exec_lo, exec_lo, s60
	s_wait_dscnt 0x0
	s_barrier_signal -1
	s_barrier_wait -1
	s_and_saveexec_b32 s42, s11
	s_cbranch_execz .LBB14_667
; %bb.666:                              ;   in Loop: Header=BB14_3 Depth=1
	ds_load_b32 v29, v3 offset:8056
	ds_store_b32 v3, v28 offset:8060
	s_wait_dscnt 0x1
	ds_store_b64 v3, v[28:29] offset:7800
.LBB14_667:                             ;   in Loop: Header=BB14_3 Depth=1
	s_or_b32 exec_lo, exec_lo, s42
	v_mov_b32_e32 v2, 0
	s_wait_dscnt 0x0
	s_barrier_signal -1
	s_barrier_wait -1
	global_wb scope:SCOPE_DEV
	s_wait_storecnt 0x0
	global_inv scope:SCOPE_DEV
	s_and_saveexec_b32 s57, s2
	s_cbranch_execz .LBB14_671
; %bb.668:                              ;   in Loop: Header=BB14_3 Depth=1
	ds_load_b32 v2, v43 offset:7792
	ds_load_b32 v29, v44 offset:8056
	s_wait_dscnt 0x0
	v_fma_f32 v2, v2, v29, 0
	s_and_saveexec_b32 s42, s12
	s_cbranch_execz .LBB14_670
; %bb.669:                              ;   in Loop: Header=BB14_3 Depth=1
	ds_load_b32 v29, v9 offset:8048
	ds_load_b32 v32, v3 offset:8060
	s_wait_dscnt 0x0
	v_fmac_f32_e32 v2, v29, v32
.LBB14_670:                             ;   in Loop: Header=BB14_3 Depth=1
	s_or_b32 exec_lo, exec_lo, s42
.LBB14_671:                             ;   in Loop: Header=BB14_3 Depth=1
	s_delay_alu instid0(SALU_CYCLE_1)
	s_or_b32 exec_lo, exec_lo, s57
	s_and_saveexec_b32 s42, s88
; %bb.672:                              ;   in Loop: Header=BB14_3 Depth=1
	s_delay_alu instid0(VALU_DEP_1)
	v_xor_b32_e32 v29, 0x80000000, v2
	ds_store_b32 v41, v29
; %bb.673:                              ;   in Loop: Header=BB14_3 Depth=1
	s_or_b32 exec_lo, exec_lo, s42
	s_wait_loadcnt_dscnt 0x0
	s_barrier_signal -1
	s_barrier_wait -1
	s_and_saveexec_b32 s42, s89
	s_cbranch_execz .LBB14_675
; %bb.674:                              ;   in Loop: Header=BB14_3 Depth=1
	ds_load_b32 v29, v3 offset:7536
	ds_load_b32 v32, v41
	s_wait_dscnt 0x0
	v_fma_f32 v2, -v29, v32, v2
.LBB14_675:                             ;   in Loop: Header=BB14_3 Depth=1
	s_or_b32 exec_lo, exec_lo, s42
	s_barrier_signal -1
	s_barrier_wait -1
	s_and_saveexec_b32 s42, s89
; %bb.676:                              ;   in Loop: Header=BB14_3 Depth=1
	v_xor_b32_e32 v29, 0x80000000, v2
	ds_store_b32 v41, v29
; %bb.677:                              ;   in Loop: Header=BB14_3 Depth=1
	s_or_b32 exec_lo, exec_lo, s42
	s_wait_dscnt 0x0
	s_barrier_signal -1
	s_barrier_wait -1
	s_barrier_signal -1
	s_barrier_wait -1
	s_and_saveexec_b32 s42, s2
; %bb.678:                              ;   in Loop: Header=BB14_3 Depth=1
	ds_store_b32 v46, v2 offset:8048
; %bb.679:                              ;   in Loop: Header=BB14_3 Depth=1
	s_or_b32 exec_lo, exec_lo, s42
	s_wait_dscnt 0x0
	s_barrier_signal -1
	s_barrier_wait -1
	s_barrier_signal -1
	s_barrier_wait -1
	s_and_saveexec_b32 s42, s90
	s_cbranch_execz .LBB14_681
; %bb.680:                              ;   in Loop: Header=BB14_3 Depth=1
	ds_load_b32 v2, v34 offset:7792
	s_wait_dscnt 0x0
	ds_store_b32 v9, v2 offset:7288
	ds_load_b32 v2, v34 offset:7796
	s_wait_dscnt 0x0
	ds_store_b32 v9, v2 offset:7544
.LBB14_681:                             ;   in Loop: Header=BB14_3 Depth=1
	s_or_b32 exec_lo, exec_lo, s42
	s_wait_dscnt 0x0
	s_barrier_signal -1
	s_barrier_wait -1
	s_and_saveexec_b32 s42, s11
	s_cbranch_execz .LBB14_683
; %bb.682:                              ;   in Loop: Header=BB14_3 Depth=1
	ds_load_b32 v29, v3 offset:7536
	ds_store_b32 v3, v28 offset:7540
	s_wait_dscnt 0x1
	ds_store_b64 v3, v[28:29] offset:7280
.LBB14_683:                             ;   in Loop: Header=BB14_3 Depth=1
	s_or_b32 exec_lo, exec_lo, s42
	v_mov_b32_e32 v2, 0
	s_wait_dscnt 0x0
	s_barrier_signal -1
	s_barrier_wait -1
	global_wb scope:SCOPE_DEV
	s_wait_storecnt 0x0
	global_inv scope:SCOPE_DEV
	s_and_saveexec_b32 s60, s4
	s_cbranch_execz .LBB14_689
; %bb.684:                              ;   in Loop: Header=BB14_3 Depth=1
	ds_load_b32 v2, v48 offset:7264
	ds_load_b32 v29, v50 offset:8048
	s_wait_dscnt 0x0
	v_fma_f32 v2, v2, v29, 0
	s_and_saveexec_b32 s42, s13
	s_cbranch_execnz .LBB14_1201
; %bb.685:                              ;   in Loop: Header=BB14_3 Depth=1
	s_or_b32 exec_lo, exec_lo, s42
	s_and_saveexec_b32 s42, s14
	s_cbranch_execnz .LBB14_1202
.LBB14_686:                             ;   in Loop: Header=BB14_3 Depth=1
	s_or_b32 exec_lo, exec_lo, s42
	s_and_saveexec_b32 s42, s2
	s_cbranch_execz .LBB14_688
.LBB14_687:                             ;   in Loop: Header=BB14_3 Depth=1
	ds_load_b32 v29, v35 offset:8032
	ds_load_b32 v32, v3 offset:8060
	s_wait_dscnt 0x0
	v_fmac_f32_e32 v2, v29, v32
.LBB14_688:                             ;   in Loop: Header=BB14_3 Depth=1
	s_or_b32 exec_lo, exec_lo, s42
.LBB14_689:                             ;   in Loop: Header=BB14_3 Depth=1
	s_delay_alu instid0(SALU_CYCLE_1)
	s_or_b32 exec_lo, exec_lo, s60
	s_and_saveexec_b32 s42, s91
; %bb.690:                              ;   in Loop: Header=BB14_3 Depth=1
	s_delay_alu instid0(VALU_DEP_1)
	v_xor_b32_e32 v29, 0x80000000, v2
	ds_store_b32 v47, v29
; %bb.691:                              ;   in Loop: Header=BB14_3 Depth=1
	s_or_b32 exec_lo, exec_lo, s42
	s_wait_loadcnt_dscnt 0x0
	s_barrier_signal -1
	s_barrier_wait -1
	s_and_saveexec_b32 s42, s92
	s_cbranch_execz .LBB14_693
; %bb.692:                              ;   in Loop: Header=BB14_3 Depth=1
	ds_load_b32 v29, v48 offset:7008
	ds_load_b32 v32, v47
	s_wait_dscnt 0x0
	v_fma_f32 v2, -v29, v32, v2
.LBB14_693:                             ;   in Loop: Header=BB14_3 Depth=1
	s_or_b32 exec_lo, exec_lo, s42
	s_barrier_signal -1
	s_barrier_wait -1
	s_and_saveexec_b32 s42, s93
; %bb.694:                              ;   in Loop: Header=BB14_3 Depth=1
	v_xor_b32_e32 v29, 0x80000000, v2
	ds_store_b32 v47, v29
; %bb.695:                              ;   in Loop: Header=BB14_3 Depth=1
	s_or_b32 exec_lo, exec_lo, s42
	s_wait_dscnt 0x0
	s_barrier_signal -1
	s_barrier_wait -1
	s_and_saveexec_b32 s42, s94
	s_cbranch_execz .LBB14_697
; %bb.696:                              ;   in Loop: Header=BB14_3 Depth=1
	ds_load_b32 v29, v48 offset:6752
	ds_load_b32 v32, v47
	s_wait_dscnt 0x0
	v_fma_f32 v2, -v29, v32, v2
.LBB14_697:                             ;   in Loop: Header=BB14_3 Depth=1
	s_or_b32 exec_lo, exec_lo, s42
	s_barrier_signal -1
	s_barrier_wait -1
	s_and_saveexec_b32 s42, s95
; %bb.698:                              ;   in Loop: Header=BB14_3 Depth=1
	v_xor_b32_e32 v29, 0x80000000, v2
	ds_store_b32 v47, v29
; %bb.699:                              ;   in Loop: Header=BB14_3 Depth=1
	s_or_b32 exec_lo, exec_lo, s42
	s_wait_dscnt 0x0
	;; [unrolled: 20-line block ×3, first 2 shown]
	s_barrier_signal -1
	s_barrier_wait -1
	s_barrier_signal -1
	s_barrier_wait -1
	s_and_saveexec_b32 s42, s4
; %bb.704:                              ;   in Loop: Header=BB14_3 Depth=1
	ds_store_b32 v51, v2 offset:8032
; %bb.705:                              ;   in Loop: Header=BB14_3 Depth=1
	s_or_b32 exec_lo, exec_lo, s42
	s_wait_dscnt 0x0
	s_barrier_signal -1
	s_barrier_wait -1
	s_barrier_signal -1
	s_barrier_wait -1
	s_and_saveexec_b32 s57, s97
	s_cbranch_execz .LBB14_707
; %bb.706:                              ;   in Loop: Header=BB14_3 Depth=1
	ds_load_b32 v2, v36 offset:7264
	s_wait_dscnt 0x0
	ds_store_b32 v37, v2 offset:6256
	ds_load_b32 v2, v36 offset:7268
	s_wait_dscnt 0x0
	ds_store_b32 v37, v2 offset:6512
	;; [unrolled: 3-line block ×4, first 2 shown]
.LBB14_707:                             ;   in Loop: Header=BB14_3 Depth=1
	s_or_b32 exec_lo, exec_lo, s57
	s_wait_dscnt 0x0
	s_barrier_signal -1
	s_barrier_wait -1
	s_and_saveexec_b32 s42, s11
	s_cbranch_execz .LBB14_709
; %bb.708:                              ;   in Loop: Header=BB14_3 Depth=1
	ds_load_b32 v29, v3 offset:7016
	ds_store_b32 v3, v28 offset:7020
	s_wait_dscnt 0x1
	ds_store_b64 v3, v[28:29] offset:6760
.LBB14_709:                             ;   in Loop: Header=BB14_3 Depth=1
	s_or_b32 exec_lo, exec_lo, s42
	v_mov_b32_e32 v2, 0
	s_wait_dscnt 0x0
	s_barrier_signal -1
	s_barrier_wait -1
	global_wb scope:SCOPE_DEV
	s_wait_storecnt 0x0
	global_inv scope:SCOPE_DEV
	s_and_saveexec_b32 s57, s2
	s_cbranch_execz .LBB14_713
; %bb.710:                              ;   in Loop: Header=BB14_3 Depth=1
	ds_load_b32 v2, v43 offset:6752
	ds_load_b32 v29, v44 offset:7016
	s_wait_dscnt 0x0
	v_fma_f32 v2, v2, v29, 0
	s_and_saveexec_b32 s42, s12
	s_cbranch_execz .LBB14_712
; %bb.711:                              ;   in Loop: Header=BB14_3 Depth=1
	ds_load_b32 v29, v37 offset:7008
	ds_load_b32 v32, v3 offset:7020
	s_wait_dscnt 0x0
	v_fmac_f32_e32 v2, v29, v32
.LBB14_712:                             ;   in Loop: Header=BB14_3 Depth=1
	s_or_b32 exec_lo, exec_lo, s42
.LBB14_713:                             ;   in Loop: Header=BB14_3 Depth=1
	s_delay_alu instid0(SALU_CYCLE_1)
	s_or_b32 exec_lo, exec_lo, s57
	s_and_saveexec_b32 s42, s88
; %bb.714:                              ;   in Loop: Header=BB14_3 Depth=1
	s_delay_alu instid0(VALU_DEP_1)
	v_xor_b32_e32 v29, 0x80000000, v2
	ds_store_b32 v41, v29
; %bb.715:                              ;   in Loop: Header=BB14_3 Depth=1
	s_or_b32 exec_lo, exec_lo, s42
	s_wait_loadcnt_dscnt 0x0
	s_barrier_signal -1
	s_barrier_wait -1
	s_and_saveexec_b32 s42, s89
	s_cbranch_execz .LBB14_717
; %bb.716:                              ;   in Loop: Header=BB14_3 Depth=1
	ds_load_b32 v29, v3 offset:6496
	ds_load_b32 v32, v41
	s_wait_dscnt 0x0
	v_fma_f32 v2, -v29, v32, v2
.LBB14_717:                             ;   in Loop: Header=BB14_3 Depth=1
	s_or_b32 exec_lo, exec_lo, s42
	s_barrier_signal -1
	s_barrier_wait -1
	s_and_saveexec_b32 s42, s89
; %bb.718:                              ;   in Loop: Header=BB14_3 Depth=1
	v_xor_b32_e32 v29, 0x80000000, v2
	ds_store_b32 v41, v29
; %bb.719:                              ;   in Loop: Header=BB14_3 Depth=1
	s_or_b32 exec_lo, exec_lo, s42
	s_wait_dscnt 0x0
	s_barrier_signal -1
	s_barrier_wait -1
	s_barrier_signal -1
	s_barrier_wait -1
	s_and_saveexec_b32 s42, s2
; %bb.720:                              ;   in Loop: Header=BB14_3 Depth=1
	ds_store_b32 v46, v2 offset:7008
; %bb.721:                              ;   in Loop: Header=BB14_3 Depth=1
	s_or_b32 exec_lo, exec_lo, s42
	s_wait_dscnt 0x0
	s_barrier_signal -1
	s_barrier_wait -1
	s_barrier_signal -1
	s_barrier_wait -1
	s_and_saveexec_b32 s42, s90
	s_cbranch_execz .LBB14_723
; %bb.722:                              ;   in Loop: Header=BB14_3 Depth=1
	ds_load_b32 v2, v38 offset:6752
	s_wait_dscnt 0x0
	ds_store_b32 v37, v2 offset:6248
	ds_load_b32 v2, v38 offset:6756
	s_wait_dscnt 0x0
	ds_store_b32 v37, v2 offset:6504
.LBB14_723:                             ;   in Loop: Header=BB14_3 Depth=1
	s_or_b32 exec_lo, exec_lo, s42
	s_wait_dscnt 0x0
	s_barrier_signal -1
	s_barrier_wait -1
	s_and_saveexec_b32 s42, s11
	s_cbranch_execz .LBB14_725
; %bb.724:                              ;   in Loop: Header=BB14_3 Depth=1
	ds_load_b32 v29, v3 offset:6496
	ds_store_b32 v3, v28 offset:6500
	s_wait_dscnt 0x1
	ds_store_b64 v3, v[28:29] offset:6240
.LBB14_725:                             ;   in Loop: Header=BB14_3 Depth=1
	s_or_b32 exec_lo, exec_lo, s42
	v_mov_b32_e32 v2, 0
	s_wait_dscnt 0x0
	s_barrier_signal -1
	s_barrier_wait -1
	global_wb scope:SCOPE_DEV
	s_wait_storecnt 0x0
	global_inv scope:SCOPE_DEV
	s_and_saveexec_b32 s60, s5
	s_cbranch_execz .LBB14_735
; %bb.726:                              ;   in Loop: Header=BB14_3 Depth=1
	ds_load_b32 v2, v53 offset:6208
	ds_load_b32 v29, v56 offset:8032
	s_wait_dscnt 0x0
	v_fma_f32 v2, v2, v29, 0
	s_and_saveexec_b32 s42, s15
	s_cbranch_execnz .LBB14_1203
; %bb.727:                              ;   in Loop: Header=BB14_3 Depth=1
	s_or_b32 exec_lo, exec_lo, s42
	s_and_saveexec_b32 s42, s16
	s_cbranch_execnz .LBB14_1204
.LBB14_728:                             ;   in Loop: Header=BB14_3 Depth=1
	s_or_b32 exec_lo, exec_lo, s42
	s_and_saveexec_b32 s42, s17
	s_cbranch_execnz .LBB14_1205
.LBB14_729:                             ;   in Loop: Header=BB14_3 Depth=1
	s_or_b32 exec_lo, exec_lo, s42
	s_and_saveexec_b32 s42, s18
	s_cbranch_execnz .LBB14_1206
.LBB14_730:                             ;   in Loop: Header=BB14_3 Depth=1
	s_or_b32 exec_lo, exec_lo, s42
	s_and_saveexec_b32 s42, s19
	s_cbranch_execnz .LBB14_1207
.LBB14_731:                             ;   in Loop: Header=BB14_3 Depth=1
	s_or_b32 exec_lo, exec_lo, s42
	s_and_saveexec_b32 s42, s4
	s_cbranch_execnz .LBB14_1208
.LBB14_732:                             ;   in Loop: Header=BB14_3 Depth=1
	s_or_b32 exec_lo, exec_lo, s42
	s_and_saveexec_b32 s42, s14
	s_cbranch_execz .LBB14_734
.LBB14_733:                             ;   in Loop: Header=BB14_3 Depth=1
	ds_load_b32 v29, v39 offset:8000
	ds_load_b32 v32, v3 offset:8060
	s_wait_dscnt 0x0
	v_fmac_f32_e32 v2, v29, v32
.LBB14_734:                             ;   in Loop: Header=BB14_3 Depth=1
	s_or_b32 exec_lo, exec_lo, s42
.LBB14_735:                             ;   in Loop: Header=BB14_3 Depth=1
	s_delay_alu instid0(SALU_CYCLE_1)
	s_or_b32 exec_lo, exec_lo, s60
	s_and_saveexec_b32 s42, s98
; %bb.736:                              ;   in Loop: Header=BB14_3 Depth=1
	s_delay_alu instid0(VALU_DEP_1)
	v_xor_b32_e32 v29, 0x80000000, v2
	ds_store_b32 v54, v29
; %bb.737:                              ;   in Loop: Header=BB14_3 Depth=1
	s_or_b32 exec_lo, exec_lo, s42
	s_wait_loadcnt_dscnt 0x0
	s_barrier_signal -1
	s_barrier_wait -1
	s_and_saveexec_b32 s42, s99
	s_cbranch_execz .LBB14_739
; %bb.738:                              ;   in Loop: Header=BB14_3 Depth=1
	ds_load_b32 v29, v53 offset:5952
	ds_load_b32 v32, v54
	s_wait_dscnt 0x0
	v_fma_f32 v2, -v29, v32, v2
.LBB14_739:                             ;   in Loop: Header=BB14_3 Depth=1
	s_or_b32 exec_lo, exec_lo, s42
	s_barrier_signal -1
	s_barrier_wait -1
	s_and_saveexec_b32 s42, s100
; %bb.740:                              ;   in Loop: Header=BB14_3 Depth=1
	v_xor_b32_e32 v29, 0x80000000, v2
	ds_store_b32 v54, v29
; %bb.741:                              ;   in Loop: Header=BB14_3 Depth=1
	s_or_b32 exec_lo, exec_lo, s42
	s_wait_dscnt 0x0
	s_barrier_signal -1
	s_barrier_wait -1
	s_and_saveexec_b32 s42, s101
	s_cbranch_execz .LBB14_743
; %bb.742:                              ;   in Loop: Header=BB14_3 Depth=1
	ds_load_b32 v29, v53 offset:5696
	ds_load_b32 v32, v54
	s_wait_dscnt 0x0
	v_fma_f32 v2, -v29, v32, v2
.LBB14_743:                             ;   in Loop: Header=BB14_3 Depth=1
	s_or_b32 exec_lo, exec_lo, s42
	s_barrier_signal -1
	s_barrier_wait -1
	s_and_saveexec_b32 s42, s102
; %bb.744:                              ;   in Loop: Header=BB14_3 Depth=1
	v_xor_b32_e32 v29, 0x80000000, v2
	ds_store_b32 v54, v29
; %bb.745:                              ;   in Loop: Header=BB14_3 Depth=1
	s_or_b32 exec_lo, exec_lo, s42
	s_wait_dscnt 0x0
	;; [unrolled: 20-line block ×3, first 2 shown]
	s_barrier_signal -1
	s_barrier_wait -1
	s_and_saveexec_b32 s42, vcc_hi
	s_cbranch_execz .LBB14_751
; %bb.750:                              ;   in Loop: Header=BB14_3 Depth=1
	ds_load_b32 v29, v53 offset:5184
	ds_load_b32 v32, v54
	s_wait_dscnt 0x0
	v_fma_f32 v2, -v29, v32, v2
.LBB14_751:                             ;   in Loop: Header=BB14_3 Depth=1
	s_or_b32 exec_lo, exec_lo, s42
	s_barrier_signal -1
	s_barrier_wait -1
	s_and_saveexec_b32 s42, s31
; %bb.752:                              ;   in Loop: Header=BB14_3 Depth=1
	v_xor_b32_e32 v29, 0x80000000, v2
	ds_store_b32 v54, v29
; %bb.753:                              ;   in Loop: Header=BB14_3 Depth=1
	s_or_b32 exec_lo, exec_lo, s42
	s_wait_dscnt 0x0
	s_barrier_signal -1
	s_barrier_wait -1
	s_and_saveexec_b32 s42, s33
	s_cbranch_execz .LBB14_755
; %bb.754:                              ;   in Loop: Header=BB14_3 Depth=1
	ds_load_b32 v29, v53 offset:4928
	ds_load_b32 v32, v54
	s_wait_dscnt 0x0
	v_fma_f32 v2, -v29, v32, v2
.LBB14_755:                             ;   in Loop: Header=BB14_3 Depth=1
	s_or_b32 exec_lo, exec_lo, s42
	s_barrier_signal -1
	s_barrier_wait -1
	s_and_saveexec_b32 s42, s34
; %bb.756:                              ;   in Loop: Header=BB14_3 Depth=1
	v_xor_b32_e32 v29, 0x80000000, v2
	ds_store_b32 v54, v29
; %bb.757:                              ;   in Loop: Header=BB14_3 Depth=1
	s_or_b32 exec_lo, exec_lo, s42
	s_wait_dscnt 0x0
	s_barrier_signal -1
	s_barrier_wait -1
	s_and_saveexec_b32 s42, s35
	;; [unrolled: 20-line block ×3, first 2 shown]
	s_cbranch_execz .LBB14_763
; %bb.762:                              ;   in Loop: Header=BB14_3 Depth=1
	ds_load_b32 v29, v3 offset:4416
	ds_load_b32 v32, v54
	s_wait_dscnt 0x0
	v_fma_f32 v2, -v29, v32, v2
.LBB14_763:                             ;   in Loop: Header=BB14_3 Depth=1
	s_or_b32 exec_lo, exec_lo, s42
	s_barrier_signal -1
	s_barrier_wait -1
	s_and_saveexec_b32 s42, s37
; %bb.764:                              ;   in Loop: Header=BB14_3 Depth=1
	v_xor_b32_e32 v29, 0x80000000, v2
	ds_store_b32 v54, v29
; %bb.765:                              ;   in Loop: Header=BB14_3 Depth=1
	s_or_b32 exec_lo, exec_lo, s42
	s_wait_dscnt 0x0
	s_barrier_signal -1
	s_barrier_wait -1
	s_barrier_signal -1
	s_barrier_wait -1
	s_and_saveexec_b32 s42, s5
; %bb.766:                              ;   in Loop: Header=BB14_3 Depth=1
	ds_store_b32 v57, v2 offset:8000
; %bb.767:                              ;   in Loop: Header=BB14_3 Depth=1
	s_or_b32 exec_lo, exec_lo, s42
	s_wait_dscnt 0x0
	s_barrier_signal -1
	s_barrier_wait -1
	s_barrier_signal -1
	s_barrier_wait -1
	s_and_saveexec_b32 s57, s38
	s_cbranch_execz .LBB14_769
; %bb.768:                              ;   in Loop: Header=BB14_3 Depth=1
	ds_load_b32 v2, v40 offset:6208
	s_wait_dscnt 0x0
	ds_store_b32 v42, v2 offset:4192
	ds_load_b32 v2, v40 offset:6212
	s_wait_dscnt 0x0
	ds_store_b32 v42, v2 offset:4448
	;; [unrolled: 3-line block ×8, first 2 shown]
.LBB14_769:                             ;   in Loop: Header=BB14_3 Depth=1
	s_or_b32 exec_lo, exec_lo, s57
	s_wait_dscnt 0x0
	s_barrier_signal -1
	s_barrier_wait -1
	s_and_saveexec_b32 s42, s11
	s_cbranch_execz .LBB14_771
; %bb.770:                              ;   in Loop: Header=BB14_3 Depth=1
	ds_load_b32 v29, v3 offset:5976
	ds_store_b32 v3, v28 offset:5980
	s_wait_dscnt 0x1
	ds_store_b64 v3, v[28:29] offset:5720
.LBB14_771:                             ;   in Loop: Header=BB14_3 Depth=1
	s_or_b32 exec_lo, exec_lo, s42
	v_mov_b32_e32 v2, 0
	s_wait_dscnt 0x0
	s_barrier_signal -1
	s_barrier_wait -1
	global_wb scope:SCOPE_DEV
	s_wait_storecnt 0x0
	global_inv scope:SCOPE_DEV
	s_and_saveexec_b32 s57, s2
	s_cbranch_execz .LBB14_775
; %bb.772:                              ;   in Loop: Header=BB14_3 Depth=1
	ds_load_b32 v2, v43 offset:5712
	ds_load_b32 v29, v44 offset:5976
	s_wait_dscnt 0x0
	v_fma_f32 v2, v2, v29, 0
	s_and_saveexec_b32 s42, s12
	s_cbranch_execz .LBB14_774
; %bb.773:                              ;   in Loop: Header=BB14_3 Depth=1
	ds_load_b32 v29, v42 offset:5968
	ds_load_b32 v32, v3 offset:5980
	s_wait_dscnt 0x0
	v_fmac_f32_e32 v2, v29, v32
.LBB14_774:                             ;   in Loop: Header=BB14_3 Depth=1
	s_or_b32 exec_lo, exec_lo, s42
.LBB14_775:                             ;   in Loop: Header=BB14_3 Depth=1
	s_delay_alu instid0(SALU_CYCLE_1)
	s_or_b32 exec_lo, exec_lo, s57
	s_and_saveexec_b32 s42, s88
; %bb.776:                              ;   in Loop: Header=BB14_3 Depth=1
	s_delay_alu instid0(VALU_DEP_1)
	v_xor_b32_e32 v29, 0x80000000, v2
	ds_store_b32 v41, v29
; %bb.777:                              ;   in Loop: Header=BB14_3 Depth=1
	s_or_b32 exec_lo, exec_lo, s42
	s_wait_loadcnt_dscnt 0x0
	s_barrier_signal -1
	s_barrier_wait -1
	s_and_saveexec_b32 s42, s89
	s_cbranch_execz .LBB14_779
; %bb.778:                              ;   in Loop: Header=BB14_3 Depth=1
	ds_load_b32 v29, v3 offset:5456
	ds_load_b32 v32, v41
	s_wait_dscnt 0x0
	v_fma_f32 v2, -v29, v32, v2
.LBB14_779:                             ;   in Loop: Header=BB14_3 Depth=1
	s_or_b32 exec_lo, exec_lo, s42
	s_barrier_signal -1
	s_barrier_wait -1
	s_and_saveexec_b32 s42, s89
; %bb.780:                              ;   in Loop: Header=BB14_3 Depth=1
	v_xor_b32_e32 v29, 0x80000000, v2
	ds_store_b32 v41, v29
; %bb.781:                              ;   in Loop: Header=BB14_3 Depth=1
	s_or_b32 exec_lo, exec_lo, s42
	s_wait_dscnt 0x0
	s_barrier_signal -1
	s_barrier_wait -1
	s_barrier_signal -1
	s_barrier_wait -1
	s_and_saveexec_b32 s42, s2
; %bb.782:                              ;   in Loop: Header=BB14_3 Depth=1
	ds_store_b32 v46, v2 offset:5968
; %bb.783:                              ;   in Loop: Header=BB14_3 Depth=1
	s_or_b32 exec_lo, exec_lo, s42
	s_wait_dscnt 0x0
	s_barrier_signal -1
	s_barrier_wait -1
	s_barrier_signal -1
	s_barrier_wait -1
	s_and_saveexec_b32 s42, s90
	s_cbranch_execz .LBB14_785
; %bb.784:                              ;   in Loop: Header=BB14_3 Depth=1
	ds_load_b32 v2, v45 offset:5712
	s_wait_dscnt 0x0
	ds_store_b32 v42, v2 offset:5208
	ds_load_b32 v2, v45 offset:5716
	s_wait_dscnt 0x0
	ds_store_b32 v42, v2 offset:5464
.LBB14_785:                             ;   in Loop: Header=BB14_3 Depth=1
	s_or_b32 exec_lo, exec_lo, s42
	s_wait_dscnt 0x0
	s_barrier_signal -1
	s_barrier_wait -1
	s_and_saveexec_b32 s42, s11
	s_cbranch_execz .LBB14_787
; %bb.786:                              ;   in Loop: Header=BB14_3 Depth=1
	ds_load_b32 v29, v3 offset:5456
	ds_store_b32 v3, v28 offset:5460
	s_wait_dscnt 0x1
	ds_store_b64 v3, v[28:29] offset:5200
.LBB14_787:                             ;   in Loop: Header=BB14_3 Depth=1
	s_or_b32 exec_lo, exec_lo, s42
	v_mov_b32_e32 v2, 0
	s_wait_dscnt 0x0
	s_barrier_signal -1
	s_barrier_wait -1
	global_wb scope:SCOPE_DEV
	s_wait_storecnt 0x0
	global_inv scope:SCOPE_DEV
	s_and_saveexec_b32 s60, s4
	s_cbranch_execz .LBB14_793
; %bb.788:                              ;   in Loop: Header=BB14_3 Depth=1
	ds_load_b32 v2, v48 offset:5184
	ds_load_b32 v29, v50 offset:5968
	s_wait_dscnt 0x0
	v_fma_f32 v2, v2, v29, 0
	s_and_saveexec_b32 s42, s13
	s_cbranch_execnz .LBB14_1209
; %bb.789:                              ;   in Loop: Header=BB14_3 Depth=1
	s_or_b32 exec_lo, exec_lo, s42
	s_and_saveexec_b32 s42, s14
	s_cbranch_execnz .LBB14_1210
.LBB14_790:                             ;   in Loop: Header=BB14_3 Depth=1
	s_or_b32 exec_lo, exec_lo, s42
	s_and_saveexec_b32 s42, s2
	s_cbranch_execz .LBB14_792
.LBB14_791:                             ;   in Loop: Header=BB14_3 Depth=1
	ds_load_b32 v29, v49 offset:5952
	ds_load_b32 v32, v3 offset:5980
	s_wait_dscnt 0x0
	v_fmac_f32_e32 v2, v29, v32
.LBB14_792:                             ;   in Loop: Header=BB14_3 Depth=1
	s_or_b32 exec_lo, exec_lo, s42
.LBB14_793:                             ;   in Loop: Header=BB14_3 Depth=1
	s_delay_alu instid0(SALU_CYCLE_1)
	s_or_b32 exec_lo, exec_lo, s60
	s_and_saveexec_b32 s42, s91
; %bb.794:                              ;   in Loop: Header=BB14_3 Depth=1
	s_delay_alu instid0(VALU_DEP_1)
	v_xor_b32_e32 v29, 0x80000000, v2
	ds_store_b32 v47, v29
; %bb.795:                              ;   in Loop: Header=BB14_3 Depth=1
	s_or_b32 exec_lo, exec_lo, s42
	s_wait_loadcnt_dscnt 0x0
	s_barrier_signal -1
	s_barrier_wait -1
	s_and_saveexec_b32 s42, s92
	s_cbranch_execz .LBB14_797
; %bb.796:                              ;   in Loop: Header=BB14_3 Depth=1
	ds_load_b32 v29, v48 offset:4928
	ds_load_b32 v32, v47
	s_wait_dscnt 0x0
	v_fma_f32 v2, -v29, v32, v2
.LBB14_797:                             ;   in Loop: Header=BB14_3 Depth=1
	s_or_b32 exec_lo, exec_lo, s42
	s_barrier_signal -1
	s_barrier_wait -1
	s_and_saveexec_b32 s42, s93
; %bb.798:                              ;   in Loop: Header=BB14_3 Depth=1
	v_xor_b32_e32 v29, 0x80000000, v2
	ds_store_b32 v47, v29
; %bb.799:                              ;   in Loop: Header=BB14_3 Depth=1
	s_or_b32 exec_lo, exec_lo, s42
	s_wait_dscnt 0x0
	s_barrier_signal -1
	s_barrier_wait -1
	s_and_saveexec_b32 s42, s94
	s_cbranch_execz .LBB14_801
; %bb.800:                              ;   in Loop: Header=BB14_3 Depth=1
	ds_load_b32 v29, v48 offset:4672
	ds_load_b32 v32, v47
	s_wait_dscnt 0x0
	v_fma_f32 v2, -v29, v32, v2
.LBB14_801:                             ;   in Loop: Header=BB14_3 Depth=1
	s_or_b32 exec_lo, exec_lo, s42
	s_barrier_signal -1
	s_barrier_wait -1
	s_and_saveexec_b32 s42, s95
; %bb.802:                              ;   in Loop: Header=BB14_3 Depth=1
	v_xor_b32_e32 v29, 0x80000000, v2
	ds_store_b32 v47, v29
; %bb.803:                              ;   in Loop: Header=BB14_3 Depth=1
	s_or_b32 exec_lo, exec_lo, s42
	s_wait_dscnt 0x0
	;; [unrolled: 20-line block ×3, first 2 shown]
	s_barrier_signal -1
	s_barrier_wait -1
	s_barrier_signal -1
	s_barrier_wait -1
	s_and_saveexec_b32 s42, s4
; %bb.808:                              ;   in Loop: Header=BB14_3 Depth=1
	ds_store_b32 v51, v2 offset:5952
; %bb.809:                              ;   in Loop: Header=BB14_3 Depth=1
	s_or_b32 exec_lo, exec_lo, s42
	s_wait_dscnt 0x0
	s_barrier_signal -1
	s_barrier_wait -1
	s_barrier_signal -1
	s_barrier_wait -1
	s_and_saveexec_b32 s57, s97
	s_cbranch_execz .LBB14_811
; %bb.810:                              ;   in Loop: Header=BB14_3 Depth=1
	ds_load_b32 v2, v52 offset:5184
	s_wait_dscnt 0x0
	ds_store_b32 v55, v2 offset:4176
	ds_load_b32 v2, v52 offset:5188
	s_wait_dscnt 0x0
	ds_store_b32 v55, v2 offset:4432
	;; [unrolled: 3-line block ×4, first 2 shown]
.LBB14_811:                             ;   in Loop: Header=BB14_3 Depth=1
	s_or_b32 exec_lo, exec_lo, s57
	s_wait_dscnt 0x0
	s_barrier_signal -1
	s_barrier_wait -1
	s_and_saveexec_b32 s42, s11
	s_cbranch_execz .LBB14_813
; %bb.812:                              ;   in Loop: Header=BB14_3 Depth=1
	ds_load_b32 v29, v3 offset:4936
	ds_store_b32 v3, v28 offset:4940
	s_wait_dscnt 0x1
	ds_store_b64 v3, v[28:29] offset:4680
.LBB14_813:                             ;   in Loop: Header=BB14_3 Depth=1
	s_or_b32 exec_lo, exec_lo, s42
	v_mov_b32_e32 v2, 0
	s_wait_dscnt 0x0
	s_barrier_signal -1
	s_barrier_wait -1
	global_wb scope:SCOPE_DEV
	s_wait_storecnt 0x0
	global_inv scope:SCOPE_DEV
	s_and_saveexec_b32 s57, s2
	s_cbranch_execz .LBB14_817
; %bb.814:                              ;   in Loop: Header=BB14_3 Depth=1
	ds_load_b32 v2, v43 offset:4672
	ds_load_b32 v29, v44 offset:4936
	s_wait_dscnt 0x0
	v_fma_f32 v2, v2, v29, 0
	s_and_saveexec_b32 s42, s12
	s_cbranch_execz .LBB14_816
; %bb.815:                              ;   in Loop: Header=BB14_3 Depth=1
	ds_load_b32 v29, v55 offset:4928
	ds_load_b32 v32, v3 offset:4940
	s_wait_dscnt 0x0
	v_fmac_f32_e32 v2, v29, v32
.LBB14_816:                             ;   in Loop: Header=BB14_3 Depth=1
	s_or_b32 exec_lo, exec_lo, s42
.LBB14_817:                             ;   in Loop: Header=BB14_3 Depth=1
	s_delay_alu instid0(SALU_CYCLE_1)
	s_or_b32 exec_lo, exec_lo, s57
	s_and_saveexec_b32 s42, s88
; %bb.818:                              ;   in Loop: Header=BB14_3 Depth=1
	s_delay_alu instid0(VALU_DEP_1)
	v_xor_b32_e32 v29, 0x80000000, v2
	ds_store_b32 v41, v29
; %bb.819:                              ;   in Loop: Header=BB14_3 Depth=1
	s_or_b32 exec_lo, exec_lo, s42
	s_wait_loadcnt_dscnt 0x0
	s_barrier_signal -1
	s_barrier_wait -1
	s_and_saveexec_b32 s42, s89
	s_cbranch_execz .LBB14_821
; %bb.820:                              ;   in Loop: Header=BB14_3 Depth=1
	ds_load_b32 v29, v3 offset:4416
	ds_load_b32 v32, v41
	s_wait_dscnt 0x0
	v_fma_f32 v2, -v29, v32, v2
.LBB14_821:                             ;   in Loop: Header=BB14_3 Depth=1
	s_or_b32 exec_lo, exec_lo, s42
	s_barrier_signal -1
	s_barrier_wait -1
	s_and_saveexec_b32 s42, s89
; %bb.822:                              ;   in Loop: Header=BB14_3 Depth=1
	v_xor_b32_e32 v29, 0x80000000, v2
	ds_store_b32 v41, v29
; %bb.823:                              ;   in Loop: Header=BB14_3 Depth=1
	s_or_b32 exec_lo, exec_lo, s42
	s_wait_dscnt 0x0
	s_barrier_signal -1
	s_barrier_wait -1
	s_barrier_signal -1
	s_barrier_wait -1
	s_and_saveexec_b32 s42, s2
; %bb.824:                              ;   in Loop: Header=BB14_3 Depth=1
	ds_store_b32 v46, v2 offset:4928
; %bb.825:                              ;   in Loop: Header=BB14_3 Depth=1
	s_or_b32 exec_lo, exec_lo, s42
	s_wait_dscnt 0x0
	s_barrier_signal -1
	s_barrier_wait -1
	s_barrier_signal -1
	s_barrier_wait -1
	s_and_saveexec_b32 s42, s90
	s_cbranch_execz .LBB14_827
; %bb.826:                              ;   in Loop: Header=BB14_3 Depth=1
	ds_load_b32 v2, v58 offset:4672
	s_wait_dscnt 0x0
	ds_store_b32 v55, v2 offset:4168
	ds_load_b32 v2, v58 offset:4676
	s_wait_dscnt 0x0
	ds_store_b32 v55, v2 offset:4424
.LBB14_827:                             ;   in Loop: Header=BB14_3 Depth=1
	s_or_b32 exec_lo, exec_lo, s42
	s_wait_dscnt 0x0
	s_barrier_signal -1
	s_barrier_wait -1
	s_and_saveexec_b32 s42, s11
	s_cbranch_execz .LBB14_829
; %bb.828:                              ;   in Loop: Header=BB14_3 Depth=1
	ds_load_b32 v29, v3 offset:4416
	ds_store_b32 v3, v28 offset:4420
	s_wait_dscnt 0x1
	ds_store_b64 v3, v[28:29] offset:4160
.LBB14_829:                             ;   in Loop: Header=BB14_3 Depth=1
	s_or_b32 exec_lo, exec_lo, s42
	v_mov_b32_e32 v2, 0
	s_wait_dscnt 0x0
	s_barrier_signal -1
	s_barrier_wait -1
	global_wb scope:SCOPE_DEV
	s_wait_storecnt 0x0
	global_inv scope:SCOPE_DEV
	s_and_saveexec_b32 s61, s6
	s_cbranch_execz .LBB14_857
; %bb.830:                              ;   in Loop: Header=BB14_3 Depth=1
	ds_load_b32 v2, v59 offset:4096
	ds_load_b32 v29, v61 offset:8000
	s_wait_dscnt 0x0
	v_fma_f32 v2, v2, v29, 0
	s_mov_b32 s42, exec_lo
	v_readlane_b32 s57, v87, 15
	s_and_b32 s57, s42, s57
	s_delay_alu instid0(SALU_CYCLE_1)
	s_mov_b32 exec_lo, s57
	s_cbranch_execz .LBB14_832
; %bb.831:                              ;   in Loop: Header=BB14_3 Depth=1
	ds_load_b32 v29, v59 offset:4352
	ds_load_b32 v32, v61 offset:8004
	s_wait_dscnt 0x0
	v_fmac_f32_e32 v2, v29, v32
.LBB14_832:                             ;   in Loop: Header=BB14_3 Depth=1
	s_or_b32 exec_lo, exec_lo, s42
	s_delay_alu instid0(SALU_CYCLE_1) | instskip(SKIP_2) | instid1(SALU_CYCLE_1)
	s_mov_b32 s42, exec_lo
	v_readlane_b32 s57, v87, 16
	s_and_b32 s57, s42, s57
	s_mov_b32 exec_lo, s57
	s_cbranch_execz .LBB14_834
; %bb.833:                              ;   in Loop: Header=BB14_3 Depth=1
	ds_load_b32 v29, v59 offset:4608
	ds_load_b32 v32, v61 offset:8008
	s_wait_dscnt 0x0
	v_fmac_f32_e32 v2, v29, v32
.LBB14_834:                             ;   in Loop: Header=BB14_3 Depth=1
	s_or_b32 exec_lo, exec_lo, s42
	s_delay_alu instid0(SALU_CYCLE_1) | instskip(SKIP_2) | instid1(SALU_CYCLE_1)
	s_mov_b32 s42, exec_lo
	v_readlane_b32 s57, v87, 17
	s_and_b32 s57, s42, s57
	;; [unrolled: 13-line block ×10, first 2 shown]
	s_mov_b32 exec_lo, s57
	s_cbranch_execnz .LBB14_1211
; %bb.851:                              ;   in Loop: Header=BB14_3 Depth=1
	s_or_b32 exec_lo, exec_lo, s42
	s_and_saveexec_b32 s42, s5
	s_cbranch_execnz .LBB14_1212
.LBB14_852:                             ;   in Loop: Header=BB14_3 Depth=1
	s_or_b32 exec_lo, exec_lo, s42
	s_and_saveexec_b32 s42, s16
	s_cbranch_execnz .LBB14_1213
.LBB14_853:                             ;   in Loop: Header=BB14_3 Depth=1
	s_or_b32 exec_lo, exec_lo, s42
	s_and_saveexec_b32 s42, s18
	s_cbranch_execnz .LBB14_1214
.LBB14_854:                             ;   in Loop: Header=BB14_3 Depth=1
	s_or_b32 exec_lo, exec_lo, s42
	s_and_saveexec_b32 s42, s4
	s_cbranch_execz .LBB14_856
.LBB14_855:                             ;   in Loop: Header=BB14_3 Depth=1
	ds_load_b32 v29, v9 offset:7936
	ds_load_b32 v32, v3 offset:8060
	s_wait_dscnt 0x0
	v_fmac_f32_e32 v2, v29, v32
.LBB14_856:                             ;   in Loop: Header=BB14_3 Depth=1
	s_or_b32 exec_lo, exec_lo, s42
.LBB14_857:                             ;   in Loop: Header=BB14_3 Depth=1
	s_delay_alu instid0(SALU_CYCLE_1) | instskip(NEXT) | instid1(SALU_CYCLE_1)
	s_or_b32 exec_lo, exec_lo, s61
	s_mov_b32 s42, exec_lo
	v_readlane_b32 s57, v89, 2
	s_and_b32 s57, s42, s57
	s_delay_alu instid0(SALU_CYCLE_1)
	s_mov_b32 exec_lo, s57
; %bb.858:                              ;   in Loop: Header=BB14_3 Depth=1
	v_xor_b32_e32 v29, 0x80000000, v2
	ds_store_b32 v60, v29
; %bb.859:                              ;   in Loop: Header=BB14_3 Depth=1
	s_or_b32 exec_lo, exec_lo, s42
	s_wait_loadcnt_dscnt 0x0
	s_barrier_signal -1
	s_barrier_wait -1
	s_mov_b32 s42, exec_lo
	v_readlane_b32 s57, v89, 3
	s_and_b32 s57, s42, s57
	s_delay_alu instid0(SALU_CYCLE_1)
	s_mov_b32 exec_lo, s57
	s_cbranch_execz .LBB14_861
; %bb.860:                              ;   in Loop: Header=BB14_3 Depth=1
	ds_load_b32 v29, v59 offset:3840
	ds_load_b32 v32, v60
	s_wait_dscnt 0x0
	v_fma_f32 v2, -v29, v32, v2
.LBB14_861:                             ;   in Loop: Header=BB14_3 Depth=1
	s_or_b32 exec_lo, exec_lo, s42
	s_barrier_signal -1
	s_barrier_wait -1
	s_mov_b32 s42, exec_lo
	v_readlane_b32 s57, v89, 4
	s_and_b32 s57, s42, s57
	s_delay_alu instid0(SALU_CYCLE_1)
	s_mov_b32 exec_lo, s57
; %bb.862:                              ;   in Loop: Header=BB14_3 Depth=1
	v_xor_b32_e32 v29, 0x80000000, v2
	ds_store_b32 v60, v29
; %bb.863:                              ;   in Loop: Header=BB14_3 Depth=1
	s_or_b32 exec_lo, exec_lo, s42
	s_wait_dscnt 0x0
	s_barrier_signal -1
	s_barrier_wait -1
	s_mov_b32 s42, exec_lo
	v_readlane_b32 s57, v89, 5
	s_and_b32 s57, s42, s57
	s_delay_alu instid0(SALU_CYCLE_1)
	s_mov_b32 exec_lo, s57
	s_cbranch_execz .LBB14_865
; %bb.864:                              ;   in Loop: Header=BB14_3 Depth=1
	ds_load_b32 v29, v59 offset:3584
	ds_load_b32 v32, v60
	s_wait_dscnt 0x0
	v_fma_f32 v2, -v29, v32, v2
.LBB14_865:                             ;   in Loop: Header=BB14_3 Depth=1
	s_or_b32 exec_lo, exec_lo, s42
	s_barrier_signal -1
	s_barrier_wait -1
	s_and_saveexec_b32 s42, s43
; %bb.866:                              ;   in Loop: Header=BB14_3 Depth=1
	v_xor_b32_e32 v29, 0x80000000, v2
	ds_store_b32 v60, v29
; %bb.867:                              ;   in Loop: Header=BB14_3 Depth=1
	s_or_b32 exec_lo, exec_lo, s42
	s_wait_dscnt 0x0
	s_barrier_signal -1
	s_barrier_wait -1
	s_and_saveexec_b32 s42, s44
	s_cbranch_execz .LBB14_869
; %bb.868:                              ;   in Loop: Header=BB14_3 Depth=1
	ds_load_b32 v29, v59 offset:3328
	ds_load_b32 v32, v60
	s_wait_dscnt 0x0
	v_fma_f32 v2, -v29, v32, v2
.LBB14_869:                             ;   in Loop: Header=BB14_3 Depth=1
	s_or_b32 exec_lo, exec_lo, s42
	s_barrier_signal -1
	s_barrier_wait -1
	s_and_saveexec_b32 s42, s45
; %bb.870:                              ;   in Loop: Header=BB14_3 Depth=1
	v_xor_b32_e32 v29, 0x80000000, v2
	ds_store_b32 v60, v29
; %bb.871:                              ;   in Loop: Header=BB14_3 Depth=1
	s_or_b32 exec_lo, exec_lo, s42
	s_wait_dscnt 0x0
	s_barrier_signal -1
	s_barrier_wait -1
	s_and_saveexec_b32 s42, s46
	;; [unrolled: 20-line block ×13, first 2 shown]
	s_cbranch_execz .LBB14_917
; %bb.916:                              ;   in Loop: Header=BB14_3 Depth=1
	ds_load_b32 v29, v3 offset:256
	ds_load_b32 v32, v60
	s_wait_dscnt 0x0
	v_fma_f32 v2, -v29, v32, v2
.LBB14_917:                             ;   in Loop: Header=BB14_3 Depth=1
	s_or_b32 exec_lo, exec_lo, s42
	s_barrier_signal -1
	s_barrier_wait -1
	s_and_saveexec_b32 s42, s85
; %bb.918:                              ;   in Loop: Header=BB14_3 Depth=1
	v_xor_b32_e32 v29, 0x80000000, v2
	ds_store_b32 v60, v29
; %bb.919:                              ;   in Loop: Header=BB14_3 Depth=1
	s_or_b32 exec_lo, exec_lo, s42
	s_wait_dscnt 0x0
	s_barrier_signal -1
	s_barrier_wait -1
	s_barrier_signal -1
	s_barrier_wait -1
	s_and_saveexec_b32 s42, s6
; %bb.920:                              ;   in Loop: Header=BB14_3 Depth=1
	ds_store_b32 v63, v2 offset:7936
; %bb.921:                              ;   in Loop: Header=BB14_3 Depth=1
	s_or_b32 exec_lo, exec_lo, s42
	s_wait_dscnt 0x0
	s_barrier_signal -1
	s_barrier_wait -1
	s_barrier_signal -1
	s_barrier_wait -1
	s_and_saveexec_b32 s60, s82
	s_cbranch_execz .LBB14_923
; %bb.922:                              ;   in Loop: Header=BB14_3 Depth=1
	ds_load_b32 v2, v34 offset:4096
	s_wait_dscnt 0x0
	ds_store_b32 v35, v2 offset:64
	ds_load_b32 v2, v34 offset:4100
	s_wait_dscnt 0x0
	ds_store_b32 v35, v2 offset:320
	;; [unrolled: 3-line block ×16, first 2 shown]
.LBB14_923:                             ;   in Loop: Header=BB14_3 Depth=1
	s_or_b32 exec_lo, exec_lo, s60
	s_wait_dscnt 0x0
	s_barrier_signal -1
	s_barrier_wait -1
	s_and_saveexec_b32 s42, s11
	s_cbranch_execz .LBB14_925
; %bb.924:                              ;   in Loop: Header=BB14_3 Depth=1
	ds_load_b32 v29, v3 offset:3896
	ds_store_b32 v3, v28 offset:3900
	s_wait_dscnt 0x1
	ds_store_b64 v3, v[28:29] offset:3640
.LBB14_925:                             ;   in Loop: Header=BB14_3 Depth=1
	s_or_b32 exec_lo, exec_lo, s42
	v_mov_b32_e32 v2, 0
	s_wait_dscnt 0x0
	s_barrier_signal -1
	s_barrier_wait -1
	global_wb scope:SCOPE_DEV
	s_wait_storecnt 0x0
	global_inv scope:SCOPE_DEV
	s_and_saveexec_b32 s57, s2
	s_cbranch_execz .LBB14_929
; %bb.926:                              ;   in Loop: Header=BB14_3 Depth=1
	ds_load_b32 v2, v43 offset:3632
	ds_load_b32 v29, v44 offset:3896
	s_wait_dscnt 0x0
	v_fma_f32 v2, v2, v29, 0
	s_and_saveexec_b32 s42, s12
	s_cbranch_execz .LBB14_928
; %bb.927:                              ;   in Loop: Header=BB14_3 Depth=1
	ds_load_b32 v29, v9 offset:3888
	ds_load_b32 v32, v3 offset:3900
	s_wait_dscnt 0x0
	v_fmac_f32_e32 v2, v29, v32
.LBB14_928:                             ;   in Loop: Header=BB14_3 Depth=1
	s_or_b32 exec_lo, exec_lo, s42
.LBB14_929:                             ;   in Loop: Header=BB14_3 Depth=1
	s_delay_alu instid0(SALU_CYCLE_1)
	s_or_b32 exec_lo, exec_lo, s57
	s_and_saveexec_b32 s42, s88
; %bb.930:                              ;   in Loop: Header=BB14_3 Depth=1
	s_delay_alu instid0(VALU_DEP_1)
	v_xor_b32_e32 v29, 0x80000000, v2
	ds_store_b32 v41, v29
; %bb.931:                              ;   in Loop: Header=BB14_3 Depth=1
	s_or_b32 exec_lo, exec_lo, s42
	s_wait_loadcnt_dscnt 0x0
	s_barrier_signal -1
	s_barrier_wait -1
	s_and_saveexec_b32 s42, s89
	s_cbranch_execz .LBB14_933
; %bb.932:                              ;   in Loop: Header=BB14_3 Depth=1
	ds_load_b32 v29, v3 offset:3376
	ds_load_b32 v32, v41
	s_wait_dscnt 0x0
	v_fma_f32 v2, -v29, v32, v2
.LBB14_933:                             ;   in Loop: Header=BB14_3 Depth=1
	s_or_b32 exec_lo, exec_lo, s42
	s_barrier_signal -1
	s_barrier_wait -1
	s_and_saveexec_b32 s42, s89
; %bb.934:                              ;   in Loop: Header=BB14_3 Depth=1
	v_xor_b32_e32 v29, 0x80000000, v2
	ds_store_b32 v41, v29
; %bb.935:                              ;   in Loop: Header=BB14_3 Depth=1
	s_or_b32 exec_lo, exec_lo, s42
	s_wait_dscnt 0x0
	s_barrier_signal -1
	s_barrier_wait -1
	s_barrier_signal -1
	s_barrier_wait -1
	s_and_saveexec_b32 s42, s2
; %bb.936:                              ;   in Loop: Header=BB14_3 Depth=1
	ds_store_b32 v46, v2 offset:3888
; %bb.937:                              ;   in Loop: Header=BB14_3 Depth=1
	s_or_b32 exec_lo, exec_lo, s42
	s_wait_dscnt 0x0
	s_barrier_signal -1
	s_barrier_wait -1
	s_barrier_signal -1
	s_barrier_wait -1
	s_and_saveexec_b32 s42, s90
	s_cbranch_execz .LBB14_939
; %bb.938:                              ;   in Loop: Header=BB14_3 Depth=1
	ds_load_b32 v2, v34 offset:3632
	s_wait_dscnt 0x0
	ds_store_b32 v9, v2 offset:3128
	ds_load_b32 v2, v34 offset:3636
	s_wait_dscnt 0x0
	ds_store_b32 v9, v2 offset:3384
.LBB14_939:                             ;   in Loop: Header=BB14_3 Depth=1
	s_or_b32 exec_lo, exec_lo, s42
	s_wait_dscnt 0x0
	s_barrier_signal -1
	s_barrier_wait -1
	s_and_saveexec_b32 s42, s11
	s_cbranch_execz .LBB14_941
; %bb.940:                              ;   in Loop: Header=BB14_3 Depth=1
	ds_load_b32 v29, v3 offset:3376
	ds_store_b32 v3, v28 offset:3380
	s_wait_dscnt 0x1
	ds_store_b64 v3, v[28:29] offset:3120
.LBB14_941:                             ;   in Loop: Header=BB14_3 Depth=1
	s_or_b32 exec_lo, exec_lo, s42
	v_mov_b32_e32 v2, 0
	s_wait_dscnt 0x0
	s_barrier_signal -1
	s_barrier_wait -1
	global_wb scope:SCOPE_DEV
	s_wait_storecnt 0x0
	global_inv scope:SCOPE_DEV
	s_and_saveexec_b32 s60, s4
	s_cbranch_execz .LBB14_947
; %bb.942:                              ;   in Loop: Header=BB14_3 Depth=1
	ds_load_b32 v2, v48 offset:3104
	ds_load_b32 v29, v50 offset:3888
	s_wait_dscnt 0x0
	v_fma_f32 v2, v2, v29, 0
	s_and_saveexec_b32 s42, s13
	s_cbranch_execnz .LBB14_1215
; %bb.943:                              ;   in Loop: Header=BB14_3 Depth=1
	s_or_b32 exec_lo, exec_lo, s42
	s_and_saveexec_b32 s42, s14
	s_cbranch_execnz .LBB14_1216
.LBB14_944:                             ;   in Loop: Header=BB14_3 Depth=1
	s_or_b32 exec_lo, exec_lo, s42
	s_and_saveexec_b32 s42, s2
	s_cbranch_execz .LBB14_946
.LBB14_945:                             ;   in Loop: Header=BB14_3 Depth=1
	ds_load_b32 v29, v35 offset:3872
	ds_load_b32 v32, v3 offset:3900
	s_wait_dscnt 0x0
	v_fmac_f32_e32 v2, v29, v32
.LBB14_946:                             ;   in Loop: Header=BB14_3 Depth=1
	s_or_b32 exec_lo, exec_lo, s42
.LBB14_947:                             ;   in Loop: Header=BB14_3 Depth=1
	s_delay_alu instid0(SALU_CYCLE_1)
	s_or_b32 exec_lo, exec_lo, s60
	s_and_saveexec_b32 s42, s91
; %bb.948:                              ;   in Loop: Header=BB14_3 Depth=1
	s_delay_alu instid0(VALU_DEP_1)
	v_xor_b32_e32 v29, 0x80000000, v2
	ds_store_b32 v47, v29
; %bb.949:                              ;   in Loop: Header=BB14_3 Depth=1
	s_or_b32 exec_lo, exec_lo, s42
	s_wait_loadcnt_dscnt 0x0
	s_barrier_signal -1
	s_barrier_wait -1
	s_and_saveexec_b32 s42, s92
	s_cbranch_execz .LBB14_951
; %bb.950:                              ;   in Loop: Header=BB14_3 Depth=1
	ds_load_b32 v29, v48 offset:2848
	ds_load_b32 v32, v47
	s_wait_dscnt 0x0
	v_fma_f32 v2, -v29, v32, v2
.LBB14_951:                             ;   in Loop: Header=BB14_3 Depth=1
	s_or_b32 exec_lo, exec_lo, s42
	s_barrier_signal -1
	s_barrier_wait -1
	s_and_saveexec_b32 s42, s93
; %bb.952:                              ;   in Loop: Header=BB14_3 Depth=1
	v_xor_b32_e32 v29, 0x80000000, v2
	ds_store_b32 v47, v29
; %bb.953:                              ;   in Loop: Header=BB14_3 Depth=1
	s_or_b32 exec_lo, exec_lo, s42
	s_wait_dscnt 0x0
	s_barrier_signal -1
	s_barrier_wait -1
	s_and_saveexec_b32 s42, s94
	s_cbranch_execz .LBB14_955
; %bb.954:                              ;   in Loop: Header=BB14_3 Depth=1
	ds_load_b32 v29, v48 offset:2592
	ds_load_b32 v32, v47
	s_wait_dscnt 0x0
	v_fma_f32 v2, -v29, v32, v2
.LBB14_955:                             ;   in Loop: Header=BB14_3 Depth=1
	s_or_b32 exec_lo, exec_lo, s42
	s_barrier_signal -1
	s_barrier_wait -1
	s_and_saveexec_b32 s42, s95
; %bb.956:                              ;   in Loop: Header=BB14_3 Depth=1
	v_xor_b32_e32 v29, 0x80000000, v2
	ds_store_b32 v47, v29
; %bb.957:                              ;   in Loop: Header=BB14_3 Depth=1
	s_or_b32 exec_lo, exec_lo, s42
	s_wait_dscnt 0x0
	;; [unrolled: 20-line block ×3, first 2 shown]
	s_barrier_signal -1
	s_barrier_wait -1
	s_barrier_signal -1
	s_barrier_wait -1
	s_and_saveexec_b32 s42, s4
; %bb.962:                              ;   in Loop: Header=BB14_3 Depth=1
	ds_store_b32 v51, v2 offset:3872
; %bb.963:                              ;   in Loop: Header=BB14_3 Depth=1
	s_or_b32 exec_lo, exec_lo, s42
	s_wait_dscnt 0x0
	s_barrier_signal -1
	s_barrier_wait -1
	s_barrier_signal -1
	s_barrier_wait -1
	s_and_saveexec_b32 s57, s97
	s_cbranch_execz .LBB14_965
; %bb.964:                              ;   in Loop: Header=BB14_3 Depth=1
	ds_load_b32 v2, v36 offset:3104
	s_wait_dscnt 0x0
	ds_store_b32 v37, v2 offset:2096
	ds_load_b32 v2, v36 offset:3108
	s_wait_dscnt 0x0
	ds_store_b32 v37, v2 offset:2352
	;; [unrolled: 3-line block ×4, first 2 shown]
.LBB14_965:                             ;   in Loop: Header=BB14_3 Depth=1
	s_or_b32 exec_lo, exec_lo, s57
	s_wait_dscnt 0x0
	s_barrier_signal -1
	s_barrier_wait -1
	s_and_saveexec_b32 s42, s11
	s_cbranch_execz .LBB14_967
; %bb.966:                              ;   in Loop: Header=BB14_3 Depth=1
	ds_load_b32 v29, v3 offset:2856
	ds_store_b32 v3, v28 offset:2860
	s_wait_dscnt 0x1
	ds_store_b64 v3, v[28:29] offset:2600
.LBB14_967:                             ;   in Loop: Header=BB14_3 Depth=1
	s_or_b32 exec_lo, exec_lo, s42
	v_mov_b32_e32 v2, 0
	s_wait_dscnt 0x0
	s_barrier_signal -1
	s_barrier_wait -1
	global_wb scope:SCOPE_DEV
	s_wait_storecnt 0x0
	global_inv scope:SCOPE_DEV
	s_and_saveexec_b32 s57, s2
	s_cbranch_execz .LBB14_971
; %bb.968:                              ;   in Loop: Header=BB14_3 Depth=1
	ds_load_b32 v2, v43 offset:2592
	ds_load_b32 v29, v44 offset:2856
	s_wait_dscnt 0x0
	v_fma_f32 v2, v2, v29, 0
	s_and_saveexec_b32 s42, s12
	s_cbranch_execz .LBB14_970
; %bb.969:                              ;   in Loop: Header=BB14_3 Depth=1
	ds_load_b32 v29, v37 offset:2848
	ds_load_b32 v32, v3 offset:2860
	s_wait_dscnt 0x0
	v_fmac_f32_e32 v2, v29, v32
.LBB14_970:                             ;   in Loop: Header=BB14_3 Depth=1
	s_or_b32 exec_lo, exec_lo, s42
.LBB14_971:                             ;   in Loop: Header=BB14_3 Depth=1
	s_delay_alu instid0(SALU_CYCLE_1)
	s_or_b32 exec_lo, exec_lo, s57
	s_and_saveexec_b32 s42, s88
; %bb.972:                              ;   in Loop: Header=BB14_3 Depth=1
	s_delay_alu instid0(VALU_DEP_1)
	v_xor_b32_e32 v29, 0x80000000, v2
	ds_store_b32 v41, v29
; %bb.973:                              ;   in Loop: Header=BB14_3 Depth=1
	s_or_b32 exec_lo, exec_lo, s42
	s_wait_loadcnt_dscnt 0x0
	s_barrier_signal -1
	s_barrier_wait -1
	s_and_saveexec_b32 s42, s89
	s_cbranch_execz .LBB14_975
; %bb.974:                              ;   in Loop: Header=BB14_3 Depth=1
	ds_load_b32 v29, v3 offset:2336
	ds_load_b32 v32, v41
	s_wait_dscnt 0x0
	v_fma_f32 v2, -v29, v32, v2
.LBB14_975:                             ;   in Loop: Header=BB14_3 Depth=1
	s_or_b32 exec_lo, exec_lo, s42
	s_barrier_signal -1
	s_barrier_wait -1
	s_and_saveexec_b32 s42, s89
; %bb.976:                              ;   in Loop: Header=BB14_3 Depth=1
	v_xor_b32_e32 v29, 0x80000000, v2
	ds_store_b32 v41, v29
; %bb.977:                              ;   in Loop: Header=BB14_3 Depth=1
	s_or_b32 exec_lo, exec_lo, s42
	s_wait_dscnt 0x0
	s_barrier_signal -1
	s_barrier_wait -1
	s_barrier_signal -1
	s_barrier_wait -1
	s_and_saveexec_b32 s42, s2
; %bb.978:                              ;   in Loop: Header=BB14_3 Depth=1
	ds_store_b32 v46, v2 offset:2848
; %bb.979:                              ;   in Loop: Header=BB14_3 Depth=1
	s_or_b32 exec_lo, exec_lo, s42
	s_wait_dscnt 0x0
	s_barrier_signal -1
	s_barrier_wait -1
	s_barrier_signal -1
	s_barrier_wait -1
	s_and_saveexec_b32 s42, s90
	s_cbranch_execz .LBB14_981
; %bb.980:                              ;   in Loop: Header=BB14_3 Depth=1
	ds_load_b32 v2, v38 offset:2592
	s_wait_dscnt 0x0
	ds_store_b32 v37, v2 offset:2088
	ds_load_b32 v2, v38 offset:2596
	s_wait_dscnt 0x0
	ds_store_b32 v37, v2 offset:2344
.LBB14_981:                             ;   in Loop: Header=BB14_3 Depth=1
	s_or_b32 exec_lo, exec_lo, s42
	s_wait_dscnt 0x0
	s_barrier_signal -1
	s_barrier_wait -1
	s_and_saveexec_b32 s42, s11
	s_cbranch_execz .LBB14_983
; %bb.982:                              ;   in Loop: Header=BB14_3 Depth=1
	ds_load_b32 v29, v3 offset:2336
	ds_store_b32 v3, v28 offset:2340
	s_wait_dscnt 0x1
	ds_store_b64 v3, v[28:29] offset:2080
.LBB14_983:                             ;   in Loop: Header=BB14_3 Depth=1
	s_or_b32 exec_lo, exec_lo, s42
	v_mov_b32_e32 v2, 0
	s_wait_dscnt 0x0
	s_barrier_signal -1
	s_barrier_wait -1
	global_wb scope:SCOPE_DEV
	s_wait_storecnt 0x0
	global_inv scope:SCOPE_DEV
	s_and_saveexec_b32 s60, s5
	s_cbranch_execz .LBB14_993
; %bb.984:                              ;   in Loop: Header=BB14_3 Depth=1
	ds_load_b32 v2, v53 offset:2048
	ds_load_b32 v29, v56 offset:3872
	s_wait_dscnt 0x0
	v_fma_f32 v2, v2, v29, 0
	s_and_saveexec_b32 s42, s15
	s_cbranch_execnz .LBB14_1217
; %bb.985:                              ;   in Loop: Header=BB14_3 Depth=1
	s_or_b32 exec_lo, exec_lo, s42
	s_and_saveexec_b32 s42, s16
	s_cbranch_execnz .LBB14_1218
.LBB14_986:                             ;   in Loop: Header=BB14_3 Depth=1
	s_or_b32 exec_lo, exec_lo, s42
	s_and_saveexec_b32 s42, s17
	s_cbranch_execnz .LBB14_1219
.LBB14_987:                             ;   in Loop: Header=BB14_3 Depth=1
	s_or_b32 exec_lo, exec_lo, s42
	s_and_saveexec_b32 s42, s18
	s_cbranch_execnz .LBB14_1220
.LBB14_988:                             ;   in Loop: Header=BB14_3 Depth=1
	s_or_b32 exec_lo, exec_lo, s42
	s_and_saveexec_b32 s42, s19
	s_cbranch_execnz .LBB14_1221
.LBB14_989:                             ;   in Loop: Header=BB14_3 Depth=1
	s_or_b32 exec_lo, exec_lo, s42
	s_and_saveexec_b32 s42, s4
	s_cbranch_execnz .LBB14_1222
.LBB14_990:                             ;   in Loop: Header=BB14_3 Depth=1
	s_or_b32 exec_lo, exec_lo, s42
	s_and_saveexec_b32 s42, s14
	s_cbranch_execz .LBB14_992
.LBB14_991:                             ;   in Loop: Header=BB14_3 Depth=1
	ds_load_b32 v29, v39 offset:3840
	ds_load_b32 v32, v3 offset:3900
	s_wait_dscnt 0x0
	v_fmac_f32_e32 v2, v29, v32
.LBB14_992:                             ;   in Loop: Header=BB14_3 Depth=1
	s_or_b32 exec_lo, exec_lo, s42
.LBB14_993:                             ;   in Loop: Header=BB14_3 Depth=1
	s_delay_alu instid0(SALU_CYCLE_1)
	s_or_b32 exec_lo, exec_lo, s60
	s_and_saveexec_b32 s42, s98
; %bb.994:                              ;   in Loop: Header=BB14_3 Depth=1
	s_delay_alu instid0(VALU_DEP_1)
	v_xor_b32_e32 v29, 0x80000000, v2
	ds_store_b32 v54, v29
; %bb.995:                              ;   in Loop: Header=BB14_3 Depth=1
	s_or_b32 exec_lo, exec_lo, s42
	s_wait_loadcnt_dscnt 0x0
	s_barrier_signal -1
	s_barrier_wait -1
	s_and_saveexec_b32 s42, s99
	s_cbranch_execz .LBB14_997
; %bb.996:                              ;   in Loop: Header=BB14_3 Depth=1
	ds_load_b32 v29, v53 offset:1792
	ds_load_b32 v32, v54
	s_wait_dscnt 0x0
	v_fma_f32 v2, -v29, v32, v2
.LBB14_997:                             ;   in Loop: Header=BB14_3 Depth=1
	s_or_b32 exec_lo, exec_lo, s42
	s_barrier_signal -1
	s_barrier_wait -1
	s_and_saveexec_b32 s42, s100
; %bb.998:                              ;   in Loop: Header=BB14_3 Depth=1
	v_xor_b32_e32 v29, 0x80000000, v2
	ds_store_b32 v54, v29
; %bb.999:                              ;   in Loop: Header=BB14_3 Depth=1
	s_or_b32 exec_lo, exec_lo, s42
	s_wait_dscnt 0x0
	s_barrier_signal -1
	s_barrier_wait -1
	s_and_saveexec_b32 s42, s101
	s_cbranch_execz .LBB14_1001
; %bb.1000:                             ;   in Loop: Header=BB14_3 Depth=1
	ds_load_b32 v29, v53 offset:1536
	ds_load_b32 v32, v54
	s_wait_dscnt 0x0
	v_fma_f32 v2, -v29, v32, v2
.LBB14_1001:                            ;   in Loop: Header=BB14_3 Depth=1
	s_or_b32 exec_lo, exec_lo, s42
	s_barrier_signal -1
	s_barrier_wait -1
	s_and_saveexec_b32 s42, s102
; %bb.1002:                             ;   in Loop: Header=BB14_3 Depth=1
	v_xor_b32_e32 v29, 0x80000000, v2
	ds_store_b32 v54, v29
; %bb.1003:                             ;   in Loop: Header=BB14_3 Depth=1
	s_or_b32 exec_lo, exec_lo, s42
	s_wait_dscnt 0x0
	s_barrier_signal -1
	s_barrier_wait -1
	s_and_saveexec_b32 s42, s103
	s_cbranch_execz .LBB14_1005
; %bb.1004:                             ;   in Loop: Header=BB14_3 Depth=1
	ds_load_b32 v29, v53 offset:1280
	ds_load_b32 v32, v54
	s_wait_dscnt 0x0
	v_fma_f32 v2, -v29, v32, v2
.LBB14_1005:                            ;   in Loop: Header=BB14_3 Depth=1
	s_or_b32 exec_lo, exec_lo, s42
	s_barrier_signal -1
	s_barrier_wait -1
	s_and_saveexec_b32 s42, s104
; %bb.1006:                             ;   in Loop: Header=BB14_3 Depth=1
	v_xor_b32_e32 v29, 0x80000000, v2
	ds_store_b32 v54, v29
; %bb.1007:                             ;   in Loop: Header=BB14_3 Depth=1
	s_or_b32 exec_lo, exec_lo, s42
	s_wait_dscnt 0x0
	s_barrier_signal -1
	s_barrier_wait -1
	s_and_saveexec_b32 s42, vcc_hi
	s_cbranch_execz .LBB14_1009
; %bb.1008:                             ;   in Loop: Header=BB14_3 Depth=1
	ds_load_b32 v29, v53 offset:1024
	ds_load_b32 v32, v54
	s_wait_dscnt 0x0
	v_fma_f32 v2, -v29, v32, v2
.LBB14_1009:                            ;   in Loop: Header=BB14_3 Depth=1
	s_or_b32 exec_lo, exec_lo, s42
	s_barrier_signal -1
	s_barrier_wait -1
	s_and_saveexec_b32 s42, s31
; %bb.1010:                             ;   in Loop: Header=BB14_3 Depth=1
	v_xor_b32_e32 v29, 0x80000000, v2
	ds_store_b32 v54, v29
; %bb.1011:                             ;   in Loop: Header=BB14_3 Depth=1
	s_or_b32 exec_lo, exec_lo, s42
	s_wait_dscnt 0x0
	s_barrier_signal -1
	s_barrier_wait -1
	s_and_saveexec_b32 s42, s33
	s_cbranch_execz .LBB14_1013
; %bb.1012:                             ;   in Loop: Header=BB14_3 Depth=1
	ds_load_b32 v29, v53 offset:768
	ds_load_b32 v32, v54
	s_wait_dscnt 0x0
	v_fma_f32 v2, -v29, v32, v2
.LBB14_1013:                            ;   in Loop: Header=BB14_3 Depth=1
	s_or_b32 exec_lo, exec_lo, s42
	s_barrier_signal -1
	s_barrier_wait -1
	s_and_saveexec_b32 s42, s34
; %bb.1014:                             ;   in Loop: Header=BB14_3 Depth=1
	v_xor_b32_e32 v29, 0x80000000, v2
	ds_store_b32 v54, v29
; %bb.1015:                             ;   in Loop: Header=BB14_3 Depth=1
	s_or_b32 exec_lo, exec_lo, s42
	s_wait_dscnt 0x0
	s_barrier_signal -1
	s_barrier_wait -1
	s_and_saveexec_b32 s42, s35
	;; [unrolled: 20-line block ×3, first 2 shown]
	s_cbranch_execz .LBB14_1021
; %bb.1020:                             ;   in Loop: Header=BB14_3 Depth=1
	ds_load_b32 v29, v3 offset:256
	ds_load_b32 v32, v54
	s_wait_dscnt 0x0
	v_fma_f32 v2, -v29, v32, v2
.LBB14_1021:                            ;   in Loop: Header=BB14_3 Depth=1
	s_or_b32 exec_lo, exec_lo, s42
	s_barrier_signal -1
	s_barrier_wait -1
	s_and_saveexec_b32 s42, s37
; %bb.1022:                             ;   in Loop: Header=BB14_3 Depth=1
	v_xor_b32_e32 v29, 0x80000000, v2
	ds_store_b32 v54, v29
; %bb.1023:                             ;   in Loop: Header=BB14_3 Depth=1
	s_or_b32 exec_lo, exec_lo, s42
	s_wait_dscnt 0x0
	s_barrier_signal -1
	s_barrier_wait -1
	s_barrier_signal -1
	s_barrier_wait -1
	s_and_saveexec_b32 s42, s5
; %bb.1024:                             ;   in Loop: Header=BB14_3 Depth=1
	ds_store_b32 v57, v2 offset:3840
; %bb.1025:                             ;   in Loop: Header=BB14_3 Depth=1
	s_or_b32 exec_lo, exec_lo, s42
	s_wait_dscnt 0x0
	s_barrier_signal -1
	s_barrier_wait -1
	s_barrier_signal -1
	s_barrier_wait -1
	s_and_saveexec_b32 s57, s38
	s_cbranch_execz .LBB14_1027
; %bb.1026:                             ;   in Loop: Header=BB14_3 Depth=1
	ds_load_b32 v2, v40 offset:2048
	s_wait_dscnt 0x0
	ds_store_b32 v42, v2 offset:32
	ds_load_b32 v2, v40 offset:2052
	s_wait_dscnt 0x0
	ds_store_b32 v42, v2 offset:288
	;; [unrolled: 3-line block ×8, first 2 shown]
.LBB14_1027:                            ;   in Loop: Header=BB14_3 Depth=1
	s_or_b32 exec_lo, exec_lo, s57
	s_wait_dscnt 0x0
	s_barrier_signal -1
	s_barrier_wait -1
	s_and_saveexec_b32 s42, s11
	s_cbranch_execz .LBB14_1029
; %bb.1028:                             ;   in Loop: Header=BB14_3 Depth=1
	ds_load_b32 v29, v3 offset:1816
	ds_store_b32 v3, v28 offset:1820
	s_wait_dscnt 0x1
	ds_store_b64 v3, v[28:29] offset:1560
.LBB14_1029:                            ;   in Loop: Header=BB14_3 Depth=1
	s_or_b32 exec_lo, exec_lo, s42
	v_mov_b32_e32 v2, 0
	s_wait_dscnt 0x0
	s_barrier_signal -1
	s_barrier_wait -1
	global_wb scope:SCOPE_DEV
	s_wait_storecnt 0x0
	global_inv scope:SCOPE_DEV
	s_and_saveexec_b32 s57, s2
	s_cbranch_execz .LBB14_1033
; %bb.1030:                             ;   in Loop: Header=BB14_3 Depth=1
	ds_load_b32 v2, v43 offset:1552
	ds_load_b32 v29, v44 offset:1816
	s_wait_dscnt 0x0
	v_fma_f32 v2, v2, v29, 0
	s_and_saveexec_b32 s42, s12
	s_cbranch_execz .LBB14_1032
; %bb.1031:                             ;   in Loop: Header=BB14_3 Depth=1
	ds_load_b32 v29, v42 offset:1808
	ds_load_b32 v32, v3 offset:1820
	s_wait_dscnt 0x0
	v_fmac_f32_e32 v2, v29, v32
.LBB14_1032:                            ;   in Loop: Header=BB14_3 Depth=1
	s_or_b32 exec_lo, exec_lo, s42
.LBB14_1033:                            ;   in Loop: Header=BB14_3 Depth=1
	s_delay_alu instid0(SALU_CYCLE_1)
	s_or_b32 exec_lo, exec_lo, s57
	s_and_saveexec_b32 s42, s88
; %bb.1034:                             ;   in Loop: Header=BB14_3 Depth=1
	s_delay_alu instid0(VALU_DEP_1)
	v_xor_b32_e32 v29, 0x80000000, v2
	ds_store_b32 v41, v29
; %bb.1035:                             ;   in Loop: Header=BB14_3 Depth=1
	s_or_b32 exec_lo, exec_lo, s42
	s_wait_loadcnt_dscnt 0x0
	s_barrier_signal -1
	s_barrier_wait -1
	s_and_saveexec_b32 s42, s89
	s_cbranch_execz .LBB14_1037
; %bb.1036:                             ;   in Loop: Header=BB14_3 Depth=1
	ds_load_b32 v29, v3 offset:1296
	ds_load_b32 v32, v41
	s_wait_dscnt 0x0
	v_fma_f32 v2, -v29, v32, v2
.LBB14_1037:                            ;   in Loop: Header=BB14_3 Depth=1
	s_or_b32 exec_lo, exec_lo, s42
	s_barrier_signal -1
	s_barrier_wait -1
	s_and_saveexec_b32 s42, s89
; %bb.1038:                             ;   in Loop: Header=BB14_3 Depth=1
	v_xor_b32_e32 v29, 0x80000000, v2
	ds_store_b32 v41, v29
; %bb.1039:                             ;   in Loop: Header=BB14_3 Depth=1
	s_or_b32 exec_lo, exec_lo, s42
	s_wait_dscnt 0x0
	s_barrier_signal -1
	s_barrier_wait -1
	s_barrier_signal -1
	s_barrier_wait -1
	s_and_saveexec_b32 s42, s2
; %bb.1040:                             ;   in Loop: Header=BB14_3 Depth=1
	ds_store_b32 v46, v2 offset:1808
; %bb.1041:                             ;   in Loop: Header=BB14_3 Depth=1
	s_or_b32 exec_lo, exec_lo, s42
	s_wait_dscnt 0x0
	s_barrier_signal -1
	s_barrier_wait -1
	s_barrier_signal -1
	s_barrier_wait -1
	s_and_saveexec_b32 s42, s90
	s_cbranch_execz .LBB14_1043
; %bb.1042:                             ;   in Loop: Header=BB14_3 Depth=1
	ds_load_b32 v2, v45 offset:1552
	s_wait_dscnt 0x0
	ds_store_b32 v42, v2 offset:1048
	ds_load_b32 v2, v45 offset:1556
	s_wait_dscnt 0x0
	ds_store_b32 v42, v2 offset:1304
.LBB14_1043:                            ;   in Loop: Header=BB14_3 Depth=1
	s_or_b32 exec_lo, exec_lo, s42
	s_wait_dscnt 0x0
	s_barrier_signal -1
	s_barrier_wait -1
	s_and_saveexec_b32 s42, s11
	s_cbranch_execz .LBB14_1045
; %bb.1044:                             ;   in Loop: Header=BB14_3 Depth=1
	ds_load_b32 v29, v3 offset:1296
	ds_store_b32 v3, v28 offset:1300
	s_wait_dscnt 0x1
	ds_store_b64 v3, v[28:29] offset:1040
.LBB14_1045:                            ;   in Loop: Header=BB14_3 Depth=1
	s_or_b32 exec_lo, exec_lo, s42
	v_mov_b32_e32 v2, 0
	s_wait_dscnt 0x0
	s_barrier_signal -1
	s_barrier_wait -1
	global_wb scope:SCOPE_DEV
	s_wait_storecnt 0x0
	global_inv scope:SCOPE_DEV
	s_and_saveexec_b32 s60, s4
	s_cbranch_execz .LBB14_1051
; %bb.1046:                             ;   in Loop: Header=BB14_3 Depth=1
	ds_load_b32 v2, v48 offset:1024
	ds_load_b32 v29, v50 offset:1808
	s_wait_dscnt 0x0
	v_fma_f32 v2, v2, v29, 0
	s_and_saveexec_b32 s42, s13
	s_cbranch_execnz .LBB14_1223
; %bb.1047:                             ;   in Loop: Header=BB14_3 Depth=1
	s_or_b32 exec_lo, exec_lo, s42
	s_and_saveexec_b32 s42, s14
	s_cbranch_execnz .LBB14_1224
.LBB14_1048:                            ;   in Loop: Header=BB14_3 Depth=1
	s_or_b32 exec_lo, exec_lo, s42
	s_and_saveexec_b32 s42, s2
	s_cbranch_execz .LBB14_1050
.LBB14_1049:                            ;   in Loop: Header=BB14_3 Depth=1
	ds_load_b32 v29, v49 offset:1792
	ds_load_b32 v32, v3 offset:1820
	s_wait_dscnt 0x0
	v_fmac_f32_e32 v2, v29, v32
.LBB14_1050:                            ;   in Loop: Header=BB14_3 Depth=1
	s_or_b32 exec_lo, exec_lo, s42
.LBB14_1051:                            ;   in Loop: Header=BB14_3 Depth=1
	s_delay_alu instid0(SALU_CYCLE_1)
	s_or_b32 exec_lo, exec_lo, s60
	s_and_saveexec_b32 s42, s91
; %bb.1052:                             ;   in Loop: Header=BB14_3 Depth=1
	s_delay_alu instid0(VALU_DEP_1)
	v_xor_b32_e32 v29, 0x80000000, v2
	ds_store_b32 v47, v29
; %bb.1053:                             ;   in Loop: Header=BB14_3 Depth=1
	s_or_b32 exec_lo, exec_lo, s42
	s_wait_loadcnt_dscnt 0x0
	s_barrier_signal -1
	s_barrier_wait -1
	s_and_saveexec_b32 s42, s92
	s_cbranch_execz .LBB14_1055
; %bb.1054:                             ;   in Loop: Header=BB14_3 Depth=1
	ds_load_b32 v29, v48 offset:768
	ds_load_b32 v32, v47
	s_wait_dscnt 0x0
	v_fma_f32 v2, -v29, v32, v2
.LBB14_1055:                            ;   in Loop: Header=BB14_3 Depth=1
	s_or_b32 exec_lo, exec_lo, s42
	s_barrier_signal -1
	s_barrier_wait -1
	s_and_saveexec_b32 s42, s93
; %bb.1056:                             ;   in Loop: Header=BB14_3 Depth=1
	v_xor_b32_e32 v29, 0x80000000, v2
	ds_store_b32 v47, v29
; %bb.1057:                             ;   in Loop: Header=BB14_3 Depth=1
	s_or_b32 exec_lo, exec_lo, s42
	s_wait_dscnt 0x0
	s_barrier_signal -1
	s_barrier_wait -1
	s_and_saveexec_b32 s42, s94
	s_cbranch_execz .LBB14_1059
; %bb.1058:                             ;   in Loop: Header=BB14_3 Depth=1
	ds_load_b32 v29, v48 offset:512
	ds_load_b32 v32, v47
	s_wait_dscnt 0x0
	v_fma_f32 v2, -v29, v32, v2
.LBB14_1059:                            ;   in Loop: Header=BB14_3 Depth=1
	s_or_b32 exec_lo, exec_lo, s42
	s_barrier_signal -1
	s_barrier_wait -1
	s_and_saveexec_b32 s42, s95
; %bb.1060:                             ;   in Loop: Header=BB14_3 Depth=1
	v_xor_b32_e32 v29, 0x80000000, v2
	ds_store_b32 v47, v29
; %bb.1061:                             ;   in Loop: Header=BB14_3 Depth=1
	s_or_b32 exec_lo, exec_lo, s42
	s_wait_dscnt 0x0
	;; [unrolled: 20-line block ×3, first 2 shown]
	s_barrier_signal -1
	s_barrier_wait -1
	s_barrier_signal -1
	s_barrier_wait -1
	s_and_saveexec_b32 s42, s4
; %bb.1066:                             ;   in Loop: Header=BB14_3 Depth=1
	ds_store_b32 v51, v2 offset:1792
; %bb.1067:                             ;   in Loop: Header=BB14_3 Depth=1
	s_or_b32 exec_lo, exec_lo, s42
	s_wait_dscnt 0x0
	s_barrier_signal -1
	s_barrier_wait -1
	s_barrier_signal -1
	s_barrier_wait -1
	s_and_saveexec_b32 s57, s97
	s_cbranch_execz .LBB14_1069
; %bb.1068:                             ;   in Loop: Header=BB14_3 Depth=1
	ds_load_b32 v2, v52 offset:1024
	s_wait_dscnt 0x0
	ds_store_b32 v55, v2 offset:16
	ds_load_b32 v2, v52 offset:1028
	s_wait_dscnt 0x0
	ds_store_b32 v55, v2 offset:272
	;; [unrolled: 3-line block ×4, first 2 shown]
.LBB14_1069:                            ;   in Loop: Header=BB14_3 Depth=1
	s_or_b32 exec_lo, exec_lo, s57
	s_wait_dscnt 0x0
	s_barrier_signal -1
	s_barrier_wait -1
	s_and_saveexec_b32 s42, s11
	s_cbranch_execz .LBB14_1071
; %bb.1070:                             ;   in Loop: Header=BB14_3 Depth=1
	ds_load_b32 v29, v3 offset:776
	ds_store_b32 v3, v28 offset:780
	s_wait_dscnt 0x1
	ds_store_b64 v3, v[28:29] offset:520
.LBB14_1071:                            ;   in Loop: Header=BB14_3 Depth=1
	s_or_b32 exec_lo, exec_lo, s42
	v_mov_b32_e32 v2, 0
	s_wait_dscnt 0x0
	s_barrier_signal -1
	s_barrier_wait -1
	global_wb scope:SCOPE_DEV
	s_wait_storecnt 0x0
	global_inv scope:SCOPE_DEV
	s_and_saveexec_b32 s57, s2
	s_cbranch_execz .LBB14_1075
; %bb.1072:                             ;   in Loop: Header=BB14_3 Depth=1
	ds_load_b32 v2, v43 offset:512
	ds_load_b32 v29, v44 offset:776
	s_wait_dscnt 0x0
	v_fma_f32 v2, v2, v29, 0
	s_and_saveexec_b32 s42, s12
	s_cbranch_execz .LBB14_1074
; %bb.1073:                             ;   in Loop: Header=BB14_3 Depth=1
	ds_load_b32 v29, v55 offset:768
	ds_load_b32 v32, v3 offset:780
	s_wait_dscnt 0x0
	v_fmac_f32_e32 v2, v29, v32
.LBB14_1074:                            ;   in Loop: Header=BB14_3 Depth=1
	s_or_b32 exec_lo, exec_lo, s42
.LBB14_1075:                            ;   in Loop: Header=BB14_3 Depth=1
	s_delay_alu instid0(SALU_CYCLE_1)
	s_or_b32 exec_lo, exec_lo, s57
	s_and_saveexec_b32 s42, s88
; %bb.1076:                             ;   in Loop: Header=BB14_3 Depth=1
	s_delay_alu instid0(VALU_DEP_1)
	v_xor_b32_e32 v29, 0x80000000, v2
	ds_store_b32 v41, v29
; %bb.1077:                             ;   in Loop: Header=BB14_3 Depth=1
	s_or_b32 exec_lo, exec_lo, s42
	s_wait_loadcnt_dscnt 0x0
	s_barrier_signal -1
	s_barrier_wait -1
	s_and_saveexec_b32 s42, s89
	s_cbranch_execz .LBB14_1079
; %bb.1078:                             ;   in Loop: Header=BB14_3 Depth=1
	ds_load_b32 v29, v3 offset:256
	ds_load_b32 v32, v41
	s_wait_dscnt 0x0
	v_fma_f32 v2, -v29, v32, v2
.LBB14_1079:                            ;   in Loop: Header=BB14_3 Depth=1
	s_or_b32 exec_lo, exec_lo, s42
	s_barrier_signal -1
	s_barrier_wait -1
	s_and_saveexec_b32 s42, s89
; %bb.1080:                             ;   in Loop: Header=BB14_3 Depth=1
	v_xor_b32_e32 v29, 0x80000000, v2
	ds_store_b32 v41, v29
; %bb.1081:                             ;   in Loop: Header=BB14_3 Depth=1
	s_or_b32 exec_lo, exec_lo, s42
	s_wait_dscnt 0x0
	s_barrier_signal -1
	s_barrier_wait -1
	s_barrier_signal -1
	s_barrier_wait -1
	s_and_saveexec_b32 s42, s2
; %bb.1082:                             ;   in Loop: Header=BB14_3 Depth=1
	ds_store_b32 v46, v2 offset:768
; %bb.1083:                             ;   in Loop: Header=BB14_3 Depth=1
	s_or_b32 exec_lo, exec_lo, s42
	s_wait_dscnt 0x0
	s_barrier_signal -1
	s_barrier_wait -1
	s_barrier_signal -1
	s_barrier_wait -1
	s_and_saveexec_b32 s42, s90
	s_cbranch_execz .LBB14_1085
; %bb.1084:                             ;   in Loop: Header=BB14_3 Depth=1
	ds_load_b32 v2, v58 offset:512
	s_wait_dscnt 0x0
	ds_store_b32 v55, v2 offset:8
	ds_load_b32 v2, v58 offset:516
	s_wait_dscnt 0x0
	ds_store_b32 v55, v2 offset:264
.LBB14_1085:                            ;   in Loop: Header=BB14_3 Depth=1
	s_or_b32 exec_lo, exec_lo, s42
	s_wait_dscnt 0x0
	s_barrier_signal -1
	s_barrier_wait -1
	s_and_saveexec_b32 s42, s11
	s_cbranch_execz .LBB14_1087
; %bb.1086:                             ;   in Loop: Header=BB14_3 Depth=1
	ds_load_b32 v29, v3 offset:256
	ds_store_b32 v3, v28 offset:260
	s_wait_dscnt 0x1
	ds_store_b64 v3, v[28:29]
.LBB14_1087:                            ;   in Loop: Header=BB14_3 Depth=1
	s_or_b32 exec_lo, exec_lo, s42
.LBB14_1088:                            ;   in Loop: Header=BB14_3 Depth=1
	s_mul_u64 s[60:61], s[70:71], s[72:73]
	v_mov_b32_e32 v29, 0
	s_lshl_b64 s[60:61], s[60:61], 2
	s_wait_dscnt 0x0
	s_add_nc_u64 s[78:79], s[64:65], s[60:61]
	s_barrier_signal -1
	s_barrier_wait -1
	s_and_saveexec_b32 s42, s40
	s_cbranch_execz .LBB14_1090
; %bb.1089:                             ;   in Loop: Header=BB14_3 Depth=1
	v_lshl_add_u64 v[32:33], v[0:1], 2, s[78:79]
	v_readlane_b32 s57, v87, 5
	global_load_b32 v2, v[32:33], off
	s_wait_loadcnt 0x0
	v_mul_f32_e64 v29, v2, -s57
.LBB14_1090:                            ;   in Loop: Header=BB14_3 Depth=1
	s_or_b32 exec_lo, exec_lo, s42
	s_delay_alu instid0(SALU_CYCLE_1)
	s_and_not1_b32 vcc_lo, exec_lo, s41
	s_cbranch_vccnz .LBB14_1116
; %bb.1091:                             ;   in Loop: Header=BB14_3 Depth=1
	v_mov_b32_e32 v82, -1
	s_lshl_b64 s[60:61], s[72:73], 2
	s_delay_alu instid0(SALU_CYCLE_1)
	s_add_nc_u64 s[80:81], s[66:67], s[60:61]
	s_mov_b32 s60, 0
	s_branch .LBB14_1094
.LBB14_1092:                            ;   in Loop: Header=BB14_1094 Depth=2
	s_wait_xcnt 0x0
	ds_load_b32 v32, v67 offset:192
	s_wait_loadcnt_dscnt 0x0
	v_fmac_f32_e32 v29, v2, v32
.LBB14_1093:                            ;   in Loop: Header=BB14_1094 Depth=2
	s_or_b32 exec_lo, exec_lo, s57
	s_add_co_i32 s60, s60, 1
	s_delay_alu instid0(SALU_CYCLE_1)
	s_cmp_eq_u32 s60, s84
	s_cbranch_scc1 .LBB14_1116
.LBB14_1094:                            ;   Parent Loop BB14_3 Depth=1
                                        ; =>  This Loop Header: Depth=2
                                        ;       Child Loop BB14_1096 Depth 3
	v_cmp_gt_i32_e32 vcc_lo, s60, v82
	s_and_b32 s42, s55, vcc_lo
	s_delay_alu instid0(SALU_CYCLE_1)
	s_and_saveexec_b32 s57, s42
	s_cbranch_execz .LBB14_1097
; %bb.1095:                             ;   in Loop: Header=BB14_1094 Depth=2
	global_load_b32 v82, v3, s[80:81]
	s_wait_loadcnt 0x0
	v_cmp_le_i32_e32 vcc_lo, s60, v82
	s_cbranch_vccnz .LBB14_1097
.LBB14_1096:                            ;   Parent Loop BB14_3 Depth=1
                                        ;     Parent Loop BB14_1094 Depth=2
                                        ; =>    This Inner Loop Header: Depth=3
	global_wb scope:SCOPE_DEV
	s_wait_storecnt 0x0
	global_inv scope:SCOPE_DEV
	global_load_b32 v82, v3, s[80:81]
	s_wait_loadcnt 0x0
	v_cmp_gt_i32_e32 vcc_lo, s60, v82
	s_cbranch_vccnz .LBB14_1096
.LBB14_1097:                            ;   in Loop: Header=BB14_1094 Depth=2
	s_or_b32 exec_lo, exec_lo, s57
	s_lshl_b32 s61, s60, 6
	global_wb scope:SCOPE_DEV
	s_wait_storecnt 0x0
	global_inv scope:SCOPE_DEV
	s_wait_loadcnt 0x0
	s_barrier_signal -1
	s_barrier_wait -1
	s_and_saveexec_b32 s57, s56
	s_cbranch_execz .LBB14_1101
; %bb.1098:                             ;   in Loop: Header=BB14_1094 Depth=2
	v_dual_mov_b32 v32, 0 :: v_dual_bitop2_b32 v2, s61, v8 bitop3:0x54
	s_mov_b32 s42, exec_lo
	s_delay_alu instid0(VALU_DEP_1)
	v_cmpx_gt_i32_e64 s83, v2
	s_cbranch_execz .LBB14_1100
; %bb.1099:                             ;   in Loop: Header=BB14_1094 Depth=2
	v_mul_u64_e32 v[32:33], s[68:69], v[2:3]
	s_delay_alu instid0(VALU_DEP_1)
	v_lshl_add_u64 v[32:33], v[32:33], 2, s[78:79]
	global_load_b32 v32, v[32:33], off
.LBB14_1100:                            ;   in Loop: Header=BB14_1094 Depth=2
	s_wait_xcnt 0x0
	s_or_b32 exec_lo, exec_lo, s42
	s_wait_loadcnt 0x0
	ds_store_b32 v68, v32
.LBB14_1101:                            ;   in Loop: Header=BB14_1094 Depth=2
	s_or_b32 exec_lo, exec_lo, s57
	v_add_nc_u32_e32 v2, s61, v4
	v_cmp_ne_u32_e32 vcc_lo, s60, v7
	s_wait_dscnt 0x0
	s_barrier_signal -1
	s_barrier_wait -1
	v_cmp_gt_i32_e64 s61, s83, v2
	v_lshl_add_u64 v[32:33], v[2:3], 2, v[30:31]
	v_cndmask_b32_e64 v83, 0, 1, vcc_lo
	s_and_b32 s42, s61, s0
	s_delay_alu instid0(SALU_CYCLE_1)
	s_and_saveexec_b32 s57, s42
	s_cbranch_execz .LBB14_1105
; %bb.1102:                             ;   in Loop: Header=BB14_1094 Depth=2
	v_mov_b32_e32 v84, v78
	s_and_not1_b32 vcc_lo, exec_lo, vcc_lo
	s_cbranch_vccnz .LBB14_1104
; %bb.1103:                             ;   in Loop: Header=BB14_1094 Depth=2
	global_load_b32 v84, v[32:33], off
.LBB14_1104:                            ;   in Loop: Header=BB14_1094 Depth=2
	ds_load_b32 v85, v67
	s_wait_loadcnt_dscnt 0x0
	v_fmac_f32_e32 v29, v84, v85
.LBB14_1105:                            ;   in Loop: Header=BB14_1094 Depth=2
	s_or_b32 exec_lo, exec_lo, s57
	v_add_nc_u32_e32 v84, 16, v2
	s_delay_alu instid0(VALU_DEP_1) | instskip(SKIP_1) | instid1(SALU_CYCLE_1)
	v_cmp_gt_i32_e32 vcc_lo, s83, v84
	s_and_b32 s42, vcc_lo, s0
	s_and_saveexec_b32 s57, s42
	s_cbranch_execz .LBB14_1109
; %bb.1106:                             ;   in Loop: Header=BB14_1094 Depth=2
	v_cmp_ne_u32_e32 vcc_lo, 1, v83
	v_mov_b32_e32 v84, v79
	s_cbranch_vccnz .LBB14_1108
; %bb.1107:                             ;   in Loop: Header=BB14_1094 Depth=2
	global_load_b32 v84, v[32:33], off offset:64
.LBB14_1108:                            ;   in Loop: Header=BB14_1094 Depth=2
	ds_load_b32 v85, v67 offset:64
	s_wait_loadcnt_dscnt 0x0
	v_fmac_f32_e32 v29, v84, v85
.LBB14_1109:                            ;   in Loop: Header=BB14_1094 Depth=2
	s_or_b32 exec_lo, exec_lo, s57
	v_add_nc_u32_e32 v84, 32, v2
	s_delay_alu instid0(VALU_DEP_1) | instskip(SKIP_1) | instid1(SALU_CYCLE_1)
	v_cmp_gt_i32_e32 vcc_lo, s83, v84
	s_and_b32 s42, vcc_lo, s0
	s_and_saveexec_b32 s57, s42
	s_cbranch_execz .LBB14_1113
; %bb.1110:                             ;   in Loop: Header=BB14_1094 Depth=2
	v_cmp_ne_u32_e32 vcc_lo, 1, v83
	v_mov_b32_e32 v84, v80
	s_cbranch_vccnz .LBB14_1112
; %bb.1111:                             ;   in Loop: Header=BB14_1094 Depth=2
	global_load_b32 v84, v[32:33], off offset:128
.LBB14_1112:                            ;   in Loop: Header=BB14_1094 Depth=2
	ds_load_b32 v85, v67 offset:128
	s_wait_loadcnt_dscnt 0x0
	v_fmac_f32_e32 v29, v84, v85
.LBB14_1113:                            ;   in Loop: Header=BB14_1094 Depth=2
	s_or_b32 exec_lo, exec_lo, s57
	v_add_nc_u32_e32 v2, 48, v2
	s_delay_alu instid0(VALU_DEP_1) | instskip(SKIP_1) | instid1(SALU_CYCLE_1)
	v_cmp_gt_i32_e32 vcc_lo, s83, v2
	s_and_b32 s42, vcc_lo, s0
	s_and_saveexec_b32 s57, s42
	s_cbranch_execz .LBB14_1093
; %bb.1114:                             ;   in Loop: Header=BB14_1094 Depth=2
	v_cmp_ne_u32_e32 vcc_lo, 1, v83
	v_mov_b32_e32 v2, v81
	s_cbranch_vccnz .LBB14_1092
; %bb.1115:                             ;   in Loop: Header=BB14_1094 Depth=2
	global_load_b32 v2, v[32:33], off offset:192
	s_branch .LBB14_1092
.LBB14_1116:                            ;   in Loop: Header=BB14_3 Depth=1
	ds_store_b32 v69, v29
	s_wait_dscnt 0x0
	s_barrier_signal -1
	s_barrier_wait -1
	s_and_saveexec_b32 s60, s3
	s_cbranch_execz .LBB14_1118
; %bb.1117:                             ;   in Loop: Header=BB14_3 Depth=1
	ds_load_2addr_stride64_b32 v[30:31], v70 offset0:1 offset1:2
	ds_load_2addr_stride64_b32 v[32:33], v70 offset0:3 offset1:4
	;; [unrolled: 1-line block ×4, first 2 shown]
	v_readlane_b32 s42, v87, 4
	s_wait_dscnt 0x3
	v_add_f32_e32 v2, v29, v30
	s_delay_alu instid0(VALU_DEP_1) | instskip(SKIP_3) | instid1(VALU_DEP_1)
	v_add_f32_e32 v2, v2, v31
	ds_load_2addr_stride64_b32 v[30:31], v70 offset0:9 offset1:10
	s_wait_dscnt 0x3
	v_add_f32_e32 v2, v2, v32
	v_add_f32_e32 v2, v2, v33
	ds_load_2addr_stride64_b32 v[32:33], v70 offset0:11 offset1:12
	s_wait_dscnt 0x3
	v_add_f32_e32 v2, v2, v82
	s_delay_alu instid0(VALU_DEP_1) | instskip(SKIP_4) | instid1(VALU_DEP_1)
	v_add_f32_e32 v2, v2, v83
	ds_load_2addr_stride64_b32 v[82:83], v70 offset0:13 offset1:14
	ds_load_b32 v29, v70 offset:3840
	s_wait_dscnt 0x4
	v_add_f32_e32 v2, v2, v84
	v_add_f32_e32 v2, v2, v85
	s_wait_dscnt 0x3
	s_delay_alu instid0(VALU_DEP_1) | instskip(NEXT) | instid1(VALU_DEP_1)
	v_add_f32_e32 v2, v2, v30
	v_add_f32_e32 v2, v2, v31
	s_wait_dscnt 0x2
	s_delay_alu instid0(VALU_DEP_1) | instskip(NEXT) | instid1(VALU_DEP_1)
	;; [unrolled: 4-line block ×4, first 2 shown]
	v_add_f32_e32 v2, v2, v29
	v_cndmask_b32_e64 v29, -v2, 0, s42
.LBB14_1118:                            ;   in Loop: Header=BB14_3 Depth=1
	s_or_b32 exec_lo, exec_lo, s60
	s_delay_alu instid0(SALU_CYCLE_1)
	s_and_not1_b32 vcc_lo, exec_lo, s87
	s_cbranch_vccnz .LBB14_1128
; %bb.1119:                             ;   in Loop: Header=BB14_3 Depth=1
	s_and_saveexec_b32 s42, s3
; %bb.1120:                             ;   in Loop: Header=BB14_3 Depth=1
	ds_store_b32 v72, v29
; %bb.1121:                             ;   in Loop: Header=BB14_3 Depth=1
	s_or_b32 exec_lo, exec_lo, s42
	v_mov_b32_e32 v2, 0
	s_wait_dscnt 0x0
	s_barrier_signal -1
	s_barrier_wait -1
	s_and_saveexec_b32 s42, s1
	s_cbranch_execnz .LBB14_1167
; %bb.1122:                             ;   in Loop: Header=BB14_3 Depth=1
	s_or_b32 exec_lo, exec_lo, s42
	s_and_saveexec_b32 s42, s8
	s_cbranch_execnz .LBB14_1168
.LBB14_1123:                            ;   in Loop: Header=BB14_3 Depth=1
	s_or_b32 exec_lo, exec_lo, s42
	s_and_saveexec_b32 s42, s9
	s_cbranch_execnz .LBB14_1169
.LBB14_1124:                            ;   in Loop: Header=BB14_3 Depth=1
	s_or_b32 exec_lo, exec_lo, s42
	s_and_saveexec_b32 s42, s10
	s_cbranch_execz .LBB14_1126
.LBB14_1125:                            ;   in Loop: Header=BB14_3 Depth=1
	ds_load_b32 v30, v71 offset:12288
	ds_load_b32 v31, v67 offset:192
	s_wait_dscnt 0x0
	v_fmac_f32_e32 v2, v30, v31
.LBB14_1126:                            ;   in Loop: Header=BB14_3 Depth=1
	s_or_b32 exec_lo, exec_lo, s42
	s_mov_b32 s60, 0
	s_mov_b32 s61, 0
	ds_store_b32 v69, v2
	s_wait_dscnt 0x0
	s_barrier_signal -1
	s_barrier_wait -1
                                        ; implicit-def: $vgpr30
	s_and_saveexec_b32 s80, s3
	s_cbranch_execz .LBB14_1170
; %bb.1127:                             ;   in Loop: Header=BB14_3 Depth=1
	ds_load_2addr_stride64_b32 v[30:31], v70 offset0:1 offset1:2
	ds_load_2addr_stride64_b32 v[32:33], v70 offset0:3 offset1:4
	;; [unrolled: 1-line block ×4, first 2 shown]
	s_mov_b32 s61, exec_lo
	s_wait_dscnt 0x3
	v_add_f32_e32 v2, v2, v30
	s_delay_alu instid0(VALU_DEP_1) | instskip(SKIP_3) | instid1(VALU_DEP_1)
	v_add_f32_e32 v2, v31, v2
	ds_load_2addr_stride64_b32 v[30:31], v70 offset0:9 offset1:10
	s_wait_dscnt 0x3
	v_add_f32_e32 v2, v32, v2
	v_add_f32_e32 v2, v33, v2
	ds_load_2addr_stride64_b32 v[32:33], v70 offset0:11 offset1:12
	s_wait_dscnt 0x3
	v_add_f32_e32 v2, v82, v2
	s_delay_alu instid0(VALU_DEP_1) | instskip(SKIP_1) | instid1(VALU_DEP_1)
	v_add_f32_e32 v2, v83, v2
	s_wait_dscnt 0x2
	v_add_f32_e32 v2, v84, v2
	ds_load_2addr_stride64_b32 v[82:83], v70 offset0:13 offset1:14
	ds_load_b32 v84, v70 offset:3840
	v_add_f32_e32 v2, v85, v2
	s_wait_dscnt 0x3
	s_delay_alu instid0(VALU_DEP_1) | instskip(NEXT) | instid1(VALU_DEP_1)
	v_add_f32_e32 v2, v30, v2
	v_add_f32_e32 v2, v31, v2
	s_wait_dscnt 0x2
	s_delay_alu instid0(VALU_DEP_1) | instskip(NEXT) | instid1(VALU_DEP_1)
	v_add_f32_e32 v2, v32, v2
	;; [unrolled: 4-line block ×3, first 2 shown]
	v_add_f32_e32 v2, v83, v2
	s_wait_dscnt 0x0
	s_delay_alu instid0(VALU_DEP_1) | instskip(SKIP_1) | instid1(SALU_CYCLE_1)
	v_add_f32_e32 v30, v84, v2
	s_or_b32 exec_lo, exec_lo, s80
	s_and_b32 vcc_lo, exec_lo, s60
	s_cbranch_vccnz .LBB14_1129
	s_branch .LBB14_1171
.LBB14_1128:                            ;   in Loop: Header=BB14_3 Depth=1
	s_mov_b32 s61, 0
                                        ; implicit-def: $vgpr30
	s_cbranch_execz .LBB14_1171
.LBB14_1129:                            ;   in Loop: Header=BB14_3 Depth=1
	v_dual_mov_b32 v2, v6 :: v_dual_mov_b32 v30, v77
	s_mov_b32 s60, 0
	s_branch .LBB14_1131
.LBB14_1130:                            ;   in Loop: Header=BB14_1131 Depth=2
	s_or_b32 exec_lo, exec_lo, s42
	v_add_nc_u32_e32 v30, 0x400, v30
	v_add_nc_u32_e32 v2, -4, v2
	s_add_co_i32 s60, s60, 4
	s_delay_alu instid0(SALU_CYCLE_1)
	s_cmp_lg_u32 s60, 64
	s_barrier_signal -1
	s_barrier_wait -1
	s_cbranch_scc0 .LBB14_1147
.LBB14_1131:                            ;   Parent Loop BB14_3 Depth=1
                                        ; =>  This Inner Loop Header: Depth=2
	s_delay_alu instid0(VALU_DEP_1) | instskip(SKIP_1) | instid1(SALU_CYCLE_1)
	v_cmp_eq_u32_e32 vcc_lo, 0, v2
	s_and_b32 s57, s3, vcc_lo
	s_and_saveexec_b32 s42, s57
; %bb.1132:                             ;   in Loop: Header=BB14_1131 Depth=2
	ds_store_b32 v3, v29 offset:20736
; %bb.1133:                             ;   in Loop: Header=BB14_1131 Depth=2
	s_or_b32 exec_lo, exec_lo, s42
	v_cmp_lt_u32_e32 vcc_lo, s60, v6
	s_wait_dscnt 0x0
	s_barrier_signal -1
	s_barrier_wait -1
	s_and_b32 s57, s3, vcc_lo
	s_delay_alu instid0(SALU_CYCLE_1)
	s_and_saveexec_b32 s42, s57
	s_cbranch_execz .LBB14_1135
; %bb.1134:                             ;   in Loop: Header=BB14_1131 Depth=2
	ds_load_b32 v31, v30
	ds_load_b32 v32, v3 offset:20736
	s_wait_dscnt 0x0
	v_fmac_f32_e32 v29, v31, v32
.LBB14_1135:                            ;   in Loop: Header=BB14_1131 Depth=2
	s_or_b32 exec_lo, exec_lo, s42
	s_or_b32 s57, s60, 1
	s_delay_alu instid0(SALU_CYCLE_1) | instskip(SKIP_3) | instid1(SALU_CYCLE_1)
	v_cmp_eq_u32_e32 vcc_lo, s57, v6
	s_barrier_signal -1
	s_barrier_wait -1
	s_and_b32 s80, s3, vcc_lo
	s_and_saveexec_b32 s42, s80
; %bb.1136:                             ;   in Loop: Header=BB14_1131 Depth=2
	ds_store_b32 v3, v29 offset:20736
; %bb.1137:                             ;   in Loop: Header=BB14_1131 Depth=2
	s_or_b32 exec_lo, exec_lo, s42
	v_cmp_lt_u32_e32 vcc_lo, s57, v6
	s_wait_dscnt 0x0
	s_barrier_signal -1
	s_barrier_wait -1
	s_and_b32 s57, s3, vcc_lo
	s_delay_alu instid0(SALU_CYCLE_1)
	s_and_saveexec_b32 s42, s57
	s_cbranch_execz .LBB14_1139
; %bb.1138:                             ;   in Loop: Header=BB14_1131 Depth=2
	ds_load_b32 v31, v30 offset:256
	ds_load_b32 v32, v3 offset:20736
	s_wait_dscnt 0x0
	v_fmac_f32_e32 v29, v31, v32
.LBB14_1139:                            ;   in Loop: Header=BB14_1131 Depth=2
	s_or_b32 exec_lo, exec_lo, s42
	s_or_b32 s57, s60, 2
	s_delay_alu instid0(SALU_CYCLE_1) | instskip(SKIP_3) | instid1(SALU_CYCLE_1)
	v_cmp_eq_u32_e32 vcc_lo, s57, v6
	s_barrier_signal -1
	s_barrier_wait -1
	s_and_b32 s80, s3, vcc_lo
	s_and_saveexec_b32 s42, s80
; %bb.1140:                             ;   in Loop: Header=BB14_1131 Depth=2
	ds_store_b32 v3, v29 offset:20736
; %bb.1141:                             ;   in Loop: Header=BB14_1131 Depth=2
	s_or_b32 exec_lo, exec_lo, s42
	v_cmp_lt_u32_e32 vcc_lo, s57, v6
	s_wait_dscnt 0x0
	s_barrier_signal -1
	s_barrier_wait -1
	s_and_b32 s57, s3, vcc_lo
	s_delay_alu instid0(SALU_CYCLE_1)
	s_and_saveexec_b32 s42, s57
	s_cbranch_execz .LBB14_1143
; %bb.1142:                             ;   in Loop: Header=BB14_1131 Depth=2
	ds_load_b32 v31, v30 offset:512
	ds_load_b32 v32, v3 offset:20736
	s_wait_dscnt 0x0
	v_fmac_f32_e32 v29, v31, v32
.LBB14_1143:                            ;   in Loop: Header=BB14_1131 Depth=2
	s_or_b32 exec_lo, exec_lo, s42
	s_or_b32 s57, s60, 3
	s_delay_alu instid0(SALU_CYCLE_1) | instskip(SKIP_3) | instid1(SALU_CYCLE_1)
	v_cmp_eq_u32_e32 vcc_lo, s57, v6
	s_barrier_signal -1
	s_barrier_wait -1
	s_and_b32 s80, s3, vcc_lo
	s_and_saveexec_b32 s42, s80
; %bb.1144:                             ;   in Loop: Header=BB14_1131 Depth=2
	ds_store_b32 v3, v29 offset:20736
; %bb.1145:                             ;   in Loop: Header=BB14_1131 Depth=2
	s_or_b32 exec_lo, exec_lo, s42
	v_cmp_lt_u32_e32 vcc_lo, s57, v6
	s_wait_dscnt 0x0
	s_barrier_signal -1
	s_barrier_wait -1
	s_and_b32 s57, s3, vcc_lo
	s_delay_alu instid0(SALU_CYCLE_1)
	s_and_saveexec_b32 s42, s57
	s_cbranch_execz .LBB14_1130
; %bb.1146:                             ;   in Loop: Header=BB14_1131 Depth=2
	ds_load_b32 v31, v30 offset:768
	ds_load_b32 v32, v3 offset:20736
	s_wait_dscnt 0x0
	v_fmac_f32_e32 v29, v31, v32
	s_branch .LBB14_1130
.LBB14_1147:                            ;   in Loop: Header=BB14_3 Depth=1
	s_and_b32 vcc_lo, exec_lo, s86
	s_mov_b32 s57, -1
	s_cbranch_vccz .LBB14_1149
; %bb.1148:                             ;   in Loop: Header=BB14_3 Depth=1
	s_and_not1_b32 s42, s61, exec_lo
	s_and_b32 s60, s3, exec_lo
	s_mov_b32 s57, 0
	s_or_b32 s61, s42, s60
.LBB14_1149:                            ;   in Loop: Header=BB14_3 Depth=1
	s_and_not1_b32 vcc_lo, exec_lo, s57
	s_cbranch_vccnz .LBB14_1151
; %bb.1150:                             ;   in Loop: Header=BB14_3 Depth=1
	v_readlane_b32 s57, v87, 6
	s_and_not1_b32 s42, s61, exec_lo
	s_and_b32 s57, s57, exec_lo
	s_delay_alu instid0(SALU_CYCLE_1)
	s_or_b32 s61, s42, s57
.LBB14_1151:                            ;   in Loop: Header=BB14_3 Depth=1
	v_mov_b64_e32 v[30:31], v[16:17]
	s_and_saveexec_b32 s42, s61
	s_cbranch_execnz .LBB14_1172
	s_branch .LBB14_1173
.LBB14_1152:                            ;   in Loop: Header=BB14_3 Depth=1
	s_mov_b32 s42, exec_lo
	v_readlane_b32 s60, v86, 17
	s_and_b32 s60, s42, s60
	s_delay_alu instid0(SALU_CYCLE_1)
	s_mov_b32 exec_lo, s60
; %bb.1153:                             ;   in Loop: Header=BB14_3 Depth=1
	ds_store_b32 v73, v3
; %bb.1154:                             ;   in Loop: Header=BB14_3 Depth=1
	s_or_b32 exec_lo, exec_lo, s42
	s_and_not1_saveexec_b32 s42, s57
	s_cbranch_execz .LBB14_16
.LBB14_1155:                            ;   in Loop: Header=BB14_3 Depth=1
	v_lshl_add_u64 v[82:83], v[18:19], 2, v[32:33]
	global_load_b32 v2, v[82:83], off
	s_wait_loadcnt 0x0
	v_xor_b32_e32 v2, 0x80000000, v2
	ds_store_b32 v73, v2
	s_or_b32 exec_lo, exec_lo, s42
	s_and_saveexec_b32 s42, s8
	s_delay_alu instid0(SALU_CYCLE_1)
	s_xor_b32 s57, exec_lo, s42
	s_cbranch_execz .LBB14_17
.LBB14_1156:                            ;   in Loop: Header=BB14_3 Depth=1
	s_mov_b32 s42, exec_lo
	v_readlane_b32 s60, v86, 18
	s_and_b32 s60, s42, s60
	s_delay_alu instid0(SALU_CYCLE_1)
	s_mov_b32 exec_lo, s60
; %bb.1157:                             ;   in Loop: Header=BB14_3 Depth=1
	ds_store_b32 v5, v3
; %bb.1158:                             ;   in Loop: Header=BB14_3 Depth=1
	s_or_b32 exec_lo, exec_lo, s42
	s_and_not1_saveexec_b32 s42, s57
	s_cbranch_execz .LBB14_18
.LBB14_1159:                            ;   in Loop: Header=BB14_3 Depth=1
	v_lshl_add_u64 v[82:83], v[20:21], 2, v[32:33]
	global_load_b32 v2, v[82:83], off
	s_wait_loadcnt 0x0
	v_xor_b32_e32 v2, 0x80000000, v2
	ds_store_b32 v5, v2
	s_or_b32 exec_lo, exec_lo, s42
	s_and_saveexec_b32 s42, s9
	s_delay_alu instid0(SALU_CYCLE_1)
	s_xor_b32 s57, exec_lo, s42
	s_cbranch_execz .LBB14_19
.LBB14_1160:                            ;   in Loop: Header=BB14_3 Depth=1
	s_mov_b32 s42, exec_lo
	v_readlane_b32 s60, v86, 19
	s_and_b32 s60, s42, s60
	s_delay_alu instid0(SALU_CYCLE_1)
	s_mov_b32 exec_lo, s60
; %bb.1161:                             ;   in Loop: Header=BB14_3 Depth=1
	ds_store_b32 v74, v3
; %bb.1162:                             ;   in Loop: Header=BB14_3 Depth=1
	s_or_b32 exec_lo, exec_lo, s42
	s_and_not1_saveexec_b32 s42, s57
	s_cbranch_execz .LBB14_20
.LBB14_1163:                            ;   in Loop: Header=BB14_3 Depth=1
	v_lshl_add_u64 v[82:83], v[22:23], 2, v[32:33]
	global_load_b32 v2, v[82:83], off
	s_wait_loadcnt 0x0
	v_xor_b32_e32 v2, 0x80000000, v2
	ds_store_b32 v74, v2
	s_or_b32 exec_lo, exec_lo, s42
	s_and_saveexec_b32 s42, s10
	s_delay_alu instid0(SALU_CYCLE_1)
	s_xor_b32 s57, exec_lo, s42
	s_cbranch_execz .LBB14_21
.LBB14_1164:                            ;   in Loop: Header=BB14_3 Depth=1
	s_mov_b32 s42, exec_lo
	v_readlane_b32 s60, v86, 20
	s_and_b32 s60, s42, s60
	s_delay_alu instid0(SALU_CYCLE_1)
	s_mov_b32 exec_lo, s60
; %bb.1165:                             ;   in Loop: Header=BB14_3 Depth=1
	ds_store_b32 v75, v3
; %bb.1166:                             ;   in Loop: Header=BB14_3 Depth=1
	s_or_b32 exec_lo, exec_lo, s42
	s_and_not1_saveexec_b32 s42, s57
	s_cbranch_execnz .LBB14_22
	s_branch .LBB14_23
.LBB14_1167:                            ;   in Loop: Header=BB14_3 Depth=1
	ds_load_b32 v2, v71
	ds_load_b32 v30, v67
	s_wait_dscnt 0x0
	v_fma_f32 v2, v2, v30, 0
	s_or_b32 exec_lo, exec_lo, s42
	s_and_saveexec_b32 s42, s8
	s_cbranch_execz .LBB14_1123
.LBB14_1168:                            ;   in Loop: Header=BB14_3 Depth=1
	ds_load_b32 v30, v71 offset:4096
	ds_load_b32 v31, v67 offset:64
	s_wait_dscnt 0x0
	v_fmac_f32_e32 v2, v30, v31
	s_or_b32 exec_lo, exec_lo, s42
	s_and_saveexec_b32 s42, s9
	s_cbranch_execz .LBB14_1124
.LBB14_1169:                            ;   in Loop: Header=BB14_3 Depth=1
	ds_load_b32 v30, v71 offset:8192
	ds_load_b32 v31, v67 offset:128
	s_wait_dscnt 0x0
	v_fmac_f32_e32 v2, v30, v31
	s_or_b32 exec_lo, exec_lo, s42
	s_and_saveexec_b32 s42, s10
	s_cbranch_execnz .LBB14_1125
	s_branch .LBB14_1126
.LBB14_1170:                            ;   in Loop: Header=BB14_3 Depth=1
	s_or_b32 exec_lo, exec_lo, s80
	s_delay_alu instid0(SALU_CYCLE_1)
	s_and_b32 vcc_lo, exec_lo, s60
	s_cbranch_vccnz .LBB14_1129
.LBB14_1171:                            ;   in Loop: Header=BB14_3 Depth=1
	v_mov_b32_e32 v29, v30
	v_mov_b64_e32 v[30:31], v[14:15]
	s_and_saveexec_b32 s42, s61
	s_cbranch_execz .LBB14_1173
.LBB14_1172:                            ;   in Loop: Header=BB14_3 Depth=1
	s_delay_alu instid0(VALU_DEP_1)
	v_lshl_add_u64 v[30:31], v[30:31], 2, s[78:79]
	global_store_b32 v[30:31], v29, off
.LBB14_1173:                            ;   in Loop: Header=BB14_3 Depth=1
	s_wait_xcnt 0x0
	s_or_b32 exec_lo, exec_lo, s42
	global_wb scope:SCOPE_DEV
	s_wait_storecnt 0x0
	global_inv scope:SCOPE_DEV
	s_wait_loadcnt 0x0
	s_barrier_signal -1
	s_barrier_wait -1
	s_and_saveexec_b32 s42, s55
	s_cbranch_execz .LBB14_2
; %bb.1174:                             ;   in Loop: Header=BB14_3 Depth=1
	s_lshl_b64 s[60:61], s[72:73], 2
	s_delay_alu instid0(SALU_CYCLE_1)
	s_add_nc_u64 s[60:61], s[66:67], s[60:61]
	global_load_b32 v2, v3, s[60:61]
	s_wait_loadcnt 0x0
	v_add_nc_u32_e32 v2, 1, v2
	global_store_b32 v3, v2, s[60:61]
	s_branch .LBB14_2
.LBB14_1175:                            ;   in Loop: Header=BB14_3 Depth=1
	ds_load_b32 v29, v48 offset:15840
	ds_load_b32 v32, v50 offset:16372
	s_wait_dscnt 0x0
	v_fmac_f32_e32 v2, v29, v32
	s_or_b32 exec_lo, exec_lo, s42
	s_and_saveexec_b32 s42, s14
	s_cbranch_execz .LBB14_72
.LBB14_1176:                            ;   in Loop: Header=BB14_3 Depth=1
	ds_load_b32 v29, v48 offset:16096
	ds_load_b32 v32, v50 offset:16376
	s_wait_dscnt 0x0
	v_fmac_f32_e32 v2, v29, v32
	s_or_b32 exec_lo, exec_lo, s42
	s_and_saveexec_b32 s42, s2
	s_cbranch_execnz .LBB14_73
	s_branch .LBB14_74
.LBB14_1177:                            ;   in Loop: Header=BB14_3 Depth=1
	ds_load_b32 v29, v53 offset:14784
	ds_load_b32 v32, v56 offset:16356
	s_wait_dscnt 0x0
	v_fmac_f32_e32 v2, v29, v32
	s_or_b32 exec_lo, exec_lo, s42
	s_and_saveexec_b32 s42, s16
	s_cbranch_execz .LBB14_114
.LBB14_1178:                            ;   in Loop: Header=BB14_3 Depth=1
	ds_load_b32 v29, v53 offset:15040
	ds_load_b32 v32, v56 offset:16360
	s_wait_dscnt 0x0
	v_fmac_f32_e32 v2, v29, v32
	s_or_b32 exec_lo, exec_lo, s42
	s_and_saveexec_b32 s42, s17
	s_cbranch_execz .LBB14_115
.LBB14_1179:                            ;   in Loop: Header=BB14_3 Depth=1
	ds_load_b32 v29, v53 offset:15296
	ds_load_b32 v32, v56 offset:16364
	s_wait_dscnt 0x0
	v_fmac_f32_e32 v2, v29, v32
	s_or_b32 exec_lo, exec_lo, s42
	s_and_saveexec_b32 s42, s18
	s_cbranch_execz .LBB14_116
.LBB14_1180:                            ;   in Loop: Header=BB14_3 Depth=1
	ds_load_b32 v29, v53 offset:15552
	ds_load_b32 v32, v56 offset:16368
	s_wait_dscnt 0x0
	v_fmac_f32_e32 v2, v29, v32
	s_or_b32 exec_lo, exec_lo, s42
	s_and_saveexec_b32 s42, s19
	s_cbranch_execz .LBB14_117
.LBB14_1181:                            ;   in Loop: Header=BB14_3 Depth=1
	ds_load_b32 v29, v53 offset:15808
	ds_load_b32 v32, v56 offset:16372
	s_wait_dscnt 0x0
	v_fmac_f32_e32 v2, v29, v32
	s_or_b32 exec_lo, exec_lo, s42
	s_and_saveexec_b32 s42, s4
	s_cbranch_execz .LBB14_118
.LBB14_1182:                            ;   in Loop: Header=BB14_3 Depth=1
	ds_load_b32 v29, v53 offset:16064
	ds_load_b32 v32, v56 offset:16376
	s_wait_dscnt 0x0
	v_fmac_f32_e32 v2, v29, v32
	s_or_b32 exec_lo, exec_lo, s42
	s_and_saveexec_b32 s42, s14
	s_cbranch_execnz .LBB14_119
	s_branch .LBB14_120
.LBB14_1183:                            ;   in Loop: Header=BB14_3 Depth=1
	ds_load_b32 v29, v48 offset:13760
	ds_load_b32 v32, v50 offset:14292
	s_wait_dscnt 0x0
	v_fmac_f32_e32 v2, v29, v32
	s_or_b32 exec_lo, exec_lo, s42
	s_and_saveexec_b32 s42, s14
	s_cbranch_execz .LBB14_176
.LBB14_1184:                            ;   in Loop: Header=BB14_3 Depth=1
	ds_load_b32 v29, v48 offset:14016
	ds_load_b32 v32, v50 offset:14296
	s_wait_dscnt 0x0
	v_fmac_f32_e32 v2, v29, v32
	s_or_b32 exec_lo, exec_lo, s42
	s_and_saveexec_b32 s42, s2
	s_cbranch_execnz .LBB14_177
	s_branch .LBB14_178
.LBB14_1185:                            ;   in Loop: Header=BB14_3 Depth=1
	ds_load_b32 v29, v59 offset:15232
	ds_load_b32 v32, v61 offset:16364
	s_wait_dscnt 0x0
	v_fmac_f32_e32 v2, v29, v32
	s_or_b32 exec_lo, exec_lo, s42
	s_and_saveexec_b32 s42, s5
	s_cbranch_execz .LBB14_238
.LBB14_1186:                            ;   in Loop: Header=BB14_3 Depth=1
	ds_load_b32 v29, v59 offset:15488
	ds_load_b32 v32, v61 offset:16368
	s_wait_dscnt 0x0
	v_fmac_f32_e32 v2, v29, v32
	s_or_b32 exec_lo, exec_lo, s42
	s_and_saveexec_b32 s42, s16
	s_cbranch_execz .LBB14_239
.LBB14_1187:                            ;   in Loop: Header=BB14_3 Depth=1
	ds_load_b32 v29, v59 offset:15744
	ds_load_b32 v32, v61 offset:16372
	s_wait_dscnt 0x0
	v_fmac_f32_e32 v2, v29, v32
	s_or_b32 exec_lo, exec_lo, s42
	s_and_saveexec_b32 s42, s18
	s_cbranch_execz .LBB14_240
.LBB14_1188:                            ;   in Loop: Header=BB14_3 Depth=1
	ds_load_b32 v29, v59 offset:16000
	ds_load_b32 v32, v61 offset:16376
	s_wait_dscnt 0x0
	v_fmac_f32_e32 v2, v29, v32
	s_or_b32 exec_lo, exec_lo, s42
	s_and_saveexec_b32 s42, s4
	s_cbranch_execnz .LBB14_241
	s_branch .LBB14_242
.LBB14_1189:                            ;   in Loop: Header=BB14_3 Depth=1
	ds_load_b32 v29, v48 offset:11680
	ds_load_b32 v32, v50 offset:12212
	s_wait_dscnt 0x0
	v_fmac_f32_e32 v2, v29, v32
	s_or_b32 exec_lo, exec_lo, s42
	s_and_saveexec_b32 s42, s14
	s_cbranch_execz .LBB14_330
.LBB14_1190:                            ;   in Loop: Header=BB14_3 Depth=1
	ds_load_b32 v29, v48 offset:11936
	ds_load_b32 v32, v50 offset:12216
	s_wait_dscnt 0x0
	v_fmac_f32_e32 v2, v29, v32
	s_or_b32 exec_lo, exec_lo, s42
	s_and_saveexec_b32 s42, s2
	s_cbranch_execnz .LBB14_331
	s_branch .LBB14_332
.LBB14_1191:                            ;   in Loop: Header=BB14_3 Depth=1
	ds_load_b32 v29, v53 offset:10624
	ds_load_b32 v32, v56 offset:12196
	s_wait_dscnt 0x0
	v_fmac_f32_e32 v2, v29, v32
	s_or_b32 exec_lo, exec_lo, s42
	s_and_saveexec_b32 s42, s16
	s_cbranch_execz .LBB14_372
.LBB14_1192:                            ;   in Loop: Header=BB14_3 Depth=1
	ds_load_b32 v29, v53 offset:10880
	ds_load_b32 v32, v56 offset:12200
	s_wait_dscnt 0x0
	v_fmac_f32_e32 v2, v29, v32
	s_or_b32 exec_lo, exec_lo, s42
	s_and_saveexec_b32 s42, s17
	s_cbranch_execz .LBB14_373
.LBB14_1193:                            ;   in Loop: Header=BB14_3 Depth=1
	ds_load_b32 v29, v53 offset:11136
	ds_load_b32 v32, v56 offset:12204
	s_wait_dscnt 0x0
	v_fmac_f32_e32 v2, v29, v32
	s_or_b32 exec_lo, exec_lo, s42
	s_and_saveexec_b32 s42, s18
	s_cbranch_execz .LBB14_374
.LBB14_1194:                            ;   in Loop: Header=BB14_3 Depth=1
	ds_load_b32 v29, v53 offset:11392
	ds_load_b32 v32, v56 offset:12208
	s_wait_dscnt 0x0
	v_fmac_f32_e32 v2, v29, v32
	s_or_b32 exec_lo, exec_lo, s42
	s_and_saveexec_b32 s42, s19
	s_cbranch_execz .LBB14_375
.LBB14_1195:                            ;   in Loop: Header=BB14_3 Depth=1
	ds_load_b32 v29, v53 offset:11648
	ds_load_b32 v32, v56 offset:12212
	s_wait_dscnt 0x0
	v_fmac_f32_e32 v2, v29, v32
	s_or_b32 exec_lo, exec_lo, s42
	s_and_saveexec_b32 s42, s4
	s_cbranch_execz .LBB14_376
.LBB14_1196:                            ;   in Loop: Header=BB14_3 Depth=1
	ds_load_b32 v29, v53 offset:11904
	ds_load_b32 v32, v56 offset:12216
	s_wait_dscnt 0x0
	v_fmac_f32_e32 v2, v29, v32
	s_or_b32 exec_lo, exec_lo, s42
	s_and_saveexec_b32 s42, s14
	s_cbranch_execnz .LBB14_377
	s_branch .LBB14_378
.LBB14_1197:                            ;   in Loop: Header=BB14_3 Depth=1
	ds_load_b32 v29, v48 offset:9600
	ds_load_b32 v32, v50 offset:10132
	s_wait_dscnt 0x0
	v_fmac_f32_e32 v2, v29, v32
	s_or_b32 exec_lo, exec_lo, s42
	s_and_saveexec_b32 s42, s14
	s_cbranch_execz .LBB14_434
.LBB14_1198:                            ;   in Loop: Header=BB14_3 Depth=1
	ds_load_b32 v29, v48 offset:9856
	ds_load_b32 v32, v50 offset:10136
	s_wait_dscnt 0x0
	v_fmac_f32_e32 v2, v29, v32
	s_or_b32 exec_lo, exec_lo, s42
	s_and_saveexec_b32 s42, s2
	s_cbranch_execnz .LBB14_435
	s_branch .LBB14_436
.LBB14_1199:                            ;   in Loop: Header=BB14_3 Depth=1
	ds_load_b32 v29, v62 offset:15616
	ds_load_b32 v32, v65 offset:16372
	s_wait_dscnt 0x0
	v_fmac_f32_e32 v2, v29, v32
	s_or_b32 exec_lo, exec_lo, s42
	s_and_saveexec_b32 s42, s5
	s_cbranch_execz .LBB14_532
.LBB14_1200:                            ;   in Loop: Header=BB14_3 Depth=1
	ds_load_b32 v29, v62 offset:15872
	ds_load_b32 v32, v65 offset:16376
	s_wait_dscnt 0x0
	v_fmac_f32_e32 v2, v29, v32
	s_or_b32 exec_lo, exec_lo, s42
	s_and_saveexec_b32 s42, s18
	s_cbranch_execnz .LBB14_533
	s_branch .LBB14_534
.LBB14_1201:                            ;   in Loop: Header=BB14_3 Depth=1
	ds_load_b32 v29, v48 offset:7520
	ds_load_b32 v32, v50 offset:8052
	s_wait_dscnt 0x0
	v_fmac_f32_e32 v2, v29, v32
	s_or_b32 exec_lo, exec_lo, s42
	s_and_saveexec_b32 s42, s14
	s_cbranch_execz .LBB14_686
.LBB14_1202:                            ;   in Loop: Header=BB14_3 Depth=1
	ds_load_b32 v29, v48 offset:7776
	ds_load_b32 v32, v50 offset:8056
	s_wait_dscnt 0x0
	v_fmac_f32_e32 v2, v29, v32
	s_or_b32 exec_lo, exec_lo, s42
	s_and_saveexec_b32 s42, s2
	s_cbranch_execnz .LBB14_687
	s_branch .LBB14_688
.LBB14_1203:                            ;   in Loop: Header=BB14_3 Depth=1
	ds_load_b32 v29, v53 offset:6464
	ds_load_b32 v32, v56 offset:8036
	s_wait_dscnt 0x0
	v_fmac_f32_e32 v2, v29, v32
	s_or_b32 exec_lo, exec_lo, s42
	s_and_saveexec_b32 s42, s16
	s_cbranch_execz .LBB14_728
.LBB14_1204:                            ;   in Loop: Header=BB14_3 Depth=1
	ds_load_b32 v29, v53 offset:6720
	ds_load_b32 v32, v56 offset:8040
	s_wait_dscnt 0x0
	v_fmac_f32_e32 v2, v29, v32
	s_or_b32 exec_lo, exec_lo, s42
	s_and_saveexec_b32 s42, s17
	s_cbranch_execz .LBB14_729
.LBB14_1205:                            ;   in Loop: Header=BB14_3 Depth=1
	ds_load_b32 v29, v53 offset:6976
	ds_load_b32 v32, v56 offset:8044
	s_wait_dscnt 0x0
	v_fmac_f32_e32 v2, v29, v32
	s_or_b32 exec_lo, exec_lo, s42
	s_and_saveexec_b32 s42, s18
	s_cbranch_execz .LBB14_730
.LBB14_1206:                            ;   in Loop: Header=BB14_3 Depth=1
	ds_load_b32 v29, v53 offset:7232
	ds_load_b32 v32, v56 offset:8048
	s_wait_dscnt 0x0
	v_fmac_f32_e32 v2, v29, v32
	s_or_b32 exec_lo, exec_lo, s42
	s_and_saveexec_b32 s42, s19
	s_cbranch_execz .LBB14_731
.LBB14_1207:                            ;   in Loop: Header=BB14_3 Depth=1
	ds_load_b32 v29, v53 offset:7488
	ds_load_b32 v32, v56 offset:8052
	s_wait_dscnt 0x0
	v_fmac_f32_e32 v2, v29, v32
	s_or_b32 exec_lo, exec_lo, s42
	s_and_saveexec_b32 s42, s4
	s_cbranch_execz .LBB14_732
.LBB14_1208:                            ;   in Loop: Header=BB14_3 Depth=1
	ds_load_b32 v29, v53 offset:7744
	ds_load_b32 v32, v56 offset:8056
	s_wait_dscnt 0x0
	v_fmac_f32_e32 v2, v29, v32
	s_or_b32 exec_lo, exec_lo, s42
	s_and_saveexec_b32 s42, s14
	s_cbranch_execnz .LBB14_733
	s_branch .LBB14_734
.LBB14_1209:                            ;   in Loop: Header=BB14_3 Depth=1
	ds_load_b32 v29, v48 offset:5440
	ds_load_b32 v32, v50 offset:5972
	s_wait_dscnt 0x0
	v_fmac_f32_e32 v2, v29, v32
	s_or_b32 exec_lo, exec_lo, s42
	s_and_saveexec_b32 s42, s14
	s_cbranch_execz .LBB14_790
.LBB14_1210:                            ;   in Loop: Header=BB14_3 Depth=1
	ds_load_b32 v29, v48 offset:5696
	ds_load_b32 v32, v50 offset:5976
	s_wait_dscnt 0x0
	v_fmac_f32_e32 v2, v29, v32
	s_or_b32 exec_lo, exec_lo, s42
	s_and_saveexec_b32 s42, s2
	s_cbranch_execnz .LBB14_791
	s_branch .LBB14_792
.LBB14_1211:                            ;   in Loop: Header=BB14_3 Depth=1
	ds_load_b32 v29, v59 offset:6912
	ds_load_b32 v32, v61 offset:8044
	s_wait_dscnt 0x0
	v_fmac_f32_e32 v2, v29, v32
	s_or_b32 exec_lo, exec_lo, s42
	s_and_saveexec_b32 s42, s5
	s_cbranch_execz .LBB14_852
.LBB14_1212:                            ;   in Loop: Header=BB14_3 Depth=1
	ds_load_b32 v29, v59 offset:7168
	ds_load_b32 v32, v61 offset:8048
	s_wait_dscnt 0x0
	v_fmac_f32_e32 v2, v29, v32
	s_or_b32 exec_lo, exec_lo, s42
	s_and_saveexec_b32 s42, s16
	s_cbranch_execz .LBB14_853
.LBB14_1213:                            ;   in Loop: Header=BB14_3 Depth=1
	ds_load_b32 v29, v59 offset:7424
	ds_load_b32 v32, v61 offset:8052
	s_wait_dscnt 0x0
	v_fmac_f32_e32 v2, v29, v32
	s_or_b32 exec_lo, exec_lo, s42
	s_and_saveexec_b32 s42, s18
	s_cbranch_execz .LBB14_854
.LBB14_1214:                            ;   in Loop: Header=BB14_3 Depth=1
	ds_load_b32 v29, v59 offset:7680
	ds_load_b32 v32, v61 offset:8056
	s_wait_dscnt 0x0
	v_fmac_f32_e32 v2, v29, v32
	s_or_b32 exec_lo, exec_lo, s42
	s_and_saveexec_b32 s42, s4
	s_cbranch_execnz .LBB14_855
	s_branch .LBB14_856
.LBB14_1215:                            ;   in Loop: Header=BB14_3 Depth=1
	ds_load_b32 v29, v48 offset:3360
	ds_load_b32 v32, v50 offset:3892
	s_wait_dscnt 0x0
	v_fmac_f32_e32 v2, v29, v32
	s_or_b32 exec_lo, exec_lo, s42
	s_and_saveexec_b32 s42, s14
	s_cbranch_execz .LBB14_944
.LBB14_1216:                            ;   in Loop: Header=BB14_3 Depth=1
	ds_load_b32 v29, v48 offset:3616
	ds_load_b32 v32, v50 offset:3896
	s_wait_dscnt 0x0
	v_fmac_f32_e32 v2, v29, v32
	s_or_b32 exec_lo, exec_lo, s42
	s_and_saveexec_b32 s42, s2
	s_cbranch_execnz .LBB14_945
	s_branch .LBB14_946
.LBB14_1217:                            ;   in Loop: Header=BB14_3 Depth=1
	ds_load_b32 v29, v53 offset:2304
	ds_load_b32 v32, v56 offset:3876
	s_wait_dscnt 0x0
	v_fmac_f32_e32 v2, v29, v32
	s_or_b32 exec_lo, exec_lo, s42
	s_and_saveexec_b32 s42, s16
	s_cbranch_execz .LBB14_986
.LBB14_1218:                            ;   in Loop: Header=BB14_3 Depth=1
	ds_load_b32 v29, v53 offset:2560
	ds_load_b32 v32, v56 offset:3880
	s_wait_dscnt 0x0
	v_fmac_f32_e32 v2, v29, v32
	s_or_b32 exec_lo, exec_lo, s42
	s_and_saveexec_b32 s42, s17
	s_cbranch_execz .LBB14_987
.LBB14_1219:                            ;   in Loop: Header=BB14_3 Depth=1
	ds_load_b32 v29, v53 offset:2816
	ds_load_b32 v32, v56 offset:3884
	s_wait_dscnt 0x0
	v_fmac_f32_e32 v2, v29, v32
	s_or_b32 exec_lo, exec_lo, s42
	s_and_saveexec_b32 s42, s18
	s_cbranch_execz .LBB14_988
.LBB14_1220:                            ;   in Loop: Header=BB14_3 Depth=1
	ds_load_b32 v29, v53 offset:3072
	ds_load_b32 v32, v56 offset:3888
	s_wait_dscnt 0x0
	v_fmac_f32_e32 v2, v29, v32
	s_or_b32 exec_lo, exec_lo, s42
	s_and_saveexec_b32 s42, s19
	s_cbranch_execz .LBB14_989
.LBB14_1221:                            ;   in Loop: Header=BB14_3 Depth=1
	ds_load_b32 v29, v53 offset:3328
	ds_load_b32 v32, v56 offset:3892
	s_wait_dscnt 0x0
	v_fmac_f32_e32 v2, v29, v32
	s_or_b32 exec_lo, exec_lo, s42
	s_and_saveexec_b32 s42, s4
	s_cbranch_execz .LBB14_990
.LBB14_1222:                            ;   in Loop: Header=BB14_3 Depth=1
	ds_load_b32 v29, v53 offset:3584
	ds_load_b32 v32, v56 offset:3896
	s_wait_dscnt 0x0
	v_fmac_f32_e32 v2, v29, v32
	s_or_b32 exec_lo, exec_lo, s42
	s_and_saveexec_b32 s42, s14
	s_cbranch_execnz .LBB14_991
	s_branch .LBB14_992
.LBB14_1223:                            ;   in Loop: Header=BB14_3 Depth=1
	ds_load_b32 v29, v48 offset:1280
	ds_load_b32 v32, v50 offset:1812
	s_wait_dscnt 0x0
	v_fmac_f32_e32 v2, v29, v32
	s_or_b32 exec_lo, exec_lo, s42
	s_and_saveexec_b32 s42, s14
	s_cbranch_execz .LBB14_1048
.LBB14_1224:                            ;   in Loop: Header=BB14_3 Depth=1
	ds_load_b32 v29, v48 offset:1536
	ds_load_b32 v32, v50 offset:1816
	s_wait_dscnt 0x0
	v_fmac_f32_e32 v2, v29, v32
	s_or_b32 exec_lo, exec_lo, s42
	s_and_saveexec_b32 s42, s2
	s_cbranch_execnz .LBB14_1049
	s_branch .LBB14_1050
.LBB14_1225:
	s_endpgm
	.section	.rodata,"a",@progbits
	.p2align	6, 0x0
	.amdhsa_kernel _ZL19rocblas_trsv_deviceILi64ELi16ELb0ELb1ELb0ELb1EffPKfPfEviT7_lllT6_T8_lllPii
		.amdhsa_group_segment_fixed_size 20740
		.amdhsa_private_segment_fixed_size 0
		.amdhsa_kernarg_size 352
		.amdhsa_user_sgpr_count 2
		.amdhsa_user_sgpr_dispatch_ptr 0
		.amdhsa_user_sgpr_queue_ptr 0
		.amdhsa_user_sgpr_kernarg_segment_ptr 1
		.amdhsa_user_sgpr_dispatch_id 0
		.amdhsa_user_sgpr_kernarg_preload_length 0
		.amdhsa_user_sgpr_kernarg_preload_offset 0
		.amdhsa_user_sgpr_private_segment_size 0
		.amdhsa_wavefront_size32 1
		.amdhsa_uses_dynamic_stack 0
		.amdhsa_enable_private_segment 0
		.amdhsa_system_sgpr_workgroup_id_x 1
		.amdhsa_system_sgpr_workgroup_id_y 0
		.amdhsa_system_sgpr_workgroup_id_z 1
		.amdhsa_system_sgpr_workgroup_info 0
		.amdhsa_system_vgpr_workitem_id 1
		.amdhsa_next_free_vgpr 90
		.amdhsa_next_free_sgpr 105
		.amdhsa_named_barrier_count 0
		.amdhsa_reserve_vcc 1
		.amdhsa_float_round_mode_32 0
		.amdhsa_float_round_mode_16_64 0
		.amdhsa_float_denorm_mode_32 3
		.amdhsa_float_denorm_mode_16_64 3
		.amdhsa_fp16_overflow 0
		.amdhsa_memory_ordered 1
		.amdhsa_forward_progress 1
		.amdhsa_inst_pref_size 255
		.amdhsa_round_robin_scheduling 0
		.amdhsa_exception_fp_ieee_invalid_op 0
		.amdhsa_exception_fp_denorm_src 0
		.amdhsa_exception_fp_ieee_div_zero 0
		.amdhsa_exception_fp_ieee_overflow 0
		.amdhsa_exception_fp_ieee_underflow 0
		.amdhsa_exception_fp_ieee_inexact 0
		.amdhsa_exception_int_div_zero 0
	.end_amdhsa_kernel
	.section	.text._ZL19rocblas_trsv_deviceILi64ELi16ELb0ELb1ELb0ELb1EffPKfPfEviT7_lllT6_T8_lllPii,"axG",@progbits,_ZL19rocblas_trsv_deviceILi64ELi16ELb0ELb1ELb0ELb1EffPKfPfEviT7_lllT6_T8_lllPii,comdat
.Lfunc_end14:
	.size	_ZL19rocblas_trsv_deviceILi64ELi16ELb0ELb1ELb0ELb1EffPKfPfEviT7_lllT6_T8_lllPii, .Lfunc_end14-_ZL19rocblas_trsv_deviceILi64ELi16ELb0ELb1ELb0ELb1EffPKfPfEviT7_lllT6_T8_lllPii
                                        ; -- End function
	.set _ZL19rocblas_trsv_deviceILi64ELi16ELb0ELb1ELb0ELb1EffPKfPfEviT7_lllT6_T8_lllPii.num_vgpr, 90
	.set _ZL19rocblas_trsv_deviceILi64ELi16ELb0ELb1ELb0ELb1EffPKfPfEviT7_lllT6_T8_lllPii.num_agpr, 0
	.set _ZL19rocblas_trsv_deviceILi64ELi16ELb0ELb1ELb0ELb1EffPKfPfEviT7_lllT6_T8_lllPii.numbered_sgpr, 105
	.set _ZL19rocblas_trsv_deviceILi64ELi16ELb0ELb1ELb0ELb1EffPKfPfEviT7_lllT6_T8_lllPii.num_named_barrier, 0
	.set _ZL19rocblas_trsv_deviceILi64ELi16ELb0ELb1ELb0ELb1EffPKfPfEviT7_lllT6_T8_lllPii.private_seg_size, 0
	.set _ZL19rocblas_trsv_deviceILi64ELi16ELb0ELb1ELb0ELb1EffPKfPfEviT7_lllT6_T8_lllPii.uses_vcc, 1
	.set _ZL19rocblas_trsv_deviceILi64ELi16ELb0ELb1ELb0ELb1EffPKfPfEviT7_lllT6_T8_lllPii.uses_flat_scratch, 0
	.set _ZL19rocblas_trsv_deviceILi64ELi16ELb0ELb1ELb0ELb1EffPKfPfEviT7_lllT6_T8_lllPii.has_dyn_sized_stack, 0
	.set _ZL19rocblas_trsv_deviceILi64ELi16ELb0ELb1ELb0ELb1EffPKfPfEviT7_lllT6_T8_lllPii.has_recursion, 0
	.set _ZL19rocblas_trsv_deviceILi64ELi16ELb0ELb1ELb0ELb1EffPKfPfEviT7_lllT6_T8_lllPii.has_indirect_call, 0
	.section	.AMDGPU.csdata,"",@progbits
; Kernel info:
; codeLenInByte = 36608
; TotalNumSgprs: 107
; NumVgprs: 90
; ScratchSize: 0
; MemoryBound: 0
; FloatMode: 240
; IeeeMode: 1
; LDSByteSize: 20740 bytes/workgroup (compile time only)
; SGPRBlocks: 0
; VGPRBlocks: 5
; NumSGPRsForWavesPerEU: 107
; NumVGPRsForWavesPerEU: 90
; NamedBarCnt: 0
; Occupancy: 10
; WaveLimiterHint : 0
; COMPUTE_PGM_RSRC2:SCRATCH_EN: 0
; COMPUTE_PGM_RSRC2:USER_SGPR: 2
; COMPUTE_PGM_RSRC2:TRAP_HANDLER: 0
; COMPUTE_PGM_RSRC2:TGID_X_EN: 1
; COMPUTE_PGM_RSRC2:TGID_Y_EN: 0
; COMPUTE_PGM_RSRC2:TGID_Z_EN: 1
; COMPUTE_PGM_RSRC2:TIDIG_COMP_CNT: 1
	.section	.text._ZL19rocblas_trsv_deviceILi64ELi16ELb0ELb1ELb1ELb1EffPKfPfEviT7_lllT6_T8_lllPii,"axG",@progbits,_ZL19rocblas_trsv_deviceILi64ELi16ELb0ELb1ELb1ELb1EffPKfPfEviT7_lllT6_T8_lllPii,comdat
	.globl	_ZL19rocblas_trsv_deviceILi64ELi16ELb0ELb1ELb1ELb1EffPKfPfEviT7_lllT6_T8_lllPii ; -- Begin function _ZL19rocblas_trsv_deviceILi64ELi16ELb0ELb1ELb1ELb1EffPKfPfEviT7_lllT6_T8_lllPii
	.p2align	8
	.type	_ZL19rocblas_trsv_deviceILi64ELi16ELb0ELb1ELb1ELb1EffPKfPfEviT7_lllT6_T8_lllPii,@function
_ZL19rocblas_trsv_deviceILi64ELi16ELb0ELb1ELb1ELb1EffPKfPfEviT7_lllT6_T8_lllPii: ; @_ZL19rocblas_trsv_deviceILi64ELi16ELb0ELb1ELb1ELb1EffPKfPfEviT7_lllT6_T8_lllPii
; %bb.0:
	s_load_b32 s6, s[0:1], 0x58
	s_bfe_u32 s2, ttmp6, 0x40014
	s_lshr_b32 s3, ttmp7, 16
	s_add_co_i32 s2, s2, 1
	s_bfe_u32 s5, ttmp6, 0x40008
	s_mul_i32 s4, s3, s2
	s_getreg_b32 s2, hwreg(HW_REG_IB_STS2, 6, 4)
	s_add_co_i32 s5, s5, s4
	s_cmp_eq_u32 s2, 0
	s_mov_b32 s73, 0
	s_cselect_b32 s72, s3, s5
                                        ; implicit-def: $vgpr89 : SGPR spill to VGPR lane
	s_wait_kmcnt 0x0
	s_cmp_ge_u32 s72, s6
	v_writelane_b32 v89, s6, 0
	s_cbranch_scc1 .LBB15_1225
; %bb.1:
	s_clause 0x3
	s_load_b256 s[56:63], s[0:1], 0x8
	s_load_b256 s[64:71], s[0:1], 0x30
	s_load_b32 s3, s[0:1], 0x6c
	s_load_b32 s83, s[0:1], 0x0
	s_bfe_u32 s5, ttmp6, 0x4000c
	s_and_b32 s4, ttmp6, 15
	s_add_co_i32 s5, s5, 1
	v_bfe_u32 v4, v0, 10, 10
	s_mul_i32 s5, ttmp9, s5
	v_and_b32_e32 v6, 0x3ff, v0
	s_add_co_i32 s4, s4, s5
	s_delay_alu instid0(VALU_DEP_2) | instskip(NEXT) | instid1(VALU_DEP_2)
	v_dual_mov_b32 v3, 0 :: v_dual_add_nc_u32 v30, 32, v4
	v_dual_add_nc_u32 v28, 48, v4 :: v_dual_lshlrev_b32 v1, 6, v6
	v_lshl_add_u32 v32, v4, 6, v6
	v_cmp_gt_u32_e64 s6, 2, v6
	v_and_b32_e32 v22, 7, v0
	v_and_b32_e32 v23, 15, v0
	v_lshl_add_u32 v12, v28, 6, v6
	s_wait_kmcnt 0x0
	s_lshl_b64 s[14:15], s[58:59], 2
	s_lshl_b64 s[16:17], s[66:67], 2
	s_cmp_eq_u32 s2, 0
                                        ; implicit-def: $vgpr88 : SGPR spill to VGPR lane
                                        ; implicit-def: $vgpr87 : SGPR spill to VGPR lane
	v_cmp_gt_u32_e64 s42, 0xf0, v32
	s_cselect_b32 s84, ttmp9, s4
	s_and_b32 s2, s3, 0xffff
	s_add_co_i32 s3, s83, -1
	s_ashr_i32 s4, s83, 31
	s_ashr_i32 s5, s3, 31
	s_lshr_b32 s4, s4, 26
	s_lshr_b32 s5, s5, 26
	s_add_co_i32 s4, s83, s4
	s_add_co_i32 s3, s3, s5
	s_and_not1_b32 s4, s4, 63
	s_ashr_i32 s3, s3, 6
	s_sub_co_i32 s13, s83, s4
	s_cmp_eq_u32 s3, s84
	v_mad_u32_u24 v8, v4, s2, v6
	s_cselect_b32 s2, -1, 0
	s_cmp_lg_u32 s13, 0
	v_sub_co_u32 v7, s3, s84, 1
	s_cselect_b32 s4, -1, 0
	s_lshl_b32 s18, s84, 6
	s_and_b32 s40, s4, s2
	v_dual_add_nc_u32 v5, s18, v4 :: v_dual_add_nc_u32 v26, 16, v4
	s_xor_b32 s3, s3, -1
	s_xor_b32 s86, s40, -1
	s_cmp_lt_i32 s84, 5
	s_delay_alu instid0(VALU_DEP_1) | instskip(SKIP_2) | instid1(VALU_DEP_2)
	v_dual_add_nc_u32 v2, v4, v1 :: v_dual_add_nc_u32 v10, v26, v1
	s_cselect_b32 vcc_lo, -1, 0
	v_lshl_add_u32 v11, v26, 6, v6
	v_dual_cndmask_b32 v21, v32, v2, vcc_lo :: v_dual_bitop2_b32 v14, 1, v0 bitop3:0x40
	v_writelane_b32 v89, s3, 1
	s_add_nc_u64 s[2:3], s[60:61], 1
	s_ashr_i32 s19, s18, 31
	s_or_b32 vcc_lo, vcc_lo, s40
	s_mul_u64 s[76:77], s[2:3], s[18:19]
	v_dual_cndmask_b32 v20, v11, v10, vcc_lo :: v_dual_bitop2_b32 v15, 3, v0 bitop3:0x40
	v_cmp_gt_u32_e64 s2, 4, v32
	v_cmp_eq_u32_e64 s4, 1, v14
	v_cmp_eq_u32_e64 s5, 0, v14
	;; [unrolled: 1-line block ×4, first 2 shown]
	v_add_nc_u32_e32 v10, v30, v1
	s_and_b32 s88, s4, s2
	s_and_b32 s89, s5, s2
	v_cmp_gt_u32_e64 s4, 16, v32
	v_cmp_eq_u32_e64 s5, 3, v15
	s_and_b32 s90, s3, s6
	v_cmp_ne_u32_e64 s6, 3, v15
	v_cmp_ne_u32_e64 s9, 7, v22
	s_and_b32 s93, s7, s4
	s_and_b32 s91, s5, s4
	v_cmp_eq_u32_e64 s5, 1, v15
	s_and_b32 s92, s6, s4
	v_cmp_eq_u32_e64 s6, 0, v15
	v_cmp_gt_u32_e64 s7, 4, v6
	v_cmp_gt_u32_e64 s8, 2, v15
	s_and_b32 s95, s5, s4
	v_cmp_gt_u32_e64 s5, 64, v32
	s_and_b32 s96, s6, s4
	v_cmp_eq_u32_e64 s6, 6, v22
	s_and_b32 s97, s3, s7
	v_cmp_gt_u32_e64 s7, 6, v22
	s_and_b32 s99, s9, s5
	v_cmp_eq_u32_e64 s9, 4, v22
	s_and_b32 s100, s6, s5
	v_cmp_eq_u32_e64 s6, 5, v22
	s_and_b32 s101, s7, s5
	v_cmp_gt_u32_e64 s7, 4, v22
	s_and_b32 s104, s9, s5
	v_cmp_gt_u32_e64 s9, 2, v22
	s_and_b32 s102, s6, s5
	v_cmp_eq_u32_e64 s6, 3, v22
	s_and_b32 vcc_hi, s7, s5
	v_cmp_gt_u32_e64 s7, 3, v22
	s_and_b32 s94, s8, s4
	v_cmp_eq_u32_e64 s8, 7, v22
	s_and_b32 s31, s6, s5
	v_cmp_eq_u32_e64 s6, 1, v22
	s_and_b32 s33, s7, s5
	s_and_b32 s35, s9, s5
	v_cmp_eq_u32_e64 s7, 0, v22
	v_add_nc_u32_e32 v1, v28, v1
	s_and_b32 s36, s6, s5
	v_cmp_gt_u32_e64 s6, 0x100, v32
	v_cmp_eq_u32_e64 s9, 15, v23
	s_and_b32 s98, s8, s5
	v_cmp_gt_u32_e64 s8, 5, v22
	v_cmp_ne_u32_e64 s10, 15, v23
	s_and_b32 s37, s7, s5
	s_and_b32 s7, s9, s6
	v_cmp_eq_u32_e64 s11, 14, v23
	v_writelane_b32 v89, s7, 2
	s_and_b32 s103, s8, s5
	v_cmp_eq_u32_e64 s8, 2, v22
	s_and_b32 s7, s10, s6
	v_cmp_gt_u32_e64 s9, 13, v23
	v_writelane_b32 v89, s7, 3
	s_and_b32 s7, s11, s6
	s_and_b32 s34, s8, s5
	v_cmp_gt_u32_e64 s8, 8, v6
	v_cmp_gt_u32_e64 s11, 12, v23
	v_writelane_b32 v89, s7, 4
	v_cmp_gt_u32_e64 s7, 14, v23
	v_cmp_eq_u32_e64 s10, 12, v23
	s_and_b32 s38, s3, s8
	v_cmp_eq_u32_e64 s8, 13, v23
	s_and_b32 s46, s11, s6
	s_and_b32 s7, s7, s6
	v_cmp_eq_u32_e64 s11, 9, v23
	v_writelane_b32 v89, s7, 5
	s_and_b32 s43, s8, s6
	v_cmp_eq_u32_e64 s7, 11, v23
	v_cmp_gt_u32_e64 s8, 11, v23
	s_and_b32 s51, s11, s6
	v_cmp_gt_u32_e64 s11, 7, v23
	s_and_b32 s44, s9, s6
	s_and_b32 s47, s7, s6
	;; [unrolled: 1-line block ×3, first 2 shown]
	v_cmp_gt_u32_e64 s7, 9, v23
	v_cmp_eq_u32_e64 s8, 8, v23
	s_and_b32 s24, s11, s6
	v_cmp_eq_u32_e64 s11, 4, v23
	v_cmp_eq_u32_e64 s9, 10, v23
	s_and_b32 s52, s7, s6
	s_and_b32 s53, s8, s6
	v_cmp_eq_u32_e64 s7, 6, v23
	v_cmp_gt_u32_e64 s8, 6, v23
	s_and_b32 s59, s11, s6
	v_cmp_gt_u32_e64 s11, 2, v23
	v_lshl_add_u32 v11, v30, 6, v6
	s_and_b32 s26, s7, s6
	s_and_b32 s28, s8, s6
	v_cmp_gt_u32_e64 s7, 4, v23
	v_cmp_eq_u32_e64 s8, 3, v23
	v_dual_cndmask_b32 v25, v11, v10, vcc_lo :: v_dual_bitop2_b32 v24, 31, v0 bitop3:0x40
	s_and_b32 s45, s10, s6
	v_cmp_gt_u32_e64 s10, 10, v23
	s_and_b32 s49, s9, s6
	v_cmp_gt_u32_e64 s9, 8, v23
	s_and_b32 s20, s7, s6
	s_and_b32 s21, s8, s6
	;; [unrolled: 1-line block ×3, first 2 shown]
	v_cmp_eq_u32_e64 s8, 1, v23
	v_cmp_gt_u32_e64 s7, 0x400, v32
	v_cmp_eq_u32_e64 s11, 31, v24
	s_and_b32 s50, s10, s6
	v_cmp_eq_u32_e64 s10, 7, v23
	s_and_b32 s54, s9, s6
	v_cmp_eq_u32_e64 s9, 5, v23
	v_cmp_ne_u32_e64 s12, 31, v24
	s_and_b32 s29, s8, s6
	s_and_b32 s8, s11, s7
	;; [unrolled: 1-line block ×3, first 2 shown]
	v_cmp_gt_u32_e64 s10, 5, v23
	s_and_b32 s30, s9, s6
	v_cmp_gt_u32_e64 s9, 3, v23
	v_writelane_b32 v89, s8, 6
	s_and_b32 s8, s12, s7
	s_and_b32 s58, s10, s6
	v_cmp_eq_u32_e64 s10, 2, v23
	s_and_b32 s23, s9, s6
	v_cmp_eq_u32_e64 s9, 0, v23
	v_writelane_b32 v89, s8, 7
	v_cmp_eq_u32_e64 s8, 30, v24
	s_and_b32 s25, s10, s6
	v_cmp_gt_u32_e64 s10, 16, v6
	s_and_b32 s85, s9, s6
	v_cmp_gt_u32_e64 s9, 30, v24
	;; [unrolled: 2-line block ×3, first 2 shown]
	v_writelane_b32 v89, s8, 8
	s_and_b32 s82, s3, s10
	v_cmp_eq_u32_e64 s10, 29, v24
	s_and_b32 s8, s9, s7
	s_xor_b32 s87, vcc_lo, -1
	v_writelane_b32 v89, s8, 9
	v_dual_cndmask_b32 v33, v12, v1 :: v_dual_add_nc_u32 v2, s18, v8
	s_and_b32 s8, s10, s7
	v_cmp_eq_u32_e32 vcc_lo, 28, v24
	v_writelane_b32 v89, s8, 10
	s_and_b32 s8, s11, s7
	v_dual_mov_b32 v9, v3 :: v_dual_add_nc_u32 v18, s18, v6
	v_subrev_nc_u32_e32 v10, 64, v5
	v_writelane_b32 v89, s8, 11
	s_and_b32 s8, vcc_lo, s7
	v_cmp_gt_u32_e32 vcc_lo, 28, v24
	v_add_nc_u64_e32 v[16:17], s[18:19], v[8:9]
	v_dual_lshlrev_b32 v9, 2, v6 :: v_dual_lshrrev_b32 v1, 10, v0
	v_writelane_b32 v89, s8, 12
	s_and_b32 s8, vcc_lo, s7
	v_cmp_eq_u32_e32 vcc_lo, 27, v24
	v_dual_ashrrev_i32 v19, 31, v18 :: v_dual_lshrrev_b32 v27, 1, v32
	v_writelane_b32 v89, s8, 13
	v_ashrrev_i32_e32 v11, 31, v10
	s_and_b32 s8, vcc_lo, s7
	v_cmp_gt_u32_e32 vcc_lo, 27, v24
	v_bitop3_b32 v82, v0, v1, 0x3ff bitop3:0xa8
	v_writelane_b32 v89, s8, 14
	v_dual_lshlrev_b32 v0, 8, v27 :: v_dual_lshlrev_b32 v43, 2, v14
	v_lshlrev_b32_e32 v1, 6, v32
	s_and_b32 s8, vcc_lo, s7
	v_cmp_eq_u32_e32 vcc_lo, 26, v24
	v_writelane_b32 v89, s8, 15
	v_dual_lshlrev_b32 v48, 2, v15 :: v_dual_bitop2_b32 v14, -4, v32 bitop3:0x40
	v_dual_sub_nc_u32 v44, 0, v0 :: v_dual_sub_nc_u32 v46, v43, v0
	s_and_b32 s8, vcc_lo, s7
	v_cmp_gt_u32_e32 vcc_lo, 26, v24
	v_writelane_b32 v89, s8, 16
	v_and_b32_e32 v0, 0xffffff00, v1
	v_dual_lshrrev_b32 v1, 3, v32 :: v_dual_lshlrev_b32 v53, 2, v22
	s_and_b32 s8, vcc_lo, s7
	v_cmp_eq_u32_e32 vcc_lo, 25, v24
	v_writelane_b32 v89, s8, 17
	v_add_nc_u32_e32 v47, 0x4000, v14
	v_dual_sub_nc_u32 v50, 0, v0 :: v_dual_sub_nc_u32 v51, v48, v0
	s_and_b32 s8, vcc_lo, s7
	v_cmp_gt_u32_e32 vcc_lo, 25, v24
	v_writelane_b32 v89, s8, 18
	v_dual_lshlrev_b32 v0, 8, v1 :: v_dual_lshrrev_b32 v14, 4, v32
	v_lshl_add_u32 v54, v1, 2, 0x4000
	s_and_b32 s8, vcc_lo, s7
	v_cmp_eq_u32_e32 vcc_lo, 24, v24
	v_writelane_b32 v89, s8, 19
	v_dual_sub_nc_u32 v56, 0, v0 :: v_dual_sub_nc_u32 v57, v53, v0
	v_dual_lshlrev_b32 v0, 8, v14 :: v_dual_lshrrev_b32 v1, 5, v32
	s_and_b32 s8, vcc_lo, s7
	v_cmp_gt_u32_e32 vcc_lo, 24, v24
	v_writelane_b32 v89, s8, 20
	s_delay_alu instid0(VALU_DEP_3)
	v_dual_lshlrev_b32 v59, 2, v23 :: v_dual_sub_nc_u32 v61, 0, v0
	v_lshl_add_u32 v60, v14, 2, 0x4000
	s_and_b32 s8, vcc_lo, s7
	v_cmp_eq_u32_e32 vcc_lo, 23, v24
	v_writelane_b32 v89, s8, 21
	v_dual_lshlrev_b32 v14, 8, v1 :: v_dual_lshlrev_b32 v62, 2, v24
	v_sub_nc_u32_e32 v63, v59, v0
	s_and_b32 s8, vcc_lo, s7
	v_cmp_gt_u32_e32 vcc_lo, 23, v24
	v_writelane_b32 v89, s8, 22
	v_dual_lshlrev_b32 v76, 2, v4 :: v_dual_sub_nc_u32 v66, v62, v14
	v_sub_nc_u32_e32 v65, 0, v14
	s_and_b32 s8, vcc_lo, s7
	v_cmp_eq_u32_e32 vcc_lo, 22, v24
	v_writelane_b32 v89, s8, 23
	v_mul_u64_e32 v[14:15], s[68:69], v[2:3]
	v_subrev_nc_u32_e32 v2, 48, v5
	v_mul_u64_e32 v[12:13], s[60:61], v[18:19]
	s_and_b32 s8, vcc_lo, s7
	v_cmp_gt_u32_e32 vcc_lo, 22, v24
	v_writelane_b32 v89, s8, 24
	v_lshl_add_u32 v64, v1, 2, 0x4000
	v_mul_u64_e32 v[0:1], s[68:69], v[18:19]
	v_lshl_add_u32 v41, v27, 2, 0x4000
	s_and_b32 s8, vcc_lo, s7
	v_cmp_eq_u32_e32 vcc_lo, 21, v24
	v_writelane_b32 v89, s8, 25
                                        ; implicit-def: $vgpr86 : SGPR spill to VGPR lane
	v_mad_u32_u24 v34, 0xfc, v6, v9
	v_dual_mov_b32 v31, v3 :: v_dual_add_nc_u32 v70, 0x4000, v9
	v_or_b32_e32 v83, v30, v6
	s_and_b32 s8, vcc_lo, s7
	v_cmp_gt_u32_e32 vcc_lo, 21, v24
	v_writelane_b32 v89, s8, 26
	v_mad_i32_i24 v35, 0xffffff04, v6, v34
	v_dual_mov_b32 v29, v3 :: v_dual_lshlrev_b32 v74, 2, v25
	s_and_b32 s8, vcc_lo, s7
	v_cmp_eq_u32_e32 vcc_lo, 20, v24
	v_writelane_b32 v89, s8, 27
	v_mad_u32_u24 v36, 0xfc, v6, v35
	v_mul_u64_e32 v[16:17], s[68:69], v[16:17]
	v_lshlrev_b32_e32 v73, 2, v21
	s_and_b32 s8, vcc_lo, s7
	v_cmp_gt_u32_e32 vcc_lo, 20, v24
	v_writelane_b32 v89, s8, 28
	v_mad_i32_i24 v37, 0xffffff04, v6, v36
	v_mul_u64_e32 v[22:23], s[60:61], v[30:31]
	v_or_b32_e32 v67, 0x5000, v76
	s_and_b32 s8, vcc_lo, s7
	v_cmp_eq_u32_e32 vcc_lo, 19, v24
	v_writelane_b32 v89, s8, 29
	v_mad_u32_u24 v38, 0xfc, v6, v37
	v_mul_i32_i24_e32 v77, 0xffffff04, v6
	v_add_nc_u32_e32 v72, v67, v9
	s_and_b32 s8, vcc_lo, s7
	v_cmp_gt_u32_e32 vcc_lo, 19, v24
	v_writelane_b32 v89, s8, 30
	v_mad_i32_i24 v39, 0xffffff04, v6, v38
	v_dual_lshlrev_b32 v75, 2, v33 :: v_dual_bitop2_b32 v31, v28, v6 bitop3:0x54
	s_and_b32 s8, vcc_lo, s7
	v_cmp_eq_u32_e32 vcc_lo, 18, v24
	v_writelane_b32 v89, s8, 31
	v_mad_u32_u24 v40, 0xfc, v6, v39
	s_add_nc_u64 s[74:75], s[56:57], s[14:15]
	s_add_nc_u64 s[64:65], s[64:65], s[16:17]
	s_and_b32 s8, vcc_lo, s7
	v_cmp_gt_u32_e32 vcc_lo, 18, v24
	v_writelane_b32 v88, s8, 0
	v_mad_i32_i24 v42, 0xffffff04, v6, v40
	v_lshl_add_u32 v68, v8, 2, 0x5000
	v_lshl_add_u32 v69, v32, 2, 0x4000
	s_and_b32 s8, vcc_lo, s7
	v_cmp_eq_u32_e32 vcc_lo, 17, v24
	v_writelane_b32 v88, s8, 1
	v_mad_u32_u24 v45, 0xfc, v6, v42
	v_cmp_gt_u32_e64 s14, 8, v32
	v_cmp_gt_u32_e64 s15, 56, v32
	s_and_b32 s8, vcc_lo, s7
	v_cmp_gt_u32_e32 vcc_lo, 17, v24
	v_writelane_b32 v88, s8, 2
	v_mad_i32_i24 v49, 0xffffff04, v6, v45
	v_cmp_gt_u32_e64 s16, 48, v32
	v_cmp_gt_u32_e64 s17, 40, v32
	s_and_b32 s8, vcc_lo, s7
	v_cmp_eq_u32_e32 vcc_lo, 16, v24
	v_writelane_b32 v88, s8, 3
	v_mad_u32_u24 v52, 0xfc, v6, v49
	v_lshl_add_u32 v71, v4, 8, v49
	v_cmp_gt_u32_e64 s18, 32, v32
	s_and_b32 s8, vcc_lo, s7
	v_cmp_gt_u32_e32 vcc_lo, 16, v24
	v_writelane_b32 v88, s8, 4
	v_mad_i32_i24 v55, 0xffffff04, v6, v52
	v_cmp_gt_u32_e64 s19, 24, v32
	v_cmp_eq_u32_e64 s55, 0, v8
	s_and_b32 s8, vcc_lo, s7
	v_cmp_eq_u32_e32 vcc_lo, 15, v24
	v_writelane_b32 v88, s8, 5
	v_mad_u32_u24 v58, 0xfc, v6, v55
	v_cmp_gt_u32_e64 s56, 64, v8
                                        ; implicit-def: $vgpr78
                                        ; implicit-def: $vgpr79
                                        ; implicit-def: $vgpr80
                                        ; implicit-def: $vgpr81
	s_load_b64 s[66:67], s[0:1], 0x50
	s_and_b32 s8, vcc_lo, s7
	v_cmp_gt_u32_e32 vcc_lo, 15, v24
	v_writelane_b32 v88, s8, 6
	v_dual_mov_b32 v27, v3 :: v_dual_add_nc_u32 v76, v58, v76
	s_and_b32 s8, vcc_lo, s7
	v_cmp_eq_u32_e32 vcc_lo, 14, v24
	v_writelane_b32 v88, s8, 7
	s_and_b32 s8, vcc_lo, s7
	v_cmp_gt_u32_e32 vcc_lo, 14, v24
	v_writelane_b32 v88, s8, 8
	s_and_b32 s8, vcc_lo, s7
	v_cmp_eq_u32_e32 vcc_lo, 13, v24
	v_writelane_b32 v88, s8, 9
	s_and_b32 s8, vcc_lo, s7
	v_cmp_gt_u32_e32 vcc_lo, 13, v24
	v_writelane_b32 v88, s8, 10
	;; [unrolled: 6-line block ×13, first 2 shown]
	s_and_b32 s8, vcc_lo, s7
	v_cmp_eq_u32_e32 vcc_lo, 1, v24
	v_writelane_b32 v87, s8, 1
	s_and_b32 s8, vcc_lo, s7
	v_cmp_eq_u32_e32 vcc_lo, 0, v24
	v_writelane_b32 v87, s8, 2
	v_cmp_gt_u32_e64 s8, 32, v6
	v_mul_u64_e32 v[24:25], s[60:61], v[28:29]
	s_and_b32 s39, vcc_lo, s7
	v_cmp_le_i32_e32 vcc_lo, s13, v6
	s_and_b32 s8, s3, s8
	s_delay_alu instid0(SALU_CYCLE_1) | instskip(SKIP_1) | instid1(SALU_CYCLE_1)
	v_writelane_b32 v87, s8, 3
	s_and_b32 s9, vcc_lo, s40
	s_xor_b32 s8, s9, -1
	v_writelane_b32 v87, s9, 4
	s_and_b32 s40, s3, s8
	v_cmp_le_i32_e64 s8, s13, v4
	s_cmp_gt_i32 s84, 0
	s_cselect_b32 s41, -1, 0
	s_lshl_b64 s[76:77], s[76:77], 2
	s_or_b32 s9, s8, vcc_lo
	v_cmp_le_i32_e64 s8, s13, v26
	s_or_b32 s10, s8, vcc_lo
	v_cmp_le_i32_e64 s8, s13, v30
	;; [unrolled: 2-line block ×3, first 2 shown]
	s_or_b32 s12, s8, vcc_lo
	s_load_b32 s8, s[0:1], 0x28
	v_cmp_gt_i32_e32 vcc_lo, s13, v6
	v_cmp_gt_u32_e64 s13, 12, v32
	s_wait_xcnt 0x0
	s_and_b32 s0, s3, vcc_lo
	v_cmp_gt_i32_e32 vcc_lo, s83, v10
	s_wait_kmcnt 0x0
	v_writelane_b32 v87, s8, 5
	v_writelane_b32 v87, s0, 6
	v_cmp_gt_i32_e64 s0, s83, v18
	v_subrev_nc_u32_e32 v18, 32, v5
	s_and_b32 s1, vcc_lo, s0
	v_cmp_gt_i32_e32 vcc_lo, s83, v2
	v_writelane_b32 v87, s1, 7
	v_dual_mov_b32 v5, v3 :: v_dual_add_nc_u32 v2, -16, v5
	s_and_b32 s1, vcc_lo, s0
	v_cmp_gt_i32_e32 vcc_lo, s83, v18
	v_writelane_b32 v87, s1, 8
	s_delay_alu instid0(VALU_DEP_3)
	v_mul_u64_e32 v[18:19], s[60:61], v[4:5]
	v_lshlrev_b32_e32 v5, 2, v20
	v_mul_u64_e32 v[20:21], s[60:61], v[26:27]
	s_and_b32 s1, vcc_lo, s0
	v_cmp_gt_i32_e32 vcc_lo, s83, v2
	v_writelane_b32 v87, s1, 9
	v_or_b32_e32 v2, v26, v6
	s_and_b32 s1, vcc_lo, s0
	s_delay_alu instid0(SALU_CYCLE_1) | instskip(SKIP_2) | instid1(SALU_CYCLE_1)
	v_writelane_b32 v87, s1, 10
	v_cmp_ge_u32_e64 s1, v6, v4
	s_or_b32 s8, s9, s1
	v_writelane_b32 v87, s8, 11
	v_cmp_ge_u32_e64 s8, v6, v26
	v_mad_u32_u24 v26, 0xfc, v6, v77
	s_or_b32 s9, s10, s8
	s_delay_alu instid0(VALU_DEP_1) | instskip(SKIP_4) | instid1(SALU_CYCLE_1)
	v_mad_u32 v77, v26, 7, v9
	v_writelane_b32 v87, s9, 12
	v_cmp_ge_u32_e64 s9, v6, v30
	v_lshlrev_b32_e32 v26, 2, v6
	s_or_b32 s10, s11, s9
	v_writelane_b32 v87, s10, 13
	v_cmp_ge_u32_e64 s10, v6, v28
	v_mov_b32_e32 v28, 1.0
	s_or_b32 s11, s12, s10
	v_cmp_gt_u32_e64 s12, 2, v32
	v_writelane_b32 v87, s11, 14
	v_cmp_eq_u32_e64 s11, 0, v82
	v_writelane_b32 v87, s42, 15
	v_cmp_gt_u32_e64 s42, 0xe0, v32
	s_delay_alu instid0(VALU_DEP_1) | instskip(SKIP_1) | instid1(VALU_DEP_1)
	v_writelane_b32 v87, s42, 16
	v_cmp_gt_u32_e64 s42, 0xd0, v32
	v_writelane_b32 v87, s42, 17
	v_cmp_gt_u32_e64 s42, 0xc0, v32
	s_delay_alu instid0(VALU_DEP_1) | instskip(SKIP_1) | instid1(VALU_DEP_1)
	v_writelane_b32 v87, s42, 18
	v_cmp_gt_u32_e64 s42, 0xb0, v32
	v_writelane_b32 v87, s42, 19
	v_cmp_gt_u32_e64 s42, 0xa0, v32
	s_delay_alu instid0(VALU_DEP_1) | instskip(SKIP_1) | instid1(VALU_DEP_1)
	v_writelane_b32 v87, s42, 20
	v_cmp_gt_u32_e64 s42, 0x90, v32
	v_writelane_b32 v87, s42, 21
	v_cmp_gt_u32_e64 s42, 0x80, v32
	s_delay_alu instid0(VALU_DEP_1) | instskip(SKIP_1) | instid1(VALU_DEP_1)
	v_writelane_b32 v87, s42, 22
	v_cmp_gt_u32_e64 s42, 0x70, v32
	v_writelane_b32 v87, s42, 23
	v_cmp_gt_u32_e64 s42, 0x60, v32
	s_delay_alu instid0(VALU_DEP_1) | instskip(SKIP_1) | instid1(VALU_DEP_1)
	v_writelane_b32 v87, s42, 24
	v_cmp_gt_u32_e64 s42, 0x50, v32
	v_writelane_b32 v87, s42, 25
	v_cmp_gt_u32_e64 s42, 0x3e0, v32
	s_delay_alu instid0(VALU_DEP_1) | instskip(SKIP_1) | instid1(VALU_DEP_1)
	v_writelane_b32 v87, s42, 26
	v_cmp_gt_u32_e64 s42, 0x3c0, v32
	v_writelane_b32 v87, s42, 27
	v_cmp_gt_u32_e64 s42, 0x3a0, v32
	s_delay_alu instid0(VALU_DEP_1) | instskip(SKIP_1) | instid1(VALU_DEP_1)
	v_writelane_b32 v87, s42, 28
	v_cmp_gt_u32_e64 s42, 0x380, v32
	v_writelane_b32 v87, s42, 29
	v_cmp_gt_u32_e64 s42, 0x360, v32
	s_delay_alu instid0(VALU_DEP_1) | instskip(SKIP_1) | instid1(VALU_DEP_1)
	v_writelane_b32 v87, s42, 30
	v_cmp_gt_u32_e64 s42, 0x340, v32
	v_writelane_b32 v87, s42, 31
	v_cmp_gt_u32_e64 s42, 0x320, v32
	s_delay_alu instid0(VALU_DEP_1) | instskip(SKIP_1) | instid1(VALU_DEP_1)
	v_writelane_b32 v86, s42, 0
	v_cmp_gt_u32_e64 s42, 0x300, v32
	v_writelane_b32 v86, s42, 1
	v_cmp_gt_u32_e64 s42, 0x2e0, v32
	s_delay_alu instid0(VALU_DEP_1) | instskip(SKIP_1) | instid1(VALU_DEP_1)
	v_writelane_b32 v86, s42, 2
	v_cmp_gt_u32_e64 s42, 0x2c0, v32
	v_writelane_b32 v86, s42, 3
	v_cmp_gt_u32_e64 s42, 0x2a0, v32
	s_delay_alu instid0(VALU_DEP_1) | instskip(SKIP_1) | instid1(VALU_DEP_1)
	v_writelane_b32 v86, s42, 4
	v_cmp_gt_u32_e64 s42, 0x280, v32
	v_writelane_b32 v86, s42, 5
	v_cmp_gt_u32_e64 s42, 0x260, v32
	s_delay_alu instid0(VALU_DEP_1) | instskip(SKIP_1) | instid1(VALU_DEP_1)
	v_writelane_b32 v86, s42, 6
	v_cmp_gt_u32_e64 s42, 0x240, v32
	v_writelane_b32 v86, s42, 7
	v_cmp_gt_u32_e64 s42, 0x220, v32
	s_delay_alu instid0(VALU_DEP_1) | instskip(SKIP_1) | instid1(VALU_DEP_1)
	v_writelane_b32 v86, s42, 8
	v_cmp_gt_u32_e64 s42, 0x200, v32
	v_writelane_b32 v86, s42, 9
	v_cmp_gt_u32_e64 s42, 0x1e0, v32
	s_delay_alu instid0(VALU_DEP_1) | instskip(SKIP_1) | instid1(VALU_DEP_1)
	v_writelane_b32 v86, s42, 10
	v_cmp_gt_u32_e64 s42, 0x1c0, v32
	v_writelane_b32 v86, s42, 11
	v_cmp_gt_u32_e64 s42, 0x1a0, v32
	s_delay_alu instid0(VALU_DEP_1) | instskip(SKIP_1) | instid1(VALU_DEP_1)
	v_writelane_b32 v86, s42, 12
	v_cmp_gt_u32_e64 s42, 0x180, v32
	v_writelane_b32 v86, s42, 13
	v_cmp_gt_u32_e64 s42, 0x160, v32
	s_delay_alu instid0(VALU_DEP_1) | instskip(SKIP_1) | instid1(VALU_DEP_1)
	v_writelane_b32 v86, s42, 14
	v_cmp_gt_u32_e64 s42, 0x140, v32
	v_writelane_b32 v86, s42, 15
	v_cmp_gt_u32_e64 s42, 0x120, v32
	s_delay_alu instid0(VALU_DEP_1) | instskip(SKIP_1) | instid1(VALU_DEP_1)
	v_writelane_b32 v86, s42, 16
	v_cmp_gt_u32_e64 s42, 64, v82
	v_writelane_b32 v86, s42, 17
	v_cmp_gt_u32_e64 s42, 64, v2
	s_delay_alu instid0(VALU_DEP_1) | instskip(SKIP_1) | instid1(VALU_DEP_1)
	v_writelane_b32 v86, s42, 18
	v_cmp_gt_u32_e64 s42, 64, v83
	v_writelane_b32 v86, s42, 19
	v_cmp_gt_u32_e64 s42, 64, v31
	s_delay_alu instid0(VALU_DEP_1)
	v_writelane_b32 v86, s42, 20
	s_branch .LBB15_3
.LBB15_2:                               ;   in Loop: Header=BB15_3 Depth=1
	s_wait_xcnt 0x0
	s_or_b32 exec_lo, exec_lo, s42
	v_readlane_b32 s42, v89, 0
	s_add_co_i32 s72, s72, 0x10000
	global_wb scope:SCOPE_DEV
	s_wait_storecnt 0x0
	global_inv scope:SCOPE_DEV
	s_cmp_lt_u32 s72, s42
	s_cbranch_scc0 .LBB15_1225
.LBB15_3:                               ; =>This Loop Header: Depth=1
                                        ;     Child Loop BB15_1094 Depth 2
                                        ;       Child Loop BB15_1096 Depth 3
                                        ;     Child Loop BB15_1131 Depth 2
	s_mul_u64 s[60:61], s[62:63], s[72:73]
	v_readlane_b32 s42, v89, 1
	s_lshl_b64 s[60:61], s[60:61], 2
	s_delay_alu instid0(SALU_CYCLE_1)
	s_add_nc_u64 s[78:79], s[74:75], s[60:61]
	s_and_not1_b32 vcc_lo, exec_lo, s42
	v_lshl_add_u64 v[30:31], v[12:13], 2, s[78:79]
	s_cbranch_vccnz .LBB15_13
; %bb.4:                                ;   in Loop: Header=BB15_3 Depth=1
	s_delay_alu instid0(VALU_DEP_1)
	v_lshl_add_u64 v[32:33], v[10:11], 2, v[30:31]
	v_dual_mov_b32 v79, 0 :: v_dual_mov_b32 v78, 0
	s_barrier_signal -1
	s_barrier_wait -1
	s_mov_b32 s42, exec_lo
	v_readlane_b32 s57, v87, 7
	s_and_b32 s57, s42, s57
	s_delay_alu instid0(SALU_CYCLE_1)
	s_mov_b32 exec_lo, s57
	s_cbranch_execz .LBB15_6
; %bb.5:                                ;   in Loop: Header=BB15_3 Depth=1
	global_load_b32 v78, v[32:33], off
.LBB15_6:                               ;   in Loop: Header=BB15_3 Depth=1
	s_wait_xcnt 0x0
	s_or_b32 exec_lo, exec_lo, s42
	s_wait_loadcnt 0x0
	s_barrier_signal -1
	s_barrier_wait -1
	s_mov_b32 s42, exec_lo
	v_readlane_b32 s57, v87, 8
	s_and_b32 s57, s42, s57
	s_delay_alu instid0(SALU_CYCLE_1)
	s_mov_b32 exec_lo, s57
	s_cbranch_execz .LBB15_8
; %bb.7:                                ;   in Loop: Header=BB15_3 Depth=1
	global_load_b32 v79, v[32:33], off offset:64
.LBB15_8:                               ;   in Loop: Header=BB15_3 Depth=1
	s_wait_xcnt 0x0
	s_or_b32 exec_lo, exec_lo, s42
	v_dual_mov_b32 v81, 0 :: v_dual_mov_b32 v80, 0
	s_wait_loadcnt 0x0
	s_barrier_signal -1
	s_barrier_wait -1
	s_mov_b32 s42, exec_lo
	v_readlane_b32 s57, v87, 9
	s_and_b32 s57, s42, s57
	s_delay_alu instid0(SALU_CYCLE_1)
	s_mov_b32 exec_lo, s57
	s_cbranch_execz .LBB15_10
; %bb.9:                                ;   in Loop: Header=BB15_3 Depth=1
	global_load_b32 v80, v[32:33], off offset:128
.LBB15_10:                              ;   in Loop: Header=BB15_3 Depth=1
	s_wait_xcnt 0x0
	s_or_b32 exec_lo, exec_lo, s42
	s_wait_loadcnt 0x0
	s_barrier_signal -1
	s_barrier_wait -1
	s_mov_b32 s42, exec_lo
	v_readlane_b32 s57, v87, 10
	s_and_b32 s57, s42, s57
	s_delay_alu instid0(SALU_CYCLE_1)
	s_mov_b32 exec_lo, s57
	s_cbranch_execz .LBB15_12
; %bb.11:                               ;   in Loop: Header=BB15_3 Depth=1
	global_load_b32 v81, v[32:33], off offset:192
.LBB15_12:                              ;   in Loop: Header=BB15_3 Depth=1
	s_wait_xcnt 0x0
	s_or_b32 exec_lo, exec_lo, s42
.LBB15_13:                              ;   in Loop: Header=BB15_3 Depth=1
	s_add_nc_u64 s[60:61], s[78:79], s[76:77]
	s_and_not1_b32 vcc_lo, exec_lo, s86
	v_add_nc_u64_e32 v[32:33], s[60:61], v[26:27]
	s_mov_b32 s42, -1
	s_cbranch_vccnz .LBB15_24
; %bb.14:                               ;   in Loop: Header=BB15_3 Depth=1
	s_and_saveexec_b32 s42, s1
	s_delay_alu instid0(SALU_CYCLE_1)
	s_xor_b32 s57, exec_lo, s42
	s_cbranch_execnz .LBB15_1152
; %bb.15:                               ;   in Loop: Header=BB15_3 Depth=1
	s_and_not1_saveexec_b32 s42, s57
	s_cbranch_execnz .LBB15_1155
.LBB15_16:                              ;   in Loop: Header=BB15_3 Depth=1
	s_or_b32 exec_lo, exec_lo, s42
	s_and_saveexec_b32 s42, s8
	s_delay_alu instid0(SALU_CYCLE_1)
	s_xor_b32 s57, exec_lo, s42
	s_cbranch_execnz .LBB15_1156
.LBB15_17:                              ;   in Loop: Header=BB15_3 Depth=1
	s_and_not1_saveexec_b32 s42, s57
	s_cbranch_execnz .LBB15_1159
.LBB15_18:                              ;   in Loop: Header=BB15_3 Depth=1
	s_or_b32 exec_lo, exec_lo, s42
	s_and_saveexec_b32 s42, s9
	s_delay_alu instid0(SALU_CYCLE_1)
	s_xor_b32 s57, exec_lo, s42
	s_cbranch_execnz .LBB15_1160
.LBB15_19:                              ;   in Loop: Header=BB15_3 Depth=1
	s_and_not1_saveexec_b32 s42, s57
	s_cbranch_execnz .LBB15_1163
.LBB15_20:                              ;   in Loop: Header=BB15_3 Depth=1
	s_or_b32 exec_lo, exec_lo, s42
	s_and_saveexec_b32 s42, s10
	s_delay_alu instid0(SALU_CYCLE_1)
	s_xor_b32 s57, exec_lo, s42
	s_cbranch_execnz .LBB15_1164
.LBB15_21:                              ;   in Loop: Header=BB15_3 Depth=1
	s_and_not1_saveexec_b32 s42, s57
	s_cbranch_execz .LBB15_23
.LBB15_22:                              ;   in Loop: Header=BB15_3 Depth=1
	v_lshl_add_u64 v[82:83], v[24:25], 2, v[32:33]
	global_load_b32 v2, v[82:83], off
	s_wait_loadcnt 0x0
	v_xor_b32_e32 v2, 0x80000000, v2
	ds_store_b32 v75, v2
.LBB15_23:                              ;   in Loop: Header=BB15_3 Depth=1
	s_or_b32 exec_lo, exec_lo, s42
	s_mov_b32 s42, 0
.LBB15_24:                              ;   in Loop: Header=BB15_3 Depth=1
	s_delay_alu instid0(SALU_CYCLE_1)
	s_and_b32 vcc_lo, exec_lo, s42
	s_cbranch_vccz .LBB15_50
; %bb.25:                               ;   in Loop: Header=BB15_3 Depth=1
	v_readlane_b32 s57, v87, 11
	s_and_saveexec_b32 s42, s57
	s_delay_alu instid0(SALU_CYCLE_1)
	s_xor_b32 s57, exec_lo, s42
	s_cbranch_execz .LBB15_29
; %bb.26:                               ;   in Loop: Header=BB15_3 Depth=1
	s_mov_b32 s42, exec_lo
	v_readlane_b32 s60, v86, 17
	s_and_b32 s60, s42, s60
	s_delay_alu instid0(SALU_CYCLE_1)
	s_mov_b32 exec_lo, s60
; %bb.27:                               ;   in Loop: Header=BB15_3 Depth=1
	ds_store_b32 v76, v3
; %bb.28:                               ;   in Loop: Header=BB15_3 Depth=1
	s_or_b32 exec_lo, exec_lo, s42
.LBB15_29:                              ;   in Loop: Header=BB15_3 Depth=1
	s_and_not1_saveexec_b32 s42, s57
	s_cbranch_execz .LBB15_31
; %bb.30:                               ;   in Loop: Header=BB15_3 Depth=1
	v_lshl_add_u64 v[82:83], v[18:19], 2, v[32:33]
	global_load_b32 v2, v[82:83], off
	s_wait_loadcnt 0x0
	v_xor_b32_e32 v2, 0x80000000, v2
	ds_store_b32 v76, v2
.LBB15_31:                              ;   in Loop: Header=BB15_3 Depth=1
	s_or_b32 exec_lo, exec_lo, s42
	v_readlane_b32 s57, v87, 12
	s_and_saveexec_b32 s42, s57
	s_delay_alu instid0(SALU_CYCLE_1)
	s_xor_b32 s57, exec_lo, s42
	s_cbranch_execz .LBB15_35
; %bb.32:                               ;   in Loop: Header=BB15_3 Depth=1
	s_mov_b32 s42, exec_lo
	v_readlane_b32 s60, v86, 18
	s_and_b32 s60, s42, s60
	s_delay_alu instid0(SALU_CYCLE_1)
	s_mov_b32 exec_lo, s60
; %bb.33:                               ;   in Loop: Header=BB15_3 Depth=1
	ds_store_b32 v5, v3
; %bb.34:                               ;   in Loop: Header=BB15_3 Depth=1
	s_or_b32 exec_lo, exec_lo, s42
.LBB15_35:                              ;   in Loop: Header=BB15_3 Depth=1
	s_and_not1_saveexec_b32 s42, s57
	s_cbranch_execz .LBB15_37
; %bb.36:                               ;   in Loop: Header=BB15_3 Depth=1
	v_lshl_add_u64 v[82:83], v[20:21], 2, v[32:33]
	global_load_b32 v2, v[82:83], off
	s_wait_loadcnt 0x0
	v_xor_b32_e32 v2, 0x80000000, v2
	ds_store_b32 v5, v2
.LBB15_37:                              ;   in Loop: Header=BB15_3 Depth=1
	s_or_b32 exec_lo, exec_lo, s42
	v_readlane_b32 s57, v87, 13
	s_and_saveexec_b32 s42, s57
	s_delay_alu instid0(SALU_CYCLE_1)
	s_xor_b32 s57, exec_lo, s42
	s_cbranch_execz .LBB15_41
; %bb.38:                               ;   in Loop: Header=BB15_3 Depth=1
	s_mov_b32 s42, exec_lo
	v_readlane_b32 s60, v86, 19
	s_and_b32 s60, s42, s60
	s_delay_alu instid0(SALU_CYCLE_1)
	s_mov_b32 exec_lo, s60
; %bb.39:                               ;   in Loop: Header=BB15_3 Depth=1
	ds_store_b32 v74, v3
; %bb.40:                               ;   in Loop: Header=BB15_3 Depth=1
	s_or_b32 exec_lo, exec_lo, s42
.LBB15_41:                              ;   in Loop: Header=BB15_3 Depth=1
	s_and_not1_saveexec_b32 s42, s57
	s_cbranch_execz .LBB15_43
; %bb.42:                               ;   in Loop: Header=BB15_3 Depth=1
	v_lshl_add_u64 v[82:83], v[22:23], 2, v[32:33]
	global_load_b32 v2, v[82:83], off
	s_wait_loadcnt 0x0
	v_xor_b32_e32 v2, 0x80000000, v2
	ds_store_b32 v74, v2
.LBB15_43:                              ;   in Loop: Header=BB15_3 Depth=1
	s_or_b32 exec_lo, exec_lo, s42
	v_readlane_b32 s57, v87, 14
	s_and_saveexec_b32 s42, s57
	s_delay_alu instid0(SALU_CYCLE_1)
	s_xor_b32 s57, exec_lo, s42
	s_cbranch_execz .LBB15_47
; %bb.44:                               ;   in Loop: Header=BB15_3 Depth=1
	s_mov_b32 s42, exec_lo
	v_readlane_b32 s60, v86, 20
	s_and_b32 s60, s42, s60
	s_delay_alu instid0(SALU_CYCLE_1)
	s_mov_b32 exec_lo, s60
; %bb.45:                               ;   in Loop: Header=BB15_3 Depth=1
	ds_store_b32 v75, v3
; %bb.46:                               ;   in Loop: Header=BB15_3 Depth=1
	s_or_b32 exec_lo, exec_lo, s42
                                        ; implicit-def: $vgpr32_vgpr33
.LBB15_47:                              ;   in Loop: Header=BB15_3 Depth=1
	s_and_not1_saveexec_b32 s42, s57
	s_cbranch_execz .LBB15_49
; %bb.48:                               ;   in Loop: Header=BB15_3 Depth=1
	v_lshl_add_u64 v[32:33], v[24:25], 2, v[32:33]
	global_load_b32 v2, v[32:33], off
	s_wait_loadcnt 0x0
	v_xor_b32_e32 v2, 0x80000000, v2
	ds_store_b32 v75, v2
.LBB15_49:                              ;   in Loop: Header=BB15_3 Depth=1
	s_or_b32 exec_lo, exec_lo, s42
.LBB15_50:                              ;   in Loop: Header=BB15_3 Depth=1
	s_delay_alu instid0(SALU_CYCLE_1)
	s_and_not1_b32 vcc_lo, exec_lo, s87
	s_wait_loadcnt_dscnt 0x0
	s_barrier_signal -1
	s_barrier_wait -1
	s_cbranch_vccnz .LBB15_1088
; %bb.51:                               ;   in Loop: Header=BB15_3 Depth=1
	s_and_saveexec_b32 s57, s11
	s_cbranch_execz .LBB15_53
; %bb.52:                               ;   in Loop: Header=BB15_3 Depth=1
	ds_load_b32 v29, v3 offset:16376
	ds_store_b32 v3, v28 offset:16380
	s_wait_dscnt 0x1
	ds_store_b64 v3, v[28:29] offset:16120
.LBB15_53:                              ;   in Loop: Header=BB15_3 Depth=1
	s_or_b32 exec_lo, exec_lo, s57
	v_mov_b32_e32 v2, 0
	s_wait_dscnt 0x0
	s_barrier_signal -1
	s_barrier_wait -1
	global_wb scope:SCOPE_DEV
	s_wait_storecnt 0x0
	global_inv scope:SCOPE_DEV
	s_and_saveexec_b32 s57, s2
	s_cbranch_execz .LBB15_57
; %bb.54:                               ;   in Loop: Header=BB15_3 Depth=1
	ds_load_b32 v2, v43 offset:16112
	ds_load_b32 v29, v44 offset:16376
	s_wait_dscnt 0x0
	v_fma_f32 v2, v2, v29, 0
	s_and_saveexec_b32 s42, s12
	s_cbranch_execz .LBB15_56
; %bb.55:                               ;   in Loop: Header=BB15_3 Depth=1
	ds_load_b32 v29, v9 offset:16368
	ds_load_b32 v32, v3 offset:16380
	s_wait_dscnt 0x0
	v_fmac_f32_e32 v2, v29, v32
.LBB15_56:                              ;   in Loop: Header=BB15_3 Depth=1
	s_or_b32 exec_lo, exec_lo, s42
.LBB15_57:                              ;   in Loop: Header=BB15_3 Depth=1
	s_delay_alu instid0(SALU_CYCLE_1)
	s_or_b32 exec_lo, exec_lo, s57
	s_and_saveexec_b32 s42, s88
; %bb.58:                               ;   in Loop: Header=BB15_3 Depth=1
	s_delay_alu instid0(VALU_DEP_1)
	v_xor_b32_e32 v29, 0x80000000, v2
	ds_store_b32 v41, v29
; %bb.59:                               ;   in Loop: Header=BB15_3 Depth=1
	s_or_b32 exec_lo, exec_lo, s42
	s_wait_loadcnt_dscnt 0x0
	s_barrier_signal -1
	s_barrier_wait -1
	s_and_saveexec_b32 s42, s89
	s_cbranch_execz .LBB15_61
; %bb.60:                               ;   in Loop: Header=BB15_3 Depth=1
	ds_load_b32 v29, v3 offset:15856
	ds_load_b32 v32, v41
	s_wait_dscnt 0x0
	v_fma_f32 v2, -v29, v32, v2
.LBB15_61:                              ;   in Loop: Header=BB15_3 Depth=1
	s_or_b32 exec_lo, exec_lo, s42
	s_barrier_signal -1
	s_barrier_wait -1
	s_and_saveexec_b32 s42, s89
; %bb.62:                               ;   in Loop: Header=BB15_3 Depth=1
	v_xor_b32_e32 v29, 0x80000000, v2
	ds_store_b32 v41, v29
; %bb.63:                               ;   in Loop: Header=BB15_3 Depth=1
	s_or_b32 exec_lo, exec_lo, s42
	s_wait_dscnt 0x0
	s_barrier_signal -1
	s_barrier_wait -1
	s_barrier_signal -1
	s_barrier_wait -1
	s_and_saveexec_b32 s42, s2
; %bb.64:                               ;   in Loop: Header=BB15_3 Depth=1
	ds_store_b32 v46, v2 offset:16368
; %bb.65:                               ;   in Loop: Header=BB15_3 Depth=1
	s_or_b32 exec_lo, exec_lo, s42
	s_wait_dscnt 0x0
	s_barrier_signal -1
	s_barrier_wait -1
	s_barrier_signal -1
	s_barrier_wait -1
	s_and_saveexec_b32 s42, s90
	s_cbranch_execz .LBB15_67
; %bb.66:                               ;   in Loop: Header=BB15_3 Depth=1
	ds_load_b32 v2, v34 offset:16112
	s_wait_dscnt 0x0
	ds_store_b32 v9, v2 offset:15608
	ds_load_b32 v2, v34 offset:16116
	s_wait_dscnt 0x0
	ds_store_b32 v9, v2 offset:15864
.LBB15_67:                              ;   in Loop: Header=BB15_3 Depth=1
	s_or_b32 exec_lo, exec_lo, s42
	s_wait_dscnt 0x0
	s_barrier_signal -1
	s_barrier_wait -1
	s_and_saveexec_b32 s42, s11
	s_cbranch_execz .LBB15_69
; %bb.68:                               ;   in Loop: Header=BB15_3 Depth=1
	ds_load_b32 v29, v3 offset:15856
	ds_store_b32 v3, v28 offset:15860
	s_wait_dscnt 0x1
	ds_store_b64 v3, v[28:29] offset:15600
.LBB15_69:                              ;   in Loop: Header=BB15_3 Depth=1
	s_or_b32 exec_lo, exec_lo, s42
	v_mov_b32_e32 v2, 0
	s_wait_dscnt 0x0
	s_barrier_signal -1
	s_barrier_wait -1
	global_wb scope:SCOPE_DEV
	s_wait_storecnt 0x0
	global_inv scope:SCOPE_DEV
	s_and_saveexec_b32 s60, s4
	s_cbranch_execz .LBB15_75
; %bb.70:                               ;   in Loop: Header=BB15_3 Depth=1
	ds_load_b32 v2, v48 offset:15584
	ds_load_b32 v29, v50 offset:16368
	s_wait_dscnt 0x0
	v_fma_f32 v2, v2, v29, 0
	s_and_saveexec_b32 s42, s13
	s_cbranch_execnz .LBB15_1175
; %bb.71:                               ;   in Loop: Header=BB15_3 Depth=1
	s_or_b32 exec_lo, exec_lo, s42
	s_and_saveexec_b32 s42, s14
	s_cbranch_execnz .LBB15_1176
.LBB15_72:                              ;   in Loop: Header=BB15_3 Depth=1
	s_or_b32 exec_lo, exec_lo, s42
	s_and_saveexec_b32 s42, s2
	s_cbranch_execz .LBB15_74
.LBB15_73:                              ;   in Loop: Header=BB15_3 Depth=1
	ds_load_b32 v29, v35 offset:16352
	ds_load_b32 v32, v3 offset:16380
	s_wait_dscnt 0x0
	v_fmac_f32_e32 v2, v29, v32
.LBB15_74:                              ;   in Loop: Header=BB15_3 Depth=1
	s_or_b32 exec_lo, exec_lo, s42
.LBB15_75:                              ;   in Loop: Header=BB15_3 Depth=1
	s_delay_alu instid0(SALU_CYCLE_1)
	s_or_b32 exec_lo, exec_lo, s60
	s_and_saveexec_b32 s42, s91
; %bb.76:                               ;   in Loop: Header=BB15_3 Depth=1
	s_delay_alu instid0(VALU_DEP_1)
	v_xor_b32_e32 v29, 0x80000000, v2
	ds_store_b32 v47, v29
; %bb.77:                               ;   in Loop: Header=BB15_3 Depth=1
	s_or_b32 exec_lo, exec_lo, s42
	s_wait_loadcnt_dscnt 0x0
	s_barrier_signal -1
	s_barrier_wait -1
	s_and_saveexec_b32 s42, s92
	s_cbranch_execz .LBB15_79
; %bb.78:                               ;   in Loop: Header=BB15_3 Depth=1
	ds_load_b32 v29, v48 offset:15328
	ds_load_b32 v32, v47
	s_wait_dscnt 0x0
	v_fma_f32 v2, -v29, v32, v2
.LBB15_79:                              ;   in Loop: Header=BB15_3 Depth=1
	s_or_b32 exec_lo, exec_lo, s42
	s_barrier_signal -1
	s_barrier_wait -1
	s_and_saveexec_b32 s42, s93
; %bb.80:                               ;   in Loop: Header=BB15_3 Depth=1
	v_xor_b32_e32 v29, 0x80000000, v2
	ds_store_b32 v47, v29
; %bb.81:                               ;   in Loop: Header=BB15_3 Depth=1
	s_or_b32 exec_lo, exec_lo, s42
	s_wait_dscnt 0x0
	s_barrier_signal -1
	s_barrier_wait -1
	s_and_saveexec_b32 s42, s94
	s_cbranch_execz .LBB15_83
; %bb.82:                               ;   in Loop: Header=BB15_3 Depth=1
	ds_load_b32 v29, v48 offset:15072
	ds_load_b32 v32, v47
	s_wait_dscnt 0x0
	v_fma_f32 v2, -v29, v32, v2
.LBB15_83:                              ;   in Loop: Header=BB15_3 Depth=1
	s_or_b32 exec_lo, exec_lo, s42
	s_barrier_signal -1
	s_barrier_wait -1
	s_and_saveexec_b32 s42, s95
; %bb.84:                               ;   in Loop: Header=BB15_3 Depth=1
	v_xor_b32_e32 v29, 0x80000000, v2
	ds_store_b32 v47, v29
; %bb.85:                               ;   in Loop: Header=BB15_3 Depth=1
	s_or_b32 exec_lo, exec_lo, s42
	s_wait_dscnt 0x0
	;; [unrolled: 20-line block ×3, first 2 shown]
	s_barrier_signal -1
	s_barrier_wait -1
	s_barrier_signal -1
	s_barrier_wait -1
	s_and_saveexec_b32 s42, s4
; %bb.90:                               ;   in Loop: Header=BB15_3 Depth=1
	ds_store_b32 v51, v2 offset:16352
; %bb.91:                               ;   in Loop: Header=BB15_3 Depth=1
	s_or_b32 exec_lo, exec_lo, s42
	s_wait_dscnt 0x0
	s_barrier_signal -1
	s_barrier_wait -1
	s_barrier_signal -1
	s_barrier_wait -1
	s_and_saveexec_b32 s57, s97
	s_cbranch_execz .LBB15_93
; %bb.92:                               ;   in Loop: Header=BB15_3 Depth=1
	ds_load_b32 v2, v36 offset:15584
	s_wait_dscnt 0x0
	ds_store_b32 v37, v2 offset:14576
	ds_load_b32 v2, v36 offset:15588
	s_wait_dscnt 0x0
	ds_store_b32 v37, v2 offset:14832
	;; [unrolled: 3-line block ×4, first 2 shown]
.LBB15_93:                              ;   in Loop: Header=BB15_3 Depth=1
	s_or_b32 exec_lo, exec_lo, s57
	s_wait_dscnt 0x0
	s_barrier_signal -1
	s_barrier_wait -1
	s_and_saveexec_b32 s42, s11
	s_cbranch_execz .LBB15_95
; %bb.94:                               ;   in Loop: Header=BB15_3 Depth=1
	ds_load_b32 v29, v3 offset:15336
	ds_store_b32 v3, v28 offset:15340
	s_wait_dscnt 0x1
	ds_store_b64 v3, v[28:29] offset:15080
.LBB15_95:                              ;   in Loop: Header=BB15_3 Depth=1
	s_or_b32 exec_lo, exec_lo, s42
	v_mov_b32_e32 v2, 0
	s_wait_dscnt 0x0
	s_barrier_signal -1
	s_barrier_wait -1
	global_wb scope:SCOPE_DEV
	s_wait_storecnt 0x0
	global_inv scope:SCOPE_DEV
	s_and_saveexec_b32 s57, s2
	s_cbranch_execz .LBB15_99
; %bb.96:                               ;   in Loop: Header=BB15_3 Depth=1
	ds_load_b32 v2, v43 offset:15072
	ds_load_b32 v29, v44 offset:15336
	s_wait_dscnt 0x0
	v_fma_f32 v2, v2, v29, 0
	s_and_saveexec_b32 s42, s12
	s_cbranch_execz .LBB15_98
; %bb.97:                               ;   in Loop: Header=BB15_3 Depth=1
	ds_load_b32 v29, v37 offset:15328
	ds_load_b32 v32, v3 offset:15340
	s_wait_dscnt 0x0
	v_fmac_f32_e32 v2, v29, v32
.LBB15_98:                              ;   in Loop: Header=BB15_3 Depth=1
	s_or_b32 exec_lo, exec_lo, s42
.LBB15_99:                              ;   in Loop: Header=BB15_3 Depth=1
	s_delay_alu instid0(SALU_CYCLE_1)
	s_or_b32 exec_lo, exec_lo, s57
	s_and_saveexec_b32 s42, s88
; %bb.100:                              ;   in Loop: Header=BB15_3 Depth=1
	s_delay_alu instid0(VALU_DEP_1)
	v_xor_b32_e32 v29, 0x80000000, v2
	ds_store_b32 v41, v29
; %bb.101:                              ;   in Loop: Header=BB15_3 Depth=1
	s_or_b32 exec_lo, exec_lo, s42
	s_wait_loadcnt_dscnt 0x0
	s_barrier_signal -1
	s_barrier_wait -1
	s_and_saveexec_b32 s42, s89
	s_cbranch_execz .LBB15_103
; %bb.102:                              ;   in Loop: Header=BB15_3 Depth=1
	ds_load_b32 v29, v3 offset:14816
	ds_load_b32 v32, v41
	s_wait_dscnt 0x0
	v_fma_f32 v2, -v29, v32, v2
.LBB15_103:                             ;   in Loop: Header=BB15_3 Depth=1
	s_or_b32 exec_lo, exec_lo, s42
	s_barrier_signal -1
	s_barrier_wait -1
	s_and_saveexec_b32 s42, s89
; %bb.104:                              ;   in Loop: Header=BB15_3 Depth=1
	v_xor_b32_e32 v29, 0x80000000, v2
	ds_store_b32 v41, v29
; %bb.105:                              ;   in Loop: Header=BB15_3 Depth=1
	s_or_b32 exec_lo, exec_lo, s42
	s_wait_dscnt 0x0
	s_barrier_signal -1
	s_barrier_wait -1
	s_barrier_signal -1
	s_barrier_wait -1
	s_and_saveexec_b32 s42, s2
; %bb.106:                              ;   in Loop: Header=BB15_3 Depth=1
	ds_store_b32 v46, v2 offset:15328
; %bb.107:                              ;   in Loop: Header=BB15_3 Depth=1
	s_or_b32 exec_lo, exec_lo, s42
	s_wait_dscnt 0x0
	s_barrier_signal -1
	s_barrier_wait -1
	s_barrier_signal -1
	s_barrier_wait -1
	s_and_saveexec_b32 s42, s90
	s_cbranch_execz .LBB15_109
; %bb.108:                              ;   in Loop: Header=BB15_3 Depth=1
	ds_load_b32 v2, v38 offset:15072
	s_wait_dscnt 0x0
	ds_store_b32 v37, v2 offset:14568
	ds_load_b32 v2, v38 offset:15076
	s_wait_dscnt 0x0
	ds_store_b32 v37, v2 offset:14824
.LBB15_109:                             ;   in Loop: Header=BB15_3 Depth=1
	s_or_b32 exec_lo, exec_lo, s42
	s_wait_dscnt 0x0
	s_barrier_signal -1
	s_barrier_wait -1
	s_and_saveexec_b32 s42, s11
	s_cbranch_execz .LBB15_111
; %bb.110:                              ;   in Loop: Header=BB15_3 Depth=1
	ds_load_b32 v29, v3 offset:14816
	ds_store_b32 v3, v28 offset:14820
	s_wait_dscnt 0x1
	ds_store_b64 v3, v[28:29] offset:14560
.LBB15_111:                             ;   in Loop: Header=BB15_3 Depth=1
	s_or_b32 exec_lo, exec_lo, s42
	v_mov_b32_e32 v2, 0
	s_wait_dscnt 0x0
	s_barrier_signal -1
	s_barrier_wait -1
	global_wb scope:SCOPE_DEV
	s_wait_storecnt 0x0
	global_inv scope:SCOPE_DEV
	s_and_saveexec_b32 s60, s5
	s_cbranch_execz .LBB15_121
; %bb.112:                              ;   in Loop: Header=BB15_3 Depth=1
	ds_load_b32 v2, v53 offset:14528
	ds_load_b32 v29, v56 offset:16352
	s_wait_dscnt 0x0
	v_fma_f32 v2, v2, v29, 0
	s_and_saveexec_b32 s42, s15
	s_cbranch_execnz .LBB15_1177
; %bb.113:                              ;   in Loop: Header=BB15_3 Depth=1
	s_or_b32 exec_lo, exec_lo, s42
	s_and_saveexec_b32 s42, s16
	s_cbranch_execnz .LBB15_1178
.LBB15_114:                             ;   in Loop: Header=BB15_3 Depth=1
	s_or_b32 exec_lo, exec_lo, s42
	s_and_saveexec_b32 s42, s17
	s_cbranch_execnz .LBB15_1179
.LBB15_115:                             ;   in Loop: Header=BB15_3 Depth=1
	s_or_b32 exec_lo, exec_lo, s42
	s_and_saveexec_b32 s42, s18
	s_cbranch_execnz .LBB15_1180
.LBB15_116:                             ;   in Loop: Header=BB15_3 Depth=1
	s_or_b32 exec_lo, exec_lo, s42
	s_and_saveexec_b32 s42, s19
	s_cbranch_execnz .LBB15_1181
.LBB15_117:                             ;   in Loop: Header=BB15_3 Depth=1
	s_or_b32 exec_lo, exec_lo, s42
	s_and_saveexec_b32 s42, s4
	s_cbranch_execnz .LBB15_1182
.LBB15_118:                             ;   in Loop: Header=BB15_3 Depth=1
	s_or_b32 exec_lo, exec_lo, s42
	s_and_saveexec_b32 s42, s14
	s_cbranch_execz .LBB15_120
.LBB15_119:                             ;   in Loop: Header=BB15_3 Depth=1
	ds_load_b32 v29, v39 offset:16320
	ds_load_b32 v32, v3 offset:16380
	s_wait_dscnt 0x0
	v_fmac_f32_e32 v2, v29, v32
.LBB15_120:                             ;   in Loop: Header=BB15_3 Depth=1
	s_or_b32 exec_lo, exec_lo, s42
.LBB15_121:                             ;   in Loop: Header=BB15_3 Depth=1
	s_delay_alu instid0(SALU_CYCLE_1)
	s_or_b32 exec_lo, exec_lo, s60
	s_and_saveexec_b32 s42, s98
; %bb.122:                              ;   in Loop: Header=BB15_3 Depth=1
	s_delay_alu instid0(VALU_DEP_1)
	v_xor_b32_e32 v29, 0x80000000, v2
	ds_store_b32 v54, v29
; %bb.123:                              ;   in Loop: Header=BB15_3 Depth=1
	s_or_b32 exec_lo, exec_lo, s42
	s_wait_loadcnt_dscnt 0x0
	s_barrier_signal -1
	s_barrier_wait -1
	s_and_saveexec_b32 s42, s99
	s_cbranch_execz .LBB15_125
; %bb.124:                              ;   in Loop: Header=BB15_3 Depth=1
	ds_load_b32 v29, v53 offset:14272
	ds_load_b32 v32, v54
	s_wait_dscnt 0x0
	v_fma_f32 v2, -v29, v32, v2
.LBB15_125:                             ;   in Loop: Header=BB15_3 Depth=1
	s_or_b32 exec_lo, exec_lo, s42
	s_barrier_signal -1
	s_barrier_wait -1
	s_and_saveexec_b32 s42, s100
; %bb.126:                              ;   in Loop: Header=BB15_3 Depth=1
	v_xor_b32_e32 v29, 0x80000000, v2
	ds_store_b32 v54, v29
; %bb.127:                              ;   in Loop: Header=BB15_3 Depth=1
	s_or_b32 exec_lo, exec_lo, s42
	s_wait_dscnt 0x0
	s_barrier_signal -1
	s_barrier_wait -1
	s_and_saveexec_b32 s42, s101
	s_cbranch_execz .LBB15_129
; %bb.128:                              ;   in Loop: Header=BB15_3 Depth=1
	ds_load_b32 v29, v53 offset:14016
	ds_load_b32 v32, v54
	s_wait_dscnt 0x0
	v_fma_f32 v2, -v29, v32, v2
.LBB15_129:                             ;   in Loop: Header=BB15_3 Depth=1
	s_or_b32 exec_lo, exec_lo, s42
	s_barrier_signal -1
	s_barrier_wait -1
	s_and_saveexec_b32 s42, s102
; %bb.130:                              ;   in Loop: Header=BB15_3 Depth=1
	v_xor_b32_e32 v29, 0x80000000, v2
	ds_store_b32 v54, v29
; %bb.131:                              ;   in Loop: Header=BB15_3 Depth=1
	s_or_b32 exec_lo, exec_lo, s42
	s_wait_dscnt 0x0
	;; [unrolled: 20-line block ×3, first 2 shown]
	s_barrier_signal -1
	s_barrier_wait -1
	s_and_saveexec_b32 s42, vcc_hi
	s_cbranch_execz .LBB15_137
; %bb.136:                              ;   in Loop: Header=BB15_3 Depth=1
	ds_load_b32 v29, v53 offset:13504
	ds_load_b32 v32, v54
	s_wait_dscnt 0x0
	v_fma_f32 v2, -v29, v32, v2
.LBB15_137:                             ;   in Loop: Header=BB15_3 Depth=1
	s_or_b32 exec_lo, exec_lo, s42
	s_barrier_signal -1
	s_barrier_wait -1
	s_and_saveexec_b32 s42, s31
; %bb.138:                              ;   in Loop: Header=BB15_3 Depth=1
	v_xor_b32_e32 v29, 0x80000000, v2
	ds_store_b32 v54, v29
; %bb.139:                              ;   in Loop: Header=BB15_3 Depth=1
	s_or_b32 exec_lo, exec_lo, s42
	s_wait_dscnt 0x0
	s_barrier_signal -1
	s_barrier_wait -1
	s_and_saveexec_b32 s42, s33
	s_cbranch_execz .LBB15_141
; %bb.140:                              ;   in Loop: Header=BB15_3 Depth=1
	ds_load_b32 v29, v53 offset:13248
	ds_load_b32 v32, v54
	s_wait_dscnt 0x0
	v_fma_f32 v2, -v29, v32, v2
.LBB15_141:                             ;   in Loop: Header=BB15_3 Depth=1
	s_or_b32 exec_lo, exec_lo, s42
	s_barrier_signal -1
	s_barrier_wait -1
	s_and_saveexec_b32 s42, s34
; %bb.142:                              ;   in Loop: Header=BB15_3 Depth=1
	v_xor_b32_e32 v29, 0x80000000, v2
	ds_store_b32 v54, v29
; %bb.143:                              ;   in Loop: Header=BB15_3 Depth=1
	s_or_b32 exec_lo, exec_lo, s42
	s_wait_dscnt 0x0
	s_barrier_signal -1
	s_barrier_wait -1
	s_and_saveexec_b32 s42, s35
	;; [unrolled: 20-line block ×3, first 2 shown]
	s_cbranch_execz .LBB15_149
; %bb.148:                              ;   in Loop: Header=BB15_3 Depth=1
	ds_load_b32 v29, v3 offset:12736
	ds_load_b32 v32, v54
	s_wait_dscnt 0x0
	v_fma_f32 v2, -v29, v32, v2
.LBB15_149:                             ;   in Loop: Header=BB15_3 Depth=1
	s_or_b32 exec_lo, exec_lo, s42
	s_barrier_signal -1
	s_barrier_wait -1
	s_and_saveexec_b32 s42, s37
; %bb.150:                              ;   in Loop: Header=BB15_3 Depth=1
	v_xor_b32_e32 v29, 0x80000000, v2
	ds_store_b32 v54, v29
; %bb.151:                              ;   in Loop: Header=BB15_3 Depth=1
	s_or_b32 exec_lo, exec_lo, s42
	s_wait_dscnt 0x0
	s_barrier_signal -1
	s_barrier_wait -1
	s_barrier_signal -1
	s_barrier_wait -1
	s_and_saveexec_b32 s42, s5
; %bb.152:                              ;   in Loop: Header=BB15_3 Depth=1
	ds_store_b32 v57, v2 offset:16320
; %bb.153:                              ;   in Loop: Header=BB15_3 Depth=1
	s_or_b32 exec_lo, exec_lo, s42
	s_wait_dscnt 0x0
	s_barrier_signal -1
	s_barrier_wait -1
	s_barrier_signal -1
	s_barrier_wait -1
	s_and_saveexec_b32 s57, s38
	s_cbranch_execz .LBB15_155
; %bb.154:                              ;   in Loop: Header=BB15_3 Depth=1
	ds_load_b32 v2, v40 offset:14528
	s_wait_dscnt 0x0
	ds_store_b32 v42, v2 offset:12512
	ds_load_b32 v2, v40 offset:14532
	s_wait_dscnt 0x0
	ds_store_b32 v42, v2 offset:12768
	;; [unrolled: 3-line block ×8, first 2 shown]
.LBB15_155:                             ;   in Loop: Header=BB15_3 Depth=1
	s_or_b32 exec_lo, exec_lo, s57
	s_wait_dscnt 0x0
	s_barrier_signal -1
	s_barrier_wait -1
	s_and_saveexec_b32 s42, s11
	s_cbranch_execz .LBB15_157
; %bb.156:                              ;   in Loop: Header=BB15_3 Depth=1
	ds_load_b32 v29, v3 offset:14296
	ds_store_b32 v3, v28 offset:14300
	s_wait_dscnt 0x1
	ds_store_b64 v3, v[28:29] offset:14040
.LBB15_157:                             ;   in Loop: Header=BB15_3 Depth=1
	s_or_b32 exec_lo, exec_lo, s42
	v_mov_b32_e32 v2, 0
	s_wait_dscnt 0x0
	s_barrier_signal -1
	s_barrier_wait -1
	global_wb scope:SCOPE_DEV
	s_wait_storecnt 0x0
	global_inv scope:SCOPE_DEV
	s_and_saveexec_b32 s57, s2
	s_cbranch_execz .LBB15_161
; %bb.158:                              ;   in Loop: Header=BB15_3 Depth=1
	ds_load_b32 v2, v43 offset:14032
	ds_load_b32 v29, v44 offset:14296
	s_wait_dscnt 0x0
	v_fma_f32 v2, v2, v29, 0
	s_and_saveexec_b32 s42, s12
	s_cbranch_execz .LBB15_160
; %bb.159:                              ;   in Loop: Header=BB15_3 Depth=1
	ds_load_b32 v29, v42 offset:14288
	ds_load_b32 v32, v3 offset:14300
	s_wait_dscnt 0x0
	v_fmac_f32_e32 v2, v29, v32
.LBB15_160:                             ;   in Loop: Header=BB15_3 Depth=1
	s_or_b32 exec_lo, exec_lo, s42
.LBB15_161:                             ;   in Loop: Header=BB15_3 Depth=1
	s_delay_alu instid0(SALU_CYCLE_1)
	s_or_b32 exec_lo, exec_lo, s57
	s_and_saveexec_b32 s42, s88
; %bb.162:                              ;   in Loop: Header=BB15_3 Depth=1
	s_delay_alu instid0(VALU_DEP_1)
	v_xor_b32_e32 v29, 0x80000000, v2
	ds_store_b32 v41, v29
; %bb.163:                              ;   in Loop: Header=BB15_3 Depth=1
	s_or_b32 exec_lo, exec_lo, s42
	s_wait_loadcnt_dscnt 0x0
	s_barrier_signal -1
	s_barrier_wait -1
	s_and_saveexec_b32 s42, s89
	s_cbranch_execz .LBB15_165
; %bb.164:                              ;   in Loop: Header=BB15_3 Depth=1
	ds_load_b32 v29, v3 offset:13776
	ds_load_b32 v32, v41
	s_wait_dscnt 0x0
	v_fma_f32 v2, -v29, v32, v2
.LBB15_165:                             ;   in Loop: Header=BB15_3 Depth=1
	s_or_b32 exec_lo, exec_lo, s42
	s_barrier_signal -1
	s_barrier_wait -1
	s_and_saveexec_b32 s42, s89
; %bb.166:                              ;   in Loop: Header=BB15_3 Depth=1
	v_xor_b32_e32 v29, 0x80000000, v2
	ds_store_b32 v41, v29
; %bb.167:                              ;   in Loop: Header=BB15_3 Depth=1
	s_or_b32 exec_lo, exec_lo, s42
	s_wait_dscnt 0x0
	s_barrier_signal -1
	s_barrier_wait -1
	s_barrier_signal -1
	s_barrier_wait -1
	s_and_saveexec_b32 s42, s2
; %bb.168:                              ;   in Loop: Header=BB15_3 Depth=1
	ds_store_b32 v46, v2 offset:14288
; %bb.169:                              ;   in Loop: Header=BB15_3 Depth=1
	s_or_b32 exec_lo, exec_lo, s42
	s_wait_dscnt 0x0
	s_barrier_signal -1
	s_barrier_wait -1
	s_barrier_signal -1
	s_barrier_wait -1
	s_and_saveexec_b32 s42, s90
	s_cbranch_execz .LBB15_171
; %bb.170:                              ;   in Loop: Header=BB15_3 Depth=1
	ds_load_b32 v2, v45 offset:14032
	s_wait_dscnt 0x0
	ds_store_b32 v42, v2 offset:13528
	ds_load_b32 v2, v45 offset:14036
	s_wait_dscnt 0x0
	ds_store_b32 v42, v2 offset:13784
.LBB15_171:                             ;   in Loop: Header=BB15_3 Depth=1
	s_or_b32 exec_lo, exec_lo, s42
	s_wait_dscnt 0x0
	s_barrier_signal -1
	s_barrier_wait -1
	s_and_saveexec_b32 s42, s11
	s_cbranch_execz .LBB15_173
; %bb.172:                              ;   in Loop: Header=BB15_3 Depth=1
	ds_load_b32 v29, v3 offset:13776
	ds_store_b32 v3, v28 offset:13780
	s_wait_dscnt 0x1
	ds_store_b64 v3, v[28:29] offset:13520
.LBB15_173:                             ;   in Loop: Header=BB15_3 Depth=1
	s_or_b32 exec_lo, exec_lo, s42
	v_mov_b32_e32 v2, 0
	s_wait_dscnt 0x0
	s_barrier_signal -1
	s_barrier_wait -1
	global_wb scope:SCOPE_DEV
	s_wait_storecnt 0x0
	global_inv scope:SCOPE_DEV
	s_and_saveexec_b32 s60, s4
	s_cbranch_execz .LBB15_179
; %bb.174:                              ;   in Loop: Header=BB15_3 Depth=1
	ds_load_b32 v2, v48 offset:13504
	ds_load_b32 v29, v50 offset:14288
	s_wait_dscnt 0x0
	v_fma_f32 v2, v2, v29, 0
	s_and_saveexec_b32 s42, s13
	s_cbranch_execnz .LBB15_1183
; %bb.175:                              ;   in Loop: Header=BB15_3 Depth=1
	s_or_b32 exec_lo, exec_lo, s42
	s_and_saveexec_b32 s42, s14
	s_cbranch_execnz .LBB15_1184
.LBB15_176:                             ;   in Loop: Header=BB15_3 Depth=1
	s_or_b32 exec_lo, exec_lo, s42
	s_and_saveexec_b32 s42, s2
	s_cbranch_execz .LBB15_178
.LBB15_177:                             ;   in Loop: Header=BB15_3 Depth=1
	ds_load_b32 v29, v49 offset:14272
	ds_load_b32 v32, v3 offset:14300
	s_wait_dscnt 0x0
	v_fmac_f32_e32 v2, v29, v32
.LBB15_178:                             ;   in Loop: Header=BB15_3 Depth=1
	s_or_b32 exec_lo, exec_lo, s42
.LBB15_179:                             ;   in Loop: Header=BB15_3 Depth=1
	s_delay_alu instid0(SALU_CYCLE_1)
	s_or_b32 exec_lo, exec_lo, s60
	s_and_saveexec_b32 s42, s91
; %bb.180:                              ;   in Loop: Header=BB15_3 Depth=1
	s_delay_alu instid0(VALU_DEP_1)
	v_xor_b32_e32 v29, 0x80000000, v2
	ds_store_b32 v47, v29
; %bb.181:                              ;   in Loop: Header=BB15_3 Depth=1
	s_or_b32 exec_lo, exec_lo, s42
	s_wait_loadcnt_dscnt 0x0
	s_barrier_signal -1
	s_barrier_wait -1
	s_and_saveexec_b32 s42, s92
	s_cbranch_execz .LBB15_183
; %bb.182:                              ;   in Loop: Header=BB15_3 Depth=1
	ds_load_b32 v29, v48 offset:13248
	ds_load_b32 v32, v47
	s_wait_dscnt 0x0
	v_fma_f32 v2, -v29, v32, v2
.LBB15_183:                             ;   in Loop: Header=BB15_3 Depth=1
	s_or_b32 exec_lo, exec_lo, s42
	s_barrier_signal -1
	s_barrier_wait -1
	s_and_saveexec_b32 s42, s93
; %bb.184:                              ;   in Loop: Header=BB15_3 Depth=1
	v_xor_b32_e32 v29, 0x80000000, v2
	ds_store_b32 v47, v29
; %bb.185:                              ;   in Loop: Header=BB15_3 Depth=1
	s_or_b32 exec_lo, exec_lo, s42
	s_wait_dscnt 0x0
	s_barrier_signal -1
	s_barrier_wait -1
	s_and_saveexec_b32 s42, s94
	s_cbranch_execz .LBB15_187
; %bb.186:                              ;   in Loop: Header=BB15_3 Depth=1
	ds_load_b32 v29, v48 offset:12992
	ds_load_b32 v32, v47
	s_wait_dscnt 0x0
	v_fma_f32 v2, -v29, v32, v2
.LBB15_187:                             ;   in Loop: Header=BB15_3 Depth=1
	s_or_b32 exec_lo, exec_lo, s42
	s_barrier_signal -1
	s_barrier_wait -1
	s_and_saveexec_b32 s42, s95
; %bb.188:                              ;   in Loop: Header=BB15_3 Depth=1
	v_xor_b32_e32 v29, 0x80000000, v2
	ds_store_b32 v47, v29
; %bb.189:                              ;   in Loop: Header=BB15_3 Depth=1
	s_or_b32 exec_lo, exec_lo, s42
	s_wait_dscnt 0x0
	;; [unrolled: 20-line block ×3, first 2 shown]
	s_barrier_signal -1
	s_barrier_wait -1
	s_barrier_signal -1
	s_barrier_wait -1
	s_and_saveexec_b32 s42, s4
; %bb.194:                              ;   in Loop: Header=BB15_3 Depth=1
	ds_store_b32 v51, v2 offset:14272
; %bb.195:                              ;   in Loop: Header=BB15_3 Depth=1
	s_or_b32 exec_lo, exec_lo, s42
	s_wait_dscnt 0x0
	s_barrier_signal -1
	s_barrier_wait -1
	s_barrier_signal -1
	s_barrier_wait -1
	s_and_saveexec_b32 s57, s97
	s_cbranch_execz .LBB15_197
; %bb.196:                              ;   in Loop: Header=BB15_3 Depth=1
	ds_load_b32 v2, v52 offset:13504
	s_wait_dscnt 0x0
	ds_store_b32 v55, v2 offset:12496
	ds_load_b32 v2, v52 offset:13508
	s_wait_dscnt 0x0
	ds_store_b32 v55, v2 offset:12752
	ds_load_b32 v2, v52 offset:13512
	s_wait_dscnt 0x0
	ds_store_b32 v55, v2 offset:13008
	ds_load_b32 v2, v52 offset:13516
	s_wait_dscnt 0x0
	ds_store_b32 v55, v2 offset:13264
.LBB15_197:                             ;   in Loop: Header=BB15_3 Depth=1
	s_or_b32 exec_lo, exec_lo, s57
	s_wait_dscnt 0x0
	s_barrier_signal -1
	s_barrier_wait -1
	s_and_saveexec_b32 s42, s11
	s_cbranch_execz .LBB15_199
; %bb.198:                              ;   in Loop: Header=BB15_3 Depth=1
	ds_load_b32 v29, v3 offset:13256
	ds_store_b32 v3, v28 offset:13260
	s_wait_dscnt 0x1
	ds_store_b64 v3, v[28:29] offset:13000
.LBB15_199:                             ;   in Loop: Header=BB15_3 Depth=1
	s_or_b32 exec_lo, exec_lo, s42
	v_mov_b32_e32 v2, 0
	s_wait_dscnt 0x0
	s_barrier_signal -1
	s_barrier_wait -1
	global_wb scope:SCOPE_DEV
	s_wait_storecnt 0x0
	global_inv scope:SCOPE_DEV
	s_and_saveexec_b32 s57, s2
	s_cbranch_execz .LBB15_203
; %bb.200:                              ;   in Loop: Header=BB15_3 Depth=1
	ds_load_b32 v2, v43 offset:12992
	ds_load_b32 v29, v44 offset:13256
	s_wait_dscnt 0x0
	v_fma_f32 v2, v2, v29, 0
	s_and_saveexec_b32 s42, s12
	s_cbranch_execz .LBB15_202
; %bb.201:                              ;   in Loop: Header=BB15_3 Depth=1
	ds_load_b32 v29, v55 offset:13248
	ds_load_b32 v32, v3 offset:13260
	s_wait_dscnt 0x0
	v_fmac_f32_e32 v2, v29, v32
.LBB15_202:                             ;   in Loop: Header=BB15_3 Depth=1
	s_or_b32 exec_lo, exec_lo, s42
.LBB15_203:                             ;   in Loop: Header=BB15_3 Depth=1
	s_delay_alu instid0(SALU_CYCLE_1)
	s_or_b32 exec_lo, exec_lo, s57
	s_and_saveexec_b32 s42, s88
; %bb.204:                              ;   in Loop: Header=BB15_3 Depth=1
	s_delay_alu instid0(VALU_DEP_1)
	v_xor_b32_e32 v29, 0x80000000, v2
	ds_store_b32 v41, v29
; %bb.205:                              ;   in Loop: Header=BB15_3 Depth=1
	s_or_b32 exec_lo, exec_lo, s42
	s_wait_loadcnt_dscnt 0x0
	s_barrier_signal -1
	s_barrier_wait -1
	s_and_saveexec_b32 s42, s89
	s_cbranch_execz .LBB15_207
; %bb.206:                              ;   in Loop: Header=BB15_3 Depth=1
	ds_load_b32 v29, v3 offset:12736
	ds_load_b32 v32, v41
	s_wait_dscnt 0x0
	v_fma_f32 v2, -v29, v32, v2
.LBB15_207:                             ;   in Loop: Header=BB15_3 Depth=1
	s_or_b32 exec_lo, exec_lo, s42
	s_barrier_signal -1
	s_barrier_wait -1
	s_and_saveexec_b32 s42, s89
; %bb.208:                              ;   in Loop: Header=BB15_3 Depth=1
	v_xor_b32_e32 v29, 0x80000000, v2
	ds_store_b32 v41, v29
; %bb.209:                              ;   in Loop: Header=BB15_3 Depth=1
	s_or_b32 exec_lo, exec_lo, s42
	s_wait_dscnt 0x0
	s_barrier_signal -1
	s_barrier_wait -1
	s_barrier_signal -1
	s_barrier_wait -1
	s_and_saveexec_b32 s42, s2
; %bb.210:                              ;   in Loop: Header=BB15_3 Depth=1
	ds_store_b32 v46, v2 offset:13248
; %bb.211:                              ;   in Loop: Header=BB15_3 Depth=1
	s_or_b32 exec_lo, exec_lo, s42
	s_wait_dscnt 0x0
	s_barrier_signal -1
	s_barrier_wait -1
	s_barrier_signal -1
	s_barrier_wait -1
	s_and_saveexec_b32 s42, s90
	s_cbranch_execz .LBB15_213
; %bb.212:                              ;   in Loop: Header=BB15_3 Depth=1
	ds_load_b32 v2, v58 offset:12992
	s_wait_dscnt 0x0
	ds_store_b32 v55, v2 offset:12488
	ds_load_b32 v2, v58 offset:12996
	s_wait_dscnt 0x0
	ds_store_b32 v55, v2 offset:12744
.LBB15_213:                             ;   in Loop: Header=BB15_3 Depth=1
	s_or_b32 exec_lo, exec_lo, s42
	s_wait_dscnt 0x0
	s_barrier_signal -1
	s_barrier_wait -1
	s_and_saveexec_b32 s42, s11
	s_cbranch_execz .LBB15_215
; %bb.214:                              ;   in Loop: Header=BB15_3 Depth=1
	ds_load_b32 v29, v3 offset:12736
	ds_store_b32 v3, v28 offset:12740
	s_wait_dscnt 0x1
	ds_store_b64 v3, v[28:29] offset:12480
.LBB15_215:                             ;   in Loop: Header=BB15_3 Depth=1
	s_or_b32 exec_lo, exec_lo, s42
	v_mov_b32_e32 v2, 0
	s_wait_dscnt 0x0
	s_barrier_signal -1
	s_barrier_wait -1
	global_wb scope:SCOPE_DEV
	s_wait_storecnt 0x0
	global_inv scope:SCOPE_DEV
	s_and_saveexec_b32 s61, s6
	s_cbranch_execz .LBB15_243
; %bb.216:                              ;   in Loop: Header=BB15_3 Depth=1
	ds_load_b32 v2, v59 offset:12416
	ds_load_b32 v29, v61 offset:16320
	s_wait_dscnt 0x0
	v_fma_f32 v2, v2, v29, 0
	s_mov_b32 s42, exec_lo
	v_readlane_b32 s57, v87, 15
	s_and_b32 s57, s42, s57
	s_delay_alu instid0(SALU_CYCLE_1)
	s_mov_b32 exec_lo, s57
	s_cbranch_execz .LBB15_218
; %bb.217:                              ;   in Loop: Header=BB15_3 Depth=1
	ds_load_b32 v29, v59 offset:12672
	ds_load_b32 v32, v61 offset:16324
	s_wait_dscnt 0x0
	v_fmac_f32_e32 v2, v29, v32
.LBB15_218:                             ;   in Loop: Header=BB15_3 Depth=1
	s_or_b32 exec_lo, exec_lo, s42
	s_delay_alu instid0(SALU_CYCLE_1) | instskip(SKIP_2) | instid1(SALU_CYCLE_1)
	s_mov_b32 s42, exec_lo
	v_readlane_b32 s57, v87, 16
	s_and_b32 s57, s42, s57
	s_mov_b32 exec_lo, s57
	s_cbranch_execz .LBB15_220
; %bb.219:                              ;   in Loop: Header=BB15_3 Depth=1
	ds_load_b32 v29, v59 offset:12928
	ds_load_b32 v32, v61 offset:16328
	s_wait_dscnt 0x0
	v_fmac_f32_e32 v2, v29, v32
.LBB15_220:                             ;   in Loop: Header=BB15_3 Depth=1
	s_or_b32 exec_lo, exec_lo, s42
	s_delay_alu instid0(SALU_CYCLE_1) | instskip(SKIP_2) | instid1(SALU_CYCLE_1)
	s_mov_b32 s42, exec_lo
	v_readlane_b32 s57, v87, 17
	s_and_b32 s57, s42, s57
	;; [unrolled: 13-line block ×10, first 2 shown]
	s_mov_b32 exec_lo, s57
	s_cbranch_execnz .LBB15_1185
; %bb.237:                              ;   in Loop: Header=BB15_3 Depth=1
	s_or_b32 exec_lo, exec_lo, s42
	s_and_saveexec_b32 s42, s5
	s_cbranch_execnz .LBB15_1186
.LBB15_238:                             ;   in Loop: Header=BB15_3 Depth=1
	s_or_b32 exec_lo, exec_lo, s42
	s_and_saveexec_b32 s42, s16
	s_cbranch_execnz .LBB15_1187
.LBB15_239:                             ;   in Loop: Header=BB15_3 Depth=1
	s_or_b32 exec_lo, exec_lo, s42
	s_and_saveexec_b32 s42, s18
	s_cbranch_execnz .LBB15_1188
.LBB15_240:                             ;   in Loop: Header=BB15_3 Depth=1
	s_or_b32 exec_lo, exec_lo, s42
	s_and_saveexec_b32 s42, s4
	s_cbranch_execz .LBB15_242
.LBB15_241:                             ;   in Loop: Header=BB15_3 Depth=1
	ds_load_b32 v29, v9 offset:16256
	ds_load_b32 v32, v3 offset:16380
	s_wait_dscnt 0x0
	v_fmac_f32_e32 v2, v29, v32
.LBB15_242:                             ;   in Loop: Header=BB15_3 Depth=1
	s_or_b32 exec_lo, exec_lo, s42
.LBB15_243:                             ;   in Loop: Header=BB15_3 Depth=1
	s_delay_alu instid0(SALU_CYCLE_1) | instskip(NEXT) | instid1(SALU_CYCLE_1)
	s_or_b32 exec_lo, exec_lo, s61
	s_mov_b32 s42, exec_lo
	v_readlane_b32 s57, v89, 2
	s_and_b32 s57, s42, s57
	s_delay_alu instid0(SALU_CYCLE_1)
	s_mov_b32 exec_lo, s57
; %bb.244:                              ;   in Loop: Header=BB15_3 Depth=1
	v_xor_b32_e32 v29, 0x80000000, v2
	ds_store_b32 v60, v29
; %bb.245:                              ;   in Loop: Header=BB15_3 Depth=1
	s_or_b32 exec_lo, exec_lo, s42
	s_wait_loadcnt_dscnt 0x0
	s_barrier_signal -1
	s_barrier_wait -1
	s_mov_b32 s42, exec_lo
	v_readlane_b32 s57, v89, 3
	s_and_b32 s57, s42, s57
	s_delay_alu instid0(SALU_CYCLE_1)
	s_mov_b32 exec_lo, s57
	s_cbranch_execz .LBB15_247
; %bb.246:                              ;   in Loop: Header=BB15_3 Depth=1
	ds_load_b32 v29, v59 offset:12160
	ds_load_b32 v32, v60
	s_wait_dscnt 0x0
	v_fma_f32 v2, -v29, v32, v2
.LBB15_247:                             ;   in Loop: Header=BB15_3 Depth=1
	s_or_b32 exec_lo, exec_lo, s42
	s_barrier_signal -1
	s_barrier_wait -1
	s_mov_b32 s42, exec_lo
	v_readlane_b32 s57, v89, 4
	s_and_b32 s57, s42, s57
	s_delay_alu instid0(SALU_CYCLE_1)
	s_mov_b32 exec_lo, s57
; %bb.248:                              ;   in Loop: Header=BB15_3 Depth=1
	v_xor_b32_e32 v29, 0x80000000, v2
	ds_store_b32 v60, v29
; %bb.249:                              ;   in Loop: Header=BB15_3 Depth=1
	s_or_b32 exec_lo, exec_lo, s42
	s_wait_dscnt 0x0
	s_barrier_signal -1
	s_barrier_wait -1
	s_mov_b32 s42, exec_lo
	v_readlane_b32 s57, v89, 5
	s_and_b32 s57, s42, s57
	s_delay_alu instid0(SALU_CYCLE_1)
	s_mov_b32 exec_lo, s57
	s_cbranch_execz .LBB15_251
; %bb.250:                              ;   in Loop: Header=BB15_3 Depth=1
	ds_load_b32 v29, v59 offset:11904
	ds_load_b32 v32, v60
	s_wait_dscnt 0x0
	v_fma_f32 v2, -v29, v32, v2
.LBB15_251:                             ;   in Loop: Header=BB15_3 Depth=1
	s_or_b32 exec_lo, exec_lo, s42
	s_barrier_signal -1
	s_barrier_wait -1
	s_and_saveexec_b32 s42, s43
; %bb.252:                              ;   in Loop: Header=BB15_3 Depth=1
	v_xor_b32_e32 v29, 0x80000000, v2
	ds_store_b32 v60, v29
; %bb.253:                              ;   in Loop: Header=BB15_3 Depth=1
	s_or_b32 exec_lo, exec_lo, s42
	s_wait_dscnt 0x0
	s_barrier_signal -1
	s_barrier_wait -1
	s_and_saveexec_b32 s42, s44
	s_cbranch_execz .LBB15_255
; %bb.254:                              ;   in Loop: Header=BB15_3 Depth=1
	ds_load_b32 v29, v59 offset:11648
	ds_load_b32 v32, v60
	s_wait_dscnt 0x0
	v_fma_f32 v2, -v29, v32, v2
.LBB15_255:                             ;   in Loop: Header=BB15_3 Depth=1
	s_or_b32 exec_lo, exec_lo, s42
	s_barrier_signal -1
	s_barrier_wait -1
	s_and_saveexec_b32 s42, s45
; %bb.256:                              ;   in Loop: Header=BB15_3 Depth=1
	v_xor_b32_e32 v29, 0x80000000, v2
	ds_store_b32 v60, v29
; %bb.257:                              ;   in Loop: Header=BB15_3 Depth=1
	s_or_b32 exec_lo, exec_lo, s42
	s_wait_dscnt 0x0
	s_barrier_signal -1
	s_barrier_wait -1
	s_and_saveexec_b32 s42, s46
	;; [unrolled: 20-line block ×13, first 2 shown]
	s_cbranch_execz .LBB15_303
; %bb.302:                              ;   in Loop: Header=BB15_3 Depth=1
	ds_load_b32 v29, v3 offset:8576
	ds_load_b32 v32, v60
	s_wait_dscnt 0x0
	v_fma_f32 v2, -v29, v32, v2
.LBB15_303:                             ;   in Loop: Header=BB15_3 Depth=1
	s_or_b32 exec_lo, exec_lo, s42
	s_barrier_signal -1
	s_barrier_wait -1
	s_and_saveexec_b32 s42, s85
; %bb.304:                              ;   in Loop: Header=BB15_3 Depth=1
	v_xor_b32_e32 v29, 0x80000000, v2
	ds_store_b32 v60, v29
; %bb.305:                              ;   in Loop: Header=BB15_3 Depth=1
	s_or_b32 exec_lo, exec_lo, s42
	s_wait_dscnt 0x0
	s_barrier_signal -1
	s_barrier_wait -1
	s_barrier_signal -1
	s_barrier_wait -1
	s_and_saveexec_b32 s42, s6
; %bb.306:                              ;   in Loop: Header=BB15_3 Depth=1
	ds_store_b32 v63, v2 offset:16256
; %bb.307:                              ;   in Loop: Header=BB15_3 Depth=1
	s_or_b32 exec_lo, exec_lo, s42
	s_wait_dscnt 0x0
	s_barrier_signal -1
	s_barrier_wait -1
	s_barrier_signal -1
	s_barrier_wait -1
	s_and_saveexec_b32 s60, s82
	s_cbranch_execz .LBB15_309
; %bb.308:                              ;   in Loop: Header=BB15_3 Depth=1
	ds_load_b32 v2, v34 offset:12416
	s_wait_dscnt 0x0
	ds_store_b32 v35, v2 offset:8384
	ds_load_b32 v2, v34 offset:12420
	s_wait_dscnt 0x0
	ds_store_b32 v35, v2 offset:8640
	;; [unrolled: 3-line block ×16, first 2 shown]
.LBB15_309:                             ;   in Loop: Header=BB15_3 Depth=1
	s_or_b32 exec_lo, exec_lo, s60
	s_wait_dscnt 0x0
	s_barrier_signal -1
	s_barrier_wait -1
	s_and_saveexec_b32 s42, s11
	s_cbranch_execz .LBB15_311
; %bb.310:                              ;   in Loop: Header=BB15_3 Depth=1
	ds_load_b32 v29, v3 offset:12216
	ds_store_b32 v3, v28 offset:12220
	s_wait_dscnt 0x1
	ds_store_b64 v3, v[28:29] offset:11960
.LBB15_311:                             ;   in Loop: Header=BB15_3 Depth=1
	s_or_b32 exec_lo, exec_lo, s42
	v_mov_b32_e32 v2, 0
	s_wait_dscnt 0x0
	s_barrier_signal -1
	s_barrier_wait -1
	global_wb scope:SCOPE_DEV
	s_wait_storecnt 0x0
	global_inv scope:SCOPE_DEV
	s_and_saveexec_b32 s57, s2
	s_cbranch_execz .LBB15_315
; %bb.312:                              ;   in Loop: Header=BB15_3 Depth=1
	ds_load_b32 v2, v43 offset:11952
	ds_load_b32 v29, v44 offset:12216
	s_wait_dscnt 0x0
	v_fma_f32 v2, v2, v29, 0
	s_and_saveexec_b32 s42, s12
	s_cbranch_execz .LBB15_314
; %bb.313:                              ;   in Loop: Header=BB15_3 Depth=1
	ds_load_b32 v29, v9 offset:12208
	ds_load_b32 v32, v3 offset:12220
	s_wait_dscnt 0x0
	v_fmac_f32_e32 v2, v29, v32
.LBB15_314:                             ;   in Loop: Header=BB15_3 Depth=1
	s_or_b32 exec_lo, exec_lo, s42
.LBB15_315:                             ;   in Loop: Header=BB15_3 Depth=1
	s_delay_alu instid0(SALU_CYCLE_1)
	s_or_b32 exec_lo, exec_lo, s57
	s_and_saveexec_b32 s42, s88
; %bb.316:                              ;   in Loop: Header=BB15_3 Depth=1
	s_delay_alu instid0(VALU_DEP_1)
	v_xor_b32_e32 v29, 0x80000000, v2
	ds_store_b32 v41, v29
; %bb.317:                              ;   in Loop: Header=BB15_3 Depth=1
	s_or_b32 exec_lo, exec_lo, s42
	s_wait_loadcnt_dscnt 0x0
	s_barrier_signal -1
	s_barrier_wait -1
	s_and_saveexec_b32 s42, s89
	s_cbranch_execz .LBB15_319
; %bb.318:                              ;   in Loop: Header=BB15_3 Depth=1
	ds_load_b32 v29, v3 offset:11696
	ds_load_b32 v32, v41
	s_wait_dscnt 0x0
	v_fma_f32 v2, -v29, v32, v2
.LBB15_319:                             ;   in Loop: Header=BB15_3 Depth=1
	s_or_b32 exec_lo, exec_lo, s42
	s_barrier_signal -1
	s_barrier_wait -1
	s_and_saveexec_b32 s42, s89
; %bb.320:                              ;   in Loop: Header=BB15_3 Depth=1
	v_xor_b32_e32 v29, 0x80000000, v2
	ds_store_b32 v41, v29
; %bb.321:                              ;   in Loop: Header=BB15_3 Depth=1
	s_or_b32 exec_lo, exec_lo, s42
	s_wait_dscnt 0x0
	s_barrier_signal -1
	s_barrier_wait -1
	s_barrier_signal -1
	s_barrier_wait -1
	s_and_saveexec_b32 s42, s2
; %bb.322:                              ;   in Loop: Header=BB15_3 Depth=1
	ds_store_b32 v46, v2 offset:12208
; %bb.323:                              ;   in Loop: Header=BB15_3 Depth=1
	s_or_b32 exec_lo, exec_lo, s42
	s_wait_dscnt 0x0
	s_barrier_signal -1
	s_barrier_wait -1
	s_barrier_signal -1
	s_barrier_wait -1
	s_and_saveexec_b32 s42, s90
	s_cbranch_execz .LBB15_325
; %bb.324:                              ;   in Loop: Header=BB15_3 Depth=1
	ds_load_b32 v2, v34 offset:11952
	s_wait_dscnt 0x0
	ds_store_b32 v9, v2 offset:11448
	ds_load_b32 v2, v34 offset:11956
	s_wait_dscnt 0x0
	ds_store_b32 v9, v2 offset:11704
.LBB15_325:                             ;   in Loop: Header=BB15_3 Depth=1
	s_or_b32 exec_lo, exec_lo, s42
	s_wait_dscnt 0x0
	s_barrier_signal -1
	s_barrier_wait -1
	s_and_saveexec_b32 s42, s11
	s_cbranch_execz .LBB15_327
; %bb.326:                              ;   in Loop: Header=BB15_3 Depth=1
	ds_load_b32 v29, v3 offset:11696
	ds_store_b32 v3, v28 offset:11700
	s_wait_dscnt 0x1
	ds_store_b64 v3, v[28:29] offset:11440
.LBB15_327:                             ;   in Loop: Header=BB15_3 Depth=1
	s_or_b32 exec_lo, exec_lo, s42
	v_mov_b32_e32 v2, 0
	s_wait_dscnt 0x0
	s_barrier_signal -1
	s_barrier_wait -1
	global_wb scope:SCOPE_DEV
	s_wait_storecnt 0x0
	global_inv scope:SCOPE_DEV
	s_and_saveexec_b32 s60, s4
	s_cbranch_execz .LBB15_333
; %bb.328:                              ;   in Loop: Header=BB15_3 Depth=1
	ds_load_b32 v2, v48 offset:11424
	ds_load_b32 v29, v50 offset:12208
	s_wait_dscnt 0x0
	v_fma_f32 v2, v2, v29, 0
	s_and_saveexec_b32 s42, s13
	s_cbranch_execnz .LBB15_1189
; %bb.329:                              ;   in Loop: Header=BB15_3 Depth=1
	s_or_b32 exec_lo, exec_lo, s42
	s_and_saveexec_b32 s42, s14
	s_cbranch_execnz .LBB15_1190
.LBB15_330:                             ;   in Loop: Header=BB15_3 Depth=1
	s_or_b32 exec_lo, exec_lo, s42
	s_and_saveexec_b32 s42, s2
	s_cbranch_execz .LBB15_332
.LBB15_331:                             ;   in Loop: Header=BB15_3 Depth=1
	ds_load_b32 v29, v35 offset:12192
	ds_load_b32 v32, v3 offset:12220
	s_wait_dscnt 0x0
	v_fmac_f32_e32 v2, v29, v32
.LBB15_332:                             ;   in Loop: Header=BB15_3 Depth=1
	s_or_b32 exec_lo, exec_lo, s42
.LBB15_333:                             ;   in Loop: Header=BB15_3 Depth=1
	s_delay_alu instid0(SALU_CYCLE_1)
	s_or_b32 exec_lo, exec_lo, s60
	s_and_saveexec_b32 s42, s91
; %bb.334:                              ;   in Loop: Header=BB15_3 Depth=1
	s_delay_alu instid0(VALU_DEP_1)
	v_xor_b32_e32 v29, 0x80000000, v2
	ds_store_b32 v47, v29
; %bb.335:                              ;   in Loop: Header=BB15_3 Depth=1
	s_or_b32 exec_lo, exec_lo, s42
	s_wait_loadcnt_dscnt 0x0
	s_barrier_signal -1
	s_barrier_wait -1
	s_and_saveexec_b32 s42, s92
	s_cbranch_execz .LBB15_337
; %bb.336:                              ;   in Loop: Header=BB15_3 Depth=1
	ds_load_b32 v29, v48 offset:11168
	ds_load_b32 v32, v47
	s_wait_dscnt 0x0
	v_fma_f32 v2, -v29, v32, v2
.LBB15_337:                             ;   in Loop: Header=BB15_3 Depth=1
	s_or_b32 exec_lo, exec_lo, s42
	s_barrier_signal -1
	s_barrier_wait -1
	s_and_saveexec_b32 s42, s93
; %bb.338:                              ;   in Loop: Header=BB15_3 Depth=1
	v_xor_b32_e32 v29, 0x80000000, v2
	ds_store_b32 v47, v29
; %bb.339:                              ;   in Loop: Header=BB15_3 Depth=1
	s_or_b32 exec_lo, exec_lo, s42
	s_wait_dscnt 0x0
	s_barrier_signal -1
	s_barrier_wait -1
	s_and_saveexec_b32 s42, s94
	s_cbranch_execz .LBB15_341
; %bb.340:                              ;   in Loop: Header=BB15_3 Depth=1
	ds_load_b32 v29, v48 offset:10912
	ds_load_b32 v32, v47
	s_wait_dscnt 0x0
	v_fma_f32 v2, -v29, v32, v2
.LBB15_341:                             ;   in Loop: Header=BB15_3 Depth=1
	s_or_b32 exec_lo, exec_lo, s42
	s_barrier_signal -1
	s_barrier_wait -1
	s_and_saveexec_b32 s42, s95
; %bb.342:                              ;   in Loop: Header=BB15_3 Depth=1
	v_xor_b32_e32 v29, 0x80000000, v2
	ds_store_b32 v47, v29
; %bb.343:                              ;   in Loop: Header=BB15_3 Depth=1
	s_or_b32 exec_lo, exec_lo, s42
	s_wait_dscnt 0x0
	;; [unrolled: 20-line block ×3, first 2 shown]
	s_barrier_signal -1
	s_barrier_wait -1
	s_barrier_signal -1
	s_barrier_wait -1
	s_and_saveexec_b32 s42, s4
; %bb.348:                              ;   in Loop: Header=BB15_3 Depth=1
	ds_store_b32 v51, v2 offset:12192
; %bb.349:                              ;   in Loop: Header=BB15_3 Depth=1
	s_or_b32 exec_lo, exec_lo, s42
	s_wait_dscnt 0x0
	s_barrier_signal -1
	s_barrier_wait -1
	s_barrier_signal -1
	s_barrier_wait -1
	s_and_saveexec_b32 s57, s97
	s_cbranch_execz .LBB15_351
; %bb.350:                              ;   in Loop: Header=BB15_3 Depth=1
	ds_load_b32 v2, v36 offset:11424
	s_wait_dscnt 0x0
	ds_store_b32 v37, v2 offset:10416
	ds_load_b32 v2, v36 offset:11428
	s_wait_dscnt 0x0
	ds_store_b32 v37, v2 offset:10672
	ds_load_b32 v2, v36 offset:11432
	s_wait_dscnt 0x0
	ds_store_b32 v37, v2 offset:10928
	ds_load_b32 v2, v36 offset:11436
	s_wait_dscnt 0x0
	ds_store_b32 v37, v2 offset:11184
.LBB15_351:                             ;   in Loop: Header=BB15_3 Depth=1
	s_or_b32 exec_lo, exec_lo, s57
	s_wait_dscnt 0x0
	s_barrier_signal -1
	s_barrier_wait -1
	s_and_saveexec_b32 s42, s11
	s_cbranch_execz .LBB15_353
; %bb.352:                              ;   in Loop: Header=BB15_3 Depth=1
	ds_load_b32 v29, v3 offset:11176
	ds_store_b32 v3, v28 offset:11180
	s_wait_dscnt 0x1
	ds_store_b64 v3, v[28:29] offset:10920
.LBB15_353:                             ;   in Loop: Header=BB15_3 Depth=1
	s_or_b32 exec_lo, exec_lo, s42
	v_mov_b32_e32 v2, 0
	s_wait_dscnt 0x0
	s_barrier_signal -1
	s_barrier_wait -1
	global_wb scope:SCOPE_DEV
	s_wait_storecnt 0x0
	global_inv scope:SCOPE_DEV
	s_and_saveexec_b32 s57, s2
	s_cbranch_execz .LBB15_357
; %bb.354:                              ;   in Loop: Header=BB15_3 Depth=1
	ds_load_b32 v2, v43 offset:10912
	ds_load_b32 v29, v44 offset:11176
	s_wait_dscnt 0x0
	v_fma_f32 v2, v2, v29, 0
	s_and_saveexec_b32 s42, s12
	s_cbranch_execz .LBB15_356
; %bb.355:                              ;   in Loop: Header=BB15_3 Depth=1
	ds_load_b32 v29, v37 offset:11168
	ds_load_b32 v32, v3 offset:11180
	s_wait_dscnt 0x0
	v_fmac_f32_e32 v2, v29, v32
.LBB15_356:                             ;   in Loop: Header=BB15_3 Depth=1
	s_or_b32 exec_lo, exec_lo, s42
.LBB15_357:                             ;   in Loop: Header=BB15_3 Depth=1
	s_delay_alu instid0(SALU_CYCLE_1)
	s_or_b32 exec_lo, exec_lo, s57
	s_and_saveexec_b32 s42, s88
; %bb.358:                              ;   in Loop: Header=BB15_3 Depth=1
	s_delay_alu instid0(VALU_DEP_1)
	v_xor_b32_e32 v29, 0x80000000, v2
	ds_store_b32 v41, v29
; %bb.359:                              ;   in Loop: Header=BB15_3 Depth=1
	s_or_b32 exec_lo, exec_lo, s42
	s_wait_loadcnt_dscnt 0x0
	s_barrier_signal -1
	s_barrier_wait -1
	s_and_saveexec_b32 s42, s89
	s_cbranch_execz .LBB15_361
; %bb.360:                              ;   in Loop: Header=BB15_3 Depth=1
	ds_load_b32 v29, v3 offset:10656
	ds_load_b32 v32, v41
	s_wait_dscnt 0x0
	v_fma_f32 v2, -v29, v32, v2
.LBB15_361:                             ;   in Loop: Header=BB15_3 Depth=1
	s_or_b32 exec_lo, exec_lo, s42
	s_barrier_signal -1
	s_barrier_wait -1
	s_and_saveexec_b32 s42, s89
; %bb.362:                              ;   in Loop: Header=BB15_3 Depth=1
	v_xor_b32_e32 v29, 0x80000000, v2
	ds_store_b32 v41, v29
; %bb.363:                              ;   in Loop: Header=BB15_3 Depth=1
	s_or_b32 exec_lo, exec_lo, s42
	s_wait_dscnt 0x0
	s_barrier_signal -1
	s_barrier_wait -1
	s_barrier_signal -1
	s_barrier_wait -1
	s_and_saveexec_b32 s42, s2
; %bb.364:                              ;   in Loop: Header=BB15_3 Depth=1
	ds_store_b32 v46, v2 offset:11168
; %bb.365:                              ;   in Loop: Header=BB15_3 Depth=1
	s_or_b32 exec_lo, exec_lo, s42
	s_wait_dscnt 0x0
	s_barrier_signal -1
	s_barrier_wait -1
	s_barrier_signal -1
	s_barrier_wait -1
	s_and_saveexec_b32 s42, s90
	s_cbranch_execz .LBB15_367
; %bb.366:                              ;   in Loop: Header=BB15_3 Depth=1
	ds_load_b32 v2, v38 offset:10912
	s_wait_dscnt 0x0
	ds_store_b32 v37, v2 offset:10408
	ds_load_b32 v2, v38 offset:10916
	s_wait_dscnt 0x0
	ds_store_b32 v37, v2 offset:10664
.LBB15_367:                             ;   in Loop: Header=BB15_3 Depth=1
	s_or_b32 exec_lo, exec_lo, s42
	s_wait_dscnt 0x0
	s_barrier_signal -1
	s_barrier_wait -1
	s_and_saveexec_b32 s42, s11
	s_cbranch_execz .LBB15_369
; %bb.368:                              ;   in Loop: Header=BB15_3 Depth=1
	ds_load_b32 v29, v3 offset:10656
	ds_store_b32 v3, v28 offset:10660
	s_wait_dscnt 0x1
	ds_store_b64 v3, v[28:29] offset:10400
.LBB15_369:                             ;   in Loop: Header=BB15_3 Depth=1
	s_or_b32 exec_lo, exec_lo, s42
	v_mov_b32_e32 v2, 0
	s_wait_dscnt 0x0
	s_barrier_signal -1
	s_barrier_wait -1
	global_wb scope:SCOPE_DEV
	s_wait_storecnt 0x0
	global_inv scope:SCOPE_DEV
	s_and_saveexec_b32 s60, s5
	s_cbranch_execz .LBB15_379
; %bb.370:                              ;   in Loop: Header=BB15_3 Depth=1
	ds_load_b32 v2, v53 offset:10368
	ds_load_b32 v29, v56 offset:12192
	s_wait_dscnt 0x0
	v_fma_f32 v2, v2, v29, 0
	s_and_saveexec_b32 s42, s15
	s_cbranch_execnz .LBB15_1191
; %bb.371:                              ;   in Loop: Header=BB15_3 Depth=1
	s_or_b32 exec_lo, exec_lo, s42
	s_and_saveexec_b32 s42, s16
	s_cbranch_execnz .LBB15_1192
.LBB15_372:                             ;   in Loop: Header=BB15_3 Depth=1
	s_or_b32 exec_lo, exec_lo, s42
	s_and_saveexec_b32 s42, s17
	s_cbranch_execnz .LBB15_1193
.LBB15_373:                             ;   in Loop: Header=BB15_3 Depth=1
	s_or_b32 exec_lo, exec_lo, s42
	s_and_saveexec_b32 s42, s18
	s_cbranch_execnz .LBB15_1194
.LBB15_374:                             ;   in Loop: Header=BB15_3 Depth=1
	s_or_b32 exec_lo, exec_lo, s42
	s_and_saveexec_b32 s42, s19
	s_cbranch_execnz .LBB15_1195
.LBB15_375:                             ;   in Loop: Header=BB15_3 Depth=1
	s_or_b32 exec_lo, exec_lo, s42
	s_and_saveexec_b32 s42, s4
	s_cbranch_execnz .LBB15_1196
.LBB15_376:                             ;   in Loop: Header=BB15_3 Depth=1
	s_or_b32 exec_lo, exec_lo, s42
	s_and_saveexec_b32 s42, s14
	s_cbranch_execz .LBB15_378
.LBB15_377:                             ;   in Loop: Header=BB15_3 Depth=1
	ds_load_b32 v29, v39 offset:12160
	ds_load_b32 v32, v3 offset:12220
	s_wait_dscnt 0x0
	v_fmac_f32_e32 v2, v29, v32
.LBB15_378:                             ;   in Loop: Header=BB15_3 Depth=1
	s_or_b32 exec_lo, exec_lo, s42
.LBB15_379:                             ;   in Loop: Header=BB15_3 Depth=1
	s_delay_alu instid0(SALU_CYCLE_1)
	s_or_b32 exec_lo, exec_lo, s60
	s_and_saveexec_b32 s42, s98
; %bb.380:                              ;   in Loop: Header=BB15_3 Depth=1
	s_delay_alu instid0(VALU_DEP_1)
	v_xor_b32_e32 v29, 0x80000000, v2
	ds_store_b32 v54, v29
; %bb.381:                              ;   in Loop: Header=BB15_3 Depth=1
	s_or_b32 exec_lo, exec_lo, s42
	s_wait_loadcnt_dscnt 0x0
	s_barrier_signal -1
	s_barrier_wait -1
	s_and_saveexec_b32 s42, s99
	s_cbranch_execz .LBB15_383
; %bb.382:                              ;   in Loop: Header=BB15_3 Depth=1
	ds_load_b32 v29, v53 offset:10112
	ds_load_b32 v32, v54
	s_wait_dscnt 0x0
	v_fma_f32 v2, -v29, v32, v2
.LBB15_383:                             ;   in Loop: Header=BB15_3 Depth=1
	s_or_b32 exec_lo, exec_lo, s42
	s_barrier_signal -1
	s_barrier_wait -1
	s_and_saveexec_b32 s42, s100
; %bb.384:                              ;   in Loop: Header=BB15_3 Depth=1
	v_xor_b32_e32 v29, 0x80000000, v2
	ds_store_b32 v54, v29
; %bb.385:                              ;   in Loop: Header=BB15_3 Depth=1
	s_or_b32 exec_lo, exec_lo, s42
	s_wait_dscnt 0x0
	s_barrier_signal -1
	s_barrier_wait -1
	s_and_saveexec_b32 s42, s101
	s_cbranch_execz .LBB15_387
; %bb.386:                              ;   in Loop: Header=BB15_3 Depth=1
	ds_load_b32 v29, v53 offset:9856
	ds_load_b32 v32, v54
	s_wait_dscnt 0x0
	v_fma_f32 v2, -v29, v32, v2
.LBB15_387:                             ;   in Loop: Header=BB15_3 Depth=1
	s_or_b32 exec_lo, exec_lo, s42
	s_barrier_signal -1
	s_barrier_wait -1
	s_and_saveexec_b32 s42, s102
; %bb.388:                              ;   in Loop: Header=BB15_3 Depth=1
	v_xor_b32_e32 v29, 0x80000000, v2
	ds_store_b32 v54, v29
; %bb.389:                              ;   in Loop: Header=BB15_3 Depth=1
	s_or_b32 exec_lo, exec_lo, s42
	s_wait_dscnt 0x0
	;; [unrolled: 20-line block ×3, first 2 shown]
	s_barrier_signal -1
	s_barrier_wait -1
	s_and_saveexec_b32 s42, vcc_hi
	s_cbranch_execz .LBB15_395
; %bb.394:                              ;   in Loop: Header=BB15_3 Depth=1
	ds_load_b32 v29, v53 offset:9344
	ds_load_b32 v32, v54
	s_wait_dscnt 0x0
	v_fma_f32 v2, -v29, v32, v2
.LBB15_395:                             ;   in Loop: Header=BB15_3 Depth=1
	s_or_b32 exec_lo, exec_lo, s42
	s_barrier_signal -1
	s_barrier_wait -1
	s_and_saveexec_b32 s42, s31
; %bb.396:                              ;   in Loop: Header=BB15_3 Depth=1
	v_xor_b32_e32 v29, 0x80000000, v2
	ds_store_b32 v54, v29
; %bb.397:                              ;   in Loop: Header=BB15_3 Depth=1
	s_or_b32 exec_lo, exec_lo, s42
	s_wait_dscnt 0x0
	s_barrier_signal -1
	s_barrier_wait -1
	s_and_saveexec_b32 s42, s33
	s_cbranch_execz .LBB15_399
; %bb.398:                              ;   in Loop: Header=BB15_3 Depth=1
	ds_load_b32 v29, v53 offset:9088
	ds_load_b32 v32, v54
	s_wait_dscnt 0x0
	v_fma_f32 v2, -v29, v32, v2
.LBB15_399:                             ;   in Loop: Header=BB15_3 Depth=1
	s_or_b32 exec_lo, exec_lo, s42
	s_barrier_signal -1
	s_barrier_wait -1
	s_and_saveexec_b32 s42, s34
; %bb.400:                              ;   in Loop: Header=BB15_3 Depth=1
	v_xor_b32_e32 v29, 0x80000000, v2
	ds_store_b32 v54, v29
; %bb.401:                              ;   in Loop: Header=BB15_3 Depth=1
	s_or_b32 exec_lo, exec_lo, s42
	s_wait_dscnt 0x0
	s_barrier_signal -1
	s_barrier_wait -1
	s_and_saveexec_b32 s42, s35
	;; [unrolled: 20-line block ×3, first 2 shown]
	s_cbranch_execz .LBB15_407
; %bb.406:                              ;   in Loop: Header=BB15_3 Depth=1
	ds_load_b32 v29, v3 offset:8576
	ds_load_b32 v32, v54
	s_wait_dscnt 0x0
	v_fma_f32 v2, -v29, v32, v2
.LBB15_407:                             ;   in Loop: Header=BB15_3 Depth=1
	s_or_b32 exec_lo, exec_lo, s42
	s_barrier_signal -1
	s_barrier_wait -1
	s_and_saveexec_b32 s42, s37
; %bb.408:                              ;   in Loop: Header=BB15_3 Depth=1
	v_xor_b32_e32 v29, 0x80000000, v2
	ds_store_b32 v54, v29
; %bb.409:                              ;   in Loop: Header=BB15_3 Depth=1
	s_or_b32 exec_lo, exec_lo, s42
	s_wait_dscnt 0x0
	s_barrier_signal -1
	s_barrier_wait -1
	s_barrier_signal -1
	s_barrier_wait -1
	s_and_saveexec_b32 s42, s5
; %bb.410:                              ;   in Loop: Header=BB15_3 Depth=1
	ds_store_b32 v57, v2 offset:12160
; %bb.411:                              ;   in Loop: Header=BB15_3 Depth=1
	s_or_b32 exec_lo, exec_lo, s42
	s_wait_dscnt 0x0
	s_barrier_signal -1
	s_barrier_wait -1
	s_barrier_signal -1
	s_barrier_wait -1
	s_and_saveexec_b32 s57, s38
	s_cbranch_execz .LBB15_413
; %bb.412:                              ;   in Loop: Header=BB15_3 Depth=1
	ds_load_b32 v2, v40 offset:10368
	s_wait_dscnt 0x0
	ds_store_b32 v42, v2 offset:8352
	ds_load_b32 v2, v40 offset:10372
	s_wait_dscnt 0x0
	ds_store_b32 v42, v2 offset:8608
	;; [unrolled: 3-line block ×8, first 2 shown]
.LBB15_413:                             ;   in Loop: Header=BB15_3 Depth=1
	s_or_b32 exec_lo, exec_lo, s57
	s_wait_dscnt 0x0
	s_barrier_signal -1
	s_barrier_wait -1
	s_and_saveexec_b32 s42, s11
	s_cbranch_execz .LBB15_415
; %bb.414:                              ;   in Loop: Header=BB15_3 Depth=1
	ds_load_b32 v29, v3 offset:10136
	ds_store_b32 v3, v28 offset:10140
	s_wait_dscnt 0x1
	ds_store_b64 v3, v[28:29] offset:9880
.LBB15_415:                             ;   in Loop: Header=BB15_3 Depth=1
	s_or_b32 exec_lo, exec_lo, s42
	v_mov_b32_e32 v2, 0
	s_wait_dscnt 0x0
	s_barrier_signal -1
	s_barrier_wait -1
	global_wb scope:SCOPE_DEV
	s_wait_storecnt 0x0
	global_inv scope:SCOPE_DEV
	s_and_saveexec_b32 s57, s2
	s_cbranch_execz .LBB15_419
; %bb.416:                              ;   in Loop: Header=BB15_3 Depth=1
	ds_load_b32 v2, v43 offset:9872
	ds_load_b32 v29, v44 offset:10136
	s_wait_dscnt 0x0
	v_fma_f32 v2, v2, v29, 0
	s_and_saveexec_b32 s42, s12
	s_cbranch_execz .LBB15_418
; %bb.417:                              ;   in Loop: Header=BB15_3 Depth=1
	ds_load_b32 v29, v42 offset:10128
	ds_load_b32 v32, v3 offset:10140
	s_wait_dscnt 0x0
	v_fmac_f32_e32 v2, v29, v32
.LBB15_418:                             ;   in Loop: Header=BB15_3 Depth=1
	s_or_b32 exec_lo, exec_lo, s42
.LBB15_419:                             ;   in Loop: Header=BB15_3 Depth=1
	s_delay_alu instid0(SALU_CYCLE_1)
	s_or_b32 exec_lo, exec_lo, s57
	s_and_saveexec_b32 s42, s88
; %bb.420:                              ;   in Loop: Header=BB15_3 Depth=1
	s_delay_alu instid0(VALU_DEP_1)
	v_xor_b32_e32 v29, 0x80000000, v2
	ds_store_b32 v41, v29
; %bb.421:                              ;   in Loop: Header=BB15_3 Depth=1
	s_or_b32 exec_lo, exec_lo, s42
	s_wait_loadcnt_dscnt 0x0
	s_barrier_signal -1
	s_barrier_wait -1
	s_and_saveexec_b32 s42, s89
	s_cbranch_execz .LBB15_423
; %bb.422:                              ;   in Loop: Header=BB15_3 Depth=1
	ds_load_b32 v29, v3 offset:9616
	ds_load_b32 v32, v41
	s_wait_dscnt 0x0
	v_fma_f32 v2, -v29, v32, v2
.LBB15_423:                             ;   in Loop: Header=BB15_3 Depth=1
	s_or_b32 exec_lo, exec_lo, s42
	s_barrier_signal -1
	s_barrier_wait -1
	s_and_saveexec_b32 s42, s89
; %bb.424:                              ;   in Loop: Header=BB15_3 Depth=1
	v_xor_b32_e32 v29, 0x80000000, v2
	ds_store_b32 v41, v29
; %bb.425:                              ;   in Loop: Header=BB15_3 Depth=1
	s_or_b32 exec_lo, exec_lo, s42
	s_wait_dscnt 0x0
	s_barrier_signal -1
	s_barrier_wait -1
	s_barrier_signal -1
	s_barrier_wait -1
	s_and_saveexec_b32 s42, s2
; %bb.426:                              ;   in Loop: Header=BB15_3 Depth=1
	ds_store_b32 v46, v2 offset:10128
; %bb.427:                              ;   in Loop: Header=BB15_3 Depth=1
	s_or_b32 exec_lo, exec_lo, s42
	s_wait_dscnt 0x0
	s_barrier_signal -1
	s_barrier_wait -1
	s_barrier_signal -1
	s_barrier_wait -1
	s_and_saveexec_b32 s42, s90
	s_cbranch_execz .LBB15_429
; %bb.428:                              ;   in Loop: Header=BB15_3 Depth=1
	ds_load_b32 v2, v45 offset:9872
	s_wait_dscnt 0x0
	ds_store_b32 v42, v2 offset:9368
	ds_load_b32 v2, v45 offset:9876
	s_wait_dscnt 0x0
	ds_store_b32 v42, v2 offset:9624
.LBB15_429:                             ;   in Loop: Header=BB15_3 Depth=1
	s_or_b32 exec_lo, exec_lo, s42
	s_wait_dscnt 0x0
	s_barrier_signal -1
	s_barrier_wait -1
	s_and_saveexec_b32 s42, s11
	s_cbranch_execz .LBB15_431
; %bb.430:                              ;   in Loop: Header=BB15_3 Depth=1
	ds_load_b32 v29, v3 offset:9616
	ds_store_b32 v3, v28 offset:9620
	s_wait_dscnt 0x1
	ds_store_b64 v3, v[28:29] offset:9360
.LBB15_431:                             ;   in Loop: Header=BB15_3 Depth=1
	s_or_b32 exec_lo, exec_lo, s42
	v_mov_b32_e32 v2, 0
	s_wait_dscnt 0x0
	s_barrier_signal -1
	s_barrier_wait -1
	global_wb scope:SCOPE_DEV
	s_wait_storecnt 0x0
	global_inv scope:SCOPE_DEV
	s_and_saveexec_b32 s60, s4
	s_cbranch_execz .LBB15_437
; %bb.432:                              ;   in Loop: Header=BB15_3 Depth=1
	ds_load_b32 v2, v48 offset:9344
	ds_load_b32 v29, v50 offset:10128
	s_wait_dscnt 0x0
	v_fma_f32 v2, v2, v29, 0
	s_and_saveexec_b32 s42, s13
	s_cbranch_execnz .LBB15_1197
; %bb.433:                              ;   in Loop: Header=BB15_3 Depth=1
	s_or_b32 exec_lo, exec_lo, s42
	s_and_saveexec_b32 s42, s14
	s_cbranch_execnz .LBB15_1198
.LBB15_434:                             ;   in Loop: Header=BB15_3 Depth=1
	s_or_b32 exec_lo, exec_lo, s42
	s_and_saveexec_b32 s42, s2
	s_cbranch_execz .LBB15_436
.LBB15_435:                             ;   in Loop: Header=BB15_3 Depth=1
	ds_load_b32 v29, v49 offset:10112
	ds_load_b32 v32, v3 offset:10140
	s_wait_dscnt 0x0
	v_fmac_f32_e32 v2, v29, v32
.LBB15_436:                             ;   in Loop: Header=BB15_3 Depth=1
	s_or_b32 exec_lo, exec_lo, s42
.LBB15_437:                             ;   in Loop: Header=BB15_3 Depth=1
	s_delay_alu instid0(SALU_CYCLE_1)
	s_or_b32 exec_lo, exec_lo, s60
	s_and_saveexec_b32 s42, s91
; %bb.438:                              ;   in Loop: Header=BB15_3 Depth=1
	s_delay_alu instid0(VALU_DEP_1)
	v_xor_b32_e32 v29, 0x80000000, v2
	ds_store_b32 v47, v29
; %bb.439:                              ;   in Loop: Header=BB15_3 Depth=1
	s_or_b32 exec_lo, exec_lo, s42
	s_wait_loadcnt_dscnt 0x0
	s_barrier_signal -1
	s_barrier_wait -1
	s_and_saveexec_b32 s42, s92
	s_cbranch_execz .LBB15_441
; %bb.440:                              ;   in Loop: Header=BB15_3 Depth=1
	ds_load_b32 v29, v48 offset:9088
	ds_load_b32 v32, v47
	s_wait_dscnt 0x0
	v_fma_f32 v2, -v29, v32, v2
.LBB15_441:                             ;   in Loop: Header=BB15_3 Depth=1
	s_or_b32 exec_lo, exec_lo, s42
	s_barrier_signal -1
	s_barrier_wait -1
	s_and_saveexec_b32 s42, s93
; %bb.442:                              ;   in Loop: Header=BB15_3 Depth=1
	v_xor_b32_e32 v29, 0x80000000, v2
	ds_store_b32 v47, v29
; %bb.443:                              ;   in Loop: Header=BB15_3 Depth=1
	s_or_b32 exec_lo, exec_lo, s42
	s_wait_dscnt 0x0
	s_barrier_signal -1
	s_barrier_wait -1
	s_and_saveexec_b32 s42, s94
	s_cbranch_execz .LBB15_445
; %bb.444:                              ;   in Loop: Header=BB15_3 Depth=1
	ds_load_b32 v29, v48 offset:8832
	ds_load_b32 v32, v47
	s_wait_dscnt 0x0
	v_fma_f32 v2, -v29, v32, v2
.LBB15_445:                             ;   in Loop: Header=BB15_3 Depth=1
	s_or_b32 exec_lo, exec_lo, s42
	s_barrier_signal -1
	s_barrier_wait -1
	s_and_saveexec_b32 s42, s95
; %bb.446:                              ;   in Loop: Header=BB15_3 Depth=1
	v_xor_b32_e32 v29, 0x80000000, v2
	ds_store_b32 v47, v29
; %bb.447:                              ;   in Loop: Header=BB15_3 Depth=1
	s_or_b32 exec_lo, exec_lo, s42
	s_wait_dscnt 0x0
	;; [unrolled: 20-line block ×3, first 2 shown]
	s_barrier_signal -1
	s_barrier_wait -1
	s_barrier_signal -1
	s_barrier_wait -1
	s_and_saveexec_b32 s42, s4
; %bb.452:                              ;   in Loop: Header=BB15_3 Depth=1
	ds_store_b32 v51, v2 offset:10112
; %bb.453:                              ;   in Loop: Header=BB15_3 Depth=1
	s_or_b32 exec_lo, exec_lo, s42
	s_wait_dscnt 0x0
	s_barrier_signal -1
	s_barrier_wait -1
	s_barrier_signal -1
	s_barrier_wait -1
	s_and_saveexec_b32 s57, s97
	s_cbranch_execz .LBB15_455
; %bb.454:                              ;   in Loop: Header=BB15_3 Depth=1
	ds_load_b32 v2, v52 offset:9344
	s_wait_dscnt 0x0
	ds_store_b32 v55, v2 offset:8336
	ds_load_b32 v2, v52 offset:9348
	s_wait_dscnt 0x0
	ds_store_b32 v55, v2 offset:8592
	;; [unrolled: 3-line block ×4, first 2 shown]
.LBB15_455:                             ;   in Loop: Header=BB15_3 Depth=1
	s_or_b32 exec_lo, exec_lo, s57
	s_wait_dscnt 0x0
	s_barrier_signal -1
	s_barrier_wait -1
	s_and_saveexec_b32 s42, s11
	s_cbranch_execz .LBB15_457
; %bb.456:                              ;   in Loop: Header=BB15_3 Depth=1
	ds_load_b32 v29, v3 offset:9096
	ds_store_b32 v3, v28 offset:9100
	s_wait_dscnt 0x1
	ds_store_b64 v3, v[28:29] offset:8840
.LBB15_457:                             ;   in Loop: Header=BB15_3 Depth=1
	s_or_b32 exec_lo, exec_lo, s42
	v_mov_b32_e32 v2, 0
	s_wait_dscnt 0x0
	s_barrier_signal -1
	s_barrier_wait -1
	global_wb scope:SCOPE_DEV
	s_wait_storecnt 0x0
	global_inv scope:SCOPE_DEV
	s_and_saveexec_b32 s57, s2
	s_cbranch_execz .LBB15_461
; %bb.458:                              ;   in Loop: Header=BB15_3 Depth=1
	ds_load_b32 v2, v43 offset:8832
	ds_load_b32 v29, v44 offset:9096
	s_wait_dscnt 0x0
	v_fma_f32 v2, v2, v29, 0
	s_and_saveexec_b32 s42, s12
	s_cbranch_execz .LBB15_460
; %bb.459:                              ;   in Loop: Header=BB15_3 Depth=1
	ds_load_b32 v29, v55 offset:9088
	ds_load_b32 v32, v3 offset:9100
	s_wait_dscnt 0x0
	v_fmac_f32_e32 v2, v29, v32
.LBB15_460:                             ;   in Loop: Header=BB15_3 Depth=1
	s_or_b32 exec_lo, exec_lo, s42
.LBB15_461:                             ;   in Loop: Header=BB15_3 Depth=1
	s_delay_alu instid0(SALU_CYCLE_1)
	s_or_b32 exec_lo, exec_lo, s57
	s_and_saveexec_b32 s42, s88
; %bb.462:                              ;   in Loop: Header=BB15_3 Depth=1
	s_delay_alu instid0(VALU_DEP_1)
	v_xor_b32_e32 v29, 0x80000000, v2
	ds_store_b32 v41, v29
; %bb.463:                              ;   in Loop: Header=BB15_3 Depth=1
	s_or_b32 exec_lo, exec_lo, s42
	s_wait_loadcnt_dscnt 0x0
	s_barrier_signal -1
	s_barrier_wait -1
	s_and_saveexec_b32 s42, s89
	s_cbranch_execz .LBB15_465
; %bb.464:                              ;   in Loop: Header=BB15_3 Depth=1
	ds_load_b32 v29, v3 offset:8576
	ds_load_b32 v32, v41
	s_wait_dscnt 0x0
	v_fma_f32 v2, -v29, v32, v2
.LBB15_465:                             ;   in Loop: Header=BB15_3 Depth=1
	s_or_b32 exec_lo, exec_lo, s42
	s_barrier_signal -1
	s_barrier_wait -1
	s_and_saveexec_b32 s42, s89
; %bb.466:                              ;   in Loop: Header=BB15_3 Depth=1
	v_xor_b32_e32 v29, 0x80000000, v2
	ds_store_b32 v41, v29
; %bb.467:                              ;   in Loop: Header=BB15_3 Depth=1
	s_or_b32 exec_lo, exec_lo, s42
	s_wait_dscnt 0x0
	s_barrier_signal -1
	s_barrier_wait -1
	s_barrier_signal -1
	s_barrier_wait -1
	s_and_saveexec_b32 s42, s2
; %bb.468:                              ;   in Loop: Header=BB15_3 Depth=1
	ds_store_b32 v46, v2 offset:9088
; %bb.469:                              ;   in Loop: Header=BB15_3 Depth=1
	s_or_b32 exec_lo, exec_lo, s42
	s_wait_dscnt 0x0
	s_barrier_signal -1
	s_barrier_wait -1
	s_barrier_signal -1
	s_barrier_wait -1
	s_and_saveexec_b32 s42, s90
	s_cbranch_execz .LBB15_471
; %bb.470:                              ;   in Loop: Header=BB15_3 Depth=1
	ds_load_b32 v2, v58 offset:8832
	s_wait_dscnt 0x0
	ds_store_b32 v55, v2 offset:8328
	ds_load_b32 v2, v58 offset:8836
	s_wait_dscnt 0x0
	ds_store_b32 v55, v2 offset:8584
.LBB15_471:                             ;   in Loop: Header=BB15_3 Depth=1
	s_or_b32 exec_lo, exec_lo, s42
	s_wait_dscnt 0x0
	s_barrier_signal -1
	s_barrier_wait -1
	s_and_saveexec_b32 s42, s11
	s_cbranch_execz .LBB15_473
; %bb.472:                              ;   in Loop: Header=BB15_3 Depth=1
	ds_load_b32 v29, v3 offset:8576
	ds_store_b32 v3, v28 offset:8580
	s_wait_dscnt 0x1
	ds_store_b64 v3, v[28:29] offset:8320
.LBB15_473:                             ;   in Loop: Header=BB15_3 Depth=1
	s_or_b32 exec_lo, exec_lo, s42
	v_mov_b32_e32 v2, 0
	s_wait_dscnt 0x0
	s_barrier_signal -1
	s_barrier_wait -1
	global_wb scope:SCOPE_DEV
	s_wait_storecnt 0x0
	global_inv scope:SCOPE_DEV
	s_and_saveexec_b32 s61, s7
	s_cbranch_execz .LBB15_535
; %bb.474:                              ;   in Loop: Header=BB15_3 Depth=1
	ds_load_b32 v2, v62 offset:8192
	ds_load_b32 v29, v65 offset:16256
	s_wait_dscnt 0x0
	v_fma_f32 v2, v2, v29, 0
	s_mov_b32 s42, exec_lo
	v_readlane_b32 s57, v87, 26
	s_and_b32 s57, s42, s57
	s_delay_alu instid0(SALU_CYCLE_1)
	s_mov_b32 exec_lo, s57
	s_cbranch_execz .LBB15_476
; %bb.475:                              ;   in Loop: Header=BB15_3 Depth=1
	ds_load_b32 v29, v62 offset:8448
	ds_load_b32 v32, v65 offset:16260
	s_wait_dscnt 0x0
	v_fmac_f32_e32 v2, v29, v32
.LBB15_476:                             ;   in Loop: Header=BB15_3 Depth=1
	s_or_b32 exec_lo, exec_lo, s42
	s_delay_alu instid0(SALU_CYCLE_1) | instskip(SKIP_2) | instid1(SALU_CYCLE_1)
	s_mov_b32 s42, exec_lo
	v_readlane_b32 s57, v87, 27
	s_and_b32 s57, s42, s57
	s_mov_b32 exec_lo, s57
	s_cbranch_execz .LBB15_478
; %bb.477:                              ;   in Loop: Header=BB15_3 Depth=1
	ds_load_b32 v29, v62 offset:8704
	ds_load_b32 v32, v65 offset:16264
	s_wait_dscnt 0x0
	v_fmac_f32_e32 v2, v29, v32
.LBB15_478:                             ;   in Loop: Header=BB15_3 Depth=1
	s_or_b32 exec_lo, exec_lo, s42
	s_delay_alu instid0(SALU_CYCLE_1) | instskip(SKIP_2) | instid1(SALU_CYCLE_1)
	s_mov_b32 s42, exec_lo
	v_readlane_b32 s57, v87, 28
	s_and_b32 s57, s42, s57
	;; [unrolled: 13-line block ×22, first 2 shown]
	s_mov_b32 exec_lo, s57
	s_cbranch_execz .LBB15_520
; %bb.519:                              ;   in Loop: Header=BB15_3 Depth=1
	ds_load_b32 v29, v62 offset:14080
	ds_load_b32 v32, v65 offset:16348
	s_wait_dscnt 0x0
	v_fmac_f32_e32 v2, v29, v32
.LBB15_520:                             ;   in Loop: Header=BB15_3 Depth=1
	s_or_b32 exec_lo, exec_lo, s42
	s_and_saveexec_b32 s42, s6
	s_cbranch_execz .LBB15_522
; %bb.521:                              ;   in Loop: Header=BB15_3 Depth=1
	ds_load_b32 v29, v62 offset:14336
	ds_load_b32 v32, v65 offset:16352
	s_wait_dscnt 0x0
	v_fmac_f32_e32 v2, v29, v32
.LBB15_522:                             ;   in Loop: Header=BB15_3 Depth=1
	s_or_b32 exec_lo, exec_lo, s42
	s_delay_alu instid0(SALU_CYCLE_1) | instskip(SKIP_2) | instid1(SALU_CYCLE_1)
	s_mov_b32 s42, exec_lo
	v_readlane_b32 s57, v87, 16
	s_and_b32 s57, s42, s57
	s_mov_b32 exec_lo, s57
	s_cbranch_execz .LBB15_524
; %bb.523:                              ;   in Loop: Header=BB15_3 Depth=1
	ds_load_b32 v29, v62 offset:14592
	ds_load_b32 v32, v65 offset:16356
	s_wait_dscnt 0x0
	v_fmac_f32_e32 v2, v29, v32
.LBB15_524:                             ;   in Loop: Header=BB15_3 Depth=1
	s_or_b32 exec_lo, exec_lo, s42
	s_delay_alu instid0(SALU_CYCLE_1) | instskip(SKIP_2) | instid1(SALU_CYCLE_1)
	s_mov_b32 s42, exec_lo
	v_readlane_b32 s57, v87, 18
	s_and_b32 s57, s42, s57
	s_mov_b32 exec_lo, s57
	;; [unrolled: 13-line block ×5, first 2 shown]
	s_cbranch_execnz .LBB15_1199
; %bb.531:                              ;   in Loop: Header=BB15_3 Depth=1
	s_or_b32 exec_lo, exec_lo, s42
	s_and_saveexec_b32 s42, s5
	s_cbranch_execnz .LBB15_1200
.LBB15_532:                             ;   in Loop: Header=BB15_3 Depth=1
	s_or_b32 exec_lo, exec_lo, s42
	s_and_saveexec_b32 s42, s18
	s_cbranch_execz .LBB15_534
.LBB15_533:                             ;   in Loop: Header=BB15_3 Depth=1
	ds_load_b32 v29, v9 offset:16128
	ds_load_b32 v32, v3 offset:16380
	s_wait_dscnt 0x0
	v_fmac_f32_e32 v2, v29, v32
.LBB15_534:                             ;   in Loop: Header=BB15_3 Depth=1
	s_or_b32 exec_lo, exec_lo, s42
.LBB15_535:                             ;   in Loop: Header=BB15_3 Depth=1
	s_delay_alu instid0(SALU_CYCLE_1) | instskip(NEXT) | instid1(SALU_CYCLE_1)
	s_or_b32 exec_lo, exec_lo, s61
	s_mov_b32 s42, exec_lo
	v_readlane_b32 s57, v89, 6
	s_and_b32 s57, s42, s57
	s_delay_alu instid0(SALU_CYCLE_1)
	s_mov_b32 exec_lo, s57
; %bb.536:                              ;   in Loop: Header=BB15_3 Depth=1
	v_xor_b32_e32 v29, 0x80000000, v2
	ds_store_b32 v64, v29
; %bb.537:                              ;   in Loop: Header=BB15_3 Depth=1
	s_or_b32 exec_lo, exec_lo, s42
	s_wait_loadcnt_dscnt 0x0
	s_barrier_signal -1
	s_barrier_wait -1
	s_mov_b32 s42, exec_lo
	v_readlane_b32 s57, v89, 7
	s_and_b32 s57, s42, s57
	s_delay_alu instid0(SALU_CYCLE_1)
	s_mov_b32 exec_lo, s57
	s_cbranch_execz .LBB15_539
; %bb.538:                              ;   in Loop: Header=BB15_3 Depth=1
	ds_load_b32 v29, v62 offset:7936
	ds_load_b32 v32, v64
	s_wait_dscnt 0x0
	v_fma_f32 v2, -v29, v32, v2
.LBB15_539:                             ;   in Loop: Header=BB15_3 Depth=1
	s_or_b32 exec_lo, exec_lo, s42
	s_barrier_signal -1
	s_barrier_wait -1
	s_mov_b32 s42, exec_lo
	v_readlane_b32 s57, v89, 8
	s_and_b32 s57, s42, s57
	s_delay_alu instid0(SALU_CYCLE_1)
	s_mov_b32 exec_lo, s57
; %bb.540:                              ;   in Loop: Header=BB15_3 Depth=1
	v_xor_b32_e32 v29, 0x80000000, v2
	ds_store_b32 v64, v29
; %bb.541:                              ;   in Loop: Header=BB15_3 Depth=1
	s_or_b32 exec_lo, exec_lo, s42
	s_wait_dscnt 0x0
	s_barrier_signal -1
	s_barrier_wait -1
	s_mov_b32 s42, exec_lo
	v_readlane_b32 s57, v89, 9
	s_and_b32 s57, s42, s57
	s_delay_alu instid0(SALU_CYCLE_1)
	s_mov_b32 exec_lo, s57
	s_cbranch_execz .LBB15_543
; %bb.542:                              ;   in Loop: Header=BB15_3 Depth=1
	ds_load_b32 v29, v62 offset:7680
	ds_load_b32 v32, v64
	s_wait_dscnt 0x0
	v_fma_f32 v2, -v29, v32, v2
.LBB15_543:                             ;   in Loop: Header=BB15_3 Depth=1
	s_or_b32 exec_lo, exec_lo, s42
	s_barrier_signal -1
	s_barrier_wait -1
	s_mov_b32 s42, exec_lo
	v_readlane_b32 s57, v89, 10
	s_and_b32 s57, s42, s57
	s_delay_alu instid0(SALU_CYCLE_1)
	s_mov_b32 exec_lo, s57
; %bb.544:                              ;   in Loop: Header=BB15_3 Depth=1
	v_xor_b32_e32 v29, 0x80000000, v2
	ds_store_b32 v64, v29
; %bb.545:                              ;   in Loop: Header=BB15_3 Depth=1
	s_or_b32 exec_lo, exec_lo, s42
	s_wait_dscnt 0x0
	s_barrier_signal -1
	s_barrier_wait -1
	s_mov_b32 s42, exec_lo
	v_readlane_b32 s57, v89, 11
	s_and_b32 s57, s42, s57
	s_delay_alu instid0(SALU_CYCLE_1)
	s_mov_b32 exec_lo, s57
	s_cbranch_execz .LBB15_547
; %bb.546:                              ;   in Loop: Header=BB15_3 Depth=1
	ds_load_b32 v29, v62 offset:7424
	ds_load_b32 v32, v64
	s_wait_dscnt 0x0
	v_fma_f32 v2, -v29, v32, v2
.LBB15_547:                             ;   in Loop: Header=BB15_3 Depth=1
	s_or_b32 exec_lo, exec_lo, s42
	s_barrier_signal -1
	s_barrier_wait -1
	s_mov_b32 s42, exec_lo
	v_readlane_b32 s57, v89, 12
	s_and_b32 s57, s42, s57
	s_delay_alu instid0(SALU_CYCLE_1)
	s_mov_b32 exec_lo, s57
; %bb.548:                              ;   in Loop: Header=BB15_3 Depth=1
	v_xor_b32_e32 v29, 0x80000000, v2
	ds_store_b32 v64, v29
; %bb.549:                              ;   in Loop: Header=BB15_3 Depth=1
	s_or_b32 exec_lo, exec_lo, s42
	s_wait_dscnt 0x0
	s_barrier_signal -1
	s_barrier_wait -1
	s_mov_b32 s42, exec_lo
	v_readlane_b32 s57, v89, 13
	s_and_b32 s57, s42, s57
	s_delay_alu instid0(SALU_CYCLE_1)
	s_mov_b32 exec_lo, s57
	s_cbranch_execz .LBB15_551
; %bb.550:                              ;   in Loop: Header=BB15_3 Depth=1
	ds_load_b32 v29, v62 offset:7168
	ds_load_b32 v32, v64
	s_wait_dscnt 0x0
	v_fma_f32 v2, -v29, v32, v2
.LBB15_551:                             ;   in Loop: Header=BB15_3 Depth=1
	s_or_b32 exec_lo, exec_lo, s42
	s_barrier_signal -1
	s_barrier_wait -1
	s_mov_b32 s42, exec_lo
	v_readlane_b32 s57, v89, 14
	s_and_b32 s57, s42, s57
	s_delay_alu instid0(SALU_CYCLE_1)
	s_mov_b32 exec_lo, s57
; %bb.552:                              ;   in Loop: Header=BB15_3 Depth=1
	v_xor_b32_e32 v29, 0x80000000, v2
	ds_store_b32 v64, v29
; %bb.553:                              ;   in Loop: Header=BB15_3 Depth=1
	s_or_b32 exec_lo, exec_lo, s42
	s_wait_dscnt 0x0
	s_barrier_signal -1
	s_barrier_wait -1
	s_mov_b32 s42, exec_lo
	v_readlane_b32 s57, v89, 15
	s_and_b32 s57, s42, s57
	s_delay_alu instid0(SALU_CYCLE_1)
	s_mov_b32 exec_lo, s57
	s_cbranch_execz .LBB15_555
; %bb.554:                              ;   in Loop: Header=BB15_3 Depth=1
	ds_load_b32 v29, v62 offset:6912
	ds_load_b32 v32, v64
	s_wait_dscnt 0x0
	v_fma_f32 v2, -v29, v32, v2
.LBB15_555:                             ;   in Loop: Header=BB15_3 Depth=1
	s_or_b32 exec_lo, exec_lo, s42
	s_barrier_signal -1
	s_barrier_wait -1
	s_mov_b32 s42, exec_lo
	v_readlane_b32 s57, v89, 16
	s_and_b32 s57, s42, s57
	s_delay_alu instid0(SALU_CYCLE_1)
	s_mov_b32 exec_lo, s57
; %bb.556:                              ;   in Loop: Header=BB15_3 Depth=1
	v_xor_b32_e32 v29, 0x80000000, v2
	ds_store_b32 v64, v29
; %bb.557:                              ;   in Loop: Header=BB15_3 Depth=1
	s_or_b32 exec_lo, exec_lo, s42
	s_wait_dscnt 0x0
	s_barrier_signal -1
	s_barrier_wait -1
	s_mov_b32 s42, exec_lo
	v_readlane_b32 s57, v89, 17
	s_and_b32 s57, s42, s57
	s_delay_alu instid0(SALU_CYCLE_1)
	s_mov_b32 exec_lo, s57
	s_cbranch_execz .LBB15_559
; %bb.558:                              ;   in Loop: Header=BB15_3 Depth=1
	ds_load_b32 v29, v62 offset:6656
	ds_load_b32 v32, v64
	s_wait_dscnt 0x0
	v_fma_f32 v2, -v29, v32, v2
.LBB15_559:                             ;   in Loop: Header=BB15_3 Depth=1
	s_or_b32 exec_lo, exec_lo, s42
	s_barrier_signal -1
	s_barrier_wait -1
	s_mov_b32 s42, exec_lo
	v_readlane_b32 s57, v89, 18
	s_and_b32 s57, s42, s57
	s_delay_alu instid0(SALU_CYCLE_1)
	s_mov_b32 exec_lo, s57
; %bb.560:                              ;   in Loop: Header=BB15_3 Depth=1
	v_xor_b32_e32 v29, 0x80000000, v2
	ds_store_b32 v64, v29
; %bb.561:                              ;   in Loop: Header=BB15_3 Depth=1
	s_or_b32 exec_lo, exec_lo, s42
	s_wait_dscnt 0x0
	s_barrier_signal -1
	s_barrier_wait -1
	s_mov_b32 s42, exec_lo
	v_readlane_b32 s57, v89, 19
	s_and_b32 s57, s42, s57
	s_delay_alu instid0(SALU_CYCLE_1)
	s_mov_b32 exec_lo, s57
	s_cbranch_execz .LBB15_563
; %bb.562:                              ;   in Loop: Header=BB15_3 Depth=1
	ds_load_b32 v29, v62 offset:6400
	ds_load_b32 v32, v64
	s_wait_dscnt 0x0
	v_fma_f32 v2, -v29, v32, v2
.LBB15_563:                             ;   in Loop: Header=BB15_3 Depth=1
	s_or_b32 exec_lo, exec_lo, s42
	s_barrier_signal -1
	s_barrier_wait -1
	s_mov_b32 s42, exec_lo
	v_readlane_b32 s57, v89, 20
	s_and_b32 s57, s42, s57
	s_delay_alu instid0(SALU_CYCLE_1)
	s_mov_b32 exec_lo, s57
; %bb.564:                              ;   in Loop: Header=BB15_3 Depth=1
	v_xor_b32_e32 v29, 0x80000000, v2
	ds_store_b32 v64, v29
; %bb.565:                              ;   in Loop: Header=BB15_3 Depth=1
	s_or_b32 exec_lo, exec_lo, s42
	s_wait_dscnt 0x0
	s_barrier_signal -1
	s_barrier_wait -1
	s_mov_b32 s42, exec_lo
	v_readlane_b32 s57, v89, 21
	s_and_b32 s57, s42, s57
	s_delay_alu instid0(SALU_CYCLE_1)
	s_mov_b32 exec_lo, s57
	s_cbranch_execz .LBB15_567
; %bb.566:                              ;   in Loop: Header=BB15_3 Depth=1
	ds_load_b32 v29, v62 offset:6144
	ds_load_b32 v32, v64
	s_wait_dscnt 0x0
	v_fma_f32 v2, -v29, v32, v2
.LBB15_567:                             ;   in Loop: Header=BB15_3 Depth=1
	s_or_b32 exec_lo, exec_lo, s42
	s_barrier_signal -1
	s_barrier_wait -1
	s_mov_b32 s42, exec_lo
	v_readlane_b32 s57, v89, 22
	s_and_b32 s57, s42, s57
	s_delay_alu instid0(SALU_CYCLE_1)
	s_mov_b32 exec_lo, s57
; %bb.568:                              ;   in Loop: Header=BB15_3 Depth=1
	v_xor_b32_e32 v29, 0x80000000, v2
	ds_store_b32 v64, v29
; %bb.569:                              ;   in Loop: Header=BB15_3 Depth=1
	s_or_b32 exec_lo, exec_lo, s42
	s_wait_dscnt 0x0
	s_barrier_signal -1
	s_barrier_wait -1
	s_mov_b32 s42, exec_lo
	v_readlane_b32 s57, v89, 23
	s_and_b32 s57, s42, s57
	s_delay_alu instid0(SALU_CYCLE_1)
	s_mov_b32 exec_lo, s57
	s_cbranch_execz .LBB15_571
; %bb.570:                              ;   in Loop: Header=BB15_3 Depth=1
	ds_load_b32 v29, v62 offset:5888
	ds_load_b32 v32, v64
	s_wait_dscnt 0x0
	v_fma_f32 v2, -v29, v32, v2
.LBB15_571:                             ;   in Loop: Header=BB15_3 Depth=1
	s_or_b32 exec_lo, exec_lo, s42
	s_barrier_signal -1
	s_barrier_wait -1
	s_mov_b32 s42, exec_lo
	v_readlane_b32 s57, v89, 24
	s_and_b32 s57, s42, s57
	s_delay_alu instid0(SALU_CYCLE_1)
	s_mov_b32 exec_lo, s57
; %bb.572:                              ;   in Loop: Header=BB15_3 Depth=1
	v_xor_b32_e32 v29, 0x80000000, v2
	ds_store_b32 v64, v29
; %bb.573:                              ;   in Loop: Header=BB15_3 Depth=1
	s_or_b32 exec_lo, exec_lo, s42
	s_wait_dscnt 0x0
	s_barrier_signal -1
	s_barrier_wait -1
	s_mov_b32 s42, exec_lo
	v_readlane_b32 s57, v89, 25
	s_and_b32 s57, s42, s57
	s_delay_alu instid0(SALU_CYCLE_1)
	s_mov_b32 exec_lo, s57
	s_cbranch_execz .LBB15_575
; %bb.574:                              ;   in Loop: Header=BB15_3 Depth=1
	ds_load_b32 v29, v62 offset:5632
	ds_load_b32 v32, v64
	s_wait_dscnt 0x0
	v_fma_f32 v2, -v29, v32, v2
.LBB15_575:                             ;   in Loop: Header=BB15_3 Depth=1
	s_or_b32 exec_lo, exec_lo, s42
	s_barrier_signal -1
	s_barrier_wait -1
	s_mov_b32 s42, exec_lo
	v_readlane_b32 s57, v89, 26
	s_and_b32 s57, s42, s57
	s_delay_alu instid0(SALU_CYCLE_1)
	s_mov_b32 exec_lo, s57
; %bb.576:                              ;   in Loop: Header=BB15_3 Depth=1
	v_xor_b32_e32 v29, 0x80000000, v2
	ds_store_b32 v64, v29
; %bb.577:                              ;   in Loop: Header=BB15_3 Depth=1
	s_or_b32 exec_lo, exec_lo, s42
	s_wait_dscnt 0x0
	s_barrier_signal -1
	s_barrier_wait -1
	s_mov_b32 s42, exec_lo
	v_readlane_b32 s57, v89, 27
	s_and_b32 s57, s42, s57
	s_delay_alu instid0(SALU_CYCLE_1)
	s_mov_b32 exec_lo, s57
	s_cbranch_execz .LBB15_579
; %bb.578:                              ;   in Loop: Header=BB15_3 Depth=1
	ds_load_b32 v29, v62 offset:5376
	ds_load_b32 v32, v64
	s_wait_dscnt 0x0
	v_fma_f32 v2, -v29, v32, v2
.LBB15_579:                             ;   in Loop: Header=BB15_3 Depth=1
	s_or_b32 exec_lo, exec_lo, s42
	s_barrier_signal -1
	s_barrier_wait -1
	s_mov_b32 s42, exec_lo
	v_readlane_b32 s57, v89, 28
	s_and_b32 s57, s42, s57
	s_delay_alu instid0(SALU_CYCLE_1)
	s_mov_b32 exec_lo, s57
; %bb.580:                              ;   in Loop: Header=BB15_3 Depth=1
	v_xor_b32_e32 v29, 0x80000000, v2
	ds_store_b32 v64, v29
; %bb.581:                              ;   in Loop: Header=BB15_3 Depth=1
	s_or_b32 exec_lo, exec_lo, s42
	s_wait_dscnt 0x0
	s_barrier_signal -1
	s_barrier_wait -1
	s_mov_b32 s42, exec_lo
	v_readlane_b32 s57, v89, 29
	s_and_b32 s57, s42, s57
	s_delay_alu instid0(SALU_CYCLE_1)
	s_mov_b32 exec_lo, s57
	s_cbranch_execz .LBB15_583
; %bb.582:                              ;   in Loop: Header=BB15_3 Depth=1
	ds_load_b32 v29, v62 offset:5120
	ds_load_b32 v32, v64
	s_wait_dscnt 0x0
	v_fma_f32 v2, -v29, v32, v2
.LBB15_583:                             ;   in Loop: Header=BB15_3 Depth=1
	s_or_b32 exec_lo, exec_lo, s42
	s_barrier_signal -1
	s_barrier_wait -1
	s_mov_b32 s42, exec_lo
	v_readlane_b32 s57, v89, 30
	s_and_b32 s57, s42, s57
	s_delay_alu instid0(SALU_CYCLE_1)
	s_mov_b32 exec_lo, s57
; %bb.584:                              ;   in Loop: Header=BB15_3 Depth=1
	v_xor_b32_e32 v29, 0x80000000, v2
	ds_store_b32 v64, v29
; %bb.585:                              ;   in Loop: Header=BB15_3 Depth=1
	s_or_b32 exec_lo, exec_lo, s42
	s_wait_dscnt 0x0
	s_barrier_signal -1
	s_barrier_wait -1
	s_mov_b32 s42, exec_lo
	v_readlane_b32 s57, v89, 31
	s_and_b32 s57, s42, s57
	s_delay_alu instid0(SALU_CYCLE_1)
	s_mov_b32 exec_lo, s57
	s_cbranch_execz .LBB15_587
; %bb.586:                              ;   in Loop: Header=BB15_3 Depth=1
	ds_load_b32 v29, v62 offset:4864
	ds_load_b32 v32, v64
	s_wait_dscnt 0x0
	v_fma_f32 v2, -v29, v32, v2
.LBB15_587:                             ;   in Loop: Header=BB15_3 Depth=1
	s_or_b32 exec_lo, exec_lo, s42
	s_barrier_signal -1
	s_barrier_wait -1
	s_mov_b32 s42, exec_lo
	v_readlane_b32 s57, v88, 0
	s_and_b32 s57, s42, s57
	s_delay_alu instid0(SALU_CYCLE_1)
	s_mov_b32 exec_lo, s57
; %bb.588:                              ;   in Loop: Header=BB15_3 Depth=1
	v_xor_b32_e32 v29, 0x80000000, v2
	ds_store_b32 v64, v29
; %bb.589:                              ;   in Loop: Header=BB15_3 Depth=1
	s_or_b32 exec_lo, exec_lo, s42
	s_wait_dscnt 0x0
	s_barrier_signal -1
	s_barrier_wait -1
	s_mov_b32 s42, exec_lo
	v_readlane_b32 s57, v88, 1
	s_and_b32 s57, s42, s57
	s_delay_alu instid0(SALU_CYCLE_1)
	s_mov_b32 exec_lo, s57
	s_cbranch_execz .LBB15_591
; %bb.590:                              ;   in Loop: Header=BB15_3 Depth=1
	ds_load_b32 v29, v62 offset:4608
	ds_load_b32 v32, v64
	s_wait_dscnt 0x0
	v_fma_f32 v2, -v29, v32, v2
.LBB15_591:                             ;   in Loop: Header=BB15_3 Depth=1
	s_or_b32 exec_lo, exec_lo, s42
	s_barrier_signal -1
	s_barrier_wait -1
	s_mov_b32 s42, exec_lo
	v_readlane_b32 s57, v88, 2
	s_and_b32 s57, s42, s57
	s_delay_alu instid0(SALU_CYCLE_1)
	s_mov_b32 exec_lo, s57
; %bb.592:                              ;   in Loop: Header=BB15_3 Depth=1
	v_xor_b32_e32 v29, 0x80000000, v2
	ds_store_b32 v64, v29
; %bb.593:                              ;   in Loop: Header=BB15_3 Depth=1
	s_or_b32 exec_lo, exec_lo, s42
	s_wait_dscnt 0x0
	s_barrier_signal -1
	s_barrier_wait -1
	s_mov_b32 s42, exec_lo
	v_readlane_b32 s57, v88, 3
	s_and_b32 s57, s42, s57
	s_delay_alu instid0(SALU_CYCLE_1)
	s_mov_b32 exec_lo, s57
	s_cbranch_execz .LBB15_595
; %bb.594:                              ;   in Loop: Header=BB15_3 Depth=1
	ds_load_b32 v29, v62 offset:4352
	ds_load_b32 v32, v64
	s_wait_dscnt 0x0
	v_fma_f32 v2, -v29, v32, v2
.LBB15_595:                             ;   in Loop: Header=BB15_3 Depth=1
	s_or_b32 exec_lo, exec_lo, s42
	s_barrier_signal -1
	s_barrier_wait -1
	s_mov_b32 s42, exec_lo
	v_readlane_b32 s57, v88, 4
	s_and_b32 s57, s42, s57
	s_delay_alu instid0(SALU_CYCLE_1)
	s_mov_b32 exec_lo, s57
; %bb.596:                              ;   in Loop: Header=BB15_3 Depth=1
	v_xor_b32_e32 v29, 0x80000000, v2
	ds_store_b32 v64, v29
; %bb.597:                              ;   in Loop: Header=BB15_3 Depth=1
	s_or_b32 exec_lo, exec_lo, s42
	s_wait_dscnt 0x0
	s_barrier_signal -1
	s_barrier_wait -1
	s_mov_b32 s42, exec_lo
	v_readlane_b32 s57, v88, 5
	s_and_b32 s57, s42, s57
	s_delay_alu instid0(SALU_CYCLE_1)
	s_mov_b32 exec_lo, s57
	s_cbranch_execz .LBB15_599
; %bb.598:                              ;   in Loop: Header=BB15_3 Depth=1
	ds_load_b32 v29, v62 offset:4096
	ds_load_b32 v32, v64
	s_wait_dscnt 0x0
	v_fma_f32 v2, -v29, v32, v2
.LBB15_599:                             ;   in Loop: Header=BB15_3 Depth=1
	s_or_b32 exec_lo, exec_lo, s42
	s_barrier_signal -1
	s_barrier_wait -1
	s_mov_b32 s42, exec_lo
	v_readlane_b32 s57, v88, 6
	s_and_b32 s57, s42, s57
	s_delay_alu instid0(SALU_CYCLE_1)
	s_mov_b32 exec_lo, s57
; %bb.600:                              ;   in Loop: Header=BB15_3 Depth=1
	v_xor_b32_e32 v29, 0x80000000, v2
	ds_store_b32 v64, v29
; %bb.601:                              ;   in Loop: Header=BB15_3 Depth=1
	s_or_b32 exec_lo, exec_lo, s42
	s_wait_dscnt 0x0
	s_barrier_signal -1
	s_barrier_wait -1
	s_mov_b32 s42, exec_lo
	v_readlane_b32 s57, v88, 7
	s_and_b32 s57, s42, s57
	s_delay_alu instid0(SALU_CYCLE_1)
	s_mov_b32 exec_lo, s57
	s_cbranch_execz .LBB15_603
; %bb.602:                              ;   in Loop: Header=BB15_3 Depth=1
	ds_load_b32 v29, v62 offset:3840
	ds_load_b32 v32, v64
	s_wait_dscnt 0x0
	v_fma_f32 v2, -v29, v32, v2
.LBB15_603:                             ;   in Loop: Header=BB15_3 Depth=1
	s_or_b32 exec_lo, exec_lo, s42
	s_barrier_signal -1
	s_barrier_wait -1
	s_mov_b32 s42, exec_lo
	v_readlane_b32 s57, v88, 8
	s_and_b32 s57, s42, s57
	s_delay_alu instid0(SALU_CYCLE_1)
	s_mov_b32 exec_lo, s57
; %bb.604:                              ;   in Loop: Header=BB15_3 Depth=1
	v_xor_b32_e32 v29, 0x80000000, v2
	ds_store_b32 v64, v29
; %bb.605:                              ;   in Loop: Header=BB15_3 Depth=1
	s_or_b32 exec_lo, exec_lo, s42
	s_wait_dscnt 0x0
	s_barrier_signal -1
	s_barrier_wait -1
	s_mov_b32 s42, exec_lo
	v_readlane_b32 s57, v88, 9
	s_and_b32 s57, s42, s57
	s_delay_alu instid0(SALU_CYCLE_1)
	s_mov_b32 exec_lo, s57
	s_cbranch_execz .LBB15_607
; %bb.606:                              ;   in Loop: Header=BB15_3 Depth=1
	ds_load_b32 v29, v62 offset:3584
	ds_load_b32 v32, v64
	s_wait_dscnt 0x0
	v_fma_f32 v2, -v29, v32, v2
.LBB15_607:                             ;   in Loop: Header=BB15_3 Depth=1
	s_or_b32 exec_lo, exec_lo, s42
	s_barrier_signal -1
	s_barrier_wait -1
	s_mov_b32 s42, exec_lo
	v_readlane_b32 s57, v88, 10
	s_and_b32 s57, s42, s57
	s_delay_alu instid0(SALU_CYCLE_1)
	s_mov_b32 exec_lo, s57
; %bb.608:                              ;   in Loop: Header=BB15_3 Depth=1
	v_xor_b32_e32 v29, 0x80000000, v2
	ds_store_b32 v64, v29
; %bb.609:                              ;   in Loop: Header=BB15_3 Depth=1
	s_or_b32 exec_lo, exec_lo, s42
	s_wait_dscnt 0x0
	s_barrier_signal -1
	s_barrier_wait -1
	s_mov_b32 s42, exec_lo
	v_readlane_b32 s57, v88, 11
	s_and_b32 s57, s42, s57
	s_delay_alu instid0(SALU_CYCLE_1)
	s_mov_b32 exec_lo, s57
	s_cbranch_execz .LBB15_611
; %bb.610:                              ;   in Loop: Header=BB15_3 Depth=1
	ds_load_b32 v29, v62 offset:3328
	ds_load_b32 v32, v64
	s_wait_dscnt 0x0
	v_fma_f32 v2, -v29, v32, v2
.LBB15_611:                             ;   in Loop: Header=BB15_3 Depth=1
	s_or_b32 exec_lo, exec_lo, s42
	s_barrier_signal -1
	s_barrier_wait -1
	s_mov_b32 s42, exec_lo
	v_readlane_b32 s57, v88, 12
	s_and_b32 s57, s42, s57
	s_delay_alu instid0(SALU_CYCLE_1)
	s_mov_b32 exec_lo, s57
; %bb.612:                              ;   in Loop: Header=BB15_3 Depth=1
	v_xor_b32_e32 v29, 0x80000000, v2
	ds_store_b32 v64, v29
; %bb.613:                              ;   in Loop: Header=BB15_3 Depth=1
	s_or_b32 exec_lo, exec_lo, s42
	s_wait_dscnt 0x0
	s_barrier_signal -1
	s_barrier_wait -1
	s_mov_b32 s42, exec_lo
	v_readlane_b32 s57, v88, 13
	s_and_b32 s57, s42, s57
	s_delay_alu instid0(SALU_CYCLE_1)
	s_mov_b32 exec_lo, s57
	s_cbranch_execz .LBB15_615
; %bb.614:                              ;   in Loop: Header=BB15_3 Depth=1
	ds_load_b32 v29, v62 offset:3072
	ds_load_b32 v32, v64
	s_wait_dscnt 0x0
	v_fma_f32 v2, -v29, v32, v2
.LBB15_615:                             ;   in Loop: Header=BB15_3 Depth=1
	s_or_b32 exec_lo, exec_lo, s42
	s_barrier_signal -1
	s_barrier_wait -1
	s_mov_b32 s42, exec_lo
	v_readlane_b32 s57, v88, 14
	s_and_b32 s57, s42, s57
	s_delay_alu instid0(SALU_CYCLE_1)
	s_mov_b32 exec_lo, s57
; %bb.616:                              ;   in Loop: Header=BB15_3 Depth=1
	v_xor_b32_e32 v29, 0x80000000, v2
	ds_store_b32 v64, v29
; %bb.617:                              ;   in Loop: Header=BB15_3 Depth=1
	s_or_b32 exec_lo, exec_lo, s42
	s_wait_dscnt 0x0
	s_barrier_signal -1
	s_barrier_wait -1
	s_mov_b32 s42, exec_lo
	v_readlane_b32 s57, v88, 15
	s_and_b32 s57, s42, s57
	s_delay_alu instid0(SALU_CYCLE_1)
	s_mov_b32 exec_lo, s57
	s_cbranch_execz .LBB15_619
; %bb.618:                              ;   in Loop: Header=BB15_3 Depth=1
	ds_load_b32 v29, v62 offset:2816
	ds_load_b32 v32, v64
	s_wait_dscnt 0x0
	v_fma_f32 v2, -v29, v32, v2
.LBB15_619:                             ;   in Loop: Header=BB15_3 Depth=1
	s_or_b32 exec_lo, exec_lo, s42
	s_barrier_signal -1
	s_barrier_wait -1
	s_mov_b32 s42, exec_lo
	v_readlane_b32 s57, v88, 16
	s_and_b32 s57, s42, s57
	s_delay_alu instid0(SALU_CYCLE_1)
	s_mov_b32 exec_lo, s57
; %bb.620:                              ;   in Loop: Header=BB15_3 Depth=1
	v_xor_b32_e32 v29, 0x80000000, v2
	ds_store_b32 v64, v29
; %bb.621:                              ;   in Loop: Header=BB15_3 Depth=1
	s_or_b32 exec_lo, exec_lo, s42
	s_wait_dscnt 0x0
	s_barrier_signal -1
	s_barrier_wait -1
	s_mov_b32 s42, exec_lo
	v_readlane_b32 s57, v88, 17
	s_and_b32 s57, s42, s57
	s_delay_alu instid0(SALU_CYCLE_1)
	s_mov_b32 exec_lo, s57
	s_cbranch_execz .LBB15_623
; %bb.622:                              ;   in Loop: Header=BB15_3 Depth=1
	ds_load_b32 v29, v62 offset:2560
	ds_load_b32 v32, v64
	s_wait_dscnt 0x0
	v_fma_f32 v2, -v29, v32, v2
.LBB15_623:                             ;   in Loop: Header=BB15_3 Depth=1
	s_or_b32 exec_lo, exec_lo, s42
	s_barrier_signal -1
	s_barrier_wait -1
	s_mov_b32 s42, exec_lo
	v_readlane_b32 s57, v88, 18
	s_and_b32 s57, s42, s57
	s_delay_alu instid0(SALU_CYCLE_1)
	s_mov_b32 exec_lo, s57
; %bb.624:                              ;   in Loop: Header=BB15_3 Depth=1
	v_xor_b32_e32 v29, 0x80000000, v2
	ds_store_b32 v64, v29
; %bb.625:                              ;   in Loop: Header=BB15_3 Depth=1
	s_or_b32 exec_lo, exec_lo, s42
	s_wait_dscnt 0x0
	s_barrier_signal -1
	s_barrier_wait -1
	s_mov_b32 s42, exec_lo
	v_readlane_b32 s57, v88, 19
	s_and_b32 s57, s42, s57
	s_delay_alu instid0(SALU_CYCLE_1)
	s_mov_b32 exec_lo, s57
	s_cbranch_execz .LBB15_627
; %bb.626:                              ;   in Loop: Header=BB15_3 Depth=1
	ds_load_b32 v29, v62 offset:2304
	ds_load_b32 v32, v64
	s_wait_dscnt 0x0
	v_fma_f32 v2, -v29, v32, v2
.LBB15_627:                             ;   in Loop: Header=BB15_3 Depth=1
	s_or_b32 exec_lo, exec_lo, s42
	s_barrier_signal -1
	s_barrier_wait -1
	s_mov_b32 s42, exec_lo
	v_readlane_b32 s57, v88, 20
	s_and_b32 s57, s42, s57
	s_delay_alu instid0(SALU_CYCLE_1)
	s_mov_b32 exec_lo, s57
; %bb.628:                              ;   in Loop: Header=BB15_3 Depth=1
	v_xor_b32_e32 v29, 0x80000000, v2
	ds_store_b32 v64, v29
; %bb.629:                              ;   in Loop: Header=BB15_3 Depth=1
	s_or_b32 exec_lo, exec_lo, s42
	s_wait_dscnt 0x0
	s_barrier_signal -1
	s_barrier_wait -1
	s_mov_b32 s42, exec_lo
	v_readlane_b32 s57, v88, 21
	s_and_b32 s57, s42, s57
	s_delay_alu instid0(SALU_CYCLE_1)
	s_mov_b32 exec_lo, s57
	s_cbranch_execz .LBB15_631
; %bb.630:                              ;   in Loop: Header=BB15_3 Depth=1
	ds_load_b32 v29, v62 offset:2048
	ds_load_b32 v32, v64
	s_wait_dscnt 0x0
	v_fma_f32 v2, -v29, v32, v2
.LBB15_631:                             ;   in Loop: Header=BB15_3 Depth=1
	s_or_b32 exec_lo, exec_lo, s42
	s_barrier_signal -1
	s_barrier_wait -1
	s_mov_b32 s42, exec_lo
	v_readlane_b32 s57, v88, 22
	s_and_b32 s57, s42, s57
	s_delay_alu instid0(SALU_CYCLE_1)
	s_mov_b32 exec_lo, s57
; %bb.632:                              ;   in Loop: Header=BB15_3 Depth=1
	v_xor_b32_e32 v29, 0x80000000, v2
	ds_store_b32 v64, v29
; %bb.633:                              ;   in Loop: Header=BB15_3 Depth=1
	s_or_b32 exec_lo, exec_lo, s42
	s_wait_dscnt 0x0
	s_barrier_signal -1
	s_barrier_wait -1
	s_mov_b32 s42, exec_lo
	v_readlane_b32 s57, v88, 23
	s_and_b32 s57, s42, s57
	s_delay_alu instid0(SALU_CYCLE_1)
	s_mov_b32 exec_lo, s57
	s_cbranch_execz .LBB15_635
; %bb.634:                              ;   in Loop: Header=BB15_3 Depth=1
	ds_load_b32 v29, v62 offset:1792
	ds_load_b32 v32, v64
	s_wait_dscnt 0x0
	v_fma_f32 v2, -v29, v32, v2
.LBB15_635:                             ;   in Loop: Header=BB15_3 Depth=1
	s_or_b32 exec_lo, exec_lo, s42
	s_barrier_signal -1
	s_barrier_wait -1
	s_mov_b32 s42, exec_lo
	v_readlane_b32 s57, v88, 24
	s_and_b32 s57, s42, s57
	s_delay_alu instid0(SALU_CYCLE_1)
	s_mov_b32 exec_lo, s57
; %bb.636:                              ;   in Loop: Header=BB15_3 Depth=1
	v_xor_b32_e32 v29, 0x80000000, v2
	ds_store_b32 v64, v29
; %bb.637:                              ;   in Loop: Header=BB15_3 Depth=1
	s_or_b32 exec_lo, exec_lo, s42
	s_wait_dscnt 0x0
	s_barrier_signal -1
	s_barrier_wait -1
	s_mov_b32 s42, exec_lo
	v_readlane_b32 s57, v88, 25
	s_and_b32 s57, s42, s57
	s_delay_alu instid0(SALU_CYCLE_1)
	s_mov_b32 exec_lo, s57
	s_cbranch_execz .LBB15_639
; %bb.638:                              ;   in Loop: Header=BB15_3 Depth=1
	ds_load_b32 v29, v62 offset:1536
	ds_load_b32 v32, v64
	s_wait_dscnt 0x0
	v_fma_f32 v2, -v29, v32, v2
.LBB15_639:                             ;   in Loop: Header=BB15_3 Depth=1
	s_or_b32 exec_lo, exec_lo, s42
	s_barrier_signal -1
	s_barrier_wait -1
	s_mov_b32 s42, exec_lo
	v_readlane_b32 s57, v88, 26
	s_and_b32 s57, s42, s57
	s_delay_alu instid0(SALU_CYCLE_1)
	s_mov_b32 exec_lo, s57
; %bb.640:                              ;   in Loop: Header=BB15_3 Depth=1
	v_xor_b32_e32 v29, 0x80000000, v2
	ds_store_b32 v64, v29
; %bb.641:                              ;   in Loop: Header=BB15_3 Depth=1
	s_or_b32 exec_lo, exec_lo, s42
	s_wait_dscnt 0x0
	s_barrier_signal -1
	s_barrier_wait -1
	s_mov_b32 s42, exec_lo
	v_readlane_b32 s57, v88, 27
	s_and_b32 s57, s42, s57
	s_delay_alu instid0(SALU_CYCLE_1)
	s_mov_b32 exec_lo, s57
	s_cbranch_execz .LBB15_643
; %bb.642:                              ;   in Loop: Header=BB15_3 Depth=1
	ds_load_b32 v29, v62 offset:1280
	ds_load_b32 v32, v64
	s_wait_dscnt 0x0
	v_fma_f32 v2, -v29, v32, v2
.LBB15_643:                             ;   in Loop: Header=BB15_3 Depth=1
	s_or_b32 exec_lo, exec_lo, s42
	s_barrier_signal -1
	s_barrier_wait -1
	s_mov_b32 s42, exec_lo
	v_readlane_b32 s57, v88, 28
	s_and_b32 s57, s42, s57
	s_delay_alu instid0(SALU_CYCLE_1)
	s_mov_b32 exec_lo, s57
; %bb.644:                              ;   in Loop: Header=BB15_3 Depth=1
	v_xor_b32_e32 v29, 0x80000000, v2
	ds_store_b32 v64, v29
; %bb.645:                              ;   in Loop: Header=BB15_3 Depth=1
	s_or_b32 exec_lo, exec_lo, s42
	s_wait_dscnt 0x0
	s_barrier_signal -1
	s_barrier_wait -1
	s_mov_b32 s42, exec_lo
	v_readlane_b32 s57, v88, 29
	s_and_b32 s57, s42, s57
	s_delay_alu instid0(SALU_CYCLE_1)
	s_mov_b32 exec_lo, s57
	s_cbranch_execz .LBB15_647
; %bb.646:                              ;   in Loop: Header=BB15_3 Depth=1
	ds_load_b32 v29, v62 offset:1024
	ds_load_b32 v32, v64
	s_wait_dscnt 0x0
	v_fma_f32 v2, -v29, v32, v2
.LBB15_647:                             ;   in Loop: Header=BB15_3 Depth=1
	s_or_b32 exec_lo, exec_lo, s42
	s_barrier_signal -1
	s_barrier_wait -1
	s_mov_b32 s42, exec_lo
	v_readlane_b32 s57, v88, 30
	s_and_b32 s57, s42, s57
	s_delay_alu instid0(SALU_CYCLE_1)
	s_mov_b32 exec_lo, s57
; %bb.648:                              ;   in Loop: Header=BB15_3 Depth=1
	v_xor_b32_e32 v29, 0x80000000, v2
	ds_store_b32 v64, v29
; %bb.649:                              ;   in Loop: Header=BB15_3 Depth=1
	s_or_b32 exec_lo, exec_lo, s42
	s_wait_dscnt 0x0
	s_barrier_signal -1
	s_barrier_wait -1
	s_mov_b32 s42, exec_lo
	v_readlane_b32 s57, v88, 31
	s_and_b32 s57, s42, s57
	s_delay_alu instid0(SALU_CYCLE_1)
	s_mov_b32 exec_lo, s57
	s_cbranch_execz .LBB15_651
; %bb.650:                              ;   in Loop: Header=BB15_3 Depth=1
	ds_load_b32 v29, v62 offset:768
	ds_load_b32 v32, v64
	s_wait_dscnt 0x0
	v_fma_f32 v2, -v29, v32, v2
.LBB15_651:                             ;   in Loop: Header=BB15_3 Depth=1
	s_or_b32 exec_lo, exec_lo, s42
	s_barrier_signal -1
	s_barrier_wait -1
	s_mov_b32 s42, exec_lo
	v_readlane_b32 s57, v87, 0
	s_and_b32 s57, s42, s57
	s_delay_alu instid0(SALU_CYCLE_1)
	s_mov_b32 exec_lo, s57
; %bb.652:                              ;   in Loop: Header=BB15_3 Depth=1
	v_xor_b32_e32 v29, 0x80000000, v2
	ds_store_b32 v64, v29
; %bb.653:                              ;   in Loop: Header=BB15_3 Depth=1
	s_or_b32 exec_lo, exec_lo, s42
	s_wait_dscnt 0x0
	s_barrier_signal -1
	s_barrier_wait -1
	s_mov_b32 s42, exec_lo
	v_readlane_b32 s57, v87, 1
	s_and_b32 s57, s42, s57
	s_delay_alu instid0(SALU_CYCLE_1)
	s_mov_b32 exec_lo, s57
	s_cbranch_execz .LBB15_655
; %bb.654:                              ;   in Loop: Header=BB15_3 Depth=1
	ds_load_b32 v29, v62 offset:512
	ds_load_b32 v32, v64
	s_wait_dscnt 0x0
	v_fma_f32 v2, -v29, v32, v2
.LBB15_655:                             ;   in Loop: Header=BB15_3 Depth=1
	s_or_b32 exec_lo, exec_lo, s42
	s_barrier_signal -1
	s_barrier_wait -1
	s_mov_b32 s42, exec_lo
	v_readlane_b32 s57, v87, 2
	s_and_b32 s57, s42, s57
	s_delay_alu instid0(SALU_CYCLE_1)
	s_mov_b32 exec_lo, s57
; %bb.656:                              ;   in Loop: Header=BB15_3 Depth=1
	v_xor_b32_e32 v29, 0x80000000, v2
	ds_store_b32 v64, v29
; %bb.657:                              ;   in Loop: Header=BB15_3 Depth=1
	s_or_b32 exec_lo, exec_lo, s42
	s_wait_dscnt 0x0
	s_barrier_signal -1
	s_barrier_wait -1
	s_and_saveexec_b32 s42, s39
	s_cbranch_execz .LBB15_659
; %bb.658:                              ;   in Loop: Header=BB15_3 Depth=1
	ds_load_b32 v29, v3 offset:256
	ds_load_b32 v32, v64
	s_wait_dscnt 0x0
	v_fma_f32 v2, -v29, v32, v2
.LBB15_659:                             ;   in Loop: Header=BB15_3 Depth=1
	s_or_b32 exec_lo, exec_lo, s42
	s_barrier_signal -1
	s_barrier_wait -1
	s_and_saveexec_b32 s42, s39
; %bb.660:                              ;   in Loop: Header=BB15_3 Depth=1
	v_xor_b32_e32 v29, 0x80000000, v2
	ds_store_b32 v64, v29
; %bb.661:                              ;   in Loop: Header=BB15_3 Depth=1
	s_or_b32 exec_lo, exec_lo, s42
	s_wait_dscnt 0x0
	s_barrier_signal -1
	s_barrier_wait -1
	s_barrier_signal -1
	s_barrier_wait -1
	s_and_saveexec_b32 s42, s7
; %bb.662:                              ;   in Loop: Header=BB15_3 Depth=1
	ds_store_b32 v66, v2 offset:16128
; %bb.663:                              ;   in Loop: Header=BB15_3 Depth=1
	s_or_b32 exec_lo, exec_lo, s42
	s_wait_dscnt 0x0
	s_barrier_signal -1
	s_barrier_wait -1
	s_barrier_signal -1
	s_barrier_wait -1
	s_mov_b32 s60, exec_lo
	v_readlane_b32 s42, v87, 3
	s_and_b32 s42, s60, s42
	s_delay_alu instid0(SALU_CYCLE_1)
	s_mov_b32 exec_lo, s42
	s_cbranch_execz .LBB15_665
; %bb.664:                              ;   in Loop: Header=BB15_3 Depth=1
	ds_load_b32 v2, v34 offset:8192
	s_wait_dscnt 0x0
	ds_store_b32 v35, v2 offset:128
	ds_load_b32 v2, v34 offset:8196
	s_wait_dscnt 0x0
	ds_store_b32 v35, v2 offset:384
	;; [unrolled: 3-line block ×32, first 2 shown]
.LBB15_665:                             ;   in Loop: Header=BB15_3 Depth=1
	s_or_b32 exec_lo, exec_lo, s60
	s_wait_dscnt 0x0
	s_barrier_signal -1
	s_barrier_wait -1
	s_and_saveexec_b32 s42, s11
	s_cbranch_execz .LBB15_667
; %bb.666:                              ;   in Loop: Header=BB15_3 Depth=1
	ds_load_b32 v29, v3 offset:8056
	ds_store_b32 v3, v28 offset:8060
	s_wait_dscnt 0x1
	ds_store_b64 v3, v[28:29] offset:7800
.LBB15_667:                             ;   in Loop: Header=BB15_3 Depth=1
	s_or_b32 exec_lo, exec_lo, s42
	v_mov_b32_e32 v2, 0
	s_wait_dscnt 0x0
	s_barrier_signal -1
	s_barrier_wait -1
	global_wb scope:SCOPE_DEV
	s_wait_storecnt 0x0
	global_inv scope:SCOPE_DEV
	s_and_saveexec_b32 s57, s2
	s_cbranch_execz .LBB15_671
; %bb.668:                              ;   in Loop: Header=BB15_3 Depth=1
	ds_load_b32 v2, v43 offset:7792
	ds_load_b32 v29, v44 offset:8056
	s_wait_dscnt 0x0
	v_fma_f32 v2, v2, v29, 0
	s_and_saveexec_b32 s42, s12
	s_cbranch_execz .LBB15_670
; %bb.669:                              ;   in Loop: Header=BB15_3 Depth=1
	ds_load_b32 v29, v9 offset:8048
	ds_load_b32 v32, v3 offset:8060
	s_wait_dscnt 0x0
	v_fmac_f32_e32 v2, v29, v32
.LBB15_670:                             ;   in Loop: Header=BB15_3 Depth=1
	s_or_b32 exec_lo, exec_lo, s42
.LBB15_671:                             ;   in Loop: Header=BB15_3 Depth=1
	s_delay_alu instid0(SALU_CYCLE_1)
	s_or_b32 exec_lo, exec_lo, s57
	s_and_saveexec_b32 s42, s88
; %bb.672:                              ;   in Loop: Header=BB15_3 Depth=1
	s_delay_alu instid0(VALU_DEP_1)
	v_xor_b32_e32 v29, 0x80000000, v2
	ds_store_b32 v41, v29
; %bb.673:                              ;   in Loop: Header=BB15_3 Depth=1
	s_or_b32 exec_lo, exec_lo, s42
	s_wait_loadcnt_dscnt 0x0
	s_barrier_signal -1
	s_barrier_wait -1
	s_and_saveexec_b32 s42, s89
	s_cbranch_execz .LBB15_675
; %bb.674:                              ;   in Loop: Header=BB15_3 Depth=1
	ds_load_b32 v29, v3 offset:7536
	ds_load_b32 v32, v41
	s_wait_dscnt 0x0
	v_fma_f32 v2, -v29, v32, v2
.LBB15_675:                             ;   in Loop: Header=BB15_3 Depth=1
	s_or_b32 exec_lo, exec_lo, s42
	s_barrier_signal -1
	s_barrier_wait -1
	s_and_saveexec_b32 s42, s89
; %bb.676:                              ;   in Loop: Header=BB15_3 Depth=1
	v_xor_b32_e32 v29, 0x80000000, v2
	ds_store_b32 v41, v29
; %bb.677:                              ;   in Loop: Header=BB15_3 Depth=1
	s_or_b32 exec_lo, exec_lo, s42
	s_wait_dscnt 0x0
	s_barrier_signal -1
	s_barrier_wait -1
	s_barrier_signal -1
	s_barrier_wait -1
	s_and_saveexec_b32 s42, s2
; %bb.678:                              ;   in Loop: Header=BB15_3 Depth=1
	ds_store_b32 v46, v2 offset:8048
; %bb.679:                              ;   in Loop: Header=BB15_3 Depth=1
	s_or_b32 exec_lo, exec_lo, s42
	s_wait_dscnt 0x0
	s_barrier_signal -1
	s_barrier_wait -1
	s_barrier_signal -1
	s_barrier_wait -1
	s_and_saveexec_b32 s42, s90
	s_cbranch_execz .LBB15_681
; %bb.680:                              ;   in Loop: Header=BB15_3 Depth=1
	ds_load_b32 v2, v34 offset:7792
	s_wait_dscnt 0x0
	ds_store_b32 v9, v2 offset:7288
	ds_load_b32 v2, v34 offset:7796
	s_wait_dscnt 0x0
	ds_store_b32 v9, v2 offset:7544
.LBB15_681:                             ;   in Loop: Header=BB15_3 Depth=1
	s_or_b32 exec_lo, exec_lo, s42
	s_wait_dscnt 0x0
	s_barrier_signal -1
	s_barrier_wait -1
	s_and_saveexec_b32 s42, s11
	s_cbranch_execz .LBB15_683
; %bb.682:                              ;   in Loop: Header=BB15_3 Depth=1
	ds_load_b32 v29, v3 offset:7536
	ds_store_b32 v3, v28 offset:7540
	s_wait_dscnt 0x1
	ds_store_b64 v3, v[28:29] offset:7280
.LBB15_683:                             ;   in Loop: Header=BB15_3 Depth=1
	s_or_b32 exec_lo, exec_lo, s42
	v_mov_b32_e32 v2, 0
	s_wait_dscnt 0x0
	s_barrier_signal -1
	s_barrier_wait -1
	global_wb scope:SCOPE_DEV
	s_wait_storecnt 0x0
	global_inv scope:SCOPE_DEV
	s_and_saveexec_b32 s60, s4
	s_cbranch_execz .LBB15_689
; %bb.684:                              ;   in Loop: Header=BB15_3 Depth=1
	ds_load_b32 v2, v48 offset:7264
	ds_load_b32 v29, v50 offset:8048
	s_wait_dscnt 0x0
	v_fma_f32 v2, v2, v29, 0
	s_and_saveexec_b32 s42, s13
	s_cbranch_execnz .LBB15_1201
; %bb.685:                              ;   in Loop: Header=BB15_3 Depth=1
	s_or_b32 exec_lo, exec_lo, s42
	s_and_saveexec_b32 s42, s14
	s_cbranch_execnz .LBB15_1202
.LBB15_686:                             ;   in Loop: Header=BB15_3 Depth=1
	s_or_b32 exec_lo, exec_lo, s42
	s_and_saveexec_b32 s42, s2
	s_cbranch_execz .LBB15_688
.LBB15_687:                             ;   in Loop: Header=BB15_3 Depth=1
	ds_load_b32 v29, v35 offset:8032
	ds_load_b32 v32, v3 offset:8060
	s_wait_dscnt 0x0
	v_fmac_f32_e32 v2, v29, v32
.LBB15_688:                             ;   in Loop: Header=BB15_3 Depth=1
	s_or_b32 exec_lo, exec_lo, s42
.LBB15_689:                             ;   in Loop: Header=BB15_3 Depth=1
	s_delay_alu instid0(SALU_CYCLE_1)
	s_or_b32 exec_lo, exec_lo, s60
	s_and_saveexec_b32 s42, s91
; %bb.690:                              ;   in Loop: Header=BB15_3 Depth=1
	s_delay_alu instid0(VALU_DEP_1)
	v_xor_b32_e32 v29, 0x80000000, v2
	ds_store_b32 v47, v29
; %bb.691:                              ;   in Loop: Header=BB15_3 Depth=1
	s_or_b32 exec_lo, exec_lo, s42
	s_wait_loadcnt_dscnt 0x0
	s_barrier_signal -1
	s_barrier_wait -1
	s_and_saveexec_b32 s42, s92
	s_cbranch_execz .LBB15_693
; %bb.692:                              ;   in Loop: Header=BB15_3 Depth=1
	ds_load_b32 v29, v48 offset:7008
	ds_load_b32 v32, v47
	s_wait_dscnt 0x0
	v_fma_f32 v2, -v29, v32, v2
.LBB15_693:                             ;   in Loop: Header=BB15_3 Depth=1
	s_or_b32 exec_lo, exec_lo, s42
	s_barrier_signal -1
	s_barrier_wait -1
	s_and_saveexec_b32 s42, s93
; %bb.694:                              ;   in Loop: Header=BB15_3 Depth=1
	v_xor_b32_e32 v29, 0x80000000, v2
	ds_store_b32 v47, v29
; %bb.695:                              ;   in Loop: Header=BB15_3 Depth=1
	s_or_b32 exec_lo, exec_lo, s42
	s_wait_dscnt 0x0
	s_barrier_signal -1
	s_barrier_wait -1
	s_and_saveexec_b32 s42, s94
	s_cbranch_execz .LBB15_697
; %bb.696:                              ;   in Loop: Header=BB15_3 Depth=1
	ds_load_b32 v29, v48 offset:6752
	ds_load_b32 v32, v47
	s_wait_dscnt 0x0
	v_fma_f32 v2, -v29, v32, v2
.LBB15_697:                             ;   in Loop: Header=BB15_3 Depth=1
	s_or_b32 exec_lo, exec_lo, s42
	s_barrier_signal -1
	s_barrier_wait -1
	s_and_saveexec_b32 s42, s95
; %bb.698:                              ;   in Loop: Header=BB15_3 Depth=1
	v_xor_b32_e32 v29, 0x80000000, v2
	ds_store_b32 v47, v29
; %bb.699:                              ;   in Loop: Header=BB15_3 Depth=1
	s_or_b32 exec_lo, exec_lo, s42
	s_wait_dscnt 0x0
	;; [unrolled: 20-line block ×3, first 2 shown]
	s_barrier_signal -1
	s_barrier_wait -1
	s_barrier_signal -1
	s_barrier_wait -1
	s_and_saveexec_b32 s42, s4
; %bb.704:                              ;   in Loop: Header=BB15_3 Depth=1
	ds_store_b32 v51, v2 offset:8032
; %bb.705:                              ;   in Loop: Header=BB15_3 Depth=1
	s_or_b32 exec_lo, exec_lo, s42
	s_wait_dscnt 0x0
	s_barrier_signal -1
	s_barrier_wait -1
	s_barrier_signal -1
	s_barrier_wait -1
	s_and_saveexec_b32 s57, s97
	s_cbranch_execz .LBB15_707
; %bb.706:                              ;   in Loop: Header=BB15_3 Depth=1
	ds_load_b32 v2, v36 offset:7264
	s_wait_dscnt 0x0
	ds_store_b32 v37, v2 offset:6256
	ds_load_b32 v2, v36 offset:7268
	s_wait_dscnt 0x0
	ds_store_b32 v37, v2 offset:6512
	;; [unrolled: 3-line block ×4, first 2 shown]
.LBB15_707:                             ;   in Loop: Header=BB15_3 Depth=1
	s_or_b32 exec_lo, exec_lo, s57
	s_wait_dscnt 0x0
	s_barrier_signal -1
	s_barrier_wait -1
	s_and_saveexec_b32 s42, s11
	s_cbranch_execz .LBB15_709
; %bb.708:                              ;   in Loop: Header=BB15_3 Depth=1
	ds_load_b32 v29, v3 offset:7016
	ds_store_b32 v3, v28 offset:7020
	s_wait_dscnt 0x1
	ds_store_b64 v3, v[28:29] offset:6760
.LBB15_709:                             ;   in Loop: Header=BB15_3 Depth=1
	s_or_b32 exec_lo, exec_lo, s42
	v_mov_b32_e32 v2, 0
	s_wait_dscnt 0x0
	s_barrier_signal -1
	s_barrier_wait -1
	global_wb scope:SCOPE_DEV
	s_wait_storecnt 0x0
	global_inv scope:SCOPE_DEV
	s_and_saveexec_b32 s57, s2
	s_cbranch_execz .LBB15_713
; %bb.710:                              ;   in Loop: Header=BB15_3 Depth=1
	ds_load_b32 v2, v43 offset:6752
	ds_load_b32 v29, v44 offset:7016
	s_wait_dscnt 0x0
	v_fma_f32 v2, v2, v29, 0
	s_and_saveexec_b32 s42, s12
	s_cbranch_execz .LBB15_712
; %bb.711:                              ;   in Loop: Header=BB15_3 Depth=1
	ds_load_b32 v29, v37 offset:7008
	ds_load_b32 v32, v3 offset:7020
	s_wait_dscnt 0x0
	v_fmac_f32_e32 v2, v29, v32
.LBB15_712:                             ;   in Loop: Header=BB15_3 Depth=1
	s_or_b32 exec_lo, exec_lo, s42
.LBB15_713:                             ;   in Loop: Header=BB15_3 Depth=1
	s_delay_alu instid0(SALU_CYCLE_1)
	s_or_b32 exec_lo, exec_lo, s57
	s_and_saveexec_b32 s42, s88
; %bb.714:                              ;   in Loop: Header=BB15_3 Depth=1
	s_delay_alu instid0(VALU_DEP_1)
	v_xor_b32_e32 v29, 0x80000000, v2
	ds_store_b32 v41, v29
; %bb.715:                              ;   in Loop: Header=BB15_3 Depth=1
	s_or_b32 exec_lo, exec_lo, s42
	s_wait_loadcnt_dscnt 0x0
	s_barrier_signal -1
	s_barrier_wait -1
	s_and_saveexec_b32 s42, s89
	s_cbranch_execz .LBB15_717
; %bb.716:                              ;   in Loop: Header=BB15_3 Depth=1
	ds_load_b32 v29, v3 offset:6496
	ds_load_b32 v32, v41
	s_wait_dscnt 0x0
	v_fma_f32 v2, -v29, v32, v2
.LBB15_717:                             ;   in Loop: Header=BB15_3 Depth=1
	s_or_b32 exec_lo, exec_lo, s42
	s_barrier_signal -1
	s_barrier_wait -1
	s_and_saveexec_b32 s42, s89
; %bb.718:                              ;   in Loop: Header=BB15_3 Depth=1
	v_xor_b32_e32 v29, 0x80000000, v2
	ds_store_b32 v41, v29
; %bb.719:                              ;   in Loop: Header=BB15_3 Depth=1
	s_or_b32 exec_lo, exec_lo, s42
	s_wait_dscnt 0x0
	s_barrier_signal -1
	s_barrier_wait -1
	s_barrier_signal -1
	s_barrier_wait -1
	s_and_saveexec_b32 s42, s2
; %bb.720:                              ;   in Loop: Header=BB15_3 Depth=1
	ds_store_b32 v46, v2 offset:7008
; %bb.721:                              ;   in Loop: Header=BB15_3 Depth=1
	s_or_b32 exec_lo, exec_lo, s42
	s_wait_dscnt 0x0
	s_barrier_signal -1
	s_barrier_wait -1
	s_barrier_signal -1
	s_barrier_wait -1
	s_and_saveexec_b32 s42, s90
	s_cbranch_execz .LBB15_723
; %bb.722:                              ;   in Loop: Header=BB15_3 Depth=1
	ds_load_b32 v2, v38 offset:6752
	s_wait_dscnt 0x0
	ds_store_b32 v37, v2 offset:6248
	ds_load_b32 v2, v38 offset:6756
	s_wait_dscnt 0x0
	ds_store_b32 v37, v2 offset:6504
.LBB15_723:                             ;   in Loop: Header=BB15_3 Depth=1
	s_or_b32 exec_lo, exec_lo, s42
	s_wait_dscnt 0x0
	s_barrier_signal -1
	s_barrier_wait -1
	s_and_saveexec_b32 s42, s11
	s_cbranch_execz .LBB15_725
; %bb.724:                              ;   in Loop: Header=BB15_3 Depth=1
	ds_load_b32 v29, v3 offset:6496
	ds_store_b32 v3, v28 offset:6500
	s_wait_dscnt 0x1
	ds_store_b64 v3, v[28:29] offset:6240
.LBB15_725:                             ;   in Loop: Header=BB15_3 Depth=1
	s_or_b32 exec_lo, exec_lo, s42
	v_mov_b32_e32 v2, 0
	s_wait_dscnt 0x0
	s_barrier_signal -1
	s_barrier_wait -1
	global_wb scope:SCOPE_DEV
	s_wait_storecnt 0x0
	global_inv scope:SCOPE_DEV
	s_and_saveexec_b32 s60, s5
	s_cbranch_execz .LBB15_735
; %bb.726:                              ;   in Loop: Header=BB15_3 Depth=1
	ds_load_b32 v2, v53 offset:6208
	ds_load_b32 v29, v56 offset:8032
	s_wait_dscnt 0x0
	v_fma_f32 v2, v2, v29, 0
	s_and_saveexec_b32 s42, s15
	s_cbranch_execnz .LBB15_1203
; %bb.727:                              ;   in Loop: Header=BB15_3 Depth=1
	s_or_b32 exec_lo, exec_lo, s42
	s_and_saveexec_b32 s42, s16
	s_cbranch_execnz .LBB15_1204
.LBB15_728:                             ;   in Loop: Header=BB15_3 Depth=1
	s_or_b32 exec_lo, exec_lo, s42
	s_and_saveexec_b32 s42, s17
	s_cbranch_execnz .LBB15_1205
.LBB15_729:                             ;   in Loop: Header=BB15_3 Depth=1
	s_or_b32 exec_lo, exec_lo, s42
	s_and_saveexec_b32 s42, s18
	s_cbranch_execnz .LBB15_1206
.LBB15_730:                             ;   in Loop: Header=BB15_3 Depth=1
	s_or_b32 exec_lo, exec_lo, s42
	s_and_saveexec_b32 s42, s19
	s_cbranch_execnz .LBB15_1207
.LBB15_731:                             ;   in Loop: Header=BB15_3 Depth=1
	s_or_b32 exec_lo, exec_lo, s42
	s_and_saveexec_b32 s42, s4
	s_cbranch_execnz .LBB15_1208
.LBB15_732:                             ;   in Loop: Header=BB15_3 Depth=1
	s_or_b32 exec_lo, exec_lo, s42
	s_and_saveexec_b32 s42, s14
	s_cbranch_execz .LBB15_734
.LBB15_733:                             ;   in Loop: Header=BB15_3 Depth=1
	ds_load_b32 v29, v39 offset:8000
	ds_load_b32 v32, v3 offset:8060
	s_wait_dscnt 0x0
	v_fmac_f32_e32 v2, v29, v32
.LBB15_734:                             ;   in Loop: Header=BB15_3 Depth=1
	s_or_b32 exec_lo, exec_lo, s42
.LBB15_735:                             ;   in Loop: Header=BB15_3 Depth=1
	s_delay_alu instid0(SALU_CYCLE_1)
	s_or_b32 exec_lo, exec_lo, s60
	s_and_saveexec_b32 s42, s98
; %bb.736:                              ;   in Loop: Header=BB15_3 Depth=1
	s_delay_alu instid0(VALU_DEP_1)
	v_xor_b32_e32 v29, 0x80000000, v2
	ds_store_b32 v54, v29
; %bb.737:                              ;   in Loop: Header=BB15_3 Depth=1
	s_or_b32 exec_lo, exec_lo, s42
	s_wait_loadcnt_dscnt 0x0
	s_barrier_signal -1
	s_barrier_wait -1
	s_and_saveexec_b32 s42, s99
	s_cbranch_execz .LBB15_739
; %bb.738:                              ;   in Loop: Header=BB15_3 Depth=1
	ds_load_b32 v29, v53 offset:5952
	ds_load_b32 v32, v54
	s_wait_dscnt 0x0
	v_fma_f32 v2, -v29, v32, v2
.LBB15_739:                             ;   in Loop: Header=BB15_3 Depth=1
	s_or_b32 exec_lo, exec_lo, s42
	s_barrier_signal -1
	s_barrier_wait -1
	s_and_saveexec_b32 s42, s100
; %bb.740:                              ;   in Loop: Header=BB15_3 Depth=1
	v_xor_b32_e32 v29, 0x80000000, v2
	ds_store_b32 v54, v29
; %bb.741:                              ;   in Loop: Header=BB15_3 Depth=1
	s_or_b32 exec_lo, exec_lo, s42
	s_wait_dscnt 0x0
	s_barrier_signal -1
	s_barrier_wait -1
	s_and_saveexec_b32 s42, s101
	s_cbranch_execz .LBB15_743
; %bb.742:                              ;   in Loop: Header=BB15_3 Depth=1
	ds_load_b32 v29, v53 offset:5696
	ds_load_b32 v32, v54
	s_wait_dscnt 0x0
	v_fma_f32 v2, -v29, v32, v2
.LBB15_743:                             ;   in Loop: Header=BB15_3 Depth=1
	s_or_b32 exec_lo, exec_lo, s42
	s_barrier_signal -1
	s_barrier_wait -1
	s_and_saveexec_b32 s42, s102
; %bb.744:                              ;   in Loop: Header=BB15_3 Depth=1
	v_xor_b32_e32 v29, 0x80000000, v2
	ds_store_b32 v54, v29
; %bb.745:                              ;   in Loop: Header=BB15_3 Depth=1
	s_or_b32 exec_lo, exec_lo, s42
	s_wait_dscnt 0x0
	;; [unrolled: 20-line block ×3, first 2 shown]
	s_barrier_signal -1
	s_barrier_wait -1
	s_and_saveexec_b32 s42, vcc_hi
	s_cbranch_execz .LBB15_751
; %bb.750:                              ;   in Loop: Header=BB15_3 Depth=1
	ds_load_b32 v29, v53 offset:5184
	ds_load_b32 v32, v54
	s_wait_dscnt 0x0
	v_fma_f32 v2, -v29, v32, v2
.LBB15_751:                             ;   in Loop: Header=BB15_3 Depth=1
	s_or_b32 exec_lo, exec_lo, s42
	s_barrier_signal -1
	s_barrier_wait -1
	s_and_saveexec_b32 s42, s31
; %bb.752:                              ;   in Loop: Header=BB15_3 Depth=1
	v_xor_b32_e32 v29, 0x80000000, v2
	ds_store_b32 v54, v29
; %bb.753:                              ;   in Loop: Header=BB15_3 Depth=1
	s_or_b32 exec_lo, exec_lo, s42
	s_wait_dscnt 0x0
	s_barrier_signal -1
	s_barrier_wait -1
	s_and_saveexec_b32 s42, s33
	s_cbranch_execz .LBB15_755
; %bb.754:                              ;   in Loop: Header=BB15_3 Depth=1
	ds_load_b32 v29, v53 offset:4928
	ds_load_b32 v32, v54
	s_wait_dscnt 0x0
	v_fma_f32 v2, -v29, v32, v2
.LBB15_755:                             ;   in Loop: Header=BB15_3 Depth=1
	s_or_b32 exec_lo, exec_lo, s42
	s_barrier_signal -1
	s_barrier_wait -1
	s_and_saveexec_b32 s42, s34
; %bb.756:                              ;   in Loop: Header=BB15_3 Depth=1
	v_xor_b32_e32 v29, 0x80000000, v2
	ds_store_b32 v54, v29
; %bb.757:                              ;   in Loop: Header=BB15_3 Depth=1
	s_or_b32 exec_lo, exec_lo, s42
	s_wait_dscnt 0x0
	s_barrier_signal -1
	s_barrier_wait -1
	s_and_saveexec_b32 s42, s35
	;; [unrolled: 20-line block ×3, first 2 shown]
	s_cbranch_execz .LBB15_763
; %bb.762:                              ;   in Loop: Header=BB15_3 Depth=1
	ds_load_b32 v29, v3 offset:4416
	ds_load_b32 v32, v54
	s_wait_dscnt 0x0
	v_fma_f32 v2, -v29, v32, v2
.LBB15_763:                             ;   in Loop: Header=BB15_3 Depth=1
	s_or_b32 exec_lo, exec_lo, s42
	s_barrier_signal -1
	s_barrier_wait -1
	s_and_saveexec_b32 s42, s37
; %bb.764:                              ;   in Loop: Header=BB15_3 Depth=1
	v_xor_b32_e32 v29, 0x80000000, v2
	ds_store_b32 v54, v29
; %bb.765:                              ;   in Loop: Header=BB15_3 Depth=1
	s_or_b32 exec_lo, exec_lo, s42
	s_wait_dscnt 0x0
	s_barrier_signal -1
	s_barrier_wait -1
	s_barrier_signal -1
	s_barrier_wait -1
	s_and_saveexec_b32 s42, s5
; %bb.766:                              ;   in Loop: Header=BB15_3 Depth=1
	ds_store_b32 v57, v2 offset:8000
; %bb.767:                              ;   in Loop: Header=BB15_3 Depth=1
	s_or_b32 exec_lo, exec_lo, s42
	s_wait_dscnt 0x0
	s_barrier_signal -1
	s_barrier_wait -1
	s_barrier_signal -1
	s_barrier_wait -1
	s_and_saveexec_b32 s57, s38
	s_cbranch_execz .LBB15_769
; %bb.768:                              ;   in Loop: Header=BB15_3 Depth=1
	ds_load_b32 v2, v40 offset:6208
	s_wait_dscnt 0x0
	ds_store_b32 v42, v2 offset:4192
	ds_load_b32 v2, v40 offset:6212
	s_wait_dscnt 0x0
	ds_store_b32 v42, v2 offset:4448
	;; [unrolled: 3-line block ×8, first 2 shown]
.LBB15_769:                             ;   in Loop: Header=BB15_3 Depth=1
	s_or_b32 exec_lo, exec_lo, s57
	s_wait_dscnt 0x0
	s_barrier_signal -1
	s_barrier_wait -1
	s_and_saveexec_b32 s42, s11
	s_cbranch_execz .LBB15_771
; %bb.770:                              ;   in Loop: Header=BB15_3 Depth=1
	ds_load_b32 v29, v3 offset:5976
	ds_store_b32 v3, v28 offset:5980
	s_wait_dscnt 0x1
	ds_store_b64 v3, v[28:29] offset:5720
.LBB15_771:                             ;   in Loop: Header=BB15_3 Depth=1
	s_or_b32 exec_lo, exec_lo, s42
	v_mov_b32_e32 v2, 0
	s_wait_dscnt 0x0
	s_barrier_signal -1
	s_barrier_wait -1
	global_wb scope:SCOPE_DEV
	s_wait_storecnt 0x0
	global_inv scope:SCOPE_DEV
	s_and_saveexec_b32 s57, s2
	s_cbranch_execz .LBB15_775
; %bb.772:                              ;   in Loop: Header=BB15_3 Depth=1
	ds_load_b32 v2, v43 offset:5712
	ds_load_b32 v29, v44 offset:5976
	s_wait_dscnt 0x0
	v_fma_f32 v2, v2, v29, 0
	s_and_saveexec_b32 s42, s12
	s_cbranch_execz .LBB15_774
; %bb.773:                              ;   in Loop: Header=BB15_3 Depth=1
	ds_load_b32 v29, v42 offset:5968
	ds_load_b32 v32, v3 offset:5980
	s_wait_dscnt 0x0
	v_fmac_f32_e32 v2, v29, v32
.LBB15_774:                             ;   in Loop: Header=BB15_3 Depth=1
	s_or_b32 exec_lo, exec_lo, s42
.LBB15_775:                             ;   in Loop: Header=BB15_3 Depth=1
	s_delay_alu instid0(SALU_CYCLE_1)
	s_or_b32 exec_lo, exec_lo, s57
	s_and_saveexec_b32 s42, s88
; %bb.776:                              ;   in Loop: Header=BB15_3 Depth=1
	s_delay_alu instid0(VALU_DEP_1)
	v_xor_b32_e32 v29, 0x80000000, v2
	ds_store_b32 v41, v29
; %bb.777:                              ;   in Loop: Header=BB15_3 Depth=1
	s_or_b32 exec_lo, exec_lo, s42
	s_wait_loadcnt_dscnt 0x0
	s_barrier_signal -1
	s_barrier_wait -1
	s_and_saveexec_b32 s42, s89
	s_cbranch_execz .LBB15_779
; %bb.778:                              ;   in Loop: Header=BB15_3 Depth=1
	ds_load_b32 v29, v3 offset:5456
	ds_load_b32 v32, v41
	s_wait_dscnt 0x0
	v_fma_f32 v2, -v29, v32, v2
.LBB15_779:                             ;   in Loop: Header=BB15_3 Depth=1
	s_or_b32 exec_lo, exec_lo, s42
	s_barrier_signal -1
	s_barrier_wait -1
	s_and_saveexec_b32 s42, s89
; %bb.780:                              ;   in Loop: Header=BB15_3 Depth=1
	v_xor_b32_e32 v29, 0x80000000, v2
	ds_store_b32 v41, v29
; %bb.781:                              ;   in Loop: Header=BB15_3 Depth=1
	s_or_b32 exec_lo, exec_lo, s42
	s_wait_dscnt 0x0
	s_barrier_signal -1
	s_barrier_wait -1
	s_barrier_signal -1
	s_barrier_wait -1
	s_and_saveexec_b32 s42, s2
; %bb.782:                              ;   in Loop: Header=BB15_3 Depth=1
	ds_store_b32 v46, v2 offset:5968
; %bb.783:                              ;   in Loop: Header=BB15_3 Depth=1
	s_or_b32 exec_lo, exec_lo, s42
	s_wait_dscnt 0x0
	s_barrier_signal -1
	s_barrier_wait -1
	s_barrier_signal -1
	s_barrier_wait -1
	s_and_saveexec_b32 s42, s90
	s_cbranch_execz .LBB15_785
; %bb.784:                              ;   in Loop: Header=BB15_3 Depth=1
	ds_load_b32 v2, v45 offset:5712
	s_wait_dscnt 0x0
	ds_store_b32 v42, v2 offset:5208
	ds_load_b32 v2, v45 offset:5716
	s_wait_dscnt 0x0
	ds_store_b32 v42, v2 offset:5464
.LBB15_785:                             ;   in Loop: Header=BB15_3 Depth=1
	s_or_b32 exec_lo, exec_lo, s42
	s_wait_dscnt 0x0
	s_barrier_signal -1
	s_barrier_wait -1
	s_and_saveexec_b32 s42, s11
	s_cbranch_execz .LBB15_787
; %bb.786:                              ;   in Loop: Header=BB15_3 Depth=1
	ds_load_b32 v29, v3 offset:5456
	ds_store_b32 v3, v28 offset:5460
	s_wait_dscnt 0x1
	ds_store_b64 v3, v[28:29] offset:5200
.LBB15_787:                             ;   in Loop: Header=BB15_3 Depth=1
	s_or_b32 exec_lo, exec_lo, s42
	v_mov_b32_e32 v2, 0
	s_wait_dscnt 0x0
	s_barrier_signal -1
	s_barrier_wait -1
	global_wb scope:SCOPE_DEV
	s_wait_storecnt 0x0
	global_inv scope:SCOPE_DEV
	s_and_saveexec_b32 s60, s4
	s_cbranch_execz .LBB15_793
; %bb.788:                              ;   in Loop: Header=BB15_3 Depth=1
	ds_load_b32 v2, v48 offset:5184
	ds_load_b32 v29, v50 offset:5968
	s_wait_dscnt 0x0
	v_fma_f32 v2, v2, v29, 0
	s_and_saveexec_b32 s42, s13
	s_cbranch_execnz .LBB15_1209
; %bb.789:                              ;   in Loop: Header=BB15_3 Depth=1
	s_or_b32 exec_lo, exec_lo, s42
	s_and_saveexec_b32 s42, s14
	s_cbranch_execnz .LBB15_1210
.LBB15_790:                             ;   in Loop: Header=BB15_3 Depth=1
	s_or_b32 exec_lo, exec_lo, s42
	s_and_saveexec_b32 s42, s2
	s_cbranch_execz .LBB15_792
.LBB15_791:                             ;   in Loop: Header=BB15_3 Depth=1
	ds_load_b32 v29, v49 offset:5952
	ds_load_b32 v32, v3 offset:5980
	s_wait_dscnt 0x0
	v_fmac_f32_e32 v2, v29, v32
.LBB15_792:                             ;   in Loop: Header=BB15_3 Depth=1
	s_or_b32 exec_lo, exec_lo, s42
.LBB15_793:                             ;   in Loop: Header=BB15_3 Depth=1
	s_delay_alu instid0(SALU_CYCLE_1)
	s_or_b32 exec_lo, exec_lo, s60
	s_and_saveexec_b32 s42, s91
; %bb.794:                              ;   in Loop: Header=BB15_3 Depth=1
	s_delay_alu instid0(VALU_DEP_1)
	v_xor_b32_e32 v29, 0x80000000, v2
	ds_store_b32 v47, v29
; %bb.795:                              ;   in Loop: Header=BB15_3 Depth=1
	s_or_b32 exec_lo, exec_lo, s42
	s_wait_loadcnt_dscnt 0x0
	s_barrier_signal -1
	s_barrier_wait -1
	s_and_saveexec_b32 s42, s92
	s_cbranch_execz .LBB15_797
; %bb.796:                              ;   in Loop: Header=BB15_3 Depth=1
	ds_load_b32 v29, v48 offset:4928
	ds_load_b32 v32, v47
	s_wait_dscnt 0x0
	v_fma_f32 v2, -v29, v32, v2
.LBB15_797:                             ;   in Loop: Header=BB15_3 Depth=1
	s_or_b32 exec_lo, exec_lo, s42
	s_barrier_signal -1
	s_barrier_wait -1
	s_and_saveexec_b32 s42, s93
; %bb.798:                              ;   in Loop: Header=BB15_3 Depth=1
	v_xor_b32_e32 v29, 0x80000000, v2
	ds_store_b32 v47, v29
; %bb.799:                              ;   in Loop: Header=BB15_3 Depth=1
	s_or_b32 exec_lo, exec_lo, s42
	s_wait_dscnt 0x0
	s_barrier_signal -1
	s_barrier_wait -1
	s_and_saveexec_b32 s42, s94
	s_cbranch_execz .LBB15_801
; %bb.800:                              ;   in Loop: Header=BB15_3 Depth=1
	ds_load_b32 v29, v48 offset:4672
	ds_load_b32 v32, v47
	s_wait_dscnt 0x0
	v_fma_f32 v2, -v29, v32, v2
.LBB15_801:                             ;   in Loop: Header=BB15_3 Depth=1
	s_or_b32 exec_lo, exec_lo, s42
	s_barrier_signal -1
	s_barrier_wait -1
	s_and_saveexec_b32 s42, s95
; %bb.802:                              ;   in Loop: Header=BB15_3 Depth=1
	v_xor_b32_e32 v29, 0x80000000, v2
	ds_store_b32 v47, v29
; %bb.803:                              ;   in Loop: Header=BB15_3 Depth=1
	s_or_b32 exec_lo, exec_lo, s42
	s_wait_dscnt 0x0
	;; [unrolled: 20-line block ×3, first 2 shown]
	s_barrier_signal -1
	s_barrier_wait -1
	s_barrier_signal -1
	s_barrier_wait -1
	s_and_saveexec_b32 s42, s4
; %bb.808:                              ;   in Loop: Header=BB15_3 Depth=1
	ds_store_b32 v51, v2 offset:5952
; %bb.809:                              ;   in Loop: Header=BB15_3 Depth=1
	s_or_b32 exec_lo, exec_lo, s42
	s_wait_dscnt 0x0
	s_barrier_signal -1
	s_barrier_wait -1
	s_barrier_signal -1
	s_barrier_wait -1
	s_and_saveexec_b32 s57, s97
	s_cbranch_execz .LBB15_811
; %bb.810:                              ;   in Loop: Header=BB15_3 Depth=1
	ds_load_b32 v2, v52 offset:5184
	s_wait_dscnt 0x0
	ds_store_b32 v55, v2 offset:4176
	ds_load_b32 v2, v52 offset:5188
	s_wait_dscnt 0x0
	ds_store_b32 v55, v2 offset:4432
	;; [unrolled: 3-line block ×4, first 2 shown]
.LBB15_811:                             ;   in Loop: Header=BB15_3 Depth=1
	s_or_b32 exec_lo, exec_lo, s57
	s_wait_dscnt 0x0
	s_barrier_signal -1
	s_barrier_wait -1
	s_and_saveexec_b32 s42, s11
	s_cbranch_execz .LBB15_813
; %bb.812:                              ;   in Loop: Header=BB15_3 Depth=1
	ds_load_b32 v29, v3 offset:4936
	ds_store_b32 v3, v28 offset:4940
	s_wait_dscnt 0x1
	ds_store_b64 v3, v[28:29] offset:4680
.LBB15_813:                             ;   in Loop: Header=BB15_3 Depth=1
	s_or_b32 exec_lo, exec_lo, s42
	v_mov_b32_e32 v2, 0
	s_wait_dscnt 0x0
	s_barrier_signal -1
	s_barrier_wait -1
	global_wb scope:SCOPE_DEV
	s_wait_storecnt 0x0
	global_inv scope:SCOPE_DEV
	s_and_saveexec_b32 s57, s2
	s_cbranch_execz .LBB15_817
; %bb.814:                              ;   in Loop: Header=BB15_3 Depth=1
	ds_load_b32 v2, v43 offset:4672
	ds_load_b32 v29, v44 offset:4936
	s_wait_dscnt 0x0
	v_fma_f32 v2, v2, v29, 0
	s_and_saveexec_b32 s42, s12
	s_cbranch_execz .LBB15_816
; %bb.815:                              ;   in Loop: Header=BB15_3 Depth=1
	ds_load_b32 v29, v55 offset:4928
	ds_load_b32 v32, v3 offset:4940
	s_wait_dscnt 0x0
	v_fmac_f32_e32 v2, v29, v32
.LBB15_816:                             ;   in Loop: Header=BB15_3 Depth=1
	s_or_b32 exec_lo, exec_lo, s42
.LBB15_817:                             ;   in Loop: Header=BB15_3 Depth=1
	s_delay_alu instid0(SALU_CYCLE_1)
	s_or_b32 exec_lo, exec_lo, s57
	s_and_saveexec_b32 s42, s88
; %bb.818:                              ;   in Loop: Header=BB15_3 Depth=1
	s_delay_alu instid0(VALU_DEP_1)
	v_xor_b32_e32 v29, 0x80000000, v2
	ds_store_b32 v41, v29
; %bb.819:                              ;   in Loop: Header=BB15_3 Depth=1
	s_or_b32 exec_lo, exec_lo, s42
	s_wait_loadcnt_dscnt 0x0
	s_barrier_signal -1
	s_barrier_wait -1
	s_and_saveexec_b32 s42, s89
	s_cbranch_execz .LBB15_821
; %bb.820:                              ;   in Loop: Header=BB15_3 Depth=1
	ds_load_b32 v29, v3 offset:4416
	ds_load_b32 v32, v41
	s_wait_dscnt 0x0
	v_fma_f32 v2, -v29, v32, v2
.LBB15_821:                             ;   in Loop: Header=BB15_3 Depth=1
	s_or_b32 exec_lo, exec_lo, s42
	s_barrier_signal -1
	s_barrier_wait -1
	s_and_saveexec_b32 s42, s89
; %bb.822:                              ;   in Loop: Header=BB15_3 Depth=1
	v_xor_b32_e32 v29, 0x80000000, v2
	ds_store_b32 v41, v29
; %bb.823:                              ;   in Loop: Header=BB15_3 Depth=1
	s_or_b32 exec_lo, exec_lo, s42
	s_wait_dscnt 0x0
	s_barrier_signal -1
	s_barrier_wait -1
	s_barrier_signal -1
	s_barrier_wait -1
	s_and_saveexec_b32 s42, s2
; %bb.824:                              ;   in Loop: Header=BB15_3 Depth=1
	ds_store_b32 v46, v2 offset:4928
; %bb.825:                              ;   in Loop: Header=BB15_3 Depth=1
	s_or_b32 exec_lo, exec_lo, s42
	s_wait_dscnt 0x0
	s_barrier_signal -1
	s_barrier_wait -1
	s_barrier_signal -1
	s_barrier_wait -1
	s_and_saveexec_b32 s42, s90
	s_cbranch_execz .LBB15_827
; %bb.826:                              ;   in Loop: Header=BB15_3 Depth=1
	ds_load_b32 v2, v58 offset:4672
	s_wait_dscnt 0x0
	ds_store_b32 v55, v2 offset:4168
	ds_load_b32 v2, v58 offset:4676
	s_wait_dscnt 0x0
	ds_store_b32 v55, v2 offset:4424
.LBB15_827:                             ;   in Loop: Header=BB15_3 Depth=1
	s_or_b32 exec_lo, exec_lo, s42
	s_wait_dscnt 0x0
	s_barrier_signal -1
	s_barrier_wait -1
	s_and_saveexec_b32 s42, s11
	s_cbranch_execz .LBB15_829
; %bb.828:                              ;   in Loop: Header=BB15_3 Depth=1
	ds_load_b32 v29, v3 offset:4416
	ds_store_b32 v3, v28 offset:4420
	s_wait_dscnt 0x1
	ds_store_b64 v3, v[28:29] offset:4160
.LBB15_829:                             ;   in Loop: Header=BB15_3 Depth=1
	s_or_b32 exec_lo, exec_lo, s42
	v_mov_b32_e32 v2, 0
	s_wait_dscnt 0x0
	s_barrier_signal -1
	s_barrier_wait -1
	global_wb scope:SCOPE_DEV
	s_wait_storecnt 0x0
	global_inv scope:SCOPE_DEV
	s_and_saveexec_b32 s61, s6
	s_cbranch_execz .LBB15_857
; %bb.830:                              ;   in Loop: Header=BB15_3 Depth=1
	ds_load_b32 v2, v59 offset:4096
	ds_load_b32 v29, v61 offset:8000
	s_wait_dscnt 0x0
	v_fma_f32 v2, v2, v29, 0
	s_mov_b32 s42, exec_lo
	v_readlane_b32 s57, v87, 15
	s_and_b32 s57, s42, s57
	s_delay_alu instid0(SALU_CYCLE_1)
	s_mov_b32 exec_lo, s57
	s_cbranch_execz .LBB15_832
; %bb.831:                              ;   in Loop: Header=BB15_3 Depth=1
	ds_load_b32 v29, v59 offset:4352
	ds_load_b32 v32, v61 offset:8004
	s_wait_dscnt 0x0
	v_fmac_f32_e32 v2, v29, v32
.LBB15_832:                             ;   in Loop: Header=BB15_3 Depth=1
	s_or_b32 exec_lo, exec_lo, s42
	s_delay_alu instid0(SALU_CYCLE_1) | instskip(SKIP_2) | instid1(SALU_CYCLE_1)
	s_mov_b32 s42, exec_lo
	v_readlane_b32 s57, v87, 16
	s_and_b32 s57, s42, s57
	s_mov_b32 exec_lo, s57
	s_cbranch_execz .LBB15_834
; %bb.833:                              ;   in Loop: Header=BB15_3 Depth=1
	ds_load_b32 v29, v59 offset:4608
	ds_load_b32 v32, v61 offset:8008
	s_wait_dscnt 0x0
	v_fmac_f32_e32 v2, v29, v32
.LBB15_834:                             ;   in Loop: Header=BB15_3 Depth=1
	s_or_b32 exec_lo, exec_lo, s42
	s_delay_alu instid0(SALU_CYCLE_1) | instskip(SKIP_2) | instid1(SALU_CYCLE_1)
	s_mov_b32 s42, exec_lo
	v_readlane_b32 s57, v87, 17
	s_and_b32 s57, s42, s57
	;; [unrolled: 13-line block ×10, first 2 shown]
	s_mov_b32 exec_lo, s57
	s_cbranch_execnz .LBB15_1211
; %bb.851:                              ;   in Loop: Header=BB15_3 Depth=1
	s_or_b32 exec_lo, exec_lo, s42
	s_and_saveexec_b32 s42, s5
	s_cbranch_execnz .LBB15_1212
.LBB15_852:                             ;   in Loop: Header=BB15_3 Depth=1
	s_or_b32 exec_lo, exec_lo, s42
	s_and_saveexec_b32 s42, s16
	s_cbranch_execnz .LBB15_1213
.LBB15_853:                             ;   in Loop: Header=BB15_3 Depth=1
	s_or_b32 exec_lo, exec_lo, s42
	s_and_saveexec_b32 s42, s18
	s_cbranch_execnz .LBB15_1214
.LBB15_854:                             ;   in Loop: Header=BB15_3 Depth=1
	s_or_b32 exec_lo, exec_lo, s42
	s_and_saveexec_b32 s42, s4
	s_cbranch_execz .LBB15_856
.LBB15_855:                             ;   in Loop: Header=BB15_3 Depth=1
	ds_load_b32 v29, v9 offset:7936
	ds_load_b32 v32, v3 offset:8060
	s_wait_dscnt 0x0
	v_fmac_f32_e32 v2, v29, v32
.LBB15_856:                             ;   in Loop: Header=BB15_3 Depth=1
	s_or_b32 exec_lo, exec_lo, s42
.LBB15_857:                             ;   in Loop: Header=BB15_3 Depth=1
	s_delay_alu instid0(SALU_CYCLE_1) | instskip(NEXT) | instid1(SALU_CYCLE_1)
	s_or_b32 exec_lo, exec_lo, s61
	s_mov_b32 s42, exec_lo
	v_readlane_b32 s57, v89, 2
	s_and_b32 s57, s42, s57
	s_delay_alu instid0(SALU_CYCLE_1)
	s_mov_b32 exec_lo, s57
; %bb.858:                              ;   in Loop: Header=BB15_3 Depth=1
	v_xor_b32_e32 v29, 0x80000000, v2
	ds_store_b32 v60, v29
; %bb.859:                              ;   in Loop: Header=BB15_3 Depth=1
	s_or_b32 exec_lo, exec_lo, s42
	s_wait_loadcnt_dscnt 0x0
	s_barrier_signal -1
	s_barrier_wait -1
	s_mov_b32 s42, exec_lo
	v_readlane_b32 s57, v89, 3
	s_and_b32 s57, s42, s57
	s_delay_alu instid0(SALU_CYCLE_1)
	s_mov_b32 exec_lo, s57
	s_cbranch_execz .LBB15_861
; %bb.860:                              ;   in Loop: Header=BB15_3 Depth=1
	ds_load_b32 v29, v59 offset:3840
	ds_load_b32 v32, v60
	s_wait_dscnt 0x0
	v_fma_f32 v2, -v29, v32, v2
.LBB15_861:                             ;   in Loop: Header=BB15_3 Depth=1
	s_or_b32 exec_lo, exec_lo, s42
	s_barrier_signal -1
	s_barrier_wait -1
	s_mov_b32 s42, exec_lo
	v_readlane_b32 s57, v89, 4
	s_and_b32 s57, s42, s57
	s_delay_alu instid0(SALU_CYCLE_1)
	s_mov_b32 exec_lo, s57
; %bb.862:                              ;   in Loop: Header=BB15_3 Depth=1
	v_xor_b32_e32 v29, 0x80000000, v2
	ds_store_b32 v60, v29
; %bb.863:                              ;   in Loop: Header=BB15_3 Depth=1
	s_or_b32 exec_lo, exec_lo, s42
	s_wait_dscnt 0x0
	s_barrier_signal -1
	s_barrier_wait -1
	s_mov_b32 s42, exec_lo
	v_readlane_b32 s57, v89, 5
	s_and_b32 s57, s42, s57
	s_delay_alu instid0(SALU_CYCLE_1)
	s_mov_b32 exec_lo, s57
	s_cbranch_execz .LBB15_865
; %bb.864:                              ;   in Loop: Header=BB15_3 Depth=1
	ds_load_b32 v29, v59 offset:3584
	ds_load_b32 v32, v60
	s_wait_dscnt 0x0
	v_fma_f32 v2, -v29, v32, v2
.LBB15_865:                             ;   in Loop: Header=BB15_3 Depth=1
	s_or_b32 exec_lo, exec_lo, s42
	s_barrier_signal -1
	s_barrier_wait -1
	s_and_saveexec_b32 s42, s43
; %bb.866:                              ;   in Loop: Header=BB15_3 Depth=1
	v_xor_b32_e32 v29, 0x80000000, v2
	ds_store_b32 v60, v29
; %bb.867:                              ;   in Loop: Header=BB15_3 Depth=1
	s_or_b32 exec_lo, exec_lo, s42
	s_wait_dscnt 0x0
	s_barrier_signal -1
	s_barrier_wait -1
	s_and_saveexec_b32 s42, s44
	s_cbranch_execz .LBB15_869
; %bb.868:                              ;   in Loop: Header=BB15_3 Depth=1
	ds_load_b32 v29, v59 offset:3328
	ds_load_b32 v32, v60
	s_wait_dscnt 0x0
	v_fma_f32 v2, -v29, v32, v2
.LBB15_869:                             ;   in Loop: Header=BB15_3 Depth=1
	s_or_b32 exec_lo, exec_lo, s42
	s_barrier_signal -1
	s_barrier_wait -1
	s_and_saveexec_b32 s42, s45
; %bb.870:                              ;   in Loop: Header=BB15_3 Depth=1
	v_xor_b32_e32 v29, 0x80000000, v2
	ds_store_b32 v60, v29
; %bb.871:                              ;   in Loop: Header=BB15_3 Depth=1
	s_or_b32 exec_lo, exec_lo, s42
	s_wait_dscnt 0x0
	s_barrier_signal -1
	s_barrier_wait -1
	s_and_saveexec_b32 s42, s46
	;; [unrolled: 20-line block ×13, first 2 shown]
	s_cbranch_execz .LBB15_917
; %bb.916:                              ;   in Loop: Header=BB15_3 Depth=1
	ds_load_b32 v29, v3 offset:256
	ds_load_b32 v32, v60
	s_wait_dscnt 0x0
	v_fma_f32 v2, -v29, v32, v2
.LBB15_917:                             ;   in Loop: Header=BB15_3 Depth=1
	s_or_b32 exec_lo, exec_lo, s42
	s_barrier_signal -1
	s_barrier_wait -1
	s_and_saveexec_b32 s42, s85
; %bb.918:                              ;   in Loop: Header=BB15_3 Depth=1
	v_xor_b32_e32 v29, 0x80000000, v2
	ds_store_b32 v60, v29
; %bb.919:                              ;   in Loop: Header=BB15_3 Depth=1
	s_or_b32 exec_lo, exec_lo, s42
	s_wait_dscnt 0x0
	s_barrier_signal -1
	s_barrier_wait -1
	s_barrier_signal -1
	s_barrier_wait -1
	s_and_saveexec_b32 s42, s6
; %bb.920:                              ;   in Loop: Header=BB15_3 Depth=1
	ds_store_b32 v63, v2 offset:7936
; %bb.921:                              ;   in Loop: Header=BB15_3 Depth=1
	s_or_b32 exec_lo, exec_lo, s42
	s_wait_dscnt 0x0
	s_barrier_signal -1
	s_barrier_wait -1
	s_barrier_signal -1
	s_barrier_wait -1
	s_and_saveexec_b32 s60, s82
	s_cbranch_execz .LBB15_923
; %bb.922:                              ;   in Loop: Header=BB15_3 Depth=1
	ds_load_b32 v2, v34 offset:4096
	s_wait_dscnt 0x0
	ds_store_b32 v35, v2 offset:64
	ds_load_b32 v2, v34 offset:4100
	s_wait_dscnt 0x0
	ds_store_b32 v35, v2 offset:320
	ds_load_b32 v2, v34 offset:4104
	s_wait_dscnt 0x0
	ds_store_b32 v35, v2 offset:576
	ds_load_b32 v2, v34 offset:4108
	s_wait_dscnt 0x0
	ds_store_b32 v35, v2 offset:832
	ds_load_b32 v2, v34 offset:4112
	s_wait_dscnt 0x0
	ds_store_b32 v35, v2 offset:1088
	ds_load_b32 v2, v34 offset:4116
	s_wait_dscnt 0x0
	ds_store_b32 v35, v2 offset:1344
	ds_load_b32 v2, v34 offset:4120
	s_wait_dscnt 0x0
	ds_store_b32 v35, v2 offset:1600
	ds_load_b32 v2, v34 offset:4124
	s_wait_dscnt 0x0
	ds_store_b32 v35, v2 offset:1856
	ds_load_b32 v2, v34 offset:4128
	s_wait_dscnt 0x0
	ds_store_b32 v35, v2 offset:2112
	ds_load_b32 v2, v34 offset:4132
	s_wait_dscnt 0x0
	ds_store_b32 v35, v2 offset:2368
	ds_load_b32 v2, v34 offset:4136
	s_wait_dscnt 0x0
	ds_store_b32 v35, v2 offset:2624
	ds_load_b32 v2, v34 offset:4140
	s_wait_dscnt 0x0
	ds_store_b32 v35, v2 offset:2880
	ds_load_b32 v2, v34 offset:4144
	s_wait_dscnt 0x0
	ds_store_b32 v35, v2 offset:3136
	ds_load_b32 v2, v34 offset:4148
	s_wait_dscnt 0x0
	ds_store_b32 v35, v2 offset:3392
	ds_load_b32 v2, v34 offset:4152
	s_wait_dscnt 0x0
	ds_store_b32 v35, v2 offset:3648
	ds_load_b32 v2, v34 offset:4156
	s_wait_dscnt 0x0
	ds_store_b32 v35, v2 offset:3904
.LBB15_923:                             ;   in Loop: Header=BB15_3 Depth=1
	s_or_b32 exec_lo, exec_lo, s60
	s_wait_dscnt 0x0
	s_barrier_signal -1
	s_barrier_wait -1
	s_and_saveexec_b32 s42, s11
	s_cbranch_execz .LBB15_925
; %bb.924:                              ;   in Loop: Header=BB15_3 Depth=1
	ds_load_b32 v29, v3 offset:3896
	ds_store_b32 v3, v28 offset:3900
	s_wait_dscnt 0x1
	ds_store_b64 v3, v[28:29] offset:3640
.LBB15_925:                             ;   in Loop: Header=BB15_3 Depth=1
	s_or_b32 exec_lo, exec_lo, s42
	v_mov_b32_e32 v2, 0
	s_wait_dscnt 0x0
	s_barrier_signal -1
	s_barrier_wait -1
	global_wb scope:SCOPE_DEV
	s_wait_storecnt 0x0
	global_inv scope:SCOPE_DEV
	s_and_saveexec_b32 s57, s2
	s_cbranch_execz .LBB15_929
; %bb.926:                              ;   in Loop: Header=BB15_3 Depth=1
	ds_load_b32 v2, v43 offset:3632
	ds_load_b32 v29, v44 offset:3896
	s_wait_dscnt 0x0
	v_fma_f32 v2, v2, v29, 0
	s_and_saveexec_b32 s42, s12
	s_cbranch_execz .LBB15_928
; %bb.927:                              ;   in Loop: Header=BB15_3 Depth=1
	ds_load_b32 v29, v9 offset:3888
	ds_load_b32 v32, v3 offset:3900
	s_wait_dscnt 0x0
	v_fmac_f32_e32 v2, v29, v32
.LBB15_928:                             ;   in Loop: Header=BB15_3 Depth=1
	s_or_b32 exec_lo, exec_lo, s42
.LBB15_929:                             ;   in Loop: Header=BB15_3 Depth=1
	s_delay_alu instid0(SALU_CYCLE_1)
	s_or_b32 exec_lo, exec_lo, s57
	s_and_saveexec_b32 s42, s88
; %bb.930:                              ;   in Loop: Header=BB15_3 Depth=1
	s_delay_alu instid0(VALU_DEP_1)
	v_xor_b32_e32 v29, 0x80000000, v2
	ds_store_b32 v41, v29
; %bb.931:                              ;   in Loop: Header=BB15_3 Depth=1
	s_or_b32 exec_lo, exec_lo, s42
	s_wait_loadcnt_dscnt 0x0
	s_barrier_signal -1
	s_barrier_wait -1
	s_and_saveexec_b32 s42, s89
	s_cbranch_execz .LBB15_933
; %bb.932:                              ;   in Loop: Header=BB15_3 Depth=1
	ds_load_b32 v29, v3 offset:3376
	ds_load_b32 v32, v41
	s_wait_dscnt 0x0
	v_fma_f32 v2, -v29, v32, v2
.LBB15_933:                             ;   in Loop: Header=BB15_3 Depth=1
	s_or_b32 exec_lo, exec_lo, s42
	s_barrier_signal -1
	s_barrier_wait -1
	s_and_saveexec_b32 s42, s89
; %bb.934:                              ;   in Loop: Header=BB15_3 Depth=1
	v_xor_b32_e32 v29, 0x80000000, v2
	ds_store_b32 v41, v29
; %bb.935:                              ;   in Loop: Header=BB15_3 Depth=1
	s_or_b32 exec_lo, exec_lo, s42
	s_wait_dscnt 0x0
	s_barrier_signal -1
	s_barrier_wait -1
	s_barrier_signal -1
	s_barrier_wait -1
	s_and_saveexec_b32 s42, s2
; %bb.936:                              ;   in Loop: Header=BB15_3 Depth=1
	ds_store_b32 v46, v2 offset:3888
; %bb.937:                              ;   in Loop: Header=BB15_3 Depth=1
	s_or_b32 exec_lo, exec_lo, s42
	s_wait_dscnt 0x0
	s_barrier_signal -1
	s_barrier_wait -1
	s_barrier_signal -1
	s_barrier_wait -1
	s_and_saveexec_b32 s42, s90
	s_cbranch_execz .LBB15_939
; %bb.938:                              ;   in Loop: Header=BB15_3 Depth=1
	ds_load_b32 v2, v34 offset:3632
	s_wait_dscnt 0x0
	ds_store_b32 v9, v2 offset:3128
	ds_load_b32 v2, v34 offset:3636
	s_wait_dscnt 0x0
	ds_store_b32 v9, v2 offset:3384
.LBB15_939:                             ;   in Loop: Header=BB15_3 Depth=1
	s_or_b32 exec_lo, exec_lo, s42
	s_wait_dscnt 0x0
	s_barrier_signal -1
	s_barrier_wait -1
	s_and_saveexec_b32 s42, s11
	s_cbranch_execz .LBB15_941
; %bb.940:                              ;   in Loop: Header=BB15_3 Depth=1
	ds_load_b32 v29, v3 offset:3376
	ds_store_b32 v3, v28 offset:3380
	s_wait_dscnt 0x1
	ds_store_b64 v3, v[28:29] offset:3120
.LBB15_941:                             ;   in Loop: Header=BB15_3 Depth=1
	s_or_b32 exec_lo, exec_lo, s42
	v_mov_b32_e32 v2, 0
	s_wait_dscnt 0x0
	s_barrier_signal -1
	s_barrier_wait -1
	global_wb scope:SCOPE_DEV
	s_wait_storecnt 0x0
	global_inv scope:SCOPE_DEV
	s_and_saveexec_b32 s60, s4
	s_cbranch_execz .LBB15_947
; %bb.942:                              ;   in Loop: Header=BB15_3 Depth=1
	ds_load_b32 v2, v48 offset:3104
	ds_load_b32 v29, v50 offset:3888
	s_wait_dscnt 0x0
	v_fma_f32 v2, v2, v29, 0
	s_and_saveexec_b32 s42, s13
	s_cbranch_execnz .LBB15_1215
; %bb.943:                              ;   in Loop: Header=BB15_3 Depth=1
	s_or_b32 exec_lo, exec_lo, s42
	s_and_saveexec_b32 s42, s14
	s_cbranch_execnz .LBB15_1216
.LBB15_944:                             ;   in Loop: Header=BB15_3 Depth=1
	s_or_b32 exec_lo, exec_lo, s42
	s_and_saveexec_b32 s42, s2
	s_cbranch_execz .LBB15_946
.LBB15_945:                             ;   in Loop: Header=BB15_3 Depth=1
	ds_load_b32 v29, v35 offset:3872
	ds_load_b32 v32, v3 offset:3900
	s_wait_dscnt 0x0
	v_fmac_f32_e32 v2, v29, v32
.LBB15_946:                             ;   in Loop: Header=BB15_3 Depth=1
	s_or_b32 exec_lo, exec_lo, s42
.LBB15_947:                             ;   in Loop: Header=BB15_3 Depth=1
	s_delay_alu instid0(SALU_CYCLE_1)
	s_or_b32 exec_lo, exec_lo, s60
	s_and_saveexec_b32 s42, s91
; %bb.948:                              ;   in Loop: Header=BB15_3 Depth=1
	s_delay_alu instid0(VALU_DEP_1)
	v_xor_b32_e32 v29, 0x80000000, v2
	ds_store_b32 v47, v29
; %bb.949:                              ;   in Loop: Header=BB15_3 Depth=1
	s_or_b32 exec_lo, exec_lo, s42
	s_wait_loadcnt_dscnt 0x0
	s_barrier_signal -1
	s_barrier_wait -1
	s_and_saveexec_b32 s42, s92
	s_cbranch_execz .LBB15_951
; %bb.950:                              ;   in Loop: Header=BB15_3 Depth=1
	ds_load_b32 v29, v48 offset:2848
	ds_load_b32 v32, v47
	s_wait_dscnt 0x0
	v_fma_f32 v2, -v29, v32, v2
.LBB15_951:                             ;   in Loop: Header=BB15_3 Depth=1
	s_or_b32 exec_lo, exec_lo, s42
	s_barrier_signal -1
	s_barrier_wait -1
	s_and_saveexec_b32 s42, s93
; %bb.952:                              ;   in Loop: Header=BB15_3 Depth=1
	v_xor_b32_e32 v29, 0x80000000, v2
	ds_store_b32 v47, v29
; %bb.953:                              ;   in Loop: Header=BB15_3 Depth=1
	s_or_b32 exec_lo, exec_lo, s42
	s_wait_dscnt 0x0
	s_barrier_signal -1
	s_barrier_wait -1
	s_and_saveexec_b32 s42, s94
	s_cbranch_execz .LBB15_955
; %bb.954:                              ;   in Loop: Header=BB15_3 Depth=1
	ds_load_b32 v29, v48 offset:2592
	ds_load_b32 v32, v47
	s_wait_dscnt 0x0
	v_fma_f32 v2, -v29, v32, v2
.LBB15_955:                             ;   in Loop: Header=BB15_3 Depth=1
	s_or_b32 exec_lo, exec_lo, s42
	s_barrier_signal -1
	s_barrier_wait -1
	s_and_saveexec_b32 s42, s95
; %bb.956:                              ;   in Loop: Header=BB15_3 Depth=1
	v_xor_b32_e32 v29, 0x80000000, v2
	ds_store_b32 v47, v29
; %bb.957:                              ;   in Loop: Header=BB15_3 Depth=1
	s_or_b32 exec_lo, exec_lo, s42
	s_wait_dscnt 0x0
	;; [unrolled: 20-line block ×3, first 2 shown]
	s_barrier_signal -1
	s_barrier_wait -1
	s_barrier_signal -1
	s_barrier_wait -1
	s_and_saveexec_b32 s42, s4
; %bb.962:                              ;   in Loop: Header=BB15_3 Depth=1
	ds_store_b32 v51, v2 offset:3872
; %bb.963:                              ;   in Loop: Header=BB15_3 Depth=1
	s_or_b32 exec_lo, exec_lo, s42
	s_wait_dscnt 0x0
	s_barrier_signal -1
	s_barrier_wait -1
	s_barrier_signal -1
	s_barrier_wait -1
	s_and_saveexec_b32 s57, s97
	s_cbranch_execz .LBB15_965
; %bb.964:                              ;   in Loop: Header=BB15_3 Depth=1
	ds_load_b32 v2, v36 offset:3104
	s_wait_dscnt 0x0
	ds_store_b32 v37, v2 offset:2096
	ds_load_b32 v2, v36 offset:3108
	s_wait_dscnt 0x0
	ds_store_b32 v37, v2 offset:2352
	;; [unrolled: 3-line block ×4, first 2 shown]
.LBB15_965:                             ;   in Loop: Header=BB15_3 Depth=1
	s_or_b32 exec_lo, exec_lo, s57
	s_wait_dscnt 0x0
	s_barrier_signal -1
	s_barrier_wait -1
	s_and_saveexec_b32 s42, s11
	s_cbranch_execz .LBB15_967
; %bb.966:                              ;   in Loop: Header=BB15_3 Depth=1
	ds_load_b32 v29, v3 offset:2856
	ds_store_b32 v3, v28 offset:2860
	s_wait_dscnt 0x1
	ds_store_b64 v3, v[28:29] offset:2600
.LBB15_967:                             ;   in Loop: Header=BB15_3 Depth=1
	s_or_b32 exec_lo, exec_lo, s42
	v_mov_b32_e32 v2, 0
	s_wait_dscnt 0x0
	s_barrier_signal -1
	s_barrier_wait -1
	global_wb scope:SCOPE_DEV
	s_wait_storecnt 0x0
	global_inv scope:SCOPE_DEV
	s_and_saveexec_b32 s57, s2
	s_cbranch_execz .LBB15_971
; %bb.968:                              ;   in Loop: Header=BB15_3 Depth=1
	ds_load_b32 v2, v43 offset:2592
	ds_load_b32 v29, v44 offset:2856
	s_wait_dscnt 0x0
	v_fma_f32 v2, v2, v29, 0
	s_and_saveexec_b32 s42, s12
	s_cbranch_execz .LBB15_970
; %bb.969:                              ;   in Loop: Header=BB15_3 Depth=1
	ds_load_b32 v29, v37 offset:2848
	ds_load_b32 v32, v3 offset:2860
	s_wait_dscnt 0x0
	v_fmac_f32_e32 v2, v29, v32
.LBB15_970:                             ;   in Loop: Header=BB15_3 Depth=1
	s_or_b32 exec_lo, exec_lo, s42
.LBB15_971:                             ;   in Loop: Header=BB15_3 Depth=1
	s_delay_alu instid0(SALU_CYCLE_1)
	s_or_b32 exec_lo, exec_lo, s57
	s_and_saveexec_b32 s42, s88
; %bb.972:                              ;   in Loop: Header=BB15_3 Depth=1
	s_delay_alu instid0(VALU_DEP_1)
	v_xor_b32_e32 v29, 0x80000000, v2
	ds_store_b32 v41, v29
; %bb.973:                              ;   in Loop: Header=BB15_3 Depth=1
	s_or_b32 exec_lo, exec_lo, s42
	s_wait_loadcnt_dscnt 0x0
	s_barrier_signal -1
	s_barrier_wait -1
	s_and_saveexec_b32 s42, s89
	s_cbranch_execz .LBB15_975
; %bb.974:                              ;   in Loop: Header=BB15_3 Depth=1
	ds_load_b32 v29, v3 offset:2336
	ds_load_b32 v32, v41
	s_wait_dscnt 0x0
	v_fma_f32 v2, -v29, v32, v2
.LBB15_975:                             ;   in Loop: Header=BB15_3 Depth=1
	s_or_b32 exec_lo, exec_lo, s42
	s_barrier_signal -1
	s_barrier_wait -1
	s_and_saveexec_b32 s42, s89
; %bb.976:                              ;   in Loop: Header=BB15_3 Depth=1
	v_xor_b32_e32 v29, 0x80000000, v2
	ds_store_b32 v41, v29
; %bb.977:                              ;   in Loop: Header=BB15_3 Depth=1
	s_or_b32 exec_lo, exec_lo, s42
	s_wait_dscnt 0x0
	s_barrier_signal -1
	s_barrier_wait -1
	s_barrier_signal -1
	s_barrier_wait -1
	s_and_saveexec_b32 s42, s2
; %bb.978:                              ;   in Loop: Header=BB15_3 Depth=1
	ds_store_b32 v46, v2 offset:2848
; %bb.979:                              ;   in Loop: Header=BB15_3 Depth=1
	s_or_b32 exec_lo, exec_lo, s42
	s_wait_dscnt 0x0
	s_barrier_signal -1
	s_barrier_wait -1
	s_barrier_signal -1
	s_barrier_wait -1
	s_and_saveexec_b32 s42, s90
	s_cbranch_execz .LBB15_981
; %bb.980:                              ;   in Loop: Header=BB15_3 Depth=1
	ds_load_b32 v2, v38 offset:2592
	s_wait_dscnt 0x0
	ds_store_b32 v37, v2 offset:2088
	ds_load_b32 v2, v38 offset:2596
	s_wait_dscnt 0x0
	ds_store_b32 v37, v2 offset:2344
.LBB15_981:                             ;   in Loop: Header=BB15_3 Depth=1
	s_or_b32 exec_lo, exec_lo, s42
	s_wait_dscnt 0x0
	s_barrier_signal -1
	s_barrier_wait -1
	s_and_saveexec_b32 s42, s11
	s_cbranch_execz .LBB15_983
; %bb.982:                              ;   in Loop: Header=BB15_3 Depth=1
	ds_load_b32 v29, v3 offset:2336
	ds_store_b32 v3, v28 offset:2340
	s_wait_dscnt 0x1
	ds_store_b64 v3, v[28:29] offset:2080
.LBB15_983:                             ;   in Loop: Header=BB15_3 Depth=1
	s_or_b32 exec_lo, exec_lo, s42
	v_mov_b32_e32 v2, 0
	s_wait_dscnt 0x0
	s_barrier_signal -1
	s_barrier_wait -1
	global_wb scope:SCOPE_DEV
	s_wait_storecnt 0x0
	global_inv scope:SCOPE_DEV
	s_and_saveexec_b32 s60, s5
	s_cbranch_execz .LBB15_993
; %bb.984:                              ;   in Loop: Header=BB15_3 Depth=1
	ds_load_b32 v2, v53 offset:2048
	ds_load_b32 v29, v56 offset:3872
	s_wait_dscnt 0x0
	v_fma_f32 v2, v2, v29, 0
	s_and_saveexec_b32 s42, s15
	s_cbranch_execnz .LBB15_1217
; %bb.985:                              ;   in Loop: Header=BB15_3 Depth=1
	s_or_b32 exec_lo, exec_lo, s42
	s_and_saveexec_b32 s42, s16
	s_cbranch_execnz .LBB15_1218
.LBB15_986:                             ;   in Loop: Header=BB15_3 Depth=1
	s_or_b32 exec_lo, exec_lo, s42
	s_and_saveexec_b32 s42, s17
	s_cbranch_execnz .LBB15_1219
.LBB15_987:                             ;   in Loop: Header=BB15_3 Depth=1
	s_or_b32 exec_lo, exec_lo, s42
	s_and_saveexec_b32 s42, s18
	s_cbranch_execnz .LBB15_1220
.LBB15_988:                             ;   in Loop: Header=BB15_3 Depth=1
	s_or_b32 exec_lo, exec_lo, s42
	s_and_saveexec_b32 s42, s19
	s_cbranch_execnz .LBB15_1221
.LBB15_989:                             ;   in Loop: Header=BB15_3 Depth=1
	s_or_b32 exec_lo, exec_lo, s42
	s_and_saveexec_b32 s42, s4
	s_cbranch_execnz .LBB15_1222
.LBB15_990:                             ;   in Loop: Header=BB15_3 Depth=1
	s_or_b32 exec_lo, exec_lo, s42
	s_and_saveexec_b32 s42, s14
	s_cbranch_execz .LBB15_992
.LBB15_991:                             ;   in Loop: Header=BB15_3 Depth=1
	ds_load_b32 v29, v39 offset:3840
	ds_load_b32 v32, v3 offset:3900
	s_wait_dscnt 0x0
	v_fmac_f32_e32 v2, v29, v32
.LBB15_992:                             ;   in Loop: Header=BB15_3 Depth=1
	s_or_b32 exec_lo, exec_lo, s42
.LBB15_993:                             ;   in Loop: Header=BB15_3 Depth=1
	s_delay_alu instid0(SALU_CYCLE_1)
	s_or_b32 exec_lo, exec_lo, s60
	s_and_saveexec_b32 s42, s98
; %bb.994:                              ;   in Loop: Header=BB15_3 Depth=1
	s_delay_alu instid0(VALU_DEP_1)
	v_xor_b32_e32 v29, 0x80000000, v2
	ds_store_b32 v54, v29
; %bb.995:                              ;   in Loop: Header=BB15_3 Depth=1
	s_or_b32 exec_lo, exec_lo, s42
	s_wait_loadcnt_dscnt 0x0
	s_barrier_signal -1
	s_barrier_wait -1
	s_and_saveexec_b32 s42, s99
	s_cbranch_execz .LBB15_997
; %bb.996:                              ;   in Loop: Header=BB15_3 Depth=1
	ds_load_b32 v29, v53 offset:1792
	ds_load_b32 v32, v54
	s_wait_dscnt 0x0
	v_fma_f32 v2, -v29, v32, v2
.LBB15_997:                             ;   in Loop: Header=BB15_3 Depth=1
	s_or_b32 exec_lo, exec_lo, s42
	s_barrier_signal -1
	s_barrier_wait -1
	s_and_saveexec_b32 s42, s100
; %bb.998:                              ;   in Loop: Header=BB15_3 Depth=1
	v_xor_b32_e32 v29, 0x80000000, v2
	ds_store_b32 v54, v29
; %bb.999:                              ;   in Loop: Header=BB15_3 Depth=1
	s_or_b32 exec_lo, exec_lo, s42
	s_wait_dscnt 0x0
	s_barrier_signal -1
	s_barrier_wait -1
	s_and_saveexec_b32 s42, s101
	s_cbranch_execz .LBB15_1001
; %bb.1000:                             ;   in Loop: Header=BB15_3 Depth=1
	ds_load_b32 v29, v53 offset:1536
	ds_load_b32 v32, v54
	s_wait_dscnt 0x0
	v_fma_f32 v2, -v29, v32, v2
.LBB15_1001:                            ;   in Loop: Header=BB15_3 Depth=1
	s_or_b32 exec_lo, exec_lo, s42
	s_barrier_signal -1
	s_barrier_wait -1
	s_and_saveexec_b32 s42, s102
; %bb.1002:                             ;   in Loop: Header=BB15_3 Depth=1
	v_xor_b32_e32 v29, 0x80000000, v2
	ds_store_b32 v54, v29
; %bb.1003:                             ;   in Loop: Header=BB15_3 Depth=1
	s_or_b32 exec_lo, exec_lo, s42
	s_wait_dscnt 0x0
	s_barrier_signal -1
	s_barrier_wait -1
	s_and_saveexec_b32 s42, s103
	s_cbranch_execz .LBB15_1005
; %bb.1004:                             ;   in Loop: Header=BB15_3 Depth=1
	ds_load_b32 v29, v53 offset:1280
	ds_load_b32 v32, v54
	s_wait_dscnt 0x0
	v_fma_f32 v2, -v29, v32, v2
.LBB15_1005:                            ;   in Loop: Header=BB15_3 Depth=1
	s_or_b32 exec_lo, exec_lo, s42
	s_barrier_signal -1
	s_barrier_wait -1
	s_and_saveexec_b32 s42, s104
; %bb.1006:                             ;   in Loop: Header=BB15_3 Depth=1
	v_xor_b32_e32 v29, 0x80000000, v2
	ds_store_b32 v54, v29
; %bb.1007:                             ;   in Loop: Header=BB15_3 Depth=1
	s_or_b32 exec_lo, exec_lo, s42
	s_wait_dscnt 0x0
	s_barrier_signal -1
	s_barrier_wait -1
	s_and_saveexec_b32 s42, vcc_hi
	s_cbranch_execz .LBB15_1009
; %bb.1008:                             ;   in Loop: Header=BB15_3 Depth=1
	ds_load_b32 v29, v53 offset:1024
	ds_load_b32 v32, v54
	s_wait_dscnt 0x0
	v_fma_f32 v2, -v29, v32, v2
.LBB15_1009:                            ;   in Loop: Header=BB15_3 Depth=1
	s_or_b32 exec_lo, exec_lo, s42
	s_barrier_signal -1
	s_barrier_wait -1
	s_and_saveexec_b32 s42, s31
; %bb.1010:                             ;   in Loop: Header=BB15_3 Depth=1
	v_xor_b32_e32 v29, 0x80000000, v2
	ds_store_b32 v54, v29
; %bb.1011:                             ;   in Loop: Header=BB15_3 Depth=1
	s_or_b32 exec_lo, exec_lo, s42
	s_wait_dscnt 0x0
	s_barrier_signal -1
	s_barrier_wait -1
	s_and_saveexec_b32 s42, s33
	s_cbranch_execz .LBB15_1013
; %bb.1012:                             ;   in Loop: Header=BB15_3 Depth=1
	ds_load_b32 v29, v53 offset:768
	ds_load_b32 v32, v54
	s_wait_dscnt 0x0
	v_fma_f32 v2, -v29, v32, v2
.LBB15_1013:                            ;   in Loop: Header=BB15_3 Depth=1
	s_or_b32 exec_lo, exec_lo, s42
	s_barrier_signal -1
	s_barrier_wait -1
	s_and_saveexec_b32 s42, s34
; %bb.1014:                             ;   in Loop: Header=BB15_3 Depth=1
	v_xor_b32_e32 v29, 0x80000000, v2
	ds_store_b32 v54, v29
; %bb.1015:                             ;   in Loop: Header=BB15_3 Depth=1
	s_or_b32 exec_lo, exec_lo, s42
	s_wait_dscnt 0x0
	s_barrier_signal -1
	s_barrier_wait -1
	s_and_saveexec_b32 s42, s35
	;; [unrolled: 20-line block ×3, first 2 shown]
	s_cbranch_execz .LBB15_1021
; %bb.1020:                             ;   in Loop: Header=BB15_3 Depth=1
	ds_load_b32 v29, v3 offset:256
	ds_load_b32 v32, v54
	s_wait_dscnt 0x0
	v_fma_f32 v2, -v29, v32, v2
.LBB15_1021:                            ;   in Loop: Header=BB15_3 Depth=1
	s_or_b32 exec_lo, exec_lo, s42
	s_barrier_signal -1
	s_barrier_wait -1
	s_and_saveexec_b32 s42, s37
; %bb.1022:                             ;   in Loop: Header=BB15_3 Depth=1
	v_xor_b32_e32 v29, 0x80000000, v2
	ds_store_b32 v54, v29
; %bb.1023:                             ;   in Loop: Header=BB15_3 Depth=1
	s_or_b32 exec_lo, exec_lo, s42
	s_wait_dscnt 0x0
	s_barrier_signal -1
	s_barrier_wait -1
	s_barrier_signal -1
	s_barrier_wait -1
	s_and_saveexec_b32 s42, s5
; %bb.1024:                             ;   in Loop: Header=BB15_3 Depth=1
	ds_store_b32 v57, v2 offset:3840
; %bb.1025:                             ;   in Loop: Header=BB15_3 Depth=1
	s_or_b32 exec_lo, exec_lo, s42
	s_wait_dscnt 0x0
	s_barrier_signal -1
	s_barrier_wait -1
	s_barrier_signal -1
	s_barrier_wait -1
	s_and_saveexec_b32 s57, s38
	s_cbranch_execz .LBB15_1027
; %bb.1026:                             ;   in Loop: Header=BB15_3 Depth=1
	ds_load_b32 v2, v40 offset:2048
	s_wait_dscnt 0x0
	ds_store_b32 v42, v2 offset:32
	ds_load_b32 v2, v40 offset:2052
	s_wait_dscnt 0x0
	ds_store_b32 v42, v2 offset:288
	;; [unrolled: 3-line block ×8, first 2 shown]
.LBB15_1027:                            ;   in Loop: Header=BB15_3 Depth=1
	s_or_b32 exec_lo, exec_lo, s57
	s_wait_dscnt 0x0
	s_barrier_signal -1
	s_barrier_wait -1
	s_and_saveexec_b32 s42, s11
	s_cbranch_execz .LBB15_1029
; %bb.1028:                             ;   in Loop: Header=BB15_3 Depth=1
	ds_load_b32 v29, v3 offset:1816
	ds_store_b32 v3, v28 offset:1820
	s_wait_dscnt 0x1
	ds_store_b64 v3, v[28:29] offset:1560
.LBB15_1029:                            ;   in Loop: Header=BB15_3 Depth=1
	s_or_b32 exec_lo, exec_lo, s42
	v_mov_b32_e32 v2, 0
	s_wait_dscnt 0x0
	s_barrier_signal -1
	s_barrier_wait -1
	global_wb scope:SCOPE_DEV
	s_wait_storecnt 0x0
	global_inv scope:SCOPE_DEV
	s_and_saveexec_b32 s57, s2
	s_cbranch_execz .LBB15_1033
; %bb.1030:                             ;   in Loop: Header=BB15_3 Depth=1
	ds_load_b32 v2, v43 offset:1552
	ds_load_b32 v29, v44 offset:1816
	s_wait_dscnt 0x0
	v_fma_f32 v2, v2, v29, 0
	s_and_saveexec_b32 s42, s12
	s_cbranch_execz .LBB15_1032
; %bb.1031:                             ;   in Loop: Header=BB15_3 Depth=1
	ds_load_b32 v29, v42 offset:1808
	ds_load_b32 v32, v3 offset:1820
	s_wait_dscnt 0x0
	v_fmac_f32_e32 v2, v29, v32
.LBB15_1032:                            ;   in Loop: Header=BB15_3 Depth=1
	s_or_b32 exec_lo, exec_lo, s42
.LBB15_1033:                            ;   in Loop: Header=BB15_3 Depth=1
	s_delay_alu instid0(SALU_CYCLE_1)
	s_or_b32 exec_lo, exec_lo, s57
	s_and_saveexec_b32 s42, s88
; %bb.1034:                             ;   in Loop: Header=BB15_3 Depth=1
	s_delay_alu instid0(VALU_DEP_1)
	v_xor_b32_e32 v29, 0x80000000, v2
	ds_store_b32 v41, v29
; %bb.1035:                             ;   in Loop: Header=BB15_3 Depth=1
	s_or_b32 exec_lo, exec_lo, s42
	s_wait_loadcnt_dscnt 0x0
	s_barrier_signal -1
	s_barrier_wait -1
	s_and_saveexec_b32 s42, s89
	s_cbranch_execz .LBB15_1037
; %bb.1036:                             ;   in Loop: Header=BB15_3 Depth=1
	ds_load_b32 v29, v3 offset:1296
	ds_load_b32 v32, v41
	s_wait_dscnt 0x0
	v_fma_f32 v2, -v29, v32, v2
.LBB15_1037:                            ;   in Loop: Header=BB15_3 Depth=1
	s_or_b32 exec_lo, exec_lo, s42
	s_barrier_signal -1
	s_barrier_wait -1
	s_and_saveexec_b32 s42, s89
; %bb.1038:                             ;   in Loop: Header=BB15_3 Depth=1
	v_xor_b32_e32 v29, 0x80000000, v2
	ds_store_b32 v41, v29
; %bb.1039:                             ;   in Loop: Header=BB15_3 Depth=1
	s_or_b32 exec_lo, exec_lo, s42
	s_wait_dscnt 0x0
	s_barrier_signal -1
	s_barrier_wait -1
	s_barrier_signal -1
	s_barrier_wait -1
	s_and_saveexec_b32 s42, s2
; %bb.1040:                             ;   in Loop: Header=BB15_3 Depth=1
	ds_store_b32 v46, v2 offset:1808
; %bb.1041:                             ;   in Loop: Header=BB15_3 Depth=1
	s_or_b32 exec_lo, exec_lo, s42
	s_wait_dscnt 0x0
	s_barrier_signal -1
	s_barrier_wait -1
	s_barrier_signal -1
	s_barrier_wait -1
	s_and_saveexec_b32 s42, s90
	s_cbranch_execz .LBB15_1043
; %bb.1042:                             ;   in Loop: Header=BB15_3 Depth=1
	ds_load_b32 v2, v45 offset:1552
	s_wait_dscnt 0x0
	ds_store_b32 v42, v2 offset:1048
	ds_load_b32 v2, v45 offset:1556
	s_wait_dscnt 0x0
	ds_store_b32 v42, v2 offset:1304
.LBB15_1043:                            ;   in Loop: Header=BB15_3 Depth=1
	s_or_b32 exec_lo, exec_lo, s42
	s_wait_dscnt 0x0
	s_barrier_signal -1
	s_barrier_wait -1
	s_and_saveexec_b32 s42, s11
	s_cbranch_execz .LBB15_1045
; %bb.1044:                             ;   in Loop: Header=BB15_3 Depth=1
	ds_load_b32 v29, v3 offset:1296
	ds_store_b32 v3, v28 offset:1300
	s_wait_dscnt 0x1
	ds_store_b64 v3, v[28:29] offset:1040
.LBB15_1045:                            ;   in Loop: Header=BB15_3 Depth=1
	s_or_b32 exec_lo, exec_lo, s42
	v_mov_b32_e32 v2, 0
	s_wait_dscnt 0x0
	s_barrier_signal -1
	s_barrier_wait -1
	global_wb scope:SCOPE_DEV
	s_wait_storecnt 0x0
	global_inv scope:SCOPE_DEV
	s_and_saveexec_b32 s60, s4
	s_cbranch_execz .LBB15_1051
; %bb.1046:                             ;   in Loop: Header=BB15_3 Depth=1
	ds_load_b32 v2, v48 offset:1024
	ds_load_b32 v29, v50 offset:1808
	s_wait_dscnt 0x0
	v_fma_f32 v2, v2, v29, 0
	s_and_saveexec_b32 s42, s13
	s_cbranch_execnz .LBB15_1223
; %bb.1047:                             ;   in Loop: Header=BB15_3 Depth=1
	s_or_b32 exec_lo, exec_lo, s42
	s_and_saveexec_b32 s42, s14
	s_cbranch_execnz .LBB15_1224
.LBB15_1048:                            ;   in Loop: Header=BB15_3 Depth=1
	s_or_b32 exec_lo, exec_lo, s42
	s_and_saveexec_b32 s42, s2
	s_cbranch_execz .LBB15_1050
.LBB15_1049:                            ;   in Loop: Header=BB15_3 Depth=1
	ds_load_b32 v29, v49 offset:1792
	ds_load_b32 v32, v3 offset:1820
	s_wait_dscnt 0x0
	v_fmac_f32_e32 v2, v29, v32
.LBB15_1050:                            ;   in Loop: Header=BB15_3 Depth=1
	s_or_b32 exec_lo, exec_lo, s42
.LBB15_1051:                            ;   in Loop: Header=BB15_3 Depth=1
	s_delay_alu instid0(SALU_CYCLE_1)
	s_or_b32 exec_lo, exec_lo, s60
	s_and_saveexec_b32 s42, s91
; %bb.1052:                             ;   in Loop: Header=BB15_3 Depth=1
	s_delay_alu instid0(VALU_DEP_1)
	v_xor_b32_e32 v29, 0x80000000, v2
	ds_store_b32 v47, v29
; %bb.1053:                             ;   in Loop: Header=BB15_3 Depth=1
	s_or_b32 exec_lo, exec_lo, s42
	s_wait_loadcnt_dscnt 0x0
	s_barrier_signal -1
	s_barrier_wait -1
	s_and_saveexec_b32 s42, s92
	s_cbranch_execz .LBB15_1055
; %bb.1054:                             ;   in Loop: Header=BB15_3 Depth=1
	ds_load_b32 v29, v48 offset:768
	ds_load_b32 v32, v47
	s_wait_dscnt 0x0
	v_fma_f32 v2, -v29, v32, v2
.LBB15_1055:                            ;   in Loop: Header=BB15_3 Depth=1
	s_or_b32 exec_lo, exec_lo, s42
	s_barrier_signal -1
	s_barrier_wait -1
	s_and_saveexec_b32 s42, s93
; %bb.1056:                             ;   in Loop: Header=BB15_3 Depth=1
	v_xor_b32_e32 v29, 0x80000000, v2
	ds_store_b32 v47, v29
; %bb.1057:                             ;   in Loop: Header=BB15_3 Depth=1
	s_or_b32 exec_lo, exec_lo, s42
	s_wait_dscnt 0x0
	s_barrier_signal -1
	s_barrier_wait -1
	s_and_saveexec_b32 s42, s94
	s_cbranch_execz .LBB15_1059
; %bb.1058:                             ;   in Loop: Header=BB15_3 Depth=1
	ds_load_b32 v29, v48 offset:512
	ds_load_b32 v32, v47
	s_wait_dscnt 0x0
	v_fma_f32 v2, -v29, v32, v2
.LBB15_1059:                            ;   in Loop: Header=BB15_3 Depth=1
	s_or_b32 exec_lo, exec_lo, s42
	s_barrier_signal -1
	s_barrier_wait -1
	s_and_saveexec_b32 s42, s95
; %bb.1060:                             ;   in Loop: Header=BB15_3 Depth=1
	v_xor_b32_e32 v29, 0x80000000, v2
	ds_store_b32 v47, v29
; %bb.1061:                             ;   in Loop: Header=BB15_3 Depth=1
	s_or_b32 exec_lo, exec_lo, s42
	s_wait_dscnt 0x0
	;; [unrolled: 20-line block ×3, first 2 shown]
	s_barrier_signal -1
	s_barrier_wait -1
	s_barrier_signal -1
	s_barrier_wait -1
	s_and_saveexec_b32 s42, s4
; %bb.1066:                             ;   in Loop: Header=BB15_3 Depth=1
	ds_store_b32 v51, v2 offset:1792
; %bb.1067:                             ;   in Loop: Header=BB15_3 Depth=1
	s_or_b32 exec_lo, exec_lo, s42
	s_wait_dscnt 0x0
	s_barrier_signal -1
	s_barrier_wait -1
	s_barrier_signal -1
	s_barrier_wait -1
	s_and_saveexec_b32 s57, s97
	s_cbranch_execz .LBB15_1069
; %bb.1068:                             ;   in Loop: Header=BB15_3 Depth=1
	ds_load_b32 v2, v52 offset:1024
	s_wait_dscnt 0x0
	ds_store_b32 v55, v2 offset:16
	ds_load_b32 v2, v52 offset:1028
	s_wait_dscnt 0x0
	ds_store_b32 v55, v2 offset:272
	;; [unrolled: 3-line block ×4, first 2 shown]
.LBB15_1069:                            ;   in Loop: Header=BB15_3 Depth=1
	s_or_b32 exec_lo, exec_lo, s57
	s_wait_dscnt 0x0
	s_barrier_signal -1
	s_barrier_wait -1
	s_and_saveexec_b32 s42, s11
	s_cbranch_execz .LBB15_1071
; %bb.1070:                             ;   in Loop: Header=BB15_3 Depth=1
	ds_load_b32 v29, v3 offset:776
	ds_store_b32 v3, v28 offset:780
	s_wait_dscnt 0x1
	ds_store_b64 v3, v[28:29] offset:520
.LBB15_1071:                            ;   in Loop: Header=BB15_3 Depth=1
	s_or_b32 exec_lo, exec_lo, s42
	v_mov_b32_e32 v2, 0
	s_wait_dscnt 0x0
	s_barrier_signal -1
	s_barrier_wait -1
	global_wb scope:SCOPE_DEV
	s_wait_storecnt 0x0
	global_inv scope:SCOPE_DEV
	s_and_saveexec_b32 s57, s2
	s_cbranch_execz .LBB15_1075
; %bb.1072:                             ;   in Loop: Header=BB15_3 Depth=1
	ds_load_b32 v2, v43 offset:512
	ds_load_b32 v29, v44 offset:776
	s_wait_dscnt 0x0
	v_fma_f32 v2, v2, v29, 0
	s_and_saveexec_b32 s42, s12
	s_cbranch_execz .LBB15_1074
; %bb.1073:                             ;   in Loop: Header=BB15_3 Depth=1
	ds_load_b32 v29, v55 offset:768
	ds_load_b32 v32, v3 offset:780
	s_wait_dscnt 0x0
	v_fmac_f32_e32 v2, v29, v32
.LBB15_1074:                            ;   in Loop: Header=BB15_3 Depth=1
	s_or_b32 exec_lo, exec_lo, s42
.LBB15_1075:                            ;   in Loop: Header=BB15_3 Depth=1
	s_delay_alu instid0(SALU_CYCLE_1)
	s_or_b32 exec_lo, exec_lo, s57
	s_and_saveexec_b32 s42, s88
; %bb.1076:                             ;   in Loop: Header=BB15_3 Depth=1
	s_delay_alu instid0(VALU_DEP_1)
	v_xor_b32_e32 v29, 0x80000000, v2
	ds_store_b32 v41, v29
; %bb.1077:                             ;   in Loop: Header=BB15_3 Depth=1
	s_or_b32 exec_lo, exec_lo, s42
	s_wait_loadcnt_dscnt 0x0
	s_barrier_signal -1
	s_barrier_wait -1
	s_and_saveexec_b32 s42, s89
	s_cbranch_execz .LBB15_1079
; %bb.1078:                             ;   in Loop: Header=BB15_3 Depth=1
	ds_load_b32 v29, v3 offset:256
	ds_load_b32 v32, v41
	s_wait_dscnt 0x0
	v_fma_f32 v2, -v29, v32, v2
.LBB15_1079:                            ;   in Loop: Header=BB15_3 Depth=1
	s_or_b32 exec_lo, exec_lo, s42
	s_barrier_signal -1
	s_barrier_wait -1
	s_and_saveexec_b32 s42, s89
; %bb.1080:                             ;   in Loop: Header=BB15_3 Depth=1
	v_xor_b32_e32 v29, 0x80000000, v2
	ds_store_b32 v41, v29
; %bb.1081:                             ;   in Loop: Header=BB15_3 Depth=1
	s_or_b32 exec_lo, exec_lo, s42
	s_wait_dscnt 0x0
	s_barrier_signal -1
	s_barrier_wait -1
	s_barrier_signal -1
	s_barrier_wait -1
	s_and_saveexec_b32 s42, s2
; %bb.1082:                             ;   in Loop: Header=BB15_3 Depth=1
	ds_store_b32 v46, v2 offset:768
; %bb.1083:                             ;   in Loop: Header=BB15_3 Depth=1
	s_or_b32 exec_lo, exec_lo, s42
	s_wait_dscnt 0x0
	s_barrier_signal -1
	s_barrier_wait -1
	s_barrier_signal -1
	s_barrier_wait -1
	s_and_saveexec_b32 s42, s90
	s_cbranch_execz .LBB15_1085
; %bb.1084:                             ;   in Loop: Header=BB15_3 Depth=1
	ds_load_b32 v2, v58 offset:512
	s_wait_dscnt 0x0
	ds_store_b32 v55, v2 offset:8
	ds_load_b32 v2, v58 offset:516
	s_wait_dscnt 0x0
	ds_store_b32 v55, v2 offset:264
.LBB15_1085:                            ;   in Loop: Header=BB15_3 Depth=1
	s_or_b32 exec_lo, exec_lo, s42
	s_wait_dscnt 0x0
	s_barrier_signal -1
	s_barrier_wait -1
	s_and_saveexec_b32 s42, s11
	s_cbranch_execz .LBB15_1087
; %bb.1086:                             ;   in Loop: Header=BB15_3 Depth=1
	ds_load_b32 v29, v3 offset:256
	ds_store_b32 v3, v28 offset:260
	s_wait_dscnt 0x1
	ds_store_b64 v3, v[28:29]
.LBB15_1087:                            ;   in Loop: Header=BB15_3 Depth=1
	s_or_b32 exec_lo, exec_lo, s42
.LBB15_1088:                            ;   in Loop: Header=BB15_3 Depth=1
	s_mul_u64 s[60:61], s[70:71], s[72:73]
	v_mov_b32_e32 v29, 0
	s_lshl_b64 s[60:61], s[60:61], 2
	s_wait_dscnt 0x0
	s_add_nc_u64 s[78:79], s[64:65], s[60:61]
	s_barrier_signal -1
	s_barrier_wait -1
	s_and_saveexec_b32 s42, s40
	s_cbranch_execz .LBB15_1090
; %bb.1089:                             ;   in Loop: Header=BB15_3 Depth=1
	v_lshl_add_u64 v[32:33], v[0:1], 2, s[78:79]
	v_readlane_b32 s57, v87, 5
	global_load_b32 v2, v[32:33], off
	s_wait_loadcnt 0x0
	v_mul_f32_e64 v29, v2, -s57
.LBB15_1090:                            ;   in Loop: Header=BB15_3 Depth=1
	s_or_b32 exec_lo, exec_lo, s42
	s_delay_alu instid0(SALU_CYCLE_1)
	s_and_not1_b32 vcc_lo, exec_lo, s41
	s_cbranch_vccnz .LBB15_1116
; %bb.1091:                             ;   in Loop: Header=BB15_3 Depth=1
	v_mov_b32_e32 v82, -1
	s_lshl_b64 s[60:61], s[72:73], 2
	s_delay_alu instid0(SALU_CYCLE_1)
	s_add_nc_u64 s[80:81], s[66:67], s[60:61]
	s_mov_b32 s60, 0
	s_branch .LBB15_1094
.LBB15_1092:                            ;   in Loop: Header=BB15_1094 Depth=2
	s_wait_xcnt 0x0
	ds_load_b32 v32, v67 offset:192
	s_wait_loadcnt_dscnt 0x0
	v_fmac_f32_e32 v29, v2, v32
.LBB15_1093:                            ;   in Loop: Header=BB15_1094 Depth=2
	s_or_b32 exec_lo, exec_lo, s57
	s_add_co_i32 s60, s60, 1
	s_delay_alu instid0(SALU_CYCLE_1)
	s_cmp_eq_u32 s60, s84
	s_cbranch_scc1 .LBB15_1116
.LBB15_1094:                            ;   Parent Loop BB15_3 Depth=1
                                        ; =>  This Loop Header: Depth=2
                                        ;       Child Loop BB15_1096 Depth 3
	v_cmp_gt_i32_e32 vcc_lo, s60, v82
	s_and_b32 s42, s55, vcc_lo
	s_delay_alu instid0(SALU_CYCLE_1)
	s_and_saveexec_b32 s57, s42
	s_cbranch_execz .LBB15_1097
; %bb.1095:                             ;   in Loop: Header=BB15_1094 Depth=2
	global_load_b32 v82, v3, s[80:81]
	s_wait_loadcnt 0x0
	v_cmp_le_i32_e32 vcc_lo, s60, v82
	s_cbranch_vccnz .LBB15_1097
.LBB15_1096:                            ;   Parent Loop BB15_3 Depth=1
                                        ;     Parent Loop BB15_1094 Depth=2
                                        ; =>    This Inner Loop Header: Depth=3
	global_wb scope:SCOPE_DEV
	s_wait_storecnt 0x0
	global_inv scope:SCOPE_DEV
	global_load_b32 v82, v3, s[80:81]
	s_wait_loadcnt 0x0
	v_cmp_gt_i32_e32 vcc_lo, s60, v82
	s_cbranch_vccnz .LBB15_1096
.LBB15_1097:                            ;   in Loop: Header=BB15_1094 Depth=2
	s_or_b32 exec_lo, exec_lo, s57
	s_lshl_b32 s61, s60, 6
	global_wb scope:SCOPE_DEV
	s_wait_storecnt 0x0
	global_inv scope:SCOPE_DEV
	s_wait_loadcnt 0x0
	s_barrier_signal -1
	s_barrier_wait -1
	s_and_saveexec_b32 s57, s56
	s_cbranch_execz .LBB15_1101
; %bb.1098:                             ;   in Loop: Header=BB15_1094 Depth=2
	v_dual_mov_b32 v32, 0 :: v_dual_bitop2_b32 v2, s61, v8 bitop3:0x54
	s_mov_b32 s42, exec_lo
	s_delay_alu instid0(VALU_DEP_1)
	v_cmpx_gt_i32_e64 s83, v2
	s_cbranch_execz .LBB15_1100
; %bb.1099:                             ;   in Loop: Header=BB15_1094 Depth=2
	v_mul_u64_e32 v[32:33], s[68:69], v[2:3]
	s_delay_alu instid0(VALU_DEP_1)
	v_lshl_add_u64 v[32:33], v[32:33], 2, s[78:79]
	global_load_b32 v32, v[32:33], off
.LBB15_1100:                            ;   in Loop: Header=BB15_1094 Depth=2
	s_wait_xcnt 0x0
	s_or_b32 exec_lo, exec_lo, s42
	s_wait_loadcnt 0x0
	ds_store_b32 v68, v32
.LBB15_1101:                            ;   in Loop: Header=BB15_1094 Depth=2
	s_or_b32 exec_lo, exec_lo, s57
	v_add_nc_u32_e32 v2, s61, v4
	v_cmp_ne_u32_e32 vcc_lo, s60, v7
	s_wait_dscnt 0x0
	s_barrier_signal -1
	s_barrier_wait -1
	v_cmp_gt_i32_e64 s61, s83, v2
	v_lshl_add_u64 v[32:33], v[2:3], 2, v[30:31]
	v_cndmask_b32_e64 v83, 0, 1, vcc_lo
	s_and_b32 s42, s61, s0
	s_delay_alu instid0(SALU_CYCLE_1)
	s_and_saveexec_b32 s57, s42
	s_cbranch_execz .LBB15_1105
; %bb.1102:                             ;   in Loop: Header=BB15_1094 Depth=2
	v_mov_b32_e32 v84, v78
	s_and_not1_b32 vcc_lo, exec_lo, vcc_lo
	s_cbranch_vccnz .LBB15_1104
; %bb.1103:                             ;   in Loop: Header=BB15_1094 Depth=2
	global_load_b32 v84, v[32:33], off
.LBB15_1104:                            ;   in Loop: Header=BB15_1094 Depth=2
	ds_load_b32 v85, v67
	s_wait_loadcnt_dscnt 0x0
	v_fmac_f32_e32 v29, v84, v85
.LBB15_1105:                            ;   in Loop: Header=BB15_1094 Depth=2
	s_or_b32 exec_lo, exec_lo, s57
	v_add_nc_u32_e32 v84, 16, v2
	s_delay_alu instid0(VALU_DEP_1) | instskip(SKIP_1) | instid1(SALU_CYCLE_1)
	v_cmp_gt_i32_e32 vcc_lo, s83, v84
	s_and_b32 s42, vcc_lo, s0
	s_and_saveexec_b32 s57, s42
	s_cbranch_execz .LBB15_1109
; %bb.1106:                             ;   in Loop: Header=BB15_1094 Depth=2
	v_cmp_ne_u32_e32 vcc_lo, 1, v83
	v_mov_b32_e32 v84, v79
	s_cbranch_vccnz .LBB15_1108
; %bb.1107:                             ;   in Loop: Header=BB15_1094 Depth=2
	global_load_b32 v84, v[32:33], off offset:64
.LBB15_1108:                            ;   in Loop: Header=BB15_1094 Depth=2
	ds_load_b32 v85, v67 offset:64
	s_wait_loadcnt_dscnt 0x0
	v_fmac_f32_e32 v29, v84, v85
.LBB15_1109:                            ;   in Loop: Header=BB15_1094 Depth=2
	s_or_b32 exec_lo, exec_lo, s57
	v_add_nc_u32_e32 v84, 32, v2
	s_delay_alu instid0(VALU_DEP_1) | instskip(SKIP_1) | instid1(SALU_CYCLE_1)
	v_cmp_gt_i32_e32 vcc_lo, s83, v84
	s_and_b32 s42, vcc_lo, s0
	s_and_saveexec_b32 s57, s42
	s_cbranch_execz .LBB15_1113
; %bb.1110:                             ;   in Loop: Header=BB15_1094 Depth=2
	v_cmp_ne_u32_e32 vcc_lo, 1, v83
	v_mov_b32_e32 v84, v80
	s_cbranch_vccnz .LBB15_1112
; %bb.1111:                             ;   in Loop: Header=BB15_1094 Depth=2
	global_load_b32 v84, v[32:33], off offset:128
.LBB15_1112:                            ;   in Loop: Header=BB15_1094 Depth=2
	ds_load_b32 v85, v67 offset:128
	s_wait_loadcnt_dscnt 0x0
	v_fmac_f32_e32 v29, v84, v85
.LBB15_1113:                            ;   in Loop: Header=BB15_1094 Depth=2
	s_or_b32 exec_lo, exec_lo, s57
	v_add_nc_u32_e32 v2, 48, v2
	s_delay_alu instid0(VALU_DEP_1) | instskip(SKIP_1) | instid1(SALU_CYCLE_1)
	v_cmp_gt_i32_e32 vcc_lo, s83, v2
	s_and_b32 s42, vcc_lo, s0
	s_and_saveexec_b32 s57, s42
	s_cbranch_execz .LBB15_1093
; %bb.1114:                             ;   in Loop: Header=BB15_1094 Depth=2
	v_cmp_ne_u32_e32 vcc_lo, 1, v83
	v_mov_b32_e32 v2, v81
	s_cbranch_vccnz .LBB15_1092
; %bb.1115:                             ;   in Loop: Header=BB15_1094 Depth=2
	global_load_b32 v2, v[32:33], off offset:192
	s_branch .LBB15_1092
.LBB15_1116:                            ;   in Loop: Header=BB15_3 Depth=1
	ds_store_b32 v69, v29
	s_wait_dscnt 0x0
	s_barrier_signal -1
	s_barrier_wait -1
	s_and_saveexec_b32 s60, s3
	s_cbranch_execz .LBB15_1118
; %bb.1117:                             ;   in Loop: Header=BB15_3 Depth=1
	ds_load_2addr_stride64_b32 v[30:31], v70 offset0:1 offset1:2
	ds_load_2addr_stride64_b32 v[32:33], v70 offset0:3 offset1:4
	;; [unrolled: 1-line block ×4, first 2 shown]
	v_readlane_b32 s42, v87, 4
	s_wait_dscnt 0x3
	v_add_f32_e32 v2, v29, v30
	s_delay_alu instid0(VALU_DEP_1) | instskip(SKIP_3) | instid1(VALU_DEP_1)
	v_add_f32_e32 v2, v2, v31
	ds_load_2addr_stride64_b32 v[30:31], v70 offset0:9 offset1:10
	s_wait_dscnt 0x3
	v_add_f32_e32 v2, v2, v32
	v_add_f32_e32 v2, v2, v33
	ds_load_2addr_stride64_b32 v[32:33], v70 offset0:11 offset1:12
	s_wait_dscnt 0x3
	v_add_f32_e32 v2, v2, v82
	s_delay_alu instid0(VALU_DEP_1) | instskip(SKIP_4) | instid1(VALU_DEP_1)
	v_add_f32_e32 v2, v2, v83
	ds_load_2addr_stride64_b32 v[82:83], v70 offset0:13 offset1:14
	ds_load_b32 v29, v70 offset:3840
	s_wait_dscnt 0x4
	v_add_f32_e32 v2, v2, v84
	v_add_f32_e32 v2, v2, v85
	s_wait_dscnt 0x3
	s_delay_alu instid0(VALU_DEP_1) | instskip(NEXT) | instid1(VALU_DEP_1)
	v_add_f32_e32 v2, v2, v30
	v_add_f32_e32 v2, v2, v31
	s_wait_dscnt 0x2
	s_delay_alu instid0(VALU_DEP_1) | instskip(NEXT) | instid1(VALU_DEP_1)
	;; [unrolled: 4-line block ×4, first 2 shown]
	v_add_f32_e32 v2, v2, v29
	v_cndmask_b32_e64 v29, -v2, 0, s42
.LBB15_1118:                            ;   in Loop: Header=BB15_3 Depth=1
	s_or_b32 exec_lo, exec_lo, s60
	s_delay_alu instid0(SALU_CYCLE_1)
	s_and_not1_b32 vcc_lo, exec_lo, s87
	s_cbranch_vccnz .LBB15_1128
; %bb.1119:                             ;   in Loop: Header=BB15_3 Depth=1
	s_and_saveexec_b32 s42, s3
; %bb.1120:                             ;   in Loop: Header=BB15_3 Depth=1
	ds_store_b32 v72, v29
; %bb.1121:                             ;   in Loop: Header=BB15_3 Depth=1
	s_or_b32 exec_lo, exec_lo, s42
	v_mov_b32_e32 v2, 0
	s_wait_dscnt 0x0
	s_barrier_signal -1
	s_barrier_wait -1
	s_and_saveexec_b32 s42, s1
	s_cbranch_execnz .LBB15_1167
; %bb.1122:                             ;   in Loop: Header=BB15_3 Depth=1
	s_or_b32 exec_lo, exec_lo, s42
	s_and_saveexec_b32 s42, s8
	s_cbranch_execnz .LBB15_1168
.LBB15_1123:                            ;   in Loop: Header=BB15_3 Depth=1
	s_or_b32 exec_lo, exec_lo, s42
	s_and_saveexec_b32 s42, s9
	s_cbranch_execnz .LBB15_1169
.LBB15_1124:                            ;   in Loop: Header=BB15_3 Depth=1
	s_or_b32 exec_lo, exec_lo, s42
	s_and_saveexec_b32 s42, s10
	s_cbranch_execz .LBB15_1126
.LBB15_1125:                            ;   in Loop: Header=BB15_3 Depth=1
	ds_load_b32 v30, v71 offset:12288
	ds_load_b32 v31, v67 offset:192
	s_wait_dscnt 0x0
	v_fmac_f32_e32 v2, v30, v31
.LBB15_1126:                            ;   in Loop: Header=BB15_3 Depth=1
	s_or_b32 exec_lo, exec_lo, s42
	s_mov_b32 s60, 0
	s_mov_b32 s61, 0
	ds_store_b32 v69, v2
	s_wait_dscnt 0x0
	s_barrier_signal -1
	s_barrier_wait -1
                                        ; implicit-def: $vgpr30
	s_and_saveexec_b32 s80, s3
	s_cbranch_execz .LBB15_1170
; %bb.1127:                             ;   in Loop: Header=BB15_3 Depth=1
	ds_load_2addr_stride64_b32 v[30:31], v70 offset0:1 offset1:2
	ds_load_2addr_stride64_b32 v[32:33], v70 offset0:3 offset1:4
	;; [unrolled: 1-line block ×4, first 2 shown]
	s_mov_b32 s61, exec_lo
	s_wait_dscnt 0x3
	v_add_f32_e32 v2, v2, v30
	s_delay_alu instid0(VALU_DEP_1) | instskip(SKIP_3) | instid1(VALU_DEP_1)
	v_add_f32_e32 v2, v31, v2
	ds_load_2addr_stride64_b32 v[30:31], v70 offset0:9 offset1:10
	s_wait_dscnt 0x3
	v_add_f32_e32 v2, v32, v2
	v_add_f32_e32 v2, v33, v2
	ds_load_2addr_stride64_b32 v[32:33], v70 offset0:11 offset1:12
	s_wait_dscnt 0x3
	v_add_f32_e32 v2, v82, v2
	s_delay_alu instid0(VALU_DEP_1) | instskip(SKIP_1) | instid1(VALU_DEP_1)
	v_add_f32_e32 v2, v83, v2
	s_wait_dscnt 0x2
	v_add_f32_e32 v2, v84, v2
	ds_load_2addr_stride64_b32 v[82:83], v70 offset0:13 offset1:14
	ds_load_b32 v84, v70 offset:3840
	v_add_f32_e32 v2, v85, v2
	s_wait_dscnt 0x3
	s_delay_alu instid0(VALU_DEP_1) | instskip(NEXT) | instid1(VALU_DEP_1)
	v_add_f32_e32 v2, v30, v2
	v_add_f32_e32 v2, v31, v2
	s_wait_dscnt 0x2
	s_delay_alu instid0(VALU_DEP_1) | instskip(NEXT) | instid1(VALU_DEP_1)
	v_add_f32_e32 v2, v32, v2
	;; [unrolled: 4-line block ×3, first 2 shown]
	v_add_f32_e32 v2, v83, v2
	s_wait_dscnt 0x0
	s_delay_alu instid0(VALU_DEP_1) | instskip(SKIP_1) | instid1(SALU_CYCLE_1)
	v_add_f32_e32 v30, v84, v2
	s_or_b32 exec_lo, exec_lo, s80
	s_and_b32 vcc_lo, exec_lo, s60
	s_cbranch_vccnz .LBB15_1129
	s_branch .LBB15_1171
.LBB15_1128:                            ;   in Loop: Header=BB15_3 Depth=1
	s_mov_b32 s61, 0
                                        ; implicit-def: $vgpr30
	s_cbranch_execz .LBB15_1171
.LBB15_1129:                            ;   in Loop: Header=BB15_3 Depth=1
	v_dual_mov_b32 v2, v6 :: v_dual_mov_b32 v30, v77
	s_mov_b32 s60, 0
	s_branch .LBB15_1131
.LBB15_1130:                            ;   in Loop: Header=BB15_1131 Depth=2
	s_or_b32 exec_lo, exec_lo, s42
	v_add_nc_u32_e32 v30, 0x400, v30
	v_add_nc_u32_e32 v2, -4, v2
	s_add_co_i32 s60, s60, 4
	s_delay_alu instid0(SALU_CYCLE_1)
	s_cmp_lg_u32 s60, 64
	s_barrier_signal -1
	s_barrier_wait -1
	s_cbranch_scc0 .LBB15_1147
.LBB15_1131:                            ;   Parent Loop BB15_3 Depth=1
                                        ; =>  This Inner Loop Header: Depth=2
	s_delay_alu instid0(VALU_DEP_1) | instskip(SKIP_1) | instid1(SALU_CYCLE_1)
	v_cmp_eq_u32_e32 vcc_lo, 0, v2
	s_and_b32 s57, s3, vcc_lo
	s_and_saveexec_b32 s42, s57
; %bb.1132:                             ;   in Loop: Header=BB15_1131 Depth=2
	ds_store_b32 v3, v29 offset:20736
; %bb.1133:                             ;   in Loop: Header=BB15_1131 Depth=2
	s_or_b32 exec_lo, exec_lo, s42
	v_cmp_lt_u32_e32 vcc_lo, s60, v6
	s_wait_dscnt 0x0
	s_barrier_signal -1
	s_barrier_wait -1
	s_and_b32 s57, s3, vcc_lo
	s_delay_alu instid0(SALU_CYCLE_1)
	s_and_saveexec_b32 s42, s57
	s_cbranch_execz .LBB15_1135
; %bb.1134:                             ;   in Loop: Header=BB15_1131 Depth=2
	ds_load_b32 v31, v30
	ds_load_b32 v32, v3 offset:20736
	s_wait_dscnt 0x0
	v_fmac_f32_e32 v29, v31, v32
.LBB15_1135:                            ;   in Loop: Header=BB15_1131 Depth=2
	s_or_b32 exec_lo, exec_lo, s42
	s_or_b32 s57, s60, 1
	s_delay_alu instid0(SALU_CYCLE_1) | instskip(SKIP_3) | instid1(SALU_CYCLE_1)
	v_cmp_eq_u32_e32 vcc_lo, s57, v6
	s_barrier_signal -1
	s_barrier_wait -1
	s_and_b32 s80, s3, vcc_lo
	s_and_saveexec_b32 s42, s80
; %bb.1136:                             ;   in Loop: Header=BB15_1131 Depth=2
	ds_store_b32 v3, v29 offset:20736
; %bb.1137:                             ;   in Loop: Header=BB15_1131 Depth=2
	s_or_b32 exec_lo, exec_lo, s42
	v_cmp_lt_u32_e32 vcc_lo, s57, v6
	s_wait_dscnt 0x0
	s_barrier_signal -1
	s_barrier_wait -1
	s_and_b32 s57, s3, vcc_lo
	s_delay_alu instid0(SALU_CYCLE_1)
	s_and_saveexec_b32 s42, s57
	s_cbranch_execz .LBB15_1139
; %bb.1138:                             ;   in Loop: Header=BB15_1131 Depth=2
	ds_load_b32 v31, v30 offset:256
	ds_load_b32 v32, v3 offset:20736
	s_wait_dscnt 0x0
	v_fmac_f32_e32 v29, v31, v32
.LBB15_1139:                            ;   in Loop: Header=BB15_1131 Depth=2
	s_or_b32 exec_lo, exec_lo, s42
	s_or_b32 s57, s60, 2
	s_delay_alu instid0(SALU_CYCLE_1) | instskip(SKIP_3) | instid1(SALU_CYCLE_1)
	v_cmp_eq_u32_e32 vcc_lo, s57, v6
	s_barrier_signal -1
	s_barrier_wait -1
	s_and_b32 s80, s3, vcc_lo
	s_and_saveexec_b32 s42, s80
; %bb.1140:                             ;   in Loop: Header=BB15_1131 Depth=2
	ds_store_b32 v3, v29 offset:20736
; %bb.1141:                             ;   in Loop: Header=BB15_1131 Depth=2
	s_or_b32 exec_lo, exec_lo, s42
	v_cmp_lt_u32_e32 vcc_lo, s57, v6
	s_wait_dscnt 0x0
	s_barrier_signal -1
	s_barrier_wait -1
	s_and_b32 s57, s3, vcc_lo
	s_delay_alu instid0(SALU_CYCLE_1)
	s_and_saveexec_b32 s42, s57
	s_cbranch_execz .LBB15_1143
; %bb.1142:                             ;   in Loop: Header=BB15_1131 Depth=2
	ds_load_b32 v31, v30 offset:512
	ds_load_b32 v32, v3 offset:20736
	s_wait_dscnt 0x0
	v_fmac_f32_e32 v29, v31, v32
.LBB15_1143:                            ;   in Loop: Header=BB15_1131 Depth=2
	s_or_b32 exec_lo, exec_lo, s42
	s_or_b32 s57, s60, 3
	s_delay_alu instid0(SALU_CYCLE_1) | instskip(SKIP_3) | instid1(SALU_CYCLE_1)
	v_cmp_eq_u32_e32 vcc_lo, s57, v6
	s_barrier_signal -1
	s_barrier_wait -1
	s_and_b32 s80, s3, vcc_lo
	s_and_saveexec_b32 s42, s80
; %bb.1144:                             ;   in Loop: Header=BB15_1131 Depth=2
	ds_store_b32 v3, v29 offset:20736
; %bb.1145:                             ;   in Loop: Header=BB15_1131 Depth=2
	s_or_b32 exec_lo, exec_lo, s42
	v_cmp_lt_u32_e32 vcc_lo, s57, v6
	s_wait_dscnt 0x0
	s_barrier_signal -1
	s_barrier_wait -1
	s_and_b32 s57, s3, vcc_lo
	s_delay_alu instid0(SALU_CYCLE_1)
	s_and_saveexec_b32 s42, s57
	s_cbranch_execz .LBB15_1130
; %bb.1146:                             ;   in Loop: Header=BB15_1131 Depth=2
	ds_load_b32 v31, v30 offset:768
	ds_load_b32 v32, v3 offset:20736
	s_wait_dscnt 0x0
	v_fmac_f32_e32 v29, v31, v32
	s_branch .LBB15_1130
.LBB15_1147:                            ;   in Loop: Header=BB15_3 Depth=1
	s_and_b32 vcc_lo, exec_lo, s86
	s_mov_b32 s57, -1
	s_cbranch_vccz .LBB15_1149
; %bb.1148:                             ;   in Loop: Header=BB15_3 Depth=1
	s_and_not1_b32 s42, s61, exec_lo
	s_and_b32 s60, s3, exec_lo
	s_mov_b32 s57, 0
	s_or_b32 s61, s42, s60
.LBB15_1149:                            ;   in Loop: Header=BB15_3 Depth=1
	s_and_not1_b32 vcc_lo, exec_lo, s57
	s_cbranch_vccnz .LBB15_1151
; %bb.1150:                             ;   in Loop: Header=BB15_3 Depth=1
	v_readlane_b32 s57, v87, 6
	s_and_not1_b32 s42, s61, exec_lo
	s_and_b32 s57, s57, exec_lo
	s_delay_alu instid0(SALU_CYCLE_1)
	s_or_b32 s61, s42, s57
.LBB15_1151:                            ;   in Loop: Header=BB15_3 Depth=1
	v_mov_b64_e32 v[30:31], v[16:17]
	s_and_saveexec_b32 s42, s61
	s_cbranch_execnz .LBB15_1172
	s_branch .LBB15_1173
.LBB15_1152:                            ;   in Loop: Header=BB15_3 Depth=1
	s_mov_b32 s42, exec_lo
	v_readlane_b32 s60, v86, 17
	s_and_b32 s60, s42, s60
	s_delay_alu instid0(SALU_CYCLE_1)
	s_mov_b32 exec_lo, s60
; %bb.1153:                             ;   in Loop: Header=BB15_3 Depth=1
	ds_store_b32 v73, v3
; %bb.1154:                             ;   in Loop: Header=BB15_3 Depth=1
	s_or_b32 exec_lo, exec_lo, s42
	s_and_not1_saveexec_b32 s42, s57
	s_cbranch_execz .LBB15_16
.LBB15_1155:                            ;   in Loop: Header=BB15_3 Depth=1
	v_lshl_add_u64 v[82:83], v[18:19], 2, v[32:33]
	global_load_b32 v2, v[82:83], off
	s_wait_loadcnt 0x0
	v_xor_b32_e32 v2, 0x80000000, v2
	ds_store_b32 v73, v2
	s_or_b32 exec_lo, exec_lo, s42
	s_and_saveexec_b32 s42, s8
	s_delay_alu instid0(SALU_CYCLE_1)
	s_xor_b32 s57, exec_lo, s42
	s_cbranch_execz .LBB15_17
.LBB15_1156:                            ;   in Loop: Header=BB15_3 Depth=1
	s_mov_b32 s42, exec_lo
	v_readlane_b32 s60, v86, 18
	s_and_b32 s60, s42, s60
	s_delay_alu instid0(SALU_CYCLE_1)
	s_mov_b32 exec_lo, s60
; %bb.1157:                             ;   in Loop: Header=BB15_3 Depth=1
	ds_store_b32 v5, v3
; %bb.1158:                             ;   in Loop: Header=BB15_3 Depth=1
	s_or_b32 exec_lo, exec_lo, s42
	s_and_not1_saveexec_b32 s42, s57
	s_cbranch_execz .LBB15_18
.LBB15_1159:                            ;   in Loop: Header=BB15_3 Depth=1
	v_lshl_add_u64 v[82:83], v[20:21], 2, v[32:33]
	global_load_b32 v2, v[82:83], off
	s_wait_loadcnt 0x0
	v_xor_b32_e32 v2, 0x80000000, v2
	ds_store_b32 v5, v2
	s_or_b32 exec_lo, exec_lo, s42
	s_and_saveexec_b32 s42, s9
	s_delay_alu instid0(SALU_CYCLE_1)
	s_xor_b32 s57, exec_lo, s42
	s_cbranch_execz .LBB15_19
.LBB15_1160:                            ;   in Loop: Header=BB15_3 Depth=1
	s_mov_b32 s42, exec_lo
	v_readlane_b32 s60, v86, 19
	s_and_b32 s60, s42, s60
	s_delay_alu instid0(SALU_CYCLE_1)
	s_mov_b32 exec_lo, s60
; %bb.1161:                             ;   in Loop: Header=BB15_3 Depth=1
	ds_store_b32 v74, v3
; %bb.1162:                             ;   in Loop: Header=BB15_3 Depth=1
	s_or_b32 exec_lo, exec_lo, s42
	s_and_not1_saveexec_b32 s42, s57
	s_cbranch_execz .LBB15_20
.LBB15_1163:                            ;   in Loop: Header=BB15_3 Depth=1
	v_lshl_add_u64 v[82:83], v[22:23], 2, v[32:33]
	global_load_b32 v2, v[82:83], off
	s_wait_loadcnt 0x0
	v_xor_b32_e32 v2, 0x80000000, v2
	ds_store_b32 v74, v2
	s_or_b32 exec_lo, exec_lo, s42
	s_and_saveexec_b32 s42, s10
	s_delay_alu instid0(SALU_CYCLE_1)
	s_xor_b32 s57, exec_lo, s42
	s_cbranch_execz .LBB15_21
.LBB15_1164:                            ;   in Loop: Header=BB15_3 Depth=1
	s_mov_b32 s42, exec_lo
	v_readlane_b32 s60, v86, 20
	s_and_b32 s60, s42, s60
	s_delay_alu instid0(SALU_CYCLE_1)
	s_mov_b32 exec_lo, s60
; %bb.1165:                             ;   in Loop: Header=BB15_3 Depth=1
	ds_store_b32 v75, v3
; %bb.1166:                             ;   in Loop: Header=BB15_3 Depth=1
	s_or_b32 exec_lo, exec_lo, s42
	s_and_not1_saveexec_b32 s42, s57
	s_cbranch_execnz .LBB15_22
	s_branch .LBB15_23
.LBB15_1167:                            ;   in Loop: Header=BB15_3 Depth=1
	ds_load_b32 v2, v71
	ds_load_b32 v30, v67
	s_wait_dscnt 0x0
	v_fma_f32 v2, v2, v30, 0
	s_or_b32 exec_lo, exec_lo, s42
	s_and_saveexec_b32 s42, s8
	s_cbranch_execz .LBB15_1123
.LBB15_1168:                            ;   in Loop: Header=BB15_3 Depth=1
	ds_load_b32 v30, v71 offset:4096
	ds_load_b32 v31, v67 offset:64
	s_wait_dscnt 0x0
	v_fmac_f32_e32 v2, v30, v31
	s_or_b32 exec_lo, exec_lo, s42
	s_and_saveexec_b32 s42, s9
	s_cbranch_execz .LBB15_1124
.LBB15_1169:                            ;   in Loop: Header=BB15_3 Depth=1
	ds_load_b32 v30, v71 offset:8192
	ds_load_b32 v31, v67 offset:128
	s_wait_dscnt 0x0
	v_fmac_f32_e32 v2, v30, v31
	s_or_b32 exec_lo, exec_lo, s42
	s_and_saveexec_b32 s42, s10
	s_cbranch_execnz .LBB15_1125
	s_branch .LBB15_1126
.LBB15_1170:                            ;   in Loop: Header=BB15_3 Depth=1
	s_or_b32 exec_lo, exec_lo, s80
	s_delay_alu instid0(SALU_CYCLE_1)
	s_and_b32 vcc_lo, exec_lo, s60
	s_cbranch_vccnz .LBB15_1129
.LBB15_1171:                            ;   in Loop: Header=BB15_3 Depth=1
	v_mov_b32_e32 v29, v30
	v_mov_b64_e32 v[30:31], v[14:15]
	s_and_saveexec_b32 s42, s61
	s_cbranch_execz .LBB15_1173
.LBB15_1172:                            ;   in Loop: Header=BB15_3 Depth=1
	s_delay_alu instid0(VALU_DEP_1)
	v_lshl_add_u64 v[30:31], v[30:31], 2, s[78:79]
	global_store_b32 v[30:31], v29, off
.LBB15_1173:                            ;   in Loop: Header=BB15_3 Depth=1
	s_wait_xcnt 0x0
	s_or_b32 exec_lo, exec_lo, s42
	global_wb scope:SCOPE_DEV
	s_wait_storecnt 0x0
	global_inv scope:SCOPE_DEV
	s_wait_loadcnt 0x0
	s_barrier_signal -1
	s_barrier_wait -1
	s_and_saveexec_b32 s42, s55
	s_cbranch_execz .LBB15_2
; %bb.1174:                             ;   in Loop: Header=BB15_3 Depth=1
	s_lshl_b64 s[60:61], s[72:73], 2
	s_delay_alu instid0(SALU_CYCLE_1)
	s_add_nc_u64 s[60:61], s[66:67], s[60:61]
	global_load_b32 v2, v3, s[60:61]
	s_wait_loadcnt 0x0
	v_add_nc_u32_e32 v2, 1, v2
	global_store_b32 v3, v2, s[60:61]
	s_branch .LBB15_2
.LBB15_1175:                            ;   in Loop: Header=BB15_3 Depth=1
	ds_load_b32 v29, v48 offset:15840
	ds_load_b32 v32, v50 offset:16372
	s_wait_dscnt 0x0
	v_fmac_f32_e32 v2, v29, v32
	s_or_b32 exec_lo, exec_lo, s42
	s_and_saveexec_b32 s42, s14
	s_cbranch_execz .LBB15_72
.LBB15_1176:                            ;   in Loop: Header=BB15_3 Depth=1
	ds_load_b32 v29, v48 offset:16096
	ds_load_b32 v32, v50 offset:16376
	s_wait_dscnt 0x0
	v_fmac_f32_e32 v2, v29, v32
	s_or_b32 exec_lo, exec_lo, s42
	s_and_saveexec_b32 s42, s2
	s_cbranch_execnz .LBB15_73
	s_branch .LBB15_74
.LBB15_1177:                            ;   in Loop: Header=BB15_3 Depth=1
	ds_load_b32 v29, v53 offset:14784
	ds_load_b32 v32, v56 offset:16356
	s_wait_dscnt 0x0
	v_fmac_f32_e32 v2, v29, v32
	s_or_b32 exec_lo, exec_lo, s42
	s_and_saveexec_b32 s42, s16
	s_cbranch_execz .LBB15_114
.LBB15_1178:                            ;   in Loop: Header=BB15_3 Depth=1
	ds_load_b32 v29, v53 offset:15040
	ds_load_b32 v32, v56 offset:16360
	s_wait_dscnt 0x0
	v_fmac_f32_e32 v2, v29, v32
	s_or_b32 exec_lo, exec_lo, s42
	s_and_saveexec_b32 s42, s17
	s_cbranch_execz .LBB15_115
.LBB15_1179:                            ;   in Loop: Header=BB15_3 Depth=1
	ds_load_b32 v29, v53 offset:15296
	ds_load_b32 v32, v56 offset:16364
	s_wait_dscnt 0x0
	v_fmac_f32_e32 v2, v29, v32
	s_or_b32 exec_lo, exec_lo, s42
	s_and_saveexec_b32 s42, s18
	s_cbranch_execz .LBB15_116
.LBB15_1180:                            ;   in Loop: Header=BB15_3 Depth=1
	ds_load_b32 v29, v53 offset:15552
	ds_load_b32 v32, v56 offset:16368
	s_wait_dscnt 0x0
	v_fmac_f32_e32 v2, v29, v32
	s_or_b32 exec_lo, exec_lo, s42
	s_and_saveexec_b32 s42, s19
	s_cbranch_execz .LBB15_117
.LBB15_1181:                            ;   in Loop: Header=BB15_3 Depth=1
	ds_load_b32 v29, v53 offset:15808
	ds_load_b32 v32, v56 offset:16372
	s_wait_dscnt 0x0
	v_fmac_f32_e32 v2, v29, v32
	s_or_b32 exec_lo, exec_lo, s42
	s_and_saveexec_b32 s42, s4
	s_cbranch_execz .LBB15_118
.LBB15_1182:                            ;   in Loop: Header=BB15_3 Depth=1
	ds_load_b32 v29, v53 offset:16064
	ds_load_b32 v32, v56 offset:16376
	s_wait_dscnt 0x0
	v_fmac_f32_e32 v2, v29, v32
	s_or_b32 exec_lo, exec_lo, s42
	s_and_saveexec_b32 s42, s14
	s_cbranch_execnz .LBB15_119
	s_branch .LBB15_120
.LBB15_1183:                            ;   in Loop: Header=BB15_3 Depth=1
	ds_load_b32 v29, v48 offset:13760
	ds_load_b32 v32, v50 offset:14292
	s_wait_dscnt 0x0
	v_fmac_f32_e32 v2, v29, v32
	s_or_b32 exec_lo, exec_lo, s42
	s_and_saveexec_b32 s42, s14
	s_cbranch_execz .LBB15_176
.LBB15_1184:                            ;   in Loop: Header=BB15_3 Depth=1
	ds_load_b32 v29, v48 offset:14016
	ds_load_b32 v32, v50 offset:14296
	s_wait_dscnt 0x0
	v_fmac_f32_e32 v2, v29, v32
	s_or_b32 exec_lo, exec_lo, s42
	s_and_saveexec_b32 s42, s2
	s_cbranch_execnz .LBB15_177
	s_branch .LBB15_178
.LBB15_1185:                            ;   in Loop: Header=BB15_3 Depth=1
	ds_load_b32 v29, v59 offset:15232
	ds_load_b32 v32, v61 offset:16364
	s_wait_dscnt 0x0
	v_fmac_f32_e32 v2, v29, v32
	s_or_b32 exec_lo, exec_lo, s42
	s_and_saveexec_b32 s42, s5
	s_cbranch_execz .LBB15_238
.LBB15_1186:                            ;   in Loop: Header=BB15_3 Depth=1
	ds_load_b32 v29, v59 offset:15488
	ds_load_b32 v32, v61 offset:16368
	s_wait_dscnt 0x0
	v_fmac_f32_e32 v2, v29, v32
	s_or_b32 exec_lo, exec_lo, s42
	s_and_saveexec_b32 s42, s16
	s_cbranch_execz .LBB15_239
.LBB15_1187:                            ;   in Loop: Header=BB15_3 Depth=1
	ds_load_b32 v29, v59 offset:15744
	ds_load_b32 v32, v61 offset:16372
	s_wait_dscnt 0x0
	v_fmac_f32_e32 v2, v29, v32
	s_or_b32 exec_lo, exec_lo, s42
	s_and_saveexec_b32 s42, s18
	s_cbranch_execz .LBB15_240
.LBB15_1188:                            ;   in Loop: Header=BB15_3 Depth=1
	ds_load_b32 v29, v59 offset:16000
	ds_load_b32 v32, v61 offset:16376
	s_wait_dscnt 0x0
	v_fmac_f32_e32 v2, v29, v32
	s_or_b32 exec_lo, exec_lo, s42
	s_and_saveexec_b32 s42, s4
	s_cbranch_execnz .LBB15_241
	s_branch .LBB15_242
.LBB15_1189:                            ;   in Loop: Header=BB15_3 Depth=1
	ds_load_b32 v29, v48 offset:11680
	ds_load_b32 v32, v50 offset:12212
	s_wait_dscnt 0x0
	v_fmac_f32_e32 v2, v29, v32
	s_or_b32 exec_lo, exec_lo, s42
	s_and_saveexec_b32 s42, s14
	s_cbranch_execz .LBB15_330
.LBB15_1190:                            ;   in Loop: Header=BB15_3 Depth=1
	ds_load_b32 v29, v48 offset:11936
	ds_load_b32 v32, v50 offset:12216
	s_wait_dscnt 0x0
	v_fmac_f32_e32 v2, v29, v32
	s_or_b32 exec_lo, exec_lo, s42
	s_and_saveexec_b32 s42, s2
	s_cbranch_execnz .LBB15_331
	s_branch .LBB15_332
.LBB15_1191:                            ;   in Loop: Header=BB15_3 Depth=1
	ds_load_b32 v29, v53 offset:10624
	ds_load_b32 v32, v56 offset:12196
	s_wait_dscnt 0x0
	v_fmac_f32_e32 v2, v29, v32
	s_or_b32 exec_lo, exec_lo, s42
	s_and_saveexec_b32 s42, s16
	s_cbranch_execz .LBB15_372
.LBB15_1192:                            ;   in Loop: Header=BB15_3 Depth=1
	ds_load_b32 v29, v53 offset:10880
	ds_load_b32 v32, v56 offset:12200
	s_wait_dscnt 0x0
	v_fmac_f32_e32 v2, v29, v32
	s_or_b32 exec_lo, exec_lo, s42
	s_and_saveexec_b32 s42, s17
	s_cbranch_execz .LBB15_373
.LBB15_1193:                            ;   in Loop: Header=BB15_3 Depth=1
	ds_load_b32 v29, v53 offset:11136
	ds_load_b32 v32, v56 offset:12204
	s_wait_dscnt 0x0
	v_fmac_f32_e32 v2, v29, v32
	s_or_b32 exec_lo, exec_lo, s42
	s_and_saveexec_b32 s42, s18
	s_cbranch_execz .LBB15_374
.LBB15_1194:                            ;   in Loop: Header=BB15_3 Depth=1
	ds_load_b32 v29, v53 offset:11392
	ds_load_b32 v32, v56 offset:12208
	s_wait_dscnt 0x0
	v_fmac_f32_e32 v2, v29, v32
	s_or_b32 exec_lo, exec_lo, s42
	s_and_saveexec_b32 s42, s19
	s_cbranch_execz .LBB15_375
.LBB15_1195:                            ;   in Loop: Header=BB15_3 Depth=1
	ds_load_b32 v29, v53 offset:11648
	ds_load_b32 v32, v56 offset:12212
	s_wait_dscnt 0x0
	v_fmac_f32_e32 v2, v29, v32
	s_or_b32 exec_lo, exec_lo, s42
	s_and_saveexec_b32 s42, s4
	s_cbranch_execz .LBB15_376
.LBB15_1196:                            ;   in Loop: Header=BB15_3 Depth=1
	ds_load_b32 v29, v53 offset:11904
	ds_load_b32 v32, v56 offset:12216
	s_wait_dscnt 0x0
	v_fmac_f32_e32 v2, v29, v32
	s_or_b32 exec_lo, exec_lo, s42
	s_and_saveexec_b32 s42, s14
	s_cbranch_execnz .LBB15_377
	s_branch .LBB15_378
.LBB15_1197:                            ;   in Loop: Header=BB15_3 Depth=1
	ds_load_b32 v29, v48 offset:9600
	ds_load_b32 v32, v50 offset:10132
	s_wait_dscnt 0x0
	v_fmac_f32_e32 v2, v29, v32
	s_or_b32 exec_lo, exec_lo, s42
	s_and_saveexec_b32 s42, s14
	s_cbranch_execz .LBB15_434
.LBB15_1198:                            ;   in Loop: Header=BB15_3 Depth=1
	ds_load_b32 v29, v48 offset:9856
	ds_load_b32 v32, v50 offset:10136
	s_wait_dscnt 0x0
	v_fmac_f32_e32 v2, v29, v32
	s_or_b32 exec_lo, exec_lo, s42
	s_and_saveexec_b32 s42, s2
	s_cbranch_execnz .LBB15_435
	s_branch .LBB15_436
.LBB15_1199:                            ;   in Loop: Header=BB15_3 Depth=1
	ds_load_b32 v29, v62 offset:15616
	ds_load_b32 v32, v65 offset:16372
	s_wait_dscnt 0x0
	v_fmac_f32_e32 v2, v29, v32
	s_or_b32 exec_lo, exec_lo, s42
	s_and_saveexec_b32 s42, s5
	s_cbranch_execz .LBB15_532
.LBB15_1200:                            ;   in Loop: Header=BB15_3 Depth=1
	ds_load_b32 v29, v62 offset:15872
	ds_load_b32 v32, v65 offset:16376
	s_wait_dscnt 0x0
	v_fmac_f32_e32 v2, v29, v32
	s_or_b32 exec_lo, exec_lo, s42
	s_and_saveexec_b32 s42, s18
	s_cbranch_execnz .LBB15_533
	s_branch .LBB15_534
.LBB15_1201:                            ;   in Loop: Header=BB15_3 Depth=1
	ds_load_b32 v29, v48 offset:7520
	ds_load_b32 v32, v50 offset:8052
	s_wait_dscnt 0x0
	v_fmac_f32_e32 v2, v29, v32
	s_or_b32 exec_lo, exec_lo, s42
	s_and_saveexec_b32 s42, s14
	s_cbranch_execz .LBB15_686
.LBB15_1202:                            ;   in Loop: Header=BB15_3 Depth=1
	ds_load_b32 v29, v48 offset:7776
	ds_load_b32 v32, v50 offset:8056
	s_wait_dscnt 0x0
	v_fmac_f32_e32 v2, v29, v32
	s_or_b32 exec_lo, exec_lo, s42
	s_and_saveexec_b32 s42, s2
	s_cbranch_execnz .LBB15_687
	s_branch .LBB15_688
.LBB15_1203:                            ;   in Loop: Header=BB15_3 Depth=1
	ds_load_b32 v29, v53 offset:6464
	ds_load_b32 v32, v56 offset:8036
	s_wait_dscnt 0x0
	v_fmac_f32_e32 v2, v29, v32
	s_or_b32 exec_lo, exec_lo, s42
	s_and_saveexec_b32 s42, s16
	s_cbranch_execz .LBB15_728
.LBB15_1204:                            ;   in Loop: Header=BB15_3 Depth=1
	ds_load_b32 v29, v53 offset:6720
	ds_load_b32 v32, v56 offset:8040
	s_wait_dscnt 0x0
	v_fmac_f32_e32 v2, v29, v32
	s_or_b32 exec_lo, exec_lo, s42
	s_and_saveexec_b32 s42, s17
	s_cbranch_execz .LBB15_729
.LBB15_1205:                            ;   in Loop: Header=BB15_3 Depth=1
	ds_load_b32 v29, v53 offset:6976
	ds_load_b32 v32, v56 offset:8044
	s_wait_dscnt 0x0
	v_fmac_f32_e32 v2, v29, v32
	s_or_b32 exec_lo, exec_lo, s42
	s_and_saveexec_b32 s42, s18
	s_cbranch_execz .LBB15_730
.LBB15_1206:                            ;   in Loop: Header=BB15_3 Depth=1
	ds_load_b32 v29, v53 offset:7232
	ds_load_b32 v32, v56 offset:8048
	s_wait_dscnt 0x0
	v_fmac_f32_e32 v2, v29, v32
	s_or_b32 exec_lo, exec_lo, s42
	s_and_saveexec_b32 s42, s19
	s_cbranch_execz .LBB15_731
.LBB15_1207:                            ;   in Loop: Header=BB15_3 Depth=1
	ds_load_b32 v29, v53 offset:7488
	ds_load_b32 v32, v56 offset:8052
	s_wait_dscnt 0x0
	v_fmac_f32_e32 v2, v29, v32
	s_or_b32 exec_lo, exec_lo, s42
	s_and_saveexec_b32 s42, s4
	s_cbranch_execz .LBB15_732
.LBB15_1208:                            ;   in Loop: Header=BB15_3 Depth=1
	ds_load_b32 v29, v53 offset:7744
	ds_load_b32 v32, v56 offset:8056
	s_wait_dscnt 0x0
	v_fmac_f32_e32 v2, v29, v32
	s_or_b32 exec_lo, exec_lo, s42
	s_and_saveexec_b32 s42, s14
	s_cbranch_execnz .LBB15_733
	s_branch .LBB15_734
.LBB15_1209:                            ;   in Loop: Header=BB15_3 Depth=1
	ds_load_b32 v29, v48 offset:5440
	ds_load_b32 v32, v50 offset:5972
	s_wait_dscnt 0x0
	v_fmac_f32_e32 v2, v29, v32
	s_or_b32 exec_lo, exec_lo, s42
	s_and_saveexec_b32 s42, s14
	s_cbranch_execz .LBB15_790
.LBB15_1210:                            ;   in Loop: Header=BB15_3 Depth=1
	ds_load_b32 v29, v48 offset:5696
	ds_load_b32 v32, v50 offset:5976
	s_wait_dscnt 0x0
	v_fmac_f32_e32 v2, v29, v32
	s_or_b32 exec_lo, exec_lo, s42
	s_and_saveexec_b32 s42, s2
	s_cbranch_execnz .LBB15_791
	s_branch .LBB15_792
.LBB15_1211:                            ;   in Loop: Header=BB15_3 Depth=1
	ds_load_b32 v29, v59 offset:6912
	ds_load_b32 v32, v61 offset:8044
	s_wait_dscnt 0x0
	v_fmac_f32_e32 v2, v29, v32
	s_or_b32 exec_lo, exec_lo, s42
	s_and_saveexec_b32 s42, s5
	s_cbranch_execz .LBB15_852
.LBB15_1212:                            ;   in Loop: Header=BB15_3 Depth=1
	ds_load_b32 v29, v59 offset:7168
	ds_load_b32 v32, v61 offset:8048
	s_wait_dscnt 0x0
	v_fmac_f32_e32 v2, v29, v32
	s_or_b32 exec_lo, exec_lo, s42
	s_and_saveexec_b32 s42, s16
	s_cbranch_execz .LBB15_853
.LBB15_1213:                            ;   in Loop: Header=BB15_3 Depth=1
	ds_load_b32 v29, v59 offset:7424
	ds_load_b32 v32, v61 offset:8052
	s_wait_dscnt 0x0
	v_fmac_f32_e32 v2, v29, v32
	s_or_b32 exec_lo, exec_lo, s42
	s_and_saveexec_b32 s42, s18
	s_cbranch_execz .LBB15_854
.LBB15_1214:                            ;   in Loop: Header=BB15_3 Depth=1
	ds_load_b32 v29, v59 offset:7680
	ds_load_b32 v32, v61 offset:8056
	s_wait_dscnt 0x0
	v_fmac_f32_e32 v2, v29, v32
	s_or_b32 exec_lo, exec_lo, s42
	s_and_saveexec_b32 s42, s4
	s_cbranch_execnz .LBB15_855
	s_branch .LBB15_856
.LBB15_1215:                            ;   in Loop: Header=BB15_3 Depth=1
	ds_load_b32 v29, v48 offset:3360
	ds_load_b32 v32, v50 offset:3892
	s_wait_dscnt 0x0
	v_fmac_f32_e32 v2, v29, v32
	s_or_b32 exec_lo, exec_lo, s42
	s_and_saveexec_b32 s42, s14
	s_cbranch_execz .LBB15_944
.LBB15_1216:                            ;   in Loop: Header=BB15_3 Depth=1
	ds_load_b32 v29, v48 offset:3616
	ds_load_b32 v32, v50 offset:3896
	s_wait_dscnt 0x0
	v_fmac_f32_e32 v2, v29, v32
	s_or_b32 exec_lo, exec_lo, s42
	s_and_saveexec_b32 s42, s2
	s_cbranch_execnz .LBB15_945
	s_branch .LBB15_946
.LBB15_1217:                            ;   in Loop: Header=BB15_3 Depth=1
	ds_load_b32 v29, v53 offset:2304
	ds_load_b32 v32, v56 offset:3876
	s_wait_dscnt 0x0
	v_fmac_f32_e32 v2, v29, v32
	s_or_b32 exec_lo, exec_lo, s42
	s_and_saveexec_b32 s42, s16
	s_cbranch_execz .LBB15_986
.LBB15_1218:                            ;   in Loop: Header=BB15_3 Depth=1
	ds_load_b32 v29, v53 offset:2560
	ds_load_b32 v32, v56 offset:3880
	s_wait_dscnt 0x0
	v_fmac_f32_e32 v2, v29, v32
	s_or_b32 exec_lo, exec_lo, s42
	s_and_saveexec_b32 s42, s17
	s_cbranch_execz .LBB15_987
.LBB15_1219:                            ;   in Loop: Header=BB15_3 Depth=1
	ds_load_b32 v29, v53 offset:2816
	ds_load_b32 v32, v56 offset:3884
	s_wait_dscnt 0x0
	v_fmac_f32_e32 v2, v29, v32
	s_or_b32 exec_lo, exec_lo, s42
	s_and_saveexec_b32 s42, s18
	s_cbranch_execz .LBB15_988
.LBB15_1220:                            ;   in Loop: Header=BB15_3 Depth=1
	ds_load_b32 v29, v53 offset:3072
	ds_load_b32 v32, v56 offset:3888
	s_wait_dscnt 0x0
	v_fmac_f32_e32 v2, v29, v32
	s_or_b32 exec_lo, exec_lo, s42
	s_and_saveexec_b32 s42, s19
	s_cbranch_execz .LBB15_989
.LBB15_1221:                            ;   in Loop: Header=BB15_3 Depth=1
	ds_load_b32 v29, v53 offset:3328
	ds_load_b32 v32, v56 offset:3892
	s_wait_dscnt 0x0
	v_fmac_f32_e32 v2, v29, v32
	s_or_b32 exec_lo, exec_lo, s42
	s_and_saveexec_b32 s42, s4
	s_cbranch_execz .LBB15_990
.LBB15_1222:                            ;   in Loop: Header=BB15_3 Depth=1
	ds_load_b32 v29, v53 offset:3584
	ds_load_b32 v32, v56 offset:3896
	s_wait_dscnt 0x0
	v_fmac_f32_e32 v2, v29, v32
	s_or_b32 exec_lo, exec_lo, s42
	s_and_saveexec_b32 s42, s14
	s_cbranch_execnz .LBB15_991
	s_branch .LBB15_992
.LBB15_1223:                            ;   in Loop: Header=BB15_3 Depth=1
	ds_load_b32 v29, v48 offset:1280
	ds_load_b32 v32, v50 offset:1812
	s_wait_dscnt 0x0
	v_fmac_f32_e32 v2, v29, v32
	s_or_b32 exec_lo, exec_lo, s42
	s_and_saveexec_b32 s42, s14
	s_cbranch_execz .LBB15_1048
.LBB15_1224:                            ;   in Loop: Header=BB15_3 Depth=1
	ds_load_b32 v29, v48 offset:1536
	ds_load_b32 v32, v50 offset:1816
	s_wait_dscnt 0x0
	v_fmac_f32_e32 v2, v29, v32
	s_or_b32 exec_lo, exec_lo, s42
	s_and_saveexec_b32 s42, s2
	s_cbranch_execnz .LBB15_1049
	s_branch .LBB15_1050
.LBB15_1225:
	s_endpgm
	.section	.rodata,"a",@progbits
	.p2align	6, 0x0
	.amdhsa_kernel _ZL19rocblas_trsv_deviceILi64ELi16ELb0ELb1ELb1ELb1EffPKfPfEviT7_lllT6_T8_lllPii
		.amdhsa_group_segment_fixed_size 20740
		.amdhsa_private_segment_fixed_size 0
		.amdhsa_kernarg_size 352
		.amdhsa_user_sgpr_count 2
		.amdhsa_user_sgpr_dispatch_ptr 0
		.amdhsa_user_sgpr_queue_ptr 0
		.amdhsa_user_sgpr_kernarg_segment_ptr 1
		.amdhsa_user_sgpr_dispatch_id 0
		.amdhsa_user_sgpr_kernarg_preload_length 0
		.amdhsa_user_sgpr_kernarg_preload_offset 0
		.amdhsa_user_sgpr_private_segment_size 0
		.amdhsa_wavefront_size32 1
		.amdhsa_uses_dynamic_stack 0
		.amdhsa_enable_private_segment 0
		.amdhsa_system_sgpr_workgroup_id_x 1
		.amdhsa_system_sgpr_workgroup_id_y 0
		.amdhsa_system_sgpr_workgroup_id_z 1
		.amdhsa_system_sgpr_workgroup_info 0
		.amdhsa_system_vgpr_workitem_id 1
		.amdhsa_next_free_vgpr 90
		.amdhsa_next_free_sgpr 105
		.amdhsa_named_barrier_count 0
		.amdhsa_reserve_vcc 1
		.amdhsa_float_round_mode_32 0
		.amdhsa_float_round_mode_16_64 0
		.amdhsa_float_denorm_mode_32 3
		.amdhsa_float_denorm_mode_16_64 3
		.amdhsa_fp16_overflow 0
		.amdhsa_memory_ordered 1
		.amdhsa_forward_progress 1
		.amdhsa_inst_pref_size 255
		.amdhsa_round_robin_scheduling 0
		.amdhsa_exception_fp_ieee_invalid_op 0
		.amdhsa_exception_fp_denorm_src 0
		.amdhsa_exception_fp_ieee_div_zero 0
		.amdhsa_exception_fp_ieee_overflow 0
		.amdhsa_exception_fp_ieee_underflow 0
		.amdhsa_exception_fp_ieee_inexact 0
		.amdhsa_exception_int_div_zero 0
	.end_amdhsa_kernel
	.section	.text._ZL19rocblas_trsv_deviceILi64ELi16ELb0ELb1ELb1ELb1EffPKfPfEviT7_lllT6_T8_lllPii,"axG",@progbits,_ZL19rocblas_trsv_deviceILi64ELi16ELb0ELb1ELb1ELb1EffPKfPfEviT7_lllT6_T8_lllPii,comdat
.Lfunc_end15:
	.size	_ZL19rocblas_trsv_deviceILi64ELi16ELb0ELb1ELb1ELb1EffPKfPfEviT7_lllT6_T8_lllPii, .Lfunc_end15-_ZL19rocblas_trsv_deviceILi64ELi16ELb0ELb1ELb1ELb1EffPKfPfEviT7_lllT6_T8_lllPii
                                        ; -- End function
	.set _ZL19rocblas_trsv_deviceILi64ELi16ELb0ELb1ELb1ELb1EffPKfPfEviT7_lllT6_T8_lllPii.num_vgpr, 90
	.set _ZL19rocblas_trsv_deviceILi64ELi16ELb0ELb1ELb1ELb1EffPKfPfEviT7_lllT6_T8_lllPii.num_agpr, 0
	.set _ZL19rocblas_trsv_deviceILi64ELi16ELb0ELb1ELb1ELb1EffPKfPfEviT7_lllT6_T8_lllPii.numbered_sgpr, 105
	.set _ZL19rocblas_trsv_deviceILi64ELi16ELb0ELb1ELb1ELb1EffPKfPfEviT7_lllT6_T8_lllPii.num_named_barrier, 0
	.set _ZL19rocblas_trsv_deviceILi64ELi16ELb0ELb1ELb1ELb1EffPKfPfEviT7_lllT6_T8_lllPii.private_seg_size, 0
	.set _ZL19rocblas_trsv_deviceILi64ELi16ELb0ELb1ELb1ELb1EffPKfPfEviT7_lllT6_T8_lllPii.uses_vcc, 1
	.set _ZL19rocblas_trsv_deviceILi64ELi16ELb0ELb1ELb1ELb1EffPKfPfEviT7_lllT6_T8_lllPii.uses_flat_scratch, 0
	.set _ZL19rocblas_trsv_deviceILi64ELi16ELb0ELb1ELb1ELb1EffPKfPfEviT7_lllT6_T8_lllPii.has_dyn_sized_stack, 0
	.set _ZL19rocblas_trsv_deviceILi64ELi16ELb0ELb1ELb1ELb1EffPKfPfEviT7_lllT6_T8_lllPii.has_recursion, 0
	.set _ZL19rocblas_trsv_deviceILi64ELi16ELb0ELb1ELb1ELb1EffPKfPfEviT7_lllT6_T8_lllPii.has_indirect_call, 0
	.section	.AMDGPU.csdata,"",@progbits
; Kernel info:
; codeLenInByte = 36608
; TotalNumSgprs: 107
; NumVgprs: 90
; ScratchSize: 0
; MemoryBound: 0
; FloatMode: 240
; IeeeMode: 1
; LDSByteSize: 20740 bytes/workgroup (compile time only)
; SGPRBlocks: 0
; VGPRBlocks: 5
; NumSGPRsForWavesPerEU: 107
; NumVGPRsForWavesPerEU: 90
; NamedBarCnt: 0
; Occupancy: 10
; WaveLimiterHint : 0
; COMPUTE_PGM_RSRC2:SCRATCH_EN: 0
; COMPUTE_PGM_RSRC2:USER_SGPR: 2
; COMPUTE_PGM_RSRC2:TRAP_HANDLER: 0
; COMPUTE_PGM_RSRC2:TGID_X_EN: 1
; COMPUTE_PGM_RSRC2:TGID_Y_EN: 0
; COMPUTE_PGM_RSRC2:TGID_Z_EN: 1
; COMPUTE_PGM_RSRC2:TIDIG_COMP_CNT: 1
	.section	.text._ZL19rocblas_trsv_deviceILi64ELi16ELb0ELb0ELb0ELb0EffPKfPfEviT7_lllT6_T8_lllPii,"axG",@progbits,_ZL19rocblas_trsv_deviceILi64ELi16ELb0ELb0ELb0ELb0EffPKfPfEviT7_lllT6_T8_lllPii,comdat
	.globl	_ZL19rocblas_trsv_deviceILi64ELi16ELb0ELb0ELb0ELb0EffPKfPfEviT7_lllT6_T8_lllPii ; -- Begin function _ZL19rocblas_trsv_deviceILi64ELi16ELb0ELb0ELb0ELb0EffPKfPfEviT7_lllT6_T8_lllPii
	.p2align	8
	.type	_ZL19rocblas_trsv_deviceILi64ELi16ELb0ELb0ELb0ELb0EffPKfPfEviT7_lllT6_T8_lllPii,@function
_ZL19rocblas_trsv_deviceILi64ELi16ELb0ELb0ELb0ELb0EffPKfPfEviT7_lllT6_T8_lllPii: ; @_ZL19rocblas_trsv_deviceILi64ELi16ELb0ELb0ELb0ELb0EffPKfPfEviT7_lllT6_T8_lllPii
; %bb.0:
	s_load_b32 s6, s[0:1], 0x58
	s_bfe_u32 s2, ttmp6, 0x40014
	s_lshr_b32 s3, ttmp7, 16
	s_add_co_i32 s2, s2, 1
	s_bfe_u32 s5, ttmp6, 0x40008
	s_mul_i32 s2, s3, s2
	s_getreg_b32 s4, hwreg(HW_REG_IB_STS2, 6, 4)
	s_add_co_i32 s5, s5, s2
	s_cmp_eq_u32 s4, 0
	s_mov_b32 s85, 0
	s_cselect_b32 s84, s3, s5
                                        ; implicit-def: $vgpr72 : SGPR spill to VGPR lane
	s_wait_kmcnt 0x0
	s_cmp_ge_u32 s84, s6
	v_writelane_b32 v72, s6, 0
	s_cbranch_scc1 .LBB16_1195
; %bb.1:
	s_clause 0x5
	s_load_b256 s[68:75], s[0:1], 0x8
	s_load_b256 s[76:83], s[0:1], 0x30
	s_load_b32 s5, s[0:1], 0x6c
	s_load_b32 s101, s[0:1], 0x60
	;; [unrolled: 1-line block ×3, first 2 shown]
	s_load_b64 s[2:3], s[0:1], 0x50
	v_bfe_u32 v26, v0, 10, 10
	s_wait_xcnt 0x0
	s_load_b32 s0, s[0:1], 0x28
	v_and_b32_e32 v2, 0x3ff, v0
	v_dual_mov_b32 v5, 0 :: v_dual_lshrrev_b32 v1, 10, v0
                                        ; implicit-def: $vgpr71 : SGPR spill to VGPR lane
                                        ; implicit-def: $vgpr70 : SGPR spill to VGPR lane
	v_lshl_add_u32 v48, v26, 2, 0x5000
	v_dual_add_nc_u32 v23, 32, v26 :: v_dual_add_nc_u32 v22, 48, v26
	s_delay_alu instid0(VALU_DEP_4) | instskip(NEXT) | instid1(VALU_DEP_4)
	v_lshl_add_u32 v20, v26, 6, v2
	v_mov_b32_e32 v3, v5
	v_bitop3_b32 v21, v0, v1, 0x3ff bitop3:0xa8
	v_lshlrev_b32_e32 v29, 2, v2
                                        ; implicit-def: $vgpr69 : SGPR spill to VGPR lane
                                        ; implicit-def: $vgpr68 : SGPR spill to VGPR lane
	s_delay_alu instid0(VALU_DEP_4)
	v_dual_lshrrev_b32 v10, 1, v20 :: v_dual_bitop2_b32 v63, v23, v2 bitop3:0x54
	v_or_b32_e32 v64, v22, v2
	v_lshl_add_u32 v49, v20, 2, 0x4000
	v_subrev_nc_u32_e32 v58, 63, v2
	v_cmp_gt_u32_e64 s16, 2, v20
	v_cmp_gt_u32_e64 s17, 12, v20
	s_wait_kmcnt 0x0
	v_writelane_b32 v72, s2, 1
	v_cmp_gt_u32_e64 s18, 8, v20
	v_cmp_gt_u32_e64 s19, 56, v20
	;; [unrolled: 1-line block ×4, first 2 shown]
	v_writelane_b32 v72, s3, 2
	s_bfe_u32 s2, ttmp6, 0x4000c
	v_cmp_gt_u32_e64 s22, 32, v20
	s_add_co_i32 s2, s2, 1
	v_cmp_gt_u32_e64 s23, 24, v20
	v_writelane_b32 v72, s0, 3
	s_and_b32 s0, ttmp6, 15
	s_mul_i32 s1, ttmp9, s2
	s_lshl_b64 s[2:3], s[78:79], 2
	s_add_co_i32 s6, s0, s1
	s_lshl_b64 s[0:1], s[70:71], 2
	s_cmp_eq_u32 s4, 0
	s_add_nc_u64 s[0:1], s[68:69], s[0:1]
	s_cselect_b32 s100, ttmp9, s6
	s_add_co_i32 s4, s86, -1
	s_ashr_i32 s87, s86, 31
	s_and_b32 s6, s5, 0xffff
	s_ashr_i32 s5, s4, 31
	s_lshr_b32 s7, s87, 26
	s_lshr_b32 s5, s5, 26
	s_add_co_i32 s7, s86, s7
	s_add_co_i32 s101, s101, -1
	s_add_co_i32 s4, s4, s5
	s_and_not1_b32 s7, s7, 63
	s_sub_co_i32 s88, s101, s100
	s_ashr_i32 s4, s4, 6
	s_sub_co_i32 s15, s86, s7
	s_cmp_eq_u32 s4, s88
	v_mad_u32_u24 v4, v26, s6, v2
	s_cselect_b32 s4, -1, 0
	s_cmp_lg_u32 s15, 0
	s_mul_u64 s[92:93], s[72:73], 0xc0
	s_cselect_b32 s5, -1, 0
	v_lshl_add_u32 v47, v4, 2, 0x5000
	s_and_b32 s9, s5, s4
	v_cmp_eq_u32_e64 s59, 0, v4
	s_xor_b32 s102, s9, -1
	s_cmp_lg_u32 s100, 0
	v_and_b32_e32 v11, 1, v0
	s_cselect_b32 s4, -1, 0
	s_lshl_b32 s10, s88, 6
	v_writelane_b32 v72, s4, 4
	v_add_nc_u32_e32 v14, s10, v26
	s_add_nc_u64 s[4:5], s[72:73], 1
	s_ashr_i32 s11, s10, 31
	v_mad_nc_u64_u32 v[18:19], s4, s10, v[2:3]
	v_writelane_b32 v72, s0, 5
	v_add_nc_u32_e32 v12, 64, v14
	s_cmp_gt_i32 s100, 4
	v_lshl_add_u32 v3, v10, 2, 0x4000
	v_cmp_eq_u32_e32 vcc_lo, 1, v11
	v_writelane_b32 v72, s1, 6
	s_add_nc_u64 s[0:1], s[76:77], s[2:3]
	v_ashrrev_i32_e32 v13, 31, v12
	s_mul_i32 s2, s4, s11
	v_lshlrev_b32_e32 v1, 6, v20
	v_writelane_b32 v72, s0, 7
	v_lshlrev_b32_e32 v28, 2, v11
	v_mul_u64_e32 v[8:9], s[72:73], v[12:13]
	v_lshlrev_b32_e32 v13, 8, v10
	v_add_nc_u32_e32 v6, s10, v2
	v_writelane_b32 v72, s1, 8
	s_mul_i32 s1, s5, s10
	s_cselect_b32 s0, -1, 0
	v_add3_u32 v19, s2, s1, v19
	s_and_b32 s69, s0, s102
	v_cmp_gt_u32_e64 s0, 4, v20
	v_cmp_eq_u32_e64 s1, 0, v11
	v_dual_sub_nc_u32 v27, 0, v13 :: v_dual_bitop2_b32 v10, 3, v0 bitop3:0x40
	v_ashrrev_i32_e32 v7, 31, v6
	s_and_b32 s104, vcc_lo, s0
	s_and_b32 vcc_hi, s1, s0
	v_and_b32_e32 v11, 0x1fffc, v20
	v_and_b32_e32 v1, 0x7fff00, v1
	v_cmp_gt_u32_e64 s1, 16, v20
	v_cmp_eq_u32_e32 vcc_lo, 3, v10
	v_cmp_ne_u32_e64 s2, 3, v10
	v_dual_sub_nc_u32 v30, v28, v13 :: v_dual_lshlrev_b32 v33, 2, v10
	v_add_nc_u32_e32 v31, 0x4000, v11
	v_sub_nc_u32_e32 v32, 0, v1
	s_and_b32 s36, vcc_lo, s1
	v_cmp_eq_u32_e32 vcc_lo, 2, v10
	s_and_b32 s37, s2, s1
	v_cmp_gt_u32_e64 s2, 2, v10
	v_cmp_eq_u32_e64 s3, 1, v10
	v_cmp_eq_u32_e64 s4, 0, v10
	v_lshrrev_b32_e32 v10, 3, v20
	v_and_b32_e32 v11, 7, v0
	s_and_b32 s38, vcc_lo, s1
	s_and_b32 s39, s2, s1
	v_cmp_gt_u32_e64 s2, 64, v20
	v_lshlrev_b32_e32 v13, 8, v10
	v_cmp_eq_u32_e32 vcc_lo, 7, v11
	s_and_b32 s40, s3, s1
	v_cmp_ne_u32_e64 s3, 7, v11
	s_and_b32 s41, s4, s1
	v_cmp_eq_u32_e64 s4, 6, v11
	s_and_b32 s42, vcc_lo, s2
	v_cmp_gt_u32_e32 vcc_lo, 6, v11
	s_and_b32 s43, s3, s2
	v_cmp_gt_u32_e64 s3, 5, v11
	v_dual_sub_nc_u32 v34, v33, v1 :: v_dual_lshlrev_b32 v37, 2, v11
	s_and_b32 s45, vcc_lo, s2
	v_cmp_eq_u32_e32 vcc_lo, 4, v11
	s_and_b32 s47, s3, s2
	v_cmp_eq_u32_e64 s3, 3, v11
	v_lshl_add_u32 v35, v10, 2, 0x4000
	v_dual_sub_nc_u32 v36, 0, v13 :: v_dual_lshrrev_b32 v1, 4, v20
	s_and_b32 s48, vcc_lo, s2
	v_cmp_eq_u32_e32 vcc_lo, 2, v11
	v_cmp_eq_u32_e64 s5, 5, v11
	s_and_b32 s44, s4, s2
	v_cmp_gt_u32_e64 s4, 4, v11
	s_and_b32 s50, s3, s2
	v_cmp_gt_u32_e64 s3, 2, v11
	s_and_b32 s52, vcc_lo, s2
	v_cmp_eq_u32_e32 vcc_lo, 0, v11
	v_and_b32_e32 v10, 15, v0
	s_and_b32 s46, s5, s2
	v_cmp_gt_u32_e64 s5, 3, v11
	s_and_b32 s49, s4, s2
	v_cmp_eq_u32_e64 s4, 1, v11
	s_and_b32 s53, s3, s2
	s_and_b32 s55, vcc_lo, s2
	v_lshlrev_b32_e32 v11, 8, v1
	v_cmp_gt_u32_e64 s3, 0x100, v20
	v_cmp_eq_u32_e32 vcc_lo, 15, v10
	s_and_b32 s54, s4, s2
	v_cmp_ne_u32_e64 s4, 15, v10
	s_and_b32 s51, s5, s2
	v_cmp_gt_u32_e64 s5, 14, v10
	s_and_b32 s56, vcc_lo, s3
	v_cmp_eq_u32_e32 vcc_lo, 14, v10
	s_and_b32 s57, s4, s3
	v_cmp_eq_u32_e64 s4, 13, v10
	v_cmp_gt_u32_e64 s6, 13, v10
	s_and_b32 s65, s5, s3
	s_and_b32 s58, vcc_lo, s3
	v_cmp_eq_u32_e32 vcc_lo, 12, v10
	s_and_b32 s66, s4, s3
	v_cmp_gt_u32_e64 s4, 12, v10
	v_cmp_eq_u32_e64 s5, 11, v10
	s_and_b32 s67, s6, s3
	s_and_b32 s68, vcc_lo, s3
	v_cmp_gt_u32_e32 vcc_lo, 11, v10
	s_and_b32 s12, s4, s3
	v_cmp_gt_u32_e64 s4, 10, v10
	v_cmp_eq_u32_e64 s6, 10, v10
	s_and_b32 s13, s5, s3
	s_and_b32 s14, vcc_lo, s3
	v_cmp_eq_u32_e32 vcc_lo, 9, v10
	s_and_b32 s24, s4, s3
	v_cmp_eq_u32_e64 s4, 8, v10
	v_cmp_gt_u32_e64 s5, 9, v10
	s_and_b32 s99, s6, s3
	s_and_b32 s26, vcc_lo, s3
	v_cmp_eq_u32_e32 vcc_lo, 7, v10
	s_and_b32 s30, s4, s3
	v_cmp_gt_u32_e64 s4, 7, v10
	v_cmp_gt_u32_e64 s6, 8, v10
	s_and_b32 s28, s5, s3
	s_and_b32 s35, vcc_lo, s3
	v_cmp_gt_u32_e32 vcc_lo, 6, v10
	s_and_b32 s61, s4, s3
	v_cmp_gt_u32_e64 s4, 5, v10
	v_cmp_eq_u32_e64 s5, 6, v10
	v_lshl_add_u32 v39, v1, 2, 0x4000
	s_and_b32 s63, vcc_lo, s3
	v_cmp_eq_u32_e32 vcc_lo, 4, v10
	s_and_b32 s25, s4, s3
	v_cmp_eq_u32_e64 s4, 3, v10
	v_dual_lshlrev_b32 v41, 2, v10 :: v_dual_lshrrev_b32 v1, 5, v20
	s_and_b32 s27, vcc_lo, s3
	v_cmp_eq_u32_e32 vcc_lo, 2, v10
	s_and_b32 s33, s6, s3
	v_cmp_eq_u32_e64 s6, 5, v10
	s_and_b32 s62, s5, s3
	v_cmp_gt_u32_e64 s5, 4, v10
	s_and_b32 s31, s4, s3
	v_cmp_gt_u32_e64 s4, 2, v10
	s_and_b32 s103, vcc_lo, s3
	v_cmp_eq_u32_e32 vcc_lo, 0, v10
	v_dual_sub_nc_u32 v38, v37, v13 :: v_dual_bitop2_b32 v0, 31, v0 bitop3:0x40
	v_sub_nc_u32_e32 v40, 0, v11
	s_and_b32 s64, s6, s3
	v_cmp_gt_u32_e64 s6, 3, v10
	s_and_b32 s29, s5, s3
	v_cmp_eq_u32_e64 s5, 1, v10
	s_and_b32 s70, s4, s3
	s_and_b32 s76, vcc_lo, s3
	v_lshlrev_b32_e32 v13, 8, v1
	v_cmp_gt_u32_e64 s4, 0x400, v20
	v_cmp_eq_u32_e32 vcc_lo, 31, v0
	s_and_b32 s34, s6, s3
	s_and_b32 s71, s5, s3
	v_cmp_ne_u32_e64 s5, 31, v0
	v_cmp_eq_u32_e64 s7, 29, v0
	s_and_b32 s6, vcc_lo, s4
	v_cmp_eq_u32_e32 vcc_lo, 30, v0
	v_writelane_b32 v72, s6, 9
	s_and_b32 s5, s5, s4
	v_cmp_gt_u32_e64 s6, 30, v0
	v_cmp_gt_u32_e64 s8, 29, v0
	v_dual_sub_nc_u32 v42, v41, v11 :: v_dual_sub_nc_u32 v44, 0, v13
	v_writelane_b32 v72, s5, 10
	s_and_b32 s5, vcc_lo, s4
	v_cmp_eq_u32_e32 vcc_lo, 28, v0
	v_add_nc_u64_e32 v[10:11], s[10:11], v[4:5]
	v_dual_lshlrev_b32 v45, 2, v0 :: v_dual_add_nc_u32 v52, v48, v29
	v_writelane_b32 v72, s5, 11
	s_and_b32 s5, s6, s4
	s_and_b32 s10, vcc_lo, s4
	v_cmp_eq_u32_e64 s6, 27, v0
	v_cmp_gt_u32_e32 vcc_lo, 26, v0
	v_writelane_b32 v72, s5, 12
	s_and_b32 s5, s7, s4
	v_cmp_gt_u32_e64 s7, 27, v0
	v_dual_sub_nc_u32 v46, v45, v13 :: v_dual_add_nc_u32 v24, 16, v26
	v_writelane_b32 v72, s5, 13
	s_and_b32 s5, s8, s4
	v_cmp_eq_u32_e64 s8, 26, v0
	v_add_nc_u32_e32 v13, 0x50, v14
	v_add_nc_u32_e32 v16, 0x60, v14
	v_writelane_b32 v72, s5, 14
	v_cmp_gt_u32_e64 s5, 28, v0
	v_add_nc_u32_e32 v25, 0x70, v14
	v_lshl_add_u32 v43, v1, 2, 0x4000
	v_mul_u64_e32 v[10:11], s[80:81], v[10:11]
	v_writelane_b32 v72, s10, 15
	s_and_b32 s5, s5, s4
	v_cmp_le_i32_e64 s10, s15, v22
	v_mad_nc_u64_u32 v[14:15], s72, v24, v[18:19]
	v_or_b32_e32 v50, 0x4000, v29
	v_writelane_b32 v72, s5, 16
	s_and_b32 s5, s6, s4
	v_lshl_add_u32 v51, v26, 8, v29
	v_lshl_add_u32 v53, v2, 8, v29
	;; [unrolled: 1-line block ×3, first 2 shown]
	v_writelane_b32 v72, s5, 17
	s_and_b32 s5, s7, s4
	v_cmp_gt_i32_e64 s7, s86, v12
	v_lshl_add_u32 v55, v23, 8, v29
	v_mad_u32 v15, s73, v24, v15
	v_writelane_b32 v72, s5, 18
	s_and_b32 s5, s8, s4
	v_cmp_le_u32_e64 s8, v26, v2
	v_lshl_add_u32 v56, v22, 8, v29
	v_add_nc_u32_e32 v57, 0x3c00, v29
	v_writelane_b32 v72, s5, 19
	s_and_b32 s5, vcc_lo, s4
	v_cmp_eq_u32_e32 vcc_lo, 25, v0
	v_cmp_gt_u32_e64 s60, 64, v4
                                        ; implicit-def: $vgpr59
                                        ; implicit-def: $vgpr60
                                        ; implicit-def: $vgpr61
                                        ; implicit-def: $vgpr62
	v_writelane_b32 v72, s5, 20
	s_and_b32 s5, vcc_lo, s4
	v_cmp_gt_u32_e32 vcc_lo, 25, v0
	v_writelane_b32 v72, s5, 21
	s_and_b32 s5, vcc_lo, s4
	v_cmp_eq_u32_e32 vcc_lo, 24, v0
	v_writelane_b32 v72, s5, 22
	s_and_b32 s5, vcc_lo, s4
	v_cmp_gt_u32_e32 vcc_lo, 24, v0
	v_writelane_b32 v72, s5, 23
	s_and_b32 s5, vcc_lo, s4
	v_cmp_eq_u32_e32 vcc_lo, 23, v0
	;; [unrolled: 6-line block ×24, first 2 shown]
	v_writelane_b32 v70, s5, 4
	s_and_b32 s5, vcc_lo, s4
	v_cmp_eq_u32_e32 vcc_lo, 0, v0
	v_writelane_b32 v70, s5, 5
	v_cmp_eq_u32_e64 s5, 0, v26
	v_mul_u64_e32 v[0:1], s[80:81], v[6:7]
	s_and_b32 s77, vcc_lo, s4
	v_cmp_le_i32_e32 vcc_lo, s15, v2
	s_and_b32 s6, vcc_lo, s9
	v_cmp_le_i32_e64 s9, s15, v23
	v_writelane_b32 v70, s6, 6
	s_xor_b32 s6, s6, -1
	s_delay_alu instid0(SALU_CYCLE_1)
	s_and_b32 s11, s5, s6
	v_cmp_gt_i32_e64 s6, s15, v2
	s_cmp_gt_i32 s100, 0
	s_cselect_b32 s98, -1, 0
	s_add_co_i32 s88, s88, 1
	s_and_b32 s6, s5, s6
	s_lshl_b64 s[78:79], s[72:73], 6
	v_writelane_b32 v70, s6, 7
	v_cmp_gt_i32_e64 s6, s86, v6
	s_lshl_b64 s[90:91], s[72:73], 7
	s_and_b32 s7, s6, s7
	s_delay_alu instid0(SALU_CYCLE_1) | instskip(SKIP_3) | instid1(SALU_CYCLE_1)
	v_writelane_b32 v70, s7, 8
	v_cmp_gt_i32_e64 s7, s86, v13
	v_mad_nc_u64_u32 v[12:13], s72, v26, v[18:19]
	s_and_b32 s7, s6, s7
	v_writelane_b32 v70, s7, 9
	v_cmp_gt_i32_e64 s7, s86, v16
	v_mad_nc_u64_u32 v[16:17], s72, v23, v[18:19]
	v_mad_nc_u64_u32 v[18:19], s72, v22, v[18:19]
	v_mad_u32 v13, s73, v26, v13
	s_and_b32 s7, s6, s7
	s_delay_alu instid0(SALU_CYCLE_1)
	v_writelane_b32 v70, s7, 10
	v_cmp_gt_i32_e64 s7, s86, v25
	v_or_b32_e32 v25, v24, v2
	v_mad_u32 v17, s73, v23, v17
	s_and_b32 s7, s6, s7
	v_mad_u32 v19, s73, v22, v19
	v_writelane_b32 v70, s7, 11
	v_cmp_le_i32_e64 s7, s15, v26
	v_writelane_b32 v70, s8, 12
	s_or_b32 s7, s7, vcc_lo
	s_delay_alu instid0(SALU_CYCLE_1)
	s_or_b32 s7, s7, s8
	v_cmp_le_i32_e64 s8, s15, v24
	v_writelane_b32 v70, s7, 13
	v_cmp_eq_u32_e64 s15, 0, v21
	s_or_b32 s7, s8, vcc_lo
	v_cmp_le_u32_e64 s8, v24, v2
	s_delay_alu instid0(VALU_DEP_1)
	v_writelane_b32 v70, s8, 14
	s_or_b32 s7, s7, s8
	v_cmp_le_u32_e64 s8, v23, v2
	v_writelane_b32 v70, s7, 15
	s_or_b32 s7, s9, vcc_lo
	v_cmp_ne_u32_e64 s9, v2, v23
	s_or_b32 s7, s7, s8
	v_writelane_b32 v70, s8, 16
	v_cmp_le_u32_e64 s8, v22, v2
	v_writelane_b32 v70, s7, 17
	s_or_b32 s7, s10, vcc_lo
	v_cmp_ne_u32_e64 s10, v2, v22
	s_or_b32 s7, s7, s8
	v_writelane_b32 v70, s8, 18
	v_cmp_ne_u32_e64 s8, v2, v24
	v_writelane_b32 v70, s7, 19
	v_cmp_ne_u32_e64 s7, v2, v26
	s_delay_alu instid0(VALU_DEP_1) | instskip(SKIP_1) | instid1(SALU_CYCLE_1)
	v_writelane_b32 v70, s7, 20
	s_or_b32 s7, vcc_lo, s7
	v_writelane_b32 v70, s7, 21
	s_or_b32 s7, vcc_lo, s8
	v_writelane_b32 v70, s8, 22
	v_writelane_b32 v70, s7, 23
	s_or_b32 s7, vcc_lo, s9
	v_writelane_b32 v70, s9, 24
	;; [unrolled: 3-line block ×3, first 2 shown]
	v_writelane_b32 v70, s7, 27
	v_cmp_gt_u32_e64 s7, 0xf0, v20
	s_delay_alu instid0(VALU_DEP_1) | instskip(SKIP_1) | instid1(VALU_DEP_1)
	v_writelane_b32 v70, s7, 28
	v_cmp_gt_u32_e64 s7, 0xe0, v20
	v_writelane_b32 v70, s7, 29
	v_cmp_gt_u32_e64 s7, 0xd0, v20
	s_delay_alu instid0(VALU_DEP_1) | instskip(SKIP_1) | instid1(VALU_DEP_1)
	v_writelane_b32 v70, s7, 30
	v_cmp_gt_u32_e64 s7, 0xc0, v20
	;; [unrolled: 5-line block ×17, first 2 shown]
	v_writelane_b32 v69, s7, 29
	v_cmp_le_u32_e64 s7, v2, v26
	s_delay_alu instid0(VALU_DEP_1) | instskip(SKIP_1) | instid1(VALU_DEP_1)
	v_writelane_b32 v69, s7, 30
	v_cmp_le_u32_e64 s7, v2, v24
	v_writelane_b32 v69, s7, 31
	v_cmp_le_u32_e64 s7, v2, v23
	s_delay_alu instid0(VALU_DEP_1) | instskip(SKIP_1) | instid1(VALU_DEP_1)
	v_writelane_b32 v68, s7, 0
	v_cmp_le_u32_e64 s7, v2, v22
	v_writelane_b32 v68, s7, 1
	v_cmp_gt_u32_e64 s7, 64, v21
	s_delay_alu instid0(VALU_DEP_1) | instskip(SKIP_1) | instid1(VALU_DEP_1)
	v_writelane_b32 v68, s7, 2
	v_cmp_gt_u32_e64 s7, 64, v25
	v_writelane_b32 v68, s7, 3
	v_cmp_gt_u32_e64 s7, 64, v63
	s_delay_alu instid0(VALU_DEP_1) | instskip(SKIP_1) | instid1(VALU_DEP_1)
	v_writelane_b32 v68, s7, 4
	v_cmp_gt_u32_e64 s7, 64, v64
	v_writelane_b32 v68, s7, 5
	s_branch .LBB16_3
.LBB16_2:                               ;   in Loop: Header=BB16_3 Depth=1
	s_wait_xcnt 0x0
	s_or_b32 exec_lo, exec_lo, s7
	v_readlane_b32 s7, v72, 0
	s_add_co_i32 s84, s84, 0x10000
	global_wb scope:SCOPE_DEV
	s_wait_storecnt 0x0
	global_inv scope:SCOPE_DEV
	s_cmp_lt_u32 s84, s7
	s_cbranch_scc0 .LBB16_1195
.LBB16_3:                               ; =>This Loop Header: Depth=1
                                        ;     Child Loop BB16_1067 Depth 2
                                        ;       Child Loop BB16_1069 Depth 3
                                        ;     Child Loop BB16_1107 Depth 2
	v_readlane_b32 s94, v72, 5
	v_readlane_b32 s7, v72, 4
	v_readlane_b32 s95, v72, 6
	s_mul_u64 s[8:9], s[74:75], s[84:85]
	s_delay_alu instid0(SALU_CYCLE_1)
	s_lshl_b64 s[8:9], s[8:9], 2
	s_and_not1_b32 vcc_lo, exec_lo, s7
	s_add_nc_u64 s[94:95], s[94:95], s[8:9]
	s_cbranch_vccnz .LBB16_13
; %bb.4:                                ;   in Loop: Header=BB16_3 Depth=1
	v_lshl_add_u64 v[20:21], v[8:9], 2, s[94:95]
	v_dual_mov_b32 v60, 0 :: v_dual_mov_b32 v59, 0
	s_barrier_signal -1
	s_delay_alu instid0(VALU_DEP_2) | instskip(SKIP_4) | instid1(SALU_CYCLE_1)
	v_lshl_add_u64 v[20:21], v[6:7], 2, v[20:21]
	s_barrier_wait -1
	s_mov_b32 s7, exec_lo
	v_readlane_b32 s8, v70, 8
	s_and_b32 s8, s7, s8
	s_mov_b32 exec_lo, s8
	s_cbranch_execz .LBB16_6
; %bb.5:                                ;   in Loop: Header=BB16_3 Depth=1
	global_load_b32 v59, v[20:21], off
.LBB16_6:                               ;   in Loop: Header=BB16_3 Depth=1
	s_wait_xcnt 0x0
	s_or_b32 exec_lo, exec_lo, s7
	s_wait_loadcnt 0x0
	s_barrier_signal -1
	s_barrier_wait -1
	s_mov_b32 s7, exec_lo
	v_readlane_b32 s8, v70, 9
	s_and_b32 s8, s7, s8
	s_delay_alu instid0(SALU_CYCLE_1)
	s_mov_b32 exec_lo, s8
	s_cbranch_execz .LBB16_8
; %bb.7:                                ;   in Loop: Header=BB16_3 Depth=1
	v_add_nc_u64_e32 v[22:23], s[78:79], v[20:21]
	global_load_b32 v60, v[22:23], off
.LBB16_8:                               ;   in Loop: Header=BB16_3 Depth=1
	s_wait_xcnt 0x0
	s_or_b32 exec_lo, exec_lo, s7
	v_dual_mov_b32 v62, 0 :: v_dual_mov_b32 v61, 0
	s_wait_loadcnt 0x0
	s_barrier_signal -1
	s_barrier_wait -1
	s_mov_b32 s7, exec_lo
	v_readlane_b32 s8, v70, 10
	s_and_b32 s8, s7, s8
	s_delay_alu instid0(SALU_CYCLE_1)
	s_mov_b32 exec_lo, s8
	s_cbranch_execz .LBB16_10
; %bb.9:                                ;   in Loop: Header=BB16_3 Depth=1
	v_add_nc_u64_e32 v[22:23], s[90:91], v[20:21]
	global_load_b32 v61, v[22:23], off
.LBB16_10:                              ;   in Loop: Header=BB16_3 Depth=1
	s_wait_xcnt 0x0
	s_or_b32 exec_lo, exec_lo, s7
	s_wait_loadcnt 0x0
	s_barrier_signal -1
	s_barrier_wait -1
	s_mov_b32 s7, exec_lo
	v_readlane_b32 s8, v70, 11
	s_and_b32 s8, s7, s8
	s_delay_alu instid0(SALU_CYCLE_1)
	s_mov_b32 exec_lo, s8
	s_cbranch_execz .LBB16_12
; %bb.11:                               ;   in Loop: Header=BB16_3 Depth=1
	v_add_nc_u64_e32 v[20:21], s[92:93], v[20:21]
	global_load_b32 v62, v[20:21], off
.LBB16_12:                              ;   in Loop: Header=BB16_3 Depth=1
	s_wait_xcnt 0x0
	s_or_b32 exec_lo, exec_lo, s7
.LBB16_13:                              ;   in Loop: Header=BB16_3 Depth=1
	s_delay_alu instid0(SALU_CYCLE_1)
	s_and_not1_b32 vcc_lo, exec_lo, s102
	s_mov_b32 s7, -1
	s_cbranch_vccnz .LBB16_49
; %bb.14:                               ;   in Loop: Header=BB16_3 Depth=1
	s_mov_b32 s7, 0
                                        ; implicit-def: $vgpr20
	s_mov_b32 s8, exec_lo
	v_readlane_b32 s9, v70, 12
	s_and_b32 s9, s8, s9
	s_delay_alu instid0(SALU_CYCLE_1)
	s_xor_b32 s89, s9, s8
	s_mov_b32 exec_lo, s9
	s_cbranch_execnz .LBB16_1129
; %bb.15:                               ;   in Loop: Header=BB16_3 Depth=1
	s_and_not1_saveexec_b32 s8, s89
	s_cbranch_execnz .LBB16_1134
.LBB16_16:                              ;   in Loop: Header=BB16_3 Depth=1
	s_or_b32 exec_lo, exec_lo, s8
	s_and_saveexec_b32 s8, s7
.LBB16_17:                              ;   in Loop: Header=BB16_3 Depth=1
	ds_store_b32 v51, v20
.LBB16_18:                              ;   in Loop: Header=BB16_3 Depth=1
	s_or_b32 exec_lo, exec_lo, s8
	s_delay_alu instid0(SALU_CYCLE_1) | instskip(SKIP_2) | instid1(SALU_CYCLE_1)
	s_mov_b32 s7, exec_lo
	v_readlane_b32 s8, v70, 14
	s_and_b32 s8, s7, s8
	s_xor_b32 s89, s8, s7
	s_mov_b32 exec_lo, s8
	s_cbranch_execz .LBB16_26
; %bb.19:                               ;   in Loop: Header=BB16_3 Depth=1
	s_mov_b32 s7, exec_lo
	v_readlane_b32 s8, v70, 22
	s_and_b32 s8, s7, s8
	s_delay_alu instid0(SALU_CYCLE_1)
	s_xor_b32 s7, s8, s7
	s_mov_b32 exec_lo, s8
	s_cbranch_execz .LBB16_23
; %bb.20:                               ;   in Loop: Header=BB16_3 Depth=1
	s_mov_b32 s8, exec_lo
	v_readlane_b32 s9, v68, 3
	s_and_b32 s9, s8, s9
	s_delay_alu instid0(SALU_CYCLE_1)
	s_mov_b32 exec_lo, s9
; %bb.21:                               ;   in Loop: Header=BB16_3 Depth=1
	ds_store_b32 v54, v5
; %bb.22:                               ;   in Loop: Header=BB16_3 Depth=1
	s_or_b32 exec_lo, exec_lo, s8
.LBB16_23:                              ;   in Loop: Header=BB16_3 Depth=1
	s_and_not1_saveexec_b32 s7, s7
	s_cbranch_execz .LBB16_25
; %bb.24:                               ;   in Loop: Header=BB16_3 Depth=1
	v_lshl_add_u64 v[20:21], v[14:15], 2, s[94:95]
	global_load_b32 v20, v[20:21], off
	s_wait_loadcnt 0x0
	v_div_scale_f32 v21, null, v20, v20, 1.0
	s_delay_alu instid0(VALU_DEP_1) | instskip(SKIP_1) | instid1(TRANS32_DEP_1)
	v_rcp_f32_e32 v22, v21
	v_nop
	v_fma_f32 v23, -v21, v22, 1.0
	s_delay_alu instid0(VALU_DEP_1) | instskip(SKIP_1) | instid1(VALU_DEP_1)
	v_fmac_f32_e32 v22, v23, v22
	v_div_scale_f32 v23, vcc_lo, 1.0, v20, 1.0
	v_mul_f32_e32 v24, v23, v22
	s_delay_alu instid0(VALU_DEP_1) | instskip(NEXT) | instid1(VALU_DEP_1)
	v_fma_f32 v25, -v21, v24, v23
	v_fmac_f32_e32 v24, v25, v22
	s_delay_alu instid0(VALU_DEP_1) | instskip(NEXT) | instid1(VALU_DEP_1)
	v_fma_f32 v21, -v21, v24, v23
	v_div_fmas_f32 v21, v21, v22, v24
	s_delay_alu instid0(VALU_DEP_1)
	v_div_fixup_f32 v20, v21, v20, 1.0
	ds_store_b32 v54, v20
.LBB16_25:                              ;   in Loop: Header=BB16_3 Depth=1
	s_or_b32 exec_lo, exec_lo, s7
.LBB16_26:                              ;   in Loop: Header=BB16_3 Depth=1
	s_and_not1_saveexec_b32 s7, s89
	s_cbranch_execz .LBB16_28
; %bb.27:                               ;   in Loop: Header=BB16_3 Depth=1
	v_lshl_add_u64 v[20:21], v[14:15], 2, s[94:95]
	global_load_b32 v20, v[20:21], off
	s_wait_loadcnt 0x0
	v_xor_b32_e32 v20, 0x80000000, v20
	ds_store_b32 v54, v20
.LBB16_28:                              ;   in Loop: Header=BB16_3 Depth=1
	s_or_b32 exec_lo, exec_lo, s7
	s_delay_alu instid0(SALU_CYCLE_1) | instskip(SKIP_2) | instid1(SALU_CYCLE_1)
	s_mov_b32 s7, exec_lo
	v_readlane_b32 s8, v70, 16
	s_and_b32 s8, s7, s8
	s_xor_b32 s89, s8, s7
	s_mov_b32 exec_lo, s8
	s_cbranch_execz .LBB16_36
; %bb.29:                               ;   in Loop: Header=BB16_3 Depth=1
	s_mov_b32 s7, exec_lo
	v_readlane_b32 s8, v70, 24
	s_and_b32 s8, s7, s8
	s_delay_alu instid0(SALU_CYCLE_1)
	s_xor_b32 s7, s8, s7
	s_mov_b32 exec_lo, s8
	s_cbranch_execz .LBB16_33
; %bb.30:                               ;   in Loop: Header=BB16_3 Depth=1
	s_mov_b32 s8, exec_lo
	v_readlane_b32 s9, v68, 4
	s_and_b32 s9, s8, s9
	s_delay_alu instid0(SALU_CYCLE_1)
	s_mov_b32 exec_lo, s9
; %bb.31:                               ;   in Loop: Header=BB16_3 Depth=1
	ds_store_b32 v55, v5
; %bb.32:                               ;   in Loop: Header=BB16_3 Depth=1
	s_or_b32 exec_lo, exec_lo, s8
.LBB16_33:                              ;   in Loop: Header=BB16_3 Depth=1
	s_and_not1_saveexec_b32 s7, s7
	s_cbranch_execz .LBB16_35
; %bb.34:                               ;   in Loop: Header=BB16_3 Depth=1
	v_lshl_add_u64 v[20:21], v[16:17], 2, s[94:95]
	global_load_b32 v20, v[20:21], off
	s_wait_loadcnt 0x0
	v_div_scale_f32 v21, null, v20, v20, 1.0
	s_delay_alu instid0(VALU_DEP_1) | instskip(SKIP_1) | instid1(TRANS32_DEP_1)
	v_rcp_f32_e32 v22, v21
	v_nop
	v_fma_f32 v23, -v21, v22, 1.0
	s_delay_alu instid0(VALU_DEP_1) | instskip(SKIP_1) | instid1(VALU_DEP_1)
	v_fmac_f32_e32 v22, v23, v22
	v_div_scale_f32 v23, vcc_lo, 1.0, v20, 1.0
	v_mul_f32_e32 v24, v23, v22
	s_delay_alu instid0(VALU_DEP_1) | instskip(NEXT) | instid1(VALU_DEP_1)
	v_fma_f32 v25, -v21, v24, v23
	v_fmac_f32_e32 v24, v25, v22
	s_delay_alu instid0(VALU_DEP_1) | instskip(NEXT) | instid1(VALU_DEP_1)
	v_fma_f32 v21, -v21, v24, v23
	v_div_fmas_f32 v21, v21, v22, v24
	s_delay_alu instid0(VALU_DEP_1)
	v_div_fixup_f32 v20, v21, v20, 1.0
	ds_store_b32 v55, v20
.LBB16_35:                              ;   in Loop: Header=BB16_3 Depth=1
	s_or_b32 exec_lo, exec_lo, s7
.LBB16_36:                              ;   in Loop: Header=BB16_3 Depth=1
	s_and_not1_saveexec_b32 s7, s89
	s_cbranch_execz .LBB16_38
; %bb.37:                               ;   in Loop: Header=BB16_3 Depth=1
	v_lshl_add_u64 v[20:21], v[16:17], 2, s[94:95]
	global_load_b32 v20, v[20:21], off
	s_wait_loadcnt 0x0
	v_xor_b32_e32 v20, 0x80000000, v20
	ds_store_b32 v55, v20
.LBB16_38:                              ;   in Loop: Header=BB16_3 Depth=1
	;; [unrolled: 63-line block ×3, first 2 shown]
	s_or_b32 exec_lo, exec_lo, s7
	s_mov_b32 s7, 0
.LBB16_49:                              ;   in Loop: Header=BB16_3 Depth=1
	s_delay_alu instid0(SALU_CYCLE_1)
	s_and_b32 vcc_lo, exec_lo, s7
	s_cbranch_vccz .LBB16_85
; %bb.50:                               ;   in Loop: Header=BB16_3 Depth=1
	s_mov_b32 s7, 0
                                        ; implicit-def: $vgpr20
	s_mov_b32 s8, exec_lo
	v_readlane_b32 s9, v70, 13
	s_and_b32 s9, s8, s9
	s_delay_alu instid0(SALU_CYCLE_1)
	s_xor_b32 s89, s9, s8
	s_mov_b32 exec_lo, s9
	s_cbranch_execnz .LBB16_1135
; %bb.51:                               ;   in Loop: Header=BB16_3 Depth=1
	s_and_not1_saveexec_b32 s8, s89
	s_cbranch_execnz .LBB16_1140
.LBB16_52:                              ;   in Loop: Header=BB16_3 Depth=1
	s_or_b32 exec_lo, exec_lo, s8
	s_and_saveexec_b32 s8, s7
.LBB16_53:                              ;   in Loop: Header=BB16_3 Depth=1
	ds_store_b32 v51, v20
.LBB16_54:                              ;   in Loop: Header=BB16_3 Depth=1
	s_or_b32 exec_lo, exec_lo, s8
	s_delay_alu instid0(SALU_CYCLE_1) | instskip(SKIP_2) | instid1(SALU_CYCLE_1)
	s_mov_b32 s7, exec_lo
	v_readlane_b32 s8, v70, 15
	s_and_b32 s8, s7, s8
	s_xor_b32 s89, s8, s7
	s_mov_b32 exec_lo, s8
	s_cbranch_execz .LBB16_62
; %bb.55:                               ;   in Loop: Header=BB16_3 Depth=1
	s_mov_b32 s7, exec_lo
	v_readlane_b32 s8, v70, 23
	s_and_b32 s8, s7, s8
	s_delay_alu instid0(SALU_CYCLE_1)
	s_xor_b32 s7, s8, s7
	s_mov_b32 exec_lo, s8
	s_cbranch_execz .LBB16_59
; %bb.56:                               ;   in Loop: Header=BB16_3 Depth=1
	s_mov_b32 s8, exec_lo
	v_readlane_b32 s9, v68, 3
	s_and_b32 s9, s8, s9
	s_delay_alu instid0(SALU_CYCLE_1)
	s_mov_b32 exec_lo, s9
; %bb.57:                               ;   in Loop: Header=BB16_3 Depth=1
	ds_store_b32 v54, v5
; %bb.58:                               ;   in Loop: Header=BB16_3 Depth=1
	s_or_b32 exec_lo, exec_lo, s8
.LBB16_59:                              ;   in Loop: Header=BB16_3 Depth=1
	s_and_not1_saveexec_b32 s7, s7
	s_cbranch_execz .LBB16_61
; %bb.60:                               ;   in Loop: Header=BB16_3 Depth=1
	v_lshl_add_u64 v[20:21], v[14:15], 2, s[94:95]
	global_load_b32 v20, v[20:21], off
	s_wait_loadcnt 0x0
	v_div_scale_f32 v21, null, v20, v20, 1.0
	s_delay_alu instid0(VALU_DEP_1) | instskip(SKIP_1) | instid1(TRANS32_DEP_1)
	v_rcp_f32_e32 v22, v21
	v_nop
	v_fma_f32 v23, -v21, v22, 1.0
	s_delay_alu instid0(VALU_DEP_1) | instskip(SKIP_1) | instid1(VALU_DEP_1)
	v_fmac_f32_e32 v22, v23, v22
	v_div_scale_f32 v23, vcc_lo, 1.0, v20, 1.0
	v_mul_f32_e32 v24, v23, v22
	s_delay_alu instid0(VALU_DEP_1) | instskip(NEXT) | instid1(VALU_DEP_1)
	v_fma_f32 v25, -v21, v24, v23
	v_fmac_f32_e32 v24, v25, v22
	s_delay_alu instid0(VALU_DEP_1) | instskip(NEXT) | instid1(VALU_DEP_1)
	v_fma_f32 v21, -v21, v24, v23
	v_div_fmas_f32 v21, v21, v22, v24
	s_delay_alu instid0(VALU_DEP_1)
	v_div_fixup_f32 v20, v21, v20, 1.0
	ds_store_b32 v54, v20
.LBB16_61:                              ;   in Loop: Header=BB16_3 Depth=1
	s_or_b32 exec_lo, exec_lo, s7
.LBB16_62:                              ;   in Loop: Header=BB16_3 Depth=1
	s_and_not1_saveexec_b32 s7, s89
	s_cbranch_execz .LBB16_64
; %bb.63:                               ;   in Loop: Header=BB16_3 Depth=1
	v_lshl_add_u64 v[20:21], v[14:15], 2, s[94:95]
	global_load_b32 v20, v[20:21], off
	s_wait_loadcnt 0x0
	v_xor_b32_e32 v20, 0x80000000, v20
	ds_store_b32 v54, v20
.LBB16_64:                              ;   in Loop: Header=BB16_3 Depth=1
	s_or_b32 exec_lo, exec_lo, s7
	s_delay_alu instid0(SALU_CYCLE_1) | instskip(SKIP_2) | instid1(SALU_CYCLE_1)
	s_mov_b32 s7, exec_lo
	v_readlane_b32 s8, v70, 17
	s_and_b32 s8, s7, s8
	s_xor_b32 s89, s8, s7
	s_mov_b32 exec_lo, s8
	s_cbranch_execz .LBB16_72
; %bb.65:                               ;   in Loop: Header=BB16_3 Depth=1
	s_mov_b32 s7, exec_lo
	v_readlane_b32 s8, v70, 25
	s_and_b32 s8, s7, s8
	s_delay_alu instid0(SALU_CYCLE_1)
	s_xor_b32 s7, s8, s7
	s_mov_b32 exec_lo, s8
	s_cbranch_execz .LBB16_69
; %bb.66:                               ;   in Loop: Header=BB16_3 Depth=1
	s_mov_b32 s8, exec_lo
	v_readlane_b32 s9, v68, 4
	s_and_b32 s9, s8, s9
	s_delay_alu instid0(SALU_CYCLE_1)
	s_mov_b32 exec_lo, s9
; %bb.67:                               ;   in Loop: Header=BB16_3 Depth=1
	ds_store_b32 v55, v5
; %bb.68:                               ;   in Loop: Header=BB16_3 Depth=1
	s_or_b32 exec_lo, exec_lo, s8
.LBB16_69:                              ;   in Loop: Header=BB16_3 Depth=1
	s_and_not1_saveexec_b32 s7, s7
	s_cbranch_execz .LBB16_71
; %bb.70:                               ;   in Loop: Header=BB16_3 Depth=1
	v_lshl_add_u64 v[20:21], v[16:17], 2, s[94:95]
	global_load_b32 v20, v[20:21], off
	s_wait_loadcnt 0x0
	v_div_scale_f32 v21, null, v20, v20, 1.0
	s_delay_alu instid0(VALU_DEP_1) | instskip(SKIP_1) | instid1(TRANS32_DEP_1)
	v_rcp_f32_e32 v22, v21
	v_nop
	v_fma_f32 v23, -v21, v22, 1.0
	s_delay_alu instid0(VALU_DEP_1) | instskip(SKIP_1) | instid1(VALU_DEP_1)
	v_fmac_f32_e32 v22, v23, v22
	v_div_scale_f32 v23, vcc_lo, 1.0, v20, 1.0
	v_mul_f32_e32 v24, v23, v22
	s_delay_alu instid0(VALU_DEP_1) | instskip(NEXT) | instid1(VALU_DEP_1)
	v_fma_f32 v25, -v21, v24, v23
	v_fmac_f32_e32 v24, v25, v22
	s_delay_alu instid0(VALU_DEP_1) | instskip(NEXT) | instid1(VALU_DEP_1)
	v_fma_f32 v21, -v21, v24, v23
	v_div_fmas_f32 v21, v21, v22, v24
	s_delay_alu instid0(VALU_DEP_1)
	v_div_fixup_f32 v20, v21, v20, 1.0
	ds_store_b32 v55, v20
.LBB16_71:                              ;   in Loop: Header=BB16_3 Depth=1
	s_or_b32 exec_lo, exec_lo, s7
.LBB16_72:                              ;   in Loop: Header=BB16_3 Depth=1
	s_and_not1_saveexec_b32 s7, s89
	s_cbranch_execz .LBB16_74
; %bb.73:                               ;   in Loop: Header=BB16_3 Depth=1
	v_lshl_add_u64 v[20:21], v[16:17], 2, s[94:95]
	global_load_b32 v20, v[20:21], off
	s_wait_loadcnt 0x0
	v_xor_b32_e32 v20, 0x80000000, v20
	ds_store_b32 v55, v20
.LBB16_74:                              ;   in Loop: Header=BB16_3 Depth=1
	;; [unrolled: 63-line block ×3, first 2 shown]
	s_or_b32 exec_lo, exec_lo, s7
.LBB16_85:                              ;   in Loop: Header=BB16_3 Depth=1
	s_delay_alu instid0(SALU_CYCLE_1)
	s_and_not1_b32 vcc_lo, exec_lo, s69
	s_wait_loadcnt_dscnt 0x0
	s_barrier_signal -1
	s_barrier_wait -1
	s_cbranch_vccnz .LBB16_1061
; %bb.86:                               ;   in Loop: Header=BB16_3 Depth=1
	s_and_saveexec_b32 s7, s15
	s_cbranch_execz .LBB16_88
; %bb.87:                               ;   in Loop: Header=BB16_3 Depth=1
	ds_load_b64 v[20:21], v5 offset:16376
	ds_load_b32 v22, v5 offset:16120
	s_wait_dscnt 0x0
	v_mul_f32_e32 v21, v22, v21
	s_delay_alu instid0(VALU_DEP_1)
	v_mul_f32_e32 v20, v20, v21
	ds_store_b32 v5, v20 offset:16376
.LBB16_88:                              ;   in Loop: Header=BB16_3 Depth=1
	s_or_b32 exec_lo, exec_lo, s7
	v_mov_b32_e32 v20, 0
	s_wait_dscnt 0x0
	s_barrier_signal -1
	s_barrier_wait -1
	global_wb scope:SCOPE_DEV
	s_wait_storecnt 0x0
	global_inv scope:SCOPE_DEV
	s_and_saveexec_b32 s7, s0
	s_cbranch_execz .LBB16_92
; %bb.89:                               ;   in Loop: Header=BB16_3 Depth=1
	ds_load_b32 v20, v28 offset:16112
	ds_load_b32 v21, v27 offset:16376
	s_wait_dscnt 0x0
	v_fma_f32 v20, v20, v21, 0
	s_and_saveexec_b32 s8, s16
	s_cbranch_execz .LBB16_91
; %bb.90:                               ;   in Loop: Header=BB16_3 Depth=1
	ds_load_b32 v21, v29 offset:16368
	ds_load_b32 v22, v5 offset:16380
	s_wait_dscnt 0x0
	v_fmac_f32_e32 v20, v21, v22
.LBB16_91:                              ;   in Loop: Header=BB16_3 Depth=1
	s_or_b32 exec_lo, exec_lo, s8
.LBB16_92:                              ;   in Loop: Header=BB16_3 Depth=1
	s_delay_alu instid0(SALU_CYCLE_1)
	s_or_b32 exec_lo, exec_lo, s7
	s_and_saveexec_b32 s7, s104
	s_cbranch_execz .LBB16_94
; %bb.93:                               ;   in Loop: Header=BB16_3 Depth=1
	ds_load_b32 v21, v5 offset:15860
	s_wait_dscnt 0x0
	v_mul_f32_e32 v20, v20, v21
	s_delay_alu instid0(VALU_DEP_1)
	v_xor_b32_e32 v21, 0x80000000, v20
	ds_store_b32 v3, v21
.LBB16_94:                              ;   in Loop: Header=BB16_3 Depth=1
	s_or_b32 exec_lo, exec_lo, s7
	s_wait_loadcnt_dscnt 0x0
	s_barrier_signal -1
	s_barrier_wait -1
	s_and_saveexec_b32 s7, vcc_hi
	s_cbranch_execz .LBB16_96
; %bb.95:                               ;   in Loop: Header=BB16_3 Depth=1
	ds_load_b32 v21, v5 offset:15856
	ds_load_b32 v22, v3
	s_wait_dscnt 0x0
	v_fma_f32 v20, -v21, v22, v20
.LBB16_96:                              ;   in Loop: Header=BB16_3 Depth=1
	s_or_b32 exec_lo, exec_lo, s7
	s_barrier_signal -1
	s_barrier_wait -1
	s_and_saveexec_b32 s7, vcc_hi
	s_cbranch_execz .LBB16_98
; %bb.97:                               ;   in Loop: Header=BB16_3 Depth=1
	ds_load_b32 v21, v5 offset:15600
	s_wait_dscnt 0x0
	v_mul_f32_e32 v20, v20, v21
	s_delay_alu instid0(VALU_DEP_1)
	v_xor_b32_e32 v21, 0x80000000, v20
	ds_store_b32 v3, v21
.LBB16_98:                              ;   in Loop: Header=BB16_3 Depth=1
	s_or_b32 exec_lo, exec_lo, s7
	s_wait_dscnt 0x0
	s_barrier_signal -1
	s_barrier_wait -1
	s_barrier_signal -1
	s_barrier_wait -1
	s_and_saveexec_b32 s7, s0
; %bb.99:                               ;   in Loop: Header=BB16_3 Depth=1
	ds_store_b32 v30, v20 offset:16368
; %bb.100:                              ;   in Loop: Header=BB16_3 Depth=1
	s_or_b32 exec_lo, exec_lo, s7
	s_wait_dscnt 0x0
	s_barrier_signal -1
	s_barrier_wait -1
	s_barrier_signal -1
	s_barrier_wait -1
	s_and_saveexec_b32 s7, s15
	s_cbranch_execz .LBB16_102
; %bb.101:                              ;   in Loop: Header=BB16_3 Depth=1
	ds_load_b64 v[20:21], v5 offset:15856
	ds_load_b32 v22, v5 offset:15600
	s_wait_dscnt 0x0
	v_mul_f32_e32 v21, v22, v21
	s_delay_alu instid0(VALU_DEP_1)
	v_mul_f32_e32 v20, v20, v21
	ds_store_b32 v5, v20 offset:15856
.LBB16_102:                             ;   in Loop: Header=BB16_3 Depth=1
	s_or_b32 exec_lo, exec_lo, s7
	v_mov_b32_e32 v20, 0
	s_wait_dscnt 0x0
	s_barrier_signal -1
	s_barrier_wait -1
	global_wb scope:SCOPE_DEV
	s_wait_storecnt 0x0
	global_inv scope:SCOPE_DEV
	s_and_saveexec_b32 s89, s1
	s_cbranch_execz .LBB16_108
; %bb.103:                              ;   in Loop: Header=BB16_3 Depth=1
	ds_load_b32 v20, v33 offset:15584
	ds_load_b32 v21, v32 offset:16368
	s_wait_dscnt 0x0
	v_fma_f32 v20, v20, v21, 0
	s_and_saveexec_b32 s7, s17
	s_cbranch_execnz .LBB16_1145
; %bb.104:                              ;   in Loop: Header=BB16_3 Depth=1
	s_or_b32 exec_lo, exec_lo, s7
	s_and_saveexec_b32 s7, s18
	s_cbranch_execnz .LBB16_1146
.LBB16_105:                             ;   in Loop: Header=BB16_3 Depth=1
	s_or_b32 exec_lo, exec_lo, s7
	s_and_saveexec_b32 s7, s0
	s_cbranch_execz .LBB16_107
.LBB16_106:                             ;   in Loop: Header=BB16_3 Depth=1
	ds_load_b32 v21, v29 offset:16352
	ds_load_b32 v22, v5 offset:16380
	s_wait_dscnt 0x0
	v_fmac_f32_e32 v20, v21, v22
.LBB16_107:                             ;   in Loop: Header=BB16_3 Depth=1
	s_or_b32 exec_lo, exec_lo, s7
.LBB16_108:                             ;   in Loop: Header=BB16_3 Depth=1
	s_delay_alu instid0(SALU_CYCLE_1)
	s_or_b32 exec_lo, exec_lo, s89
	s_and_saveexec_b32 s7, s36
	s_cbranch_execz .LBB16_110
; %bb.109:                              ;   in Loop: Header=BB16_3 Depth=1
	ds_load_b32 v21, v5 offset:15340
	s_wait_dscnt 0x0
	v_mul_f32_e32 v20, v20, v21
	s_delay_alu instid0(VALU_DEP_1)
	v_xor_b32_e32 v21, 0x80000000, v20
	ds_store_b32 v31, v21
.LBB16_110:                             ;   in Loop: Header=BB16_3 Depth=1
	s_or_b32 exec_lo, exec_lo, s7
	s_wait_loadcnt_dscnt 0x0
	s_barrier_signal -1
	s_barrier_wait -1
	s_and_saveexec_b32 s7, s37
	s_cbranch_execz .LBB16_112
; %bb.111:                              ;   in Loop: Header=BB16_3 Depth=1
	ds_load_b32 v21, v33 offset:15328
	ds_load_b32 v22, v31
	s_wait_dscnt 0x0
	v_fma_f32 v20, -v21, v22, v20
.LBB16_112:                             ;   in Loop: Header=BB16_3 Depth=1
	s_or_b32 exec_lo, exec_lo, s7
	s_barrier_signal -1
	s_barrier_wait -1
	s_and_saveexec_b32 s7, s38
	s_cbranch_execz .LBB16_114
; %bb.113:                              ;   in Loop: Header=BB16_3 Depth=1
	ds_load_b32 v21, v5 offset:15080
	s_wait_dscnt 0x0
	v_mul_f32_e32 v20, v20, v21
	s_delay_alu instid0(VALU_DEP_1)
	v_xor_b32_e32 v21, 0x80000000, v20
	ds_store_b32 v31, v21
.LBB16_114:                             ;   in Loop: Header=BB16_3 Depth=1
	s_or_b32 exec_lo, exec_lo, s7
	s_wait_dscnt 0x0
	s_barrier_signal -1
	s_barrier_wait -1
	s_and_saveexec_b32 s7, s39
	s_cbranch_execz .LBB16_116
; %bb.115:                              ;   in Loop: Header=BB16_3 Depth=1
	ds_load_b32 v21, v33 offset:15072
	ds_load_b32 v22, v31
	s_wait_dscnt 0x0
	v_fma_f32 v20, -v21, v22, v20
.LBB16_116:                             ;   in Loop: Header=BB16_3 Depth=1
	s_or_b32 exec_lo, exec_lo, s7
	s_barrier_signal -1
	s_barrier_wait -1
	s_and_saveexec_b32 s7, s40
	s_cbranch_execz .LBB16_118
; %bb.117:                              ;   in Loop: Header=BB16_3 Depth=1
	ds_load_b32 v21, v5 offset:14820
	s_wait_dscnt 0x0
	v_mul_f32_e32 v20, v20, v21
	s_delay_alu instid0(VALU_DEP_1)
	v_xor_b32_e32 v21, 0x80000000, v20
	ds_store_b32 v31, v21
.LBB16_118:                             ;   in Loop: Header=BB16_3 Depth=1
	s_or_b32 exec_lo, exec_lo, s7
	s_wait_dscnt 0x0
	;; [unrolled: 25-line block ×3, first 2 shown]
	s_barrier_signal -1
	s_barrier_wait -1
	s_barrier_signal -1
	s_barrier_wait -1
	s_and_saveexec_b32 s7, s1
; %bb.123:                              ;   in Loop: Header=BB16_3 Depth=1
	ds_store_b32 v34, v20 offset:16352
; %bb.124:                              ;   in Loop: Header=BB16_3 Depth=1
	s_or_b32 exec_lo, exec_lo, s7
	s_wait_dscnt 0x0
	s_barrier_signal -1
	s_barrier_wait -1
	s_barrier_signal -1
	s_barrier_wait -1
	s_and_saveexec_b32 s7, s15
	s_cbranch_execz .LBB16_126
; %bb.125:                              ;   in Loop: Header=BB16_3 Depth=1
	ds_load_b64 v[20:21], v5 offset:15336
	ds_load_b32 v22, v5 offset:15080
	s_wait_dscnt 0x0
	v_mul_f32_e32 v21, v22, v21
	s_delay_alu instid0(VALU_DEP_1)
	v_mul_f32_e32 v20, v20, v21
	ds_store_b32 v5, v20 offset:15336
.LBB16_126:                             ;   in Loop: Header=BB16_3 Depth=1
	s_or_b32 exec_lo, exec_lo, s7
	v_mov_b32_e32 v20, 0
	s_wait_dscnt 0x0
	s_barrier_signal -1
	s_barrier_wait -1
	global_wb scope:SCOPE_DEV
	s_wait_storecnt 0x0
	global_inv scope:SCOPE_DEV
	s_and_saveexec_b32 s7, s0
	s_cbranch_execz .LBB16_130
; %bb.127:                              ;   in Loop: Header=BB16_3 Depth=1
	ds_load_b32 v20, v28 offset:15072
	ds_load_b32 v21, v27 offset:15336
	s_wait_dscnt 0x0
	v_fma_f32 v20, v20, v21, 0
	s_and_saveexec_b32 s8, s16
	s_cbranch_execz .LBB16_129
; %bb.128:                              ;   in Loop: Header=BB16_3 Depth=1
	ds_load_b32 v21, v29 offset:15328
	ds_load_b32 v22, v5 offset:15340
	s_wait_dscnt 0x0
	v_fmac_f32_e32 v20, v21, v22
.LBB16_129:                             ;   in Loop: Header=BB16_3 Depth=1
	s_or_b32 exec_lo, exec_lo, s8
.LBB16_130:                             ;   in Loop: Header=BB16_3 Depth=1
	s_delay_alu instid0(SALU_CYCLE_1)
	s_or_b32 exec_lo, exec_lo, s7
	s_and_saveexec_b32 s7, s104
	s_cbranch_execz .LBB16_132
; %bb.131:                              ;   in Loop: Header=BB16_3 Depth=1
	ds_load_b32 v21, v5 offset:14820
	s_wait_dscnt 0x0
	v_mul_f32_e32 v20, v20, v21
	s_delay_alu instid0(VALU_DEP_1)
	v_xor_b32_e32 v21, 0x80000000, v20
	ds_store_b32 v3, v21
.LBB16_132:                             ;   in Loop: Header=BB16_3 Depth=1
	s_or_b32 exec_lo, exec_lo, s7
	s_wait_loadcnt_dscnt 0x0
	s_barrier_signal -1
	s_barrier_wait -1
	s_and_saveexec_b32 s7, vcc_hi
	s_cbranch_execz .LBB16_134
; %bb.133:                              ;   in Loop: Header=BB16_3 Depth=1
	ds_load_b32 v21, v5 offset:14816
	ds_load_b32 v22, v3
	s_wait_dscnt 0x0
	v_fma_f32 v20, -v21, v22, v20
.LBB16_134:                             ;   in Loop: Header=BB16_3 Depth=1
	s_or_b32 exec_lo, exec_lo, s7
	s_barrier_signal -1
	s_barrier_wait -1
	s_and_saveexec_b32 s7, vcc_hi
	s_cbranch_execz .LBB16_136
; %bb.135:                              ;   in Loop: Header=BB16_3 Depth=1
	ds_load_b32 v21, v5 offset:14560
	s_wait_dscnt 0x0
	v_mul_f32_e32 v20, v20, v21
	s_delay_alu instid0(VALU_DEP_1)
	v_xor_b32_e32 v21, 0x80000000, v20
	ds_store_b32 v3, v21
.LBB16_136:                             ;   in Loop: Header=BB16_3 Depth=1
	s_or_b32 exec_lo, exec_lo, s7
	s_wait_dscnt 0x0
	s_barrier_signal -1
	s_barrier_wait -1
	s_barrier_signal -1
	s_barrier_wait -1
	s_and_saveexec_b32 s7, s0
; %bb.137:                              ;   in Loop: Header=BB16_3 Depth=1
	ds_store_b32 v30, v20 offset:15328
; %bb.138:                              ;   in Loop: Header=BB16_3 Depth=1
	s_or_b32 exec_lo, exec_lo, s7
	s_wait_dscnt 0x0
	s_barrier_signal -1
	s_barrier_wait -1
	s_barrier_signal -1
	s_barrier_wait -1
	s_and_saveexec_b32 s7, s15
	s_cbranch_execz .LBB16_140
; %bb.139:                              ;   in Loop: Header=BB16_3 Depth=1
	ds_load_b64 v[20:21], v5 offset:14816
	ds_load_b32 v22, v5 offset:14560
	s_wait_dscnt 0x0
	v_mul_f32_e32 v21, v22, v21
	s_delay_alu instid0(VALU_DEP_1)
	v_mul_f32_e32 v20, v20, v21
	ds_store_b32 v5, v20 offset:14816
.LBB16_140:                             ;   in Loop: Header=BB16_3 Depth=1
	s_or_b32 exec_lo, exec_lo, s7
	v_mov_b32_e32 v20, 0
	s_wait_dscnt 0x0
	s_barrier_signal -1
	s_barrier_wait -1
	global_wb scope:SCOPE_DEV
	s_wait_storecnt 0x0
	global_inv scope:SCOPE_DEV
	s_and_saveexec_b32 s89, s2
	s_cbranch_execz .LBB16_150
; %bb.141:                              ;   in Loop: Header=BB16_3 Depth=1
	ds_load_b32 v20, v37 offset:14528
	ds_load_b32 v21, v36 offset:16352
	s_wait_dscnt 0x0
	v_fma_f32 v20, v20, v21, 0
	s_and_saveexec_b32 s7, s19
	s_cbranch_execnz .LBB16_1147
; %bb.142:                              ;   in Loop: Header=BB16_3 Depth=1
	s_or_b32 exec_lo, exec_lo, s7
	s_and_saveexec_b32 s7, s20
	s_cbranch_execnz .LBB16_1148
.LBB16_143:                             ;   in Loop: Header=BB16_3 Depth=1
	s_or_b32 exec_lo, exec_lo, s7
	s_and_saveexec_b32 s7, s21
	s_cbranch_execnz .LBB16_1149
.LBB16_144:                             ;   in Loop: Header=BB16_3 Depth=1
	s_or_b32 exec_lo, exec_lo, s7
	s_and_saveexec_b32 s7, s22
	s_cbranch_execnz .LBB16_1150
.LBB16_145:                             ;   in Loop: Header=BB16_3 Depth=1
	s_or_b32 exec_lo, exec_lo, s7
	s_and_saveexec_b32 s7, s23
	s_cbranch_execnz .LBB16_1151
.LBB16_146:                             ;   in Loop: Header=BB16_3 Depth=1
	s_or_b32 exec_lo, exec_lo, s7
	s_and_saveexec_b32 s7, s1
	s_cbranch_execnz .LBB16_1152
.LBB16_147:                             ;   in Loop: Header=BB16_3 Depth=1
	s_or_b32 exec_lo, exec_lo, s7
	s_and_saveexec_b32 s7, s18
	s_cbranch_execz .LBB16_149
.LBB16_148:                             ;   in Loop: Header=BB16_3 Depth=1
	ds_load_b32 v21, v29 offset:16320
	ds_load_b32 v22, v5 offset:16380
	s_wait_dscnt 0x0
	v_fmac_f32_e32 v20, v21, v22
.LBB16_149:                             ;   in Loop: Header=BB16_3 Depth=1
	s_or_b32 exec_lo, exec_lo, s7
.LBB16_150:                             ;   in Loop: Header=BB16_3 Depth=1
	s_delay_alu instid0(SALU_CYCLE_1)
	s_or_b32 exec_lo, exec_lo, s89
	s_and_saveexec_b32 s7, s42
	s_cbranch_execz .LBB16_152
; %bb.151:                              ;   in Loop: Header=BB16_3 Depth=1
	ds_load_b32 v21, v5 offset:14300
	s_wait_dscnt 0x0
	v_mul_f32_e32 v20, v20, v21
	s_delay_alu instid0(VALU_DEP_1)
	v_xor_b32_e32 v21, 0x80000000, v20
	ds_store_b32 v35, v21
.LBB16_152:                             ;   in Loop: Header=BB16_3 Depth=1
	s_or_b32 exec_lo, exec_lo, s7
	s_wait_loadcnt_dscnt 0x0
	s_barrier_signal -1
	s_barrier_wait -1
	s_and_saveexec_b32 s7, s43
	s_cbranch_execz .LBB16_154
; %bb.153:                              ;   in Loop: Header=BB16_3 Depth=1
	ds_load_b32 v21, v37 offset:14272
	ds_load_b32 v22, v35
	s_wait_dscnt 0x0
	v_fma_f32 v20, -v21, v22, v20
.LBB16_154:                             ;   in Loop: Header=BB16_3 Depth=1
	s_or_b32 exec_lo, exec_lo, s7
	s_barrier_signal -1
	s_barrier_wait -1
	s_and_saveexec_b32 s7, s44
	s_cbranch_execz .LBB16_156
; %bb.155:                              ;   in Loop: Header=BB16_3 Depth=1
	ds_load_b32 v21, v5 offset:14040
	s_wait_dscnt 0x0
	v_mul_f32_e32 v20, v20, v21
	s_delay_alu instid0(VALU_DEP_1)
	v_xor_b32_e32 v21, 0x80000000, v20
	ds_store_b32 v35, v21
.LBB16_156:                             ;   in Loop: Header=BB16_3 Depth=1
	s_or_b32 exec_lo, exec_lo, s7
	s_wait_dscnt 0x0
	s_barrier_signal -1
	s_barrier_wait -1
	s_and_saveexec_b32 s7, s45
	s_cbranch_execz .LBB16_158
; %bb.157:                              ;   in Loop: Header=BB16_3 Depth=1
	ds_load_b32 v21, v37 offset:14016
	ds_load_b32 v22, v35
	s_wait_dscnt 0x0
	v_fma_f32 v20, -v21, v22, v20
.LBB16_158:                             ;   in Loop: Header=BB16_3 Depth=1
	s_or_b32 exec_lo, exec_lo, s7
	s_barrier_signal -1
	s_barrier_wait -1
	s_and_saveexec_b32 s7, s46
	s_cbranch_execz .LBB16_160
; %bb.159:                              ;   in Loop: Header=BB16_3 Depth=1
	ds_load_b32 v21, v5 offset:13780
	s_wait_dscnt 0x0
	v_mul_f32_e32 v20, v20, v21
	s_delay_alu instid0(VALU_DEP_1)
	v_xor_b32_e32 v21, 0x80000000, v20
	ds_store_b32 v35, v21
.LBB16_160:                             ;   in Loop: Header=BB16_3 Depth=1
	s_or_b32 exec_lo, exec_lo, s7
	s_wait_dscnt 0x0
	;; [unrolled: 25-line block ×7, first 2 shown]
	s_barrier_signal -1
	s_barrier_wait -1
	s_barrier_signal -1
	s_barrier_wait -1
	s_and_saveexec_b32 s7, s2
; %bb.181:                              ;   in Loop: Header=BB16_3 Depth=1
	ds_store_b32 v38, v20 offset:16320
; %bb.182:                              ;   in Loop: Header=BB16_3 Depth=1
	s_or_b32 exec_lo, exec_lo, s7
	s_wait_dscnt 0x0
	s_barrier_signal -1
	s_barrier_wait -1
	s_barrier_signal -1
	s_barrier_wait -1
	s_and_saveexec_b32 s7, s15
	s_cbranch_execz .LBB16_184
; %bb.183:                              ;   in Loop: Header=BB16_3 Depth=1
	ds_load_b64 v[20:21], v5 offset:14296
	ds_load_b32 v22, v5 offset:14040
	s_wait_dscnt 0x0
	v_mul_f32_e32 v21, v22, v21
	s_delay_alu instid0(VALU_DEP_1)
	v_mul_f32_e32 v20, v20, v21
	ds_store_b32 v5, v20 offset:14296
.LBB16_184:                             ;   in Loop: Header=BB16_3 Depth=1
	s_or_b32 exec_lo, exec_lo, s7
	v_mov_b32_e32 v20, 0
	s_wait_dscnt 0x0
	s_barrier_signal -1
	s_barrier_wait -1
	global_wb scope:SCOPE_DEV
	s_wait_storecnt 0x0
	global_inv scope:SCOPE_DEV
	s_and_saveexec_b32 s7, s0
	s_cbranch_execz .LBB16_188
; %bb.185:                              ;   in Loop: Header=BB16_3 Depth=1
	ds_load_b32 v20, v28 offset:14032
	ds_load_b32 v21, v27 offset:14296
	s_wait_dscnt 0x0
	v_fma_f32 v20, v20, v21, 0
	s_and_saveexec_b32 s8, s16
	s_cbranch_execz .LBB16_187
; %bb.186:                              ;   in Loop: Header=BB16_3 Depth=1
	ds_load_b32 v21, v29 offset:14288
	ds_load_b32 v22, v5 offset:14300
	s_wait_dscnt 0x0
	v_fmac_f32_e32 v20, v21, v22
.LBB16_187:                             ;   in Loop: Header=BB16_3 Depth=1
	s_or_b32 exec_lo, exec_lo, s8
.LBB16_188:                             ;   in Loop: Header=BB16_3 Depth=1
	s_delay_alu instid0(SALU_CYCLE_1)
	s_or_b32 exec_lo, exec_lo, s7
	s_and_saveexec_b32 s7, s104
	s_cbranch_execz .LBB16_190
; %bb.189:                              ;   in Loop: Header=BB16_3 Depth=1
	ds_load_b32 v21, v5 offset:13780
	s_wait_dscnt 0x0
	v_mul_f32_e32 v20, v20, v21
	s_delay_alu instid0(VALU_DEP_1)
	v_xor_b32_e32 v21, 0x80000000, v20
	ds_store_b32 v3, v21
.LBB16_190:                             ;   in Loop: Header=BB16_3 Depth=1
	s_or_b32 exec_lo, exec_lo, s7
	s_wait_loadcnt_dscnt 0x0
	s_barrier_signal -1
	s_barrier_wait -1
	s_and_saveexec_b32 s7, vcc_hi
	s_cbranch_execz .LBB16_192
; %bb.191:                              ;   in Loop: Header=BB16_3 Depth=1
	ds_load_b32 v21, v5 offset:13776
	ds_load_b32 v22, v3
	s_wait_dscnt 0x0
	v_fma_f32 v20, -v21, v22, v20
.LBB16_192:                             ;   in Loop: Header=BB16_3 Depth=1
	s_or_b32 exec_lo, exec_lo, s7
	s_barrier_signal -1
	s_barrier_wait -1
	s_and_saveexec_b32 s7, vcc_hi
	s_cbranch_execz .LBB16_194
; %bb.193:                              ;   in Loop: Header=BB16_3 Depth=1
	ds_load_b32 v21, v5 offset:13520
	s_wait_dscnt 0x0
	v_mul_f32_e32 v20, v20, v21
	s_delay_alu instid0(VALU_DEP_1)
	v_xor_b32_e32 v21, 0x80000000, v20
	ds_store_b32 v3, v21
.LBB16_194:                             ;   in Loop: Header=BB16_3 Depth=1
	s_or_b32 exec_lo, exec_lo, s7
	s_wait_dscnt 0x0
	s_barrier_signal -1
	s_barrier_wait -1
	s_barrier_signal -1
	s_barrier_wait -1
	s_and_saveexec_b32 s7, s0
; %bb.195:                              ;   in Loop: Header=BB16_3 Depth=1
	ds_store_b32 v30, v20 offset:14288
; %bb.196:                              ;   in Loop: Header=BB16_3 Depth=1
	s_or_b32 exec_lo, exec_lo, s7
	s_wait_dscnt 0x0
	s_barrier_signal -1
	s_barrier_wait -1
	s_barrier_signal -1
	s_barrier_wait -1
	s_and_saveexec_b32 s7, s15
	s_cbranch_execz .LBB16_198
; %bb.197:                              ;   in Loop: Header=BB16_3 Depth=1
	ds_load_b64 v[20:21], v5 offset:13776
	ds_load_b32 v22, v5 offset:13520
	s_wait_dscnt 0x0
	v_mul_f32_e32 v21, v22, v21
	s_delay_alu instid0(VALU_DEP_1)
	v_mul_f32_e32 v20, v20, v21
	ds_store_b32 v5, v20 offset:13776
.LBB16_198:                             ;   in Loop: Header=BB16_3 Depth=1
	s_or_b32 exec_lo, exec_lo, s7
	v_mov_b32_e32 v20, 0
	s_wait_dscnt 0x0
	s_barrier_signal -1
	s_barrier_wait -1
	global_wb scope:SCOPE_DEV
	s_wait_storecnt 0x0
	global_inv scope:SCOPE_DEV
	s_and_saveexec_b32 s89, s1
	s_cbranch_execz .LBB16_204
; %bb.199:                              ;   in Loop: Header=BB16_3 Depth=1
	ds_load_b32 v20, v33 offset:13504
	ds_load_b32 v21, v32 offset:14288
	s_wait_dscnt 0x0
	v_fma_f32 v20, v20, v21, 0
	s_and_saveexec_b32 s7, s17
	s_cbranch_execnz .LBB16_1153
; %bb.200:                              ;   in Loop: Header=BB16_3 Depth=1
	s_or_b32 exec_lo, exec_lo, s7
	s_and_saveexec_b32 s7, s18
	s_cbranch_execnz .LBB16_1154
.LBB16_201:                             ;   in Loop: Header=BB16_3 Depth=1
	s_or_b32 exec_lo, exec_lo, s7
	s_and_saveexec_b32 s7, s0
	s_cbranch_execz .LBB16_203
.LBB16_202:                             ;   in Loop: Header=BB16_3 Depth=1
	ds_load_b32 v21, v29 offset:14272
	ds_load_b32 v22, v5 offset:14300
	s_wait_dscnt 0x0
	v_fmac_f32_e32 v20, v21, v22
.LBB16_203:                             ;   in Loop: Header=BB16_3 Depth=1
	s_or_b32 exec_lo, exec_lo, s7
.LBB16_204:                             ;   in Loop: Header=BB16_3 Depth=1
	s_delay_alu instid0(SALU_CYCLE_1)
	s_or_b32 exec_lo, exec_lo, s89
	s_and_saveexec_b32 s7, s36
	s_cbranch_execz .LBB16_206
; %bb.205:                              ;   in Loop: Header=BB16_3 Depth=1
	ds_load_b32 v21, v5 offset:13260
	s_wait_dscnt 0x0
	v_mul_f32_e32 v20, v20, v21
	s_delay_alu instid0(VALU_DEP_1)
	v_xor_b32_e32 v21, 0x80000000, v20
	ds_store_b32 v31, v21
.LBB16_206:                             ;   in Loop: Header=BB16_3 Depth=1
	s_or_b32 exec_lo, exec_lo, s7
	s_wait_loadcnt_dscnt 0x0
	s_barrier_signal -1
	s_barrier_wait -1
	s_and_saveexec_b32 s7, s37
	s_cbranch_execz .LBB16_208
; %bb.207:                              ;   in Loop: Header=BB16_3 Depth=1
	ds_load_b32 v21, v33 offset:13248
	ds_load_b32 v22, v31
	s_wait_dscnt 0x0
	v_fma_f32 v20, -v21, v22, v20
.LBB16_208:                             ;   in Loop: Header=BB16_3 Depth=1
	s_or_b32 exec_lo, exec_lo, s7
	s_barrier_signal -1
	s_barrier_wait -1
	s_and_saveexec_b32 s7, s38
	s_cbranch_execz .LBB16_210
; %bb.209:                              ;   in Loop: Header=BB16_3 Depth=1
	ds_load_b32 v21, v5 offset:13000
	s_wait_dscnt 0x0
	v_mul_f32_e32 v20, v20, v21
	s_delay_alu instid0(VALU_DEP_1)
	v_xor_b32_e32 v21, 0x80000000, v20
	ds_store_b32 v31, v21
.LBB16_210:                             ;   in Loop: Header=BB16_3 Depth=1
	s_or_b32 exec_lo, exec_lo, s7
	s_wait_dscnt 0x0
	s_barrier_signal -1
	s_barrier_wait -1
	s_and_saveexec_b32 s7, s39
	s_cbranch_execz .LBB16_212
; %bb.211:                              ;   in Loop: Header=BB16_3 Depth=1
	ds_load_b32 v21, v33 offset:12992
	ds_load_b32 v22, v31
	s_wait_dscnt 0x0
	v_fma_f32 v20, -v21, v22, v20
.LBB16_212:                             ;   in Loop: Header=BB16_3 Depth=1
	s_or_b32 exec_lo, exec_lo, s7
	s_barrier_signal -1
	s_barrier_wait -1
	s_and_saveexec_b32 s7, s40
	s_cbranch_execz .LBB16_214
; %bb.213:                              ;   in Loop: Header=BB16_3 Depth=1
	ds_load_b32 v21, v5 offset:12740
	s_wait_dscnt 0x0
	v_mul_f32_e32 v20, v20, v21
	s_delay_alu instid0(VALU_DEP_1)
	v_xor_b32_e32 v21, 0x80000000, v20
	ds_store_b32 v31, v21
.LBB16_214:                             ;   in Loop: Header=BB16_3 Depth=1
	s_or_b32 exec_lo, exec_lo, s7
	s_wait_dscnt 0x0
	;; [unrolled: 25-line block ×3, first 2 shown]
	s_barrier_signal -1
	s_barrier_wait -1
	s_barrier_signal -1
	s_barrier_wait -1
	s_and_saveexec_b32 s7, s1
; %bb.219:                              ;   in Loop: Header=BB16_3 Depth=1
	ds_store_b32 v34, v20 offset:14272
; %bb.220:                              ;   in Loop: Header=BB16_3 Depth=1
	s_or_b32 exec_lo, exec_lo, s7
	s_wait_dscnt 0x0
	s_barrier_signal -1
	s_barrier_wait -1
	s_barrier_signal -1
	s_barrier_wait -1
	s_and_saveexec_b32 s7, s15
	s_cbranch_execz .LBB16_222
; %bb.221:                              ;   in Loop: Header=BB16_3 Depth=1
	ds_load_b64 v[20:21], v5 offset:13256
	ds_load_b32 v22, v5 offset:13000
	s_wait_dscnt 0x0
	v_mul_f32_e32 v21, v22, v21
	s_delay_alu instid0(VALU_DEP_1)
	v_mul_f32_e32 v20, v20, v21
	ds_store_b32 v5, v20 offset:13256
.LBB16_222:                             ;   in Loop: Header=BB16_3 Depth=1
	s_or_b32 exec_lo, exec_lo, s7
	v_mov_b32_e32 v20, 0
	s_wait_dscnt 0x0
	s_barrier_signal -1
	s_barrier_wait -1
	global_wb scope:SCOPE_DEV
	s_wait_storecnt 0x0
	global_inv scope:SCOPE_DEV
	s_and_saveexec_b32 s7, s0
	s_cbranch_execz .LBB16_226
; %bb.223:                              ;   in Loop: Header=BB16_3 Depth=1
	ds_load_b32 v20, v28 offset:12992
	ds_load_b32 v21, v27 offset:13256
	s_wait_dscnt 0x0
	v_fma_f32 v20, v20, v21, 0
	s_and_saveexec_b32 s8, s16
	s_cbranch_execz .LBB16_225
; %bb.224:                              ;   in Loop: Header=BB16_3 Depth=1
	ds_load_b32 v21, v29 offset:13248
	ds_load_b32 v22, v5 offset:13260
	s_wait_dscnt 0x0
	v_fmac_f32_e32 v20, v21, v22
.LBB16_225:                             ;   in Loop: Header=BB16_3 Depth=1
	s_or_b32 exec_lo, exec_lo, s8
.LBB16_226:                             ;   in Loop: Header=BB16_3 Depth=1
	s_delay_alu instid0(SALU_CYCLE_1)
	s_or_b32 exec_lo, exec_lo, s7
	s_and_saveexec_b32 s7, s104
	s_cbranch_execz .LBB16_228
; %bb.227:                              ;   in Loop: Header=BB16_3 Depth=1
	ds_load_b32 v21, v5 offset:12740
	s_wait_dscnt 0x0
	v_mul_f32_e32 v20, v20, v21
	s_delay_alu instid0(VALU_DEP_1)
	v_xor_b32_e32 v21, 0x80000000, v20
	ds_store_b32 v3, v21
.LBB16_228:                             ;   in Loop: Header=BB16_3 Depth=1
	s_or_b32 exec_lo, exec_lo, s7
	s_wait_loadcnt_dscnt 0x0
	s_barrier_signal -1
	s_barrier_wait -1
	s_and_saveexec_b32 s7, vcc_hi
	s_cbranch_execz .LBB16_230
; %bb.229:                              ;   in Loop: Header=BB16_3 Depth=1
	ds_load_b32 v21, v5 offset:12736
	ds_load_b32 v22, v3
	s_wait_dscnt 0x0
	v_fma_f32 v20, -v21, v22, v20
.LBB16_230:                             ;   in Loop: Header=BB16_3 Depth=1
	s_or_b32 exec_lo, exec_lo, s7
	s_barrier_signal -1
	s_barrier_wait -1
	s_and_saveexec_b32 s7, vcc_hi
	s_cbranch_execz .LBB16_232
; %bb.231:                              ;   in Loop: Header=BB16_3 Depth=1
	ds_load_b32 v21, v5 offset:12480
	s_wait_dscnt 0x0
	v_mul_f32_e32 v20, v20, v21
	s_delay_alu instid0(VALU_DEP_1)
	v_xor_b32_e32 v21, 0x80000000, v20
	ds_store_b32 v3, v21
.LBB16_232:                             ;   in Loop: Header=BB16_3 Depth=1
	s_or_b32 exec_lo, exec_lo, s7
	s_wait_dscnt 0x0
	s_barrier_signal -1
	s_barrier_wait -1
	s_barrier_signal -1
	s_barrier_wait -1
	s_and_saveexec_b32 s7, s0
; %bb.233:                              ;   in Loop: Header=BB16_3 Depth=1
	ds_store_b32 v30, v20 offset:13248
; %bb.234:                              ;   in Loop: Header=BB16_3 Depth=1
	s_or_b32 exec_lo, exec_lo, s7
	s_wait_dscnt 0x0
	s_barrier_signal -1
	s_barrier_wait -1
	s_barrier_signal -1
	s_barrier_wait -1
	s_and_saveexec_b32 s7, s15
	s_cbranch_execz .LBB16_236
; %bb.235:                              ;   in Loop: Header=BB16_3 Depth=1
	ds_load_b64 v[20:21], v5 offset:12736
	ds_load_b32 v22, v5 offset:12480
	s_wait_dscnt 0x0
	v_mul_f32_e32 v21, v22, v21
	s_delay_alu instid0(VALU_DEP_1)
	v_mul_f32_e32 v20, v20, v21
	ds_store_b32 v5, v20 offset:12736
.LBB16_236:                             ;   in Loop: Header=BB16_3 Depth=1
	s_or_b32 exec_lo, exec_lo, s7
	v_mov_b32_e32 v20, 0
	s_wait_dscnt 0x0
	s_barrier_signal -1
	s_barrier_wait -1
	global_wb scope:SCOPE_DEV
	s_wait_storecnt 0x0
	global_inv scope:SCOPE_DEV
	s_and_saveexec_b32 s89, s3
	s_cbranch_execz .LBB16_264
; %bb.237:                              ;   in Loop: Header=BB16_3 Depth=1
	ds_load_b32 v20, v41 offset:12416
	ds_load_b32 v21, v40 offset:16320
	s_wait_dscnt 0x0
	v_fma_f32 v20, v20, v21, 0
	s_mov_b32 s7, exec_lo
	v_readlane_b32 s8, v70, 28
	s_and_b32 s8, s7, s8
	s_delay_alu instid0(SALU_CYCLE_1)
	s_mov_b32 exec_lo, s8
	s_cbranch_execz .LBB16_239
; %bb.238:                              ;   in Loop: Header=BB16_3 Depth=1
	ds_load_b32 v21, v41 offset:12672
	ds_load_b32 v22, v40 offset:16324
	s_wait_dscnt 0x0
	v_fmac_f32_e32 v20, v21, v22
.LBB16_239:                             ;   in Loop: Header=BB16_3 Depth=1
	s_or_b32 exec_lo, exec_lo, s7
	s_delay_alu instid0(SALU_CYCLE_1) | instskip(SKIP_2) | instid1(SALU_CYCLE_1)
	s_mov_b32 s7, exec_lo
	v_readlane_b32 s8, v70, 29
	s_and_b32 s8, s7, s8
	s_mov_b32 exec_lo, s8
	s_cbranch_execz .LBB16_241
; %bb.240:                              ;   in Loop: Header=BB16_3 Depth=1
	ds_load_b32 v21, v41 offset:12928
	ds_load_b32 v22, v40 offset:16328
	s_wait_dscnt 0x0
	v_fmac_f32_e32 v20, v21, v22
.LBB16_241:                             ;   in Loop: Header=BB16_3 Depth=1
	s_or_b32 exec_lo, exec_lo, s7
	s_delay_alu instid0(SALU_CYCLE_1) | instskip(SKIP_2) | instid1(SALU_CYCLE_1)
	s_mov_b32 s7, exec_lo
	v_readlane_b32 s8, v70, 30
	s_and_b32 s8, s7, s8
	;; [unrolled: 13-line block ×10, first 2 shown]
	s_mov_b32 exec_lo, s8
	s_cbranch_execnz .LBB16_1155
; %bb.258:                              ;   in Loop: Header=BB16_3 Depth=1
	s_or_b32 exec_lo, exec_lo, s7
	s_and_saveexec_b32 s7, s2
	s_cbranch_execnz .LBB16_1156
.LBB16_259:                             ;   in Loop: Header=BB16_3 Depth=1
	s_or_b32 exec_lo, exec_lo, s7
	s_and_saveexec_b32 s7, s20
	s_cbranch_execnz .LBB16_1157
.LBB16_260:                             ;   in Loop: Header=BB16_3 Depth=1
	s_or_b32 exec_lo, exec_lo, s7
	s_and_saveexec_b32 s7, s22
	s_cbranch_execnz .LBB16_1158
.LBB16_261:                             ;   in Loop: Header=BB16_3 Depth=1
	s_or_b32 exec_lo, exec_lo, s7
	s_and_saveexec_b32 s7, s1
	s_cbranch_execz .LBB16_263
.LBB16_262:                             ;   in Loop: Header=BB16_3 Depth=1
	ds_load_b32 v21, v29 offset:16256
	ds_load_b32 v22, v5 offset:16380
	s_wait_dscnt 0x0
	v_fmac_f32_e32 v20, v21, v22
.LBB16_263:                             ;   in Loop: Header=BB16_3 Depth=1
	s_or_b32 exec_lo, exec_lo, s7
.LBB16_264:                             ;   in Loop: Header=BB16_3 Depth=1
	s_delay_alu instid0(SALU_CYCLE_1)
	s_or_b32 exec_lo, exec_lo, s89
	s_and_saveexec_b32 s7, s56
	s_cbranch_execz .LBB16_266
; %bb.265:                              ;   in Loop: Header=BB16_3 Depth=1
	ds_load_b32 v21, v5 offset:12220
	s_wait_dscnt 0x0
	v_mul_f32_e32 v20, v20, v21
	s_delay_alu instid0(VALU_DEP_1)
	v_xor_b32_e32 v21, 0x80000000, v20
	ds_store_b32 v39, v21
.LBB16_266:                             ;   in Loop: Header=BB16_3 Depth=1
	s_or_b32 exec_lo, exec_lo, s7
	s_wait_loadcnt_dscnt 0x0
	s_barrier_signal -1
	s_barrier_wait -1
	s_and_saveexec_b32 s7, s57
	s_cbranch_execz .LBB16_268
; %bb.267:                              ;   in Loop: Header=BB16_3 Depth=1
	ds_load_b32 v21, v41 offset:12160
	ds_load_b32 v22, v39
	s_wait_dscnt 0x0
	v_fma_f32 v20, -v21, v22, v20
.LBB16_268:                             ;   in Loop: Header=BB16_3 Depth=1
	s_or_b32 exec_lo, exec_lo, s7
	s_barrier_signal -1
	s_barrier_wait -1
	s_and_saveexec_b32 s7, s58
	s_cbranch_execz .LBB16_270
; %bb.269:                              ;   in Loop: Header=BB16_3 Depth=1
	ds_load_b32 v21, v5 offset:11960
	s_wait_dscnt 0x0
	v_mul_f32_e32 v20, v20, v21
	s_delay_alu instid0(VALU_DEP_1)
	v_xor_b32_e32 v21, 0x80000000, v20
	ds_store_b32 v39, v21
.LBB16_270:                             ;   in Loop: Header=BB16_3 Depth=1
	s_or_b32 exec_lo, exec_lo, s7
	s_wait_dscnt 0x0
	s_barrier_signal -1
	s_barrier_wait -1
	s_and_saveexec_b32 s7, s65
	s_cbranch_execz .LBB16_272
; %bb.271:                              ;   in Loop: Header=BB16_3 Depth=1
	ds_load_b32 v21, v41 offset:11904
	ds_load_b32 v22, v39
	s_wait_dscnt 0x0
	v_fma_f32 v20, -v21, v22, v20
.LBB16_272:                             ;   in Loop: Header=BB16_3 Depth=1
	s_or_b32 exec_lo, exec_lo, s7
	s_barrier_signal -1
	s_barrier_wait -1
	s_and_saveexec_b32 s7, s66
	s_cbranch_execz .LBB16_274
; %bb.273:                              ;   in Loop: Header=BB16_3 Depth=1
	ds_load_b32 v21, v5 offset:11700
	s_wait_dscnt 0x0
	v_mul_f32_e32 v20, v20, v21
	s_delay_alu instid0(VALU_DEP_1)
	v_xor_b32_e32 v21, 0x80000000, v20
	ds_store_b32 v39, v21
.LBB16_274:                             ;   in Loop: Header=BB16_3 Depth=1
	s_or_b32 exec_lo, exec_lo, s7
	s_wait_dscnt 0x0
	;; [unrolled: 25-line block ×15, first 2 shown]
	s_barrier_signal -1
	s_barrier_wait -1
	s_barrier_signal -1
	s_barrier_wait -1
	s_and_saveexec_b32 s7, s3
; %bb.327:                              ;   in Loop: Header=BB16_3 Depth=1
	ds_store_b32 v42, v20 offset:16256
; %bb.328:                              ;   in Loop: Header=BB16_3 Depth=1
	s_or_b32 exec_lo, exec_lo, s7
	s_wait_dscnt 0x0
	s_barrier_signal -1
	s_barrier_wait -1
	s_barrier_signal -1
	s_barrier_wait -1
	s_and_saveexec_b32 s7, s15
	s_cbranch_execz .LBB16_330
; %bb.329:                              ;   in Loop: Header=BB16_3 Depth=1
	ds_load_b64 v[20:21], v5 offset:12216
	ds_load_b32 v22, v5 offset:11960
	s_wait_dscnt 0x0
	v_mul_f32_e32 v21, v22, v21
	s_delay_alu instid0(VALU_DEP_1)
	v_mul_f32_e32 v20, v20, v21
	ds_store_b32 v5, v20 offset:12216
.LBB16_330:                             ;   in Loop: Header=BB16_3 Depth=1
	s_or_b32 exec_lo, exec_lo, s7
	v_mov_b32_e32 v20, 0
	s_wait_dscnt 0x0
	s_barrier_signal -1
	s_barrier_wait -1
	global_wb scope:SCOPE_DEV
	s_wait_storecnt 0x0
	global_inv scope:SCOPE_DEV
	s_and_saveexec_b32 s7, s0
	s_cbranch_execz .LBB16_334
; %bb.331:                              ;   in Loop: Header=BB16_3 Depth=1
	ds_load_b32 v20, v28 offset:11952
	ds_load_b32 v21, v27 offset:12216
	s_wait_dscnt 0x0
	v_fma_f32 v20, v20, v21, 0
	s_and_saveexec_b32 s8, s16
	s_cbranch_execz .LBB16_333
; %bb.332:                              ;   in Loop: Header=BB16_3 Depth=1
	ds_load_b32 v21, v29 offset:12208
	ds_load_b32 v22, v5 offset:12220
	s_wait_dscnt 0x0
	v_fmac_f32_e32 v20, v21, v22
.LBB16_333:                             ;   in Loop: Header=BB16_3 Depth=1
	s_or_b32 exec_lo, exec_lo, s8
.LBB16_334:                             ;   in Loop: Header=BB16_3 Depth=1
	s_delay_alu instid0(SALU_CYCLE_1)
	s_or_b32 exec_lo, exec_lo, s7
	s_and_saveexec_b32 s7, s104
	s_cbranch_execz .LBB16_336
; %bb.335:                              ;   in Loop: Header=BB16_3 Depth=1
	ds_load_b32 v21, v5 offset:11700
	s_wait_dscnt 0x0
	v_mul_f32_e32 v20, v20, v21
	s_delay_alu instid0(VALU_DEP_1)
	v_xor_b32_e32 v21, 0x80000000, v20
	ds_store_b32 v3, v21
.LBB16_336:                             ;   in Loop: Header=BB16_3 Depth=1
	s_or_b32 exec_lo, exec_lo, s7
	s_wait_loadcnt_dscnt 0x0
	s_barrier_signal -1
	s_barrier_wait -1
	s_and_saveexec_b32 s7, vcc_hi
	s_cbranch_execz .LBB16_338
; %bb.337:                              ;   in Loop: Header=BB16_3 Depth=1
	ds_load_b32 v21, v5 offset:11696
	ds_load_b32 v22, v3
	s_wait_dscnt 0x0
	v_fma_f32 v20, -v21, v22, v20
.LBB16_338:                             ;   in Loop: Header=BB16_3 Depth=1
	s_or_b32 exec_lo, exec_lo, s7
	s_barrier_signal -1
	s_barrier_wait -1
	s_and_saveexec_b32 s7, vcc_hi
	s_cbranch_execz .LBB16_340
; %bb.339:                              ;   in Loop: Header=BB16_3 Depth=1
	ds_load_b32 v21, v5 offset:11440
	s_wait_dscnt 0x0
	v_mul_f32_e32 v20, v20, v21
	s_delay_alu instid0(VALU_DEP_1)
	v_xor_b32_e32 v21, 0x80000000, v20
	ds_store_b32 v3, v21
.LBB16_340:                             ;   in Loop: Header=BB16_3 Depth=1
	s_or_b32 exec_lo, exec_lo, s7
	s_wait_dscnt 0x0
	s_barrier_signal -1
	s_barrier_wait -1
	s_barrier_signal -1
	s_barrier_wait -1
	s_and_saveexec_b32 s7, s0
; %bb.341:                              ;   in Loop: Header=BB16_3 Depth=1
	ds_store_b32 v30, v20 offset:12208
; %bb.342:                              ;   in Loop: Header=BB16_3 Depth=1
	s_or_b32 exec_lo, exec_lo, s7
	s_wait_dscnt 0x0
	s_barrier_signal -1
	s_barrier_wait -1
	s_barrier_signal -1
	s_barrier_wait -1
	s_and_saveexec_b32 s7, s15
	s_cbranch_execz .LBB16_344
; %bb.343:                              ;   in Loop: Header=BB16_3 Depth=1
	ds_load_b64 v[20:21], v5 offset:11696
	ds_load_b32 v22, v5 offset:11440
	s_wait_dscnt 0x0
	v_mul_f32_e32 v21, v22, v21
	s_delay_alu instid0(VALU_DEP_1)
	v_mul_f32_e32 v20, v20, v21
	ds_store_b32 v5, v20 offset:11696
.LBB16_344:                             ;   in Loop: Header=BB16_3 Depth=1
	s_or_b32 exec_lo, exec_lo, s7
	v_mov_b32_e32 v20, 0
	s_wait_dscnt 0x0
	s_barrier_signal -1
	s_barrier_wait -1
	global_wb scope:SCOPE_DEV
	s_wait_storecnt 0x0
	global_inv scope:SCOPE_DEV
	s_and_saveexec_b32 s89, s1
	s_cbranch_execz .LBB16_350
; %bb.345:                              ;   in Loop: Header=BB16_3 Depth=1
	ds_load_b32 v20, v33 offset:11424
	ds_load_b32 v21, v32 offset:12208
	s_wait_dscnt 0x0
	v_fma_f32 v20, v20, v21, 0
	s_and_saveexec_b32 s7, s17
	s_cbranch_execnz .LBB16_1159
; %bb.346:                              ;   in Loop: Header=BB16_3 Depth=1
	s_or_b32 exec_lo, exec_lo, s7
	s_and_saveexec_b32 s7, s18
	s_cbranch_execnz .LBB16_1160
.LBB16_347:                             ;   in Loop: Header=BB16_3 Depth=1
	s_or_b32 exec_lo, exec_lo, s7
	s_and_saveexec_b32 s7, s0
	s_cbranch_execz .LBB16_349
.LBB16_348:                             ;   in Loop: Header=BB16_3 Depth=1
	ds_load_b32 v21, v29 offset:12192
	ds_load_b32 v22, v5 offset:12220
	s_wait_dscnt 0x0
	v_fmac_f32_e32 v20, v21, v22
.LBB16_349:                             ;   in Loop: Header=BB16_3 Depth=1
	s_or_b32 exec_lo, exec_lo, s7
.LBB16_350:                             ;   in Loop: Header=BB16_3 Depth=1
	s_delay_alu instid0(SALU_CYCLE_1)
	s_or_b32 exec_lo, exec_lo, s89
	s_and_saveexec_b32 s7, s36
	s_cbranch_execz .LBB16_352
; %bb.351:                              ;   in Loop: Header=BB16_3 Depth=1
	ds_load_b32 v21, v5 offset:11180
	s_wait_dscnt 0x0
	v_mul_f32_e32 v20, v20, v21
	s_delay_alu instid0(VALU_DEP_1)
	v_xor_b32_e32 v21, 0x80000000, v20
	ds_store_b32 v31, v21
.LBB16_352:                             ;   in Loop: Header=BB16_3 Depth=1
	s_or_b32 exec_lo, exec_lo, s7
	s_wait_loadcnt_dscnt 0x0
	s_barrier_signal -1
	s_barrier_wait -1
	s_and_saveexec_b32 s7, s37
	s_cbranch_execz .LBB16_354
; %bb.353:                              ;   in Loop: Header=BB16_3 Depth=1
	ds_load_b32 v21, v33 offset:11168
	ds_load_b32 v22, v31
	s_wait_dscnt 0x0
	v_fma_f32 v20, -v21, v22, v20
.LBB16_354:                             ;   in Loop: Header=BB16_3 Depth=1
	s_or_b32 exec_lo, exec_lo, s7
	s_barrier_signal -1
	s_barrier_wait -1
	s_and_saveexec_b32 s7, s38
	s_cbranch_execz .LBB16_356
; %bb.355:                              ;   in Loop: Header=BB16_3 Depth=1
	ds_load_b32 v21, v5 offset:10920
	s_wait_dscnt 0x0
	v_mul_f32_e32 v20, v20, v21
	s_delay_alu instid0(VALU_DEP_1)
	v_xor_b32_e32 v21, 0x80000000, v20
	ds_store_b32 v31, v21
.LBB16_356:                             ;   in Loop: Header=BB16_3 Depth=1
	s_or_b32 exec_lo, exec_lo, s7
	s_wait_dscnt 0x0
	s_barrier_signal -1
	s_barrier_wait -1
	s_and_saveexec_b32 s7, s39
	s_cbranch_execz .LBB16_358
; %bb.357:                              ;   in Loop: Header=BB16_3 Depth=1
	ds_load_b32 v21, v33 offset:10912
	ds_load_b32 v22, v31
	s_wait_dscnt 0x0
	v_fma_f32 v20, -v21, v22, v20
.LBB16_358:                             ;   in Loop: Header=BB16_3 Depth=1
	s_or_b32 exec_lo, exec_lo, s7
	s_barrier_signal -1
	s_barrier_wait -1
	s_and_saveexec_b32 s7, s40
	s_cbranch_execz .LBB16_360
; %bb.359:                              ;   in Loop: Header=BB16_3 Depth=1
	ds_load_b32 v21, v5 offset:10660
	s_wait_dscnt 0x0
	v_mul_f32_e32 v20, v20, v21
	s_delay_alu instid0(VALU_DEP_1)
	v_xor_b32_e32 v21, 0x80000000, v20
	ds_store_b32 v31, v21
.LBB16_360:                             ;   in Loop: Header=BB16_3 Depth=1
	s_or_b32 exec_lo, exec_lo, s7
	s_wait_dscnt 0x0
	;; [unrolled: 25-line block ×3, first 2 shown]
	s_barrier_signal -1
	s_barrier_wait -1
	s_barrier_signal -1
	s_barrier_wait -1
	s_and_saveexec_b32 s7, s1
; %bb.365:                              ;   in Loop: Header=BB16_3 Depth=1
	ds_store_b32 v34, v20 offset:12192
; %bb.366:                              ;   in Loop: Header=BB16_3 Depth=1
	s_or_b32 exec_lo, exec_lo, s7
	s_wait_dscnt 0x0
	s_barrier_signal -1
	s_barrier_wait -1
	s_barrier_signal -1
	s_barrier_wait -1
	s_and_saveexec_b32 s7, s15
	s_cbranch_execz .LBB16_368
; %bb.367:                              ;   in Loop: Header=BB16_3 Depth=1
	ds_load_b64 v[20:21], v5 offset:11176
	ds_load_b32 v22, v5 offset:10920
	s_wait_dscnt 0x0
	v_mul_f32_e32 v21, v22, v21
	s_delay_alu instid0(VALU_DEP_1)
	v_mul_f32_e32 v20, v20, v21
	ds_store_b32 v5, v20 offset:11176
.LBB16_368:                             ;   in Loop: Header=BB16_3 Depth=1
	s_or_b32 exec_lo, exec_lo, s7
	v_mov_b32_e32 v20, 0
	s_wait_dscnt 0x0
	s_barrier_signal -1
	s_barrier_wait -1
	global_wb scope:SCOPE_DEV
	s_wait_storecnt 0x0
	global_inv scope:SCOPE_DEV
	s_and_saveexec_b32 s7, s0
	s_cbranch_execz .LBB16_372
; %bb.369:                              ;   in Loop: Header=BB16_3 Depth=1
	ds_load_b32 v20, v28 offset:10912
	ds_load_b32 v21, v27 offset:11176
	s_wait_dscnt 0x0
	v_fma_f32 v20, v20, v21, 0
	s_and_saveexec_b32 s8, s16
	s_cbranch_execz .LBB16_371
; %bb.370:                              ;   in Loop: Header=BB16_3 Depth=1
	ds_load_b32 v21, v29 offset:11168
	ds_load_b32 v22, v5 offset:11180
	s_wait_dscnt 0x0
	v_fmac_f32_e32 v20, v21, v22
.LBB16_371:                             ;   in Loop: Header=BB16_3 Depth=1
	s_or_b32 exec_lo, exec_lo, s8
.LBB16_372:                             ;   in Loop: Header=BB16_3 Depth=1
	s_delay_alu instid0(SALU_CYCLE_1)
	s_or_b32 exec_lo, exec_lo, s7
	s_and_saveexec_b32 s7, s104
	s_cbranch_execz .LBB16_374
; %bb.373:                              ;   in Loop: Header=BB16_3 Depth=1
	ds_load_b32 v21, v5 offset:10660
	s_wait_dscnt 0x0
	v_mul_f32_e32 v20, v20, v21
	s_delay_alu instid0(VALU_DEP_1)
	v_xor_b32_e32 v21, 0x80000000, v20
	ds_store_b32 v3, v21
.LBB16_374:                             ;   in Loop: Header=BB16_3 Depth=1
	s_or_b32 exec_lo, exec_lo, s7
	s_wait_loadcnt_dscnt 0x0
	s_barrier_signal -1
	s_barrier_wait -1
	s_and_saveexec_b32 s7, vcc_hi
	s_cbranch_execz .LBB16_376
; %bb.375:                              ;   in Loop: Header=BB16_3 Depth=1
	ds_load_b32 v21, v5 offset:10656
	ds_load_b32 v22, v3
	s_wait_dscnt 0x0
	v_fma_f32 v20, -v21, v22, v20
.LBB16_376:                             ;   in Loop: Header=BB16_3 Depth=1
	s_or_b32 exec_lo, exec_lo, s7
	s_barrier_signal -1
	s_barrier_wait -1
	s_and_saveexec_b32 s7, vcc_hi
	s_cbranch_execz .LBB16_378
; %bb.377:                              ;   in Loop: Header=BB16_3 Depth=1
	ds_load_b32 v21, v5 offset:10400
	s_wait_dscnt 0x0
	v_mul_f32_e32 v20, v20, v21
	s_delay_alu instid0(VALU_DEP_1)
	v_xor_b32_e32 v21, 0x80000000, v20
	ds_store_b32 v3, v21
.LBB16_378:                             ;   in Loop: Header=BB16_3 Depth=1
	s_or_b32 exec_lo, exec_lo, s7
	s_wait_dscnt 0x0
	s_barrier_signal -1
	s_barrier_wait -1
	s_barrier_signal -1
	s_barrier_wait -1
	s_and_saveexec_b32 s7, s0
; %bb.379:                              ;   in Loop: Header=BB16_3 Depth=1
	ds_store_b32 v30, v20 offset:11168
; %bb.380:                              ;   in Loop: Header=BB16_3 Depth=1
	s_or_b32 exec_lo, exec_lo, s7
	s_wait_dscnt 0x0
	s_barrier_signal -1
	s_barrier_wait -1
	s_barrier_signal -1
	s_barrier_wait -1
	s_and_saveexec_b32 s7, s15
	s_cbranch_execz .LBB16_382
; %bb.381:                              ;   in Loop: Header=BB16_3 Depth=1
	ds_load_b64 v[20:21], v5 offset:10656
	ds_load_b32 v22, v5 offset:10400
	s_wait_dscnt 0x0
	v_mul_f32_e32 v21, v22, v21
	s_delay_alu instid0(VALU_DEP_1)
	v_mul_f32_e32 v20, v20, v21
	ds_store_b32 v5, v20 offset:10656
.LBB16_382:                             ;   in Loop: Header=BB16_3 Depth=1
	s_or_b32 exec_lo, exec_lo, s7
	v_mov_b32_e32 v20, 0
	s_wait_dscnt 0x0
	s_barrier_signal -1
	s_barrier_wait -1
	global_wb scope:SCOPE_DEV
	s_wait_storecnt 0x0
	global_inv scope:SCOPE_DEV
	s_and_saveexec_b32 s89, s2
	s_cbranch_execz .LBB16_392
; %bb.383:                              ;   in Loop: Header=BB16_3 Depth=1
	ds_load_b32 v20, v37 offset:10368
	ds_load_b32 v21, v36 offset:12192
	s_wait_dscnt 0x0
	v_fma_f32 v20, v20, v21, 0
	s_and_saveexec_b32 s7, s19
	s_cbranch_execnz .LBB16_1161
; %bb.384:                              ;   in Loop: Header=BB16_3 Depth=1
	s_or_b32 exec_lo, exec_lo, s7
	s_and_saveexec_b32 s7, s20
	s_cbranch_execnz .LBB16_1162
.LBB16_385:                             ;   in Loop: Header=BB16_3 Depth=1
	s_or_b32 exec_lo, exec_lo, s7
	s_and_saveexec_b32 s7, s21
	s_cbranch_execnz .LBB16_1163
.LBB16_386:                             ;   in Loop: Header=BB16_3 Depth=1
	s_or_b32 exec_lo, exec_lo, s7
	s_and_saveexec_b32 s7, s22
	s_cbranch_execnz .LBB16_1164
.LBB16_387:                             ;   in Loop: Header=BB16_3 Depth=1
	s_or_b32 exec_lo, exec_lo, s7
	s_and_saveexec_b32 s7, s23
	s_cbranch_execnz .LBB16_1165
.LBB16_388:                             ;   in Loop: Header=BB16_3 Depth=1
	s_or_b32 exec_lo, exec_lo, s7
	s_and_saveexec_b32 s7, s1
	s_cbranch_execnz .LBB16_1166
.LBB16_389:                             ;   in Loop: Header=BB16_3 Depth=1
	s_or_b32 exec_lo, exec_lo, s7
	s_and_saveexec_b32 s7, s18
	s_cbranch_execz .LBB16_391
.LBB16_390:                             ;   in Loop: Header=BB16_3 Depth=1
	ds_load_b32 v21, v29 offset:12160
	ds_load_b32 v22, v5 offset:12220
	s_wait_dscnt 0x0
	v_fmac_f32_e32 v20, v21, v22
.LBB16_391:                             ;   in Loop: Header=BB16_3 Depth=1
	s_or_b32 exec_lo, exec_lo, s7
.LBB16_392:                             ;   in Loop: Header=BB16_3 Depth=1
	s_delay_alu instid0(SALU_CYCLE_1)
	s_or_b32 exec_lo, exec_lo, s89
	s_and_saveexec_b32 s7, s42
	s_cbranch_execz .LBB16_394
; %bb.393:                              ;   in Loop: Header=BB16_3 Depth=1
	ds_load_b32 v21, v5 offset:10140
	s_wait_dscnt 0x0
	v_mul_f32_e32 v20, v20, v21
	s_delay_alu instid0(VALU_DEP_1)
	v_xor_b32_e32 v21, 0x80000000, v20
	ds_store_b32 v35, v21
.LBB16_394:                             ;   in Loop: Header=BB16_3 Depth=1
	s_or_b32 exec_lo, exec_lo, s7
	s_wait_loadcnt_dscnt 0x0
	s_barrier_signal -1
	s_barrier_wait -1
	s_and_saveexec_b32 s7, s43
	s_cbranch_execz .LBB16_396
; %bb.395:                              ;   in Loop: Header=BB16_3 Depth=1
	ds_load_b32 v21, v37 offset:10112
	ds_load_b32 v22, v35
	s_wait_dscnt 0x0
	v_fma_f32 v20, -v21, v22, v20
.LBB16_396:                             ;   in Loop: Header=BB16_3 Depth=1
	s_or_b32 exec_lo, exec_lo, s7
	s_barrier_signal -1
	s_barrier_wait -1
	s_and_saveexec_b32 s7, s44
	s_cbranch_execz .LBB16_398
; %bb.397:                              ;   in Loop: Header=BB16_3 Depth=1
	ds_load_b32 v21, v5 offset:9880
	s_wait_dscnt 0x0
	v_mul_f32_e32 v20, v20, v21
	s_delay_alu instid0(VALU_DEP_1)
	v_xor_b32_e32 v21, 0x80000000, v20
	ds_store_b32 v35, v21
.LBB16_398:                             ;   in Loop: Header=BB16_3 Depth=1
	s_or_b32 exec_lo, exec_lo, s7
	s_wait_dscnt 0x0
	s_barrier_signal -1
	s_barrier_wait -1
	s_and_saveexec_b32 s7, s45
	s_cbranch_execz .LBB16_400
; %bb.399:                              ;   in Loop: Header=BB16_3 Depth=1
	ds_load_b32 v21, v37 offset:9856
	ds_load_b32 v22, v35
	s_wait_dscnt 0x0
	v_fma_f32 v20, -v21, v22, v20
.LBB16_400:                             ;   in Loop: Header=BB16_3 Depth=1
	s_or_b32 exec_lo, exec_lo, s7
	s_barrier_signal -1
	s_barrier_wait -1
	s_and_saveexec_b32 s7, s46
	s_cbranch_execz .LBB16_402
; %bb.401:                              ;   in Loop: Header=BB16_3 Depth=1
	ds_load_b32 v21, v5 offset:9620
	s_wait_dscnt 0x0
	v_mul_f32_e32 v20, v20, v21
	s_delay_alu instid0(VALU_DEP_1)
	v_xor_b32_e32 v21, 0x80000000, v20
	ds_store_b32 v35, v21
.LBB16_402:                             ;   in Loop: Header=BB16_3 Depth=1
	s_or_b32 exec_lo, exec_lo, s7
	s_wait_dscnt 0x0
	;; [unrolled: 25-line block ×7, first 2 shown]
	s_barrier_signal -1
	s_barrier_wait -1
	s_barrier_signal -1
	s_barrier_wait -1
	s_and_saveexec_b32 s7, s2
; %bb.423:                              ;   in Loop: Header=BB16_3 Depth=1
	ds_store_b32 v38, v20 offset:12160
; %bb.424:                              ;   in Loop: Header=BB16_3 Depth=1
	s_or_b32 exec_lo, exec_lo, s7
	s_wait_dscnt 0x0
	s_barrier_signal -1
	s_barrier_wait -1
	s_barrier_signal -1
	s_barrier_wait -1
	s_and_saveexec_b32 s7, s15
	s_cbranch_execz .LBB16_426
; %bb.425:                              ;   in Loop: Header=BB16_3 Depth=1
	ds_load_b64 v[20:21], v5 offset:10136
	ds_load_b32 v22, v5 offset:9880
	s_wait_dscnt 0x0
	v_mul_f32_e32 v21, v22, v21
	s_delay_alu instid0(VALU_DEP_1)
	v_mul_f32_e32 v20, v20, v21
	ds_store_b32 v5, v20 offset:10136
.LBB16_426:                             ;   in Loop: Header=BB16_3 Depth=1
	s_or_b32 exec_lo, exec_lo, s7
	v_mov_b32_e32 v20, 0
	s_wait_dscnt 0x0
	s_barrier_signal -1
	s_barrier_wait -1
	global_wb scope:SCOPE_DEV
	s_wait_storecnt 0x0
	global_inv scope:SCOPE_DEV
	s_and_saveexec_b32 s7, s0
	s_cbranch_execz .LBB16_430
; %bb.427:                              ;   in Loop: Header=BB16_3 Depth=1
	ds_load_b32 v20, v28 offset:9872
	ds_load_b32 v21, v27 offset:10136
	s_wait_dscnt 0x0
	v_fma_f32 v20, v20, v21, 0
	s_and_saveexec_b32 s8, s16
	s_cbranch_execz .LBB16_429
; %bb.428:                              ;   in Loop: Header=BB16_3 Depth=1
	ds_load_b32 v21, v29 offset:10128
	ds_load_b32 v22, v5 offset:10140
	s_wait_dscnt 0x0
	v_fmac_f32_e32 v20, v21, v22
.LBB16_429:                             ;   in Loop: Header=BB16_3 Depth=1
	s_or_b32 exec_lo, exec_lo, s8
.LBB16_430:                             ;   in Loop: Header=BB16_3 Depth=1
	s_delay_alu instid0(SALU_CYCLE_1)
	s_or_b32 exec_lo, exec_lo, s7
	s_and_saveexec_b32 s7, s104
	s_cbranch_execz .LBB16_432
; %bb.431:                              ;   in Loop: Header=BB16_3 Depth=1
	ds_load_b32 v21, v5 offset:9620
	s_wait_dscnt 0x0
	v_mul_f32_e32 v20, v20, v21
	s_delay_alu instid0(VALU_DEP_1)
	v_xor_b32_e32 v21, 0x80000000, v20
	ds_store_b32 v3, v21
.LBB16_432:                             ;   in Loop: Header=BB16_3 Depth=1
	s_or_b32 exec_lo, exec_lo, s7
	s_wait_loadcnt_dscnt 0x0
	s_barrier_signal -1
	s_barrier_wait -1
	s_and_saveexec_b32 s7, vcc_hi
	s_cbranch_execz .LBB16_434
; %bb.433:                              ;   in Loop: Header=BB16_3 Depth=1
	ds_load_b32 v21, v5 offset:9616
	ds_load_b32 v22, v3
	s_wait_dscnt 0x0
	v_fma_f32 v20, -v21, v22, v20
.LBB16_434:                             ;   in Loop: Header=BB16_3 Depth=1
	s_or_b32 exec_lo, exec_lo, s7
	s_barrier_signal -1
	s_barrier_wait -1
	s_and_saveexec_b32 s7, vcc_hi
	s_cbranch_execz .LBB16_436
; %bb.435:                              ;   in Loop: Header=BB16_3 Depth=1
	ds_load_b32 v21, v5 offset:9360
	s_wait_dscnt 0x0
	v_mul_f32_e32 v20, v20, v21
	s_delay_alu instid0(VALU_DEP_1)
	v_xor_b32_e32 v21, 0x80000000, v20
	ds_store_b32 v3, v21
.LBB16_436:                             ;   in Loop: Header=BB16_3 Depth=1
	s_or_b32 exec_lo, exec_lo, s7
	s_wait_dscnt 0x0
	s_barrier_signal -1
	s_barrier_wait -1
	s_barrier_signal -1
	s_barrier_wait -1
	s_and_saveexec_b32 s7, s0
; %bb.437:                              ;   in Loop: Header=BB16_3 Depth=1
	ds_store_b32 v30, v20 offset:10128
; %bb.438:                              ;   in Loop: Header=BB16_3 Depth=1
	s_or_b32 exec_lo, exec_lo, s7
	s_wait_dscnt 0x0
	s_barrier_signal -1
	s_barrier_wait -1
	s_barrier_signal -1
	s_barrier_wait -1
	s_and_saveexec_b32 s7, s15
	s_cbranch_execz .LBB16_440
; %bb.439:                              ;   in Loop: Header=BB16_3 Depth=1
	ds_load_b64 v[20:21], v5 offset:9616
	ds_load_b32 v22, v5 offset:9360
	s_wait_dscnt 0x0
	v_mul_f32_e32 v21, v22, v21
	s_delay_alu instid0(VALU_DEP_1)
	v_mul_f32_e32 v20, v20, v21
	ds_store_b32 v5, v20 offset:9616
.LBB16_440:                             ;   in Loop: Header=BB16_3 Depth=1
	s_or_b32 exec_lo, exec_lo, s7
	v_mov_b32_e32 v20, 0
	s_wait_dscnt 0x0
	s_barrier_signal -1
	s_barrier_wait -1
	global_wb scope:SCOPE_DEV
	s_wait_storecnt 0x0
	global_inv scope:SCOPE_DEV
	s_and_saveexec_b32 s89, s1
	s_cbranch_execz .LBB16_446
; %bb.441:                              ;   in Loop: Header=BB16_3 Depth=1
	ds_load_b32 v20, v33 offset:9344
	ds_load_b32 v21, v32 offset:10128
	s_wait_dscnt 0x0
	v_fma_f32 v20, v20, v21, 0
	s_and_saveexec_b32 s7, s17
	s_cbranch_execnz .LBB16_1167
; %bb.442:                              ;   in Loop: Header=BB16_3 Depth=1
	s_or_b32 exec_lo, exec_lo, s7
	s_and_saveexec_b32 s7, s18
	s_cbranch_execnz .LBB16_1168
.LBB16_443:                             ;   in Loop: Header=BB16_3 Depth=1
	s_or_b32 exec_lo, exec_lo, s7
	s_and_saveexec_b32 s7, s0
	s_cbranch_execz .LBB16_445
.LBB16_444:                             ;   in Loop: Header=BB16_3 Depth=1
	ds_load_b32 v21, v29 offset:10112
	ds_load_b32 v22, v5 offset:10140
	s_wait_dscnt 0x0
	v_fmac_f32_e32 v20, v21, v22
.LBB16_445:                             ;   in Loop: Header=BB16_3 Depth=1
	s_or_b32 exec_lo, exec_lo, s7
.LBB16_446:                             ;   in Loop: Header=BB16_3 Depth=1
	s_delay_alu instid0(SALU_CYCLE_1)
	s_or_b32 exec_lo, exec_lo, s89
	s_and_saveexec_b32 s7, s36
	s_cbranch_execz .LBB16_448
; %bb.447:                              ;   in Loop: Header=BB16_3 Depth=1
	ds_load_b32 v21, v5 offset:9100
	s_wait_dscnt 0x0
	v_mul_f32_e32 v20, v20, v21
	s_delay_alu instid0(VALU_DEP_1)
	v_xor_b32_e32 v21, 0x80000000, v20
	ds_store_b32 v31, v21
.LBB16_448:                             ;   in Loop: Header=BB16_3 Depth=1
	s_or_b32 exec_lo, exec_lo, s7
	s_wait_loadcnt_dscnt 0x0
	s_barrier_signal -1
	s_barrier_wait -1
	s_and_saveexec_b32 s7, s37
	s_cbranch_execz .LBB16_450
; %bb.449:                              ;   in Loop: Header=BB16_3 Depth=1
	ds_load_b32 v21, v33 offset:9088
	ds_load_b32 v22, v31
	s_wait_dscnt 0x0
	v_fma_f32 v20, -v21, v22, v20
.LBB16_450:                             ;   in Loop: Header=BB16_3 Depth=1
	s_or_b32 exec_lo, exec_lo, s7
	s_barrier_signal -1
	s_barrier_wait -1
	s_and_saveexec_b32 s7, s38
	s_cbranch_execz .LBB16_452
; %bb.451:                              ;   in Loop: Header=BB16_3 Depth=1
	ds_load_b32 v21, v5 offset:8840
	s_wait_dscnt 0x0
	v_mul_f32_e32 v20, v20, v21
	s_delay_alu instid0(VALU_DEP_1)
	v_xor_b32_e32 v21, 0x80000000, v20
	ds_store_b32 v31, v21
.LBB16_452:                             ;   in Loop: Header=BB16_3 Depth=1
	s_or_b32 exec_lo, exec_lo, s7
	s_wait_dscnt 0x0
	s_barrier_signal -1
	s_barrier_wait -1
	s_and_saveexec_b32 s7, s39
	s_cbranch_execz .LBB16_454
; %bb.453:                              ;   in Loop: Header=BB16_3 Depth=1
	ds_load_b32 v21, v33 offset:8832
	ds_load_b32 v22, v31
	s_wait_dscnt 0x0
	v_fma_f32 v20, -v21, v22, v20
.LBB16_454:                             ;   in Loop: Header=BB16_3 Depth=1
	s_or_b32 exec_lo, exec_lo, s7
	s_barrier_signal -1
	s_barrier_wait -1
	s_and_saveexec_b32 s7, s40
	s_cbranch_execz .LBB16_456
; %bb.455:                              ;   in Loop: Header=BB16_3 Depth=1
	ds_load_b32 v21, v5 offset:8580
	s_wait_dscnt 0x0
	v_mul_f32_e32 v20, v20, v21
	s_delay_alu instid0(VALU_DEP_1)
	v_xor_b32_e32 v21, 0x80000000, v20
	ds_store_b32 v31, v21
.LBB16_456:                             ;   in Loop: Header=BB16_3 Depth=1
	s_or_b32 exec_lo, exec_lo, s7
	s_wait_dscnt 0x0
	;; [unrolled: 25-line block ×3, first 2 shown]
	s_barrier_signal -1
	s_barrier_wait -1
	s_barrier_signal -1
	s_barrier_wait -1
	s_and_saveexec_b32 s7, s1
; %bb.461:                              ;   in Loop: Header=BB16_3 Depth=1
	ds_store_b32 v34, v20 offset:10112
; %bb.462:                              ;   in Loop: Header=BB16_3 Depth=1
	s_or_b32 exec_lo, exec_lo, s7
	s_wait_dscnt 0x0
	s_barrier_signal -1
	s_barrier_wait -1
	s_barrier_signal -1
	s_barrier_wait -1
	s_and_saveexec_b32 s7, s15
	s_cbranch_execz .LBB16_464
; %bb.463:                              ;   in Loop: Header=BB16_3 Depth=1
	ds_load_b64 v[20:21], v5 offset:9096
	ds_load_b32 v22, v5 offset:8840
	s_wait_dscnt 0x0
	v_mul_f32_e32 v21, v22, v21
	s_delay_alu instid0(VALU_DEP_1)
	v_mul_f32_e32 v20, v20, v21
	ds_store_b32 v5, v20 offset:9096
.LBB16_464:                             ;   in Loop: Header=BB16_3 Depth=1
	s_or_b32 exec_lo, exec_lo, s7
	v_mov_b32_e32 v20, 0
	s_wait_dscnt 0x0
	s_barrier_signal -1
	s_barrier_wait -1
	global_wb scope:SCOPE_DEV
	s_wait_storecnt 0x0
	global_inv scope:SCOPE_DEV
	s_and_saveexec_b32 s7, s0
	s_cbranch_execz .LBB16_468
; %bb.465:                              ;   in Loop: Header=BB16_3 Depth=1
	ds_load_b32 v20, v28 offset:8832
	ds_load_b32 v21, v27 offset:9096
	s_wait_dscnt 0x0
	v_fma_f32 v20, v20, v21, 0
	s_and_saveexec_b32 s8, s16
	s_cbranch_execz .LBB16_467
; %bb.466:                              ;   in Loop: Header=BB16_3 Depth=1
	ds_load_b32 v21, v29 offset:9088
	ds_load_b32 v22, v5 offset:9100
	s_wait_dscnt 0x0
	v_fmac_f32_e32 v20, v21, v22
.LBB16_467:                             ;   in Loop: Header=BB16_3 Depth=1
	s_or_b32 exec_lo, exec_lo, s8
.LBB16_468:                             ;   in Loop: Header=BB16_3 Depth=1
	s_delay_alu instid0(SALU_CYCLE_1)
	s_or_b32 exec_lo, exec_lo, s7
	s_and_saveexec_b32 s7, s104
	s_cbranch_execz .LBB16_470
; %bb.469:                              ;   in Loop: Header=BB16_3 Depth=1
	ds_load_b32 v21, v5 offset:8580
	s_wait_dscnt 0x0
	v_mul_f32_e32 v20, v20, v21
	s_delay_alu instid0(VALU_DEP_1)
	v_xor_b32_e32 v21, 0x80000000, v20
	ds_store_b32 v3, v21
.LBB16_470:                             ;   in Loop: Header=BB16_3 Depth=1
	s_or_b32 exec_lo, exec_lo, s7
	s_wait_loadcnt_dscnt 0x0
	s_barrier_signal -1
	s_barrier_wait -1
	s_and_saveexec_b32 s7, vcc_hi
	s_cbranch_execz .LBB16_472
; %bb.471:                              ;   in Loop: Header=BB16_3 Depth=1
	ds_load_b32 v21, v5 offset:8576
	ds_load_b32 v22, v3
	s_wait_dscnt 0x0
	v_fma_f32 v20, -v21, v22, v20
.LBB16_472:                             ;   in Loop: Header=BB16_3 Depth=1
	s_or_b32 exec_lo, exec_lo, s7
	s_barrier_signal -1
	s_barrier_wait -1
	s_and_saveexec_b32 s7, vcc_hi
	s_cbranch_execz .LBB16_474
; %bb.473:                              ;   in Loop: Header=BB16_3 Depth=1
	ds_load_b32 v21, v5 offset:8320
	s_wait_dscnt 0x0
	v_mul_f32_e32 v20, v20, v21
	s_delay_alu instid0(VALU_DEP_1)
	v_xor_b32_e32 v21, 0x80000000, v20
	ds_store_b32 v3, v21
.LBB16_474:                             ;   in Loop: Header=BB16_3 Depth=1
	s_or_b32 exec_lo, exec_lo, s7
	s_wait_dscnt 0x0
	s_barrier_signal -1
	s_barrier_wait -1
	s_barrier_signal -1
	s_barrier_wait -1
	s_and_saveexec_b32 s7, s0
; %bb.475:                              ;   in Loop: Header=BB16_3 Depth=1
	ds_store_b32 v30, v20 offset:9088
; %bb.476:                              ;   in Loop: Header=BB16_3 Depth=1
	s_or_b32 exec_lo, exec_lo, s7
	s_wait_dscnt 0x0
	s_barrier_signal -1
	s_barrier_wait -1
	s_barrier_signal -1
	s_barrier_wait -1
	s_and_saveexec_b32 s7, s15
	s_cbranch_execz .LBB16_478
; %bb.477:                              ;   in Loop: Header=BB16_3 Depth=1
	ds_load_b64 v[20:21], v5 offset:8576
	ds_load_b32 v22, v5 offset:8320
	s_wait_dscnt 0x0
	v_mul_f32_e32 v21, v22, v21
	s_delay_alu instid0(VALU_DEP_1)
	v_mul_f32_e32 v20, v20, v21
	ds_store_b32 v5, v20 offset:8576
.LBB16_478:                             ;   in Loop: Header=BB16_3 Depth=1
	s_or_b32 exec_lo, exec_lo, s7
	v_mov_b32_e32 v20, 0
	s_wait_dscnt 0x0
	s_barrier_signal -1
	s_barrier_wait -1
	global_wb scope:SCOPE_DEV
	s_wait_storecnt 0x0
	global_inv scope:SCOPE_DEV
	s_and_saveexec_b32 s96, s4
	s_cbranch_execz .LBB16_540
; %bb.479:                              ;   in Loop: Header=BB16_3 Depth=1
	ds_load_b32 v20, v45 offset:8192
	ds_load_b32 v21, v44 offset:16256
	s_wait_dscnt 0x0
	v_fma_f32 v20, v20, v21, 0
	s_mov_b32 s7, exec_lo
	v_readlane_b32 s8, v69, 7
	s_and_b32 s8, s7, s8
	s_delay_alu instid0(SALU_CYCLE_1)
	s_mov_b32 exec_lo, s8
	s_cbranch_execz .LBB16_481
; %bb.480:                              ;   in Loop: Header=BB16_3 Depth=1
	ds_load_b32 v21, v45 offset:8448
	ds_load_b32 v22, v44 offset:16260
	s_wait_dscnt 0x0
	v_fmac_f32_e32 v20, v21, v22
.LBB16_481:                             ;   in Loop: Header=BB16_3 Depth=1
	s_or_b32 exec_lo, exec_lo, s7
	s_delay_alu instid0(SALU_CYCLE_1) | instskip(SKIP_2) | instid1(SALU_CYCLE_1)
	s_mov_b32 s7, exec_lo
	v_readlane_b32 s8, v69, 8
	s_and_b32 s8, s7, s8
	s_mov_b32 exec_lo, s8
	s_cbranch_execz .LBB16_483
; %bb.482:                              ;   in Loop: Header=BB16_3 Depth=1
	ds_load_b32 v21, v45 offset:8704
	ds_load_b32 v22, v44 offset:16264
	s_wait_dscnt 0x0
	v_fmac_f32_e32 v20, v21, v22
.LBB16_483:                             ;   in Loop: Header=BB16_3 Depth=1
	s_or_b32 exec_lo, exec_lo, s7
	s_delay_alu instid0(SALU_CYCLE_1) | instskip(SKIP_2) | instid1(SALU_CYCLE_1)
	s_mov_b32 s7, exec_lo
	v_readlane_b32 s8, v69, 9
	s_and_b32 s8, s7, s8
	;; [unrolled: 13-line block ×22, first 2 shown]
	s_mov_b32 exec_lo, s8
	s_cbranch_execz .LBB16_525
; %bb.524:                              ;   in Loop: Header=BB16_3 Depth=1
	ds_load_b32 v21, v45 offset:14080
	ds_load_b32 v22, v44 offset:16348
	s_wait_dscnt 0x0
	v_fmac_f32_e32 v20, v21, v22
.LBB16_525:                             ;   in Loop: Header=BB16_3 Depth=1
	s_or_b32 exec_lo, exec_lo, s7
	s_and_saveexec_b32 s7, s3
	s_cbranch_execz .LBB16_527
; %bb.526:                              ;   in Loop: Header=BB16_3 Depth=1
	ds_load_b32 v21, v45 offset:14336
	ds_load_b32 v22, v44 offset:16352
	s_wait_dscnt 0x0
	v_fmac_f32_e32 v20, v21, v22
.LBB16_527:                             ;   in Loop: Header=BB16_3 Depth=1
	s_or_b32 exec_lo, exec_lo, s7
	s_delay_alu instid0(SALU_CYCLE_1) | instskip(SKIP_2) | instid1(SALU_CYCLE_1)
	s_mov_b32 s7, exec_lo
	v_readlane_b32 s8, v70, 29
	s_and_b32 s8, s7, s8
	s_mov_b32 exec_lo, s8
	s_cbranch_execz .LBB16_529
; %bb.528:                              ;   in Loop: Header=BB16_3 Depth=1
	ds_load_b32 v21, v45 offset:14592
	ds_load_b32 v22, v44 offset:16356
	s_wait_dscnt 0x0
	v_fmac_f32_e32 v20, v21, v22
.LBB16_529:                             ;   in Loop: Header=BB16_3 Depth=1
	s_or_b32 exec_lo, exec_lo, s7
	s_delay_alu instid0(SALU_CYCLE_1) | instskip(SKIP_2) | instid1(SALU_CYCLE_1)
	s_mov_b32 s7, exec_lo
	v_readlane_b32 s8, v70, 31
	s_and_b32 s8, s7, s8
	s_mov_b32 exec_lo, s8
	;; [unrolled: 13-line block ×5, first 2 shown]
	s_cbranch_execnz .LBB16_1169
; %bb.536:                              ;   in Loop: Header=BB16_3 Depth=1
	s_or_b32 exec_lo, exec_lo, s7
	s_and_saveexec_b32 s7, s2
	s_cbranch_execnz .LBB16_1170
.LBB16_537:                             ;   in Loop: Header=BB16_3 Depth=1
	s_or_b32 exec_lo, exec_lo, s7
	s_and_saveexec_b32 s7, s22
	s_cbranch_execz .LBB16_539
.LBB16_538:                             ;   in Loop: Header=BB16_3 Depth=1
	ds_load_b32 v21, v29 offset:16128
	ds_load_b32 v22, v5 offset:16380
	s_wait_dscnt 0x0
	v_fmac_f32_e32 v20, v21, v22
.LBB16_539:                             ;   in Loop: Header=BB16_3 Depth=1
	s_or_b32 exec_lo, exec_lo, s7
.LBB16_540:                             ;   in Loop: Header=BB16_3 Depth=1
	s_delay_alu instid0(SALU_CYCLE_1) | instskip(NEXT) | instid1(SALU_CYCLE_1)
	s_or_b32 exec_lo, exec_lo, s96
	s_mov_b32 s7, exec_lo
	v_readlane_b32 s8, v72, 9
	s_and_b32 s8, s7, s8
	s_delay_alu instid0(SALU_CYCLE_1)
	s_mov_b32 exec_lo, s8
	s_cbranch_execz .LBB16_542
; %bb.541:                              ;   in Loop: Header=BB16_3 Depth=1
	ds_load_b32 v21, v5 offset:8060
	s_wait_dscnt 0x0
	v_mul_f32_e32 v20, v20, v21
	s_delay_alu instid0(VALU_DEP_1)
	v_xor_b32_e32 v21, 0x80000000, v20
	ds_store_b32 v43, v21
.LBB16_542:                             ;   in Loop: Header=BB16_3 Depth=1
	s_or_b32 exec_lo, exec_lo, s7
	s_wait_loadcnt_dscnt 0x0
	s_barrier_signal -1
	s_barrier_wait -1
	s_mov_b32 s7, exec_lo
	v_readlane_b32 s8, v72, 10
	s_and_b32 s8, s7, s8
	s_delay_alu instid0(SALU_CYCLE_1)
	s_mov_b32 exec_lo, s8
	s_cbranch_execz .LBB16_544
; %bb.543:                              ;   in Loop: Header=BB16_3 Depth=1
	ds_load_b32 v21, v45 offset:7936
	ds_load_b32 v22, v43
	s_wait_dscnt 0x0
	v_fma_f32 v20, -v21, v22, v20
.LBB16_544:                             ;   in Loop: Header=BB16_3 Depth=1
	s_or_b32 exec_lo, exec_lo, s7
	s_barrier_signal -1
	s_barrier_wait -1
	s_mov_b32 s7, exec_lo
	v_readlane_b32 s8, v72, 11
	s_and_b32 s8, s7, s8
	s_delay_alu instid0(SALU_CYCLE_1)
	s_mov_b32 exec_lo, s8
	s_cbranch_execz .LBB16_546
; %bb.545:                              ;   in Loop: Header=BB16_3 Depth=1
	ds_load_b32 v21, v5 offset:7800
	s_wait_dscnt 0x0
	v_mul_f32_e32 v20, v20, v21
	s_delay_alu instid0(VALU_DEP_1)
	v_xor_b32_e32 v21, 0x80000000, v20
	ds_store_b32 v43, v21
.LBB16_546:                             ;   in Loop: Header=BB16_3 Depth=1
	s_or_b32 exec_lo, exec_lo, s7
	s_wait_dscnt 0x0
	s_barrier_signal -1
	s_barrier_wait -1
	s_mov_b32 s7, exec_lo
	v_readlane_b32 s8, v72, 12
	s_and_b32 s8, s7, s8
	s_delay_alu instid0(SALU_CYCLE_1)
	s_mov_b32 exec_lo, s8
	s_cbranch_execz .LBB16_548
; %bb.547:                              ;   in Loop: Header=BB16_3 Depth=1
	ds_load_b32 v21, v45 offset:7680
	ds_load_b32 v22, v43
	s_wait_dscnt 0x0
	v_fma_f32 v20, -v21, v22, v20
.LBB16_548:                             ;   in Loop: Header=BB16_3 Depth=1
	s_or_b32 exec_lo, exec_lo, s7
	s_barrier_signal -1
	s_barrier_wait -1
	s_mov_b32 s7, exec_lo
	v_readlane_b32 s8, v72, 13
	s_and_b32 s8, s7, s8
	s_delay_alu instid0(SALU_CYCLE_1)
	s_mov_b32 exec_lo, s8
	s_cbranch_execz .LBB16_550
; %bb.549:                              ;   in Loop: Header=BB16_3 Depth=1
	ds_load_b32 v21, v5 offset:7540
	s_wait_dscnt 0x0
	v_mul_f32_e32 v20, v20, v21
	s_delay_alu instid0(VALU_DEP_1)
	v_xor_b32_e32 v21, 0x80000000, v20
	ds_store_b32 v43, v21
.LBB16_550:                             ;   in Loop: Header=BB16_3 Depth=1
	s_or_b32 exec_lo, exec_lo, s7
	s_wait_dscnt 0x0
	s_barrier_signal -1
	s_barrier_wait -1
	s_mov_b32 s7, exec_lo
	v_readlane_b32 s8, v72, 14
	s_and_b32 s8, s7, s8
	s_delay_alu instid0(SALU_CYCLE_1)
	s_mov_b32 exec_lo, s8
	s_cbranch_execz .LBB16_552
; %bb.551:                              ;   in Loop: Header=BB16_3 Depth=1
	ds_load_b32 v21, v45 offset:7424
	ds_load_b32 v22, v43
	s_wait_dscnt 0x0
	v_fma_f32 v20, -v21, v22, v20
.LBB16_552:                             ;   in Loop: Header=BB16_3 Depth=1
	s_or_b32 exec_lo, exec_lo, s7
	s_barrier_signal -1
	s_barrier_wait -1
	s_mov_b32 s7, exec_lo
	v_readlane_b32 s8, v72, 15
	s_and_b32 s8, s7, s8
	s_delay_alu instid0(SALU_CYCLE_1)
	s_mov_b32 exec_lo, s8
	s_cbranch_execz .LBB16_554
; %bb.553:                              ;   in Loop: Header=BB16_3 Depth=1
	ds_load_b32 v21, v5 offset:7280
	s_wait_dscnt 0x0
	v_mul_f32_e32 v20, v20, v21
	s_delay_alu instid0(VALU_DEP_1)
	v_xor_b32_e32 v21, 0x80000000, v20
	ds_store_b32 v43, v21
.LBB16_554:                             ;   in Loop: Header=BB16_3 Depth=1
	s_or_b32 exec_lo, exec_lo, s7
	s_wait_dscnt 0x0
	s_barrier_signal -1
	s_barrier_wait -1
	s_mov_b32 s7, exec_lo
	v_readlane_b32 s8, v72, 16
	s_and_b32 s8, s7, s8
	s_delay_alu instid0(SALU_CYCLE_1)
	s_mov_b32 exec_lo, s8
	s_cbranch_execz .LBB16_556
; %bb.555:                              ;   in Loop: Header=BB16_3 Depth=1
	ds_load_b32 v21, v45 offset:7168
	ds_load_b32 v22, v43
	s_wait_dscnt 0x0
	v_fma_f32 v20, -v21, v22, v20
.LBB16_556:                             ;   in Loop: Header=BB16_3 Depth=1
	s_or_b32 exec_lo, exec_lo, s7
	s_barrier_signal -1
	s_barrier_wait -1
	s_mov_b32 s7, exec_lo
	v_readlane_b32 s8, v72, 17
	s_and_b32 s8, s7, s8
	s_delay_alu instid0(SALU_CYCLE_1)
	s_mov_b32 exec_lo, s8
	s_cbranch_execz .LBB16_558
; %bb.557:                              ;   in Loop: Header=BB16_3 Depth=1
	ds_load_b32 v21, v5 offset:7020
	s_wait_dscnt 0x0
	v_mul_f32_e32 v20, v20, v21
	s_delay_alu instid0(VALU_DEP_1)
	v_xor_b32_e32 v21, 0x80000000, v20
	ds_store_b32 v43, v21
.LBB16_558:                             ;   in Loop: Header=BB16_3 Depth=1
	s_or_b32 exec_lo, exec_lo, s7
	s_wait_dscnt 0x0
	s_barrier_signal -1
	s_barrier_wait -1
	s_mov_b32 s7, exec_lo
	v_readlane_b32 s8, v72, 18
	s_and_b32 s8, s7, s8
	s_delay_alu instid0(SALU_CYCLE_1)
	s_mov_b32 exec_lo, s8
	s_cbranch_execz .LBB16_560
; %bb.559:                              ;   in Loop: Header=BB16_3 Depth=1
	ds_load_b32 v21, v45 offset:6912
	ds_load_b32 v22, v43
	s_wait_dscnt 0x0
	v_fma_f32 v20, -v21, v22, v20
.LBB16_560:                             ;   in Loop: Header=BB16_3 Depth=1
	s_or_b32 exec_lo, exec_lo, s7
	s_barrier_signal -1
	s_barrier_wait -1
	s_mov_b32 s7, exec_lo
	v_readlane_b32 s8, v72, 19
	s_and_b32 s8, s7, s8
	s_delay_alu instid0(SALU_CYCLE_1)
	s_mov_b32 exec_lo, s8
	s_cbranch_execz .LBB16_562
; %bb.561:                              ;   in Loop: Header=BB16_3 Depth=1
	ds_load_b32 v21, v5 offset:6760
	s_wait_dscnt 0x0
	v_mul_f32_e32 v20, v20, v21
	s_delay_alu instid0(VALU_DEP_1)
	v_xor_b32_e32 v21, 0x80000000, v20
	ds_store_b32 v43, v21
.LBB16_562:                             ;   in Loop: Header=BB16_3 Depth=1
	s_or_b32 exec_lo, exec_lo, s7
	s_wait_dscnt 0x0
	s_barrier_signal -1
	s_barrier_wait -1
	s_mov_b32 s7, exec_lo
	v_readlane_b32 s8, v72, 20
	s_and_b32 s8, s7, s8
	s_delay_alu instid0(SALU_CYCLE_1)
	s_mov_b32 exec_lo, s8
	s_cbranch_execz .LBB16_564
; %bb.563:                              ;   in Loop: Header=BB16_3 Depth=1
	ds_load_b32 v21, v45 offset:6656
	ds_load_b32 v22, v43
	s_wait_dscnt 0x0
	v_fma_f32 v20, -v21, v22, v20
.LBB16_564:                             ;   in Loop: Header=BB16_3 Depth=1
	s_or_b32 exec_lo, exec_lo, s7
	s_barrier_signal -1
	s_barrier_wait -1
	s_mov_b32 s7, exec_lo
	v_readlane_b32 s8, v72, 21
	s_and_b32 s8, s7, s8
	s_delay_alu instid0(SALU_CYCLE_1)
	s_mov_b32 exec_lo, s8
	s_cbranch_execz .LBB16_566
; %bb.565:                              ;   in Loop: Header=BB16_3 Depth=1
	ds_load_b32 v21, v5 offset:6500
	s_wait_dscnt 0x0
	v_mul_f32_e32 v20, v20, v21
	s_delay_alu instid0(VALU_DEP_1)
	v_xor_b32_e32 v21, 0x80000000, v20
	ds_store_b32 v43, v21
.LBB16_566:                             ;   in Loop: Header=BB16_3 Depth=1
	s_or_b32 exec_lo, exec_lo, s7
	s_wait_dscnt 0x0
	s_barrier_signal -1
	s_barrier_wait -1
	s_mov_b32 s7, exec_lo
	v_readlane_b32 s8, v72, 22
	s_and_b32 s8, s7, s8
	s_delay_alu instid0(SALU_CYCLE_1)
	s_mov_b32 exec_lo, s8
	s_cbranch_execz .LBB16_568
; %bb.567:                              ;   in Loop: Header=BB16_3 Depth=1
	ds_load_b32 v21, v45 offset:6400
	ds_load_b32 v22, v43
	s_wait_dscnt 0x0
	v_fma_f32 v20, -v21, v22, v20
.LBB16_568:                             ;   in Loop: Header=BB16_3 Depth=1
	s_or_b32 exec_lo, exec_lo, s7
	s_barrier_signal -1
	s_barrier_wait -1
	s_mov_b32 s7, exec_lo
	v_readlane_b32 s8, v72, 23
	s_and_b32 s8, s7, s8
	s_delay_alu instid0(SALU_CYCLE_1)
	s_mov_b32 exec_lo, s8
	s_cbranch_execz .LBB16_570
; %bb.569:                              ;   in Loop: Header=BB16_3 Depth=1
	ds_load_b32 v21, v5 offset:6240
	s_wait_dscnt 0x0
	v_mul_f32_e32 v20, v20, v21
	s_delay_alu instid0(VALU_DEP_1)
	v_xor_b32_e32 v21, 0x80000000, v20
	ds_store_b32 v43, v21
.LBB16_570:                             ;   in Loop: Header=BB16_3 Depth=1
	s_or_b32 exec_lo, exec_lo, s7
	s_wait_dscnt 0x0
	s_barrier_signal -1
	s_barrier_wait -1
	s_mov_b32 s7, exec_lo
	v_readlane_b32 s8, v72, 24
	s_and_b32 s8, s7, s8
	s_delay_alu instid0(SALU_CYCLE_1)
	s_mov_b32 exec_lo, s8
	s_cbranch_execz .LBB16_572
; %bb.571:                              ;   in Loop: Header=BB16_3 Depth=1
	ds_load_b32 v21, v45 offset:6144
	ds_load_b32 v22, v43
	s_wait_dscnt 0x0
	v_fma_f32 v20, -v21, v22, v20
.LBB16_572:                             ;   in Loop: Header=BB16_3 Depth=1
	s_or_b32 exec_lo, exec_lo, s7
	s_barrier_signal -1
	s_barrier_wait -1
	s_mov_b32 s7, exec_lo
	v_readlane_b32 s8, v72, 25
	s_and_b32 s8, s7, s8
	s_delay_alu instid0(SALU_CYCLE_1)
	s_mov_b32 exec_lo, s8
	s_cbranch_execz .LBB16_574
; %bb.573:                              ;   in Loop: Header=BB16_3 Depth=1
	ds_load_b32 v21, v5 offset:5980
	s_wait_dscnt 0x0
	v_mul_f32_e32 v20, v20, v21
	s_delay_alu instid0(VALU_DEP_1)
	v_xor_b32_e32 v21, 0x80000000, v20
	ds_store_b32 v43, v21
.LBB16_574:                             ;   in Loop: Header=BB16_3 Depth=1
	s_or_b32 exec_lo, exec_lo, s7
	s_wait_dscnt 0x0
	s_barrier_signal -1
	s_barrier_wait -1
	s_mov_b32 s7, exec_lo
	v_readlane_b32 s8, v72, 26
	s_and_b32 s8, s7, s8
	s_delay_alu instid0(SALU_CYCLE_1)
	s_mov_b32 exec_lo, s8
	s_cbranch_execz .LBB16_576
; %bb.575:                              ;   in Loop: Header=BB16_3 Depth=1
	ds_load_b32 v21, v45 offset:5888
	ds_load_b32 v22, v43
	s_wait_dscnt 0x0
	v_fma_f32 v20, -v21, v22, v20
.LBB16_576:                             ;   in Loop: Header=BB16_3 Depth=1
	s_or_b32 exec_lo, exec_lo, s7
	s_barrier_signal -1
	s_barrier_wait -1
	s_mov_b32 s7, exec_lo
	v_readlane_b32 s8, v72, 27
	s_and_b32 s8, s7, s8
	s_delay_alu instid0(SALU_CYCLE_1)
	s_mov_b32 exec_lo, s8
	s_cbranch_execz .LBB16_578
; %bb.577:                              ;   in Loop: Header=BB16_3 Depth=1
	ds_load_b32 v21, v5 offset:5720
	s_wait_dscnt 0x0
	v_mul_f32_e32 v20, v20, v21
	s_delay_alu instid0(VALU_DEP_1)
	v_xor_b32_e32 v21, 0x80000000, v20
	ds_store_b32 v43, v21
.LBB16_578:                             ;   in Loop: Header=BB16_3 Depth=1
	s_or_b32 exec_lo, exec_lo, s7
	s_wait_dscnt 0x0
	s_barrier_signal -1
	s_barrier_wait -1
	s_mov_b32 s7, exec_lo
	v_readlane_b32 s8, v72, 28
	s_and_b32 s8, s7, s8
	s_delay_alu instid0(SALU_CYCLE_1)
	s_mov_b32 exec_lo, s8
	s_cbranch_execz .LBB16_580
; %bb.579:                              ;   in Loop: Header=BB16_3 Depth=1
	ds_load_b32 v21, v45 offset:5632
	ds_load_b32 v22, v43
	s_wait_dscnt 0x0
	v_fma_f32 v20, -v21, v22, v20
.LBB16_580:                             ;   in Loop: Header=BB16_3 Depth=1
	s_or_b32 exec_lo, exec_lo, s7
	s_barrier_signal -1
	s_barrier_wait -1
	s_mov_b32 s7, exec_lo
	v_readlane_b32 s8, v72, 29
	s_and_b32 s8, s7, s8
	s_delay_alu instid0(SALU_CYCLE_1)
	s_mov_b32 exec_lo, s8
	s_cbranch_execz .LBB16_582
; %bb.581:                              ;   in Loop: Header=BB16_3 Depth=1
	ds_load_b32 v21, v5 offset:5460
	s_wait_dscnt 0x0
	v_mul_f32_e32 v20, v20, v21
	s_delay_alu instid0(VALU_DEP_1)
	v_xor_b32_e32 v21, 0x80000000, v20
	ds_store_b32 v43, v21
.LBB16_582:                             ;   in Loop: Header=BB16_3 Depth=1
	s_or_b32 exec_lo, exec_lo, s7
	s_wait_dscnt 0x0
	s_barrier_signal -1
	s_barrier_wait -1
	s_mov_b32 s7, exec_lo
	v_readlane_b32 s8, v72, 30
	s_and_b32 s8, s7, s8
	s_delay_alu instid0(SALU_CYCLE_1)
	s_mov_b32 exec_lo, s8
	s_cbranch_execz .LBB16_584
; %bb.583:                              ;   in Loop: Header=BB16_3 Depth=1
	ds_load_b32 v21, v45 offset:5376
	ds_load_b32 v22, v43
	s_wait_dscnt 0x0
	v_fma_f32 v20, -v21, v22, v20
.LBB16_584:                             ;   in Loop: Header=BB16_3 Depth=1
	s_or_b32 exec_lo, exec_lo, s7
	s_barrier_signal -1
	s_barrier_wait -1
	s_mov_b32 s7, exec_lo
	v_readlane_b32 s8, v72, 31
	s_and_b32 s8, s7, s8
	s_delay_alu instid0(SALU_CYCLE_1)
	s_mov_b32 exec_lo, s8
	s_cbranch_execz .LBB16_586
; %bb.585:                              ;   in Loop: Header=BB16_3 Depth=1
	ds_load_b32 v21, v5 offset:5200
	s_wait_dscnt 0x0
	v_mul_f32_e32 v20, v20, v21
	s_delay_alu instid0(VALU_DEP_1)
	v_xor_b32_e32 v21, 0x80000000, v20
	ds_store_b32 v43, v21
.LBB16_586:                             ;   in Loop: Header=BB16_3 Depth=1
	s_or_b32 exec_lo, exec_lo, s7
	s_wait_dscnt 0x0
	s_barrier_signal -1
	s_barrier_wait -1
	s_mov_b32 s7, exec_lo
	v_readlane_b32 s8, v71, 0
	s_and_b32 s8, s7, s8
	s_delay_alu instid0(SALU_CYCLE_1)
	s_mov_b32 exec_lo, s8
	s_cbranch_execz .LBB16_588
; %bb.587:                              ;   in Loop: Header=BB16_3 Depth=1
	ds_load_b32 v21, v45 offset:5120
	ds_load_b32 v22, v43
	s_wait_dscnt 0x0
	v_fma_f32 v20, -v21, v22, v20
.LBB16_588:                             ;   in Loop: Header=BB16_3 Depth=1
	s_or_b32 exec_lo, exec_lo, s7
	s_barrier_signal -1
	s_barrier_wait -1
	s_mov_b32 s7, exec_lo
	v_readlane_b32 s8, v71, 1
	s_and_b32 s8, s7, s8
	s_delay_alu instid0(SALU_CYCLE_1)
	s_mov_b32 exec_lo, s8
	s_cbranch_execz .LBB16_590
; %bb.589:                              ;   in Loop: Header=BB16_3 Depth=1
	ds_load_b32 v21, v5 offset:4940
	s_wait_dscnt 0x0
	v_mul_f32_e32 v20, v20, v21
	s_delay_alu instid0(VALU_DEP_1)
	v_xor_b32_e32 v21, 0x80000000, v20
	ds_store_b32 v43, v21
.LBB16_590:                             ;   in Loop: Header=BB16_3 Depth=1
	s_or_b32 exec_lo, exec_lo, s7
	s_wait_dscnt 0x0
	s_barrier_signal -1
	s_barrier_wait -1
	s_mov_b32 s7, exec_lo
	v_readlane_b32 s8, v71, 2
	s_and_b32 s8, s7, s8
	s_delay_alu instid0(SALU_CYCLE_1)
	s_mov_b32 exec_lo, s8
	s_cbranch_execz .LBB16_592
; %bb.591:                              ;   in Loop: Header=BB16_3 Depth=1
	ds_load_b32 v21, v45 offset:4864
	ds_load_b32 v22, v43
	s_wait_dscnt 0x0
	v_fma_f32 v20, -v21, v22, v20
.LBB16_592:                             ;   in Loop: Header=BB16_3 Depth=1
	s_or_b32 exec_lo, exec_lo, s7
	s_barrier_signal -1
	s_barrier_wait -1
	s_mov_b32 s7, exec_lo
	v_readlane_b32 s8, v71, 3
	s_and_b32 s8, s7, s8
	s_delay_alu instid0(SALU_CYCLE_1)
	s_mov_b32 exec_lo, s8
	s_cbranch_execz .LBB16_594
; %bb.593:                              ;   in Loop: Header=BB16_3 Depth=1
	ds_load_b32 v21, v5 offset:4680
	s_wait_dscnt 0x0
	v_mul_f32_e32 v20, v20, v21
	s_delay_alu instid0(VALU_DEP_1)
	v_xor_b32_e32 v21, 0x80000000, v20
	ds_store_b32 v43, v21
.LBB16_594:                             ;   in Loop: Header=BB16_3 Depth=1
	s_or_b32 exec_lo, exec_lo, s7
	s_wait_dscnt 0x0
	s_barrier_signal -1
	s_barrier_wait -1
	s_mov_b32 s7, exec_lo
	v_readlane_b32 s8, v71, 4
	s_and_b32 s8, s7, s8
	s_delay_alu instid0(SALU_CYCLE_1)
	s_mov_b32 exec_lo, s8
	s_cbranch_execz .LBB16_596
; %bb.595:                              ;   in Loop: Header=BB16_3 Depth=1
	ds_load_b32 v21, v45 offset:4608
	ds_load_b32 v22, v43
	s_wait_dscnt 0x0
	v_fma_f32 v20, -v21, v22, v20
.LBB16_596:                             ;   in Loop: Header=BB16_3 Depth=1
	s_or_b32 exec_lo, exec_lo, s7
	s_barrier_signal -1
	s_barrier_wait -1
	s_mov_b32 s7, exec_lo
	v_readlane_b32 s8, v71, 5
	s_and_b32 s8, s7, s8
	s_delay_alu instid0(SALU_CYCLE_1)
	s_mov_b32 exec_lo, s8
	s_cbranch_execz .LBB16_598
; %bb.597:                              ;   in Loop: Header=BB16_3 Depth=1
	ds_load_b32 v21, v5 offset:4420
	s_wait_dscnt 0x0
	v_mul_f32_e32 v20, v20, v21
	s_delay_alu instid0(VALU_DEP_1)
	v_xor_b32_e32 v21, 0x80000000, v20
	ds_store_b32 v43, v21
.LBB16_598:                             ;   in Loop: Header=BB16_3 Depth=1
	s_or_b32 exec_lo, exec_lo, s7
	s_wait_dscnt 0x0
	s_barrier_signal -1
	s_barrier_wait -1
	s_mov_b32 s7, exec_lo
	v_readlane_b32 s8, v71, 6
	s_and_b32 s8, s7, s8
	s_delay_alu instid0(SALU_CYCLE_1)
	s_mov_b32 exec_lo, s8
	s_cbranch_execz .LBB16_600
; %bb.599:                              ;   in Loop: Header=BB16_3 Depth=1
	ds_load_b32 v21, v45 offset:4352
	ds_load_b32 v22, v43
	s_wait_dscnt 0x0
	v_fma_f32 v20, -v21, v22, v20
.LBB16_600:                             ;   in Loop: Header=BB16_3 Depth=1
	s_or_b32 exec_lo, exec_lo, s7
	s_barrier_signal -1
	s_barrier_wait -1
	s_mov_b32 s7, exec_lo
	v_readlane_b32 s8, v71, 7
	s_and_b32 s8, s7, s8
	s_delay_alu instid0(SALU_CYCLE_1)
	s_mov_b32 exec_lo, s8
	s_cbranch_execz .LBB16_602
; %bb.601:                              ;   in Loop: Header=BB16_3 Depth=1
	ds_load_b32 v21, v5 offset:4160
	s_wait_dscnt 0x0
	v_mul_f32_e32 v20, v20, v21
	s_delay_alu instid0(VALU_DEP_1)
	v_xor_b32_e32 v21, 0x80000000, v20
	ds_store_b32 v43, v21
.LBB16_602:                             ;   in Loop: Header=BB16_3 Depth=1
	s_or_b32 exec_lo, exec_lo, s7
	s_wait_dscnt 0x0
	s_barrier_signal -1
	s_barrier_wait -1
	s_mov_b32 s7, exec_lo
	v_readlane_b32 s8, v71, 8
	s_and_b32 s8, s7, s8
	s_delay_alu instid0(SALU_CYCLE_1)
	s_mov_b32 exec_lo, s8
	s_cbranch_execz .LBB16_604
; %bb.603:                              ;   in Loop: Header=BB16_3 Depth=1
	ds_load_b32 v21, v45 offset:4096
	ds_load_b32 v22, v43
	s_wait_dscnt 0x0
	v_fma_f32 v20, -v21, v22, v20
.LBB16_604:                             ;   in Loop: Header=BB16_3 Depth=1
	s_or_b32 exec_lo, exec_lo, s7
	s_barrier_signal -1
	s_barrier_wait -1
	s_mov_b32 s7, exec_lo
	v_readlane_b32 s8, v71, 9
	s_and_b32 s8, s7, s8
	s_delay_alu instid0(SALU_CYCLE_1)
	s_mov_b32 exec_lo, s8
	s_cbranch_execz .LBB16_606
; %bb.605:                              ;   in Loop: Header=BB16_3 Depth=1
	ds_load_b32 v21, v5 offset:3900
	s_wait_dscnt 0x0
	v_mul_f32_e32 v20, v20, v21
	s_delay_alu instid0(VALU_DEP_1)
	v_xor_b32_e32 v21, 0x80000000, v20
	ds_store_b32 v43, v21
.LBB16_606:                             ;   in Loop: Header=BB16_3 Depth=1
	s_or_b32 exec_lo, exec_lo, s7
	s_wait_dscnt 0x0
	s_barrier_signal -1
	s_barrier_wait -1
	s_mov_b32 s7, exec_lo
	v_readlane_b32 s8, v71, 10
	s_and_b32 s8, s7, s8
	s_delay_alu instid0(SALU_CYCLE_1)
	s_mov_b32 exec_lo, s8
	s_cbranch_execz .LBB16_608
; %bb.607:                              ;   in Loop: Header=BB16_3 Depth=1
	ds_load_b32 v21, v45 offset:3840
	ds_load_b32 v22, v43
	s_wait_dscnt 0x0
	v_fma_f32 v20, -v21, v22, v20
.LBB16_608:                             ;   in Loop: Header=BB16_3 Depth=1
	s_or_b32 exec_lo, exec_lo, s7
	s_barrier_signal -1
	s_barrier_wait -1
	s_mov_b32 s7, exec_lo
	v_readlane_b32 s8, v71, 11
	s_and_b32 s8, s7, s8
	s_delay_alu instid0(SALU_CYCLE_1)
	s_mov_b32 exec_lo, s8
	s_cbranch_execz .LBB16_610
; %bb.609:                              ;   in Loop: Header=BB16_3 Depth=1
	ds_load_b32 v21, v5 offset:3640
	s_wait_dscnt 0x0
	v_mul_f32_e32 v20, v20, v21
	s_delay_alu instid0(VALU_DEP_1)
	v_xor_b32_e32 v21, 0x80000000, v20
	ds_store_b32 v43, v21
.LBB16_610:                             ;   in Loop: Header=BB16_3 Depth=1
	s_or_b32 exec_lo, exec_lo, s7
	s_wait_dscnt 0x0
	s_barrier_signal -1
	s_barrier_wait -1
	s_mov_b32 s7, exec_lo
	v_readlane_b32 s8, v71, 12
	s_and_b32 s8, s7, s8
	s_delay_alu instid0(SALU_CYCLE_1)
	s_mov_b32 exec_lo, s8
	s_cbranch_execz .LBB16_612
; %bb.611:                              ;   in Loop: Header=BB16_3 Depth=1
	ds_load_b32 v21, v45 offset:3584
	ds_load_b32 v22, v43
	s_wait_dscnt 0x0
	v_fma_f32 v20, -v21, v22, v20
.LBB16_612:                             ;   in Loop: Header=BB16_3 Depth=1
	s_or_b32 exec_lo, exec_lo, s7
	s_barrier_signal -1
	s_barrier_wait -1
	s_mov_b32 s7, exec_lo
	v_readlane_b32 s8, v71, 13
	s_and_b32 s8, s7, s8
	s_delay_alu instid0(SALU_CYCLE_1)
	s_mov_b32 exec_lo, s8
	s_cbranch_execz .LBB16_614
; %bb.613:                              ;   in Loop: Header=BB16_3 Depth=1
	ds_load_b32 v21, v5 offset:3380
	s_wait_dscnt 0x0
	v_mul_f32_e32 v20, v20, v21
	s_delay_alu instid0(VALU_DEP_1)
	v_xor_b32_e32 v21, 0x80000000, v20
	ds_store_b32 v43, v21
.LBB16_614:                             ;   in Loop: Header=BB16_3 Depth=1
	s_or_b32 exec_lo, exec_lo, s7
	s_wait_dscnt 0x0
	s_barrier_signal -1
	s_barrier_wait -1
	s_mov_b32 s7, exec_lo
	v_readlane_b32 s8, v71, 14
	s_and_b32 s8, s7, s8
	s_delay_alu instid0(SALU_CYCLE_1)
	s_mov_b32 exec_lo, s8
	s_cbranch_execz .LBB16_616
; %bb.615:                              ;   in Loop: Header=BB16_3 Depth=1
	ds_load_b32 v21, v45 offset:3328
	ds_load_b32 v22, v43
	s_wait_dscnt 0x0
	v_fma_f32 v20, -v21, v22, v20
.LBB16_616:                             ;   in Loop: Header=BB16_3 Depth=1
	s_or_b32 exec_lo, exec_lo, s7
	s_barrier_signal -1
	s_barrier_wait -1
	s_mov_b32 s7, exec_lo
	v_readlane_b32 s8, v71, 15
	s_and_b32 s8, s7, s8
	s_delay_alu instid0(SALU_CYCLE_1)
	s_mov_b32 exec_lo, s8
	s_cbranch_execz .LBB16_618
; %bb.617:                              ;   in Loop: Header=BB16_3 Depth=1
	ds_load_b32 v21, v5 offset:3120
	s_wait_dscnt 0x0
	v_mul_f32_e32 v20, v20, v21
	s_delay_alu instid0(VALU_DEP_1)
	v_xor_b32_e32 v21, 0x80000000, v20
	ds_store_b32 v43, v21
.LBB16_618:                             ;   in Loop: Header=BB16_3 Depth=1
	s_or_b32 exec_lo, exec_lo, s7
	s_wait_dscnt 0x0
	s_barrier_signal -1
	s_barrier_wait -1
	s_mov_b32 s7, exec_lo
	v_readlane_b32 s8, v71, 16
	s_and_b32 s8, s7, s8
	s_delay_alu instid0(SALU_CYCLE_1)
	s_mov_b32 exec_lo, s8
	s_cbranch_execz .LBB16_620
; %bb.619:                              ;   in Loop: Header=BB16_3 Depth=1
	ds_load_b32 v21, v45 offset:3072
	ds_load_b32 v22, v43
	s_wait_dscnt 0x0
	v_fma_f32 v20, -v21, v22, v20
.LBB16_620:                             ;   in Loop: Header=BB16_3 Depth=1
	s_or_b32 exec_lo, exec_lo, s7
	s_barrier_signal -1
	s_barrier_wait -1
	s_mov_b32 s7, exec_lo
	v_readlane_b32 s8, v71, 17
	s_and_b32 s8, s7, s8
	s_delay_alu instid0(SALU_CYCLE_1)
	s_mov_b32 exec_lo, s8
	s_cbranch_execz .LBB16_622
; %bb.621:                              ;   in Loop: Header=BB16_3 Depth=1
	ds_load_b32 v21, v5 offset:2860
	s_wait_dscnt 0x0
	v_mul_f32_e32 v20, v20, v21
	s_delay_alu instid0(VALU_DEP_1)
	v_xor_b32_e32 v21, 0x80000000, v20
	ds_store_b32 v43, v21
.LBB16_622:                             ;   in Loop: Header=BB16_3 Depth=1
	s_or_b32 exec_lo, exec_lo, s7
	s_wait_dscnt 0x0
	s_barrier_signal -1
	s_barrier_wait -1
	s_mov_b32 s7, exec_lo
	v_readlane_b32 s8, v71, 18
	s_and_b32 s8, s7, s8
	s_delay_alu instid0(SALU_CYCLE_1)
	s_mov_b32 exec_lo, s8
	s_cbranch_execz .LBB16_624
; %bb.623:                              ;   in Loop: Header=BB16_3 Depth=1
	ds_load_b32 v21, v45 offset:2816
	ds_load_b32 v22, v43
	s_wait_dscnt 0x0
	v_fma_f32 v20, -v21, v22, v20
.LBB16_624:                             ;   in Loop: Header=BB16_3 Depth=1
	s_or_b32 exec_lo, exec_lo, s7
	s_barrier_signal -1
	s_barrier_wait -1
	s_mov_b32 s7, exec_lo
	v_readlane_b32 s8, v71, 19
	s_and_b32 s8, s7, s8
	s_delay_alu instid0(SALU_CYCLE_1)
	s_mov_b32 exec_lo, s8
	s_cbranch_execz .LBB16_626
; %bb.625:                              ;   in Loop: Header=BB16_3 Depth=1
	ds_load_b32 v21, v5 offset:2600
	s_wait_dscnt 0x0
	v_mul_f32_e32 v20, v20, v21
	s_delay_alu instid0(VALU_DEP_1)
	v_xor_b32_e32 v21, 0x80000000, v20
	ds_store_b32 v43, v21
.LBB16_626:                             ;   in Loop: Header=BB16_3 Depth=1
	s_or_b32 exec_lo, exec_lo, s7
	s_wait_dscnt 0x0
	s_barrier_signal -1
	s_barrier_wait -1
	s_mov_b32 s7, exec_lo
	v_readlane_b32 s8, v71, 20
	s_and_b32 s8, s7, s8
	s_delay_alu instid0(SALU_CYCLE_1)
	s_mov_b32 exec_lo, s8
	s_cbranch_execz .LBB16_628
; %bb.627:                              ;   in Loop: Header=BB16_3 Depth=1
	ds_load_b32 v21, v45 offset:2560
	ds_load_b32 v22, v43
	s_wait_dscnt 0x0
	v_fma_f32 v20, -v21, v22, v20
.LBB16_628:                             ;   in Loop: Header=BB16_3 Depth=1
	s_or_b32 exec_lo, exec_lo, s7
	s_barrier_signal -1
	s_barrier_wait -1
	s_mov_b32 s7, exec_lo
	v_readlane_b32 s8, v71, 21
	s_and_b32 s8, s7, s8
	s_delay_alu instid0(SALU_CYCLE_1)
	s_mov_b32 exec_lo, s8
	s_cbranch_execz .LBB16_630
; %bb.629:                              ;   in Loop: Header=BB16_3 Depth=1
	ds_load_b32 v21, v5 offset:2340
	s_wait_dscnt 0x0
	v_mul_f32_e32 v20, v20, v21
	s_delay_alu instid0(VALU_DEP_1)
	v_xor_b32_e32 v21, 0x80000000, v20
	ds_store_b32 v43, v21
.LBB16_630:                             ;   in Loop: Header=BB16_3 Depth=1
	s_or_b32 exec_lo, exec_lo, s7
	s_wait_dscnt 0x0
	s_barrier_signal -1
	s_barrier_wait -1
	s_mov_b32 s7, exec_lo
	v_readlane_b32 s8, v71, 22
	s_and_b32 s8, s7, s8
	s_delay_alu instid0(SALU_CYCLE_1)
	s_mov_b32 exec_lo, s8
	s_cbranch_execz .LBB16_632
; %bb.631:                              ;   in Loop: Header=BB16_3 Depth=1
	ds_load_b32 v21, v45 offset:2304
	ds_load_b32 v22, v43
	s_wait_dscnt 0x0
	v_fma_f32 v20, -v21, v22, v20
.LBB16_632:                             ;   in Loop: Header=BB16_3 Depth=1
	s_or_b32 exec_lo, exec_lo, s7
	s_barrier_signal -1
	s_barrier_wait -1
	s_mov_b32 s7, exec_lo
	v_readlane_b32 s8, v71, 23
	s_and_b32 s8, s7, s8
	s_delay_alu instid0(SALU_CYCLE_1)
	s_mov_b32 exec_lo, s8
	s_cbranch_execz .LBB16_634
; %bb.633:                              ;   in Loop: Header=BB16_3 Depth=1
	ds_load_b32 v21, v5 offset:2080
	s_wait_dscnt 0x0
	v_mul_f32_e32 v20, v20, v21
	s_delay_alu instid0(VALU_DEP_1)
	v_xor_b32_e32 v21, 0x80000000, v20
	ds_store_b32 v43, v21
.LBB16_634:                             ;   in Loop: Header=BB16_3 Depth=1
	s_or_b32 exec_lo, exec_lo, s7
	s_wait_dscnt 0x0
	s_barrier_signal -1
	s_barrier_wait -1
	s_mov_b32 s7, exec_lo
	v_readlane_b32 s8, v71, 24
	s_and_b32 s8, s7, s8
	s_delay_alu instid0(SALU_CYCLE_1)
	s_mov_b32 exec_lo, s8
	s_cbranch_execz .LBB16_636
; %bb.635:                              ;   in Loop: Header=BB16_3 Depth=1
	ds_load_b32 v21, v45 offset:2048
	ds_load_b32 v22, v43
	s_wait_dscnt 0x0
	v_fma_f32 v20, -v21, v22, v20
.LBB16_636:                             ;   in Loop: Header=BB16_3 Depth=1
	s_or_b32 exec_lo, exec_lo, s7
	s_barrier_signal -1
	s_barrier_wait -1
	s_mov_b32 s7, exec_lo
	v_readlane_b32 s8, v71, 25
	s_and_b32 s8, s7, s8
	s_delay_alu instid0(SALU_CYCLE_1)
	s_mov_b32 exec_lo, s8
	s_cbranch_execz .LBB16_638
; %bb.637:                              ;   in Loop: Header=BB16_3 Depth=1
	ds_load_b32 v21, v5 offset:1820
	s_wait_dscnt 0x0
	v_mul_f32_e32 v20, v20, v21
	s_delay_alu instid0(VALU_DEP_1)
	v_xor_b32_e32 v21, 0x80000000, v20
	ds_store_b32 v43, v21
.LBB16_638:                             ;   in Loop: Header=BB16_3 Depth=1
	s_or_b32 exec_lo, exec_lo, s7
	s_wait_dscnt 0x0
	s_barrier_signal -1
	s_barrier_wait -1
	s_mov_b32 s7, exec_lo
	v_readlane_b32 s8, v71, 26
	s_and_b32 s8, s7, s8
	s_delay_alu instid0(SALU_CYCLE_1)
	s_mov_b32 exec_lo, s8
	s_cbranch_execz .LBB16_640
; %bb.639:                              ;   in Loop: Header=BB16_3 Depth=1
	ds_load_b32 v21, v45 offset:1792
	ds_load_b32 v22, v43
	s_wait_dscnt 0x0
	v_fma_f32 v20, -v21, v22, v20
.LBB16_640:                             ;   in Loop: Header=BB16_3 Depth=1
	s_or_b32 exec_lo, exec_lo, s7
	s_barrier_signal -1
	s_barrier_wait -1
	s_mov_b32 s7, exec_lo
	v_readlane_b32 s8, v71, 27
	s_and_b32 s8, s7, s8
	s_delay_alu instid0(SALU_CYCLE_1)
	s_mov_b32 exec_lo, s8
	s_cbranch_execz .LBB16_642
; %bb.641:                              ;   in Loop: Header=BB16_3 Depth=1
	ds_load_b32 v21, v5 offset:1560
	s_wait_dscnt 0x0
	v_mul_f32_e32 v20, v20, v21
	s_delay_alu instid0(VALU_DEP_1)
	v_xor_b32_e32 v21, 0x80000000, v20
	ds_store_b32 v43, v21
.LBB16_642:                             ;   in Loop: Header=BB16_3 Depth=1
	s_or_b32 exec_lo, exec_lo, s7
	s_wait_dscnt 0x0
	s_barrier_signal -1
	s_barrier_wait -1
	s_mov_b32 s7, exec_lo
	v_readlane_b32 s8, v71, 28
	s_and_b32 s8, s7, s8
	s_delay_alu instid0(SALU_CYCLE_1)
	s_mov_b32 exec_lo, s8
	s_cbranch_execz .LBB16_644
; %bb.643:                              ;   in Loop: Header=BB16_3 Depth=1
	ds_load_b32 v21, v45 offset:1536
	ds_load_b32 v22, v43
	s_wait_dscnt 0x0
	v_fma_f32 v20, -v21, v22, v20
.LBB16_644:                             ;   in Loop: Header=BB16_3 Depth=1
	s_or_b32 exec_lo, exec_lo, s7
	s_barrier_signal -1
	s_barrier_wait -1
	s_mov_b32 s7, exec_lo
	v_readlane_b32 s8, v71, 29
	s_and_b32 s8, s7, s8
	s_delay_alu instid0(SALU_CYCLE_1)
	s_mov_b32 exec_lo, s8
	s_cbranch_execz .LBB16_646
; %bb.645:                              ;   in Loop: Header=BB16_3 Depth=1
	ds_load_b32 v21, v5 offset:1300
	s_wait_dscnt 0x0
	v_mul_f32_e32 v20, v20, v21
	s_delay_alu instid0(VALU_DEP_1)
	v_xor_b32_e32 v21, 0x80000000, v20
	ds_store_b32 v43, v21
.LBB16_646:                             ;   in Loop: Header=BB16_3 Depth=1
	s_or_b32 exec_lo, exec_lo, s7
	s_wait_dscnt 0x0
	s_barrier_signal -1
	s_barrier_wait -1
	s_mov_b32 s7, exec_lo
	v_readlane_b32 s8, v71, 30
	s_and_b32 s8, s7, s8
	s_delay_alu instid0(SALU_CYCLE_1)
	s_mov_b32 exec_lo, s8
	s_cbranch_execz .LBB16_648
; %bb.647:                              ;   in Loop: Header=BB16_3 Depth=1
	ds_load_b32 v21, v45 offset:1280
	ds_load_b32 v22, v43
	s_wait_dscnt 0x0
	v_fma_f32 v20, -v21, v22, v20
.LBB16_648:                             ;   in Loop: Header=BB16_3 Depth=1
	s_or_b32 exec_lo, exec_lo, s7
	s_barrier_signal -1
	s_barrier_wait -1
	s_mov_b32 s7, exec_lo
	v_readlane_b32 s8, v71, 31
	s_and_b32 s8, s7, s8
	s_delay_alu instid0(SALU_CYCLE_1)
	s_mov_b32 exec_lo, s8
	s_cbranch_execz .LBB16_650
; %bb.649:                              ;   in Loop: Header=BB16_3 Depth=1
	ds_load_b32 v21, v5 offset:1040
	s_wait_dscnt 0x0
	v_mul_f32_e32 v20, v20, v21
	s_delay_alu instid0(VALU_DEP_1)
	v_xor_b32_e32 v21, 0x80000000, v20
	ds_store_b32 v43, v21
.LBB16_650:                             ;   in Loop: Header=BB16_3 Depth=1
	s_or_b32 exec_lo, exec_lo, s7
	s_wait_dscnt 0x0
	s_barrier_signal -1
	s_barrier_wait -1
	s_mov_b32 s7, exec_lo
	v_readlane_b32 s8, v70, 0
	s_and_b32 s8, s7, s8
	s_delay_alu instid0(SALU_CYCLE_1)
	s_mov_b32 exec_lo, s8
	s_cbranch_execz .LBB16_652
; %bb.651:                              ;   in Loop: Header=BB16_3 Depth=1
	ds_load_b32 v21, v45 offset:1024
	ds_load_b32 v22, v43
	s_wait_dscnt 0x0
	v_fma_f32 v20, -v21, v22, v20
.LBB16_652:                             ;   in Loop: Header=BB16_3 Depth=1
	s_or_b32 exec_lo, exec_lo, s7
	s_barrier_signal -1
	s_barrier_wait -1
	s_mov_b32 s7, exec_lo
	v_readlane_b32 s8, v70, 1
	s_and_b32 s8, s7, s8
	s_delay_alu instid0(SALU_CYCLE_1)
	s_mov_b32 exec_lo, s8
	s_cbranch_execz .LBB16_654
; %bb.653:                              ;   in Loop: Header=BB16_3 Depth=1
	ds_load_b32 v21, v5 offset:780
	s_wait_dscnt 0x0
	v_mul_f32_e32 v20, v20, v21
	s_delay_alu instid0(VALU_DEP_1)
	v_xor_b32_e32 v21, 0x80000000, v20
	ds_store_b32 v43, v21
.LBB16_654:                             ;   in Loop: Header=BB16_3 Depth=1
	s_or_b32 exec_lo, exec_lo, s7
	s_wait_dscnt 0x0
	s_barrier_signal -1
	s_barrier_wait -1
	s_mov_b32 s7, exec_lo
	v_readlane_b32 s8, v70, 2
	s_and_b32 s8, s7, s8
	s_delay_alu instid0(SALU_CYCLE_1)
	s_mov_b32 exec_lo, s8
	s_cbranch_execz .LBB16_656
; %bb.655:                              ;   in Loop: Header=BB16_3 Depth=1
	ds_load_b32 v21, v45 offset:768
	ds_load_b32 v22, v43
	s_wait_dscnt 0x0
	v_fma_f32 v20, -v21, v22, v20
.LBB16_656:                             ;   in Loop: Header=BB16_3 Depth=1
	s_or_b32 exec_lo, exec_lo, s7
	s_barrier_signal -1
	s_barrier_wait -1
	s_mov_b32 s7, exec_lo
	v_readlane_b32 s8, v70, 3
	s_and_b32 s8, s7, s8
	s_delay_alu instid0(SALU_CYCLE_1)
	s_mov_b32 exec_lo, s8
	s_cbranch_execz .LBB16_658
; %bb.657:                              ;   in Loop: Header=BB16_3 Depth=1
	ds_load_b32 v21, v5 offset:520
	s_wait_dscnt 0x0
	v_mul_f32_e32 v20, v20, v21
	s_delay_alu instid0(VALU_DEP_1)
	v_xor_b32_e32 v21, 0x80000000, v20
	ds_store_b32 v43, v21
.LBB16_658:                             ;   in Loop: Header=BB16_3 Depth=1
	s_or_b32 exec_lo, exec_lo, s7
	s_wait_dscnt 0x0
	s_barrier_signal -1
	s_barrier_wait -1
	s_mov_b32 s7, exec_lo
	v_readlane_b32 s8, v70, 4
	s_and_b32 s8, s7, s8
	s_delay_alu instid0(SALU_CYCLE_1)
	s_mov_b32 exec_lo, s8
	s_cbranch_execz .LBB16_660
; %bb.659:                              ;   in Loop: Header=BB16_3 Depth=1
	ds_load_b32 v21, v45 offset:512
	ds_load_b32 v22, v43
	s_wait_dscnt 0x0
	v_fma_f32 v20, -v21, v22, v20
.LBB16_660:                             ;   in Loop: Header=BB16_3 Depth=1
	s_or_b32 exec_lo, exec_lo, s7
	s_barrier_signal -1
	s_barrier_wait -1
	s_mov_b32 s7, exec_lo
	v_readlane_b32 s8, v70, 5
	s_and_b32 s8, s7, s8
	s_delay_alu instid0(SALU_CYCLE_1)
	s_mov_b32 exec_lo, s8
	s_cbranch_execz .LBB16_662
; %bb.661:                              ;   in Loop: Header=BB16_3 Depth=1
	ds_load_b32 v21, v5 offset:260
	s_wait_dscnt 0x0
	v_mul_f32_e32 v20, v20, v21
	s_delay_alu instid0(VALU_DEP_1)
	v_xor_b32_e32 v21, 0x80000000, v20
	ds_store_b32 v43, v21
.LBB16_662:                             ;   in Loop: Header=BB16_3 Depth=1
	s_or_b32 exec_lo, exec_lo, s7
	s_wait_dscnt 0x0
	s_barrier_signal -1
	s_barrier_wait -1
	s_and_saveexec_b32 s7, s77
	s_cbranch_execz .LBB16_664
; %bb.663:                              ;   in Loop: Header=BB16_3 Depth=1
	ds_load_b32 v21, v5 offset:256
	ds_load_b32 v22, v43
	s_wait_dscnt 0x0
	v_fma_f32 v20, -v21, v22, v20
.LBB16_664:                             ;   in Loop: Header=BB16_3 Depth=1
	s_or_b32 exec_lo, exec_lo, s7
	s_barrier_signal -1
	s_barrier_wait -1
	s_and_saveexec_b32 s7, s77
	s_cbranch_execz .LBB16_666
; %bb.665:                              ;   in Loop: Header=BB16_3 Depth=1
	ds_load_b32 v21, v5
	s_wait_dscnt 0x0
	v_mul_f32_e32 v20, v20, v21
	s_delay_alu instid0(VALU_DEP_1)
	v_xor_b32_e32 v21, 0x80000000, v20
	ds_store_b32 v43, v21
.LBB16_666:                             ;   in Loop: Header=BB16_3 Depth=1
	s_or_b32 exec_lo, exec_lo, s7
	s_wait_dscnt 0x0
	s_barrier_signal -1
	s_barrier_wait -1
	s_barrier_signal -1
	s_barrier_wait -1
	s_and_saveexec_b32 s7, s4
; %bb.667:                              ;   in Loop: Header=BB16_3 Depth=1
	ds_store_b32 v46, v20 offset:16128
; %bb.668:                              ;   in Loop: Header=BB16_3 Depth=1
	s_or_b32 exec_lo, exec_lo, s7
	s_wait_dscnt 0x0
	s_barrier_signal -1
	s_barrier_wait -1
	s_barrier_signal -1
	s_barrier_wait -1
	s_and_saveexec_b32 s7, s15
	s_cbranch_execz .LBB16_670
; %bb.669:                              ;   in Loop: Header=BB16_3 Depth=1
	ds_load_b64 v[20:21], v5 offset:8056
	ds_load_b32 v22, v5 offset:7800
	s_wait_dscnt 0x0
	v_mul_f32_e32 v21, v22, v21
	s_delay_alu instid0(VALU_DEP_1)
	v_mul_f32_e32 v20, v20, v21
	ds_store_b32 v5, v20 offset:8056
.LBB16_670:                             ;   in Loop: Header=BB16_3 Depth=1
	s_or_b32 exec_lo, exec_lo, s7
	v_mov_b32_e32 v20, 0
	s_wait_dscnt 0x0
	s_barrier_signal -1
	s_barrier_wait -1
	global_wb scope:SCOPE_DEV
	s_wait_storecnt 0x0
	global_inv scope:SCOPE_DEV
	s_and_saveexec_b32 s7, s0
	s_cbranch_execz .LBB16_674
; %bb.671:                              ;   in Loop: Header=BB16_3 Depth=1
	ds_load_b32 v20, v28 offset:7792
	ds_load_b32 v21, v27 offset:8056
	s_wait_dscnt 0x0
	v_fma_f32 v20, v20, v21, 0
	s_and_saveexec_b32 s8, s16
	s_cbranch_execz .LBB16_673
; %bb.672:                              ;   in Loop: Header=BB16_3 Depth=1
	ds_load_b32 v21, v29 offset:8048
	ds_load_b32 v22, v5 offset:8060
	s_wait_dscnt 0x0
	v_fmac_f32_e32 v20, v21, v22
.LBB16_673:                             ;   in Loop: Header=BB16_3 Depth=1
	s_or_b32 exec_lo, exec_lo, s8
.LBB16_674:                             ;   in Loop: Header=BB16_3 Depth=1
	s_delay_alu instid0(SALU_CYCLE_1)
	s_or_b32 exec_lo, exec_lo, s7
	s_and_saveexec_b32 s7, s104
	s_cbranch_execz .LBB16_676
; %bb.675:                              ;   in Loop: Header=BB16_3 Depth=1
	ds_load_b32 v21, v5 offset:7540
	s_wait_dscnt 0x0
	v_mul_f32_e32 v20, v20, v21
	s_delay_alu instid0(VALU_DEP_1)
	v_xor_b32_e32 v21, 0x80000000, v20
	ds_store_b32 v3, v21
.LBB16_676:                             ;   in Loop: Header=BB16_3 Depth=1
	s_or_b32 exec_lo, exec_lo, s7
	s_wait_loadcnt_dscnt 0x0
	s_barrier_signal -1
	s_barrier_wait -1
	s_and_saveexec_b32 s7, vcc_hi
	s_cbranch_execz .LBB16_678
; %bb.677:                              ;   in Loop: Header=BB16_3 Depth=1
	ds_load_b32 v21, v5 offset:7536
	ds_load_b32 v22, v3
	s_wait_dscnt 0x0
	v_fma_f32 v20, -v21, v22, v20
.LBB16_678:                             ;   in Loop: Header=BB16_3 Depth=1
	s_or_b32 exec_lo, exec_lo, s7
	s_barrier_signal -1
	s_barrier_wait -1
	s_and_saveexec_b32 s7, vcc_hi
	s_cbranch_execz .LBB16_680
; %bb.679:                              ;   in Loop: Header=BB16_3 Depth=1
	ds_load_b32 v21, v5 offset:7280
	s_wait_dscnt 0x0
	v_mul_f32_e32 v20, v20, v21
	s_delay_alu instid0(VALU_DEP_1)
	v_xor_b32_e32 v21, 0x80000000, v20
	ds_store_b32 v3, v21
.LBB16_680:                             ;   in Loop: Header=BB16_3 Depth=1
	s_or_b32 exec_lo, exec_lo, s7
	s_wait_dscnt 0x0
	s_barrier_signal -1
	s_barrier_wait -1
	s_barrier_signal -1
	s_barrier_wait -1
	s_and_saveexec_b32 s7, s0
; %bb.681:                              ;   in Loop: Header=BB16_3 Depth=1
	ds_store_b32 v30, v20 offset:8048
; %bb.682:                              ;   in Loop: Header=BB16_3 Depth=1
	s_or_b32 exec_lo, exec_lo, s7
	s_wait_dscnt 0x0
	s_barrier_signal -1
	s_barrier_wait -1
	s_barrier_signal -1
	s_barrier_wait -1
	s_and_saveexec_b32 s7, s15
	s_cbranch_execz .LBB16_684
; %bb.683:                              ;   in Loop: Header=BB16_3 Depth=1
	ds_load_b64 v[20:21], v5 offset:7536
	ds_load_b32 v22, v5 offset:7280
	s_wait_dscnt 0x0
	v_mul_f32_e32 v21, v22, v21
	s_delay_alu instid0(VALU_DEP_1)
	v_mul_f32_e32 v20, v20, v21
	ds_store_b32 v5, v20 offset:7536
.LBB16_684:                             ;   in Loop: Header=BB16_3 Depth=1
	s_or_b32 exec_lo, exec_lo, s7
	v_mov_b32_e32 v20, 0
	s_wait_dscnt 0x0
	s_barrier_signal -1
	s_barrier_wait -1
	global_wb scope:SCOPE_DEV
	s_wait_storecnt 0x0
	global_inv scope:SCOPE_DEV
	s_and_saveexec_b32 s89, s1
	s_cbranch_execz .LBB16_690
; %bb.685:                              ;   in Loop: Header=BB16_3 Depth=1
	ds_load_b32 v20, v33 offset:7264
	ds_load_b32 v21, v32 offset:8048
	s_wait_dscnt 0x0
	v_fma_f32 v20, v20, v21, 0
	s_and_saveexec_b32 s7, s17
	s_cbranch_execnz .LBB16_1171
; %bb.686:                              ;   in Loop: Header=BB16_3 Depth=1
	s_or_b32 exec_lo, exec_lo, s7
	s_and_saveexec_b32 s7, s18
	s_cbranch_execnz .LBB16_1172
.LBB16_687:                             ;   in Loop: Header=BB16_3 Depth=1
	s_or_b32 exec_lo, exec_lo, s7
	s_and_saveexec_b32 s7, s0
	s_cbranch_execz .LBB16_689
.LBB16_688:                             ;   in Loop: Header=BB16_3 Depth=1
	ds_load_b32 v21, v29 offset:8032
	ds_load_b32 v22, v5 offset:8060
	s_wait_dscnt 0x0
	v_fmac_f32_e32 v20, v21, v22
.LBB16_689:                             ;   in Loop: Header=BB16_3 Depth=1
	s_or_b32 exec_lo, exec_lo, s7
.LBB16_690:                             ;   in Loop: Header=BB16_3 Depth=1
	s_delay_alu instid0(SALU_CYCLE_1)
	s_or_b32 exec_lo, exec_lo, s89
	s_and_saveexec_b32 s7, s36
	s_cbranch_execz .LBB16_692
; %bb.691:                              ;   in Loop: Header=BB16_3 Depth=1
	ds_load_b32 v21, v5 offset:7020
	s_wait_dscnt 0x0
	v_mul_f32_e32 v20, v20, v21
	s_delay_alu instid0(VALU_DEP_1)
	v_xor_b32_e32 v21, 0x80000000, v20
	ds_store_b32 v31, v21
.LBB16_692:                             ;   in Loop: Header=BB16_3 Depth=1
	s_or_b32 exec_lo, exec_lo, s7
	s_wait_loadcnt_dscnt 0x0
	s_barrier_signal -1
	s_barrier_wait -1
	s_and_saveexec_b32 s7, s37
	s_cbranch_execz .LBB16_694
; %bb.693:                              ;   in Loop: Header=BB16_3 Depth=1
	ds_load_b32 v21, v33 offset:7008
	ds_load_b32 v22, v31
	s_wait_dscnt 0x0
	v_fma_f32 v20, -v21, v22, v20
.LBB16_694:                             ;   in Loop: Header=BB16_3 Depth=1
	s_or_b32 exec_lo, exec_lo, s7
	s_barrier_signal -1
	s_barrier_wait -1
	s_and_saveexec_b32 s7, s38
	s_cbranch_execz .LBB16_696
; %bb.695:                              ;   in Loop: Header=BB16_3 Depth=1
	ds_load_b32 v21, v5 offset:6760
	s_wait_dscnt 0x0
	v_mul_f32_e32 v20, v20, v21
	s_delay_alu instid0(VALU_DEP_1)
	v_xor_b32_e32 v21, 0x80000000, v20
	ds_store_b32 v31, v21
.LBB16_696:                             ;   in Loop: Header=BB16_3 Depth=1
	s_or_b32 exec_lo, exec_lo, s7
	s_wait_dscnt 0x0
	s_barrier_signal -1
	s_barrier_wait -1
	s_and_saveexec_b32 s7, s39
	s_cbranch_execz .LBB16_698
; %bb.697:                              ;   in Loop: Header=BB16_3 Depth=1
	ds_load_b32 v21, v33 offset:6752
	ds_load_b32 v22, v31
	s_wait_dscnt 0x0
	v_fma_f32 v20, -v21, v22, v20
.LBB16_698:                             ;   in Loop: Header=BB16_3 Depth=1
	s_or_b32 exec_lo, exec_lo, s7
	s_barrier_signal -1
	s_barrier_wait -1
	s_and_saveexec_b32 s7, s40
	s_cbranch_execz .LBB16_700
; %bb.699:                              ;   in Loop: Header=BB16_3 Depth=1
	ds_load_b32 v21, v5 offset:6500
	s_wait_dscnt 0x0
	v_mul_f32_e32 v20, v20, v21
	s_delay_alu instid0(VALU_DEP_1)
	v_xor_b32_e32 v21, 0x80000000, v20
	ds_store_b32 v31, v21
.LBB16_700:                             ;   in Loop: Header=BB16_3 Depth=1
	s_or_b32 exec_lo, exec_lo, s7
	s_wait_dscnt 0x0
	;; [unrolled: 25-line block ×3, first 2 shown]
	s_barrier_signal -1
	s_barrier_wait -1
	s_barrier_signal -1
	s_barrier_wait -1
	s_and_saveexec_b32 s7, s1
; %bb.705:                              ;   in Loop: Header=BB16_3 Depth=1
	ds_store_b32 v34, v20 offset:8032
; %bb.706:                              ;   in Loop: Header=BB16_3 Depth=1
	s_or_b32 exec_lo, exec_lo, s7
	s_wait_dscnt 0x0
	s_barrier_signal -1
	s_barrier_wait -1
	s_barrier_signal -1
	s_barrier_wait -1
	s_and_saveexec_b32 s7, s15
	s_cbranch_execz .LBB16_708
; %bb.707:                              ;   in Loop: Header=BB16_3 Depth=1
	ds_load_b64 v[20:21], v5 offset:7016
	ds_load_b32 v22, v5 offset:6760
	s_wait_dscnt 0x0
	v_mul_f32_e32 v21, v22, v21
	s_delay_alu instid0(VALU_DEP_1)
	v_mul_f32_e32 v20, v20, v21
	ds_store_b32 v5, v20 offset:7016
.LBB16_708:                             ;   in Loop: Header=BB16_3 Depth=1
	s_or_b32 exec_lo, exec_lo, s7
	v_mov_b32_e32 v20, 0
	s_wait_dscnt 0x0
	s_barrier_signal -1
	s_barrier_wait -1
	global_wb scope:SCOPE_DEV
	s_wait_storecnt 0x0
	global_inv scope:SCOPE_DEV
	s_and_saveexec_b32 s7, s0
	s_cbranch_execz .LBB16_712
; %bb.709:                              ;   in Loop: Header=BB16_3 Depth=1
	ds_load_b32 v20, v28 offset:6752
	ds_load_b32 v21, v27 offset:7016
	s_wait_dscnt 0x0
	v_fma_f32 v20, v20, v21, 0
	s_and_saveexec_b32 s8, s16
	s_cbranch_execz .LBB16_711
; %bb.710:                              ;   in Loop: Header=BB16_3 Depth=1
	ds_load_b32 v21, v29 offset:7008
	ds_load_b32 v22, v5 offset:7020
	s_wait_dscnt 0x0
	v_fmac_f32_e32 v20, v21, v22
.LBB16_711:                             ;   in Loop: Header=BB16_3 Depth=1
	s_or_b32 exec_lo, exec_lo, s8
.LBB16_712:                             ;   in Loop: Header=BB16_3 Depth=1
	s_delay_alu instid0(SALU_CYCLE_1)
	s_or_b32 exec_lo, exec_lo, s7
	s_and_saveexec_b32 s7, s104
	s_cbranch_execz .LBB16_714
; %bb.713:                              ;   in Loop: Header=BB16_3 Depth=1
	ds_load_b32 v21, v5 offset:6500
	s_wait_dscnt 0x0
	v_mul_f32_e32 v20, v20, v21
	s_delay_alu instid0(VALU_DEP_1)
	v_xor_b32_e32 v21, 0x80000000, v20
	ds_store_b32 v3, v21
.LBB16_714:                             ;   in Loop: Header=BB16_3 Depth=1
	s_or_b32 exec_lo, exec_lo, s7
	s_wait_loadcnt_dscnt 0x0
	s_barrier_signal -1
	s_barrier_wait -1
	s_and_saveexec_b32 s7, vcc_hi
	s_cbranch_execz .LBB16_716
; %bb.715:                              ;   in Loop: Header=BB16_3 Depth=1
	ds_load_b32 v21, v5 offset:6496
	ds_load_b32 v22, v3
	s_wait_dscnt 0x0
	v_fma_f32 v20, -v21, v22, v20
.LBB16_716:                             ;   in Loop: Header=BB16_3 Depth=1
	s_or_b32 exec_lo, exec_lo, s7
	s_barrier_signal -1
	s_barrier_wait -1
	s_and_saveexec_b32 s7, vcc_hi
	s_cbranch_execz .LBB16_718
; %bb.717:                              ;   in Loop: Header=BB16_3 Depth=1
	ds_load_b32 v21, v5 offset:6240
	s_wait_dscnt 0x0
	v_mul_f32_e32 v20, v20, v21
	s_delay_alu instid0(VALU_DEP_1)
	v_xor_b32_e32 v21, 0x80000000, v20
	ds_store_b32 v3, v21
.LBB16_718:                             ;   in Loop: Header=BB16_3 Depth=1
	s_or_b32 exec_lo, exec_lo, s7
	s_wait_dscnt 0x0
	s_barrier_signal -1
	s_barrier_wait -1
	s_barrier_signal -1
	s_barrier_wait -1
	s_and_saveexec_b32 s7, s0
; %bb.719:                              ;   in Loop: Header=BB16_3 Depth=1
	ds_store_b32 v30, v20 offset:7008
; %bb.720:                              ;   in Loop: Header=BB16_3 Depth=1
	s_or_b32 exec_lo, exec_lo, s7
	s_wait_dscnt 0x0
	s_barrier_signal -1
	s_barrier_wait -1
	s_barrier_signal -1
	s_barrier_wait -1
	s_and_saveexec_b32 s7, s15
	s_cbranch_execz .LBB16_722
; %bb.721:                              ;   in Loop: Header=BB16_3 Depth=1
	ds_load_b64 v[20:21], v5 offset:6496
	ds_load_b32 v22, v5 offset:6240
	s_wait_dscnt 0x0
	v_mul_f32_e32 v21, v22, v21
	s_delay_alu instid0(VALU_DEP_1)
	v_mul_f32_e32 v20, v20, v21
	ds_store_b32 v5, v20 offset:6496
.LBB16_722:                             ;   in Loop: Header=BB16_3 Depth=1
	s_or_b32 exec_lo, exec_lo, s7
	v_mov_b32_e32 v20, 0
	s_wait_dscnt 0x0
	s_barrier_signal -1
	s_barrier_wait -1
	global_wb scope:SCOPE_DEV
	s_wait_storecnt 0x0
	global_inv scope:SCOPE_DEV
	s_and_saveexec_b32 s89, s2
	s_cbranch_execz .LBB16_732
; %bb.723:                              ;   in Loop: Header=BB16_3 Depth=1
	ds_load_b32 v20, v37 offset:6208
	ds_load_b32 v21, v36 offset:8032
	s_wait_dscnt 0x0
	v_fma_f32 v20, v20, v21, 0
	s_and_saveexec_b32 s7, s19
	s_cbranch_execnz .LBB16_1173
; %bb.724:                              ;   in Loop: Header=BB16_3 Depth=1
	s_or_b32 exec_lo, exec_lo, s7
	s_and_saveexec_b32 s7, s20
	s_cbranch_execnz .LBB16_1174
.LBB16_725:                             ;   in Loop: Header=BB16_3 Depth=1
	s_or_b32 exec_lo, exec_lo, s7
	s_and_saveexec_b32 s7, s21
	s_cbranch_execnz .LBB16_1175
.LBB16_726:                             ;   in Loop: Header=BB16_3 Depth=1
	s_or_b32 exec_lo, exec_lo, s7
	s_and_saveexec_b32 s7, s22
	s_cbranch_execnz .LBB16_1176
.LBB16_727:                             ;   in Loop: Header=BB16_3 Depth=1
	s_or_b32 exec_lo, exec_lo, s7
	s_and_saveexec_b32 s7, s23
	s_cbranch_execnz .LBB16_1177
.LBB16_728:                             ;   in Loop: Header=BB16_3 Depth=1
	s_or_b32 exec_lo, exec_lo, s7
	s_and_saveexec_b32 s7, s1
	s_cbranch_execnz .LBB16_1178
.LBB16_729:                             ;   in Loop: Header=BB16_3 Depth=1
	s_or_b32 exec_lo, exec_lo, s7
	s_and_saveexec_b32 s7, s18
	s_cbranch_execz .LBB16_731
.LBB16_730:                             ;   in Loop: Header=BB16_3 Depth=1
	ds_load_b32 v21, v29 offset:8000
	ds_load_b32 v22, v5 offset:8060
	s_wait_dscnt 0x0
	v_fmac_f32_e32 v20, v21, v22
.LBB16_731:                             ;   in Loop: Header=BB16_3 Depth=1
	s_or_b32 exec_lo, exec_lo, s7
.LBB16_732:                             ;   in Loop: Header=BB16_3 Depth=1
	s_delay_alu instid0(SALU_CYCLE_1)
	s_or_b32 exec_lo, exec_lo, s89
	s_and_saveexec_b32 s7, s42
	s_cbranch_execz .LBB16_734
; %bb.733:                              ;   in Loop: Header=BB16_3 Depth=1
	ds_load_b32 v21, v5 offset:5980
	s_wait_dscnt 0x0
	v_mul_f32_e32 v20, v20, v21
	s_delay_alu instid0(VALU_DEP_1)
	v_xor_b32_e32 v21, 0x80000000, v20
	ds_store_b32 v35, v21
.LBB16_734:                             ;   in Loop: Header=BB16_3 Depth=1
	s_or_b32 exec_lo, exec_lo, s7
	s_wait_loadcnt_dscnt 0x0
	s_barrier_signal -1
	s_barrier_wait -1
	s_and_saveexec_b32 s7, s43
	s_cbranch_execz .LBB16_736
; %bb.735:                              ;   in Loop: Header=BB16_3 Depth=1
	ds_load_b32 v21, v37 offset:5952
	ds_load_b32 v22, v35
	s_wait_dscnt 0x0
	v_fma_f32 v20, -v21, v22, v20
.LBB16_736:                             ;   in Loop: Header=BB16_3 Depth=1
	s_or_b32 exec_lo, exec_lo, s7
	s_barrier_signal -1
	s_barrier_wait -1
	s_and_saveexec_b32 s7, s44
	s_cbranch_execz .LBB16_738
; %bb.737:                              ;   in Loop: Header=BB16_3 Depth=1
	ds_load_b32 v21, v5 offset:5720
	s_wait_dscnt 0x0
	v_mul_f32_e32 v20, v20, v21
	s_delay_alu instid0(VALU_DEP_1)
	v_xor_b32_e32 v21, 0x80000000, v20
	ds_store_b32 v35, v21
.LBB16_738:                             ;   in Loop: Header=BB16_3 Depth=1
	s_or_b32 exec_lo, exec_lo, s7
	s_wait_dscnt 0x0
	s_barrier_signal -1
	s_barrier_wait -1
	s_and_saveexec_b32 s7, s45
	s_cbranch_execz .LBB16_740
; %bb.739:                              ;   in Loop: Header=BB16_3 Depth=1
	ds_load_b32 v21, v37 offset:5696
	ds_load_b32 v22, v35
	s_wait_dscnt 0x0
	v_fma_f32 v20, -v21, v22, v20
.LBB16_740:                             ;   in Loop: Header=BB16_3 Depth=1
	s_or_b32 exec_lo, exec_lo, s7
	s_barrier_signal -1
	s_barrier_wait -1
	s_and_saveexec_b32 s7, s46
	s_cbranch_execz .LBB16_742
; %bb.741:                              ;   in Loop: Header=BB16_3 Depth=1
	ds_load_b32 v21, v5 offset:5460
	s_wait_dscnt 0x0
	v_mul_f32_e32 v20, v20, v21
	s_delay_alu instid0(VALU_DEP_1)
	v_xor_b32_e32 v21, 0x80000000, v20
	ds_store_b32 v35, v21
.LBB16_742:                             ;   in Loop: Header=BB16_3 Depth=1
	s_or_b32 exec_lo, exec_lo, s7
	s_wait_dscnt 0x0
	;; [unrolled: 25-line block ×7, first 2 shown]
	s_barrier_signal -1
	s_barrier_wait -1
	s_barrier_signal -1
	s_barrier_wait -1
	s_and_saveexec_b32 s7, s2
; %bb.763:                              ;   in Loop: Header=BB16_3 Depth=1
	ds_store_b32 v38, v20 offset:8000
; %bb.764:                              ;   in Loop: Header=BB16_3 Depth=1
	s_or_b32 exec_lo, exec_lo, s7
	s_wait_dscnt 0x0
	s_barrier_signal -1
	s_barrier_wait -1
	s_barrier_signal -1
	s_barrier_wait -1
	s_and_saveexec_b32 s7, s15
	s_cbranch_execz .LBB16_766
; %bb.765:                              ;   in Loop: Header=BB16_3 Depth=1
	ds_load_b64 v[20:21], v5 offset:5976
	ds_load_b32 v22, v5 offset:5720
	s_wait_dscnt 0x0
	v_mul_f32_e32 v21, v22, v21
	s_delay_alu instid0(VALU_DEP_1)
	v_mul_f32_e32 v20, v20, v21
	ds_store_b32 v5, v20 offset:5976
.LBB16_766:                             ;   in Loop: Header=BB16_3 Depth=1
	s_or_b32 exec_lo, exec_lo, s7
	v_mov_b32_e32 v20, 0
	s_wait_dscnt 0x0
	s_barrier_signal -1
	s_barrier_wait -1
	global_wb scope:SCOPE_DEV
	s_wait_storecnt 0x0
	global_inv scope:SCOPE_DEV
	s_and_saveexec_b32 s7, s0
	s_cbranch_execz .LBB16_770
; %bb.767:                              ;   in Loop: Header=BB16_3 Depth=1
	ds_load_b32 v20, v28 offset:5712
	ds_load_b32 v21, v27 offset:5976
	s_wait_dscnt 0x0
	v_fma_f32 v20, v20, v21, 0
	s_and_saveexec_b32 s8, s16
	s_cbranch_execz .LBB16_769
; %bb.768:                              ;   in Loop: Header=BB16_3 Depth=1
	ds_load_b32 v21, v29 offset:5968
	ds_load_b32 v22, v5 offset:5980
	s_wait_dscnt 0x0
	v_fmac_f32_e32 v20, v21, v22
.LBB16_769:                             ;   in Loop: Header=BB16_3 Depth=1
	s_or_b32 exec_lo, exec_lo, s8
.LBB16_770:                             ;   in Loop: Header=BB16_3 Depth=1
	s_delay_alu instid0(SALU_CYCLE_1)
	s_or_b32 exec_lo, exec_lo, s7
	s_and_saveexec_b32 s7, s104
	s_cbranch_execz .LBB16_772
; %bb.771:                              ;   in Loop: Header=BB16_3 Depth=1
	ds_load_b32 v21, v5 offset:5460
	s_wait_dscnt 0x0
	v_mul_f32_e32 v20, v20, v21
	s_delay_alu instid0(VALU_DEP_1)
	v_xor_b32_e32 v21, 0x80000000, v20
	ds_store_b32 v3, v21
.LBB16_772:                             ;   in Loop: Header=BB16_3 Depth=1
	s_or_b32 exec_lo, exec_lo, s7
	s_wait_loadcnt_dscnt 0x0
	s_barrier_signal -1
	s_barrier_wait -1
	s_and_saveexec_b32 s7, vcc_hi
	s_cbranch_execz .LBB16_774
; %bb.773:                              ;   in Loop: Header=BB16_3 Depth=1
	ds_load_b32 v21, v5 offset:5456
	ds_load_b32 v22, v3
	s_wait_dscnt 0x0
	v_fma_f32 v20, -v21, v22, v20
.LBB16_774:                             ;   in Loop: Header=BB16_3 Depth=1
	s_or_b32 exec_lo, exec_lo, s7
	s_barrier_signal -1
	s_barrier_wait -1
	s_and_saveexec_b32 s7, vcc_hi
	s_cbranch_execz .LBB16_776
; %bb.775:                              ;   in Loop: Header=BB16_3 Depth=1
	ds_load_b32 v21, v5 offset:5200
	s_wait_dscnt 0x0
	v_mul_f32_e32 v20, v20, v21
	s_delay_alu instid0(VALU_DEP_1)
	v_xor_b32_e32 v21, 0x80000000, v20
	ds_store_b32 v3, v21
.LBB16_776:                             ;   in Loop: Header=BB16_3 Depth=1
	s_or_b32 exec_lo, exec_lo, s7
	s_wait_dscnt 0x0
	s_barrier_signal -1
	s_barrier_wait -1
	s_barrier_signal -1
	s_barrier_wait -1
	s_and_saveexec_b32 s7, s0
; %bb.777:                              ;   in Loop: Header=BB16_3 Depth=1
	ds_store_b32 v30, v20 offset:5968
; %bb.778:                              ;   in Loop: Header=BB16_3 Depth=1
	s_or_b32 exec_lo, exec_lo, s7
	s_wait_dscnt 0x0
	s_barrier_signal -1
	s_barrier_wait -1
	s_barrier_signal -1
	s_barrier_wait -1
	s_and_saveexec_b32 s7, s15
	s_cbranch_execz .LBB16_780
; %bb.779:                              ;   in Loop: Header=BB16_3 Depth=1
	ds_load_b64 v[20:21], v5 offset:5456
	ds_load_b32 v22, v5 offset:5200
	s_wait_dscnt 0x0
	v_mul_f32_e32 v21, v22, v21
	s_delay_alu instid0(VALU_DEP_1)
	v_mul_f32_e32 v20, v20, v21
	ds_store_b32 v5, v20 offset:5456
.LBB16_780:                             ;   in Loop: Header=BB16_3 Depth=1
	s_or_b32 exec_lo, exec_lo, s7
	v_mov_b32_e32 v20, 0
	s_wait_dscnt 0x0
	s_barrier_signal -1
	s_barrier_wait -1
	global_wb scope:SCOPE_DEV
	s_wait_storecnt 0x0
	global_inv scope:SCOPE_DEV
	s_and_saveexec_b32 s89, s1
	s_cbranch_execz .LBB16_786
; %bb.781:                              ;   in Loop: Header=BB16_3 Depth=1
	ds_load_b32 v20, v33 offset:5184
	ds_load_b32 v21, v32 offset:5968
	s_wait_dscnt 0x0
	v_fma_f32 v20, v20, v21, 0
	s_and_saveexec_b32 s7, s17
	s_cbranch_execnz .LBB16_1179
; %bb.782:                              ;   in Loop: Header=BB16_3 Depth=1
	s_or_b32 exec_lo, exec_lo, s7
	s_and_saveexec_b32 s7, s18
	s_cbranch_execnz .LBB16_1180
.LBB16_783:                             ;   in Loop: Header=BB16_3 Depth=1
	s_or_b32 exec_lo, exec_lo, s7
	s_and_saveexec_b32 s7, s0
	s_cbranch_execz .LBB16_785
.LBB16_784:                             ;   in Loop: Header=BB16_3 Depth=1
	ds_load_b32 v21, v29 offset:5952
	ds_load_b32 v22, v5 offset:5980
	s_wait_dscnt 0x0
	v_fmac_f32_e32 v20, v21, v22
.LBB16_785:                             ;   in Loop: Header=BB16_3 Depth=1
	s_or_b32 exec_lo, exec_lo, s7
.LBB16_786:                             ;   in Loop: Header=BB16_3 Depth=1
	s_delay_alu instid0(SALU_CYCLE_1)
	s_or_b32 exec_lo, exec_lo, s89
	s_and_saveexec_b32 s7, s36
	s_cbranch_execz .LBB16_788
; %bb.787:                              ;   in Loop: Header=BB16_3 Depth=1
	ds_load_b32 v21, v5 offset:4940
	s_wait_dscnt 0x0
	v_mul_f32_e32 v20, v20, v21
	s_delay_alu instid0(VALU_DEP_1)
	v_xor_b32_e32 v21, 0x80000000, v20
	ds_store_b32 v31, v21
.LBB16_788:                             ;   in Loop: Header=BB16_3 Depth=1
	s_or_b32 exec_lo, exec_lo, s7
	s_wait_loadcnt_dscnt 0x0
	s_barrier_signal -1
	s_barrier_wait -1
	s_and_saveexec_b32 s7, s37
	s_cbranch_execz .LBB16_790
; %bb.789:                              ;   in Loop: Header=BB16_3 Depth=1
	ds_load_b32 v21, v33 offset:4928
	ds_load_b32 v22, v31
	s_wait_dscnt 0x0
	v_fma_f32 v20, -v21, v22, v20
.LBB16_790:                             ;   in Loop: Header=BB16_3 Depth=1
	s_or_b32 exec_lo, exec_lo, s7
	s_barrier_signal -1
	s_barrier_wait -1
	s_and_saveexec_b32 s7, s38
	s_cbranch_execz .LBB16_792
; %bb.791:                              ;   in Loop: Header=BB16_3 Depth=1
	ds_load_b32 v21, v5 offset:4680
	s_wait_dscnt 0x0
	v_mul_f32_e32 v20, v20, v21
	s_delay_alu instid0(VALU_DEP_1)
	v_xor_b32_e32 v21, 0x80000000, v20
	ds_store_b32 v31, v21
.LBB16_792:                             ;   in Loop: Header=BB16_3 Depth=1
	s_or_b32 exec_lo, exec_lo, s7
	s_wait_dscnt 0x0
	s_barrier_signal -1
	s_barrier_wait -1
	s_and_saveexec_b32 s7, s39
	s_cbranch_execz .LBB16_794
; %bb.793:                              ;   in Loop: Header=BB16_3 Depth=1
	ds_load_b32 v21, v33 offset:4672
	ds_load_b32 v22, v31
	s_wait_dscnt 0x0
	v_fma_f32 v20, -v21, v22, v20
.LBB16_794:                             ;   in Loop: Header=BB16_3 Depth=1
	s_or_b32 exec_lo, exec_lo, s7
	s_barrier_signal -1
	s_barrier_wait -1
	s_and_saveexec_b32 s7, s40
	s_cbranch_execz .LBB16_796
; %bb.795:                              ;   in Loop: Header=BB16_3 Depth=1
	ds_load_b32 v21, v5 offset:4420
	s_wait_dscnt 0x0
	v_mul_f32_e32 v20, v20, v21
	s_delay_alu instid0(VALU_DEP_1)
	v_xor_b32_e32 v21, 0x80000000, v20
	ds_store_b32 v31, v21
.LBB16_796:                             ;   in Loop: Header=BB16_3 Depth=1
	s_or_b32 exec_lo, exec_lo, s7
	s_wait_dscnt 0x0
	;; [unrolled: 25-line block ×3, first 2 shown]
	s_barrier_signal -1
	s_barrier_wait -1
	s_barrier_signal -1
	s_barrier_wait -1
	s_and_saveexec_b32 s7, s1
; %bb.801:                              ;   in Loop: Header=BB16_3 Depth=1
	ds_store_b32 v34, v20 offset:5952
; %bb.802:                              ;   in Loop: Header=BB16_3 Depth=1
	s_or_b32 exec_lo, exec_lo, s7
	s_wait_dscnt 0x0
	s_barrier_signal -1
	s_barrier_wait -1
	s_barrier_signal -1
	s_barrier_wait -1
	s_and_saveexec_b32 s7, s15
	s_cbranch_execz .LBB16_804
; %bb.803:                              ;   in Loop: Header=BB16_3 Depth=1
	ds_load_b64 v[20:21], v5 offset:4936
	ds_load_b32 v22, v5 offset:4680
	s_wait_dscnt 0x0
	v_mul_f32_e32 v21, v22, v21
	s_delay_alu instid0(VALU_DEP_1)
	v_mul_f32_e32 v20, v20, v21
	ds_store_b32 v5, v20 offset:4936
.LBB16_804:                             ;   in Loop: Header=BB16_3 Depth=1
	s_or_b32 exec_lo, exec_lo, s7
	v_mov_b32_e32 v20, 0
	s_wait_dscnt 0x0
	s_barrier_signal -1
	s_barrier_wait -1
	global_wb scope:SCOPE_DEV
	s_wait_storecnt 0x0
	global_inv scope:SCOPE_DEV
	s_and_saveexec_b32 s7, s0
	s_cbranch_execz .LBB16_808
; %bb.805:                              ;   in Loop: Header=BB16_3 Depth=1
	ds_load_b32 v20, v28 offset:4672
	ds_load_b32 v21, v27 offset:4936
	s_wait_dscnt 0x0
	v_fma_f32 v20, v20, v21, 0
	s_and_saveexec_b32 s8, s16
	s_cbranch_execz .LBB16_807
; %bb.806:                              ;   in Loop: Header=BB16_3 Depth=1
	ds_load_b32 v21, v29 offset:4928
	ds_load_b32 v22, v5 offset:4940
	s_wait_dscnt 0x0
	v_fmac_f32_e32 v20, v21, v22
.LBB16_807:                             ;   in Loop: Header=BB16_3 Depth=1
	s_or_b32 exec_lo, exec_lo, s8
.LBB16_808:                             ;   in Loop: Header=BB16_3 Depth=1
	s_delay_alu instid0(SALU_CYCLE_1)
	s_or_b32 exec_lo, exec_lo, s7
	s_and_saveexec_b32 s7, s104
	s_cbranch_execz .LBB16_810
; %bb.809:                              ;   in Loop: Header=BB16_3 Depth=1
	ds_load_b32 v21, v5 offset:4420
	s_wait_dscnt 0x0
	v_mul_f32_e32 v20, v20, v21
	s_delay_alu instid0(VALU_DEP_1)
	v_xor_b32_e32 v21, 0x80000000, v20
	ds_store_b32 v3, v21
.LBB16_810:                             ;   in Loop: Header=BB16_3 Depth=1
	s_or_b32 exec_lo, exec_lo, s7
	s_wait_loadcnt_dscnt 0x0
	s_barrier_signal -1
	s_barrier_wait -1
	s_and_saveexec_b32 s7, vcc_hi
	s_cbranch_execz .LBB16_812
; %bb.811:                              ;   in Loop: Header=BB16_3 Depth=1
	ds_load_b32 v21, v5 offset:4416
	ds_load_b32 v22, v3
	s_wait_dscnt 0x0
	v_fma_f32 v20, -v21, v22, v20
.LBB16_812:                             ;   in Loop: Header=BB16_3 Depth=1
	s_or_b32 exec_lo, exec_lo, s7
	s_barrier_signal -1
	s_barrier_wait -1
	s_and_saveexec_b32 s7, vcc_hi
	s_cbranch_execz .LBB16_814
; %bb.813:                              ;   in Loop: Header=BB16_3 Depth=1
	ds_load_b32 v21, v5 offset:4160
	s_wait_dscnt 0x0
	v_mul_f32_e32 v20, v20, v21
	s_delay_alu instid0(VALU_DEP_1)
	v_xor_b32_e32 v21, 0x80000000, v20
	ds_store_b32 v3, v21
.LBB16_814:                             ;   in Loop: Header=BB16_3 Depth=1
	s_or_b32 exec_lo, exec_lo, s7
	s_wait_dscnt 0x0
	s_barrier_signal -1
	s_barrier_wait -1
	s_barrier_signal -1
	s_barrier_wait -1
	s_and_saveexec_b32 s7, s0
; %bb.815:                              ;   in Loop: Header=BB16_3 Depth=1
	ds_store_b32 v30, v20 offset:4928
; %bb.816:                              ;   in Loop: Header=BB16_3 Depth=1
	s_or_b32 exec_lo, exec_lo, s7
	s_wait_dscnt 0x0
	s_barrier_signal -1
	s_barrier_wait -1
	s_barrier_signal -1
	s_barrier_wait -1
	s_and_saveexec_b32 s7, s15
	s_cbranch_execz .LBB16_818
; %bb.817:                              ;   in Loop: Header=BB16_3 Depth=1
	ds_load_b64 v[20:21], v5 offset:4416
	ds_load_b32 v22, v5 offset:4160
	s_wait_dscnt 0x0
	v_mul_f32_e32 v21, v22, v21
	s_delay_alu instid0(VALU_DEP_1)
	v_mul_f32_e32 v20, v20, v21
	ds_store_b32 v5, v20 offset:4416
.LBB16_818:                             ;   in Loop: Header=BB16_3 Depth=1
	s_or_b32 exec_lo, exec_lo, s7
	v_mov_b32_e32 v20, 0
	s_wait_dscnt 0x0
	s_barrier_signal -1
	s_barrier_wait -1
	global_wb scope:SCOPE_DEV
	s_wait_storecnt 0x0
	global_inv scope:SCOPE_DEV
	s_and_saveexec_b32 s89, s3
	s_cbranch_execz .LBB16_846
; %bb.819:                              ;   in Loop: Header=BB16_3 Depth=1
	ds_load_b32 v20, v41 offset:4096
	ds_load_b32 v21, v40 offset:8000
	s_wait_dscnt 0x0
	v_fma_f32 v20, v20, v21, 0
	s_mov_b32 s7, exec_lo
	v_readlane_b32 s8, v70, 28
	s_and_b32 s8, s7, s8
	s_delay_alu instid0(SALU_CYCLE_1)
	s_mov_b32 exec_lo, s8
	s_cbranch_execz .LBB16_821
; %bb.820:                              ;   in Loop: Header=BB16_3 Depth=1
	ds_load_b32 v21, v41 offset:4352
	ds_load_b32 v22, v40 offset:8004
	s_wait_dscnt 0x0
	v_fmac_f32_e32 v20, v21, v22
.LBB16_821:                             ;   in Loop: Header=BB16_3 Depth=1
	s_or_b32 exec_lo, exec_lo, s7
	s_delay_alu instid0(SALU_CYCLE_1) | instskip(SKIP_2) | instid1(SALU_CYCLE_1)
	s_mov_b32 s7, exec_lo
	v_readlane_b32 s8, v70, 29
	s_and_b32 s8, s7, s8
	s_mov_b32 exec_lo, s8
	s_cbranch_execz .LBB16_823
; %bb.822:                              ;   in Loop: Header=BB16_3 Depth=1
	ds_load_b32 v21, v41 offset:4608
	ds_load_b32 v22, v40 offset:8008
	s_wait_dscnt 0x0
	v_fmac_f32_e32 v20, v21, v22
.LBB16_823:                             ;   in Loop: Header=BB16_3 Depth=1
	s_or_b32 exec_lo, exec_lo, s7
	s_delay_alu instid0(SALU_CYCLE_1) | instskip(SKIP_2) | instid1(SALU_CYCLE_1)
	s_mov_b32 s7, exec_lo
	v_readlane_b32 s8, v70, 30
	s_and_b32 s8, s7, s8
	;; [unrolled: 13-line block ×10, first 2 shown]
	s_mov_b32 exec_lo, s8
	s_cbranch_execnz .LBB16_1181
; %bb.840:                              ;   in Loop: Header=BB16_3 Depth=1
	s_or_b32 exec_lo, exec_lo, s7
	s_and_saveexec_b32 s7, s2
	s_cbranch_execnz .LBB16_1182
.LBB16_841:                             ;   in Loop: Header=BB16_3 Depth=1
	s_or_b32 exec_lo, exec_lo, s7
	s_and_saveexec_b32 s7, s20
	s_cbranch_execnz .LBB16_1183
.LBB16_842:                             ;   in Loop: Header=BB16_3 Depth=1
	s_or_b32 exec_lo, exec_lo, s7
	s_and_saveexec_b32 s7, s22
	s_cbranch_execnz .LBB16_1184
.LBB16_843:                             ;   in Loop: Header=BB16_3 Depth=1
	s_or_b32 exec_lo, exec_lo, s7
	s_and_saveexec_b32 s7, s1
	s_cbranch_execz .LBB16_845
.LBB16_844:                             ;   in Loop: Header=BB16_3 Depth=1
	ds_load_b32 v21, v29 offset:7936
	ds_load_b32 v22, v5 offset:8060
	s_wait_dscnt 0x0
	v_fmac_f32_e32 v20, v21, v22
.LBB16_845:                             ;   in Loop: Header=BB16_3 Depth=1
	s_or_b32 exec_lo, exec_lo, s7
.LBB16_846:                             ;   in Loop: Header=BB16_3 Depth=1
	s_delay_alu instid0(SALU_CYCLE_1)
	s_or_b32 exec_lo, exec_lo, s89
	s_and_saveexec_b32 s7, s56
	s_cbranch_execz .LBB16_848
; %bb.847:                              ;   in Loop: Header=BB16_3 Depth=1
	ds_load_b32 v21, v5 offset:3900
	s_wait_dscnt 0x0
	v_mul_f32_e32 v20, v20, v21
	s_delay_alu instid0(VALU_DEP_1)
	v_xor_b32_e32 v21, 0x80000000, v20
	ds_store_b32 v39, v21
.LBB16_848:                             ;   in Loop: Header=BB16_3 Depth=1
	s_or_b32 exec_lo, exec_lo, s7
	s_wait_loadcnt_dscnt 0x0
	s_barrier_signal -1
	s_barrier_wait -1
	s_and_saveexec_b32 s7, s57
	s_cbranch_execz .LBB16_850
; %bb.849:                              ;   in Loop: Header=BB16_3 Depth=1
	ds_load_b32 v21, v41 offset:3840
	ds_load_b32 v22, v39
	s_wait_dscnt 0x0
	v_fma_f32 v20, -v21, v22, v20
.LBB16_850:                             ;   in Loop: Header=BB16_3 Depth=1
	s_or_b32 exec_lo, exec_lo, s7
	s_barrier_signal -1
	s_barrier_wait -1
	s_and_saveexec_b32 s7, s58
	s_cbranch_execz .LBB16_852
; %bb.851:                              ;   in Loop: Header=BB16_3 Depth=1
	ds_load_b32 v21, v5 offset:3640
	s_wait_dscnt 0x0
	v_mul_f32_e32 v20, v20, v21
	s_delay_alu instid0(VALU_DEP_1)
	v_xor_b32_e32 v21, 0x80000000, v20
	ds_store_b32 v39, v21
.LBB16_852:                             ;   in Loop: Header=BB16_3 Depth=1
	s_or_b32 exec_lo, exec_lo, s7
	s_wait_dscnt 0x0
	s_barrier_signal -1
	s_barrier_wait -1
	s_and_saveexec_b32 s7, s65
	s_cbranch_execz .LBB16_854
; %bb.853:                              ;   in Loop: Header=BB16_3 Depth=1
	ds_load_b32 v21, v41 offset:3584
	ds_load_b32 v22, v39
	s_wait_dscnt 0x0
	v_fma_f32 v20, -v21, v22, v20
.LBB16_854:                             ;   in Loop: Header=BB16_3 Depth=1
	s_or_b32 exec_lo, exec_lo, s7
	s_barrier_signal -1
	s_barrier_wait -1
	s_and_saveexec_b32 s7, s66
	s_cbranch_execz .LBB16_856
; %bb.855:                              ;   in Loop: Header=BB16_3 Depth=1
	ds_load_b32 v21, v5 offset:3380
	s_wait_dscnt 0x0
	v_mul_f32_e32 v20, v20, v21
	s_delay_alu instid0(VALU_DEP_1)
	v_xor_b32_e32 v21, 0x80000000, v20
	ds_store_b32 v39, v21
.LBB16_856:                             ;   in Loop: Header=BB16_3 Depth=1
	s_or_b32 exec_lo, exec_lo, s7
	s_wait_dscnt 0x0
	s_barrier_signal -1
	s_barrier_wait -1
	s_and_saveexec_b32 s7, s67
	s_cbranch_execz .LBB16_858
; %bb.857:                              ;   in Loop: Header=BB16_3 Depth=1
	ds_load_b32 v21, v41 offset:3328
	ds_load_b32 v22, v39
	s_wait_dscnt 0x0
	v_fma_f32 v20, -v21, v22, v20
.LBB16_858:                             ;   in Loop: Header=BB16_3 Depth=1
	s_or_b32 exec_lo, exec_lo, s7
	s_barrier_signal -1
	s_barrier_wait -1
	s_and_saveexec_b32 s7, s68
	s_cbranch_execz .LBB16_860
; %bb.859:                              ;   in Loop: Header=BB16_3 Depth=1
	ds_load_b32 v21, v5 offset:3120
	s_wait_dscnt 0x0
	v_mul_f32_e32 v20, v20, v21
	s_delay_alu instid0(VALU_DEP_1)
	v_xor_b32_e32 v21, 0x80000000, v20
	ds_store_b32 v39, v21
.LBB16_860:                             ;   in Loop: Header=BB16_3 Depth=1
	s_or_b32 exec_lo, exec_lo, s7
	s_wait_dscnt 0x0
	s_barrier_signal -1
	s_barrier_wait -1
	s_and_saveexec_b32 s7, s12
	s_cbranch_execz .LBB16_862
; %bb.861:                              ;   in Loop: Header=BB16_3 Depth=1
	ds_load_b32 v21, v41 offset:3072
	ds_load_b32 v22, v39
	s_wait_dscnt 0x0
	v_fma_f32 v20, -v21, v22, v20
.LBB16_862:                             ;   in Loop: Header=BB16_3 Depth=1
	s_or_b32 exec_lo, exec_lo, s7
	s_barrier_signal -1
	s_barrier_wait -1
	s_and_saveexec_b32 s7, s13
	s_cbranch_execz .LBB16_864
; %bb.863:                              ;   in Loop: Header=BB16_3 Depth=1
	ds_load_b32 v21, v5 offset:2860
	s_wait_dscnt 0x0
	v_mul_f32_e32 v20, v20, v21
	s_delay_alu instid0(VALU_DEP_1)
	v_xor_b32_e32 v21, 0x80000000, v20
	ds_store_b32 v39, v21
.LBB16_864:                             ;   in Loop: Header=BB16_3 Depth=1
	s_or_b32 exec_lo, exec_lo, s7
	s_wait_dscnt 0x0
	s_barrier_signal -1
	s_barrier_wait -1
	s_and_saveexec_b32 s7, s14
	s_cbranch_execz .LBB16_866
; %bb.865:                              ;   in Loop: Header=BB16_3 Depth=1
	ds_load_b32 v21, v41 offset:2816
	ds_load_b32 v22, v39
	s_wait_dscnt 0x0
	v_fma_f32 v20, -v21, v22, v20
.LBB16_866:                             ;   in Loop: Header=BB16_3 Depth=1
	s_or_b32 exec_lo, exec_lo, s7
	s_barrier_signal -1
	s_barrier_wait -1
	s_and_saveexec_b32 s7, s99
	s_cbranch_execz .LBB16_868
; %bb.867:                              ;   in Loop: Header=BB16_3 Depth=1
	ds_load_b32 v21, v5 offset:2600
	s_wait_dscnt 0x0
	v_mul_f32_e32 v20, v20, v21
	s_delay_alu instid0(VALU_DEP_1)
	v_xor_b32_e32 v21, 0x80000000, v20
	ds_store_b32 v39, v21
.LBB16_868:                             ;   in Loop: Header=BB16_3 Depth=1
	s_or_b32 exec_lo, exec_lo, s7
	s_wait_dscnt 0x0
	s_barrier_signal -1
	s_barrier_wait -1
	s_and_saveexec_b32 s7, s24
	s_cbranch_execz .LBB16_870
; %bb.869:                              ;   in Loop: Header=BB16_3 Depth=1
	ds_load_b32 v21, v41 offset:2560
	ds_load_b32 v22, v39
	s_wait_dscnt 0x0
	v_fma_f32 v20, -v21, v22, v20
.LBB16_870:                             ;   in Loop: Header=BB16_3 Depth=1
	s_or_b32 exec_lo, exec_lo, s7
	s_barrier_signal -1
	s_barrier_wait -1
	s_and_saveexec_b32 s7, s26
	s_cbranch_execz .LBB16_872
; %bb.871:                              ;   in Loop: Header=BB16_3 Depth=1
	ds_load_b32 v21, v5 offset:2340
	s_wait_dscnt 0x0
	v_mul_f32_e32 v20, v20, v21
	s_delay_alu instid0(VALU_DEP_1)
	v_xor_b32_e32 v21, 0x80000000, v20
	ds_store_b32 v39, v21
.LBB16_872:                             ;   in Loop: Header=BB16_3 Depth=1
	s_or_b32 exec_lo, exec_lo, s7
	s_wait_dscnt 0x0
	s_barrier_signal -1
	s_barrier_wait -1
	s_and_saveexec_b32 s7, s28
	s_cbranch_execz .LBB16_874
; %bb.873:                              ;   in Loop: Header=BB16_3 Depth=1
	ds_load_b32 v21, v41 offset:2304
	ds_load_b32 v22, v39
	s_wait_dscnt 0x0
	v_fma_f32 v20, -v21, v22, v20
.LBB16_874:                             ;   in Loop: Header=BB16_3 Depth=1
	s_or_b32 exec_lo, exec_lo, s7
	s_barrier_signal -1
	s_barrier_wait -1
	s_and_saveexec_b32 s7, s30
	s_cbranch_execz .LBB16_876
; %bb.875:                              ;   in Loop: Header=BB16_3 Depth=1
	ds_load_b32 v21, v5 offset:2080
	s_wait_dscnt 0x0
	v_mul_f32_e32 v20, v20, v21
	s_delay_alu instid0(VALU_DEP_1)
	v_xor_b32_e32 v21, 0x80000000, v20
	ds_store_b32 v39, v21
.LBB16_876:                             ;   in Loop: Header=BB16_3 Depth=1
	s_or_b32 exec_lo, exec_lo, s7
	s_wait_dscnt 0x0
	s_barrier_signal -1
	s_barrier_wait -1
	s_and_saveexec_b32 s7, s33
	s_cbranch_execz .LBB16_878
; %bb.877:                              ;   in Loop: Header=BB16_3 Depth=1
	ds_load_b32 v21, v41 offset:2048
	ds_load_b32 v22, v39
	s_wait_dscnt 0x0
	v_fma_f32 v20, -v21, v22, v20
.LBB16_878:                             ;   in Loop: Header=BB16_3 Depth=1
	s_or_b32 exec_lo, exec_lo, s7
	s_barrier_signal -1
	s_barrier_wait -1
	s_and_saveexec_b32 s7, s35
	s_cbranch_execz .LBB16_880
; %bb.879:                              ;   in Loop: Header=BB16_3 Depth=1
	ds_load_b32 v21, v5 offset:1820
	s_wait_dscnt 0x0
	v_mul_f32_e32 v20, v20, v21
	s_delay_alu instid0(VALU_DEP_1)
	v_xor_b32_e32 v21, 0x80000000, v20
	ds_store_b32 v39, v21
.LBB16_880:                             ;   in Loop: Header=BB16_3 Depth=1
	s_or_b32 exec_lo, exec_lo, s7
	s_wait_dscnt 0x0
	s_barrier_signal -1
	s_barrier_wait -1
	s_and_saveexec_b32 s7, s61
	s_cbranch_execz .LBB16_882
; %bb.881:                              ;   in Loop: Header=BB16_3 Depth=1
	ds_load_b32 v21, v41 offset:1792
	ds_load_b32 v22, v39
	s_wait_dscnt 0x0
	v_fma_f32 v20, -v21, v22, v20
.LBB16_882:                             ;   in Loop: Header=BB16_3 Depth=1
	s_or_b32 exec_lo, exec_lo, s7
	s_barrier_signal -1
	s_barrier_wait -1
	s_and_saveexec_b32 s7, s62
	s_cbranch_execz .LBB16_884
; %bb.883:                              ;   in Loop: Header=BB16_3 Depth=1
	ds_load_b32 v21, v5 offset:1560
	s_wait_dscnt 0x0
	v_mul_f32_e32 v20, v20, v21
	s_delay_alu instid0(VALU_DEP_1)
	v_xor_b32_e32 v21, 0x80000000, v20
	ds_store_b32 v39, v21
.LBB16_884:                             ;   in Loop: Header=BB16_3 Depth=1
	s_or_b32 exec_lo, exec_lo, s7
	s_wait_dscnt 0x0
	s_barrier_signal -1
	s_barrier_wait -1
	s_and_saveexec_b32 s7, s63
	s_cbranch_execz .LBB16_886
; %bb.885:                              ;   in Loop: Header=BB16_3 Depth=1
	ds_load_b32 v21, v41 offset:1536
	ds_load_b32 v22, v39
	s_wait_dscnt 0x0
	v_fma_f32 v20, -v21, v22, v20
.LBB16_886:                             ;   in Loop: Header=BB16_3 Depth=1
	s_or_b32 exec_lo, exec_lo, s7
	s_barrier_signal -1
	s_barrier_wait -1
	s_and_saveexec_b32 s7, s64
	s_cbranch_execz .LBB16_888
; %bb.887:                              ;   in Loop: Header=BB16_3 Depth=1
	ds_load_b32 v21, v5 offset:1300
	s_wait_dscnt 0x0
	v_mul_f32_e32 v20, v20, v21
	s_delay_alu instid0(VALU_DEP_1)
	v_xor_b32_e32 v21, 0x80000000, v20
	ds_store_b32 v39, v21
.LBB16_888:                             ;   in Loop: Header=BB16_3 Depth=1
	s_or_b32 exec_lo, exec_lo, s7
	s_wait_dscnt 0x0
	s_barrier_signal -1
	s_barrier_wait -1
	s_and_saveexec_b32 s7, s25
	s_cbranch_execz .LBB16_890
; %bb.889:                              ;   in Loop: Header=BB16_3 Depth=1
	ds_load_b32 v21, v41 offset:1280
	ds_load_b32 v22, v39
	s_wait_dscnt 0x0
	v_fma_f32 v20, -v21, v22, v20
.LBB16_890:                             ;   in Loop: Header=BB16_3 Depth=1
	s_or_b32 exec_lo, exec_lo, s7
	s_barrier_signal -1
	s_barrier_wait -1
	s_and_saveexec_b32 s7, s27
	s_cbranch_execz .LBB16_892
; %bb.891:                              ;   in Loop: Header=BB16_3 Depth=1
	ds_load_b32 v21, v5 offset:1040
	s_wait_dscnt 0x0
	v_mul_f32_e32 v20, v20, v21
	s_delay_alu instid0(VALU_DEP_1)
	v_xor_b32_e32 v21, 0x80000000, v20
	ds_store_b32 v39, v21
.LBB16_892:                             ;   in Loop: Header=BB16_3 Depth=1
	s_or_b32 exec_lo, exec_lo, s7
	s_wait_dscnt 0x0
	s_barrier_signal -1
	s_barrier_wait -1
	s_and_saveexec_b32 s7, s29
	s_cbranch_execz .LBB16_894
; %bb.893:                              ;   in Loop: Header=BB16_3 Depth=1
	ds_load_b32 v21, v41 offset:1024
	ds_load_b32 v22, v39
	s_wait_dscnt 0x0
	v_fma_f32 v20, -v21, v22, v20
.LBB16_894:                             ;   in Loop: Header=BB16_3 Depth=1
	s_or_b32 exec_lo, exec_lo, s7
	s_barrier_signal -1
	s_barrier_wait -1
	s_and_saveexec_b32 s7, s31
	s_cbranch_execz .LBB16_896
; %bb.895:                              ;   in Loop: Header=BB16_3 Depth=1
	ds_load_b32 v21, v5 offset:780
	s_wait_dscnt 0x0
	v_mul_f32_e32 v20, v20, v21
	s_delay_alu instid0(VALU_DEP_1)
	v_xor_b32_e32 v21, 0x80000000, v20
	ds_store_b32 v39, v21
.LBB16_896:                             ;   in Loop: Header=BB16_3 Depth=1
	s_or_b32 exec_lo, exec_lo, s7
	s_wait_dscnt 0x0
	s_barrier_signal -1
	s_barrier_wait -1
	s_and_saveexec_b32 s7, s34
	s_cbranch_execz .LBB16_898
; %bb.897:                              ;   in Loop: Header=BB16_3 Depth=1
	ds_load_b32 v21, v41 offset:768
	ds_load_b32 v22, v39
	s_wait_dscnt 0x0
	v_fma_f32 v20, -v21, v22, v20
.LBB16_898:                             ;   in Loop: Header=BB16_3 Depth=1
	s_or_b32 exec_lo, exec_lo, s7
	s_barrier_signal -1
	s_barrier_wait -1
	s_and_saveexec_b32 s7, s103
	s_cbranch_execz .LBB16_900
; %bb.899:                              ;   in Loop: Header=BB16_3 Depth=1
	ds_load_b32 v21, v5 offset:520
	s_wait_dscnt 0x0
	v_mul_f32_e32 v20, v20, v21
	s_delay_alu instid0(VALU_DEP_1)
	v_xor_b32_e32 v21, 0x80000000, v20
	ds_store_b32 v39, v21
.LBB16_900:                             ;   in Loop: Header=BB16_3 Depth=1
	s_or_b32 exec_lo, exec_lo, s7
	s_wait_dscnt 0x0
	s_barrier_signal -1
	s_barrier_wait -1
	s_and_saveexec_b32 s7, s70
	s_cbranch_execz .LBB16_902
; %bb.901:                              ;   in Loop: Header=BB16_3 Depth=1
	ds_load_b32 v21, v41 offset:512
	ds_load_b32 v22, v39
	s_wait_dscnt 0x0
	v_fma_f32 v20, -v21, v22, v20
.LBB16_902:                             ;   in Loop: Header=BB16_3 Depth=1
	s_or_b32 exec_lo, exec_lo, s7
	s_barrier_signal -1
	s_barrier_wait -1
	s_and_saveexec_b32 s7, s71
	s_cbranch_execz .LBB16_904
; %bb.903:                              ;   in Loop: Header=BB16_3 Depth=1
	ds_load_b32 v21, v5 offset:260
	s_wait_dscnt 0x0
	v_mul_f32_e32 v20, v20, v21
	s_delay_alu instid0(VALU_DEP_1)
	v_xor_b32_e32 v21, 0x80000000, v20
	ds_store_b32 v39, v21
.LBB16_904:                             ;   in Loop: Header=BB16_3 Depth=1
	s_or_b32 exec_lo, exec_lo, s7
	s_wait_dscnt 0x0
	s_barrier_signal -1
	s_barrier_wait -1
	s_and_saveexec_b32 s7, s76
	s_cbranch_execz .LBB16_906
; %bb.905:                              ;   in Loop: Header=BB16_3 Depth=1
	ds_load_b32 v21, v5 offset:256
	ds_load_b32 v22, v39
	s_wait_dscnt 0x0
	v_fma_f32 v20, -v21, v22, v20
.LBB16_906:                             ;   in Loop: Header=BB16_3 Depth=1
	s_or_b32 exec_lo, exec_lo, s7
	s_barrier_signal -1
	s_barrier_wait -1
	s_and_saveexec_b32 s7, s76
	s_cbranch_execz .LBB16_908
; %bb.907:                              ;   in Loop: Header=BB16_3 Depth=1
	ds_load_b32 v21, v5
	s_wait_dscnt 0x0
	v_mul_f32_e32 v20, v20, v21
	s_delay_alu instid0(VALU_DEP_1)
	v_xor_b32_e32 v21, 0x80000000, v20
	ds_store_b32 v39, v21
.LBB16_908:                             ;   in Loop: Header=BB16_3 Depth=1
	s_or_b32 exec_lo, exec_lo, s7
	s_wait_dscnt 0x0
	s_barrier_signal -1
	s_barrier_wait -1
	s_barrier_signal -1
	s_barrier_wait -1
	s_and_saveexec_b32 s7, s3
; %bb.909:                              ;   in Loop: Header=BB16_3 Depth=1
	ds_store_b32 v42, v20 offset:7936
; %bb.910:                              ;   in Loop: Header=BB16_3 Depth=1
	s_or_b32 exec_lo, exec_lo, s7
	s_wait_dscnt 0x0
	s_barrier_signal -1
	s_barrier_wait -1
	s_barrier_signal -1
	s_barrier_wait -1
	s_and_saveexec_b32 s7, s15
	s_cbranch_execz .LBB16_912
; %bb.911:                              ;   in Loop: Header=BB16_3 Depth=1
	ds_load_b64 v[20:21], v5 offset:3896
	ds_load_b32 v22, v5 offset:3640
	s_wait_dscnt 0x0
	v_mul_f32_e32 v21, v22, v21
	s_delay_alu instid0(VALU_DEP_1)
	v_mul_f32_e32 v20, v20, v21
	ds_store_b32 v5, v20 offset:3896
.LBB16_912:                             ;   in Loop: Header=BB16_3 Depth=1
	s_or_b32 exec_lo, exec_lo, s7
	v_mov_b32_e32 v20, 0
	s_wait_dscnt 0x0
	s_barrier_signal -1
	s_barrier_wait -1
	global_wb scope:SCOPE_DEV
	s_wait_storecnt 0x0
	global_inv scope:SCOPE_DEV
	s_and_saveexec_b32 s7, s0
	s_cbranch_execz .LBB16_916
; %bb.913:                              ;   in Loop: Header=BB16_3 Depth=1
	ds_load_b32 v20, v28 offset:3632
	ds_load_b32 v21, v27 offset:3896
	s_wait_dscnt 0x0
	v_fma_f32 v20, v20, v21, 0
	s_and_saveexec_b32 s8, s16
	s_cbranch_execz .LBB16_915
; %bb.914:                              ;   in Loop: Header=BB16_3 Depth=1
	ds_load_b32 v21, v29 offset:3888
	ds_load_b32 v22, v5 offset:3900
	s_wait_dscnt 0x0
	v_fmac_f32_e32 v20, v21, v22
.LBB16_915:                             ;   in Loop: Header=BB16_3 Depth=1
	s_or_b32 exec_lo, exec_lo, s8
.LBB16_916:                             ;   in Loop: Header=BB16_3 Depth=1
	s_delay_alu instid0(SALU_CYCLE_1)
	s_or_b32 exec_lo, exec_lo, s7
	s_and_saveexec_b32 s7, s104
	s_cbranch_execz .LBB16_918
; %bb.917:                              ;   in Loop: Header=BB16_3 Depth=1
	ds_load_b32 v21, v5 offset:3380
	s_wait_dscnt 0x0
	v_mul_f32_e32 v20, v20, v21
	s_delay_alu instid0(VALU_DEP_1)
	v_xor_b32_e32 v21, 0x80000000, v20
	ds_store_b32 v3, v21
.LBB16_918:                             ;   in Loop: Header=BB16_3 Depth=1
	s_or_b32 exec_lo, exec_lo, s7
	s_wait_loadcnt_dscnt 0x0
	s_barrier_signal -1
	s_barrier_wait -1
	s_and_saveexec_b32 s7, vcc_hi
	s_cbranch_execz .LBB16_920
; %bb.919:                              ;   in Loop: Header=BB16_3 Depth=1
	ds_load_b32 v21, v5 offset:3376
	ds_load_b32 v22, v3
	s_wait_dscnt 0x0
	v_fma_f32 v20, -v21, v22, v20
.LBB16_920:                             ;   in Loop: Header=BB16_3 Depth=1
	s_or_b32 exec_lo, exec_lo, s7
	s_barrier_signal -1
	s_barrier_wait -1
	s_and_saveexec_b32 s7, vcc_hi
	s_cbranch_execz .LBB16_922
; %bb.921:                              ;   in Loop: Header=BB16_3 Depth=1
	ds_load_b32 v21, v5 offset:3120
	s_wait_dscnt 0x0
	v_mul_f32_e32 v20, v20, v21
	s_delay_alu instid0(VALU_DEP_1)
	v_xor_b32_e32 v21, 0x80000000, v20
	ds_store_b32 v3, v21
.LBB16_922:                             ;   in Loop: Header=BB16_3 Depth=1
	s_or_b32 exec_lo, exec_lo, s7
	s_wait_dscnt 0x0
	s_barrier_signal -1
	s_barrier_wait -1
	s_barrier_signal -1
	s_barrier_wait -1
	s_and_saveexec_b32 s7, s0
; %bb.923:                              ;   in Loop: Header=BB16_3 Depth=1
	ds_store_b32 v30, v20 offset:3888
; %bb.924:                              ;   in Loop: Header=BB16_3 Depth=1
	s_or_b32 exec_lo, exec_lo, s7
	s_wait_dscnt 0x0
	s_barrier_signal -1
	s_barrier_wait -1
	s_barrier_signal -1
	s_barrier_wait -1
	s_and_saveexec_b32 s7, s15
	s_cbranch_execz .LBB16_926
; %bb.925:                              ;   in Loop: Header=BB16_3 Depth=1
	ds_load_b64 v[20:21], v5 offset:3376
	ds_load_b32 v22, v5 offset:3120
	s_wait_dscnt 0x0
	v_mul_f32_e32 v21, v22, v21
	s_delay_alu instid0(VALU_DEP_1)
	v_mul_f32_e32 v20, v20, v21
	ds_store_b32 v5, v20 offset:3376
.LBB16_926:                             ;   in Loop: Header=BB16_3 Depth=1
	s_or_b32 exec_lo, exec_lo, s7
	v_mov_b32_e32 v20, 0
	s_wait_dscnt 0x0
	s_barrier_signal -1
	s_barrier_wait -1
	global_wb scope:SCOPE_DEV
	s_wait_storecnt 0x0
	global_inv scope:SCOPE_DEV
	s_and_saveexec_b32 s89, s1
	s_cbranch_execz .LBB16_932
; %bb.927:                              ;   in Loop: Header=BB16_3 Depth=1
	ds_load_b32 v20, v33 offset:3104
	ds_load_b32 v21, v32 offset:3888
	s_wait_dscnt 0x0
	v_fma_f32 v20, v20, v21, 0
	s_and_saveexec_b32 s7, s17
	s_cbranch_execnz .LBB16_1185
; %bb.928:                              ;   in Loop: Header=BB16_3 Depth=1
	s_or_b32 exec_lo, exec_lo, s7
	s_and_saveexec_b32 s7, s18
	s_cbranch_execnz .LBB16_1186
.LBB16_929:                             ;   in Loop: Header=BB16_3 Depth=1
	s_or_b32 exec_lo, exec_lo, s7
	s_and_saveexec_b32 s7, s0
	s_cbranch_execz .LBB16_931
.LBB16_930:                             ;   in Loop: Header=BB16_3 Depth=1
	ds_load_b32 v21, v29 offset:3872
	ds_load_b32 v22, v5 offset:3900
	s_wait_dscnt 0x0
	v_fmac_f32_e32 v20, v21, v22
.LBB16_931:                             ;   in Loop: Header=BB16_3 Depth=1
	s_or_b32 exec_lo, exec_lo, s7
.LBB16_932:                             ;   in Loop: Header=BB16_3 Depth=1
	s_delay_alu instid0(SALU_CYCLE_1)
	s_or_b32 exec_lo, exec_lo, s89
	s_and_saveexec_b32 s7, s36
	s_cbranch_execz .LBB16_934
; %bb.933:                              ;   in Loop: Header=BB16_3 Depth=1
	ds_load_b32 v21, v5 offset:2860
	s_wait_dscnt 0x0
	v_mul_f32_e32 v20, v20, v21
	s_delay_alu instid0(VALU_DEP_1)
	v_xor_b32_e32 v21, 0x80000000, v20
	ds_store_b32 v31, v21
.LBB16_934:                             ;   in Loop: Header=BB16_3 Depth=1
	s_or_b32 exec_lo, exec_lo, s7
	s_wait_loadcnt_dscnt 0x0
	s_barrier_signal -1
	s_barrier_wait -1
	s_and_saveexec_b32 s7, s37
	s_cbranch_execz .LBB16_936
; %bb.935:                              ;   in Loop: Header=BB16_3 Depth=1
	ds_load_b32 v21, v33 offset:2848
	ds_load_b32 v22, v31
	s_wait_dscnt 0x0
	v_fma_f32 v20, -v21, v22, v20
.LBB16_936:                             ;   in Loop: Header=BB16_3 Depth=1
	s_or_b32 exec_lo, exec_lo, s7
	s_barrier_signal -1
	s_barrier_wait -1
	s_and_saveexec_b32 s7, s38
	s_cbranch_execz .LBB16_938
; %bb.937:                              ;   in Loop: Header=BB16_3 Depth=1
	ds_load_b32 v21, v5 offset:2600
	s_wait_dscnt 0x0
	v_mul_f32_e32 v20, v20, v21
	s_delay_alu instid0(VALU_DEP_1)
	v_xor_b32_e32 v21, 0x80000000, v20
	ds_store_b32 v31, v21
.LBB16_938:                             ;   in Loop: Header=BB16_3 Depth=1
	s_or_b32 exec_lo, exec_lo, s7
	s_wait_dscnt 0x0
	s_barrier_signal -1
	s_barrier_wait -1
	s_and_saveexec_b32 s7, s39
	s_cbranch_execz .LBB16_940
; %bb.939:                              ;   in Loop: Header=BB16_3 Depth=1
	ds_load_b32 v21, v33 offset:2592
	ds_load_b32 v22, v31
	s_wait_dscnt 0x0
	v_fma_f32 v20, -v21, v22, v20
.LBB16_940:                             ;   in Loop: Header=BB16_3 Depth=1
	s_or_b32 exec_lo, exec_lo, s7
	s_barrier_signal -1
	s_barrier_wait -1
	s_and_saveexec_b32 s7, s40
	s_cbranch_execz .LBB16_942
; %bb.941:                              ;   in Loop: Header=BB16_3 Depth=1
	ds_load_b32 v21, v5 offset:2340
	s_wait_dscnt 0x0
	v_mul_f32_e32 v20, v20, v21
	s_delay_alu instid0(VALU_DEP_1)
	v_xor_b32_e32 v21, 0x80000000, v20
	ds_store_b32 v31, v21
.LBB16_942:                             ;   in Loop: Header=BB16_3 Depth=1
	s_or_b32 exec_lo, exec_lo, s7
	s_wait_dscnt 0x0
	;; [unrolled: 25-line block ×3, first 2 shown]
	s_barrier_signal -1
	s_barrier_wait -1
	s_barrier_signal -1
	s_barrier_wait -1
	s_and_saveexec_b32 s7, s1
; %bb.947:                              ;   in Loop: Header=BB16_3 Depth=1
	ds_store_b32 v34, v20 offset:3872
; %bb.948:                              ;   in Loop: Header=BB16_3 Depth=1
	s_or_b32 exec_lo, exec_lo, s7
	s_wait_dscnt 0x0
	s_barrier_signal -1
	s_barrier_wait -1
	s_barrier_signal -1
	s_barrier_wait -1
	s_and_saveexec_b32 s7, s15
	s_cbranch_execz .LBB16_950
; %bb.949:                              ;   in Loop: Header=BB16_3 Depth=1
	ds_load_b64 v[20:21], v5 offset:2856
	ds_load_b32 v22, v5 offset:2600
	s_wait_dscnt 0x0
	v_mul_f32_e32 v21, v22, v21
	s_delay_alu instid0(VALU_DEP_1)
	v_mul_f32_e32 v20, v20, v21
	ds_store_b32 v5, v20 offset:2856
.LBB16_950:                             ;   in Loop: Header=BB16_3 Depth=1
	s_or_b32 exec_lo, exec_lo, s7
	v_mov_b32_e32 v20, 0
	s_wait_dscnt 0x0
	s_barrier_signal -1
	s_barrier_wait -1
	global_wb scope:SCOPE_DEV
	s_wait_storecnt 0x0
	global_inv scope:SCOPE_DEV
	s_and_saveexec_b32 s7, s0
	s_cbranch_execz .LBB16_954
; %bb.951:                              ;   in Loop: Header=BB16_3 Depth=1
	ds_load_b32 v20, v28 offset:2592
	ds_load_b32 v21, v27 offset:2856
	s_wait_dscnt 0x0
	v_fma_f32 v20, v20, v21, 0
	s_and_saveexec_b32 s8, s16
	s_cbranch_execz .LBB16_953
; %bb.952:                              ;   in Loop: Header=BB16_3 Depth=1
	ds_load_b32 v21, v29 offset:2848
	ds_load_b32 v22, v5 offset:2860
	s_wait_dscnt 0x0
	v_fmac_f32_e32 v20, v21, v22
.LBB16_953:                             ;   in Loop: Header=BB16_3 Depth=1
	s_or_b32 exec_lo, exec_lo, s8
.LBB16_954:                             ;   in Loop: Header=BB16_3 Depth=1
	s_delay_alu instid0(SALU_CYCLE_1)
	s_or_b32 exec_lo, exec_lo, s7
	s_and_saveexec_b32 s7, s104
	s_cbranch_execz .LBB16_956
; %bb.955:                              ;   in Loop: Header=BB16_3 Depth=1
	ds_load_b32 v21, v5 offset:2340
	s_wait_dscnt 0x0
	v_mul_f32_e32 v20, v20, v21
	s_delay_alu instid0(VALU_DEP_1)
	v_xor_b32_e32 v21, 0x80000000, v20
	ds_store_b32 v3, v21
.LBB16_956:                             ;   in Loop: Header=BB16_3 Depth=1
	s_or_b32 exec_lo, exec_lo, s7
	s_wait_loadcnt_dscnt 0x0
	s_barrier_signal -1
	s_barrier_wait -1
	s_and_saveexec_b32 s7, vcc_hi
	s_cbranch_execz .LBB16_958
; %bb.957:                              ;   in Loop: Header=BB16_3 Depth=1
	ds_load_b32 v21, v5 offset:2336
	ds_load_b32 v22, v3
	s_wait_dscnt 0x0
	v_fma_f32 v20, -v21, v22, v20
.LBB16_958:                             ;   in Loop: Header=BB16_3 Depth=1
	s_or_b32 exec_lo, exec_lo, s7
	s_barrier_signal -1
	s_barrier_wait -1
	s_and_saveexec_b32 s7, vcc_hi
	s_cbranch_execz .LBB16_960
; %bb.959:                              ;   in Loop: Header=BB16_3 Depth=1
	ds_load_b32 v21, v5 offset:2080
	s_wait_dscnt 0x0
	v_mul_f32_e32 v20, v20, v21
	s_delay_alu instid0(VALU_DEP_1)
	v_xor_b32_e32 v21, 0x80000000, v20
	ds_store_b32 v3, v21
.LBB16_960:                             ;   in Loop: Header=BB16_3 Depth=1
	s_or_b32 exec_lo, exec_lo, s7
	s_wait_dscnt 0x0
	s_barrier_signal -1
	s_barrier_wait -1
	s_barrier_signal -1
	s_barrier_wait -1
	s_and_saveexec_b32 s7, s0
; %bb.961:                              ;   in Loop: Header=BB16_3 Depth=1
	ds_store_b32 v30, v20 offset:2848
; %bb.962:                              ;   in Loop: Header=BB16_3 Depth=1
	s_or_b32 exec_lo, exec_lo, s7
	s_wait_dscnt 0x0
	s_barrier_signal -1
	s_barrier_wait -1
	s_barrier_signal -1
	s_barrier_wait -1
	s_and_saveexec_b32 s7, s15
	s_cbranch_execz .LBB16_964
; %bb.963:                              ;   in Loop: Header=BB16_3 Depth=1
	ds_load_b64 v[20:21], v5 offset:2336
	ds_load_b32 v22, v5 offset:2080
	s_wait_dscnt 0x0
	v_mul_f32_e32 v21, v22, v21
	s_delay_alu instid0(VALU_DEP_1)
	v_mul_f32_e32 v20, v20, v21
	ds_store_b32 v5, v20 offset:2336
.LBB16_964:                             ;   in Loop: Header=BB16_3 Depth=1
	s_or_b32 exec_lo, exec_lo, s7
	v_mov_b32_e32 v20, 0
	s_wait_dscnt 0x0
	s_barrier_signal -1
	s_barrier_wait -1
	global_wb scope:SCOPE_DEV
	s_wait_storecnt 0x0
	global_inv scope:SCOPE_DEV
	s_and_saveexec_b32 s89, s2
	s_cbranch_execz .LBB16_974
; %bb.965:                              ;   in Loop: Header=BB16_3 Depth=1
	ds_load_b32 v20, v37 offset:2048
	ds_load_b32 v21, v36 offset:3872
	s_wait_dscnt 0x0
	v_fma_f32 v20, v20, v21, 0
	s_and_saveexec_b32 s7, s19
	s_cbranch_execnz .LBB16_1187
; %bb.966:                              ;   in Loop: Header=BB16_3 Depth=1
	s_or_b32 exec_lo, exec_lo, s7
	s_and_saveexec_b32 s7, s20
	s_cbranch_execnz .LBB16_1188
.LBB16_967:                             ;   in Loop: Header=BB16_3 Depth=1
	s_or_b32 exec_lo, exec_lo, s7
	s_and_saveexec_b32 s7, s21
	s_cbranch_execnz .LBB16_1189
.LBB16_968:                             ;   in Loop: Header=BB16_3 Depth=1
	s_or_b32 exec_lo, exec_lo, s7
	s_and_saveexec_b32 s7, s22
	s_cbranch_execnz .LBB16_1190
.LBB16_969:                             ;   in Loop: Header=BB16_3 Depth=1
	s_or_b32 exec_lo, exec_lo, s7
	s_and_saveexec_b32 s7, s23
	s_cbranch_execnz .LBB16_1191
.LBB16_970:                             ;   in Loop: Header=BB16_3 Depth=1
	s_or_b32 exec_lo, exec_lo, s7
	s_and_saveexec_b32 s7, s1
	s_cbranch_execnz .LBB16_1192
.LBB16_971:                             ;   in Loop: Header=BB16_3 Depth=1
	s_or_b32 exec_lo, exec_lo, s7
	s_and_saveexec_b32 s7, s18
	s_cbranch_execz .LBB16_973
.LBB16_972:                             ;   in Loop: Header=BB16_3 Depth=1
	ds_load_b32 v21, v29 offset:3840
	ds_load_b32 v22, v5 offset:3900
	s_wait_dscnt 0x0
	v_fmac_f32_e32 v20, v21, v22
.LBB16_973:                             ;   in Loop: Header=BB16_3 Depth=1
	s_or_b32 exec_lo, exec_lo, s7
.LBB16_974:                             ;   in Loop: Header=BB16_3 Depth=1
	s_delay_alu instid0(SALU_CYCLE_1)
	s_or_b32 exec_lo, exec_lo, s89
	s_and_saveexec_b32 s7, s42
	s_cbranch_execz .LBB16_976
; %bb.975:                              ;   in Loop: Header=BB16_3 Depth=1
	ds_load_b32 v21, v5 offset:1820
	s_wait_dscnt 0x0
	v_mul_f32_e32 v20, v20, v21
	s_delay_alu instid0(VALU_DEP_1)
	v_xor_b32_e32 v21, 0x80000000, v20
	ds_store_b32 v35, v21
.LBB16_976:                             ;   in Loop: Header=BB16_3 Depth=1
	s_or_b32 exec_lo, exec_lo, s7
	s_wait_loadcnt_dscnt 0x0
	s_barrier_signal -1
	s_barrier_wait -1
	s_and_saveexec_b32 s7, s43
	s_cbranch_execz .LBB16_978
; %bb.977:                              ;   in Loop: Header=BB16_3 Depth=1
	ds_load_b32 v21, v37 offset:1792
	ds_load_b32 v22, v35
	s_wait_dscnt 0x0
	v_fma_f32 v20, -v21, v22, v20
.LBB16_978:                             ;   in Loop: Header=BB16_3 Depth=1
	s_or_b32 exec_lo, exec_lo, s7
	s_barrier_signal -1
	s_barrier_wait -1
	s_and_saveexec_b32 s7, s44
	s_cbranch_execz .LBB16_980
; %bb.979:                              ;   in Loop: Header=BB16_3 Depth=1
	ds_load_b32 v21, v5 offset:1560
	s_wait_dscnt 0x0
	v_mul_f32_e32 v20, v20, v21
	s_delay_alu instid0(VALU_DEP_1)
	v_xor_b32_e32 v21, 0x80000000, v20
	ds_store_b32 v35, v21
.LBB16_980:                             ;   in Loop: Header=BB16_3 Depth=1
	s_or_b32 exec_lo, exec_lo, s7
	s_wait_dscnt 0x0
	s_barrier_signal -1
	s_barrier_wait -1
	s_and_saveexec_b32 s7, s45
	s_cbranch_execz .LBB16_982
; %bb.981:                              ;   in Loop: Header=BB16_3 Depth=1
	ds_load_b32 v21, v37 offset:1536
	ds_load_b32 v22, v35
	s_wait_dscnt 0x0
	v_fma_f32 v20, -v21, v22, v20
.LBB16_982:                             ;   in Loop: Header=BB16_3 Depth=1
	s_or_b32 exec_lo, exec_lo, s7
	s_barrier_signal -1
	s_barrier_wait -1
	s_and_saveexec_b32 s7, s46
	s_cbranch_execz .LBB16_984
; %bb.983:                              ;   in Loop: Header=BB16_3 Depth=1
	ds_load_b32 v21, v5 offset:1300
	s_wait_dscnt 0x0
	v_mul_f32_e32 v20, v20, v21
	s_delay_alu instid0(VALU_DEP_1)
	v_xor_b32_e32 v21, 0x80000000, v20
	ds_store_b32 v35, v21
.LBB16_984:                             ;   in Loop: Header=BB16_3 Depth=1
	s_or_b32 exec_lo, exec_lo, s7
	s_wait_dscnt 0x0
	;; [unrolled: 25-line block ×5, first 2 shown]
	s_barrier_signal -1
	s_barrier_wait -1
	s_and_saveexec_b32 s7, s53
	s_cbranch_execz .LBB16_998
; %bb.997:                              ;   in Loop: Header=BB16_3 Depth=1
	ds_load_b32 v21, v37 offset:512
	ds_load_b32 v22, v35
	s_wait_dscnt 0x0
	v_fma_f32 v20, -v21, v22, v20
.LBB16_998:                             ;   in Loop: Header=BB16_3 Depth=1
	s_or_b32 exec_lo, exec_lo, s7
	s_barrier_signal -1
	s_barrier_wait -1
	s_and_saveexec_b32 s7, s54
	s_cbranch_execz .LBB16_1000
; %bb.999:                              ;   in Loop: Header=BB16_3 Depth=1
	ds_load_b32 v21, v5 offset:260
	s_wait_dscnt 0x0
	v_mul_f32_e32 v20, v20, v21
	s_delay_alu instid0(VALU_DEP_1)
	v_xor_b32_e32 v21, 0x80000000, v20
	ds_store_b32 v35, v21
.LBB16_1000:                            ;   in Loop: Header=BB16_3 Depth=1
	s_or_b32 exec_lo, exec_lo, s7
	s_wait_dscnt 0x0
	s_barrier_signal -1
	s_barrier_wait -1
	s_and_saveexec_b32 s7, s55
	s_cbranch_execz .LBB16_1002
; %bb.1001:                             ;   in Loop: Header=BB16_3 Depth=1
	ds_load_b32 v21, v5 offset:256
	ds_load_b32 v22, v35
	s_wait_dscnt 0x0
	v_fma_f32 v20, -v21, v22, v20
.LBB16_1002:                            ;   in Loop: Header=BB16_3 Depth=1
	s_or_b32 exec_lo, exec_lo, s7
	s_barrier_signal -1
	s_barrier_wait -1
	s_and_saveexec_b32 s7, s55
	s_cbranch_execz .LBB16_1004
; %bb.1003:                             ;   in Loop: Header=BB16_3 Depth=1
	ds_load_b32 v21, v5
	s_wait_dscnt 0x0
	v_mul_f32_e32 v20, v20, v21
	s_delay_alu instid0(VALU_DEP_1)
	v_xor_b32_e32 v21, 0x80000000, v20
	ds_store_b32 v35, v21
.LBB16_1004:                            ;   in Loop: Header=BB16_3 Depth=1
	s_or_b32 exec_lo, exec_lo, s7
	s_wait_dscnt 0x0
	s_barrier_signal -1
	s_barrier_wait -1
	s_barrier_signal -1
	s_barrier_wait -1
	s_and_saveexec_b32 s7, s2
; %bb.1005:                             ;   in Loop: Header=BB16_3 Depth=1
	ds_store_b32 v38, v20 offset:3840
; %bb.1006:                             ;   in Loop: Header=BB16_3 Depth=1
	s_or_b32 exec_lo, exec_lo, s7
	s_wait_dscnt 0x0
	s_barrier_signal -1
	s_barrier_wait -1
	s_barrier_signal -1
	s_barrier_wait -1
	s_and_saveexec_b32 s7, s15
	s_cbranch_execz .LBB16_1008
; %bb.1007:                             ;   in Loop: Header=BB16_3 Depth=1
	ds_load_b64 v[20:21], v5 offset:1816
	ds_load_b32 v22, v5 offset:1560
	s_wait_dscnt 0x0
	v_mul_f32_e32 v21, v22, v21
	s_delay_alu instid0(VALU_DEP_1)
	v_mul_f32_e32 v20, v20, v21
	ds_store_b32 v5, v20 offset:1816
.LBB16_1008:                            ;   in Loop: Header=BB16_3 Depth=1
	s_or_b32 exec_lo, exec_lo, s7
	v_mov_b32_e32 v20, 0
	s_wait_dscnt 0x0
	s_barrier_signal -1
	s_barrier_wait -1
	global_wb scope:SCOPE_DEV
	s_wait_storecnt 0x0
	global_inv scope:SCOPE_DEV
	s_and_saveexec_b32 s7, s0
	s_cbranch_execz .LBB16_1012
; %bb.1009:                             ;   in Loop: Header=BB16_3 Depth=1
	ds_load_b32 v20, v28 offset:1552
	ds_load_b32 v21, v27 offset:1816
	s_wait_dscnt 0x0
	v_fma_f32 v20, v20, v21, 0
	s_and_saveexec_b32 s8, s16
	s_cbranch_execz .LBB16_1011
; %bb.1010:                             ;   in Loop: Header=BB16_3 Depth=1
	ds_load_b32 v21, v29 offset:1808
	ds_load_b32 v22, v5 offset:1820
	s_wait_dscnt 0x0
	v_fmac_f32_e32 v20, v21, v22
.LBB16_1011:                            ;   in Loop: Header=BB16_3 Depth=1
	s_or_b32 exec_lo, exec_lo, s8
.LBB16_1012:                            ;   in Loop: Header=BB16_3 Depth=1
	s_delay_alu instid0(SALU_CYCLE_1)
	s_or_b32 exec_lo, exec_lo, s7
	s_and_saveexec_b32 s7, s104
	s_cbranch_execz .LBB16_1014
; %bb.1013:                             ;   in Loop: Header=BB16_3 Depth=1
	ds_load_b32 v21, v5 offset:1300
	s_wait_dscnt 0x0
	v_mul_f32_e32 v20, v20, v21
	s_delay_alu instid0(VALU_DEP_1)
	v_xor_b32_e32 v21, 0x80000000, v20
	ds_store_b32 v3, v21
.LBB16_1014:                            ;   in Loop: Header=BB16_3 Depth=1
	s_or_b32 exec_lo, exec_lo, s7
	s_wait_loadcnt_dscnt 0x0
	s_barrier_signal -1
	s_barrier_wait -1
	s_and_saveexec_b32 s7, vcc_hi
	s_cbranch_execz .LBB16_1016
; %bb.1015:                             ;   in Loop: Header=BB16_3 Depth=1
	ds_load_b32 v21, v5 offset:1296
	ds_load_b32 v22, v3
	s_wait_dscnt 0x0
	v_fma_f32 v20, -v21, v22, v20
.LBB16_1016:                            ;   in Loop: Header=BB16_3 Depth=1
	s_or_b32 exec_lo, exec_lo, s7
	s_barrier_signal -1
	s_barrier_wait -1
	s_and_saveexec_b32 s7, vcc_hi
	s_cbranch_execz .LBB16_1018
; %bb.1017:                             ;   in Loop: Header=BB16_3 Depth=1
	ds_load_b32 v21, v5 offset:1040
	s_wait_dscnt 0x0
	v_mul_f32_e32 v20, v20, v21
	s_delay_alu instid0(VALU_DEP_1)
	v_xor_b32_e32 v21, 0x80000000, v20
	ds_store_b32 v3, v21
.LBB16_1018:                            ;   in Loop: Header=BB16_3 Depth=1
	s_or_b32 exec_lo, exec_lo, s7
	s_wait_dscnt 0x0
	s_barrier_signal -1
	s_barrier_wait -1
	s_barrier_signal -1
	s_barrier_wait -1
	s_and_saveexec_b32 s7, s0
; %bb.1019:                             ;   in Loop: Header=BB16_3 Depth=1
	ds_store_b32 v30, v20 offset:1808
; %bb.1020:                             ;   in Loop: Header=BB16_3 Depth=1
	s_or_b32 exec_lo, exec_lo, s7
	s_wait_dscnt 0x0
	s_barrier_signal -1
	s_barrier_wait -1
	s_barrier_signal -1
	s_barrier_wait -1
	s_and_saveexec_b32 s7, s15
	s_cbranch_execz .LBB16_1022
; %bb.1021:                             ;   in Loop: Header=BB16_3 Depth=1
	ds_load_b64 v[20:21], v5 offset:1296
	ds_load_b32 v22, v5 offset:1040
	s_wait_dscnt 0x0
	v_mul_f32_e32 v21, v22, v21
	s_delay_alu instid0(VALU_DEP_1)
	v_mul_f32_e32 v20, v20, v21
	ds_store_b32 v5, v20 offset:1296
.LBB16_1022:                            ;   in Loop: Header=BB16_3 Depth=1
	s_or_b32 exec_lo, exec_lo, s7
	v_mov_b32_e32 v20, 0
	s_wait_dscnt 0x0
	s_barrier_signal -1
	s_barrier_wait -1
	global_wb scope:SCOPE_DEV
	s_wait_storecnt 0x0
	global_inv scope:SCOPE_DEV
	s_and_saveexec_b32 s89, s1
	s_cbranch_execz .LBB16_1028
; %bb.1023:                             ;   in Loop: Header=BB16_3 Depth=1
	ds_load_b32 v20, v33 offset:1024
	ds_load_b32 v21, v32 offset:1808
	s_wait_dscnt 0x0
	v_fma_f32 v20, v20, v21, 0
	s_and_saveexec_b32 s7, s17
	s_cbranch_execnz .LBB16_1193
; %bb.1024:                             ;   in Loop: Header=BB16_3 Depth=1
	s_or_b32 exec_lo, exec_lo, s7
	s_and_saveexec_b32 s7, s18
	s_cbranch_execnz .LBB16_1194
.LBB16_1025:                            ;   in Loop: Header=BB16_3 Depth=1
	s_or_b32 exec_lo, exec_lo, s7
	s_and_saveexec_b32 s7, s0
	s_cbranch_execz .LBB16_1027
.LBB16_1026:                            ;   in Loop: Header=BB16_3 Depth=1
	ds_load_b32 v21, v29 offset:1792
	ds_load_b32 v22, v5 offset:1820
	s_wait_dscnt 0x0
	v_fmac_f32_e32 v20, v21, v22
.LBB16_1027:                            ;   in Loop: Header=BB16_3 Depth=1
	s_or_b32 exec_lo, exec_lo, s7
.LBB16_1028:                            ;   in Loop: Header=BB16_3 Depth=1
	s_delay_alu instid0(SALU_CYCLE_1)
	s_or_b32 exec_lo, exec_lo, s89
	s_and_saveexec_b32 s7, s36
	s_cbranch_execz .LBB16_1030
; %bb.1029:                             ;   in Loop: Header=BB16_3 Depth=1
	ds_load_b32 v21, v5 offset:780
	s_wait_dscnt 0x0
	v_mul_f32_e32 v20, v20, v21
	s_delay_alu instid0(VALU_DEP_1)
	v_xor_b32_e32 v21, 0x80000000, v20
	ds_store_b32 v31, v21
.LBB16_1030:                            ;   in Loop: Header=BB16_3 Depth=1
	s_or_b32 exec_lo, exec_lo, s7
	s_wait_loadcnt_dscnt 0x0
	s_barrier_signal -1
	s_barrier_wait -1
	s_and_saveexec_b32 s7, s37
	s_cbranch_execz .LBB16_1032
; %bb.1031:                             ;   in Loop: Header=BB16_3 Depth=1
	ds_load_b32 v21, v33 offset:768
	ds_load_b32 v22, v31
	s_wait_dscnt 0x0
	v_fma_f32 v20, -v21, v22, v20
.LBB16_1032:                            ;   in Loop: Header=BB16_3 Depth=1
	s_or_b32 exec_lo, exec_lo, s7
	s_barrier_signal -1
	s_barrier_wait -1
	s_and_saveexec_b32 s7, s38
	s_cbranch_execz .LBB16_1034
; %bb.1033:                             ;   in Loop: Header=BB16_3 Depth=1
	ds_load_b32 v21, v5 offset:520
	s_wait_dscnt 0x0
	v_mul_f32_e32 v20, v20, v21
	s_delay_alu instid0(VALU_DEP_1)
	v_xor_b32_e32 v21, 0x80000000, v20
	ds_store_b32 v31, v21
.LBB16_1034:                            ;   in Loop: Header=BB16_3 Depth=1
	s_or_b32 exec_lo, exec_lo, s7
	s_wait_dscnt 0x0
	s_barrier_signal -1
	s_barrier_wait -1
	s_and_saveexec_b32 s7, s39
	s_cbranch_execz .LBB16_1036
; %bb.1035:                             ;   in Loop: Header=BB16_3 Depth=1
	ds_load_b32 v21, v33 offset:512
	ds_load_b32 v22, v31
	s_wait_dscnt 0x0
	v_fma_f32 v20, -v21, v22, v20
.LBB16_1036:                            ;   in Loop: Header=BB16_3 Depth=1
	s_or_b32 exec_lo, exec_lo, s7
	s_barrier_signal -1
	s_barrier_wait -1
	s_and_saveexec_b32 s7, s40
	s_cbranch_execz .LBB16_1038
; %bb.1037:                             ;   in Loop: Header=BB16_3 Depth=1
	ds_load_b32 v21, v5 offset:260
	s_wait_dscnt 0x0
	v_mul_f32_e32 v20, v20, v21
	s_delay_alu instid0(VALU_DEP_1)
	v_xor_b32_e32 v21, 0x80000000, v20
	ds_store_b32 v31, v21
.LBB16_1038:                            ;   in Loop: Header=BB16_3 Depth=1
	s_or_b32 exec_lo, exec_lo, s7
	s_wait_dscnt 0x0
	s_barrier_signal -1
	s_barrier_wait -1
	s_and_saveexec_b32 s7, s41
	s_cbranch_execz .LBB16_1040
; %bb.1039:                             ;   in Loop: Header=BB16_3 Depth=1
	ds_load_b32 v21, v5 offset:256
	ds_load_b32 v22, v31
	s_wait_dscnt 0x0
	v_fma_f32 v20, -v21, v22, v20
.LBB16_1040:                            ;   in Loop: Header=BB16_3 Depth=1
	s_or_b32 exec_lo, exec_lo, s7
	s_barrier_signal -1
	s_barrier_wait -1
	s_and_saveexec_b32 s7, s41
	s_cbranch_execz .LBB16_1042
; %bb.1041:                             ;   in Loop: Header=BB16_3 Depth=1
	ds_load_b32 v21, v5
	s_wait_dscnt 0x0
	v_mul_f32_e32 v20, v20, v21
	s_delay_alu instid0(VALU_DEP_1)
	v_xor_b32_e32 v21, 0x80000000, v20
	ds_store_b32 v31, v21
.LBB16_1042:                            ;   in Loop: Header=BB16_3 Depth=1
	s_or_b32 exec_lo, exec_lo, s7
	s_wait_dscnt 0x0
	s_barrier_signal -1
	s_barrier_wait -1
	s_barrier_signal -1
	s_barrier_wait -1
	s_and_saveexec_b32 s7, s1
; %bb.1043:                             ;   in Loop: Header=BB16_3 Depth=1
	ds_store_b32 v34, v20 offset:1792
; %bb.1044:                             ;   in Loop: Header=BB16_3 Depth=1
	s_or_b32 exec_lo, exec_lo, s7
	s_wait_dscnt 0x0
	s_barrier_signal -1
	s_barrier_wait -1
	s_barrier_signal -1
	s_barrier_wait -1
	s_and_saveexec_b32 s7, s15
	s_cbranch_execz .LBB16_1046
; %bb.1045:                             ;   in Loop: Header=BB16_3 Depth=1
	ds_load_b64 v[20:21], v5 offset:776
	ds_load_b32 v22, v5 offset:520
	s_wait_dscnt 0x0
	v_mul_f32_e32 v21, v22, v21
	s_delay_alu instid0(VALU_DEP_1)
	v_mul_f32_e32 v20, v20, v21
	ds_store_b32 v5, v20 offset:776
.LBB16_1046:                            ;   in Loop: Header=BB16_3 Depth=1
	s_or_b32 exec_lo, exec_lo, s7
	v_mov_b32_e32 v20, 0
	s_wait_dscnt 0x0
	s_barrier_signal -1
	s_barrier_wait -1
	global_wb scope:SCOPE_DEV
	s_wait_storecnt 0x0
	global_inv scope:SCOPE_DEV
	s_and_saveexec_b32 s7, s0
	s_cbranch_execz .LBB16_1050
; %bb.1047:                             ;   in Loop: Header=BB16_3 Depth=1
	ds_load_b32 v20, v28 offset:512
	ds_load_b32 v21, v27 offset:776
	s_wait_dscnt 0x0
	v_fma_f32 v20, v20, v21, 0
	s_and_saveexec_b32 s8, s16
	s_cbranch_execz .LBB16_1049
; %bb.1048:                             ;   in Loop: Header=BB16_3 Depth=1
	ds_load_b32 v21, v29 offset:768
	ds_load_b32 v22, v5 offset:780
	s_wait_dscnt 0x0
	v_fmac_f32_e32 v20, v21, v22
.LBB16_1049:                            ;   in Loop: Header=BB16_3 Depth=1
	s_or_b32 exec_lo, exec_lo, s8
.LBB16_1050:                            ;   in Loop: Header=BB16_3 Depth=1
	s_delay_alu instid0(SALU_CYCLE_1)
	s_or_b32 exec_lo, exec_lo, s7
	s_and_saveexec_b32 s7, s104
	s_cbranch_execz .LBB16_1052
; %bb.1051:                             ;   in Loop: Header=BB16_3 Depth=1
	ds_load_b32 v21, v5 offset:260
	s_wait_dscnt 0x0
	v_mul_f32_e32 v20, v20, v21
	s_delay_alu instid0(VALU_DEP_1)
	v_xor_b32_e32 v21, 0x80000000, v20
	ds_store_b32 v3, v21
.LBB16_1052:                            ;   in Loop: Header=BB16_3 Depth=1
	s_or_b32 exec_lo, exec_lo, s7
	s_wait_loadcnt_dscnt 0x0
	s_barrier_signal -1
	s_barrier_wait -1
	s_and_saveexec_b32 s7, vcc_hi
	s_cbranch_execz .LBB16_1054
; %bb.1053:                             ;   in Loop: Header=BB16_3 Depth=1
	ds_load_b32 v21, v5 offset:256
	ds_load_b32 v22, v3
	s_wait_dscnt 0x0
	v_fma_f32 v20, -v21, v22, v20
.LBB16_1054:                            ;   in Loop: Header=BB16_3 Depth=1
	s_or_b32 exec_lo, exec_lo, s7
	s_barrier_signal -1
	s_barrier_wait -1
	s_and_saveexec_b32 s7, vcc_hi
	s_cbranch_execz .LBB16_1056
; %bb.1055:                             ;   in Loop: Header=BB16_3 Depth=1
	ds_load_b32 v21, v5
	s_wait_dscnt 0x0
	v_mul_f32_e32 v20, v20, v21
	s_delay_alu instid0(VALU_DEP_1)
	v_xor_b32_e32 v21, 0x80000000, v20
	ds_store_b32 v3, v21
.LBB16_1056:                            ;   in Loop: Header=BB16_3 Depth=1
	s_or_b32 exec_lo, exec_lo, s7
	s_wait_dscnt 0x0
	s_barrier_signal -1
	s_barrier_wait -1
	s_barrier_signal -1
	s_barrier_wait -1
	s_and_saveexec_b32 s7, s0
; %bb.1057:                             ;   in Loop: Header=BB16_3 Depth=1
	ds_store_b32 v30, v20 offset:768
; %bb.1058:                             ;   in Loop: Header=BB16_3 Depth=1
	s_or_b32 exec_lo, exec_lo, s7
	s_wait_dscnt 0x0
	s_barrier_signal -1
	s_barrier_wait -1
	s_barrier_signal -1
	s_barrier_wait -1
	s_and_saveexec_b32 s7, s15
	s_cbranch_execz .LBB16_1060
; %bb.1059:                             ;   in Loop: Header=BB16_3 Depth=1
	ds_load_b64 v[20:21], v5 offset:256
	ds_load_b32 v22, v5
	s_wait_dscnt 0x0
	v_mul_f32_e32 v21, v22, v21
	s_delay_alu instid0(VALU_DEP_1)
	v_mul_f32_e32 v20, v20, v21
	ds_store_b32 v5, v20 offset:256
.LBB16_1060:                            ;   in Loop: Header=BB16_3 Depth=1
	s_or_b32 exec_lo, exec_lo, s7
.LBB16_1061:                            ;   in Loop: Header=BB16_3 Depth=1
	v_readlane_b32 s96, v72, 7
	v_readlane_b32 s97, v72, 8
	s_mul_u64 s[8:9], s[82:83], s[84:85]
	v_mov_b32_e32 v63, 0
	s_lshl_b64 s[8:9], s[8:9], 2
	s_wait_dscnt 0x0
	s_add_nc_u64 s[96:97], s[96:97], s[8:9]
	s_barrier_signal -1
	s_barrier_wait -1
	s_and_saveexec_b32 s7, s11
	s_cbranch_execz .LBB16_1063
; %bb.1062:                             ;   in Loop: Header=BB16_3 Depth=1
	v_lshl_add_u64 v[20:21], v[0:1], 2, s[96:97]
	v_readlane_b32 s8, v72, 3
	global_load_b32 v20, v[20:21], off
	s_wait_loadcnt 0x0
	v_mul_f32_e64 v63, v20, -s8
.LBB16_1063:                            ;   in Loop: Header=BB16_3 Depth=1
	s_or_b32 exec_lo, exec_lo, s7
	s_delay_alu instid0(SALU_CYCLE_1)
	s_and_not1_b32 vcc_lo, exec_lo, s98
	s_cbranch_vccnz .LBB16_1089
; %bb.1064:                             ;   in Loop: Header=BB16_3 Depth=1
	v_lshl_add_u64 v[20:21], v[6:7], 2, s[94:95]
	v_readlane_b32 s94, v72, 1
	v_readlane_b32 s95, v72, 2
	v_mov_b32_e32 v64, -1
	s_lshl_b64 s[8:9], s[84:85], 2
	s_mov_b32 s89, 0
	s_add_nc_u64 s[94:95], s[94:95], s[8:9]
	s_branch .LBB16_1067
.LBB16_1065:                            ;   in Loop: Header=BB16_1067 Depth=2
	s_wait_xcnt 0x0
	ds_load_b32 v22, v48 offset:192
	s_wait_loadcnt_dscnt 0x0
	v_fmac_f32_e32 v63, v24, v22
.LBB16_1066:                            ;   in Loop: Header=BB16_1067 Depth=2
	s_or_b32 exec_lo, exec_lo, s7
	s_add_co_i32 s89, s89, 1
	s_delay_alu instid0(SALU_CYCLE_1)
	s_cmp_eq_u32 s89, s100
	s_cbranch_scc1 .LBB16_1089
.LBB16_1067:                            ;   Parent Loop BB16_3 Depth=1
                                        ; =>  This Loop Header: Depth=2
                                        ;       Child Loop BB16_1069 Depth 3
	v_cmp_gt_i32_e32 vcc_lo, s89, v64
	s_and_b32 s8, s59, vcc_lo
	s_delay_alu instid0(SALU_CYCLE_1)
	s_and_saveexec_b32 s7, s8
	s_cbranch_execz .LBB16_1070
; %bb.1068:                             ;   in Loop: Header=BB16_1067 Depth=2
	global_load_b32 v64, v5, s[94:95]
	s_wait_loadcnt 0x0
	v_cmp_le_i32_e32 vcc_lo, s89, v64
	s_cbranch_vccnz .LBB16_1070
.LBB16_1069:                            ;   Parent Loop BB16_3 Depth=1
                                        ;     Parent Loop BB16_1067 Depth=2
                                        ; =>    This Inner Loop Header: Depth=3
	global_wb scope:SCOPE_DEV
	s_wait_storecnt 0x0
	global_inv scope:SCOPE_DEV
	global_load_b32 v64, v5, s[94:95]
	s_wait_loadcnt 0x0
	v_cmp_gt_i32_e32 vcc_lo, s89, v64
	s_cbranch_vccnz .LBB16_1069
.LBB16_1070:                            ;   in Loop: Header=BB16_1067 Depth=2
	s_or_b32 exec_lo, exec_lo, s7
	s_sub_co_i32 s7, s101, s89
	global_wb scope:SCOPE_DEV
	s_wait_storecnt 0x0
	global_inv scope:SCOPE_DEV
	s_lshl_b32 s8, s7, 6
	s_wait_loadcnt 0x0
	s_barrier_signal -1
	s_barrier_wait -1
	s_and_saveexec_b32 s9, s60
	s_cbranch_execz .LBB16_1074
; %bb.1071:                             ;   in Loop: Header=BB16_1067 Depth=2
	s_ashr_i32 s10, s8, 31
	s_delay_alu instid0(SALU_CYCLE_1) | instskip(SKIP_2) | instid1(VALU_DEP_1)
	v_dual_mov_b32 v24, 0 :: v_dual_mov_b32 v23, s10
	v_or_b32_e32 v22, s8, v4
	s_mov_b32 s10, exec_lo
	v_cmpx_gt_i64_e64 s[86:87], v[22:23]
	s_cbranch_execz .LBB16_1073
; %bb.1072:                             ;   in Loop: Header=BB16_1067 Depth=2
	v_mul_u64_e32 v[22:23], s[80:81], v[22:23]
	s_delay_alu instid0(VALU_DEP_1)
	v_lshl_add_u64 v[22:23], v[22:23], 2, s[96:97]
	global_load_b32 v24, v[22:23], off
.LBB16_1073:                            ;   in Loop: Header=BB16_1067 Depth=2
	s_wait_xcnt 0x0
	s_or_b32 exec_lo, exec_lo, s10
	s_wait_loadcnt 0x0
	ds_store_b32 v47, v24
.LBB16_1074:                            ;   in Loop: Header=BB16_1067 Depth=2
	s_or_b32 exec_lo, exec_lo, s9
	v_add_nc_u32_e32 v24, s8, v26
	s_cmp_lg_u32 s7, s88
	s_wait_dscnt 0x0
	s_cselect_b32 s8, -1, 0
	s_barrier_signal -1
	v_ashrrev_i32_e32 v25, 31, v24
	v_cmp_gt_i32_e32 vcc_lo, s86, v24
	s_barrier_wait -1
	s_delay_alu instid0(VALU_DEP_2) | instskip(SKIP_2) | instid1(VALU_DEP_2)
	v_mul_u64_e32 v[22:23], s[72:73], v[24:25]
	v_cndmask_b32_e64 v25, 0, 1, s8
	s_and_b32 s9, s6, vcc_lo
	v_lshl_add_u64 v[22:23], v[22:23], 2, v[20:21]
	s_and_saveexec_b32 s7, s9
	s_cbranch_execz .LBB16_1078
; %bb.1075:                             ;   in Loop: Header=BB16_1067 Depth=2
	v_mov_b32_e32 v65, v59
	s_and_not1_b32 vcc_lo, exec_lo, s8
	s_cbranch_vccnz .LBB16_1077
; %bb.1076:                             ;   in Loop: Header=BB16_1067 Depth=2
	global_load_b32 v65, v[22:23], off
.LBB16_1077:                            ;   in Loop: Header=BB16_1067 Depth=2
	ds_load_b32 v66, v48
	s_wait_loadcnt_dscnt 0x0
	v_fmac_f32_e32 v63, v65, v66
.LBB16_1078:                            ;   in Loop: Header=BB16_1067 Depth=2
	s_or_b32 exec_lo, exec_lo, s7
	v_add_nc_u32_e32 v65, 16, v24
	s_delay_alu instid0(VALU_DEP_1) | instskip(SKIP_1) | instid1(SALU_CYCLE_1)
	v_cmp_gt_i32_e32 vcc_lo, s86, v65
	s_and_b32 s8, s6, vcc_lo
	s_and_saveexec_b32 s7, s8
	s_cbranch_execz .LBB16_1082
; %bb.1079:                             ;   in Loop: Header=BB16_1067 Depth=2
	v_cmp_ne_u32_e32 vcc_lo, 1, v25
	v_mov_b32_e32 v65, v60
	s_cbranch_vccnz .LBB16_1081
; %bb.1080:                             ;   in Loop: Header=BB16_1067 Depth=2
	v_add_nc_u64_e32 v[66:67], s[78:79], v[22:23]
	global_load_b32 v65, v[66:67], off
.LBB16_1081:                            ;   in Loop: Header=BB16_1067 Depth=2
	s_wait_xcnt 0x0
	ds_load_b32 v66, v48 offset:64
	s_wait_loadcnt_dscnt 0x0
	v_fmac_f32_e32 v63, v65, v66
.LBB16_1082:                            ;   in Loop: Header=BB16_1067 Depth=2
	s_or_b32 exec_lo, exec_lo, s7
	v_add_nc_u32_e32 v65, 32, v24
	s_delay_alu instid0(VALU_DEP_1) | instskip(SKIP_1) | instid1(SALU_CYCLE_1)
	v_cmp_gt_i32_e32 vcc_lo, s86, v65
	s_and_b32 s8, s6, vcc_lo
	s_and_saveexec_b32 s7, s8
	s_cbranch_execz .LBB16_1086
; %bb.1083:                             ;   in Loop: Header=BB16_1067 Depth=2
	v_cmp_ne_u32_e32 vcc_lo, 1, v25
	v_mov_b32_e32 v65, v61
	s_cbranch_vccnz .LBB16_1085
; %bb.1084:                             ;   in Loop: Header=BB16_1067 Depth=2
	v_add_nc_u64_e32 v[66:67], s[90:91], v[22:23]
	global_load_b32 v65, v[66:67], off
.LBB16_1085:                            ;   in Loop: Header=BB16_1067 Depth=2
	s_wait_xcnt 0x0
	ds_load_b32 v66, v48 offset:128
	s_wait_loadcnt_dscnt 0x0
	v_fmac_f32_e32 v63, v65, v66
.LBB16_1086:                            ;   in Loop: Header=BB16_1067 Depth=2
	s_or_b32 exec_lo, exec_lo, s7
	v_add_nc_u32_e32 v24, 48, v24
	s_delay_alu instid0(VALU_DEP_1) | instskip(SKIP_1) | instid1(SALU_CYCLE_1)
	v_cmp_gt_i32_e32 vcc_lo, s86, v24
	s_and_b32 s8, s6, vcc_lo
	s_and_saveexec_b32 s7, s8
	s_cbranch_execz .LBB16_1066
; %bb.1087:                             ;   in Loop: Header=BB16_1067 Depth=2
	v_cmp_ne_u32_e32 vcc_lo, 1, v25
	v_mov_b32_e32 v24, v62
	s_cbranch_vccnz .LBB16_1065
; %bb.1088:                             ;   in Loop: Header=BB16_1067 Depth=2
	v_add_nc_u64_e32 v[22:23], s[92:93], v[22:23]
	global_load_b32 v24, v[22:23], off
	s_branch .LBB16_1065
.LBB16_1089:                            ;   in Loop: Header=BB16_3 Depth=1
	ds_store_b32 v49, v63
	s_wait_dscnt 0x0
	s_barrier_signal -1
	s_barrier_wait -1
	s_and_saveexec_b32 s89, s5
	s_cbranch_execz .LBB16_1091
; %bb.1090:                             ;   in Loop: Header=BB16_3 Depth=1
	ds_load_2addr_stride64_b32 v[20:21], v50 offset0:1 offset1:2
	ds_load_2addr_stride64_b32 v[22:23], v50 offset0:3 offset1:4
	;; [unrolled: 1-line block ×4, first 2 shown]
	v_readlane_b32 s7, v70, 6
	s_wait_dscnt 0x3
	v_add_f32_e32 v20, v63, v20
	s_delay_alu instid0(VALU_DEP_1) | instskip(SKIP_1) | instid1(VALU_DEP_1)
	v_add_f32_e32 v20, v20, v21
	s_wait_dscnt 0x2
	v_add_f32_e32 v20, v20, v22
	s_delay_alu instid0(VALU_DEP_1) | instskip(SKIP_1) | instid1(VALU_DEP_1)
	v_add_f32_e32 v20, v20, v23
	s_wait_dscnt 0x1
	v_add_f32_e32 v22, v20, v24
	ds_load_2addr_stride64_b32 v[20:21], v50 offset0:9 offset1:10
	v_add_f32_e32 v22, v22, v25
	s_wait_dscnt 0x1
	s_delay_alu instid0(VALU_DEP_1)
	v_add_f32_e32 v24, v22, v64
	ds_load_2addr_stride64_b32 v[22:23], v50 offset0:11 offset1:12
	v_add_f32_e32 v63, v24, v65
	ds_load_2addr_stride64_b32 v[24:25], v50 offset0:13 offset1:14
	ds_load_b32 v64, v50 offset:3840
	s_wait_dscnt 0x3
	v_add_f32_e32 v20, v63, v20
	s_delay_alu instid0(VALU_DEP_1) | instskip(SKIP_1) | instid1(VALU_DEP_1)
	v_add_f32_e32 v20, v20, v21
	s_wait_dscnt 0x2
	v_add_f32_e32 v20, v20, v22
	s_delay_alu instid0(VALU_DEP_1) | instskip(SKIP_1) | instid1(VALU_DEP_1)
	v_add_f32_e32 v20, v20, v23
	;; [unrolled: 4-line block ×3, first 2 shown]
	s_wait_dscnt 0x0
	v_add_f32_e32 v20, v20, v64
	s_delay_alu instid0(VALU_DEP_1)
	v_cndmask_b32_e64 v63, -v20, 0, s7
.LBB16_1091:                            ;   in Loop: Header=BB16_3 Depth=1
	s_or_b32 exec_lo, exec_lo, s89
	s_delay_alu instid0(SALU_CYCLE_1)
	s_and_not1_b32 vcc_lo, exec_lo, s69
	s_cbranch_vccnz .LBB16_1104
; %bb.1092:                             ;   in Loop: Header=BB16_3 Depth=1
	s_and_saveexec_b32 s7, s5
; %bb.1093:                             ;   in Loop: Header=BB16_3 Depth=1
	ds_store_b32 v52, v63
; %bb.1094:                             ;   in Loop: Header=BB16_3 Depth=1
	s_or_b32 exec_lo, exec_lo, s7
	v_mov_b32_e32 v20, 0
	s_wait_dscnt 0x0
	s_barrier_signal -1
	s_barrier_wait -1
	s_mov_b32 s7, exec_lo
	v_readlane_b32 s8, v69, 30
	s_and_b32 s8, s7, s8
	s_delay_alu instid0(SALU_CYCLE_1)
	s_mov_b32 exec_lo, s8
	s_cbranch_execz .LBB16_1096
; %bb.1095:                             ;   in Loop: Header=BB16_3 Depth=1
	ds_load_b32 v20, v51
	ds_load_b32 v21, v48
	s_wait_dscnt 0x0
	v_fma_f32 v20, v20, v21, 0
.LBB16_1096:                            ;   in Loop: Header=BB16_3 Depth=1
	s_or_b32 exec_lo, exec_lo, s7
	s_delay_alu instid0(SALU_CYCLE_1) | instskip(SKIP_2) | instid1(SALU_CYCLE_1)
	s_mov_b32 s7, exec_lo
	v_readlane_b32 s8, v69, 31
	s_and_b32 s8, s7, s8
	s_mov_b32 exec_lo, s8
	s_cbranch_execz .LBB16_1098
; %bb.1097:                             ;   in Loop: Header=BB16_3 Depth=1
	ds_load_b32 v21, v51 offset:4096
	ds_load_b32 v22, v48 offset:64
	s_wait_dscnt 0x0
	v_fmac_f32_e32 v20, v21, v22
.LBB16_1098:                            ;   in Loop: Header=BB16_3 Depth=1
	s_or_b32 exec_lo, exec_lo, s7
	s_delay_alu instid0(SALU_CYCLE_1) | instskip(SKIP_2) | instid1(SALU_CYCLE_1)
	s_mov_b32 s7, exec_lo
	v_readlane_b32 s8, v68, 0
	s_and_b32 s8, s7, s8
	s_mov_b32 exec_lo, s8
	s_cbranch_execz .LBB16_1100
; %bb.1099:                             ;   in Loop: Header=BB16_3 Depth=1
	ds_load_b32 v21, v51 offset:8192
	ds_load_b32 v22, v48 offset:128
	s_wait_dscnt 0x0
	v_fmac_f32_e32 v20, v21, v22
.LBB16_1100:                            ;   in Loop: Header=BB16_3 Depth=1
	;; [unrolled: 13-line block ×3, first 2 shown]
	s_or_b32 exec_lo, exec_lo, s7
	s_mov_b32 s89, 0
	s_mov_b32 s94, 0
	ds_store_b32 v49, v20
	s_wait_dscnt 0x0
	s_barrier_signal -1
	s_barrier_wait -1
                                        ; implicit-def: $vgpr21
	s_and_saveexec_b32 s95, s5
	s_cbranch_execz .LBB16_1141
; %bb.1103:                             ;   in Loop: Header=BB16_3 Depth=1
	ds_load_2addr_stride64_b32 v[22:23], v50 offset0:1 offset1:2
	ds_load_2addr_stride64_b32 v[24:25], v50 offset0:3 offset1:4
	;; [unrolled: 1-line block ×4, first 2 shown]
	s_mov_b32 s94, exec_lo
	s_wait_dscnt 0x3
	v_add_f32_e32 v20, v20, v22
	s_delay_alu instid0(VALU_DEP_1) | instskip(SKIP_1) | instid1(VALU_DEP_1)
	v_add_f32_e32 v20, v23, v20
	s_wait_dscnt 0x2
	v_add_f32_e32 v20, v24, v20
	s_delay_alu instid0(VALU_DEP_1) | instskip(SKIP_1) | instid1(VALU_DEP_1)
	v_add_f32_e32 v20, v25, v20
	s_wait_dscnt 0x1
	v_add_f32_e32 v22, v64, v20
	ds_load_2addr_stride64_b32 v[20:21], v50 offset0:9 offset1:10
	v_add_f32_e32 v22, v65, v22
	s_wait_dscnt 0x1
	s_delay_alu instid0(VALU_DEP_1)
	v_add_f32_e32 v24, v66, v22
	ds_load_2addr_stride64_b32 v[22:23], v50 offset0:11 offset1:12
	v_add_f32_e32 v64, v67, v24
	ds_load_2addr_stride64_b32 v[24:25], v50 offset0:13 offset1:14
	ds_load_b32 v65, v50 offset:3840
	s_wait_dscnt 0x3
	v_add_f32_e32 v20, v20, v64
	s_delay_alu instid0(VALU_DEP_1) | instskip(SKIP_1) | instid1(VALU_DEP_1)
	v_add_f32_e32 v20, v21, v20
	s_wait_dscnt 0x2
	v_add_f32_e32 v20, v22, v20
	s_delay_alu instid0(VALU_DEP_1) | instskip(SKIP_1) | instid1(VALU_DEP_1)
	v_add_f32_e32 v20, v23, v20
	;; [unrolled: 4-line block ×3, first 2 shown]
	s_wait_dscnt 0x0
	v_add_f32_e32 v21, v65, v20
	s_or_b32 exec_lo, exec_lo, s95
	s_delay_alu instid0(SALU_CYCLE_1)
	s_and_b32 vcc_lo, exec_lo, s89
	s_cbranch_vccnz .LBB16_1105
	s_branch .LBB16_1142
.LBB16_1104:                            ;   in Loop: Header=BB16_3 Depth=1
	s_mov_b32 s94, 0
                                        ; implicit-def: $vgpr21
	s_cbranch_execz .LBB16_1142
.LBB16_1105:                            ;   in Loop: Header=BB16_3 Depth=1
	v_dual_mov_b32 v20, v58 :: v_dual_mov_b32 v21, v57
	s_mov_b32 s89, 63
	s_branch .LBB16_1107
.LBB16_1106:                            ;   in Loop: Header=BB16_1107 Depth=2
	s_or_b32 exec_lo, exec_lo, s7
	v_add_nc_u32_e32 v21, 0xfffffc00, v21
	v_add_nc_u32_e32 v20, 4, v20
	s_add_co_i32 s89, s89, -4
	s_cmp_lg_u32 s95, 0
	s_barrier_signal -1
	s_barrier_wait -1
	s_cbranch_scc0 .LBB16_1123
.LBB16_1107:                            ;   Parent Loop BB16_3 Depth=1
                                        ; =>  This Inner Loop Header: Depth=2
	s_delay_alu instid0(VALU_DEP_1) | instskip(SKIP_1) | instid1(SALU_CYCLE_1)
	v_cmp_eq_u32_e32 vcc_lo, 0, v20
	s_and_b32 s8, s5, vcc_lo
	s_and_saveexec_b32 s7, s8
	s_cbranch_execz .LBB16_1109
; %bb.1108:                             ;   in Loop: Header=BB16_1107 Depth=2
	ds_load_b32 v22, v53
	s_wait_dscnt 0x0
	v_mul_f32_e32 v63, v63, v22
	ds_store_b32 v5, v63 offset:20736
.LBB16_1109:                            ;   in Loop: Header=BB16_1107 Depth=2
	s_or_b32 exec_lo, exec_lo, s7
	v_cmp_gt_u32_e32 vcc_lo, s89, v2
	s_wait_dscnt 0x0
	s_barrier_signal -1
	s_barrier_wait -1
	s_and_b32 s8, s5, vcc_lo
	s_delay_alu instid0(SALU_CYCLE_1)
	s_and_saveexec_b32 s7, s8
	s_cbranch_execz .LBB16_1111
; %bb.1110:                             ;   in Loop: Header=BB16_1107 Depth=2
	ds_load_b32 v22, v21 offset:768
	ds_load_b32 v23, v5 offset:20736
	s_wait_dscnt 0x0
	v_fmac_f32_e32 v63, v22, v23
.LBB16_1111:                            ;   in Loop: Header=BB16_1107 Depth=2
	s_or_b32 exec_lo, exec_lo, s7
	s_add_co_i32 s7, s89, -1
	s_delay_alu instid0(SALU_CYCLE_1) | instskip(SKIP_3) | instid1(SALU_CYCLE_1)
	v_cmp_eq_u32_e32 vcc_lo, s7, v2
	s_barrier_signal -1
	s_barrier_wait -1
	s_and_b32 s9, s5, vcc_lo
	s_and_saveexec_b32 s8, s9
	s_cbranch_execz .LBB16_1113
; %bb.1112:                             ;   in Loop: Header=BB16_1107 Depth=2
	ds_load_b32 v22, v53
	s_wait_dscnt 0x0
	v_mul_f32_e32 v63, v63, v22
	ds_store_b32 v5, v63 offset:20736
.LBB16_1113:                            ;   in Loop: Header=BB16_1107 Depth=2
	s_or_b32 exec_lo, exec_lo, s8
	v_cmp_gt_u32_e32 vcc_lo, s7, v2
	s_wait_dscnt 0x0
	s_barrier_signal -1
	s_barrier_wait -1
	s_and_b32 s8, s5, vcc_lo
	s_delay_alu instid0(SALU_CYCLE_1)
	s_and_saveexec_b32 s7, s8
	s_cbranch_execz .LBB16_1115
; %bb.1114:                             ;   in Loop: Header=BB16_1107 Depth=2
	ds_load_b32 v22, v21 offset:512
	ds_load_b32 v23, v5 offset:20736
	s_wait_dscnt 0x0
	v_fmac_f32_e32 v63, v22, v23
.LBB16_1115:                            ;   in Loop: Header=BB16_1107 Depth=2
	s_or_b32 exec_lo, exec_lo, s7
	s_add_co_i32 s7, s89, -2
	s_delay_alu instid0(SALU_CYCLE_1) | instskip(SKIP_3) | instid1(SALU_CYCLE_1)
	v_cmp_eq_u32_e32 vcc_lo, s7, v2
	s_barrier_signal -1
	s_barrier_wait -1
	s_and_b32 s9, s5, vcc_lo
	s_and_saveexec_b32 s8, s9
	s_cbranch_execz .LBB16_1117
; %bb.1116:                             ;   in Loop: Header=BB16_1107 Depth=2
	ds_load_b32 v22, v53
	s_wait_dscnt 0x0
	v_mul_f32_e32 v63, v63, v22
	ds_store_b32 v5, v63 offset:20736
.LBB16_1117:                            ;   in Loop: Header=BB16_1107 Depth=2
	s_or_b32 exec_lo, exec_lo, s8
	v_cmp_gt_u32_e32 vcc_lo, s7, v2
	s_wait_dscnt 0x0
	s_barrier_signal -1
	s_barrier_wait -1
	s_and_b32 s8, s5, vcc_lo
	s_delay_alu instid0(SALU_CYCLE_1)
	s_and_saveexec_b32 s7, s8
	s_cbranch_execz .LBB16_1119
; %bb.1118:                             ;   in Loop: Header=BB16_1107 Depth=2
	ds_load_b32 v22, v21 offset:256
	ds_load_b32 v23, v5 offset:20736
	s_wait_dscnt 0x0
	v_fmac_f32_e32 v63, v22, v23
.LBB16_1119:                            ;   in Loop: Header=BB16_1107 Depth=2
	s_or_b32 exec_lo, exec_lo, s7
	s_add_co_i32 s95, s89, -3
	s_delay_alu instid0(SALU_CYCLE_1) | instskip(SKIP_3) | instid1(SALU_CYCLE_1)
	v_cmp_eq_u32_e32 vcc_lo, s95, v2
	s_barrier_signal -1
	s_barrier_wait -1
	s_and_b32 s8, s5, vcc_lo
	s_and_saveexec_b32 s7, s8
	s_cbranch_execz .LBB16_1121
; %bb.1120:                             ;   in Loop: Header=BB16_1107 Depth=2
	ds_load_b32 v22, v53
	s_wait_dscnt 0x0
	v_mul_f32_e32 v63, v63, v22
	ds_store_b32 v5, v63 offset:20736
.LBB16_1121:                            ;   in Loop: Header=BB16_1107 Depth=2
	s_or_b32 exec_lo, exec_lo, s7
	v_cmp_gt_u32_e32 vcc_lo, s95, v2
	s_wait_dscnt 0x0
	s_barrier_signal -1
	s_barrier_wait -1
	s_and_b32 s8, s5, vcc_lo
	s_delay_alu instid0(SALU_CYCLE_1)
	s_and_saveexec_b32 s7, s8
	s_cbranch_execz .LBB16_1106
; %bb.1122:                             ;   in Loop: Header=BB16_1107 Depth=2
	ds_load_b32 v22, v21
	ds_load_b32 v23, v5 offset:20736
	s_wait_dscnt 0x0
	v_fmac_f32_e32 v63, v22, v23
	s_branch .LBB16_1106
.LBB16_1123:                            ;   in Loop: Header=BB16_3 Depth=1
	s_and_b32 vcc_lo, exec_lo, s102
	s_mov_b32 s7, -1
	s_cbranch_vccnz .LBB16_1143
; %bb.1124:                             ;   in Loop: Header=BB16_3 Depth=1
	s_and_not1_b32 vcc_lo, exec_lo, s7
	s_cbranch_vccz .LBB16_1144
.LBB16_1125:                            ;   in Loop: Header=BB16_3 Depth=1
	s_and_saveexec_b32 s7, s94
	s_cbranch_execz .LBB16_1127
.LBB16_1126:                            ;   in Loop: Header=BB16_3 Depth=1
	v_lshl_add_u64 v[20:21], v[10:11], 2, s[96:97]
	global_store_b32 v[20:21], v63, off
.LBB16_1127:                            ;   in Loop: Header=BB16_3 Depth=1
	s_wait_xcnt 0x0
	s_or_b32 exec_lo, exec_lo, s7
	global_wb scope:SCOPE_DEV
	s_wait_storecnt 0x0
	global_inv scope:SCOPE_DEV
	s_wait_loadcnt 0x0
	s_barrier_signal -1
	s_barrier_wait -1
	s_and_saveexec_b32 s7, s59
	s_cbranch_execz .LBB16_2
; %bb.1128:                             ;   in Loop: Header=BB16_3 Depth=1
	v_readlane_b32 s94, v72, 1
	v_readlane_b32 s95, v72, 2
	s_lshl_b64 s[8:9], s[84:85], 2
	s_delay_alu instid0(SALU_CYCLE_1)
	s_add_nc_u64 s[8:9], s[94:95], s[8:9]
	global_load_b32 v20, v5, s[8:9]
	s_wait_loadcnt 0x0
	v_add_nc_u32_e32 v20, 1, v20
	global_store_b32 v5, v20, s[8:9]
	s_branch .LBB16_2
.LBB16_1129:                            ;   in Loop: Header=BB16_3 Depth=1
	s_mov_b32 s8, exec_lo
	v_readlane_b32 s9, v70, 20
	s_and_b32 s9, s8, s9
	s_delay_alu instid0(SALU_CYCLE_1)
	s_xor_b32 s8, s9, s8
	s_mov_b32 exec_lo, s9
	s_cbranch_execz .LBB16_1131
; %bb.1130:                             ;   in Loop: Header=BB16_3 Depth=1
	v_readlane_b32 s7, v68, 2
	s_and_b32 s7, s7, exec_lo
.LBB16_1131:                            ;   in Loop: Header=BB16_3 Depth=1
	s_or_saveexec_b32 s8, s8
	v_mov_b32_e32 v20, 0
	s_xor_b32 exec_lo, exec_lo, s8
	s_cbranch_execz .LBB16_1133
; %bb.1132:                             ;   in Loop: Header=BB16_3 Depth=1
	v_lshl_add_u64 v[20:21], v[12:13], 2, s[94:95]
	s_or_b32 s7, s7, exec_lo
	global_load_b32 v20, v[20:21], off
	s_wait_loadcnt 0x0
	v_div_scale_f32 v21, null, v20, v20, 1.0
	s_delay_alu instid0(VALU_DEP_1) | instskip(SKIP_1) | instid1(TRANS32_DEP_1)
	v_rcp_f32_e32 v22, v21
	v_nop
	v_fma_f32 v23, -v21, v22, 1.0
	s_delay_alu instid0(VALU_DEP_1) | instskip(SKIP_1) | instid1(VALU_DEP_1)
	v_fmac_f32_e32 v22, v23, v22
	v_div_scale_f32 v23, vcc_lo, 1.0, v20, 1.0
	v_mul_f32_e32 v24, v23, v22
	s_delay_alu instid0(VALU_DEP_1) | instskip(NEXT) | instid1(VALU_DEP_1)
	v_fma_f32 v25, -v21, v24, v23
	v_fmac_f32_e32 v24, v25, v22
	s_delay_alu instid0(VALU_DEP_1) | instskip(NEXT) | instid1(VALU_DEP_1)
	v_fma_f32 v21, -v21, v24, v23
	v_div_fmas_f32 v21, v21, v22, v24
	s_delay_alu instid0(VALU_DEP_1)
	v_div_fixup_f32 v20, v21, v20, 1.0
.LBB16_1133:                            ;   in Loop: Header=BB16_3 Depth=1
	s_or_b32 exec_lo, exec_lo, s8
	s_delay_alu instid0(SALU_CYCLE_1)
	s_and_b32 s7, s7, exec_lo
	s_and_not1_saveexec_b32 s8, s89
	s_cbranch_execz .LBB16_16
.LBB16_1134:                            ;   in Loop: Header=BB16_3 Depth=1
	v_lshl_add_u64 v[20:21], v[12:13], 2, s[94:95]
	s_or_b32 s7, s7, exec_lo
	global_load_b32 v20, v[20:21], off
	s_wait_loadcnt 0x0
	v_xor_b32_e32 v20, 0x80000000, v20
	s_or_b32 exec_lo, exec_lo, s8
	s_and_saveexec_b32 s8, s7
	s_cbranch_execnz .LBB16_17
	s_branch .LBB16_18
.LBB16_1135:                            ;   in Loop: Header=BB16_3 Depth=1
	s_mov_b32 s8, exec_lo
	v_readlane_b32 s9, v70, 21
	s_and_b32 s9, s8, s9
	s_delay_alu instid0(SALU_CYCLE_1)
	s_xor_b32 s8, s9, s8
	s_mov_b32 exec_lo, s9
	s_cbranch_execz .LBB16_1137
; %bb.1136:                             ;   in Loop: Header=BB16_3 Depth=1
	v_readlane_b32 s7, v68, 2
	s_and_b32 s7, s7, exec_lo
.LBB16_1137:                            ;   in Loop: Header=BB16_3 Depth=1
	s_or_saveexec_b32 s8, s8
	v_mov_b32_e32 v20, 0
	s_xor_b32 exec_lo, exec_lo, s8
	s_cbranch_execz .LBB16_1139
; %bb.1138:                             ;   in Loop: Header=BB16_3 Depth=1
	v_lshl_add_u64 v[20:21], v[12:13], 2, s[94:95]
	s_or_b32 s7, s7, exec_lo
	global_load_b32 v20, v[20:21], off
	s_wait_loadcnt 0x0
	v_div_scale_f32 v21, null, v20, v20, 1.0
	s_delay_alu instid0(VALU_DEP_1) | instskip(SKIP_1) | instid1(TRANS32_DEP_1)
	v_rcp_f32_e32 v22, v21
	v_nop
	v_fma_f32 v23, -v21, v22, 1.0
	s_delay_alu instid0(VALU_DEP_1) | instskip(SKIP_1) | instid1(VALU_DEP_1)
	v_fmac_f32_e32 v22, v23, v22
	v_div_scale_f32 v23, vcc_lo, 1.0, v20, 1.0
	v_mul_f32_e32 v24, v23, v22
	s_delay_alu instid0(VALU_DEP_1) | instskip(NEXT) | instid1(VALU_DEP_1)
	v_fma_f32 v25, -v21, v24, v23
	v_fmac_f32_e32 v24, v25, v22
	s_delay_alu instid0(VALU_DEP_1) | instskip(NEXT) | instid1(VALU_DEP_1)
	v_fma_f32 v21, -v21, v24, v23
	v_div_fmas_f32 v21, v21, v22, v24
	s_delay_alu instid0(VALU_DEP_1)
	v_div_fixup_f32 v20, v21, v20, 1.0
.LBB16_1139:                            ;   in Loop: Header=BB16_3 Depth=1
	s_or_b32 exec_lo, exec_lo, s8
	s_delay_alu instid0(SALU_CYCLE_1)
	s_and_b32 s7, s7, exec_lo
	s_and_not1_saveexec_b32 s8, s89
	s_cbranch_execz .LBB16_52
.LBB16_1140:                            ;   in Loop: Header=BB16_3 Depth=1
	v_lshl_add_u64 v[20:21], v[12:13], 2, s[94:95]
	s_or_b32 s7, s7, exec_lo
	global_load_b32 v20, v[20:21], off
	s_wait_loadcnt 0x0
	v_xor_b32_e32 v20, 0x80000000, v20
	s_or_b32 exec_lo, exec_lo, s8
	s_and_saveexec_b32 s8, s7
	s_cbranch_execnz .LBB16_53
	s_branch .LBB16_54
.LBB16_1141:                            ;   in Loop: Header=BB16_3 Depth=1
	s_or_b32 exec_lo, exec_lo, s95
	s_delay_alu instid0(SALU_CYCLE_1)
	s_and_b32 vcc_lo, exec_lo, s89
	s_cbranch_vccnz .LBB16_1105
.LBB16_1142:                            ;   in Loop: Header=BB16_3 Depth=1
	v_mov_b32_e32 v63, v21
	s_and_saveexec_b32 s7, s94
	s_cbranch_execnz .LBB16_1126
	s_branch .LBB16_1127
.LBB16_1143:                            ;   in Loop: Header=BB16_3 Depth=1
	s_and_not1_b32 s8, s94, exec_lo
	s_and_b32 s9, s5, exec_lo
	s_delay_alu instid0(SALU_CYCLE_1)
	s_or_b32 s94, s8, s9
	s_cbranch_execnz .LBB16_1125
.LBB16_1144:                            ;   in Loop: Header=BB16_3 Depth=1
	v_readlane_b32 s8, v70, 7
	s_and_not1_b32 s7, s94, exec_lo
	s_and_b32 s8, s8, exec_lo
	s_delay_alu instid0(SALU_CYCLE_1) | instskip(NEXT) | instid1(SALU_CYCLE_1)
	s_or_b32 s94, s7, s8
	s_and_saveexec_b32 s7, s94
	s_cbranch_execnz .LBB16_1126
	s_branch .LBB16_1127
.LBB16_1145:                            ;   in Loop: Header=BB16_3 Depth=1
	ds_load_b32 v21, v33 offset:15840
	ds_load_b32 v22, v32 offset:16372
	s_wait_dscnt 0x0
	v_fmac_f32_e32 v20, v21, v22
	s_or_b32 exec_lo, exec_lo, s7
	s_and_saveexec_b32 s7, s18
	s_cbranch_execz .LBB16_105
.LBB16_1146:                            ;   in Loop: Header=BB16_3 Depth=1
	ds_load_b32 v21, v33 offset:16096
	ds_load_b32 v22, v32 offset:16376
	s_wait_dscnt 0x0
	v_fmac_f32_e32 v20, v21, v22
	s_or_b32 exec_lo, exec_lo, s7
	s_and_saveexec_b32 s7, s0
	s_cbranch_execnz .LBB16_106
	s_branch .LBB16_107
.LBB16_1147:                            ;   in Loop: Header=BB16_3 Depth=1
	ds_load_b32 v21, v37 offset:14784
	ds_load_b32 v22, v36 offset:16356
	s_wait_dscnt 0x0
	v_fmac_f32_e32 v20, v21, v22
	s_or_b32 exec_lo, exec_lo, s7
	s_and_saveexec_b32 s7, s20
	s_cbranch_execz .LBB16_143
.LBB16_1148:                            ;   in Loop: Header=BB16_3 Depth=1
	ds_load_b32 v21, v37 offset:15040
	ds_load_b32 v22, v36 offset:16360
	s_wait_dscnt 0x0
	v_fmac_f32_e32 v20, v21, v22
	s_or_b32 exec_lo, exec_lo, s7
	s_and_saveexec_b32 s7, s21
	s_cbranch_execz .LBB16_144
.LBB16_1149:                            ;   in Loop: Header=BB16_3 Depth=1
	ds_load_b32 v21, v37 offset:15296
	ds_load_b32 v22, v36 offset:16364
	s_wait_dscnt 0x0
	v_fmac_f32_e32 v20, v21, v22
	s_or_b32 exec_lo, exec_lo, s7
	s_and_saveexec_b32 s7, s22
	s_cbranch_execz .LBB16_145
.LBB16_1150:                            ;   in Loop: Header=BB16_3 Depth=1
	ds_load_b32 v21, v37 offset:15552
	ds_load_b32 v22, v36 offset:16368
	s_wait_dscnt 0x0
	v_fmac_f32_e32 v20, v21, v22
	s_or_b32 exec_lo, exec_lo, s7
	s_and_saveexec_b32 s7, s23
	s_cbranch_execz .LBB16_146
.LBB16_1151:                            ;   in Loop: Header=BB16_3 Depth=1
	ds_load_b32 v21, v37 offset:15808
	ds_load_b32 v22, v36 offset:16372
	s_wait_dscnt 0x0
	v_fmac_f32_e32 v20, v21, v22
	s_or_b32 exec_lo, exec_lo, s7
	s_and_saveexec_b32 s7, s1
	s_cbranch_execz .LBB16_147
.LBB16_1152:                            ;   in Loop: Header=BB16_3 Depth=1
	ds_load_b32 v21, v37 offset:16064
	ds_load_b32 v22, v36 offset:16376
	s_wait_dscnt 0x0
	v_fmac_f32_e32 v20, v21, v22
	s_or_b32 exec_lo, exec_lo, s7
	s_and_saveexec_b32 s7, s18
	s_cbranch_execnz .LBB16_148
	s_branch .LBB16_149
.LBB16_1153:                            ;   in Loop: Header=BB16_3 Depth=1
	ds_load_b32 v21, v33 offset:13760
	ds_load_b32 v22, v32 offset:14292
	s_wait_dscnt 0x0
	v_fmac_f32_e32 v20, v21, v22
	s_or_b32 exec_lo, exec_lo, s7
	s_and_saveexec_b32 s7, s18
	s_cbranch_execz .LBB16_201
.LBB16_1154:                            ;   in Loop: Header=BB16_3 Depth=1
	ds_load_b32 v21, v33 offset:14016
	ds_load_b32 v22, v32 offset:14296
	s_wait_dscnt 0x0
	v_fmac_f32_e32 v20, v21, v22
	s_or_b32 exec_lo, exec_lo, s7
	s_and_saveexec_b32 s7, s0
	s_cbranch_execnz .LBB16_202
	s_branch .LBB16_203
.LBB16_1155:                            ;   in Loop: Header=BB16_3 Depth=1
	ds_load_b32 v21, v41 offset:15232
	ds_load_b32 v22, v40 offset:16364
	s_wait_dscnt 0x0
	v_fmac_f32_e32 v20, v21, v22
	s_or_b32 exec_lo, exec_lo, s7
	s_and_saveexec_b32 s7, s2
	s_cbranch_execz .LBB16_259
.LBB16_1156:                            ;   in Loop: Header=BB16_3 Depth=1
	ds_load_b32 v21, v41 offset:15488
	ds_load_b32 v22, v40 offset:16368
	s_wait_dscnt 0x0
	v_fmac_f32_e32 v20, v21, v22
	s_or_b32 exec_lo, exec_lo, s7
	s_and_saveexec_b32 s7, s20
	s_cbranch_execz .LBB16_260
.LBB16_1157:                            ;   in Loop: Header=BB16_3 Depth=1
	ds_load_b32 v21, v41 offset:15744
	ds_load_b32 v22, v40 offset:16372
	s_wait_dscnt 0x0
	v_fmac_f32_e32 v20, v21, v22
	s_or_b32 exec_lo, exec_lo, s7
	s_and_saveexec_b32 s7, s22
	s_cbranch_execz .LBB16_261
.LBB16_1158:                            ;   in Loop: Header=BB16_3 Depth=1
	ds_load_b32 v21, v41 offset:16000
	ds_load_b32 v22, v40 offset:16376
	s_wait_dscnt 0x0
	v_fmac_f32_e32 v20, v21, v22
	s_or_b32 exec_lo, exec_lo, s7
	s_and_saveexec_b32 s7, s1
	s_cbranch_execnz .LBB16_262
	s_branch .LBB16_263
.LBB16_1159:                            ;   in Loop: Header=BB16_3 Depth=1
	ds_load_b32 v21, v33 offset:11680
	ds_load_b32 v22, v32 offset:12212
	s_wait_dscnt 0x0
	v_fmac_f32_e32 v20, v21, v22
	s_or_b32 exec_lo, exec_lo, s7
	s_and_saveexec_b32 s7, s18
	s_cbranch_execz .LBB16_347
.LBB16_1160:                            ;   in Loop: Header=BB16_3 Depth=1
	ds_load_b32 v21, v33 offset:11936
	ds_load_b32 v22, v32 offset:12216
	s_wait_dscnt 0x0
	v_fmac_f32_e32 v20, v21, v22
	s_or_b32 exec_lo, exec_lo, s7
	s_and_saveexec_b32 s7, s0
	s_cbranch_execnz .LBB16_348
	s_branch .LBB16_349
.LBB16_1161:                            ;   in Loop: Header=BB16_3 Depth=1
	ds_load_b32 v21, v37 offset:10624
	ds_load_b32 v22, v36 offset:12196
	s_wait_dscnt 0x0
	v_fmac_f32_e32 v20, v21, v22
	s_or_b32 exec_lo, exec_lo, s7
	s_and_saveexec_b32 s7, s20
	s_cbranch_execz .LBB16_385
.LBB16_1162:                            ;   in Loop: Header=BB16_3 Depth=1
	ds_load_b32 v21, v37 offset:10880
	ds_load_b32 v22, v36 offset:12200
	s_wait_dscnt 0x0
	v_fmac_f32_e32 v20, v21, v22
	s_or_b32 exec_lo, exec_lo, s7
	s_and_saveexec_b32 s7, s21
	s_cbranch_execz .LBB16_386
.LBB16_1163:                            ;   in Loop: Header=BB16_3 Depth=1
	ds_load_b32 v21, v37 offset:11136
	ds_load_b32 v22, v36 offset:12204
	s_wait_dscnt 0x0
	v_fmac_f32_e32 v20, v21, v22
	s_or_b32 exec_lo, exec_lo, s7
	s_and_saveexec_b32 s7, s22
	s_cbranch_execz .LBB16_387
.LBB16_1164:                            ;   in Loop: Header=BB16_3 Depth=1
	ds_load_b32 v21, v37 offset:11392
	ds_load_b32 v22, v36 offset:12208
	s_wait_dscnt 0x0
	v_fmac_f32_e32 v20, v21, v22
	s_or_b32 exec_lo, exec_lo, s7
	s_and_saveexec_b32 s7, s23
	s_cbranch_execz .LBB16_388
.LBB16_1165:                            ;   in Loop: Header=BB16_3 Depth=1
	ds_load_b32 v21, v37 offset:11648
	ds_load_b32 v22, v36 offset:12212
	s_wait_dscnt 0x0
	v_fmac_f32_e32 v20, v21, v22
	s_or_b32 exec_lo, exec_lo, s7
	s_and_saveexec_b32 s7, s1
	s_cbranch_execz .LBB16_389
.LBB16_1166:                            ;   in Loop: Header=BB16_3 Depth=1
	ds_load_b32 v21, v37 offset:11904
	ds_load_b32 v22, v36 offset:12216
	s_wait_dscnt 0x0
	v_fmac_f32_e32 v20, v21, v22
	s_or_b32 exec_lo, exec_lo, s7
	s_and_saveexec_b32 s7, s18
	s_cbranch_execnz .LBB16_390
	s_branch .LBB16_391
.LBB16_1167:                            ;   in Loop: Header=BB16_3 Depth=1
	ds_load_b32 v21, v33 offset:9600
	ds_load_b32 v22, v32 offset:10132
	s_wait_dscnt 0x0
	v_fmac_f32_e32 v20, v21, v22
	s_or_b32 exec_lo, exec_lo, s7
	s_and_saveexec_b32 s7, s18
	s_cbranch_execz .LBB16_443
.LBB16_1168:                            ;   in Loop: Header=BB16_3 Depth=1
	ds_load_b32 v21, v33 offset:9856
	ds_load_b32 v22, v32 offset:10136
	s_wait_dscnt 0x0
	v_fmac_f32_e32 v20, v21, v22
	s_or_b32 exec_lo, exec_lo, s7
	s_and_saveexec_b32 s7, s0
	s_cbranch_execnz .LBB16_444
	s_branch .LBB16_445
.LBB16_1169:                            ;   in Loop: Header=BB16_3 Depth=1
	ds_load_b32 v21, v45 offset:15616
	ds_load_b32 v22, v44 offset:16372
	s_wait_dscnt 0x0
	v_fmac_f32_e32 v20, v21, v22
	s_or_b32 exec_lo, exec_lo, s7
	s_and_saveexec_b32 s7, s2
	s_cbranch_execz .LBB16_537
.LBB16_1170:                            ;   in Loop: Header=BB16_3 Depth=1
	ds_load_b32 v21, v45 offset:15872
	ds_load_b32 v22, v44 offset:16376
	s_wait_dscnt 0x0
	v_fmac_f32_e32 v20, v21, v22
	s_or_b32 exec_lo, exec_lo, s7
	s_and_saveexec_b32 s7, s22
	s_cbranch_execnz .LBB16_538
	s_branch .LBB16_539
.LBB16_1171:                            ;   in Loop: Header=BB16_3 Depth=1
	ds_load_b32 v21, v33 offset:7520
	ds_load_b32 v22, v32 offset:8052
	s_wait_dscnt 0x0
	v_fmac_f32_e32 v20, v21, v22
	s_or_b32 exec_lo, exec_lo, s7
	s_and_saveexec_b32 s7, s18
	s_cbranch_execz .LBB16_687
.LBB16_1172:                            ;   in Loop: Header=BB16_3 Depth=1
	ds_load_b32 v21, v33 offset:7776
	ds_load_b32 v22, v32 offset:8056
	s_wait_dscnt 0x0
	v_fmac_f32_e32 v20, v21, v22
	s_or_b32 exec_lo, exec_lo, s7
	s_and_saveexec_b32 s7, s0
	s_cbranch_execnz .LBB16_688
	s_branch .LBB16_689
.LBB16_1173:                            ;   in Loop: Header=BB16_3 Depth=1
	ds_load_b32 v21, v37 offset:6464
	ds_load_b32 v22, v36 offset:8036
	s_wait_dscnt 0x0
	v_fmac_f32_e32 v20, v21, v22
	s_or_b32 exec_lo, exec_lo, s7
	s_and_saveexec_b32 s7, s20
	s_cbranch_execz .LBB16_725
.LBB16_1174:                            ;   in Loop: Header=BB16_3 Depth=1
	ds_load_b32 v21, v37 offset:6720
	ds_load_b32 v22, v36 offset:8040
	s_wait_dscnt 0x0
	v_fmac_f32_e32 v20, v21, v22
	s_or_b32 exec_lo, exec_lo, s7
	s_and_saveexec_b32 s7, s21
	s_cbranch_execz .LBB16_726
.LBB16_1175:                            ;   in Loop: Header=BB16_3 Depth=1
	ds_load_b32 v21, v37 offset:6976
	ds_load_b32 v22, v36 offset:8044
	s_wait_dscnt 0x0
	v_fmac_f32_e32 v20, v21, v22
	s_or_b32 exec_lo, exec_lo, s7
	s_and_saveexec_b32 s7, s22
	s_cbranch_execz .LBB16_727
.LBB16_1176:                            ;   in Loop: Header=BB16_3 Depth=1
	ds_load_b32 v21, v37 offset:7232
	ds_load_b32 v22, v36 offset:8048
	s_wait_dscnt 0x0
	v_fmac_f32_e32 v20, v21, v22
	s_or_b32 exec_lo, exec_lo, s7
	s_and_saveexec_b32 s7, s23
	s_cbranch_execz .LBB16_728
.LBB16_1177:                            ;   in Loop: Header=BB16_3 Depth=1
	ds_load_b32 v21, v37 offset:7488
	ds_load_b32 v22, v36 offset:8052
	s_wait_dscnt 0x0
	v_fmac_f32_e32 v20, v21, v22
	s_or_b32 exec_lo, exec_lo, s7
	s_and_saveexec_b32 s7, s1
	s_cbranch_execz .LBB16_729
.LBB16_1178:                            ;   in Loop: Header=BB16_3 Depth=1
	ds_load_b32 v21, v37 offset:7744
	ds_load_b32 v22, v36 offset:8056
	s_wait_dscnt 0x0
	v_fmac_f32_e32 v20, v21, v22
	s_or_b32 exec_lo, exec_lo, s7
	s_and_saveexec_b32 s7, s18
	s_cbranch_execnz .LBB16_730
	s_branch .LBB16_731
.LBB16_1179:                            ;   in Loop: Header=BB16_3 Depth=1
	ds_load_b32 v21, v33 offset:5440
	ds_load_b32 v22, v32 offset:5972
	s_wait_dscnt 0x0
	v_fmac_f32_e32 v20, v21, v22
	s_or_b32 exec_lo, exec_lo, s7
	s_and_saveexec_b32 s7, s18
	s_cbranch_execz .LBB16_783
.LBB16_1180:                            ;   in Loop: Header=BB16_3 Depth=1
	ds_load_b32 v21, v33 offset:5696
	ds_load_b32 v22, v32 offset:5976
	s_wait_dscnt 0x0
	v_fmac_f32_e32 v20, v21, v22
	s_or_b32 exec_lo, exec_lo, s7
	s_and_saveexec_b32 s7, s0
	s_cbranch_execnz .LBB16_784
	s_branch .LBB16_785
.LBB16_1181:                            ;   in Loop: Header=BB16_3 Depth=1
	ds_load_b32 v21, v41 offset:6912
	ds_load_b32 v22, v40 offset:8044
	s_wait_dscnt 0x0
	v_fmac_f32_e32 v20, v21, v22
	s_or_b32 exec_lo, exec_lo, s7
	s_and_saveexec_b32 s7, s2
	s_cbranch_execz .LBB16_841
.LBB16_1182:                            ;   in Loop: Header=BB16_3 Depth=1
	ds_load_b32 v21, v41 offset:7168
	ds_load_b32 v22, v40 offset:8048
	s_wait_dscnt 0x0
	v_fmac_f32_e32 v20, v21, v22
	s_or_b32 exec_lo, exec_lo, s7
	s_and_saveexec_b32 s7, s20
	s_cbranch_execz .LBB16_842
.LBB16_1183:                            ;   in Loop: Header=BB16_3 Depth=1
	ds_load_b32 v21, v41 offset:7424
	ds_load_b32 v22, v40 offset:8052
	s_wait_dscnt 0x0
	v_fmac_f32_e32 v20, v21, v22
	s_or_b32 exec_lo, exec_lo, s7
	s_and_saveexec_b32 s7, s22
	s_cbranch_execz .LBB16_843
.LBB16_1184:                            ;   in Loop: Header=BB16_3 Depth=1
	ds_load_b32 v21, v41 offset:7680
	ds_load_b32 v22, v40 offset:8056
	s_wait_dscnt 0x0
	v_fmac_f32_e32 v20, v21, v22
	s_or_b32 exec_lo, exec_lo, s7
	s_and_saveexec_b32 s7, s1
	s_cbranch_execnz .LBB16_844
	s_branch .LBB16_845
.LBB16_1185:                            ;   in Loop: Header=BB16_3 Depth=1
	ds_load_b32 v21, v33 offset:3360
	ds_load_b32 v22, v32 offset:3892
	s_wait_dscnt 0x0
	v_fmac_f32_e32 v20, v21, v22
	s_or_b32 exec_lo, exec_lo, s7
	s_and_saveexec_b32 s7, s18
	s_cbranch_execz .LBB16_929
.LBB16_1186:                            ;   in Loop: Header=BB16_3 Depth=1
	ds_load_b32 v21, v33 offset:3616
	ds_load_b32 v22, v32 offset:3896
	s_wait_dscnt 0x0
	v_fmac_f32_e32 v20, v21, v22
	s_or_b32 exec_lo, exec_lo, s7
	s_and_saveexec_b32 s7, s0
	s_cbranch_execnz .LBB16_930
	s_branch .LBB16_931
.LBB16_1187:                            ;   in Loop: Header=BB16_3 Depth=1
	ds_load_b32 v21, v37 offset:2304
	ds_load_b32 v22, v36 offset:3876
	s_wait_dscnt 0x0
	v_fmac_f32_e32 v20, v21, v22
	s_or_b32 exec_lo, exec_lo, s7
	s_and_saveexec_b32 s7, s20
	s_cbranch_execz .LBB16_967
.LBB16_1188:                            ;   in Loop: Header=BB16_3 Depth=1
	ds_load_b32 v21, v37 offset:2560
	ds_load_b32 v22, v36 offset:3880
	s_wait_dscnt 0x0
	v_fmac_f32_e32 v20, v21, v22
	s_or_b32 exec_lo, exec_lo, s7
	s_and_saveexec_b32 s7, s21
	s_cbranch_execz .LBB16_968
.LBB16_1189:                            ;   in Loop: Header=BB16_3 Depth=1
	ds_load_b32 v21, v37 offset:2816
	ds_load_b32 v22, v36 offset:3884
	s_wait_dscnt 0x0
	v_fmac_f32_e32 v20, v21, v22
	s_or_b32 exec_lo, exec_lo, s7
	s_and_saveexec_b32 s7, s22
	s_cbranch_execz .LBB16_969
.LBB16_1190:                            ;   in Loop: Header=BB16_3 Depth=1
	ds_load_b32 v21, v37 offset:3072
	ds_load_b32 v22, v36 offset:3888
	s_wait_dscnt 0x0
	v_fmac_f32_e32 v20, v21, v22
	s_or_b32 exec_lo, exec_lo, s7
	s_and_saveexec_b32 s7, s23
	s_cbranch_execz .LBB16_970
.LBB16_1191:                            ;   in Loop: Header=BB16_3 Depth=1
	ds_load_b32 v21, v37 offset:3328
	ds_load_b32 v22, v36 offset:3892
	s_wait_dscnt 0x0
	v_fmac_f32_e32 v20, v21, v22
	s_or_b32 exec_lo, exec_lo, s7
	s_and_saveexec_b32 s7, s1
	s_cbranch_execz .LBB16_971
.LBB16_1192:                            ;   in Loop: Header=BB16_3 Depth=1
	ds_load_b32 v21, v37 offset:3584
	ds_load_b32 v22, v36 offset:3896
	s_wait_dscnt 0x0
	v_fmac_f32_e32 v20, v21, v22
	s_or_b32 exec_lo, exec_lo, s7
	s_and_saveexec_b32 s7, s18
	s_cbranch_execnz .LBB16_972
	s_branch .LBB16_973
.LBB16_1193:                            ;   in Loop: Header=BB16_3 Depth=1
	ds_load_b32 v21, v33 offset:1280
	ds_load_b32 v22, v32 offset:1812
	s_wait_dscnt 0x0
	v_fmac_f32_e32 v20, v21, v22
	s_or_b32 exec_lo, exec_lo, s7
	s_and_saveexec_b32 s7, s18
	s_cbranch_execz .LBB16_1025
.LBB16_1194:                            ;   in Loop: Header=BB16_3 Depth=1
	ds_load_b32 v21, v33 offset:1536
	ds_load_b32 v22, v32 offset:1816
	s_wait_dscnt 0x0
	v_fmac_f32_e32 v20, v21, v22
	s_or_b32 exec_lo, exec_lo, s7
	s_and_saveexec_b32 s7, s0
	s_cbranch_execnz .LBB16_1026
	s_branch .LBB16_1027
.LBB16_1195:
	s_endpgm
	.section	.rodata,"a",@progbits
	.p2align	6, 0x0
	.amdhsa_kernel _ZL19rocblas_trsv_deviceILi64ELi16ELb0ELb0ELb0ELb0EffPKfPfEviT7_lllT6_T8_lllPii
		.amdhsa_group_segment_fixed_size 20740
		.amdhsa_private_segment_fixed_size 0
		.amdhsa_kernarg_size 352
		.amdhsa_user_sgpr_count 2
		.amdhsa_user_sgpr_dispatch_ptr 0
		.amdhsa_user_sgpr_queue_ptr 0
		.amdhsa_user_sgpr_kernarg_segment_ptr 1
		.amdhsa_user_sgpr_dispatch_id 0
		.amdhsa_user_sgpr_kernarg_preload_length 0
		.amdhsa_user_sgpr_kernarg_preload_offset 0
		.amdhsa_user_sgpr_private_segment_size 0
		.amdhsa_wavefront_size32 1
		.amdhsa_uses_dynamic_stack 0
		.amdhsa_enable_private_segment 0
		.amdhsa_system_sgpr_workgroup_id_x 1
		.amdhsa_system_sgpr_workgroup_id_y 0
		.amdhsa_system_sgpr_workgroup_id_z 1
		.amdhsa_system_sgpr_workgroup_info 0
		.amdhsa_system_vgpr_workitem_id 1
		.amdhsa_next_free_vgpr 73
		.amdhsa_next_free_sgpr 105
		.amdhsa_named_barrier_count 0
		.amdhsa_reserve_vcc 1
		.amdhsa_float_round_mode_32 0
		.amdhsa_float_round_mode_16_64 0
		.amdhsa_float_denorm_mode_32 3
		.amdhsa_float_denorm_mode_16_64 3
		.amdhsa_fp16_overflow 0
		.amdhsa_memory_ordered 1
		.amdhsa_forward_progress 1
		.amdhsa_inst_pref_size 255
		.amdhsa_round_robin_scheduling 0
		.amdhsa_exception_fp_ieee_invalid_op 0
		.amdhsa_exception_fp_denorm_src 0
		.amdhsa_exception_fp_ieee_div_zero 0
		.amdhsa_exception_fp_ieee_overflow 0
		.amdhsa_exception_fp_ieee_underflow 0
		.amdhsa_exception_fp_ieee_inexact 0
		.amdhsa_exception_int_div_zero 0
	.end_amdhsa_kernel
	.section	.text._ZL19rocblas_trsv_deviceILi64ELi16ELb0ELb0ELb0ELb0EffPKfPfEviT7_lllT6_T8_lllPii,"axG",@progbits,_ZL19rocblas_trsv_deviceILi64ELi16ELb0ELb0ELb0ELb0EffPKfPfEviT7_lllT6_T8_lllPii,comdat
.Lfunc_end16:
	.size	_ZL19rocblas_trsv_deviceILi64ELi16ELb0ELb0ELb0ELb0EffPKfPfEviT7_lllT6_T8_lllPii, .Lfunc_end16-_ZL19rocblas_trsv_deviceILi64ELi16ELb0ELb0ELb0ELb0EffPKfPfEviT7_lllT6_T8_lllPii
                                        ; -- End function
	.set _ZL19rocblas_trsv_deviceILi64ELi16ELb0ELb0ELb0ELb0EffPKfPfEviT7_lllT6_T8_lllPii.num_vgpr, 73
	.set _ZL19rocblas_trsv_deviceILi64ELi16ELb0ELb0ELb0ELb0EffPKfPfEviT7_lllT6_T8_lllPii.num_agpr, 0
	.set _ZL19rocblas_trsv_deviceILi64ELi16ELb0ELb0ELb0ELb0EffPKfPfEviT7_lllT6_T8_lllPii.numbered_sgpr, 105
	.set _ZL19rocblas_trsv_deviceILi64ELi16ELb0ELb0ELb0ELb0EffPKfPfEviT7_lllT6_T8_lllPii.num_named_barrier, 0
	.set _ZL19rocblas_trsv_deviceILi64ELi16ELb0ELb0ELb0ELb0EffPKfPfEviT7_lllT6_T8_lllPii.private_seg_size, 0
	.set _ZL19rocblas_trsv_deviceILi64ELi16ELb0ELb0ELb0ELb0EffPKfPfEviT7_lllT6_T8_lllPii.uses_vcc, 1
	.set _ZL19rocblas_trsv_deviceILi64ELi16ELb0ELb0ELb0ELb0EffPKfPfEviT7_lllT6_T8_lllPii.uses_flat_scratch, 0
	.set _ZL19rocblas_trsv_deviceILi64ELi16ELb0ELb0ELb0ELb0EffPKfPfEviT7_lllT6_T8_lllPii.has_dyn_sized_stack, 0
	.set _ZL19rocblas_trsv_deviceILi64ELi16ELb0ELb0ELb0ELb0EffPKfPfEviT7_lllT6_T8_lllPii.has_recursion, 0
	.set _ZL19rocblas_trsv_deviceILi64ELi16ELb0ELb0ELb0ELb0EffPKfPfEviT7_lllT6_T8_lllPii.has_indirect_call, 0
	.section	.AMDGPU.csdata,"",@progbits
; Kernel info:
; codeLenInByte = 38204
; TotalNumSgprs: 107
; NumVgprs: 73
; ScratchSize: 0
; MemoryBound: 0
; FloatMode: 240
; IeeeMode: 1
; LDSByteSize: 20740 bytes/workgroup (compile time only)
; SGPRBlocks: 0
; VGPRBlocks: 4
; NumSGPRsForWavesPerEU: 107
; NumVGPRsForWavesPerEU: 73
; NamedBarCnt: 0
; Occupancy: 12
; WaveLimiterHint : 0
; COMPUTE_PGM_RSRC2:SCRATCH_EN: 0
; COMPUTE_PGM_RSRC2:USER_SGPR: 2
; COMPUTE_PGM_RSRC2:TRAP_HANDLER: 0
; COMPUTE_PGM_RSRC2:TGID_X_EN: 1
; COMPUTE_PGM_RSRC2:TGID_Y_EN: 0
; COMPUTE_PGM_RSRC2:TGID_Z_EN: 1
; COMPUTE_PGM_RSRC2:TIDIG_COMP_CNT: 1
	.section	.text._ZL19rocblas_trsv_deviceILi64ELi16ELb0ELb1ELb0ELb0EffPKfPfEviT7_lllT6_T8_lllPii,"axG",@progbits,_ZL19rocblas_trsv_deviceILi64ELi16ELb0ELb1ELb0ELb0EffPKfPfEviT7_lllT6_T8_lllPii,comdat
	.globl	_ZL19rocblas_trsv_deviceILi64ELi16ELb0ELb1ELb0ELb0EffPKfPfEviT7_lllT6_T8_lllPii ; -- Begin function _ZL19rocblas_trsv_deviceILi64ELi16ELb0ELb1ELb0ELb0EffPKfPfEviT7_lllT6_T8_lllPii
	.p2align	8
	.type	_ZL19rocblas_trsv_deviceILi64ELi16ELb0ELb1ELb0ELb0EffPKfPfEviT7_lllT6_T8_lllPii,@function
_ZL19rocblas_trsv_deviceILi64ELi16ELb0ELb1ELb0ELb0EffPKfPfEviT7_lllT6_T8_lllPii: ; @_ZL19rocblas_trsv_deviceILi64ELi16ELb0ELb1ELb0ELb0EffPKfPfEviT7_lllT6_T8_lllPii
; %bb.0:
	s_load_b32 s84, s[0:1], 0x58
	s_bfe_u32 s2, ttmp6, 0x40014
	s_lshr_b32 s3, ttmp7, 16
	s_add_co_i32 s2, s2, 1
	s_bfe_u32 s5, ttmp6, 0x40008
	s_mul_i32 s4, s3, s2
	s_getreg_b32 s2, hwreg(HW_REG_IB_STS2, 6, 4)
	s_add_co_i32 s5, s5, s4
	s_cmp_eq_u32 s2, 0
	s_mov_b32 s77, 0
	s_cselect_b32 s76, s3, s5
	s_wait_kmcnt 0x0
	s_cmp_ge_u32 s76, s84
	s_cbranch_scc1 .LBB17_1257
; %bb.1:
	s_clause 0x5
	s_load_b256 s[60:67], s[0:1], 0x8
	s_load_b256 s[68:75], s[0:1], 0x30
	s_load_b32 s3, s[0:1], 0x6c
	s_load_b32 s85, s[0:1], 0x0
	s_load_b64 s[78:79], s[0:1], 0x50
	s_load_b32 s4, s[0:1], 0x28
                                        ; kill: killed $sgpr0_sgpr1
	s_wait_xcnt 0x0
	s_bfe_u32 s1, ttmp6, 0x4000c
	s_and_b32 s0, ttmp6, 15
	s_add_co_i32 s1, s1, 1
                                        ; implicit-def: $vgpr87 : SGPR spill to VGPR lane
	v_bfe_u32 v28, v0, 10, 10
	s_mul_i32 s1, ttmp9, s1
	v_and_b32_e32 v4, 0x3ff, v0
	s_add_co_i32 s6, s0, s1
	v_mov_b32_e32 v3, 0
                                        ; implicit-def: $vgpr86 : SGPR spill to VGPR lane
                                        ; implicit-def: $vgpr85 : SGPR spill to VGPR lane
                                        ; implicit-def: $vgpr84 : SGPR spill to VGPR lane
                                        ; implicit-def: $vgpr76
                                        ; implicit-def: $vgpr77
	v_and_b32_e32 v14, 1, v0
	v_lshlrev_b32_e32 v72, 2, v28
	v_lshlrev_b32_e32 v1, 6, v4
	v_lshl_add_u32 v24, v28, 6, v4
	s_delay_alu instid0(VALU_DEP_4)
	v_dual_mov_b32 v5, v3 :: v_dual_lshlrev_b32 v31, 2, v14
	v_lshlrev_b32_e32 v32, 2, v4
	s_wait_kmcnt 0x0
	s_lshl_b64 s[0:1], s[62:63], 2
	v_add_nc_u32_e32 v2, v28, v1
	s_add_nc_u64 s[0:1], s[60:61], s[0:1]
	v_cmp_gt_u32_e64 s59, 0xf0, v24
	v_writelane_b32 v87, s4, 0
	s_lshl_b64 s[4:5], s[70:71], 2
	s_cmp_eq_u32 s2, 0
	s_add_nc_u64 s[4:5], s[68:69], s[4:5]
	s_cselect_b32 s87, ttmp9, s6
	s_and_b32 s2, s3, 0xffff
	s_add_co_i32 s3, s85, -1
	s_ashr_i32 s6, s85, 31
	s_ashr_i32 s7, s3, 31
	s_lshr_b32 s6, s6, 26
	s_lshr_b32 s7, s7, 26
	s_add_co_i32 s6, s85, s6
	s_add_co_i32 s3, s3, s7
	s_and_not1_b32 s6, s6, 63
	v_writelane_b32 v87, s0, 1
	s_ashr_i32 s3, s3, 6
	s_sub_co_i32 s15, s85, s6
	s_cmp_eq_u32 s3, s87
	v_mad_u32_u24 v6, v28, s2, v4
	v_writelane_b32 v87, s1, 2
	s_cselect_b32 s0, -1, 0
	s_cmp_lg_u32 s15, 0
	v_sub_co_u32 v29, s2, s87, 1
	s_cselect_b32 s1, -1, 0
	s_lshl_b32 s10, s87, 6
	s_delay_alu instid0(SALU_CYCLE_1)
	v_dual_mov_b32 v7, v3 :: v_dual_add_nc_u32 v18, s10, v28
	s_and_b32 s16, s1, s0
	v_add_nc_u32_e32 v16, s10, v4
	s_xor_b32 s88, s2, -1
	s_xor_b32 s89, s16, -1
	s_cmp_lt_i32 s87, 5
	v_subrev_nc_u32_e32 v8, 64, v18
	v_ashrrev_i32_e32 v17, 31, v16
	s_cselect_b32 vcc_lo, -1, 0
	v_dual_cndmask_b32 v68, v24, v2 :: v_dual_add_nc_u32 v25, 16, v28
	s_add_nc_u64 s[0:1], s[64:65], 1
	v_ashrrev_i32_e32 v9, 31, v8
	v_mad_nc_u64_u32 v[22:23], s0, s10, v[4:5]
	s_delay_alu instid0(VALU_DEP_3)
	v_add_nc_u32_e32 v5, v25, v1
	v_lshl_add_u32 v12, v25, 6, v4
	s_or_b32 vcc_lo, vcc_lo, s16
	v_lshrrev_b32_e32 v13, 1, v24
	v_cmp_eq_u32_e64 s2, 1, v14
	v_cmp_eq_u32_e64 s3, 0, v14
	v_cndmask_b32_e32 v27, v12, v5, vcc_lo
	s_ashr_i32 s11, s10, 31
	v_lshlrev_b32_e32 v2, 8, v13
	v_lshl_add_u32 v5, v13, 2, 0x4000
	v_lshlrev_b32_e32 v13, 6, v24
	s_mul_i32 s0, s0, s11
	s_mul_i32 s1, s1, s10
	v_sub_nc_u32_e32 v33, v31, v2
	v_writelane_b32 v87, s4, 3
	v_and_b32_e32 v13, 0xffffff00, v13
	v_and_b32_e32 v14, 3, v0
	v_add3_u32 v23, s0, s1, v23
	v_dual_lshrrev_b32 v12, 10, v0 :: v_dual_sub_nc_u32 v30, 0, v2
	v_cmp_gt_u32_e64 s0, 4, v24
	v_dual_sub_nc_u32 v36, 0, v13 :: v_dual_bitop2_b32 v2, -4, v24 bitop3:0x40
	v_dual_lshlrev_b32 v37, 2, v14 :: v_dual_add_nc_u32 v74, 32, v28
	v_writelane_b32 v87, s5, 4
	v_cmp_eq_u32_e64 s1, 0, v28
	v_cmp_gt_u32_e64 s4, 2, v4
	s_and_b32 s91, s2, s0
	s_and_b32 s92, s3, s0
	v_cmp_gt_u32_e64 s2, 16, v24
	v_dual_add_nc_u32 v75, 48, v28 :: v_dual_add_nc_u32 v20, v74, v1
	v_lshl_add_u32 v21, v74, 6, v4
	v_add_nc_u32_e32 v35, 0x4000, v2
	v_dual_lshrrev_b32 v2, 3, v24 :: v_dual_sub_nc_u32 v41, v37, v13
	v_cmp_eq_u32_e64 s3, 3, v14
	s_and_b32 s93, s1, s4
	v_cmp_ne_u32_e64 s4, 3, v14
	v_cmp_eq_u32_e64 s5, 2, v14
	v_cmp_gt_u32_e64 s6, 2, v14
	s_and_b32 s94, s3, s2
	v_cmp_eq_u32_e64 s3, 1, v14
	s_and_b32 s95, s4, s2
	v_cmp_eq_u32_e64 s4, 0, v14
	v_dual_lshlrev_b32 v13, 8, v2 :: v_dual_bitop2_b32 v14, 7, v0 bitop3:0x40
	s_and_b32 s98, s3, s2
	v_cmp_gt_u32_e64 s3, 4, v4
	s_and_b32 s96, s5, s2
	s_and_b32 s99, s4, s2
	v_cmp_eq_u32_e64 s4, 7, v14
	v_cmp_ne_u32_e64 s5, 7, v14
	s_and_b32 s100, s1, s3
	v_cmp_gt_u32_e64 s3, 64, v24
	s_and_b32 s97, s6, s2
	v_cmp_eq_u32_e64 s6, 6, v14
	v_lshl_add_u32 v43, v2, 2, 0x4000
	v_dual_sub_nc_u32 v44, 0, v13 :: v_dual_lshlrev_b32 v45, 2, v14
	s_and_b32 s101, s4, s3
	v_cmp_gt_u32_e64 s4, 6, v14
	s_and_b32 s102, s5, s3
	v_cmp_eq_u32_e64 s5, 5, v14
	s_and_b32 s103, s6, s3
	v_cmp_gt_u32_e64 s6, 5, v14
	s_and_b32 s104, s4, s3
	v_cmp_eq_u32_e64 s4, 4, v14
	s_and_b32 vcc_hi, s5, s3
	v_cmp_eq_u32_e64 s5, 3, v14
	v_cmp_gt_u32_e64 s7, 4, v14
	v_dual_lshrrev_b32 v2, 4, v24 :: v_dual_sub_nc_u32 v48, v45, v13
	s_and_b32 s37, s4, s3
	v_cmp_gt_u32_e64 s4, 3, v14
	s_and_b32 s39, s5, s3
	v_cmp_gt_u32_e64 s5, 2, v14
	s_and_b32 s36, s6, s3
	s_and_b32 s38, s7, s3
	v_cmp_eq_u32_e64 s6, 2, v14
	v_cmp_eq_u32_e64 s7, 1, v14
	s_and_b32 s40, s4, s3
	v_cmp_eq_u32_e64 s4, 0, v14
	s_and_b32 s42, s5, s3
	v_cmp_gt_u32_e64 s5, 8, v4
	v_dual_lshlrev_b32 v13, 8, v2 :: v_dual_bitop2_b32 v14, 15, v0 bitop3:0x40
	s_and_b32 s44, s4, s3
	v_cmp_gt_u32_e64 s4, 0x100, v24
	s_and_b32 s45, s1, s5
	s_and_b32 s41, s6, s3
	v_cmp_eq_u32_e64 s5, 15, v14
	v_cmp_ne_u32_e64 s6, 15, v14
	s_and_b32 s43, s7, s3
	v_cmp_eq_u32_e64 s7, 14, v14
	v_cmp_gt_u32_e64 s8, 14, v14
	s_and_b32 s46, s5, s4
	v_cmp_eq_u32_e64 s5, 13, v14
	s_and_b32 s47, s6, s4
	v_cmp_gt_u32_e64 s6, 13, v14
	s_and_b32 s48, s7, s4
	s_and_b32 s49, s8, s4
	;; [unrolled: 1-line block ×3, first 2 shown]
	v_cmp_gt_u32_e64 s5, 12, v14
	s_and_b32 s51, s6, s4
	v_cmp_gt_u32_e64 s6, 11, v14
	v_cmp_eq_u32_e64 s7, 12, v14
	v_cmp_eq_u32_e64 s8, 11, v14
	s_and_b32 s53, s5, s4
	v_cmp_eq_u32_e64 s5, 10, v14
	s_and_b32 s55, s6, s4
	;; [unrolled: 2-line block ×3, first 2 shown]
	s_and_b32 s54, s8, s4
	s_and_b32 s56, s5, s4
	v_cmp_eq_u32_e64 s5, 8, v14
	s_and_b32 s58, s6, s4
	v_cmp_gt_u32_e64 s6, 8, v14
	v_cmp_gt_u32_e64 s7, 10, v14
	;; [unrolled: 1-line block ×3, first 2 shown]
	s_and_b32 s62, s5, s4
	v_cmp_gt_u32_e64 s5, 7, v14
	s_and_b32 s63, s6, s4
	v_cmp_gt_u32_e64 s6, 6, v14
	s_and_b32 s57, s7, s4
	s_and_b32 s61, s8, s4
	;; [unrolled: 1-line block ×3, first 2 shown]
	v_cmp_eq_u32_e64 s5, 5, v14
	v_cmp_eq_u32_e64 s7, 7, v14
	v_cmp_eq_u32_e64 s8, 6, v14
	s_and_b32 s86, s6, s4
	v_cmp_eq_u32_e64 s6, 4, v14
	s_and_b32 s24, s5, s4
	v_cmp_eq_u32_e64 s5, 3, v14
	v_dual_sub_nc_u32 v51, 0, v13 :: v_dual_lshlrev_b32 v52, 2, v14
	s_and_b32 s12, s7, s4
	s_and_b32 s14, s8, s4
	v_cmp_gt_u32_e64 s7, 5, v14
	v_cmp_gt_u32_e64 s8, 4, v14
	s_and_b32 s28, s6, s4
	v_cmp_gt_u32_e64 s6, 3, v14
	s_and_b32 s33, s5, s4
	v_cmp_gt_u32_e64 s5, 2, v14
	v_dual_lshrrev_b32 v19, 5, v24 :: v_dual_add_nc_u32 v1, v75, v1
	v_lshl_add_u32 v53, v75, 6, v4
	v_and_b32_e32 v61, 31, v0
	s_xor_b32 s90, vcc_lo, -1
	s_and_b32 s26, s7, s4
	s_and_b32 s30, s8, s4
	v_cmp_eq_u32_e64 s7, 2, v14
	v_cmp_eq_u32_e64 s8, 1, v14
	s_and_b32 s35, s6, s4
	v_cmp_eq_u32_e64 s6, 0, v14
	s_and_b32 s27, s5, s4
	v_add_nc_u64_e32 v[14:15], s[10:11], v[6:7]
	v_sub_nc_u32_e32 v7, v52, v13
	v_cmp_gt_u32_e64 s5, 0x400, v24
	v_cndmask_b32_e32 v70, v21, v20, vcc_lo
	v_dual_cndmask_b32 v71, v53, v1, vcc_lo :: v_dual_lshlrev_b32 v1, 8, v19
	v_cmp_eq_u32_e32 vcc_lo, 31, v61
	s_and_b32 s25, s7, s4
	v_cmp_gt_u32_e64 s7, 16, v4
	s_and_b32 s11, s6, s4
	v_cmp_ne_u32_e64 s6, 31, v61
	s_and_b32 s9, vcc_lo, s5
	s_and_b32 s29, s8, s4
	v_writelane_b32 v87, s9, 5
	s_and_b32 s31, s1, s7
	v_cmp_eq_u32_e64 s7, 30, v61
	s_and_b32 s6, s6, s5
	v_cmp_gt_u32_e64 s8, 30, v61
	v_writelane_b32 v87, s6, 6
	v_cmp_eq_u32_e32 vcc_lo, 29, v61
	s_and_b32 s6, s7, s5
	v_lshl_add_u32 v50, v2, 2, 0x4000
	v_add_nc_u32_e32 v2, s10, v6
	v_writelane_b32 v87, s6, 7
	s_and_b32 s6, s8, s5
	s_and_b32 s10, vcc_lo, s5
	v_cmp_eq_u32_e64 s7, 28, v61
	v_cmp_gt_u32_e64 s8, 28, v61
	v_writelane_b32 v87, s6, 8
	v_cmp_gt_u32_e64 s6, 29, v61
	v_cmp_eq_u32_e64 s9, 27, v61
	v_cmp_gt_u32_e32 vcc_lo, 27, v61
	v_bitop3_b32 v78, v0, v12, 0x3ff bitop3:0xa8
	v_writelane_b32 v87, s10, 9
	s_and_b32 s6, s6, s5
	v_mul_u64_e32 v[12:13], s[72:73], v[2:3]
	v_subrev_nc_u32_e32 v2, 48, v18
	v_lshlrev_b32_e32 v60, 2, v61
	v_writelane_b32 v87, s6, 10
	s_and_b32 s6, s7, s5
	v_cmp_gt_i32_e64 s7, s85, v8
	v_lshl_add_u32 v53, v19, 2, 0x4000
	v_subrev_nc_u32_e32 v19, 32, v18
	v_writelane_b32 v87, s6, 11
	s_and_b32 s6, s8, s5
	v_or_b32_e32 v62, 0x5000, v72
	v_cmp_le_i32_e64 s10, s15, v75
	v_cmp_ne_u32_e64 s17, v4, v74
	v_writelane_b32 v87, s6, 12
	s_and_b32 s6, s9, s5
	v_add_nc_u32_e32 v67, v62, v32
	v_cmp_ne_u32_e64 s18, v4, v75
	v_mad_u32_u24 v34, 0xfc, v4, v32
	v_writelane_b32 v87, s6, 13
	s_and_b32 s6, vcc_lo, s5
	v_cmp_eq_u32_e32 vcc_lo, 26, v61
	v_mul_u64_e32 v[10:11], s[64:65], v[16:17]
	v_mad_i32_i24 v38, 0xffffff04, v4, v34
	v_writelane_b32 v87, s6, 14
	v_mul_i32_i24_e32 v73, 0xffffff04, v4
	s_and_b32 s6, vcc_lo, s5
	v_cmp_gt_u32_e32 vcc_lo, 26, v61
	v_mad_u32_u24 v39, 0xfc, v4, v38
	v_writelane_b32 v87, s6, 15
	v_sub_nc_u32_e32 v59, 0, v1
	v_mul_u64_e32 v[14:15], s[72:73], v[14:15]
	s_and_b32 s6, vcc_lo, s5
	v_cmp_eq_u32_e32 vcc_lo, 25, v61
	v_writelane_b32 v87, s6, 16
	v_mad_i32_i24 v40, 0xffffff04, v4, v39
	v_mul_lo_u32 v73, v73, 6
	v_mad_nc_u64_u32 v[20:21], s64, v74, v[22:23]
	s_and_b32 s6, vcc_lo, s5
	v_cmp_gt_u32_e32 vcc_lo, 25, v61
	v_writelane_b32 v87, s6, 17
	v_mad_u32_u24 v42, 0xfc, v4, v40
	v_mul_u32_u24_e32 v26, 0xfc, v4
	v_dual_lshlrev_b32 v68, 2, v68 :: v_dual_lshlrev_b32 v69, 2, v27
	s_and_b32 s6, vcc_lo, s5
	v_cmp_eq_u32_e32 vcc_lo, 24, v61
	v_writelane_b32 v87, s6, 18
	v_mad_i32_i24 v46, 0xffffff04, v4, v42
	v_mad_u32 v26, v26, 7, v73
	v_dual_lshlrev_b32 v71, 2, v71 :: v_dual_bitop2_b32 v27, v74, v4 bitop3:0x54
	s_and_b32 s6, vcc_lo, s5
	v_cmp_gt_u32_e32 vcc_lo, 24, v61
	v_writelane_b32 v87, s6, 19
	v_mad_u32_u24 v47, 0xfc, v4, v46
	v_mad_u32 v21, s65, v74, v21
	v_mul_u32_u24_e32 v73, 0xf8, v4
	s_and_b32 s6, vcc_lo, s5
	v_cmp_eq_u32_e32 vcc_lo, 23, v61
	v_writelane_b32 v87, s6, 20
	v_mad_i32_i24 v49, 0xffffff04, v4, v47
	v_dual_sub_nc_u32 v73, v26, v73 :: v_dual_bitop2_b32 v79, v75, v4 bitop3:0x54
	s_and_b32 s6, vcc_lo, s5
	v_cmp_gt_u32_e32 vcc_lo, 23, v61
	v_writelane_b32 v87, s6, 21
	v_mad_u32_u24 v54, 0xfc, v4, v49
	v_lshl_add_u32 v63, v6, 2, 0x5000
	v_lshl_add_u32 v64, v24, 2, 0x4000
	s_and_b32 s6, vcc_lo, s5
	v_cmp_eq_u32_e32 vcc_lo, 22, v61
	v_writelane_b32 v87, s6, 22
	v_mad_i32_i24 v55, 0xffffff04, v4, v54
	v_add_nc_u32_e32 v65, 0x4000, v32
	v_cmp_gt_u32_e64 s19, 56, v24
	s_and_b32 s6, vcc_lo, s5
	v_cmp_gt_u32_e32 vcc_lo, 22, v61
	v_writelane_b32 v87, s6, 23
	v_mad_u32_u24 v56, 0xfc, v4, v55
	v_lshl_add_u32 v66, v28, 8, v55
	v_cmp_gt_u32_e64 s20, 48, v24
	s_and_b32 s6, vcc_lo, s5
	v_cmp_eq_u32_e32 vcc_lo, 21, v61
	v_writelane_b32 v87, s6, 24
	v_mad_i32_i24 v57, 0xffffff04, v4, v56
	v_cmp_gt_u32_e64 s21, 40, v24
	v_cmp_gt_u32_e64 s22, 32, v24
	s_and_b32 s6, vcc_lo, s5
	v_cmp_gt_u32_e32 vcc_lo, 21, v61
	v_writelane_b32 v87, s6, 25
	v_mad_u32_u24 v58, 0xfc, v4, v57
	v_cmp_gt_u32_e64 s23, 24, v24
	v_cmp_gt_u32_e64 s60, 64, v6
	s_and_b32 s6, vcc_lo, s5
	v_cmp_eq_u32_e32 vcc_lo, 20, v61
	v_writelane_b32 v87, s6, 26
	v_dual_add_nc_u32 v72, v58, v72 :: v_dual_lshlrev_b32 v70, 2, v70
	s_and_b32 s6, vcc_lo, s5
	v_cmp_gt_u32_e32 vcc_lo, 20, v61
	v_writelane_b32 v87, s6, 27
	s_and_b32 s6, vcc_lo, s5
	v_cmp_eq_u32_e32 vcc_lo, 19, v61
	v_writelane_b32 v87, s6, 28
	s_and_b32 s6, vcc_lo, s5
	v_cmp_gt_u32_e32 vcc_lo, 19, v61
	v_writelane_b32 v87, s6, 29
	s_and_b32 s6, vcc_lo, s5
	v_cmp_eq_u32_e32 vcc_lo, 18, v61
	v_writelane_b32 v87, s6, 30
	;; [unrolled: 6-line block ×19, first 2 shown]
	s_and_b32 s6, vcc_lo, s5
	v_cmp_eq_u32_e32 vcc_lo, 0, v61
	v_writelane_b32 v85, s6, 1
	v_sub_nc_u32_e32 v61, v60, v1
	v_mul_u64_e32 v[0:1], s[72:73], v[16:17]
	s_and_b32 s34, vcc_lo, s5
	v_cmp_gt_u32_e32 vcc_lo, 32, v4
	s_and_b32 s6, s1, vcc_lo
	v_cmp_le_i32_e32 vcc_lo, s15, v4
	v_writelane_b32 v85, s6, 2
	s_and_b32 s6, vcc_lo, s16
	s_delay_alu instid0(SALU_CYCLE_1) | instskip(SKIP_1) | instid1(SALU_CYCLE_1)
	v_writelane_b32 v85, s6, 3
	s_xor_b32 s6, s6, -1
	s_and_b32 s70, s1, s6
	v_cmp_gt_i32_e64 s6, s15, v4
	s_cmp_gt_i32 s87, 0
	s_cselect_b32 s71, -1, 0
	s_and_b32 s6, s1, s6
	s_delay_alu instid0(SALU_CYCLE_1) | instskip(SKIP_3) | instid1(SALU_CYCLE_1)
	v_writelane_b32 v85, s6, 4
	v_cmp_gt_i32_e64 s6, s85, v16
	v_mad_nc_u64_u32 v[16:17], s64, v28, v[22:23]
	s_and_b32 s7, s7, s6
	v_writelane_b32 v85, s7, 5
	v_cmp_gt_i32_e64 s7, s85, v2
	v_add_nc_u32_e32 v2, -16, v18
	s_delay_alu instid0(VALU_DEP_4) | instskip(SKIP_1) | instid1(SALU_CYCLE_1)
	v_mad_u32 v17, s65, v28, v17
	s_and_b32 s7, s7, s6
	v_writelane_b32 v85, s7, 6
	v_cmp_gt_i32_e64 s7, s85, v19
	v_mad_nc_u64_u32 v[18:19], s64, v25, v[22:23]
	v_mad_nc_u64_u32 v[22:23], s64, v75, v[22:23]
	v_cmp_gt_u32_e64 s64, 64, v78
	s_and_b32 s7, s7, s6
	s_delay_alu instid0(SALU_CYCLE_1)
	v_writelane_b32 v85, s7, 7
	v_cmp_gt_i32_e64 s7, s85, v2
	v_or_b32_e32 v2, v25, v4
	v_mad_u32 v19, s65, v25, v19
	s_and_b32 s7, s7, s6
	v_mad_u32 v23, s65, v75, v23
	v_writelane_b32 v85, s7, 8
	v_cmp_le_i32_e64 s7, s15, v28
	s_or_b32 s8, s7, vcc_lo
	v_cmp_ge_u32_e64 s7, v4, v28
	s_or_b32 s8, s8, s7
	s_delay_alu instid0(SALU_CYCLE_1) | instskip(SKIP_4) | instid1(SALU_CYCLE_1)
	v_writelane_b32 v85, s8, 9
	v_cmp_le_i32_e64 s8, s15, v25
	s_or_b32 s9, s8, vcc_lo
	v_cmp_ge_u32_e64 s8, v4, v25
	s_or_b32 s9, s9, s8
	v_writelane_b32 v85, s9, 10
	v_cmp_le_i32_e64 s9, s15, v74
	s_or_b32 s16, s9, vcc_lo
	v_cmp_ge_u32_e64 s9, v4, v74
                                        ; implicit-def: $vgpr74
	s_or_b32 s15, s16, s9
	v_cmp_ne_u32_e64 s16, v4, v25
	v_writelane_b32 v85, s15, 11
	s_or_b32 s15, s10, vcc_lo
	v_cmp_ge_u32_e64 s10, v4, v75
                                        ; implicit-def: $vgpr75
	s_or_b32 s15, s15, s10
	s_delay_alu instid0(SALU_CYCLE_1) | instskip(SKIP_1) | instid1(VALU_DEP_1)
	v_writelane_b32 v85, s15, 12
	v_cmp_ne_u32_e64 s15, v4, v28
	v_writelane_b32 v85, s15, 13
	s_or_b32 s15, vcc_lo, s15
	s_delay_alu instid0(SALU_CYCLE_1)
	v_writelane_b32 v85, s15, 14
	s_or_b32 s15, vcc_lo, s16
	v_writelane_b32 v85, s16, 15
	v_cmp_gt_u32_e64 s16, 2, v24
	v_writelane_b32 v85, s15, 16
	s_or_b32 s15, vcc_lo, s17
	v_writelane_b32 v85, s17, 17
	v_cmp_gt_u32_e64 s17, 12, v24
	;; [unrolled: 4-line block ×3, first 2 shown]
	v_writelane_b32 v85, s15, 20
	v_cmp_eq_u32_e64 s15, 0, v78
	v_writelane_b32 v85, s59, 21
	v_cmp_gt_u32_e64 s59, 0xe0, v24
	s_delay_alu instid0(VALU_DEP_1) | instskip(SKIP_1) | instid1(VALU_DEP_1)
	v_writelane_b32 v85, s59, 22
	v_cmp_gt_u32_e64 s59, 0xd0, v24
	v_writelane_b32 v85, s59, 23
	v_cmp_gt_u32_e64 s59, 0xc0, v24
	s_delay_alu instid0(VALU_DEP_1) | instskip(SKIP_1) | instid1(VALU_DEP_1)
	v_writelane_b32 v85, s59, 24
	v_cmp_gt_u32_e64 s59, 0xb0, v24
	;; [unrolled: 5-line block ×16, first 2 shown]
	v_writelane_b32 v84, s59, 21
	v_cmp_gt_u32_e64 s59, 0x120, v24
	s_delay_alu instid0(VALU_DEP_1) | instskip(SKIP_3) | instid1(VALU_DEP_1)
	v_writelane_b32 v84, s59, 22
	v_cmp_eq_u32_e64 s59, 0, v6
	v_writelane_b32 v84, s64, 23
	v_cmp_gt_u32_e64 s64, 64, v2
	v_writelane_b32 v84, s64, 24
	v_cmp_gt_u32_e64 s64, 64, v27
	s_delay_alu instid0(VALU_DEP_1) | instskip(SKIP_1) | instid1(VALU_DEP_1)
	v_writelane_b32 v84, s64, 25
	v_cmp_gt_u32_e64 s64, 64, v79
	v_writelane_b32 v84, s64, 26
	s_branch .LBB17_3
.LBB17_2:                               ;   in Loop: Header=BB17_3 Depth=1
	s_wait_xcnt 0x0
	s_or_b32 exec_lo, exec_lo, s64
	s_add_co_i32 s76, s76, 0x10000
	global_wb scope:SCOPE_DEV
	s_wait_storecnt 0x0
	global_inv scope:SCOPE_DEV
	s_cmp_lt_u32 s76, s84
	s_cbranch_scc0 .LBB17_1257
.LBB17_3:                               ; =>This Loop Header: Depth=1
                                        ;     Child Loop BB17_1110 Depth 2
                                        ;       Child Loop BB17_1112 Depth 3
                                        ;     Child Loop BB17_1147 Depth 2
	v_readlane_b32 s68, v87, 1
	v_readlane_b32 s69, v87, 2
	s_mul_u64 s[64:65], s[66:67], s[76:77]
	s_and_not1_b32 vcc_lo, exec_lo, s88
	s_lshl_b64 s[64:65], s[64:65], 2
	s_delay_alu instid0(SALU_CYCLE_1) | instskip(NEXT) | instid1(SALU_CYCLE_1)
	s_add_nc_u64 s[80:81], s[68:69], s[64:65]
	v_lshl_add_u64 v[24:25], v[10:11], 2, s[80:81]
	s_cbranch_vccz .LBB17_6
; %bb.4:                                ;   in Loop: Header=BB17_3 Depth=1
	s_and_not1_b32 vcc_lo, exec_lo, s89
	s_mov_b32 s64, -1
	s_cbranch_vccz .LBB17_15
.LBB17_5:                               ;   in Loop: Header=BB17_3 Depth=1
	s_and_b32 vcc_lo, exec_lo, s64
	s_cbranch_vccnz .LBB17_25
	s_branch .LBB17_66
.LBB17_6:                               ;   in Loop: Header=BB17_3 Depth=1
	s_delay_alu instid0(VALU_DEP_1)
	v_lshl_add_u64 v[26:27], v[8:9], 2, v[24:25]
	v_dual_mov_b32 v75, 0 :: v_dual_mov_b32 v74, 0
	s_barrier_signal -1
	s_barrier_wait -1
	s_mov_b32 s64, exec_lo
	v_readlane_b32 s65, v85, 5
	s_and_b32 s65, s64, s65
	s_delay_alu instid0(SALU_CYCLE_1)
	s_mov_b32 exec_lo, s65
	s_cbranch_execz .LBB17_8
; %bb.7:                                ;   in Loop: Header=BB17_3 Depth=1
	global_load_b32 v74, v[26:27], off
.LBB17_8:                               ;   in Loop: Header=BB17_3 Depth=1
	s_wait_xcnt 0x0
	s_or_b32 exec_lo, exec_lo, s64
	s_wait_loadcnt 0x0
	s_barrier_signal -1
	s_barrier_wait -1
	s_mov_b32 s64, exec_lo
	v_readlane_b32 s65, v85, 6
	s_and_b32 s65, s64, s65
	s_delay_alu instid0(SALU_CYCLE_1)
	s_mov_b32 exec_lo, s65
	s_cbranch_execz .LBB17_10
; %bb.9:                                ;   in Loop: Header=BB17_3 Depth=1
	global_load_b32 v75, v[26:27], off offset:64
.LBB17_10:                              ;   in Loop: Header=BB17_3 Depth=1
	s_wait_xcnt 0x0
	s_or_b32 exec_lo, exec_lo, s64
	v_dual_mov_b32 v77, 0 :: v_dual_mov_b32 v76, 0
	s_wait_loadcnt 0x0
	s_barrier_signal -1
	s_barrier_wait -1
	s_mov_b32 s64, exec_lo
	v_readlane_b32 s65, v85, 7
	s_and_b32 s65, s64, s65
	s_delay_alu instid0(SALU_CYCLE_1)
	s_mov_b32 exec_lo, s65
	s_cbranch_execz .LBB17_12
; %bb.11:                               ;   in Loop: Header=BB17_3 Depth=1
	global_load_b32 v76, v[26:27], off offset:128
.LBB17_12:                              ;   in Loop: Header=BB17_3 Depth=1
	s_wait_xcnt 0x0
	s_or_b32 exec_lo, exec_lo, s64
	s_wait_loadcnt 0x0
	s_barrier_signal -1
	s_barrier_wait -1
	s_mov_b32 s64, exec_lo
	v_readlane_b32 s65, v85, 8
	s_and_b32 s65, s64, s65
	s_delay_alu instid0(SALU_CYCLE_1)
	s_mov_b32 exec_lo, s65
	s_cbranch_execz .LBB17_14
; %bb.13:                               ;   in Loop: Header=BB17_3 Depth=1
	global_load_b32 v77, v[26:27], off offset:192
.LBB17_14:                              ;   in Loop: Header=BB17_3 Depth=1
	s_wait_xcnt 0x0
	s_or_b32 exec_lo, exec_lo, s64
	s_delay_alu instid0(SALU_CYCLE_1)
	s_and_not1_b32 vcc_lo, exec_lo, s89
	s_mov_b32 s64, -1
	s_cbranch_vccnz .LBB17_5
.LBB17_15:                              ;   in Loop: Header=BB17_3 Depth=1
	s_and_saveexec_b32 s64, s7
	s_delay_alu instid0(SALU_CYCLE_1)
	s_xor_b32 s64, exec_lo, s64
	s_cbranch_execnz .LBB17_1168
; %bb.16:                               ;   in Loop: Header=BB17_3 Depth=1
	s_and_not1_saveexec_b32 s64, s64
	s_cbranch_execnz .LBB17_1175
.LBB17_17:                              ;   in Loop: Header=BB17_3 Depth=1
	s_or_b32 exec_lo, exec_lo, s64
	s_and_saveexec_b32 s64, s8
	s_delay_alu instid0(SALU_CYCLE_1)
	s_xor_b32 s64, exec_lo, s64
	s_cbranch_execnz .LBB17_1176
.LBB17_18:                              ;   in Loop: Header=BB17_3 Depth=1
	s_and_not1_saveexec_b32 s64, s64
	s_cbranch_execnz .LBB17_1183
.LBB17_19:                              ;   in Loop: Header=BB17_3 Depth=1
	s_or_b32 exec_lo, exec_lo, s64
	s_and_saveexec_b32 s64, s9
	s_delay_alu instid0(SALU_CYCLE_1)
	s_xor_b32 s64, exec_lo, s64
	s_cbranch_execnz .LBB17_1184
.LBB17_20:                              ;   in Loop: Header=BB17_3 Depth=1
	s_and_not1_saveexec_b32 s64, s64
	s_cbranch_execnz .LBB17_1191
.LBB17_21:                              ;   in Loop: Header=BB17_3 Depth=1
	s_or_b32 exec_lo, exec_lo, s64
	s_and_saveexec_b32 s64, s10
	s_delay_alu instid0(SALU_CYCLE_1)
	s_xor_b32 s64, exec_lo, s64
	s_cbranch_execnz .LBB17_1192
.LBB17_22:                              ;   in Loop: Header=BB17_3 Depth=1
	s_and_not1_saveexec_b32 s64, s64
	s_cbranch_execz .LBB17_24
.LBB17_23:                              ;   in Loop: Header=BB17_3 Depth=1
	v_lshl_add_u64 v[26:27], v[22:23], 2, s[80:81]
	global_load_b32 v2, v[26:27], off
	s_wait_loadcnt 0x0
	v_xor_b32_e32 v2, 0x80000000, v2
	ds_store_b32 v71, v2
.LBB17_24:                              ;   in Loop: Header=BB17_3 Depth=1
	s_or_b32 exec_lo, exec_lo, s64
	s_branch .LBB17_66
.LBB17_25:                              ;   in Loop: Header=BB17_3 Depth=1
	s_mov_b32 s64, exec_lo
	v_readlane_b32 s65, v85, 9
	s_and_b32 s65, s64, s65
	s_delay_alu instid0(SALU_CYCLE_1)
	s_xor_b32 s64, s65, s64
	s_mov_b32 exec_lo, s65
	s_cbranch_execz .LBB17_33
; %bb.26:                               ;   in Loop: Header=BB17_3 Depth=1
	s_mov_b32 s65, exec_lo
	v_readlane_b32 s68, v85, 14
	s_and_b32 s68, s65, s68
	s_delay_alu instid0(SALU_CYCLE_1)
	s_xor_b32 s65, s68, s65
	s_mov_b32 exec_lo, s68
	s_cbranch_execz .LBB17_30
; %bb.27:                               ;   in Loop: Header=BB17_3 Depth=1
	s_mov_b32 s68, exec_lo
	v_readlane_b32 s69, v84, 23
	s_and_b32 s69, s68, s69
	s_delay_alu instid0(SALU_CYCLE_1)
	s_mov_b32 exec_lo, s69
; %bb.28:                               ;   in Loop: Header=BB17_3 Depth=1
	ds_store_b32 v72, v3
; %bb.29:                               ;   in Loop: Header=BB17_3 Depth=1
	s_or_b32 exec_lo, exec_lo, s68
.LBB17_30:                              ;   in Loop: Header=BB17_3 Depth=1
	s_and_not1_saveexec_b32 s65, s65
	s_cbranch_execz .LBB17_32
; %bb.31:                               ;   in Loop: Header=BB17_3 Depth=1
	v_lshl_add_u64 v[26:27], v[16:17], 2, s[80:81]
	global_load_b32 v2, v[26:27], off
	s_wait_loadcnt 0x0
	v_div_scale_f32 v26, null, v2, v2, 1.0
	s_delay_alu instid0(VALU_DEP_1) | instskip(SKIP_1) | instid1(TRANS32_DEP_1)
	v_rcp_f32_e32 v27, v26
	v_nop
	v_fma_f32 v78, -v26, v27, 1.0
	s_delay_alu instid0(VALU_DEP_1) | instskip(SKIP_1) | instid1(VALU_DEP_1)
	v_fmac_f32_e32 v27, v78, v27
	v_div_scale_f32 v78, vcc_lo, 1.0, v2, 1.0
	v_mul_f32_e32 v79, v78, v27
	s_delay_alu instid0(VALU_DEP_1) | instskip(NEXT) | instid1(VALU_DEP_1)
	v_fma_f32 v80, -v26, v79, v78
	v_fmac_f32_e32 v79, v80, v27
	s_delay_alu instid0(VALU_DEP_1) | instskip(NEXT) | instid1(VALU_DEP_1)
	v_fma_f32 v26, -v26, v79, v78
	v_div_fmas_f32 v26, v26, v27, v79
	s_delay_alu instid0(VALU_DEP_1)
	v_div_fixup_f32 v2, v26, v2, 1.0
	ds_store_b32 v72, v2
.LBB17_32:                              ;   in Loop: Header=BB17_3 Depth=1
	s_or_b32 exec_lo, exec_lo, s65
.LBB17_33:                              ;   in Loop: Header=BB17_3 Depth=1
	s_and_not1_saveexec_b32 s64, s64
	s_cbranch_execz .LBB17_35
; %bb.34:                               ;   in Loop: Header=BB17_3 Depth=1
	v_lshl_add_u64 v[26:27], v[16:17], 2, s[80:81]
	global_load_b32 v2, v[26:27], off
	s_wait_loadcnt 0x0
	v_xor_b32_e32 v2, 0x80000000, v2
	ds_store_b32 v72, v2
.LBB17_35:                              ;   in Loop: Header=BB17_3 Depth=1
	s_or_b32 exec_lo, exec_lo, s64
	s_delay_alu instid0(SALU_CYCLE_1) | instskip(SKIP_2) | instid1(SALU_CYCLE_1)
	s_mov_b32 s64, exec_lo
	v_readlane_b32 s65, v85, 10
	s_and_b32 s65, s64, s65
	s_xor_b32 s64, s65, s64
	s_mov_b32 exec_lo, s65
	s_cbranch_execz .LBB17_43
; %bb.36:                               ;   in Loop: Header=BB17_3 Depth=1
	s_mov_b32 s65, exec_lo
	v_readlane_b32 s68, v85, 16
	s_and_b32 s68, s65, s68
	s_delay_alu instid0(SALU_CYCLE_1)
	s_xor_b32 s65, s68, s65
	s_mov_b32 exec_lo, s68
	s_cbranch_execz .LBB17_40
; %bb.37:                               ;   in Loop: Header=BB17_3 Depth=1
	s_mov_b32 s68, exec_lo
	v_readlane_b32 s69, v84, 24
	s_and_b32 s69, s68, s69
	s_delay_alu instid0(SALU_CYCLE_1)
	s_mov_b32 exec_lo, s69
; %bb.38:                               ;   in Loop: Header=BB17_3 Depth=1
	ds_store_b32 v69, v3
; %bb.39:                               ;   in Loop: Header=BB17_3 Depth=1
	s_or_b32 exec_lo, exec_lo, s68
.LBB17_40:                              ;   in Loop: Header=BB17_3 Depth=1
	s_and_not1_saveexec_b32 s65, s65
	s_cbranch_execz .LBB17_42
; %bb.41:                               ;   in Loop: Header=BB17_3 Depth=1
	v_lshl_add_u64 v[26:27], v[18:19], 2, s[80:81]
	global_load_b32 v2, v[26:27], off
	s_wait_loadcnt 0x0
	v_div_scale_f32 v26, null, v2, v2, 1.0
	s_delay_alu instid0(VALU_DEP_1) | instskip(SKIP_1) | instid1(TRANS32_DEP_1)
	v_rcp_f32_e32 v27, v26
	v_nop
	v_fma_f32 v78, -v26, v27, 1.0
	s_delay_alu instid0(VALU_DEP_1) | instskip(SKIP_1) | instid1(VALU_DEP_1)
	v_fmac_f32_e32 v27, v78, v27
	v_div_scale_f32 v78, vcc_lo, 1.0, v2, 1.0
	v_mul_f32_e32 v79, v78, v27
	s_delay_alu instid0(VALU_DEP_1) | instskip(NEXT) | instid1(VALU_DEP_1)
	v_fma_f32 v80, -v26, v79, v78
	v_fmac_f32_e32 v79, v80, v27
	s_delay_alu instid0(VALU_DEP_1) | instskip(NEXT) | instid1(VALU_DEP_1)
	v_fma_f32 v26, -v26, v79, v78
	v_div_fmas_f32 v26, v26, v27, v79
	s_delay_alu instid0(VALU_DEP_1)
	v_div_fixup_f32 v2, v26, v2, 1.0
	ds_store_b32 v69, v2
.LBB17_42:                              ;   in Loop: Header=BB17_3 Depth=1
	s_or_b32 exec_lo, exec_lo, s65
.LBB17_43:                              ;   in Loop: Header=BB17_3 Depth=1
	s_and_not1_saveexec_b32 s64, s64
	s_cbranch_execz .LBB17_45
; %bb.44:                               ;   in Loop: Header=BB17_3 Depth=1
	v_lshl_add_u64 v[26:27], v[18:19], 2, s[80:81]
	global_load_b32 v2, v[26:27], off
	s_wait_loadcnt 0x0
	v_xor_b32_e32 v2, 0x80000000, v2
	ds_store_b32 v69, v2
.LBB17_45:                              ;   in Loop: Header=BB17_3 Depth=1
	s_or_b32 exec_lo, exec_lo, s64
	s_delay_alu instid0(SALU_CYCLE_1) | instskip(SKIP_2) | instid1(SALU_CYCLE_1)
	s_mov_b32 s64, exec_lo
	v_readlane_b32 s65, v85, 11
	s_and_b32 s65, s64, s65
	;; [unrolled: 63-line block ×3, first 2 shown]
	s_xor_b32 s64, s65, s64
	s_mov_b32 exec_lo, s65
	s_cbranch_execz .LBB17_63
; %bb.56:                               ;   in Loop: Header=BB17_3 Depth=1
	s_mov_b32 s65, exec_lo
	v_readlane_b32 s68, v85, 20
	s_and_b32 s68, s65, s68
	s_delay_alu instid0(SALU_CYCLE_1)
	s_xor_b32 s65, s68, s65
	s_mov_b32 exec_lo, s68
	s_cbranch_execz .LBB17_60
; %bb.57:                               ;   in Loop: Header=BB17_3 Depth=1
	s_mov_b32 s68, exec_lo
	v_readlane_b32 s69, v84, 26
	s_and_b32 s69, s68, s69
	s_delay_alu instid0(SALU_CYCLE_1)
	s_mov_b32 exec_lo, s69
; %bb.58:                               ;   in Loop: Header=BB17_3 Depth=1
	ds_store_b32 v71, v3
; %bb.59:                               ;   in Loop: Header=BB17_3 Depth=1
	s_or_b32 exec_lo, exec_lo, s68
.LBB17_60:                              ;   in Loop: Header=BB17_3 Depth=1
	s_and_not1_saveexec_b32 s65, s65
	s_cbranch_execz .LBB17_62
; %bb.61:                               ;   in Loop: Header=BB17_3 Depth=1
	v_lshl_add_u64 v[26:27], v[22:23], 2, s[80:81]
	global_load_b32 v2, v[26:27], off
	s_wait_loadcnt 0x0
	v_div_scale_f32 v26, null, v2, v2, 1.0
	s_delay_alu instid0(VALU_DEP_1) | instskip(SKIP_1) | instid1(TRANS32_DEP_1)
	v_rcp_f32_e32 v27, v26
	v_nop
	v_fma_f32 v78, -v26, v27, 1.0
	s_delay_alu instid0(VALU_DEP_1) | instskip(SKIP_1) | instid1(VALU_DEP_1)
	v_fmac_f32_e32 v27, v78, v27
	v_div_scale_f32 v78, vcc_lo, 1.0, v2, 1.0
	v_mul_f32_e32 v79, v78, v27
	s_delay_alu instid0(VALU_DEP_1) | instskip(NEXT) | instid1(VALU_DEP_1)
	v_fma_f32 v80, -v26, v79, v78
	v_fmac_f32_e32 v79, v80, v27
	s_delay_alu instid0(VALU_DEP_1) | instskip(NEXT) | instid1(VALU_DEP_1)
	v_fma_f32 v26, -v26, v79, v78
	v_div_fmas_f32 v26, v26, v27, v79
	s_delay_alu instid0(VALU_DEP_1)
	v_div_fixup_f32 v2, v26, v2, 1.0
	ds_store_b32 v71, v2
.LBB17_62:                              ;   in Loop: Header=BB17_3 Depth=1
	s_or_b32 exec_lo, exec_lo, s65
.LBB17_63:                              ;   in Loop: Header=BB17_3 Depth=1
	s_and_not1_saveexec_b32 s64, s64
	s_cbranch_execz .LBB17_65
; %bb.64:                               ;   in Loop: Header=BB17_3 Depth=1
	v_lshl_add_u64 v[26:27], v[22:23], 2, s[80:81]
	global_load_b32 v2, v[26:27], off
	s_wait_loadcnt 0x0
	v_xor_b32_e32 v2, 0x80000000, v2
	ds_store_b32 v71, v2
.LBB17_65:                              ;   in Loop: Header=BB17_3 Depth=1
	s_or_b32 exec_lo, exec_lo, s64
.LBB17_66:                              ;   in Loop: Header=BB17_3 Depth=1
	s_delay_alu instid0(SALU_CYCLE_1)
	s_and_not1_b32 vcc_lo, exec_lo, s90
	s_wait_loadcnt_dscnt 0x0
	s_barrier_signal -1
	s_barrier_wait -1
	s_cbranch_vccnz .LBB17_1104
; %bb.67:                               ;   in Loop: Header=BB17_3 Depth=1
	s_and_saveexec_b32 s64, s15
	s_cbranch_execz .LBB17_69
; %bb.68:                               ;   in Loop: Header=BB17_3 Depth=1
	ds_load_b64 v[26:27], v3 offset:16376
	ds_load_b32 v2, v3 offset:16120
	s_wait_dscnt 0x0
	v_mul_f32_e32 v2, v2, v27
	s_delay_alu instid0(VALU_DEP_1)
	v_mul_f32_e32 v2, v26, v2
	v_add_nc_u32_e64 v26, 0x3c00, 0
	ds_store_2addr_b32 v26, v2, v2 offset0:191 offset1:254
.LBB17_69:                              ;   in Loop: Header=BB17_3 Depth=1
	s_or_b32 exec_lo, exec_lo, s64
	v_mov_b32_e32 v2, 0
	s_wait_dscnt 0x0
	s_barrier_signal -1
	s_barrier_wait -1
	global_wb scope:SCOPE_DEV
	s_wait_storecnt 0x0
	global_inv scope:SCOPE_DEV
	s_and_saveexec_b32 s64, s0
	s_cbranch_execz .LBB17_73
; %bb.70:                               ;   in Loop: Header=BB17_3 Depth=1
	ds_load_b32 v2, v31 offset:16112
	ds_load_b32 v26, v30 offset:16376
	s_wait_dscnt 0x0
	v_fma_f32 v2, v2, v26, 0
	s_and_saveexec_b32 s65, s16
	s_cbranch_execz .LBB17_72
; %bb.71:                               ;   in Loop: Header=BB17_3 Depth=1
	ds_load_b32 v26, v32 offset:16368
	ds_load_b32 v27, v3 offset:16380
	s_wait_dscnt 0x0
	v_fmac_f32_e32 v2, v26, v27
.LBB17_72:                              ;   in Loop: Header=BB17_3 Depth=1
	s_or_b32 exec_lo, exec_lo, s65
.LBB17_73:                              ;   in Loop: Header=BB17_3 Depth=1
	s_delay_alu instid0(SALU_CYCLE_1)
	s_or_b32 exec_lo, exec_lo, s64
	s_and_saveexec_b32 s64, s91
	s_cbranch_execz .LBB17_75
; %bb.74:                               ;   in Loop: Header=BB17_3 Depth=1
	ds_load_b32 v26, v3 offset:15860
	s_wait_dscnt 0x0
	v_mul_f32_e32 v2, v2, v26
	s_delay_alu instid0(VALU_DEP_1)
	v_xor_b32_e32 v26, 0x80000000, v2
	ds_store_b32 v5, v26
.LBB17_75:                              ;   in Loop: Header=BB17_3 Depth=1
	s_or_b32 exec_lo, exec_lo, s64
	s_wait_loadcnt_dscnt 0x0
	s_barrier_signal -1
	s_barrier_wait -1
	s_and_saveexec_b32 s64, s92
	s_cbranch_execz .LBB17_77
; %bb.76:                               ;   in Loop: Header=BB17_3 Depth=1
	ds_load_b32 v26, v3 offset:15856
	ds_load_b32 v27, v5
	s_wait_dscnt 0x0
	v_fma_f32 v2, -v26, v27, v2
.LBB17_77:                              ;   in Loop: Header=BB17_3 Depth=1
	s_or_b32 exec_lo, exec_lo, s64
	s_barrier_signal -1
	s_barrier_wait -1
	s_and_saveexec_b32 s64, s92
	s_cbranch_execz .LBB17_79
; %bb.78:                               ;   in Loop: Header=BB17_3 Depth=1
	ds_load_b32 v26, v3 offset:15600
	s_wait_dscnt 0x0
	v_mul_f32_e32 v2, v2, v26
	s_delay_alu instid0(VALU_DEP_1)
	v_xor_b32_e32 v26, 0x80000000, v2
	ds_store_b32 v5, v26
.LBB17_79:                              ;   in Loop: Header=BB17_3 Depth=1
	s_or_b32 exec_lo, exec_lo, s64
	s_wait_dscnt 0x0
	s_barrier_signal -1
	s_barrier_wait -1
	s_barrier_signal -1
	s_barrier_wait -1
	s_and_saveexec_b32 s64, s0
; %bb.80:                               ;   in Loop: Header=BB17_3 Depth=1
	ds_store_b32 v33, v2 offset:16368
; %bb.81:                               ;   in Loop: Header=BB17_3 Depth=1
	s_or_b32 exec_lo, exec_lo, s64
	s_wait_dscnt 0x0
	s_barrier_signal -1
	s_barrier_wait -1
	s_barrier_signal -1
	s_barrier_wait -1
	s_and_saveexec_b32 s64, s93
	s_cbranch_execz .LBB17_83
; %bb.82:                               ;   in Loop: Header=BB17_3 Depth=1
	ds_load_b32 v2, v34 offset:16112
	s_wait_dscnt 0x0
	ds_store_b32 v32, v2 offset:15608
	ds_load_b32 v2, v34 offset:16116
	s_wait_dscnt 0x0
	ds_store_b32 v32, v2 offset:15864
.LBB17_83:                              ;   in Loop: Header=BB17_3 Depth=1
	s_or_b32 exec_lo, exec_lo, s64
	s_wait_dscnt 0x0
	s_barrier_signal -1
	s_barrier_wait -1
	s_and_saveexec_b32 s64, s15
	s_cbranch_execz .LBB17_85
; %bb.84:                               ;   in Loop: Header=BB17_3 Depth=1
	ds_load_b64 v[26:27], v3 offset:15856
	ds_load_b32 v2, v3 offset:15600
	s_wait_dscnt 0x0
	v_mul_f32_e32 v2, v2, v27
	s_delay_alu instid0(VALU_DEP_1)
	v_mul_f32_e32 v2, v26, v2
	v_add_nc_u32_e64 v26, 0x3c00, 0
	ds_store_2addr_b32 v26, v2, v2 offset0:61 offset1:124
.LBB17_85:                              ;   in Loop: Header=BB17_3 Depth=1
	s_or_b32 exec_lo, exec_lo, s64
	v_mov_b32_e32 v2, 0
	s_wait_dscnt 0x0
	s_barrier_signal -1
	s_barrier_wait -1
	global_wb scope:SCOPE_DEV
	s_wait_storecnt 0x0
	global_inv scope:SCOPE_DEV
	s_and_saveexec_b32 s64, s2
	s_cbranch_execz .LBB17_91
; %bb.86:                               ;   in Loop: Header=BB17_3 Depth=1
	ds_load_b32 v2, v37 offset:15584
	ds_load_b32 v26, v36 offset:16368
	s_wait_dscnt 0x0
	v_fma_f32 v2, v2, v26, 0
	s_and_saveexec_b32 s65, s17
	s_cbranch_execnz .LBB17_1207
; %bb.87:                               ;   in Loop: Header=BB17_3 Depth=1
	s_or_b32 exec_lo, exec_lo, s65
	s_and_saveexec_b32 s65, s18
	s_cbranch_execnz .LBB17_1208
.LBB17_88:                              ;   in Loop: Header=BB17_3 Depth=1
	s_or_b32 exec_lo, exec_lo, s65
	s_and_saveexec_b32 s65, s0
	s_cbranch_execz .LBB17_90
.LBB17_89:                              ;   in Loop: Header=BB17_3 Depth=1
	ds_load_b32 v26, v38 offset:16352
	ds_load_b32 v27, v3 offset:16380
	s_wait_dscnt 0x0
	v_fmac_f32_e32 v2, v26, v27
.LBB17_90:                              ;   in Loop: Header=BB17_3 Depth=1
	s_or_b32 exec_lo, exec_lo, s65
.LBB17_91:                              ;   in Loop: Header=BB17_3 Depth=1
	s_delay_alu instid0(SALU_CYCLE_1)
	s_or_b32 exec_lo, exec_lo, s64
	s_and_saveexec_b32 s64, s94
	s_cbranch_execz .LBB17_93
; %bb.92:                               ;   in Loop: Header=BB17_3 Depth=1
	ds_load_b32 v26, v3 offset:15340
	s_wait_dscnt 0x0
	v_mul_f32_e32 v2, v2, v26
	s_delay_alu instid0(VALU_DEP_1)
	v_xor_b32_e32 v26, 0x80000000, v2
	ds_store_b32 v35, v26
.LBB17_93:                              ;   in Loop: Header=BB17_3 Depth=1
	s_or_b32 exec_lo, exec_lo, s64
	s_wait_loadcnt_dscnt 0x0
	s_barrier_signal -1
	s_barrier_wait -1
	s_and_saveexec_b32 s64, s95
	s_cbranch_execz .LBB17_95
; %bb.94:                               ;   in Loop: Header=BB17_3 Depth=1
	ds_load_b32 v26, v37 offset:15328
	ds_load_b32 v27, v35
	s_wait_dscnt 0x0
	v_fma_f32 v2, -v26, v27, v2
.LBB17_95:                              ;   in Loop: Header=BB17_3 Depth=1
	s_or_b32 exec_lo, exec_lo, s64
	s_barrier_signal -1
	s_barrier_wait -1
	s_and_saveexec_b32 s64, s96
	s_cbranch_execz .LBB17_97
; %bb.96:                               ;   in Loop: Header=BB17_3 Depth=1
	ds_load_b32 v26, v3 offset:15080
	s_wait_dscnt 0x0
	v_mul_f32_e32 v2, v2, v26
	s_delay_alu instid0(VALU_DEP_1)
	v_xor_b32_e32 v26, 0x80000000, v2
	ds_store_b32 v35, v26
.LBB17_97:                              ;   in Loop: Header=BB17_3 Depth=1
	s_or_b32 exec_lo, exec_lo, s64
	s_wait_dscnt 0x0
	s_barrier_signal -1
	s_barrier_wait -1
	s_and_saveexec_b32 s64, s97
	s_cbranch_execz .LBB17_99
; %bb.98:                               ;   in Loop: Header=BB17_3 Depth=1
	ds_load_b32 v26, v37 offset:15072
	ds_load_b32 v27, v35
	s_wait_dscnt 0x0
	v_fma_f32 v2, -v26, v27, v2
.LBB17_99:                              ;   in Loop: Header=BB17_3 Depth=1
	s_or_b32 exec_lo, exec_lo, s64
	s_barrier_signal -1
	s_barrier_wait -1
	s_and_saveexec_b32 s64, s98
	s_cbranch_execz .LBB17_101
; %bb.100:                              ;   in Loop: Header=BB17_3 Depth=1
	ds_load_b32 v26, v3 offset:14820
	s_wait_dscnt 0x0
	v_mul_f32_e32 v2, v2, v26
	s_delay_alu instid0(VALU_DEP_1)
	v_xor_b32_e32 v26, 0x80000000, v2
	ds_store_b32 v35, v26
.LBB17_101:                             ;   in Loop: Header=BB17_3 Depth=1
	s_or_b32 exec_lo, exec_lo, s64
	s_wait_dscnt 0x0
	s_barrier_signal -1
	s_barrier_wait -1
	s_and_saveexec_b32 s64, s99
	s_cbranch_execz .LBB17_103
; %bb.102:                              ;   in Loop: Header=BB17_3 Depth=1
	ds_load_b32 v26, v3 offset:14816
	ds_load_b32 v27, v35
	s_wait_dscnt 0x0
	v_fma_f32 v2, -v26, v27, v2
.LBB17_103:                             ;   in Loop: Header=BB17_3 Depth=1
	s_or_b32 exec_lo, exec_lo, s64
	s_barrier_signal -1
	s_barrier_wait -1
	s_and_saveexec_b32 s64, s99
	s_cbranch_execz .LBB17_105
; %bb.104:                              ;   in Loop: Header=BB17_3 Depth=1
	ds_load_b32 v26, v3 offset:14560
	s_wait_dscnt 0x0
	v_mul_f32_e32 v2, v2, v26
	s_delay_alu instid0(VALU_DEP_1)
	v_xor_b32_e32 v26, 0x80000000, v2
	ds_store_b32 v35, v26
.LBB17_105:                             ;   in Loop: Header=BB17_3 Depth=1
	s_or_b32 exec_lo, exec_lo, s64
	s_wait_dscnt 0x0
	s_barrier_signal -1
	s_barrier_wait -1
	s_barrier_signal -1
	s_barrier_wait -1
	s_and_saveexec_b32 s64, s2
; %bb.106:                              ;   in Loop: Header=BB17_3 Depth=1
	ds_store_b32 v41, v2 offset:16352
; %bb.107:                              ;   in Loop: Header=BB17_3 Depth=1
	s_or_b32 exec_lo, exec_lo, s64
	s_wait_dscnt 0x0
	s_barrier_signal -1
	s_barrier_wait -1
	s_barrier_signal -1
	s_barrier_wait -1
	s_and_saveexec_b32 s64, s100
	s_cbranch_execz .LBB17_109
; %bb.108:                              ;   in Loop: Header=BB17_3 Depth=1
	ds_load_b32 v2, v39 offset:15584
	s_wait_dscnt 0x0
	ds_store_b32 v40, v2 offset:14576
	ds_load_b32 v2, v39 offset:15588
	s_wait_dscnt 0x0
	ds_store_b32 v40, v2 offset:14832
	;; [unrolled: 3-line block ×4, first 2 shown]
.LBB17_109:                             ;   in Loop: Header=BB17_3 Depth=1
	s_or_b32 exec_lo, exec_lo, s64
	s_wait_dscnt 0x0
	s_barrier_signal -1
	s_barrier_wait -1
	s_and_saveexec_b32 s64, s15
	s_cbranch_execz .LBB17_111
; %bb.110:                              ;   in Loop: Header=BB17_3 Depth=1
	ds_load_b64 v[26:27], v3 offset:15336
	ds_load_b32 v2, v3 offset:15080
	s_wait_dscnt 0x0
	v_mul_f32_e32 v2, v2, v27
	s_delay_alu instid0(VALU_DEP_1)
	v_mul_f32_e32 v2, v26, v2
	v_add_nc_u32_e64 v26, 0x3800, 0
	ds_store_2addr_b32 v26, v2, v2 offset0:187 offset1:250
.LBB17_111:                             ;   in Loop: Header=BB17_3 Depth=1
	s_or_b32 exec_lo, exec_lo, s64
	v_mov_b32_e32 v2, 0
	s_wait_dscnt 0x0
	s_barrier_signal -1
	s_barrier_wait -1
	global_wb scope:SCOPE_DEV
	s_wait_storecnt 0x0
	global_inv scope:SCOPE_DEV
	s_and_saveexec_b32 s64, s0
	s_cbranch_execz .LBB17_115
; %bb.112:                              ;   in Loop: Header=BB17_3 Depth=1
	ds_load_b32 v2, v31 offset:15072
	ds_load_b32 v26, v30 offset:15336
	s_wait_dscnt 0x0
	v_fma_f32 v2, v2, v26, 0
	s_and_saveexec_b32 s65, s16
	s_cbranch_execz .LBB17_114
; %bb.113:                              ;   in Loop: Header=BB17_3 Depth=1
	ds_load_b32 v26, v40 offset:15328
	ds_load_b32 v27, v3 offset:15340
	s_wait_dscnt 0x0
	v_fmac_f32_e32 v2, v26, v27
.LBB17_114:                             ;   in Loop: Header=BB17_3 Depth=1
	s_or_b32 exec_lo, exec_lo, s65
.LBB17_115:                             ;   in Loop: Header=BB17_3 Depth=1
	s_delay_alu instid0(SALU_CYCLE_1)
	s_or_b32 exec_lo, exec_lo, s64
	s_and_saveexec_b32 s64, s91
	s_cbranch_execz .LBB17_117
; %bb.116:                              ;   in Loop: Header=BB17_3 Depth=1
	ds_load_b32 v26, v3 offset:14820
	s_wait_dscnt 0x0
	v_mul_f32_e32 v2, v2, v26
	s_delay_alu instid0(VALU_DEP_1)
	v_xor_b32_e32 v26, 0x80000000, v2
	ds_store_b32 v5, v26
.LBB17_117:                             ;   in Loop: Header=BB17_3 Depth=1
	s_or_b32 exec_lo, exec_lo, s64
	s_wait_loadcnt_dscnt 0x0
	s_barrier_signal -1
	s_barrier_wait -1
	s_and_saveexec_b32 s64, s92
	s_cbranch_execz .LBB17_119
; %bb.118:                              ;   in Loop: Header=BB17_3 Depth=1
	ds_load_b32 v26, v3 offset:14816
	ds_load_b32 v27, v5
	s_wait_dscnt 0x0
	v_fma_f32 v2, -v26, v27, v2
.LBB17_119:                             ;   in Loop: Header=BB17_3 Depth=1
	s_or_b32 exec_lo, exec_lo, s64
	s_barrier_signal -1
	s_barrier_wait -1
	s_and_saveexec_b32 s64, s92
	s_cbranch_execz .LBB17_121
; %bb.120:                              ;   in Loop: Header=BB17_3 Depth=1
	ds_load_b32 v26, v3 offset:14560
	s_wait_dscnt 0x0
	v_mul_f32_e32 v2, v2, v26
	s_delay_alu instid0(VALU_DEP_1)
	v_xor_b32_e32 v26, 0x80000000, v2
	ds_store_b32 v5, v26
.LBB17_121:                             ;   in Loop: Header=BB17_3 Depth=1
	s_or_b32 exec_lo, exec_lo, s64
	s_wait_dscnt 0x0
	s_barrier_signal -1
	s_barrier_wait -1
	s_barrier_signal -1
	s_barrier_wait -1
	s_and_saveexec_b32 s64, s0
; %bb.122:                              ;   in Loop: Header=BB17_3 Depth=1
	ds_store_b32 v33, v2 offset:15328
; %bb.123:                              ;   in Loop: Header=BB17_3 Depth=1
	s_or_b32 exec_lo, exec_lo, s64
	s_wait_dscnt 0x0
	s_barrier_signal -1
	s_barrier_wait -1
	s_barrier_signal -1
	s_barrier_wait -1
	s_and_saveexec_b32 s64, s93
	s_cbranch_execz .LBB17_125
; %bb.124:                              ;   in Loop: Header=BB17_3 Depth=1
	ds_load_b32 v2, v42 offset:15072
	s_wait_dscnt 0x0
	ds_store_b32 v40, v2 offset:14568
	ds_load_b32 v2, v42 offset:15076
	s_wait_dscnt 0x0
	ds_store_b32 v40, v2 offset:14824
.LBB17_125:                             ;   in Loop: Header=BB17_3 Depth=1
	s_or_b32 exec_lo, exec_lo, s64
	s_wait_dscnt 0x0
	s_barrier_signal -1
	s_barrier_wait -1
	s_and_saveexec_b32 s64, s15
	s_cbranch_execz .LBB17_127
; %bb.126:                              ;   in Loop: Header=BB17_3 Depth=1
	ds_load_b64 v[26:27], v3 offset:14816
	ds_load_b32 v2, v3 offset:14560
	s_wait_dscnt 0x0
	v_mul_f32_e32 v2, v2, v27
	s_delay_alu instid0(VALU_DEP_1)
	v_mul_f32_e32 v2, v26, v2
	v_add_nc_u32_e64 v26, 0x3800, 0
	ds_store_2addr_b32 v26, v2, v2 offset0:57 offset1:120
.LBB17_127:                             ;   in Loop: Header=BB17_3 Depth=1
	s_or_b32 exec_lo, exec_lo, s64
	v_mov_b32_e32 v2, 0
	s_wait_dscnt 0x0
	s_barrier_signal -1
	s_barrier_wait -1
	global_wb scope:SCOPE_DEV
	s_wait_storecnt 0x0
	global_inv scope:SCOPE_DEV
	s_and_saveexec_b32 s64, s3
	s_cbranch_execz .LBB17_137
; %bb.128:                              ;   in Loop: Header=BB17_3 Depth=1
	ds_load_b32 v2, v45 offset:14528
	ds_load_b32 v26, v44 offset:16352
	s_wait_dscnt 0x0
	v_fma_f32 v2, v2, v26, 0
	s_and_saveexec_b32 s65, s19
	s_cbranch_execnz .LBB17_1209
; %bb.129:                              ;   in Loop: Header=BB17_3 Depth=1
	s_or_b32 exec_lo, exec_lo, s65
	s_and_saveexec_b32 s65, s20
	s_cbranch_execnz .LBB17_1210
.LBB17_130:                             ;   in Loop: Header=BB17_3 Depth=1
	s_or_b32 exec_lo, exec_lo, s65
	s_and_saveexec_b32 s65, s21
	s_cbranch_execnz .LBB17_1211
.LBB17_131:                             ;   in Loop: Header=BB17_3 Depth=1
	s_or_b32 exec_lo, exec_lo, s65
	s_and_saveexec_b32 s65, s22
	s_cbranch_execnz .LBB17_1212
.LBB17_132:                             ;   in Loop: Header=BB17_3 Depth=1
	s_or_b32 exec_lo, exec_lo, s65
	s_and_saveexec_b32 s65, s23
	s_cbranch_execnz .LBB17_1213
.LBB17_133:                             ;   in Loop: Header=BB17_3 Depth=1
	s_or_b32 exec_lo, exec_lo, s65
	s_and_saveexec_b32 s65, s2
	s_cbranch_execnz .LBB17_1214
.LBB17_134:                             ;   in Loop: Header=BB17_3 Depth=1
	s_or_b32 exec_lo, exec_lo, s65
	s_and_saveexec_b32 s65, s18
	s_cbranch_execz .LBB17_136
.LBB17_135:                             ;   in Loop: Header=BB17_3 Depth=1
	ds_load_b32 v26, v46 offset:16320
	ds_load_b32 v27, v3 offset:16380
	s_wait_dscnt 0x0
	v_fmac_f32_e32 v2, v26, v27
.LBB17_136:                             ;   in Loop: Header=BB17_3 Depth=1
	s_or_b32 exec_lo, exec_lo, s65
.LBB17_137:                             ;   in Loop: Header=BB17_3 Depth=1
	s_delay_alu instid0(SALU_CYCLE_1)
	s_or_b32 exec_lo, exec_lo, s64
	s_and_saveexec_b32 s64, s101
	s_cbranch_execz .LBB17_139
; %bb.138:                              ;   in Loop: Header=BB17_3 Depth=1
	ds_load_b32 v26, v3 offset:14300
	s_wait_dscnt 0x0
	v_mul_f32_e32 v2, v2, v26
	s_delay_alu instid0(VALU_DEP_1)
	v_xor_b32_e32 v26, 0x80000000, v2
	ds_store_b32 v43, v26
.LBB17_139:                             ;   in Loop: Header=BB17_3 Depth=1
	s_or_b32 exec_lo, exec_lo, s64
	s_wait_loadcnt_dscnt 0x0
	s_barrier_signal -1
	s_barrier_wait -1
	s_and_saveexec_b32 s64, s102
	s_cbranch_execz .LBB17_141
; %bb.140:                              ;   in Loop: Header=BB17_3 Depth=1
	ds_load_b32 v26, v45 offset:14272
	ds_load_b32 v27, v43
	s_wait_dscnt 0x0
	v_fma_f32 v2, -v26, v27, v2
.LBB17_141:                             ;   in Loop: Header=BB17_3 Depth=1
	s_or_b32 exec_lo, exec_lo, s64
	s_barrier_signal -1
	s_barrier_wait -1
	s_and_saveexec_b32 s64, s103
	s_cbranch_execz .LBB17_143
; %bb.142:                              ;   in Loop: Header=BB17_3 Depth=1
	ds_load_b32 v26, v3 offset:14040
	s_wait_dscnt 0x0
	v_mul_f32_e32 v2, v2, v26
	s_delay_alu instid0(VALU_DEP_1)
	v_xor_b32_e32 v26, 0x80000000, v2
	ds_store_b32 v43, v26
.LBB17_143:                             ;   in Loop: Header=BB17_3 Depth=1
	s_or_b32 exec_lo, exec_lo, s64
	s_wait_dscnt 0x0
	s_barrier_signal -1
	s_barrier_wait -1
	s_and_saveexec_b32 s64, s104
	s_cbranch_execz .LBB17_145
; %bb.144:                              ;   in Loop: Header=BB17_3 Depth=1
	ds_load_b32 v26, v45 offset:14016
	ds_load_b32 v27, v43
	s_wait_dscnt 0x0
	v_fma_f32 v2, -v26, v27, v2
.LBB17_145:                             ;   in Loop: Header=BB17_3 Depth=1
	s_or_b32 exec_lo, exec_lo, s64
	s_barrier_signal -1
	s_barrier_wait -1
	s_and_saveexec_b32 s64, vcc_hi
	s_cbranch_execz .LBB17_147
; %bb.146:                              ;   in Loop: Header=BB17_3 Depth=1
	ds_load_b32 v26, v3 offset:13780
	s_wait_dscnt 0x0
	v_mul_f32_e32 v2, v2, v26
	s_delay_alu instid0(VALU_DEP_1)
	v_xor_b32_e32 v26, 0x80000000, v2
	ds_store_b32 v43, v26
.LBB17_147:                             ;   in Loop: Header=BB17_3 Depth=1
	s_or_b32 exec_lo, exec_lo, s64
	s_wait_dscnt 0x0
	s_barrier_signal -1
	s_barrier_wait -1
	s_and_saveexec_b32 s64, s36
	s_cbranch_execz .LBB17_149
; %bb.148:                              ;   in Loop: Header=BB17_3 Depth=1
	ds_load_b32 v26, v45 offset:13760
	ds_load_b32 v27, v43
	s_wait_dscnt 0x0
	v_fma_f32 v2, -v26, v27, v2
.LBB17_149:                             ;   in Loop: Header=BB17_3 Depth=1
	s_or_b32 exec_lo, exec_lo, s64
	s_barrier_signal -1
	s_barrier_wait -1
	s_and_saveexec_b32 s64, s37
	s_cbranch_execz .LBB17_151
; %bb.150:                              ;   in Loop: Header=BB17_3 Depth=1
	ds_load_b32 v26, v3 offset:13520
	s_wait_dscnt 0x0
	v_mul_f32_e32 v2, v2, v26
	s_delay_alu instid0(VALU_DEP_1)
	v_xor_b32_e32 v26, 0x80000000, v2
	ds_store_b32 v43, v26
.LBB17_151:                             ;   in Loop: Header=BB17_3 Depth=1
	s_or_b32 exec_lo, exec_lo, s64
	s_wait_dscnt 0x0
	s_barrier_signal -1
	s_barrier_wait -1
	s_and_saveexec_b32 s64, s38
	s_cbranch_execz .LBB17_153
; %bb.152:                              ;   in Loop: Header=BB17_3 Depth=1
	ds_load_b32 v26, v45 offset:13504
	ds_load_b32 v27, v43
	s_wait_dscnt 0x0
	v_fma_f32 v2, -v26, v27, v2
.LBB17_153:                             ;   in Loop: Header=BB17_3 Depth=1
	s_or_b32 exec_lo, exec_lo, s64
	s_barrier_signal -1
	s_barrier_wait -1
	s_and_saveexec_b32 s64, s39
	;; [unrolled: 25-line block ×5, first 2 shown]
	s_cbranch_execz .LBB17_167
; %bb.166:                              ;   in Loop: Header=BB17_3 Depth=1
	ds_load_b32 v26, v3 offset:12480
	s_wait_dscnt 0x0
	v_mul_f32_e32 v2, v2, v26
	s_delay_alu instid0(VALU_DEP_1)
	v_xor_b32_e32 v26, 0x80000000, v2
	ds_store_b32 v43, v26
.LBB17_167:                             ;   in Loop: Header=BB17_3 Depth=1
	s_or_b32 exec_lo, exec_lo, s64
	s_wait_dscnt 0x0
	s_barrier_signal -1
	s_barrier_wait -1
	s_barrier_signal -1
	s_barrier_wait -1
	s_and_saveexec_b32 s64, s3
; %bb.168:                              ;   in Loop: Header=BB17_3 Depth=1
	ds_store_b32 v48, v2 offset:16320
; %bb.169:                              ;   in Loop: Header=BB17_3 Depth=1
	s_or_b32 exec_lo, exec_lo, s64
	s_wait_dscnt 0x0
	s_barrier_signal -1
	s_barrier_wait -1
	s_barrier_signal -1
	s_barrier_wait -1
	s_and_saveexec_b32 s64, s45
	s_cbranch_execz .LBB17_171
; %bb.170:                              ;   in Loop: Header=BB17_3 Depth=1
	ds_load_b32 v2, v47 offset:14528
	s_wait_dscnt 0x0
	ds_store_b32 v49, v2 offset:12512
	ds_load_b32 v2, v47 offset:14532
	s_wait_dscnt 0x0
	ds_store_b32 v49, v2 offset:12768
	;; [unrolled: 3-line block ×8, first 2 shown]
.LBB17_171:                             ;   in Loop: Header=BB17_3 Depth=1
	s_or_b32 exec_lo, exec_lo, s64
	s_wait_dscnt 0x0
	s_barrier_signal -1
	s_barrier_wait -1
	s_and_saveexec_b32 s64, s15
	s_cbranch_execz .LBB17_173
; %bb.172:                              ;   in Loop: Header=BB17_3 Depth=1
	ds_load_b64 v[26:27], v3 offset:14296
	ds_load_b32 v2, v3 offset:14040
	s_wait_dscnt 0x0
	v_mul_f32_e32 v2, v2, v27
	s_delay_alu instid0(VALU_DEP_1)
	v_mul_f32_e32 v2, v26, v2
	v_add_nc_u32_e64 v26, 0x3400, 0
	ds_store_2addr_b32 v26, v2, v2 offset0:183 offset1:246
.LBB17_173:                             ;   in Loop: Header=BB17_3 Depth=1
	s_or_b32 exec_lo, exec_lo, s64
	v_mov_b32_e32 v2, 0
	s_wait_dscnt 0x0
	s_barrier_signal -1
	s_barrier_wait -1
	global_wb scope:SCOPE_DEV
	s_wait_storecnt 0x0
	global_inv scope:SCOPE_DEV
	s_and_saveexec_b32 s64, s0
	s_cbranch_execz .LBB17_177
; %bb.174:                              ;   in Loop: Header=BB17_3 Depth=1
	ds_load_b32 v2, v31 offset:14032
	ds_load_b32 v26, v30 offset:14296
	s_wait_dscnt 0x0
	v_fma_f32 v2, v2, v26, 0
	s_and_saveexec_b32 s65, s16
	s_cbranch_execz .LBB17_176
; %bb.175:                              ;   in Loop: Header=BB17_3 Depth=1
	ds_load_b32 v26, v49 offset:14288
	ds_load_b32 v27, v3 offset:14300
	s_wait_dscnt 0x0
	v_fmac_f32_e32 v2, v26, v27
.LBB17_176:                             ;   in Loop: Header=BB17_3 Depth=1
	s_or_b32 exec_lo, exec_lo, s65
.LBB17_177:                             ;   in Loop: Header=BB17_3 Depth=1
	s_delay_alu instid0(SALU_CYCLE_1)
	s_or_b32 exec_lo, exec_lo, s64
	s_and_saveexec_b32 s64, s91
	s_cbranch_execz .LBB17_179
; %bb.178:                              ;   in Loop: Header=BB17_3 Depth=1
	ds_load_b32 v26, v3 offset:13780
	s_wait_dscnt 0x0
	v_mul_f32_e32 v2, v2, v26
	s_delay_alu instid0(VALU_DEP_1)
	v_xor_b32_e32 v26, 0x80000000, v2
	ds_store_b32 v5, v26
.LBB17_179:                             ;   in Loop: Header=BB17_3 Depth=1
	s_or_b32 exec_lo, exec_lo, s64
	s_wait_loadcnt_dscnt 0x0
	s_barrier_signal -1
	s_barrier_wait -1
	s_and_saveexec_b32 s64, s92
	s_cbranch_execz .LBB17_181
; %bb.180:                              ;   in Loop: Header=BB17_3 Depth=1
	ds_load_b32 v26, v3 offset:13776
	ds_load_b32 v27, v5
	s_wait_dscnt 0x0
	v_fma_f32 v2, -v26, v27, v2
.LBB17_181:                             ;   in Loop: Header=BB17_3 Depth=1
	s_or_b32 exec_lo, exec_lo, s64
	s_barrier_signal -1
	s_barrier_wait -1
	s_and_saveexec_b32 s64, s92
	s_cbranch_execz .LBB17_183
; %bb.182:                              ;   in Loop: Header=BB17_3 Depth=1
	ds_load_b32 v26, v3 offset:13520
	s_wait_dscnt 0x0
	v_mul_f32_e32 v2, v2, v26
	s_delay_alu instid0(VALU_DEP_1)
	v_xor_b32_e32 v26, 0x80000000, v2
	ds_store_b32 v5, v26
.LBB17_183:                             ;   in Loop: Header=BB17_3 Depth=1
	s_or_b32 exec_lo, exec_lo, s64
	s_wait_dscnt 0x0
	s_barrier_signal -1
	s_barrier_wait -1
	s_barrier_signal -1
	s_barrier_wait -1
	s_and_saveexec_b32 s64, s0
; %bb.184:                              ;   in Loop: Header=BB17_3 Depth=1
	ds_store_b32 v33, v2 offset:14288
; %bb.185:                              ;   in Loop: Header=BB17_3 Depth=1
	s_or_b32 exec_lo, exec_lo, s64
	s_wait_dscnt 0x0
	s_barrier_signal -1
	s_barrier_wait -1
	s_barrier_signal -1
	s_barrier_wait -1
	s_and_saveexec_b32 s64, s93
	s_cbranch_execz .LBB17_187
; %bb.186:                              ;   in Loop: Header=BB17_3 Depth=1
	ds_load_b32 v2, v54 offset:14032
	s_wait_dscnt 0x0
	ds_store_b32 v49, v2 offset:13528
	ds_load_b32 v2, v54 offset:14036
	s_wait_dscnt 0x0
	ds_store_b32 v49, v2 offset:13784
.LBB17_187:                             ;   in Loop: Header=BB17_3 Depth=1
	s_or_b32 exec_lo, exec_lo, s64
	s_wait_dscnt 0x0
	s_barrier_signal -1
	s_barrier_wait -1
	s_and_saveexec_b32 s64, s15
	s_cbranch_execz .LBB17_189
; %bb.188:                              ;   in Loop: Header=BB17_3 Depth=1
	ds_load_b64 v[26:27], v3 offset:13776
	ds_load_b32 v2, v3 offset:13520
	s_wait_dscnt 0x0
	v_mul_f32_e32 v2, v2, v27
	s_delay_alu instid0(VALU_DEP_1)
	v_mul_f32_e32 v2, v26, v2
	v_add_nc_u32_e64 v26, 0x3400, 0
	ds_store_2addr_b32 v26, v2, v2 offset0:53 offset1:116
.LBB17_189:                             ;   in Loop: Header=BB17_3 Depth=1
	s_or_b32 exec_lo, exec_lo, s64
	v_mov_b32_e32 v2, 0
	s_wait_dscnt 0x0
	s_barrier_signal -1
	s_barrier_wait -1
	global_wb scope:SCOPE_DEV
	s_wait_storecnt 0x0
	global_inv scope:SCOPE_DEV
	s_and_saveexec_b32 s64, s2
	s_cbranch_execz .LBB17_195
; %bb.190:                              ;   in Loop: Header=BB17_3 Depth=1
	ds_load_b32 v2, v37 offset:13504
	ds_load_b32 v26, v36 offset:14288
	s_wait_dscnt 0x0
	v_fma_f32 v2, v2, v26, 0
	s_and_saveexec_b32 s65, s17
	s_cbranch_execnz .LBB17_1215
; %bb.191:                              ;   in Loop: Header=BB17_3 Depth=1
	s_or_b32 exec_lo, exec_lo, s65
	s_and_saveexec_b32 s65, s18
	s_cbranch_execnz .LBB17_1216
.LBB17_192:                             ;   in Loop: Header=BB17_3 Depth=1
	s_or_b32 exec_lo, exec_lo, s65
	s_and_saveexec_b32 s65, s0
	s_cbranch_execz .LBB17_194
.LBB17_193:                             ;   in Loop: Header=BB17_3 Depth=1
	ds_load_b32 v26, v55 offset:14272
	ds_load_b32 v27, v3 offset:14300
	s_wait_dscnt 0x0
	v_fmac_f32_e32 v2, v26, v27
.LBB17_194:                             ;   in Loop: Header=BB17_3 Depth=1
	s_or_b32 exec_lo, exec_lo, s65
.LBB17_195:                             ;   in Loop: Header=BB17_3 Depth=1
	s_delay_alu instid0(SALU_CYCLE_1)
	s_or_b32 exec_lo, exec_lo, s64
	s_and_saveexec_b32 s64, s94
	s_cbranch_execz .LBB17_197
; %bb.196:                              ;   in Loop: Header=BB17_3 Depth=1
	ds_load_b32 v26, v3 offset:13260
	s_wait_dscnt 0x0
	v_mul_f32_e32 v2, v2, v26
	s_delay_alu instid0(VALU_DEP_1)
	v_xor_b32_e32 v26, 0x80000000, v2
	ds_store_b32 v35, v26
.LBB17_197:                             ;   in Loop: Header=BB17_3 Depth=1
	s_or_b32 exec_lo, exec_lo, s64
	s_wait_loadcnt_dscnt 0x0
	s_barrier_signal -1
	s_barrier_wait -1
	s_and_saveexec_b32 s64, s95
	s_cbranch_execz .LBB17_199
; %bb.198:                              ;   in Loop: Header=BB17_3 Depth=1
	ds_load_b32 v26, v37 offset:13248
	ds_load_b32 v27, v35
	s_wait_dscnt 0x0
	v_fma_f32 v2, -v26, v27, v2
.LBB17_199:                             ;   in Loop: Header=BB17_3 Depth=1
	s_or_b32 exec_lo, exec_lo, s64
	s_barrier_signal -1
	s_barrier_wait -1
	s_and_saveexec_b32 s64, s96
	s_cbranch_execz .LBB17_201
; %bb.200:                              ;   in Loop: Header=BB17_3 Depth=1
	ds_load_b32 v26, v3 offset:13000
	s_wait_dscnt 0x0
	v_mul_f32_e32 v2, v2, v26
	s_delay_alu instid0(VALU_DEP_1)
	v_xor_b32_e32 v26, 0x80000000, v2
	ds_store_b32 v35, v26
.LBB17_201:                             ;   in Loop: Header=BB17_3 Depth=1
	s_or_b32 exec_lo, exec_lo, s64
	s_wait_dscnt 0x0
	s_barrier_signal -1
	s_barrier_wait -1
	s_and_saveexec_b32 s64, s97
	s_cbranch_execz .LBB17_203
; %bb.202:                              ;   in Loop: Header=BB17_3 Depth=1
	ds_load_b32 v26, v37 offset:12992
	ds_load_b32 v27, v35
	s_wait_dscnt 0x0
	v_fma_f32 v2, -v26, v27, v2
.LBB17_203:                             ;   in Loop: Header=BB17_3 Depth=1
	s_or_b32 exec_lo, exec_lo, s64
	s_barrier_signal -1
	s_barrier_wait -1
	s_and_saveexec_b32 s64, s98
	s_cbranch_execz .LBB17_205
; %bb.204:                              ;   in Loop: Header=BB17_3 Depth=1
	ds_load_b32 v26, v3 offset:12740
	s_wait_dscnt 0x0
	v_mul_f32_e32 v2, v2, v26
	s_delay_alu instid0(VALU_DEP_1)
	v_xor_b32_e32 v26, 0x80000000, v2
	ds_store_b32 v35, v26
.LBB17_205:                             ;   in Loop: Header=BB17_3 Depth=1
	s_or_b32 exec_lo, exec_lo, s64
	s_wait_dscnt 0x0
	;; [unrolled: 25-line block ×3, first 2 shown]
	s_barrier_signal -1
	s_barrier_wait -1
	s_barrier_signal -1
	s_barrier_wait -1
	s_and_saveexec_b32 s64, s2
; %bb.210:                              ;   in Loop: Header=BB17_3 Depth=1
	ds_store_b32 v41, v2 offset:14272
; %bb.211:                              ;   in Loop: Header=BB17_3 Depth=1
	s_or_b32 exec_lo, exec_lo, s64
	s_wait_dscnt 0x0
	s_barrier_signal -1
	s_barrier_wait -1
	s_barrier_signal -1
	s_barrier_wait -1
	s_and_saveexec_b32 s64, s100
	s_cbranch_execz .LBB17_213
; %bb.212:                              ;   in Loop: Header=BB17_3 Depth=1
	ds_load_b32 v2, v56 offset:13504
	s_wait_dscnt 0x0
	ds_store_b32 v57, v2 offset:12496
	ds_load_b32 v2, v56 offset:13508
	s_wait_dscnt 0x0
	ds_store_b32 v57, v2 offset:12752
	;; [unrolled: 3-line block ×4, first 2 shown]
.LBB17_213:                             ;   in Loop: Header=BB17_3 Depth=1
	s_or_b32 exec_lo, exec_lo, s64
	s_wait_dscnt 0x0
	s_barrier_signal -1
	s_barrier_wait -1
	s_and_saveexec_b32 s64, s15
	s_cbranch_execz .LBB17_215
; %bb.214:                              ;   in Loop: Header=BB17_3 Depth=1
	ds_load_b64 v[26:27], v3 offset:13256
	ds_load_b32 v2, v3 offset:13000
	s_wait_dscnt 0x0
	v_mul_f32_e32 v2, v2, v27
	s_delay_alu instid0(VALU_DEP_1)
	v_mul_f32_e32 v2, v26, v2
	v_add_nc_u32_e64 v26, 0x3000, 0
	ds_store_2addr_b32 v26, v2, v2 offset0:179 offset1:242
.LBB17_215:                             ;   in Loop: Header=BB17_3 Depth=1
	s_or_b32 exec_lo, exec_lo, s64
	v_mov_b32_e32 v2, 0
	s_wait_dscnt 0x0
	s_barrier_signal -1
	s_barrier_wait -1
	global_wb scope:SCOPE_DEV
	s_wait_storecnt 0x0
	global_inv scope:SCOPE_DEV
	s_and_saveexec_b32 s64, s0
	s_cbranch_execz .LBB17_219
; %bb.216:                              ;   in Loop: Header=BB17_3 Depth=1
	ds_load_b32 v2, v31 offset:12992
	ds_load_b32 v26, v30 offset:13256
	s_wait_dscnt 0x0
	v_fma_f32 v2, v2, v26, 0
	s_and_saveexec_b32 s65, s16
	s_cbranch_execz .LBB17_218
; %bb.217:                              ;   in Loop: Header=BB17_3 Depth=1
	ds_load_b32 v26, v57 offset:13248
	ds_load_b32 v27, v3 offset:13260
	s_wait_dscnt 0x0
	v_fmac_f32_e32 v2, v26, v27
.LBB17_218:                             ;   in Loop: Header=BB17_3 Depth=1
	s_or_b32 exec_lo, exec_lo, s65
.LBB17_219:                             ;   in Loop: Header=BB17_3 Depth=1
	s_delay_alu instid0(SALU_CYCLE_1)
	s_or_b32 exec_lo, exec_lo, s64
	s_and_saveexec_b32 s64, s91
	s_cbranch_execz .LBB17_221
; %bb.220:                              ;   in Loop: Header=BB17_3 Depth=1
	ds_load_b32 v26, v3 offset:12740
	s_wait_dscnt 0x0
	v_mul_f32_e32 v2, v2, v26
	s_delay_alu instid0(VALU_DEP_1)
	v_xor_b32_e32 v26, 0x80000000, v2
	ds_store_b32 v5, v26
.LBB17_221:                             ;   in Loop: Header=BB17_3 Depth=1
	s_or_b32 exec_lo, exec_lo, s64
	s_wait_loadcnt_dscnt 0x0
	s_barrier_signal -1
	s_barrier_wait -1
	s_and_saveexec_b32 s64, s92
	s_cbranch_execz .LBB17_223
; %bb.222:                              ;   in Loop: Header=BB17_3 Depth=1
	ds_load_b32 v26, v3 offset:12736
	ds_load_b32 v27, v5
	s_wait_dscnt 0x0
	v_fma_f32 v2, -v26, v27, v2
.LBB17_223:                             ;   in Loop: Header=BB17_3 Depth=1
	s_or_b32 exec_lo, exec_lo, s64
	s_barrier_signal -1
	s_barrier_wait -1
	s_and_saveexec_b32 s64, s92
	s_cbranch_execz .LBB17_225
; %bb.224:                              ;   in Loop: Header=BB17_3 Depth=1
	ds_load_b32 v26, v3 offset:12480
	s_wait_dscnt 0x0
	v_mul_f32_e32 v2, v2, v26
	s_delay_alu instid0(VALU_DEP_1)
	v_xor_b32_e32 v26, 0x80000000, v2
	ds_store_b32 v5, v26
.LBB17_225:                             ;   in Loop: Header=BB17_3 Depth=1
	s_or_b32 exec_lo, exec_lo, s64
	s_wait_dscnt 0x0
	s_barrier_signal -1
	s_barrier_wait -1
	s_barrier_signal -1
	s_barrier_wait -1
	s_and_saveexec_b32 s64, s0
; %bb.226:                              ;   in Loop: Header=BB17_3 Depth=1
	ds_store_b32 v33, v2 offset:13248
; %bb.227:                              ;   in Loop: Header=BB17_3 Depth=1
	s_or_b32 exec_lo, exec_lo, s64
	s_wait_dscnt 0x0
	s_barrier_signal -1
	s_barrier_wait -1
	s_barrier_signal -1
	s_barrier_wait -1
	s_and_saveexec_b32 s64, s93
	s_cbranch_execz .LBB17_229
; %bb.228:                              ;   in Loop: Header=BB17_3 Depth=1
	ds_load_b32 v2, v58 offset:12992
	s_wait_dscnt 0x0
	ds_store_b32 v57, v2 offset:12488
	ds_load_b32 v2, v58 offset:12996
	s_wait_dscnt 0x0
	ds_store_b32 v57, v2 offset:12744
.LBB17_229:                             ;   in Loop: Header=BB17_3 Depth=1
	s_or_b32 exec_lo, exec_lo, s64
	s_wait_dscnt 0x0
	s_barrier_signal -1
	s_barrier_wait -1
	s_and_saveexec_b32 s64, s15
	s_cbranch_execz .LBB17_231
; %bb.230:                              ;   in Loop: Header=BB17_3 Depth=1
	ds_load_b64 v[26:27], v3 offset:12736
	ds_load_b32 v2, v3 offset:12480
	s_wait_dscnt 0x0
	v_mul_f32_e32 v2, v2, v27
	s_delay_alu instid0(VALU_DEP_1)
	v_mul_f32_e32 v2, v26, v2
	v_add_nc_u32_e64 v26, 0x3000, 0
	ds_store_2addr_b32 v26, v2, v2 offset0:49 offset1:112
.LBB17_231:                             ;   in Loop: Header=BB17_3 Depth=1
	s_or_b32 exec_lo, exec_lo, s64
	v_mov_b32_e32 v2, 0
	s_wait_dscnt 0x0
	s_barrier_signal -1
	s_barrier_wait -1
	global_wb scope:SCOPE_DEV
	s_wait_storecnt 0x0
	global_inv scope:SCOPE_DEV
	s_and_saveexec_b32 s65, s4
	s_cbranch_execz .LBB17_259
; %bb.232:                              ;   in Loop: Header=BB17_3 Depth=1
	ds_load_b32 v2, v52 offset:12416
	ds_load_b32 v26, v51 offset:16320
	s_wait_dscnt 0x0
	v_fma_f32 v2, v2, v26, 0
	s_mov_b32 s64, exec_lo
	v_readlane_b32 s68, v85, 21
	s_and_b32 s68, s64, s68
	s_delay_alu instid0(SALU_CYCLE_1)
	s_mov_b32 exec_lo, s68
	s_cbranch_execz .LBB17_234
; %bb.233:                              ;   in Loop: Header=BB17_3 Depth=1
	ds_load_b32 v26, v52 offset:12672
	ds_load_b32 v27, v51 offset:16324
	s_wait_dscnt 0x0
	v_fmac_f32_e32 v2, v26, v27
.LBB17_234:                             ;   in Loop: Header=BB17_3 Depth=1
	s_or_b32 exec_lo, exec_lo, s64
	s_delay_alu instid0(SALU_CYCLE_1) | instskip(SKIP_2) | instid1(SALU_CYCLE_1)
	s_mov_b32 s64, exec_lo
	v_readlane_b32 s68, v85, 22
	s_and_b32 s68, s64, s68
	s_mov_b32 exec_lo, s68
	s_cbranch_execz .LBB17_236
; %bb.235:                              ;   in Loop: Header=BB17_3 Depth=1
	ds_load_b32 v26, v52 offset:12928
	ds_load_b32 v27, v51 offset:16328
	s_wait_dscnt 0x0
	v_fmac_f32_e32 v2, v26, v27
.LBB17_236:                             ;   in Loop: Header=BB17_3 Depth=1
	s_or_b32 exec_lo, exec_lo, s64
	s_delay_alu instid0(SALU_CYCLE_1) | instskip(SKIP_2) | instid1(SALU_CYCLE_1)
	s_mov_b32 s64, exec_lo
	v_readlane_b32 s68, v85, 23
	s_and_b32 s68, s64, s68
	;; [unrolled: 13-line block ×10, first 2 shown]
	s_mov_b32 exec_lo, s68
	s_cbranch_execnz .LBB17_1217
; %bb.253:                              ;   in Loop: Header=BB17_3 Depth=1
	s_or_b32 exec_lo, exec_lo, s64
	s_and_saveexec_b32 s64, s3
	s_cbranch_execnz .LBB17_1218
.LBB17_254:                             ;   in Loop: Header=BB17_3 Depth=1
	s_or_b32 exec_lo, exec_lo, s64
	s_and_saveexec_b32 s64, s20
	s_cbranch_execnz .LBB17_1219
.LBB17_255:                             ;   in Loop: Header=BB17_3 Depth=1
	s_or_b32 exec_lo, exec_lo, s64
	s_and_saveexec_b32 s64, s22
	s_cbranch_execnz .LBB17_1220
.LBB17_256:                             ;   in Loop: Header=BB17_3 Depth=1
	s_or_b32 exec_lo, exec_lo, s64
	s_and_saveexec_b32 s64, s2
	s_cbranch_execz .LBB17_258
.LBB17_257:                             ;   in Loop: Header=BB17_3 Depth=1
	ds_load_b32 v26, v32 offset:16256
	ds_load_b32 v27, v3 offset:16380
	s_wait_dscnt 0x0
	v_fmac_f32_e32 v2, v26, v27
.LBB17_258:                             ;   in Loop: Header=BB17_3 Depth=1
	s_or_b32 exec_lo, exec_lo, s64
.LBB17_259:                             ;   in Loop: Header=BB17_3 Depth=1
	s_delay_alu instid0(SALU_CYCLE_1)
	s_or_b32 exec_lo, exec_lo, s65
	s_and_saveexec_b32 s64, s46
	s_cbranch_execz .LBB17_261
; %bb.260:                              ;   in Loop: Header=BB17_3 Depth=1
	ds_load_b32 v26, v3 offset:12220
	s_wait_dscnt 0x0
	v_mul_f32_e32 v2, v2, v26
	s_delay_alu instid0(VALU_DEP_1)
	v_xor_b32_e32 v26, 0x80000000, v2
	ds_store_b32 v50, v26
.LBB17_261:                             ;   in Loop: Header=BB17_3 Depth=1
	s_or_b32 exec_lo, exec_lo, s64
	s_wait_loadcnt_dscnt 0x0
	s_barrier_signal -1
	s_barrier_wait -1
	s_and_saveexec_b32 s64, s47
	s_cbranch_execz .LBB17_263
; %bb.262:                              ;   in Loop: Header=BB17_3 Depth=1
	ds_load_b32 v26, v52 offset:12160
	ds_load_b32 v27, v50
	s_wait_dscnt 0x0
	v_fma_f32 v2, -v26, v27, v2
.LBB17_263:                             ;   in Loop: Header=BB17_3 Depth=1
	s_or_b32 exec_lo, exec_lo, s64
	s_barrier_signal -1
	s_barrier_wait -1
	s_and_saveexec_b32 s64, s48
	s_cbranch_execz .LBB17_265
; %bb.264:                              ;   in Loop: Header=BB17_3 Depth=1
	ds_load_b32 v26, v3 offset:11960
	s_wait_dscnt 0x0
	v_mul_f32_e32 v2, v2, v26
	s_delay_alu instid0(VALU_DEP_1)
	v_xor_b32_e32 v26, 0x80000000, v2
	ds_store_b32 v50, v26
.LBB17_265:                             ;   in Loop: Header=BB17_3 Depth=1
	s_or_b32 exec_lo, exec_lo, s64
	s_wait_dscnt 0x0
	s_barrier_signal -1
	s_barrier_wait -1
	s_and_saveexec_b32 s64, s49
	s_cbranch_execz .LBB17_267
; %bb.266:                              ;   in Loop: Header=BB17_3 Depth=1
	ds_load_b32 v26, v52 offset:11904
	ds_load_b32 v27, v50
	s_wait_dscnt 0x0
	v_fma_f32 v2, -v26, v27, v2
.LBB17_267:                             ;   in Loop: Header=BB17_3 Depth=1
	s_or_b32 exec_lo, exec_lo, s64
	s_barrier_signal -1
	s_barrier_wait -1
	s_and_saveexec_b32 s64, s50
	s_cbranch_execz .LBB17_269
; %bb.268:                              ;   in Loop: Header=BB17_3 Depth=1
	ds_load_b32 v26, v3 offset:11700
	s_wait_dscnt 0x0
	v_mul_f32_e32 v2, v2, v26
	s_delay_alu instid0(VALU_DEP_1)
	v_xor_b32_e32 v26, 0x80000000, v2
	ds_store_b32 v50, v26
.LBB17_269:                             ;   in Loop: Header=BB17_3 Depth=1
	s_or_b32 exec_lo, exec_lo, s64
	s_wait_dscnt 0x0
	;; [unrolled: 25-line block ×15, first 2 shown]
	s_barrier_signal -1
	s_barrier_wait -1
	s_barrier_signal -1
	s_barrier_wait -1
	s_and_saveexec_b32 s64, s4
; %bb.322:                              ;   in Loop: Header=BB17_3 Depth=1
	ds_store_b32 v7, v2 offset:16256
; %bb.323:                              ;   in Loop: Header=BB17_3 Depth=1
	s_or_b32 exec_lo, exec_lo, s64
	s_wait_dscnt 0x0
	s_barrier_signal -1
	s_barrier_wait -1
	s_barrier_signal -1
	s_barrier_wait -1
	s_and_saveexec_b32 s64, s31
	s_cbranch_execz .LBB17_325
; %bb.324:                              ;   in Loop: Header=BB17_3 Depth=1
	ds_load_b32 v2, v34 offset:12416
	s_wait_dscnt 0x0
	ds_store_b32 v38, v2 offset:8384
	ds_load_b32 v2, v34 offset:12420
	s_wait_dscnt 0x0
	ds_store_b32 v38, v2 offset:8640
	;; [unrolled: 3-line block ×16, first 2 shown]
.LBB17_325:                             ;   in Loop: Header=BB17_3 Depth=1
	s_or_b32 exec_lo, exec_lo, s64
	s_wait_dscnt 0x0
	s_barrier_signal -1
	s_barrier_wait -1
	s_and_saveexec_b32 s64, s15
	s_cbranch_execz .LBB17_327
; %bb.326:                              ;   in Loop: Header=BB17_3 Depth=1
	ds_load_b64 v[26:27], v3 offset:12216
	ds_load_b32 v2, v3 offset:11960
	s_wait_dscnt 0x0
	v_mul_f32_e32 v2, v2, v27
	s_delay_alu instid0(VALU_DEP_1)
	v_mul_f32_e32 v2, v26, v2
	v_add_nc_u32_e64 v26, 0x2c00, 0
	ds_store_2addr_b32 v26, v2, v2 offset0:175 offset1:238
.LBB17_327:                             ;   in Loop: Header=BB17_3 Depth=1
	s_or_b32 exec_lo, exec_lo, s64
	v_mov_b32_e32 v2, 0
	s_wait_dscnt 0x0
	s_barrier_signal -1
	s_barrier_wait -1
	global_wb scope:SCOPE_DEV
	s_wait_storecnt 0x0
	global_inv scope:SCOPE_DEV
	s_and_saveexec_b32 s64, s0
	s_cbranch_execz .LBB17_331
; %bb.328:                              ;   in Loop: Header=BB17_3 Depth=1
	ds_load_b32 v2, v31 offset:11952
	ds_load_b32 v26, v30 offset:12216
	s_wait_dscnt 0x0
	v_fma_f32 v2, v2, v26, 0
	s_and_saveexec_b32 s65, s16
	s_cbranch_execz .LBB17_330
; %bb.329:                              ;   in Loop: Header=BB17_3 Depth=1
	ds_load_b32 v26, v32 offset:12208
	ds_load_b32 v27, v3 offset:12220
	s_wait_dscnt 0x0
	v_fmac_f32_e32 v2, v26, v27
.LBB17_330:                             ;   in Loop: Header=BB17_3 Depth=1
	s_or_b32 exec_lo, exec_lo, s65
.LBB17_331:                             ;   in Loop: Header=BB17_3 Depth=1
	s_delay_alu instid0(SALU_CYCLE_1)
	s_or_b32 exec_lo, exec_lo, s64
	s_and_saveexec_b32 s64, s91
	s_cbranch_execz .LBB17_333
; %bb.332:                              ;   in Loop: Header=BB17_3 Depth=1
	ds_load_b32 v26, v3 offset:11700
	s_wait_dscnt 0x0
	v_mul_f32_e32 v2, v2, v26
	s_delay_alu instid0(VALU_DEP_1)
	v_xor_b32_e32 v26, 0x80000000, v2
	ds_store_b32 v5, v26
.LBB17_333:                             ;   in Loop: Header=BB17_3 Depth=1
	s_or_b32 exec_lo, exec_lo, s64
	s_wait_loadcnt_dscnt 0x0
	s_barrier_signal -1
	s_barrier_wait -1
	s_and_saveexec_b32 s64, s92
	s_cbranch_execz .LBB17_335
; %bb.334:                              ;   in Loop: Header=BB17_3 Depth=1
	ds_load_b32 v26, v3 offset:11696
	ds_load_b32 v27, v5
	s_wait_dscnt 0x0
	v_fma_f32 v2, -v26, v27, v2
.LBB17_335:                             ;   in Loop: Header=BB17_3 Depth=1
	s_or_b32 exec_lo, exec_lo, s64
	s_barrier_signal -1
	s_barrier_wait -1
	s_and_saveexec_b32 s64, s92
	s_cbranch_execz .LBB17_337
; %bb.336:                              ;   in Loop: Header=BB17_3 Depth=1
	ds_load_b32 v26, v3 offset:11440
	s_wait_dscnt 0x0
	v_mul_f32_e32 v2, v2, v26
	s_delay_alu instid0(VALU_DEP_1)
	v_xor_b32_e32 v26, 0x80000000, v2
	ds_store_b32 v5, v26
.LBB17_337:                             ;   in Loop: Header=BB17_3 Depth=1
	s_or_b32 exec_lo, exec_lo, s64
	s_wait_dscnt 0x0
	s_barrier_signal -1
	s_barrier_wait -1
	s_barrier_signal -1
	s_barrier_wait -1
	s_and_saveexec_b32 s64, s0
; %bb.338:                              ;   in Loop: Header=BB17_3 Depth=1
	ds_store_b32 v33, v2 offset:12208
; %bb.339:                              ;   in Loop: Header=BB17_3 Depth=1
	s_or_b32 exec_lo, exec_lo, s64
	s_wait_dscnt 0x0
	s_barrier_signal -1
	s_barrier_wait -1
	s_barrier_signal -1
	s_barrier_wait -1
	s_and_saveexec_b32 s64, s93
	s_cbranch_execz .LBB17_341
; %bb.340:                              ;   in Loop: Header=BB17_3 Depth=1
	ds_load_b32 v2, v34 offset:11952
	s_wait_dscnt 0x0
	ds_store_b32 v32, v2 offset:11448
	ds_load_b32 v2, v34 offset:11956
	s_wait_dscnt 0x0
	ds_store_b32 v32, v2 offset:11704
.LBB17_341:                             ;   in Loop: Header=BB17_3 Depth=1
	s_or_b32 exec_lo, exec_lo, s64
	s_wait_dscnt 0x0
	s_barrier_signal -1
	s_barrier_wait -1
	s_and_saveexec_b32 s64, s15
	s_cbranch_execz .LBB17_343
; %bb.342:                              ;   in Loop: Header=BB17_3 Depth=1
	ds_load_b64 v[26:27], v3 offset:11696
	ds_load_b32 v2, v3 offset:11440
	s_wait_dscnt 0x0
	v_mul_f32_e32 v2, v2, v27
	s_delay_alu instid0(VALU_DEP_1)
	v_mul_f32_e32 v2, v26, v2
	v_add_nc_u32_e64 v26, 0x2c00, 0
	ds_store_2addr_b32 v26, v2, v2 offset0:45 offset1:108
.LBB17_343:                             ;   in Loop: Header=BB17_3 Depth=1
	s_or_b32 exec_lo, exec_lo, s64
	v_mov_b32_e32 v2, 0
	s_wait_dscnt 0x0
	s_barrier_signal -1
	s_barrier_wait -1
	global_wb scope:SCOPE_DEV
	s_wait_storecnt 0x0
	global_inv scope:SCOPE_DEV
	s_and_saveexec_b32 s64, s2
	s_cbranch_execz .LBB17_349
; %bb.344:                              ;   in Loop: Header=BB17_3 Depth=1
	ds_load_b32 v2, v37 offset:11424
	ds_load_b32 v26, v36 offset:12208
	s_wait_dscnt 0x0
	v_fma_f32 v2, v2, v26, 0
	s_and_saveexec_b32 s65, s17
	s_cbranch_execnz .LBB17_1221
; %bb.345:                              ;   in Loop: Header=BB17_3 Depth=1
	s_or_b32 exec_lo, exec_lo, s65
	s_and_saveexec_b32 s65, s18
	s_cbranch_execnz .LBB17_1222
.LBB17_346:                             ;   in Loop: Header=BB17_3 Depth=1
	s_or_b32 exec_lo, exec_lo, s65
	s_and_saveexec_b32 s65, s0
	s_cbranch_execz .LBB17_348
.LBB17_347:                             ;   in Loop: Header=BB17_3 Depth=1
	ds_load_b32 v26, v38 offset:12192
	ds_load_b32 v27, v3 offset:12220
	s_wait_dscnt 0x0
	v_fmac_f32_e32 v2, v26, v27
.LBB17_348:                             ;   in Loop: Header=BB17_3 Depth=1
	s_or_b32 exec_lo, exec_lo, s65
.LBB17_349:                             ;   in Loop: Header=BB17_3 Depth=1
	s_delay_alu instid0(SALU_CYCLE_1)
	s_or_b32 exec_lo, exec_lo, s64
	s_and_saveexec_b32 s64, s94
	s_cbranch_execz .LBB17_351
; %bb.350:                              ;   in Loop: Header=BB17_3 Depth=1
	ds_load_b32 v26, v3 offset:11180
	s_wait_dscnt 0x0
	v_mul_f32_e32 v2, v2, v26
	s_delay_alu instid0(VALU_DEP_1)
	v_xor_b32_e32 v26, 0x80000000, v2
	ds_store_b32 v35, v26
.LBB17_351:                             ;   in Loop: Header=BB17_3 Depth=1
	s_or_b32 exec_lo, exec_lo, s64
	s_wait_loadcnt_dscnt 0x0
	s_barrier_signal -1
	s_barrier_wait -1
	s_and_saveexec_b32 s64, s95
	s_cbranch_execz .LBB17_353
; %bb.352:                              ;   in Loop: Header=BB17_3 Depth=1
	ds_load_b32 v26, v37 offset:11168
	ds_load_b32 v27, v35
	s_wait_dscnt 0x0
	v_fma_f32 v2, -v26, v27, v2
.LBB17_353:                             ;   in Loop: Header=BB17_3 Depth=1
	s_or_b32 exec_lo, exec_lo, s64
	s_barrier_signal -1
	s_barrier_wait -1
	s_and_saveexec_b32 s64, s96
	s_cbranch_execz .LBB17_355
; %bb.354:                              ;   in Loop: Header=BB17_3 Depth=1
	ds_load_b32 v26, v3 offset:10920
	s_wait_dscnt 0x0
	v_mul_f32_e32 v2, v2, v26
	s_delay_alu instid0(VALU_DEP_1)
	v_xor_b32_e32 v26, 0x80000000, v2
	ds_store_b32 v35, v26
.LBB17_355:                             ;   in Loop: Header=BB17_3 Depth=1
	s_or_b32 exec_lo, exec_lo, s64
	s_wait_dscnt 0x0
	s_barrier_signal -1
	s_barrier_wait -1
	s_and_saveexec_b32 s64, s97
	s_cbranch_execz .LBB17_357
; %bb.356:                              ;   in Loop: Header=BB17_3 Depth=1
	ds_load_b32 v26, v37 offset:10912
	ds_load_b32 v27, v35
	s_wait_dscnt 0x0
	v_fma_f32 v2, -v26, v27, v2
.LBB17_357:                             ;   in Loop: Header=BB17_3 Depth=1
	s_or_b32 exec_lo, exec_lo, s64
	s_barrier_signal -1
	s_barrier_wait -1
	s_and_saveexec_b32 s64, s98
	s_cbranch_execz .LBB17_359
; %bb.358:                              ;   in Loop: Header=BB17_3 Depth=1
	ds_load_b32 v26, v3 offset:10660
	s_wait_dscnt 0x0
	v_mul_f32_e32 v2, v2, v26
	s_delay_alu instid0(VALU_DEP_1)
	v_xor_b32_e32 v26, 0x80000000, v2
	ds_store_b32 v35, v26
.LBB17_359:                             ;   in Loop: Header=BB17_3 Depth=1
	s_or_b32 exec_lo, exec_lo, s64
	s_wait_dscnt 0x0
	;; [unrolled: 25-line block ×3, first 2 shown]
	s_barrier_signal -1
	s_barrier_wait -1
	s_barrier_signal -1
	s_barrier_wait -1
	s_and_saveexec_b32 s64, s2
; %bb.364:                              ;   in Loop: Header=BB17_3 Depth=1
	ds_store_b32 v41, v2 offset:12192
; %bb.365:                              ;   in Loop: Header=BB17_3 Depth=1
	s_or_b32 exec_lo, exec_lo, s64
	s_wait_dscnt 0x0
	s_barrier_signal -1
	s_barrier_wait -1
	s_barrier_signal -1
	s_barrier_wait -1
	s_and_saveexec_b32 s64, s100
	s_cbranch_execz .LBB17_367
; %bb.366:                              ;   in Loop: Header=BB17_3 Depth=1
	ds_load_b32 v2, v39 offset:11424
	s_wait_dscnt 0x0
	ds_store_b32 v40, v2 offset:10416
	ds_load_b32 v2, v39 offset:11428
	s_wait_dscnt 0x0
	ds_store_b32 v40, v2 offset:10672
	;; [unrolled: 3-line block ×4, first 2 shown]
.LBB17_367:                             ;   in Loop: Header=BB17_3 Depth=1
	s_or_b32 exec_lo, exec_lo, s64
	s_wait_dscnt 0x0
	s_barrier_signal -1
	s_barrier_wait -1
	s_and_saveexec_b32 s64, s15
	s_cbranch_execz .LBB17_369
; %bb.368:                              ;   in Loop: Header=BB17_3 Depth=1
	ds_load_b64 v[26:27], v3 offset:11176
	ds_load_b32 v2, v3 offset:10920
	s_wait_dscnt 0x0
	v_mul_f32_e32 v2, v2, v27
	s_delay_alu instid0(VALU_DEP_1)
	v_mul_f32_e32 v2, v26, v2
	v_add_nc_u32_e64 v26, 0x2800, 0
	ds_store_2addr_b32 v26, v2, v2 offset0:171 offset1:234
.LBB17_369:                             ;   in Loop: Header=BB17_3 Depth=1
	s_or_b32 exec_lo, exec_lo, s64
	v_mov_b32_e32 v2, 0
	s_wait_dscnt 0x0
	s_barrier_signal -1
	s_barrier_wait -1
	global_wb scope:SCOPE_DEV
	s_wait_storecnt 0x0
	global_inv scope:SCOPE_DEV
	s_and_saveexec_b32 s64, s0
	s_cbranch_execz .LBB17_373
; %bb.370:                              ;   in Loop: Header=BB17_3 Depth=1
	ds_load_b32 v2, v31 offset:10912
	ds_load_b32 v26, v30 offset:11176
	s_wait_dscnt 0x0
	v_fma_f32 v2, v2, v26, 0
	s_and_saveexec_b32 s65, s16
	s_cbranch_execz .LBB17_372
; %bb.371:                              ;   in Loop: Header=BB17_3 Depth=1
	ds_load_b32 v26, v40 offset:11168
	ds_load_b32 v27, v3 offset:11180
	s_wait_dscnt 0x0
	v_fmac_f32_e32 v2, v26, v27
.LBB17_372:                             ;   in Loop: Header=BB17_3 Depth=1
	s_or_b32 exec_lo, exec_lo, s65
.LBB17_373:                             ;   in Loop: Header=BB17_3 Depth=1
	s_delay_alu instid0(SALU_CYCLE_1)
	s_or_b32 exec_lo, exec_lo, s64
	s_and_saveexec_b32 s64, s91
	s_cbranch_execz .LBB17_375
; %bb.374:                              ;   in Loop: Header=BB17_3 Depth=1
	ds_load_b32 v26, v3 offset:10660
	s_wait_dscnt 0x0
	v_mul_f32_e32 v2, v2, v26
	s_delay_alu instid0(VALU_DEP_1)
	v_xor_b32_e32 v26, 0x80000000, v2
	ds_store_b32 v5, v26
.LBB17_375:                             ;   in Loop: Header=BB17_3 Depth=1
	s_or_b32 exec_lo, exec_lo, s64
	s_wait_loadcnt_dscnt 0x0
	s_barrier_signal -1
	s_barrier_wait -1
	s_and_saveexec_b32 s64, s92
	s_cbranch_execz .LBB17_377
; %bb.376:                              ;   in Loop: Header=BB17_3 Depth=1
	ds_load_b32 v26, v3 offset:10656
	ds_load_b32 v27, v5
	s_wait_dscnt 0x0
	v_fma_f32 v2, -v26, v27, v2
.LBB17_377:                             ;   in Loop: Header=BB17_3 Depth=1
	s_or_b32 exec_lo, exec_lo, s64
	s_barrier_signal -1
	s_barrier_wait -1
	s_and_saveexec_b32 s64, s92
	s_cbranch_execz .LBB17_379
; %bb.378:                              ;   in Loop: Header=BB17_3 Depth=1
	ds_load_b32 v26, v3 offset:10400
	s_wait_dscnt 0x0
	v_mul_f32_e32 v2, v2, v26
	s_delay_alu instid0(VALU_DEP_1)
	v_xor_b32_e32 v26, 0x80000000, v2
	ds_store_b32 v5, v26
.LBB17_379:                             ;   in Loop: Header=BB17_3 Depth=1
	s_or_b32 exec_lo, exec_lo, s64
	s_wait_dscnt 0x0
	s_barrier_signal -1
	s_barrier_wait -1
	s_barrier_signal -1
	s_barrier_wait -1
	s_and_saveexec_b32 s64, s0
; %bb.380:                              ;   in Loop: Header=BB17_3 Depth=1
	ds_store_b32 v33, v2 offset:11168
; %bb.381:                              ;   in Loop: Header=BB17_3 Depth=1
	s_or_b32 exec_lo, exec_lo, s64
	s_wait_dscnt 0x0
	s_barrier_signal -1
	s_barrier_wait -1
	s_barrier_signal -1
	s_barrier_wait -1
	s_and_saveexec_b32 s64, s93
	s_cbranch_execz .LBB17_383
; %bb.382:                              ;   in Loop: Header=BB17_3 Depth=1
	ds_load_b32 v2, v42 offset:10912
	s_wait_dscnt 0x0
	ds_store_b32 v40, v2 offset:10408
	ds_load_b32 v2, v42 offset:10916
	s_wait_dscnt 0x0
	ds_store_b32 v40, v2 offset:10664
.LBB17_383:                             ;   in Loop: Header=BB17_3 Depth=1
	s_or_b32 exec_lo, exec_lo, s64
	s_wait_dscnt 0x0
	s_barrier_signal -1
	s_barrier_wait -1
	s_and_saveexec_b32 s64, s15
	s_cbranch_execz .LBB17_385
; %bb.384:                              ;   in Loop: Header=BB17_3 Depth=1
	ds_load_b64 v[26:27], v3 offset:10656
	ds_load_b32 v2, v3 offset:10400
	s_wait_dscnt 0x0
	v_mul_f32_e32 v2, v2, v27
	s_delay_alu instid0(VALU_DEP_1)
	v_mul_f32_e32 v2, v26, v2
	v_add_nc_u32_e64 v26, 0x2800, 0
	ds_store_2addr_b32 v26, v2, v2 offset0:41 offset1:104
.LBB17_385:                             ;   in Loop: Header=BB17_3 Depth=1
	s_or_b32 exec_lo, exec_lo, s64
	v_mov_b32_e32 v2, 0
	s_wait_dscnt 0x0
	s_barrier_signal -1
	s_barrier_wait -1
	global_wb scope:SCOPE_DEV
	s_wait_storecnt 0x0
	global_inv scope:SCOPE_DEV
	s_and_saveexec_b32 s64, s3
	s_cbranch_execz .LBB17_395
; %bb.386:                              ;   in Loop: Header=BB17_3 Depth=1
	ds_load_b32 v2, v45 offset:10368
	ds_load_b32 v26, v44 offset:12192
	s_wait_dscnt 0x0
	v_fma_f32 v2, v2, v26, 0
	s_and_saveexec_b32 s65, s19
	s_cbranch_execnz .LBB17_1223
; %bb.387:                              ;   in Loop: Header=BB17_3 Depth=1
	s_or_b32 exec_lo, exec_lo, s65
	s_and_saveexec_b32 s65, s20
	s_cbranch_execnz .LBB17_1224
.LBB17_388:                             ;   in Loop: Header=BB17_3 Depth=1
	s_or_b32 exec_lo, exec_lo, s65
	s_and_saveexec_b32 s65, s21
	s_cbranch_execnz .LBB17_1225
.LBB17_389:                             ;   in Loop: Header=BB17_3 Depth=1
	s_or_b32 exec_lo, exec_lo, s65
	s_and_saveexec_b32 s65, s22
	s_cbranch_execnz .LBB17_1226
.LBB17_390:                             ;   in Loop: Header=BB17_3 Depth=1
	s_or_b32 exec_lo, exec_lo, s65
	s_and_saveexec_b32 s65, s23
	s_cbranch_execnz .LBB17_1227
.LBB17_391:                             ;   in Loop: Header=BB17_3 Depth=1
	s_or_b32 exec_lo, exec_lo, s65
	s_and_saveexec_b32 s65, s2
	s_cbranch_execnz .LBB17_1228
.LBB17_392:                             ;   in Loop: Header=BB17_3 Depth=1
	s_or_b32 exec_lo, exec_lo, s65
	s_and_saveexec_b32 s65, s18
	s_cbranch_execz .LBB17_394
.LBB17_393:                             ;   in Loop: Header=BB17_3 Depth=1
	ds_load_b32 v26, v46 offset:12160
	ds_load_b32 v27, v3 offset:12220
	s_wait_dscnt 0x0
	v_fmac_f32_e32 v2, v26, v27
.LBB17_394:                             ;   in Loop: Header=BB17_3 Depth=1
	s_or_b32 exec_lo, exec_lo, s65
.LBB17_395:                             ;   in Loop: Header=BB17_3 Depth=1
	s_delay_alu instid0(SALU_CYCLE_1)
	s_or_b32 exec_lo, exec_lo, s64
	s_and_saveexec_b32 s64, s101
	s_cbranch_execz .LBB17_397
; %bb.396:                              ;   in Loop: Header=BB17_3 Depth=1
	ds_load_b32 v26, v3 offset:10140
	s_wait_dscnt 0x0
	v_mul_f32_e32 v2, v2, v26
	s_delay_alu instid0(VALU_DEP_1)
	v_xor_b32_e32 v26, 0x80000000, v2
	ds_store_b32 v43, v26
.LBB17_397:                             ;   in Loop: Header=BB17_3 Depth=1
	s_or_b32 exec_lo, exec_lo, s64
	s_wait_loadcnt_dscnt 0x0
	s_barrier_signal -1
	s_barrier_wait -1
	s_and_saveexec_b32 s64, s102
	s_cbranch_execz .LBB17_399
; %bb.398:                              ;   in Loop: Header=BB17_3 Depth=1
	ds_load_b32 v26, v45 offset:10112
	ds_load_b32 v27, v43
	s_wait_dscnt 0x0
	v_fma_f32 v2, -v26, v27, v2
.LBB17_399:                             ;   in Loop: Header=BB17_3 Depth=1
	s_or_b32 exec_lo, exec_lo, s64
	s_barrier_signal -1
	s_barrier_wait -1
	s_and_saveexec_b32 s64, s103
	s_cbranch_execz .LBB17_401
; %bb.400:                              ;   in Loop: Header=BB17_3 Depth=1
	ds_load_b32 v26, v3 offset:9880
	s_wait_dscnt 0x0
	v_mul_f32_e32 v2, v2, v26
	s_delay_alu instid0(VALU_DEP_1)
	v_xor_b32_e32 v26, 0x80000000, v2
	ds_store_b32 v43, v26
.LBB17_401:                             ;   in Loop: Header=BB17_3 Depth=1
	s_or_b32 exec_lo, exec_lo, s64
	s_wait_dscnt 0x0
	s_barrier_signal -1
	s_barrier_wait -1
	s_and_saveexec_b32 s64, s104
	s_cbranch_execz .LBB17_403
; %bb.402:                              ;   in Loop: Header=BB17_3 Depth=1
	ds_load_b32 v26, v45 offset:9856
	ds_load_b32 v27, v43
	s_wait_dscnt 0x0
	v_fma_f32 v2, -v26, v27, v2
.LBB17_403:                             ;   in Loop: Header=BB17_3 Depth=1
	s_or_b32 exec_lo, exec_lo, s64
	s_barrier_signal -1
	s_barrier_wait -1
	s_and_saveexec_b32 s64, vcc_hi
	s_cbranch_execz .LBB17_405
; %bb.404:                              ;   in Loop: Header=BB17_3 Depth=1
	ds_load_b32 v26, v3 offset:9620
	s_wait_dscnt 0x0
	v_mul_f32_e32 v2, v2, v26
	s_delay_alu instid0(VALU_DEP_1)
	v_xor_b32_e32 v26, 0x80000000, v2
	ds_store_b32 v43, v26
.LBB17_405:                             ;   in Loop: Header=BB17_3 Depth=1
	s_or_b32 exec_lo, exec_lo, s64
	s_wait_dscnt 0x0
	s_barrier_signal -1
	s_barrier_wait -1
	s_and_saveexec_b32 s64, s36
	s_cbranch_execz .LBB17_407
; %bb.406:                              ;   in Loop: Header=BB17_3 Depth=1
	ds_load_b32 v26, v45 offset:9600
	ds_load_b32 v27, v43
	s_wait_dscnt 0x0
	v_fma_f32 v2, -v26, v27, v2
.LBB17_407:                             ;   in Loop: Header=BB17_3 Depth=1
	s_or_b32 exec_lo, exec_lo, s64
	s_barrier_signal -1
	s_barrier_wait -1
	s_and_saveexec_b32 s64, s37
	s_cbranch_execz .LBB17_409
; %bb.408:                              ;   in Loop: Header=BB17_3 Depth=1
	ds_load_b32 v26, v3 offset:9360
	s_wait_dscnt 0x0
	v_mul_f32_e32 v2, v2, v26
	s_delay_alu instid0(VALU_DEP_1)
	v_xor_b32_e32 v26, 0x80000000, v2
	ds_store_b32 v43, v26
.LBB17_409:                             ;   in Loop: Header=BB17_3 Depth=1
	s_or_b32 exec_lo, exec_lo, s64
	s_wait_dscnt 0x0
	s_barrier_signal -1
	s_barrier_wait -1
	s_and_saveexec_b32 s64, s38
	s_cbranch_execz .LBB17_411
; %bb.410:                              ;   in Loop: Header=BB17_3 Depth=1
	ds_load_b32 v26, v45 offset:9344
	ds_load_b32 v27, v43
	s_wait_dscnt 0x0
	v_fma_f32 v2, -v26, v27, v2
.LBB17_411:                             ;   in Loop: Header=BB17_3 Depth=1
	s_or_b32 exec_lo, exec_lo, s64
	s_barrier_signal -1
	s_barrier_wait -1
	s_and_saveexec_b32 s64, s39
	;; [unrolled: 25-line block ×5, first 2 shown]
	s_cbranch_execz .LBB17_425
; %bb.424:                              ;   in Loop: Header=BB17_3 Depth=1
	ds_load_b32 v26, v3 offset:8320
	s_wait_dscnt 0x0
	v_mul_f32_e32 v2, v2, v26
	s_delay_alu instid0(VALU_DEP_1)
	v_xor_b32_e32 v26, 0x80000000, v2
	ds_store_b32 v43, v26
.LBB17_425:                             ;   in Loop: Header=BB17_3 Depth=1
	s_or_b32 exec_lo, exec_lo, s64
	s_wait_dscnt 0x0
	s_barrier_signal -1
	s_barrier_wait -1
	s_barrier_signal -1
	s_barrier_wait -1
	s_and_saveexec_b32 s64, s3
; %bb.426:                              ;   in Loop: Header=BB17_3 Depth=1
	ds_store_b32 v48, v2 offset:12160
; %bb.427:                              ;   in Loop: Header=BB17_3 Depth=1
	s_or_b32 exec_lo, exec_lo, s64
	s_wait_dscnt 0x0
	s_barrier_signal -1
	s_barrier_wait -1
	s_barrier_signal -1
	s_barrier_wait -1
	s_and_saveexec_b32 s64, s45
	s_cbranch_execz .LBB17_429
; %bb.428:                              ;   in Loop: Header=BB17_3 Depth=1
	ds_load_b32 v2, v47 offset:10368
	s_wait_dscnt 0x0
	ds_store_b32 v49, v2 offset:8352
	ds_load_b32 v2, v47 offset:10372
	s_wait_dscnt 0x0
	ds_store_b32 v49, v2 offset:8608
	;; [unrolled: 3-line block ×8, first 2 shown]
.LBB17_429:                             ;   in Loop: Header=BB17_3 Depth=1
	s_or_b32 exec_lo, exec_lo, s64
	s_wait_dscnt 0x0
	s_barrier_signal -1
	s_barrier_wait -1
	s_and_saveexec_b32 s64, s15
	s_cbranch_execz .LBB17_431
; %bb.430:                              ;   in Loop: Header=BB17_3 Depth=1
	ds_load_b64 v[26:27], v3 offset:10136
	ds_load_b32 v2, v3 offset:9880
	s_wait_dscnt 0x0
	v_mul_f32_e32 v2, v2, v27
	s_delay_alu instid0(VALU_DEP_1)
	v_mul_f32_e32 v2, v26, v2
	v_add_nc_u32_e64 v26, 0x2400, 0
	ds_store_2addr_b32 v26, v2, v2 offset0:167 offset1:230
.LBB17_431:                             ;   in Loop: Header=BB17_3 Depth=1
	s_or_b32 exec_lo, exec_lo, s64
	v_mov_b32_e32 v2, 0
	s_wait_dscnt 0x0
	s_barrier_signal -1
	s_barrier_wait -1
	global_wb scope:SCOPE_DEV
	s_wait_storecnt 0x0
	global_inv scope:SCOPE_DEV
	s_and_saveexec_b32 s64, s0
	s_cbranch_execz .LBB17_435
; %bb.432:                              ;   in Loop: Header=BB17_3 Depth=1
	ds_load_b32 v2, v31 offset:9872
	ds_load_b32 v26, v30 offset:10136
	s_wait_dscnt 0x0
	v_fma_f32 v2, v2, v26, 0
	s_and_saveexec_b32 s65, s16
	s_cbranch_execz .LBB17_434
; %bb.433:                              ;   in Loop: Header=BB17_3 Depth=1
	ds_load_b32 v26, v49 offset:10128
	ds_load_b32 v27, v3 offset:10140
	s_wait_dscnt 0x0
	v_fmac_f32_e32 v2, v26, v27
.LBB17_434:                             ;   in Loop: Header=BB17_3 Depth=1
	s_or_b32 exec_lo, exec_lo, s65
.LBB17_435:                             ;   in Loop: Header=BB17_3 Depth=1
	s_delay_alu instid0(SALU_CYCLE_1)
	s_or_b32 exec_lo, exec_lo, s64
	s_and_saveexec_b32 s64, s91
	s_cbranch_execz .LBB17_437
; %bb.436:                              ;   in Loop: Header=BB17_3 Depth=1
	ds_load_b32 v26, v3 offset:9620
	s_wait_dscnt 0x0
	v_mul_f32_e32 v2, v2, v26
	s_delay_alu instid0(VALU_DEP_1)
	v_xor_b32_e32 v26, 0x80000000, v2
	ds_store_b32 v5, v26
.LBB17_437:                             ;   in Loop: Header=BB17_3 Depth=1
	s_or_b32 exec_lo, exec_lo, s64
	s_wait_loadcnt_dscnt 0x0
	s_barrier_signal -1
	s_barrier_wait -1
	s_and_saveexec_b32 s64, s92
	s_cbranch_execz .LBB17_439
; %bb.438:                              ;   in Loop: Header=BB17_3 Depth=1
	ds_load_b32 v26, v3 offset:9616
	ds_load_b32 v27, v5
	s_wait_dscnt 0x0
	v_fma_f32 v2, -v26, v27, v2
.LBB17_439:                             ;   in Loop: Header=BB17_3 Depth=1
	s_or_b32 exec_lo, exec_lo, s64
	s_barrier_signal -1
	s_barrier_wait -1
	s_and_saveexec_b32 s64, s92
	s_cbranch_execz .LBB17_441
; %bb.440:                              ;   in Loop: Header=BB17_3 Depth=1
	ds_load_b32 v26, v3 offset:9360
	s_wait_dscnt 0x0
	v_mul_f32_e32 v2, v2, v26
	s_delay_alu instid0(VALU_DEP_1)
	v_xor_b32_e32 v26, 0x80000000, v2
	ds_store_b32 v5, v26
.LBB17_441:                             ;   in Loop: Header=BB17_3 Depth=1
	s_or_b32 exec_lo, exec_lo, s64
	s_wait_dscnt 0x0
	s_barrier_signal -1
	s_barrier_wait -1
	s_barrier_signal -1
	s_barrier_wait -1
	s_and_saveexec_b32 s64, s0
; %bb.442:                              ;   in Loop: Header=BB17_3 Depth=1
	ds_store_b32 v33, v2 offset:10128
; %bb.443:                              ;   in Loop: Header=BB17_3 Depth=1
	s_or_b32 exec_lo, exec_lo, s64
	s_wait_dscnt 0x0
	s_barrier_signal -1
	s_barrier_wait -1
	s_barrier_signal -1
	s_barrier_wait -1
	s_and_saveexec_b32 s64, s93
	s_cbranch_execz .LBB17_445
; %bb.444:                              ;   in Loop: Header=BB17_3 Depth=1
	ds_load_b32 v2, v54 offset:9872
	s_wait_dscnt 0x0
	ds_store_b32 v49, v2 offset:9368
	ds_load_b32 v2, v54 offset:9876
	s_wait_dscnt 0x0
	ds_store_b32 v49, v2 offset:9624
.LBB17_445:                             ;   in Loop: Header=BB17_3 Depth=1
	s_or_b32 exec_lo, exec_lo, s64
	s_wait_dscnt 0x0
	s_barrier_signal -1
	s_barrier_wait -1
	s_and_saveexec_b32 s64, s15
	s_cbranch_execz .LBB17_447
; %bb.446:                              ;   in Loop: Header=BB17_3 Depth=1
	ds_load_b64 v[26:27], v3 offset:9616
	ds_load_b32 v2, v3 offset:9360
	s_wait_dscnt 0x0
	v_mul_f32_e32 v2, v2, v27
	s_delay_alu instid0(VALU_DEP_1)
	v_mul_f32_e32 v2, v26, v2
	v_add_nc_u32_e64 v26, 0x2400, 0
	ds_store_2addr_b32 v26, v2, v2 offset0:37 offset1:100
.LBB17_447:                             ;   in Loop: Header=BB17_3 Depth=1
	s_or_b32 exec_lo, exec_lo, s64
	v_mov_b32_e32 v2, 0
	s_wait_dscnt 0x0
	s_barrier_signal -1
	s_barrier_wait -1
	global_wb scope:SCOPE_DEV
	s_wait_storecnt 0x0
	global_inv scope:SCOPE_DEV
	s_and_saveexec_b32 s64, s2
	s_cbranch_execz .LBB17_453
; %bb.448:                              ;   in Loop: Header=BB17_3 Depth=1
	ds_load_b32 v2, v37 offset:9344
	ds_load_b32 v26, v36 offset:10128
	s_wait_dscnt 0x0
	v_fma_f32 v2, v2, v26, 0
	s_and_saveexec_b32 s65, s17
	s_cbranch_execnz .LBB17_1229
; %bb.449:                              ;   in Loop: Header=BB17_3 Depth=1
	s_or_b32 exec_lo, exec_lo, s65
	s_and_saveexec_b32 s65, s18
	s_cbranch_execnz .LBB17_1230
.LBB17_450:                             ;   in Loop: Header=BB17_3 Depth=1
	s_or_b32 exec_lo, exec_lo, s65
	s_and_saveexec_b32 s65, s0
	s_cbranch_execz .LBB17_452
.LBB17_451:                             ;   in Loop: Header=BB17_3 Depth=1
	ds_load_b32 v26, v55 offset:10112
	ds_load_b32 v27, v3 offset:10140
	s_wait_dscnt 0x0
	v_fmac_f32_e32 v2, v26, v27
.LBB17_452:                             ;   in Loop: Header=BB17_3 Depth=1
	s_or_b32 exec_lo, exec_lo, s65
.LBB17_453:                             ;   in Loop: Header=BB17_3 Depth=1
	s_delay_alu instid0(SALU_CYCLE_1)
	s_or_b32 exec_lo, exec_lo, s64
	s_and_saveexec_b32 s64, s94
	s_cbranch_execz .LBB17_455
; %bb.454:                              ;   in Loop: Header=BB17_3 Depth=1
	ds_load_b32 v26, v3 offset:9100
	s_wait_dscnt 0x0
	v_mul_f32_e32 v2, v2, v26
	s_delay_alu instid0(VALU_DEP_1)
	v_xor_b32_e32 v26, 0x80000000, v2
	ds_store_b32 v35, v26
.LBB17_455:                             ;   in Loop: Header=BB17_3 Depth=1
	s_or_b32 exec_lo, exec_lo, s64
	s_wait_loadcnt_dscnt 0x0
	s_barrier_signal -1
	s_barrier_wait -1
	s_and_saveexec_b32 s64, s95
	s_cbranch_execz .LBB17_457
; %bb.456:                              ;   in Loop: Header=BB17_3 Depth=1
	ds_load_b32 v26, v37 offset:9088
	ds_load_b32 v27, v35
	s_wait_dscnt 0x0
	v_fma_f32 v2, -v26, v27, v2
.LBB17_457:                             ;   in Loop: Header=BB17_3 Depth=1
	s_or_b32 exec_lo, exec_lo, s64
	s_barrier_signal -1
	s_barrier_wait -1
	s_and_saveexec_b32 s64, s96
	s_cbranch_execz .LBB17_459
; %bb.458:                              ;   in Loop: Header=BB17_3 Depth=1
	ds_load_b32 v26, v3 offset:8840
	s_wait_dscnt 0x0
	v_mul_f32_e32 v2, v2, v26
	s_delay_alu instid0(VALU_DEP_1)
	v_xor_b32_e32 v26, 0x80000000, v2
	ds_store_b32 v35, v26
.LBB17_459:                             ;   in Loop: Header=BB17_3 Depth=1
	s_or_b32 exec_lo, exec_lo, s64
	s_wait_dscnt 0x0
	s_barrier_signal -1
	s_barrier_wait -1
	s_and_saveexec_b32 s64, s97
	s_cbranch_execz .LBB17_461
; %bb.460:                              ;   in Loop: Header=BB17_3 Depth=1
	ds_load_b32 v26, v37 offset:8832
	ds_load_b32 v27, v35
	s_wait_dscnt 0x0
	v_fma_f32 v2, -v26, v27, v2
.LBB17_461:                             ;   in Loop: Header=BB17_3 Depth=1
	s_or_b32 exec_lo, exec_lo, s64
	s_barrier_signal -1
	s_barrier_wait -1
	s_and_saveexec_b32 s64, s98
	s_cbranch_execz .LBB17_463
; %bb.462:                              ;   in Loop: Header=BB17_3 Depth=1
	ds_load_b32 v26, v3 offset:8580
	s_wait_dscnt 0x0
	v_mul_f32_e32 v2, v2, v26
	s_delay_alu instid0(VALU_DEP_1)
	v_xor_b32_e32 v26, 0x80000000, v2
	ds_store_b32 v35, v26
.LBB17_463:                             ;   in Loop: Header=BB17_3 Depth=1
	s_or_b32 exec_lo, exec_lo, s64
	s_wait_dscnt 0x0
	;; [unrolled: 25-line block ×3, first 2 shown]
	s_barrier_signal -1
	s_barrier_wait -1
	s_barrier_signal -1
	s_barrier_wait -1
	s_and_saveexec_b32 s64, s2
; %bb.468:                              ;   in Loop: Header=BB17_3 Depth=1
	ds_store_b32 v41, v2 offset:10112
; %bb.469:                              ;   in Loop: Header=BB17_3 Depth=1
	s_or_b32 exec_lo, exec_lo, s64
	s_wait_dscnt 0x0
	s_barrier_signal -1
	s_barrier_wait -1
	s_barrier_signal -1
	s_barrier_wait -1
	s_and_saveexec_b32 s64, s100
	s_cbranch_execz .LBB17_471
; %bb.470:                              ;   in Loop: Header=BB17_3 Depth=1
	ds_load_b32 v2, v56 offset:9344
	s_wait_dscnt 0x0
	ds_store_b32 v57, v2 offset:8336
	ds_load_b32 v2, v56 offset:9348
	s_wait_dscnt 0x0
	ds_store_b32 v57, v2 offset:8592
	;; [unrolled: 3-line block ×4, first 2 shown]
.LBB17_471:                             ;   in Loop: Header=BB17_3 Depth=1
	s_or_b32 exec_lo, exec_lo, s64
	s_wait_dscnt 0x0
	s_barrier_signal -1
	s_barrier_wait -1
	s_and_saveexec_b32 s64, s15
	s_cbranch_execz .LBB17_473
; %bb.472:                              ;   in Loop: Header=BB17_3 Depth=1
	ds_load_b64 v[26:27], v3 offset:9096
	ds_load_b32 v2, v3 offset:8840
	s_wait_dscnt 0x0
	v_mul_f32_e32 v2, v2, v27
	s_delay_alu instid0(VALU_DEP_1)
	v_mul_f32_e32 v2, v26, v2
	v_add_nc_u32_e64 v26, 0x2000, 0
	ds_store_2addr_b32 v26, v2, v2 offset0:163 offset1:226
.LBB17_473:                             ;   in Loop: Header=BB17_3 Depth=1
	s_or_b32 exec_lo, exec_lo, s64
	v_mov_b32_e32 v2, 0
	s_wait_dscnt 0x0
	s_barrier_signal -1
	s_barrier_wait -1
	global_wb scope:SCOPE_DEV
	s_wait_storecnt 0x0
	global_inv scope:SCOPE_DEV
	s_and_saveexec_b32 s64, s0
	s_cbranch_execz .LBB17_477
; %bb.474:                              ;   in Loop: Header=BB17_3 Depth=1
	ds_load_b32 v2, v31 offset:8832
	ds_load_b32 v26, v30 offset:9096
	s_wait_dscnt 0x0
	v_fma_f32 v2, v2, v26, 0
	s_and_saveexec_b32 s65, s16
	s_cbranch_execz .LBB17_476
; %bb.475:                              ;   in Loop: Header=BB17_3 Depth=1
	ds_load_b32 v26, v57 offset:9088
	ds_load_b32 v27, v3 offset:9100
	s_wait_dscnt 0x0
	v_fmac_f32_e32 v2, v26, v27
.LBB17_476:                             ;   in Loop: Header=BB17_3 Depth=1
	s_or_b32 exec_lo, exec_lo, s65
.LBB17_477:                             ;   in Loop: Header=BB17_3 Depth=1
	s_delay_alu instid0(SALU_CYCLE_1)
	s_or_b32 exec_lo, exec_lo, s64
	s_and_saveexec_b32 s64, s91
	s_cbranch_execz .LBB17_479
; %bb.478:                              ;   in Loop: Header=BB17_3 Depth=1
	ds_load_b32 v26, v3 offset:8580
	s_wait_dscnt 0x0
	v_mul_f32_e32 v2, v2, v26
	s_delay_alu instid0(VALU_DEP_1)
	v_xor_b32_e32 v26, 0x80000000, v2
	ds_store_b32 v5, v26
.LBB17_479:                             ;   in Loop: Header=BB17_3 Depth=1
	s_or_b32 exec_lo, exec_lo, s64
	s_wait_loadcnt_dscnt 0x0
	s_barrier_signal -1
	s_barrier_wait -1
	s_and_saveexec_b32 s64, s92
	s_cbranch_execz .LBB17_481
; %bb.480:                              ;   in Loop: Header=BB17_3 Depth=1
	ds_load_b32 v26, v3 offset:8576
	ds_load_b32 v27, v5
	s_wait_dscnt 0x0
	v_fma_f32 v2, -v26, v27, v2
.LBB17_481:                             ;   in Loop: Header=BB17_3 Depth=1
	s_or_b32 exec_lo, exec_lo, s64
	s_barrier_signal -1
	s_barrier_wait -1
	s_and_saveexec_b32 s64, s92
	s_cbranch_execz .LBB17_483
; %bb.482:                              ;   in Loop: Header=BB17_3 Depth=1
	ds_load_b32 v26, v3 offset:8320
	s_wait_dscnt 0x0
	v_mul_f32_e32 v2, v2, v26
	s_delay_alu instid0(VALU_DEP_1)
	v_xor_b32_e32 v26, 0x80000000, v2
	ds_store_b32 v5, v26
.LBB17_483:                             ;   in Loop: Header=BB17_3 Depth=1
	s_or_b32 exec_lo, exec_lo, s64
	s_wait_dscnt 0x0
	s_barrier_signal -1
	s_barrier_wait -1
	s_barrier_signal -1
	s_barrier_wait -1
	s_and_saveexec_b32 s64, s0
; %bb.484:                              ;   in Loop: Header=BB17_3 Depth=1
	ds_store_b32 v33, v2 offset:9088
; %bb.485:                              ;   in Loop: Header=BB17_3 Depth=1
	s_or_b32 exec_lo, exec_lo, s64
	s_wait_dscnt 0x0
	s_barrier_signal -1
	s_barrier_wait -1
	s_barrier_signal -1
	s_barrier_wait -1
	s_and_saveexec_b32 s64, s93
	s_cbranch_execz .LBB17_487
; %bb.486:                              ;   in Loop: Header=BB17_3 Depth=1
	ds_load_b32 v2, v58 offset:8832
	s_wait_dscnt 0x0
	ds_store_b32 v57, v2 offset:8328
	ds_load_b32 v2, v58 offset:8836
	s_wait_dscnt 0x0
	ds_store_b32 v57, v2 offset:8584
.LBB17_487:                             ;   in Loop: Header=BB17_3 Depth=1
	s_or_b32 exec_lo, exec_lo, s64
	s_wait_dscnt 0x0
	s_barrier_signal -1
	s_barrier_wait -1
	s_and_saveexec_b32 s64, s15
	s_cbranch_execz .LBB17_489
; %bb.488:                              ;   in Loop: Header=BB17_3 Depth=1
	ds_load_b64 v[26:27], v3 offset:8576
	ds_load_b32 v2, v3 offset:8320
	s_wait_dscnt 0x0
	v_mul_f32_e32 v2, v2, v27
	s_delay_alu instid0(VALU_DEP_1)
	v_mul_f32_e32 v2, v26, v2
	v_add_nc_u32_e64 v26, 0x2000, 0
	ds_store_2addr_b32 v26, v2, v2 offset0:33 offset1:96
.LBB17_489:                             ;   in Loop: Header=BB17_3 Depth=1
	s_or_b32 exec_lo, exec_lo, s64
	v_mov_b32_e32 v2, 0
	s_wait_dscnt 0x0
	s_barrier_signal -1
	s_barrier_wait -1
	global_wb scope:SCOPE_DEV
	s_wait_storecnt 0x0
	global_inv scope:SCOPE_DEV
	s_and_saveexec_b32 s65, s5
	s_cbranch_execz .LBB17_551
; %bb.490:                              ;   in Loop: Header=BB17_3 Depth=1
	ds_load_b32 v2, v60 offset:8192
	ds_load_b32 v26, v59 offset:16256
	s_wait_dscnt 0x0
	v_fma_f32 v2, v2, v26, 0
	s_mov_b32 s64, exec_lo
	v_readlane_b32 s68, v84, 0
	s_and_b32 s68, s64, s68
	s_delay_alu instid0(SALU_CYCLE_1)
	s_mov_b32 exec_lo, s68
	s_cbranch_execz .LBB17_492
; %bb.491:                              ;   in Loop: Header=BB17_3 Depth=1
	ds_load_b32 v26, v60 offset:8448
	ds_load_b32 v27, v59 offset:16260
	s_wait_dscnt 0x0
	v_fmac_f32_e32 v2, v26, v27
.LBB17_492:                             ;   in Loop: Header=BB17_3 Depth=1
	s_or_b32 exec_lo, exec_lo, s64
	s_delay_alu instid0(SALU_CYCLE_1) | instskip(SKIP_2) | instid1(SALU_CYCLE_1)
	s_mov_b32 s64, exec_lo
	v_readlane_b32 s68, v84, 1
	s_and_b32 s68, s64, s68
	s_mov_b32 exec_lo, s68
	s_cbranch_execz .LBB17_494
; %bb.493:                              ;   in Loop: Header=BB17_3 Depth=1
	ds_load_b32 v26, v60 offset:8704
	ds_load_b32 v27, v59 offset:16264
	s_wait_dscnt 0x0
	v_fmac_f32_e32 v2, v26, v27
.LBB17_494:                             ;   in Loop: Header=BB17_3 Depth=1
	s_or_b32 exec_lo, exec_lo, s64
	s_delay_alu instid0(SALU_CYCLE_1) | instskip(SKIP_2) | instid1(SALU_CYCLE_1)
	s_mov_b32 s64, exec_lo
	v_readlane_b32 s68, v84, 2
	s_and_b32 s68, s64, s68
	;; [unrolled: 13-line block ×22, first 2 shown]
	s_mov_b32 exec_lo, s68
	s_cbranch_execz .LBB17_536
; %bb.535:                              ;   in Loop: Header=BB17_3 Depth=1
	ds_load_b32 v26, v60 offset:14080
	ds_load_b32 v27, v59 offset:16348
	s_wait_dscnt 0x0
	v_fmac_f32_e32 v2, v26, v27
.LBB17_536:                             ;   in Loop: Header=BB17_3 Depth=1
	s_or_b32 exec_lo, exec_lo, s64
	s_and_saveexec_b32 s64, s4
	s_cbranch_execz .LBB17_538
; %bb.537:                              ;   in Loop: Header=BB17_3 Depth=1
	ds_load_b32 v26, v60 offset:14336
	ds_load_b32 v27, v59 offset:16352
	s_wait_dscnt 0x0
	v_fmac_f32_e32 v2, v26, v27
.LBB17_538:                             ;   in Loop: Header=BB17_3 Depth=1
	s_or_b32 exec_lo, exec_lo, s64
	s_delay_alu instid0(SALU_CYCLE_1) | instskip(SKIP_2) | instid1(SALU_CYCLE_1)
	s_mov_b32 s64, exec_lo
	v_readlane_b32 s68, v85, 22
	s_and_b32 s68, s64, s68
	s_mov_b32 exec_lo, s68
	s_cbranch_execz .LBB17_540
; %bb.539:                              ;   in Loop: Header=BB17_3 Depth=1
	ds_load_b32 v26, v60 offset:14592
	ds_load_b32 v27, v59 offset:16356
	s_wait_dscnt 0x0
	v_fmac_f32_e32 v2, v26, v27
.LBB17_540:                             ;   in Loop: Header=BB17_3 Depth=1
	s_or_b32 exec_lo, exec_lo, s64
	s_delay_alu instid0(SALU_CYCLE_1) | instskip(SKIP_2) | instid1(SALU_CYCLE_1)
	s_mov_b32 s64, exec_lo
	v_readlane_b32 s68, v85, 24
	s_and_b32 s68, s64, s68
	s_mov_b32 exec_lo, s68
	;; [unrolled: 13-line block ×5, first 2 shown]
	s_cbranch_execnz .LBB17_1231
; %bb.547:                              ;   in Loop: Header=BB17_3 Depth=1
	s_or_b32 exec_lo, exec_lo, s64
	s_and_saveexec_b32 s64, s3
	s_cbranch_execnz .LBB17_1232
.LBB17_548:                             ;   in Loop: Header=BB17_3 Depth=1
	s_or_b32 exec_lo, exec_lo, s64
	s_and_saveexec_b32 s64, s22
	s_cbranch_execz .LBB17_550
.LBB17_549:                             ;   in Loop: Header=BB17_3 Depth=1
	ds_load_b32 v26, v32 offset:16128
	ds_load_b32 v27, v3 offset:16380
	s_wait_dscnt 0x0
	v_fmac_f32_e32 v2, v26, v27
.LBB17_550:                             ;   in Loop: Header=BB17_3 Depth=1
	s_or_b32 exec_lo, exec_lo, s64
.LBB17_551:                             ;   in Loop: Header=BB17_3 Depth=1
	s_delay_alu instid0(SALU_CYCLE_1) | instskip(NEXT) | instid1(SALU_CYCLE_1)
	s_or_b32 exec_lo, exec_lo, s65
	s_mov_b32 s64, exec_lo
	v_readlane_b32 s65, v87, 5
	s_and_b32 s65, s64, s65
	s_delay_alu instid0(SALU_CYCLE_1)
	s_mov_b32 exec_lo, s65
	s_cbranch_execz .LBB17_553
; %bb.552:                              ;   in Loop: Header=BB17_3 Depth=1
	ds_load_b32 v26, v3 offset:8060
	s_wait_dscnt 0x0
	v_mul_f32_e32 v2, v2, v26
	s_delay_alu instid0(VALU_DEP_1)
	v_xor_b32_e32 v26, 0x80000000, v2
	ds_store_b32 v53, v26
.LBB17_553:                             ;   in Loop: Header=BB17_3 Depth=1
	s_or_b32 exec_lo, exec_lo, s64
	s_wait_loadcnt_dscnt 0x0
	s_barrier_signal -1
	s_barrier_wait -1
	s_mov_b32 s64, exec_lo
	v_readlane_b32 s65, v87, 6
	s_and_b32 s65, s64, s65
	s_delay_alu instid0(SALU_CYCLE_1)
	s_mov_b32 exec_lo, s65
	s_cbranch_execz .LBB17_555
; %bb.554:                              ;   in Loop: Header=BB17_3 Depth=1
	ds_load_b32 v26, v60 offset:7936
	ds_load_b32 v27, v53
	s_wait_dscnt 0x0
	v_fma_f32 v2, -v26, v27, v2
.LBB17_555:                             ;   in Loop: Header=BB17_3 Depth=1
	s_or_b32 exec_lo, exec_lo, s64
	s_barrier_signal -1
	s_barrier_wait -1
	s_mov_b32 s64, exec_lo
	v_readlane_b32 s65, v87, 7
	s_and_b32 s65, s64, s65
	s_delay_alu instid0(SALU_CYCLE_1)
	s_mov_b32 exec_lo, s65
	s_cbranch_execz .LBB17_557
; %bb.556:                              ;   in Loop: Header=BB17_3 Depth=1
	ds_load_b32 v26, v3 offset:7800
	s_wait_dscnt 0x0
	v_mul_f32_e32 v2, v2, v26
	s_delay_alu instid0(VALU_DEP_1)
	v_xor_b32_e32 v26, 0x80000000, v2
	ds_store_b32 v53, v26
.LBB17_557:                             ;   in Loop: Header=BB17_3 Depth=1
	s_or_b32 exec_lo, exec_lo, s64
	s_wait_dscnt 0x0
	s_barrier_signal -1
	s_barrier_wait -1
	s_mov_b32 s64, exec_lo
	v_readlane_b32 s65, v87, 8
	s_and_b32 s65, s64, s65
	s_delay_alu instid0(SALU_CYCLE_1)
	s_mov_b32 exec_lo, s65
	s_cbranch_execz .LBB17_559
; %bb.558:                              ;   in Loop: Header=BB17_3 Depth=1
	ds_load_b32 v26, v60 offset:7680
	ds_load_b32 v27, v53
	s_wait_dscnt 0x0
	v_fma_f32 v2, -v26, v27, v2
.LBB17_559:                             ;   in Loop: Header=BB17_3 Depth=1
	s_or_b32 exec_lo, exec_lo, s64
	s_barrier_signal -1
	s_barrier_wait -1
	s_mov_b32 s64, exec_lo
	v_readlane_b32 s65, v87, 9
	s_and_b32 s65, s64, s65
	s_delay_alu instid0(SALU_CYCLE_1)
	s_mov_b32 exec_lo, s65
	s_cbranch_execz .LBB17_561
; %bb.560:                              ;   in Loop: Header=BB17_3 Depth=1
	ds_load_b32 v26, v3 offset:7540
	s_wait_dscnt 0x0
	v_mul_f32_e32 v2, v2, v26
	s_delay_alu instid0(VALU_DEP_1)
	v_xor_b32_e32 v26, 0x80000000, v2
	ds_store_b32 v53, v26
.LBB17_561:                             ;   in Loop: Header=BB17_3 Depth=1
	s_or_b32 exec_lo, exec_lo, s64
	s_wait_dscnt 0x0
	s_barrier_signal -1
	s_barrier_wait -1
	s_mov_b32 s64, exec_lo
	v_readlane_b32 s65, v87, 10
	s_and_b32 s65, s64, s65
	s_delay_alu instid0(SALU_CYCLE_1)
	s_mov_b32 exec_lo, s65
	s_cbranch_execz .LBB17_563
; %bb.562:                              ;   in Loop: Header=BB17_3 Depth=1
	ds_load_b32 v26, v60 offset:7424
	ds_load_b32 v27, v53
	s_wait_dscnt 0x0
	v_fma_f32 v2, -v26, v27, v2
.LBB17_563:                             ;   in Loop: Header=BB17_3 Depth=1
	s_or_b32 exec_lo, exec_lo, s64
	s_barrier_signal -1
	s_barrier_wait -1
	s_mov_b32 s64, exec_lo
	v_readlane_b32 s65, v87, 11
	s_and_b32 s65, s64, s65
	s_delay_alu instid0(SALU_CYCLE_1)
	s_mov_b32 exec_lo, s65
	s_cbranch_execz .LBB17_565
; %bb.564:                              ;   in Loop: Header=BB17_3 Depth=1
	ds_load_b32 v26, v3 offset:7280
	s_wait_dscnt 0x0
	v_mul_f32_e32 v2, v2, v26
	s_delay_alu instid0(VALU_DEP_1)
	v_xor_b32_e32 v26, 0x80000000, v2
	ds_store_b32 v53, v26
.LBB17_565:                             ;   in Loop: Header=BB17_3 Depth=1
	s_or_b32 exec_lo, exec_lo, s64
	s_wait_dscnt 0x0
	s_barrier_signal -1
	s_barrier_wait -1
	s_mov_b32 s64, exec_lo
	v_readlane_b32 s65, v87, 12
	s_and_b32 s65, s64, s65
	s_delay_alu instid0(SALU_CYCLE_1)
	s_mov_b32 exec_lo, s65
	s_cbranch_execz .LBB17_567
; %bb.566:                              ;   in Loop: Header=BB17_3 Depth=1
	ds_load_b32 v26, v60 offset:7168
	ds_load_b32 v27, v53
	s_wait_dscnt 0x0
	v_fma_f32 v2, -v26, v27, v2
.LBB17_567:                             ;   in Loop: Header=BB17_3 Depth=1
	s_or_b32 exec_lo, exec_lo, s64
	s_barrier_signal -1
	s_barrier_wait -1
	s_mov_b32 s64, exec_lo
	v_readlane_b32 s65, v87, 13
	s_and_b32 s65, s64, s65
	s_delay_alu instid0(SALU_CYCLE_1)
	s_mov_b32 exec_lo, s65
	s_cbranch_execz .LBB17_569
; %bb.568:                              ;   in Loop: Header=BB17_3 Depth=1
	ds_load_b32 v26, v3 offset:7020
	s_wait_dscnt 0x0
	v_mul_f32_e32 v2, v2, v26
	s_delay_alu instid0(VALU_DEP_1)
	v_xor_b32_e32 v26, 0x80000000, v2
	ds_store_b32 v53, v26
.LBB17_569:                             ;   in Loop: Header=BB17_3 Depth=1
	s_or_b32 exec_lo, exec_lo, s64
	s_wait_dscnt 0x0
	s_barrier_signal -1
	s_barrier_wait -1
	s_mov_b32 s64, exec_lo
	v_readlane_b32 s65, v87, 14
	s_and_b32 s65, s64, s65
	s_delay_alu instid0(SALU_CYCLE_1)
	s_mov_b32 exec_lo, s65
	s_cbranch_execz .LBB17_571
; %bb.570:                              ;   in Loop: Header=BB17_3 Depth=1
	ds_load_b32 v26, v60 offset:6912
	ds_load_b32 v27, v53
	s_wait_dscnt 0x0
	v_fma_f32 v2, -v26, v27, v2
.LBB17_571:                             ;   in Loop: Header=BB17_3 Depth=1
	s_or_b32 exec_lo, exec_lo, s64
	s_barrier_signal -1
	s_barrier_wait -1
	s_mov_b32 s64, exec_lo
	v_readlane_b32 s65, v87, 15
	s_and_b32 s65, s64, s65
	s_delay_alu instid0(SALU_CYCLE_1)
	s_mov_b32 exec_lo, s65
	s_cbranch_execz .LBB17_573
; %bb.572:                              ;   in Loop: Header=BB17_3 Depth=1
	ds_load_b32 v26, v3 offset:6760
	s_wait_dscnt 0x0
	v_mul_f32_e32 v2, v2, v26
	s_delay_alu instid0(VALU_DEP_1)
	v_xor_b32_e32 v26, 0x80000000, v2
	ds_store_b32 v53, v26
.LBB17_573:                             ;   in Loop: Header=BB17_3 Depth=1
	s_or_b32 exec_lo, exec_lo, s64
	s_wait_dscnt 0x0
	s_barrier_signal -1
	s_barrier_wait -1
	s_mov_b32 s64, exec_lo
	v_readlane_b32 s65, v87, 16
	s_and_b32 s65, s64, s65
	s_delay_alu instid0(SALU_CYCLE_1)
	s_mov_b32 exec_lo, s65
	s_cbranch_execz .LBB17_575
; %bb.574:                              ;   in Loop: Header=BB17_3 Depth=1
	ds_load_b32 v26, v60 offset:6656
	ds_load_b32 v27, v53
	s_wait_dscnt 0x0
	v_fma_f32 v2, -v26, v27, v2
.LBB17_575:                             ;   in Loop: Header=BB17_3 Depth=1
	s_or_b32 exec_lo, exec_lo, s64
	s_barrier_signal -1
	s_barrier_wait -1
	s_mov_b32 s64, exec_lo
	v_readlane_b32 s65, v87, 17
	s_and_b32 s65, s64, s65
	s_delay_alu instid0(SALU_CYCLE_1)
	s_mov_b32 exec_lo, s65
	s_cbranch_execz .LBB17_577
; %bb.576:                              ;   in Loop: Header=BB17_3 Depth=1
	ds_load_b32 v26, v3 offset:6500
	s_wait_dscnt 0x0
	v_mul_f32_e32 v2, v2, v26
	s_delay_alu instid0(VALU_DEP_1)
	v_xor_b32_e32 v26, 0x80000000, v2
	ds_store_b32 v53, v26
.LBB17_577:                             ;   in Loop: Header=BB17_3 Depth=1
	s_or_b32 exec_lo, exec_lo, s64
	s_wait_dscnt 0x0
	s_barrier_signal -1
	s_barrier_wait -1
	s_mov_b32 s64, exec_lo
	v_readlane_b32 s65, v87, 18
	s_and_b32 s65, s64, s65
	s_delay_alu instid0(SALU_CYCLE_1)
	s_mov_b32 exec_lo, s65
	s_cbranch_execz .LBB17_579
; %bb.578:                              ;   in Loop: Header=BB17_3 Depth=1
	ds_load_b32 v26, v60 offset:6400
	ds_load_b32 v27, v53
	s_wait_dscnt 0x0
	v_fma_f32 v2, -v26, v27, v2
.LBB17_579:                             ;   in Loop: Header=BB17_3 Depth=1
	s_or_b32 exec_lo, exec_lo, s64
	s_barrier_signal -1
	s_barrier_wait -1
	s_mov_b32 s64, exec_lo
	v_readlane_b32 s65, v87, 19
	s_and_b32 s65, s64, s65
	s_delay_alu instid0(SALU_CYCLE_1)
	s_mov_b32 exec_lo, s65
	s_cbranch_execz .LBB17_581
; %bb.580:                              ;   in Loop: Header=BB17_3 Depth=1
	ds_load_b32 v26, v3 offset:6240
	s_wait_dscnt 0x0
	v_mul_f32_e32 v2, v2, v26
	s_delay_alu instid0(VALU_DEP_1)
	v_xor_b32_e32 v26, 0x80000000, v2
	ds_store_b32 v53, v26
.LBB17_581:                             ;   in Loop: Header=BB17_3 Depth=1
	s_or_b32 exec_lo, exec_lo, s64
	s_wait_dscnt 0x0
	s_barrier_signal -1
	s_barrier_wait -1
	s_mov_b32 s64, exec_lo
	v_readlane_b32 s65, v87, 20
	s_and_b32 s65, s64, s65
	s_delay_alu instid0(SALU_CYCLE_1)
	s_mov_b32 exec_lo, s65
	s_cbranch_execz .LBB17_583
; %bb.582:                              ;   in Loop: Header=BB17_3 Depth=1
	ds_load_b32 v26, v60 offset:6144
	ds_load_b32 v27, v53
	s_wait_dscnt 0x0
	v_fma_f32 v2, -v26, v27, v2
.LBB17_583:                             ;   in Loop: Header=BB17_3 Depth=1
	s_or_b32 exec_lo, exec_lo, s64
	s_barrier_signal -1
	s_barrier_wait -1
	s_mov_b32 s64, exec_lo
	v_readlane_b32 s65, v87, 21
	s_and_b32 s65, s64, s65
	s_delay_alu instid0(SALU_CYCLE_1)
	s_mov_b32 exec_lo, s65
	s_cbranch_execz .LBB17_585
; %bb.584:                              ;   in Loop: Header=BB17_3 Depth=1
	ds_load_b32 v26, v3 offset:5980
	s_wait_dscnt 0x0
	v_mul_f32_e32 v2, v2, v26
	s_delay_alu instid0(VALU_DEP_1)
	v_xor_b32_e32 v26, 0x80000000, v2
	ds_store_b32 v53, v26
.LBB17_585:                             ;   in Loop: Header=BB17_3 Depth=1
	s_or_b32 exec_lo, exec_lo, s64
	s_wait_dscnt 0x0
	s_barrier_signal -1
	s_barrier_wait -1
	s_mov_b32 s64, exec_lo
	v_readlane_b32 s65, v87, 22
	s_and_b32 s65, s64, s65
	s_delay_alu instid0(SALU_CYCLE_1)
	s_mov_b32 exec_lo, s65
	s_cbranch_execz .LBB17_587
; %bb.586:                              ;   in Loop: Header=BB17_3 Depth=1
	ds_load_b32 v26, v60 offset:5888
	ds_load_b32 v27, v53
	s_wait_dscnt 0x0
	v_fma_f32 v2, -v26, v27, v2
.LBB17_587:                             ;   in Loop: Header=BB17_3 Depth=1
	s_or_b32 exec_lo, exec_lo, s64
	s_barrier_signal -1
	s_barrier_wait -1
	s_mov_b32 s64, exec_lo
	v_readlane_b32 s65, v87, 23
	s_and_b32 s65, s64, s65
	s_delay_alu instid0(SALU_CYCLE_1)
	s_mov_b32 exec_lo, s65
	s_cbranch_execz .LBB17_589
; %bb.588:                              ;   in Loop: Header=BB17_3 Depth=1
	ds_load_b32 v26, v3 offset:5720
	s_wait_dscnt 0x0
	v_mul_f32_e32 v2, v2, v26
	s_delay_alu instid0(VALU_DEP_1)
	v_xor_b32_e32 v26, 0x80000000, v2
	ds_store_b32 v53, v26
.LBB17_589:                             ;   in Loop: Header=BB17_3 Depth=1
	s_or_b32 exec_lo, exec_lo, s64
	s_wait_dscnt 0x0
	s_barrier_signal -1
	s_barrier_wait -1
	s_mov_b32 s64, exec_lo
	v_readlane_b32 s65, v87, 24
	s_and_b32 s65, s64, s65
	s_delay_alu instid0(SALU_CYCLE_1)
	s_mov_b32 exec_lo, s65
	s_cbranch_execz .LBB17_591
; %bb.590:                              ;   in Loop: Header=BB17_3 Depth=1
	ds_load_b32 v26, v60 offset:5632
	ds_load_b32 v27, v53
	s_wait_dscnt 0x0
	v_fma_f32 v2, -v26, v27, v2
.LBB17_591:                             ;   in Loop: Header=BB17_3 Depth=1
	s_or_b32 exec_lo, exec_lo, s64
	s_barrier_signal -1
	s_barrier_wait -1
	s_mov_b32 s64, exec_lo
	v_readlane_b32 s65, v87, 25
	s_and_b32 s65, s64, s65
	s_delay_alu instid0(SALU_CYCLE_1)
	s_mov_b32 exec_lo, s65
	s_cbranch_execz .LBB17_593
; %bb.592:                              ;   in Loop: Header=BB17_3 Depth=1
	ds_load_b32 v26, v3 offset:5460
	s_wait_dscnt 0x0
	v_mul_f32_e32 v2, v2, v26
	s_delay_alu instid0(VALU_DEP_1)
	v_xor_b32_e32 v26, 0x80000000, v2
	ds_store_b32 v53, v26
.LBB17_593:                             ;   in Loop: Header=BB17_3 Depth=1
	s_or_b32 exec_lo, exec_lo, s64
	s_wait_dscnt 0x0
	s_barrier_signal -1
	s_barrier_wait -1
	s_mov_b32 s64, exec_lo
	v_readlane_b32 s65, v87, 26
	s_and_b32 s65, s64, s65
	s_delay_alu instid0(SALU_CYCLE_1)
	s_mov_b32 exec_lo, s65
	s_cbranch_execz .LBB17_595
; %bb.594:                              ;   in Loop: Header=BB17_3 Depth=1
	ds_load_b32 v26, v60 offset:5376
	ds_load_b32 v27, v53
	s_wait_dscnt 0x0
	v_fma_f32 v2, -v26, v27, v2
.LBB17_595:                             ;   in Loop: Header=BB17_3 Depth=1
	s_or_b32 exec_lo, exec_lo, s64
	s_barrier_signal -1
	s_barrier_wait -1
	s_mov_b32 s64, exec_lo
	v_readlane_b32 s65, v87, 27
	s_and_b32 s65, s64, s65
	s_delay_alu instid0(SALU_CYCLE_1)
	s_mov_b32 exec_lo, s65
	s_cbranch_execz .LBB17_597
; %bb.596:                              ;   in Loop: Header=BB17_3 Depth=1
	ds_load_b32 v26, v3 offset:5200
	s_wait_dscnt 0x0
	v_mul_f32_e32 v2, v2, v26
	s_delay_alu instid0(VALU_DEP_1)
	v_xor_b32_e32 v26, 0x80000000, v2
	ds_store_b32 v53, v26
.LBB17_597:                             ;   in Loop: Header=BB17_3 Depth=1
	s_or_b32 exec_lo, exec_lo, s64
	s_wait_dscnt 0x0
	s_barrier_signal -1
	s_barrier_wait -1
	s_mov_b32 s64, exec_lo
	v_readlane_b32 s65, v87, 28
	s_and_b32 s65, s64, s65
	s_delay_alu instid0(SALU_CYCLE_1)
	s_mov_b32 exec_lo, s65
	s_cbranch_execz .LBB17_599
; %bb.598:                              ;   in Loop: Header=BB17_3 Depth=1
	ds_load_b32 v26, v60 offset:5120
	ds_load_b32 v27, v53
	s_wait_dscnt 0x0
	v_fma_f32 v2, -v26, v27, v2
.LBB17_599:                             ;   in Loop: Header=BB17_3 Depth=1
	s_or_b32 exec_lo, exec_lo, s64
	s_barrier_signal -1
	s_barrier_wait -1
	s_mov_b32 s64, exec_lo
	v_readlane_b32 s65, v87, 29
	s_and_b32 s65, s64, s65
	s_delay_alu instid0(SALU_CYCLE_1)
	s_mov_b32 exec_lo, s65
	s_cbranch_execz .LBB17_601
; %bb.600:                              ;   in Loop: Header=BB17_3 Depth=1
	ds_load_b32 v26, v3 offset:4940
	s_wait_dscnt 0x0
	v_mul_f32_e32 v2, v2, v26
	s_delay_alu instid0(VALU_DEP_1)
	v_xor_b32_e32 v26, 0x80000000, v2
	ds_store_b32 v53, v26
.LBB17_601:                             ;   in Loop: Header=BB17_3 Depth=1
	s_or_b32 exec_lo, exec_lo, s64
	s_wait_dscnt 0x0
	s_barrier_signal -1
	s_barrier_wait -1
	s_mov_b32 s64, exec_lo
	v_readlane_b32 s65, v87, 30
	s_and_b32 s65, s64, s65
	s_delay_alu instid0(SALU_CYCLE_1)
	s_mov_b32 exec_lo, s65
	s_cbranch_execz .LBB17_603
; %bb.602:                              ;   in Loop: Header=BB17_3 Depth=1
	ds_load_b32 v26, v60 offset:4864
	ds_load_b32 v27, v53
	s_wait_dscnt 0x0
	v_fma_f32 v2, -v26, v27, v2
.LBB17_603:                             ;   in Loop: Header=BB17_3 Depth=1
	s_or_b32 exec_lo, exec_lo, s64
	s_barrier_signal -1
	s_barrier_wait -1
	s_mov_b32 s64, exec_lo
	v_readlane_b32 s65, v87, 31
	s_and_b32 s65, s64, s65
	s_delay_alu instid0(SALU_CYCLE_1)
	s_mov_b32 exec_lo, s65
	s_cbranch_execz .LBB17_605
; %bb.604:                              ;   in Loop: Header=BB17_3 Depth=1
	ds_load_b32 v26, v3 offset:4680
	s_wait_dscnt 0x0
	v_mul_f32_e32 v2, v2, v26
	s_delay_alu instid0(VALU_DEP_1)
	v_xor_b32_e32 v26, 0x80000000, v2
	ds_store_b32 v53, v26
.LBB17_605:                             ;   in Loop: Header=BB17_3 Depth=1
	s_or_b32 exec_lo, exec_lo, s64
	s_wait_dscnt 0x0
	s_barrier_signal -1
	s_barrier_wait -1
	s_mov_b32 s64, exec_lo
	v_readlane_b32 s65, v86, 0
	s_and_b32 s65, s64, s65
	s_delay_alu instid0(SALU_CYCLE_1)
	s_mov_b32 exec_lo, s65
	s_cbranch_execz .LBB17_607
; %bb.606:                              ;   in Loop: Header=BB17_3 Depth=1
	ds_load_b32 v26, v60 offset:4608
	ds_load_b32 v27, v53
	s_wait_dscnt 0x0
	v_fma_f32 v2, -v26, v27, v2
.LBB17_607:                             ;   in Loop: Header=BB17_3 Depth=1
	s_or_b32 exec_lo, exec_lo, s64
	s_barrier_signal -1
	s_barrier_wait -1
	s_mov_b32 s64, exec_lo
	v_readlane_b32 s65, v86, 1
	s_and_b32 s65, s64, s65
	s_delay_alu instid0(SALU_CYCLE_1)
	s_mov_b32 exec_lo, s65
	s_cbranch_execz .LBB17_609
; %bb.608:                              ;   in Loop: Header=BB17_3 Depth=1
	ds_load_b32 v26, v3 offset:4420
	s_wait_dscnt 0x0
	v_mul_f32_e32 v2, v2, v26
	s_delay_alu instid0(VALU_DEP_1)
	v_xor_b32_e32 v26, 0x80000000, v2
	ds_store_b32 v53, v26
.LBB17_609:                             ;   in Loop: Header=BB17_3 Depth=1
	s_or_b32 exec_lo, exec_lo, s64
	s_wait_dscnt 0x0
	s_barrier_signal -1
	s_barrier_wait -1
	s_mov_b32 s64, exec_lo
	v_readlane_b32 s65, v86, 2
	s_and_b32 s65, s64, s65
	s_delay_alu instid0(SALU_CYCLE_1)
	s_mov_b32 exec_lo, s65
	s_cbranch_execz .LBB17_611
; %bb.610:                              ;   in Loop: Header=BB17_3 Depth=1
	ds_load_b32 v26, v60 offset:4352
	ds_load_b32 v27, v53
	s_wait_dscnt 0x0
	v_fma_f32 v2, -v26, v27, v2
.LBB17_611:                             ;   in Loop: Header=BB17_3 Depth=1
	s_or_b32 exec_lo, exec_lo, s64
	s_barrier_signal -1
	s_barrier_wait -1
	s_mov_b32 s64, exec_lo
	v_readlane_b32 s65, v86, 3
	s_and_b32 s65, s64, s65
	s_delay_alu instid0(SALU_CYCLE_1)
	s_mov_b32 exec_lo, s65
	s_cbranch_execz .LBB17_613
; %bb.612:                              ;   in Loop: Header=BB17_3 Depth=1
	ds_load_b32 v26, v3 offset:4160
	s_wait_dscnt 0x0
	v_mul_f32_e32 v2, v2, v26
	s_delay_alu instid0(VALU_DEP_1)
	v_xor_b32_e32 v26, 0x80000000, v2
	ds_store_b32 v53, v26
.LBB17_613:                             ;   in Loop: Header=BB17_3 Depth=1
	s_or_b32 exec_lo, exec_lo, s64
	s_wait_dscnt 0x0
	s_barrier_signal -1
	s_barrier_wait -1
	s_mov_b32 s64, exec_lo
	v_readlane_b32 s65, v86, 4
	s_and_b32 s65, s64, s65
	s_delay_alu instid0(SALU_CYCLE_1)
	s_mov_b32 exec_lo, s65
	s_cbranch_execz .LBB17_615
; %bb.614:                              ;   in Loop: Header=BB17_3 Depth=1
	ds_load_b32 v26, v60 offset:4096
	ds_load_b32 v27, v53
	s_wait_dscnt 0x0
	v_fma_f32 v2, -v26, v27, v2
.LBB17_615:                             ;   in Loop: Header=BB17_3 Depth=1
	s_or_b32 exec_lo, exec_lo, s64
	s_barrier_signal -1
	s_barrier_wait -1
	s_mov_b32 s64, exec_lo
	v_readlane_b32 s65, v86, 5
	s_and_b32 s65, s64, s65
	s_delay_alu instid0(SALU_CYCLE_1)
	s_mov_b32 exec_lo, s65
	s_cbranch_execz .LBB17_617
; %bb.616:                              ;   in Loop: Header=BB17_3 Depth=1
	ds_load_b32 v26, v3 offset:3900
	s_wait_dscnt 0x0
	v_mul_f32_e32 v2, v2, v26
	s_delay_alu instid0(VALU_DEP_1)
	v_xor_b32_e32 v26, 0x80000000, v2
	ds_store_b32 v53, v26
.LBB17_617:                             ;   in Loop: Header=BB17_3 Depth=1
	s_or_b32 exec_lo, exec_lo, s64
	s_wait_dscnt 0x0
	s_barrier_signal -1
	s_barrier_wait -1
	s_mov_b32 s64, exec_lo
	v_readlane_b32 s65, v86, 6
	s_and_b32 s65, s64, s65
	s_delay_alu instid0(SALU_CYCLE_1)
	s_mov_b32 exec_lo, s65
	s_cbranch_execz .LBB17_619
; %bb.618:                              ;   in Loop: Header=BB17_3 Depth=1
	ds_load_b32 v26, v60 offset:3840
	ds_load_b32 v27, v53
	s_wait_dscnt 0x0
	v_fma_f32 v2, -v26, v27, v2
.LBB17_619:                             ;   in Loop: Header=BB17_3 Depth=1
	s_or_b32 exec_lo, exec_lo, s64
	s_barrier_signal -1
	s_barrier_wait -1
	s_mov_b32 s64, exec_lo
	v_readlane_b32 s65, v86, 7
	s_and_b32 s65, s64, s65
	s_delay_alu instid0(SALU_CYCLE_1)
	s_mov_b32 exec_lo, s65
	s_cbranch_execz .LBB17_621
; %bb.620:                              ;   in Loop: Header=BB17_3 Depth=1
	ds_load_b32 v26, v3 offset:3640
	s_wait_dscnt 0x0
	v_mul_f32_e32 v2, v2, v26
	s_delay_alu instid0(VALU_DEP_1)
	v_xor_b32_e32 v26, 0x80000000, v2
	ds_store_b32 v53, v26
.LBB17_621:                             ;   in Loop: Header=BB17_3 Depth=1
	s_or_b32 exec_lo, exec_lo, s64
	s_wait_dscnt 0x0
	s_barrier_signal -1
	s_barrier_wait -1
	s_mov_b32 s64, exec_lo
	v_readlane_b32 s65, v86, 8
	s_and_b32 s65, s64, s65
	s_delay_alu instid0(SALU_CYCLE_1)
	s_mov_b32 exec_lo, s65
	s_cbranch_execz .LBB17_623
; %bb.622:                              ;   in Loop: Header=BB17_3 Depth=1
	ds_load_b32 v26, v60 offset:3584
	ds_load_b32 v27, v53
	s_wait_dscnt 0x0
	v_fma_f32 v2, -v26, v27, v2
.LBB17_623:                             ;   in Loop: Header=BB17_3 Depth=1
	s_or_b32 exec_lo, exec_lo, s64
	s_barrier_signal -1
	s_barrier_wait -1
	s_mov_b32 s64, exec_lo
	v_readlane_b32 s65, v86, 9
	s_and_b32 s65, s64, s65
	s_delay_alu instid0(SALU_CYCLE_1)
	s_mov_b32 exec_lo, s65
	s_cbranch_execz .LBB17_625
; %bb.624:                              ;   in Loop: Header=BB17_3 Depth=1
	ds_load_b32 v26, v3 offset:3380
	s_wait_dscnt 0x0
	v_mul_f32_e32 v2, v2, v26
	s_delay_alu instid0(VALU_DEP_1)
	v_xor_b32_e32 v26, 0x80000000, v2
	ds_store_b32 v53, v26
.LBB17_625:                             ;   in Loop: Header=BB17_3 Depth=1
	s_or_b32 exec_lo, exec_lo, s64
	s_wait_dscnt 0x0
	s_barrier_signal -1
	s_barrier_wait -1
	s_mov_b32 s64, exec_lo
	v_readlane_b32 s65, v86, 10
	s_and_b32 s65, s64, s65
	s_delay_alu instid0(SALU_CYCLE_1)
	s_mov_b32 exec_lo, s65
	s_cbranch_execz .LBB17_627
; %bb.626:                              ;   in Loop: Header=BB17_3 Depth=1
	ds_load_b32 v26, v60 offset:3328
	ds_load_b32 v27, v53
	s_wait_dscnt 0x0
	v_fma_f32 v2, -v26, v27, v2
.LBB17_627:                             ;   in Loop: Header=BB17_3 Depth=1
	s_or_b32 exec_lo, exec_lo, s64
	s_barrier_signal -1
	s_barrier_wait -1
	s_mov_b32 s64, exec_lo
	v_readlane_b32 s65, v86, 11
	s_and_b32 s65, s64, s65
	s_delay_alu instid0(SALU_CYCLE_1)
	s_mov_b32 exec_lo, s65
	s_cbranch_execz .LBB17_629
; %bb.628:                              ;   in Loop: Header=BB17_3 Depth=1
	ds_load_b32 v26, v3 offset:3120
	s_wait_dscnt 0x0
	v_mul_f32_e32 v2, v2, v26
	s_delay_alu instid0(VALU_DEP_1)
	v_xor_b32_e32 v26, 0x80000000, v2
	ds_store_b32 v53, v26
.LBB17_629:                             ;   in Loop: Header=BB17_3 Depth=1
	s_or_b32 exec_lo, exec_lo, s64
	s_wait_dscnt 0x0
	s_barrier_signal -1
	s_barrier_wait -1
	s_mov_b32 s64, exec_lo
	v_readlane_b32 s65, v86, 12
	s_and_b32 s65, s64, s65
	s_delay_alu instid0(SALU_CYCLE_1)
	s_mov_b32 exec_lo, s65
	s_cbranch_execz .LBB17_631
; %bb.630:                              ;   in Loop: Header=BB17_3 Depth=1
	ds_load_b32 v26, v60 offset:3072
	ds_load_b32 v27, v53
	s_wait_dscnt 0x0
	v_fma_f32 v2, -v26, v27, v2
.LBB17_631:                             ;   in Loop: Header=BB17_3 Depth=1
	s_or_b32 exec_lo, exec_lo, s64
	s_barrier_signal -1
	s_barrier_wait -1
	s_mov_b32 s64, exec_lo
	v_readlane_b32 s65, v86, 13
	s_and_b32 s65, s64, s65
	s_delay_alu instid0(SALU_CYCLE_1)
	s_mov_b32 exec_lo, s65
	s_cbranch_execz .LBB17_633
; %bb.632:                              ;   in Loop: Header=BB17_3 Depth=1
	ds_load_b32 v26, v3 offset:2860
	s_wait_dscnt 0x0
	v_mul_f32_e32 v2, v2, v26
	s_delay_alu instid0(VALU_DEP_1)
	v_xor_b32_e32 v26, 0x80000000, v2
	ds_store_b32 v53, v26
.LBB17_633:                             ;   in Loop: Header=BB17_3 Depth=1
	s_or_b32 exec_lo, exec_lo, s64
	s_wait_dscnt 0x0
	s_barrier_signal -1
	s_barrier_wait -1
	s_mov_b32 s64, exec_lo
	v_readlane_b32 s65, v86, 14
	s_and_b32 s65, s64, s65
	s_delay_alu instid0(SALU_CYCLE_1)
	s_mov_b32 exec_lo, s65
	s_cbranch_execz .LBB17_635
; %bb.634:                              ;   in Loop: Header=BB17_3 Depth=1
	ds_load_b32 v26, v60 offset:2816
	ds_load_b32 v27, v53
	s_wait_dscnt 0x0
	v_fma_f32 v2, -v26, v27, v2
.LBB17_635:                             ;   in Loop: Header=BB17_3 Depth=1
	s_or_b32 exec_lo, exec_lo, s64
	s_barrier_signal -1
	s_barrier_wait -1
	s_mov_b32 s64, exec_lo
	v_readlane_b32 s65, v86, 15
	s_and_b32 s65, s64, s65
	s_delay_alu instid0(SALU_CYCLE_1)
	s_mov_b32 exec_lo, s65
	s_cbranch_execz .LBB17_637
; %bb.636:                              ;   in Loop: Header=BB17_3 Depth=1
	ds_load_b32 v26, v3 offset:2600
	s_wait_dscnt 0x0
	v_mul_f32_e32 v2, v2, v26
	s_delay_alu instid0(VALU_DEP_1)
	v_xor_b32_e32 v26, 0x80000000, v2
	ds_store_b32 v53, v26
.LBB17_637:                             ;   in Loop: Header=BB17_3 Depth=1
	s_or_b32 exec_lo, exec_lo, s64
	s_wait_dscnt 0x0
	s_barrier_signal -1
	s_barrier_wait -1
	s_mov_b32 s64, exec_lo
	v_readlane_b32 s65, v86, 16
	s_and_b32 s65, s64, s65
	s_delay_alu instid0(SALU_CYCLE_1)
	s_mov_b32 exec_lo, s65
	s_cbranch_execz .LBB17_639
; %bb.638:                              ;   in Loop: Header=BB17_3 Depth=1
	ds_load_b32 v26, v60 offset:2560
	ds_load_b32 v27, v53
	s_wait_dscnt 0x0
	v_fma_f32 v2, -v26, v27, v2
.LBB17_639:                             ;   in Loop: Header=BB17_3 Depth=1
	s_or_b32 exec_lo, exec_lo, s64
	s_barrier_signal -1
	s_barrier_wait -1
	s_mov_b32 s64, exec_lo
	v_readlane_b32 s65, v86, 17
	s_and_b32 s65, s64, s65
	s_delay_alu instid0(SALU_CYCLE_1)
	s_mov_b32 exec_lo, s65
	s_cbranch_execz .LBB17_641
; %bb.640:                              ;   in Loop: Header=BB17_3 Depth=1
	ds_load_b32 v26, v3 offset:2340
	s_wait_dscnt 0x0
	v_mul_f32_e32 v2, v2, v26
	s_delay_alu instid0(VALU_DEP_1)
	v_xor_b32_e32 v26, 0x80000000, v2
	ds_store_b32 v53, v26
.LBB17_641:                             ;   in Loop: Header=BB17_3 Depth=1
	s_or_b32 exec_lo, exec_lo, s64
	s_wait_dscnt 0x0
	s_barrier_signal -1
	s_barrier_wait -1
	s_mov_b32 s64, exec_lo
	v_readlane_b32 s65, v86, 18
	s_and_b32 s65, s64, s65
	s_delay_alu instid0(SALU_CYCLE_1)
	s_mov_b32 exec_lo, s65
	s_cbranch_execz .LBB17_643
; %bb.642:                              ;   in Loop: Header=BB17_3 Depth=1
	ds_load_b32 v26, v60 offset:2304
	ds_load_b32 v27, v53
	s_wait_dscnt 0x0
	v_fma_f32 v2, -v26, v27, v2
.LBB17_643:                             ;   in Loop: Header=BB17_3 Depth=1
	s_or_b32 exec_lo, exec_lo, s64
	s_barrier_signal -1
	s_barrier_wait -1
	s_mov_b32 s64, exec_lo
	v_readlane_b32 s65, v86, 19
	s_and_b32 s65, s64, s65
	s_delay_alu instid0(SALU_CYCLE_1)
	s_mov_b32 exec_lo, s65
	s_cbranch_execz .LBB17_645
; %bb.644:                              ;   in Loop: Header=BB17_3 Depth=1
	ds_load_b32 v26, v3 offset:2080
	s_wait_dscnt 0x0
	v_mul_f32_e32 v2, v2, v26
	s_delay_alu instid0(VALU_DEP_1)
	v_xor_b32_e32 v26, 0x80000000, v2
	ds_store_b32 v53, v26
.LBB17_645:                             ;   in Loop: Header=BB17_3 Depth=1
	s_or_b32 exec_lo, exec_lo, s64
	s_wait_dscnt 0x0
	s_barrier_signal -1
	s_barrier_wait -1
	s_mov_b32 s64, exec_lo
	v_readlane_b32 s65, v86, 20
	s_and_b32 s65, s64, s65
	s_delay_alu instid0(SALU_CYCLE_1)
	s_mov_b32 exec_lo, s65
	s_cbranch_execz .LBB17_647
; %bb.646:                              ;   in Loop: Header=BB17_3 Depth=1
	ds_load_b32 v26, v60 offset:2048
	ds_load_b32 v27, v53
	s_wait_dscnt 0x0
	v_fma_f32 v2, -v26, v27, v2
.LBB17_647:                             ;   in Loop: Header=BB17_3 Depth=1
	s_or_b32 exec_lo, exec_lo, s64
	s_barrier_signal -1
	s_barrier_wait -1
	s_mov_b32 s64, exec_lo
	v_readlane_b32 s65, v86, 21
	s_and_b32 s65, s64, s65
	s_delay_alu instid0(SALU_CYCLE_1)
	s_mov_b32 exec_lo, s65
	s_cbranch_execz .LBB17_649
; %bb.648:                              ;   in Loop: Header=BB17_3 Depth=1
	ds_load_b32 v26, v3 offset:1820
	s_wait_dscnt 0x0
	v_mul_f32_e32 v2, v2, v26
	s_delay_alu instid0(VALU_DEP_1)
	v_xor_b32_e32 v26, 0x80000000, v2
	ds_store_b32 v53, v26
.LBB17_649:                             ;   in Loop: Header=BB17_3 Depth=1
	s_or_b32 exec_lo, exec_lo, s64
	s_wait_dscnt 0x0
	s_barrier_signal -1
	s_barrier_wait -1
	s_mov_b32 s64, exec_lo
	v_readlane_b32 s65, v86, 22
	s_and_b32 s65, s64, s65
	s_delay_alu instid0(SALU_CYCLE_1)
	s_mov_b32 exec_lo, s65
	s_cbranch_execz .LBB17_651
; %bb.650:                              ;   in Loop: Header=BB17_3 Depth=1
	ds_load_b32 v26, v60 offset:1792
	ds_load_b32 v27, v53
	s_wait_dscnt 0x0
	v_fma_f32 v2, -v26, v27, v2
.LBB17_651:                             ;   in Loop: Header=BB17_3 Depth=1
	s_or_b32 exec_lo, exec_lo, s64
	s_barrier_signal -1
	s_barrier_wait -1
	s_mov_b32 s64, exec_lo
	v_readlane_b32 s65, v86, 23
	s_and_b32 s65, s64, s65
	s_delay_alu instid0(SALU_CYCLE_1)
	s_mov_b32 exec_lo, s65
	s_cbranch_execz .LBB17_653
; %bb.652:                              ;   in Loop: Header=BB17_3 Depth=1
	ds_load_b32 v26, v3 offset:1560
	s_wait_dscnt 0x0
	v_mul_f32_e32 v2, v2, v26
	s_delay_alu instid0(VALU_DEP_1)
	v_xor_b32_e32 v26, 0x80000000, v2
	ds_store_b32 v53, v26
.LBB17_653:                             ;   in Loop: Header=BB17_3 Depth=1
	s_or_b32 exec_lo, exec_lo, s64
	s_wait_dscnt 0x0
	s_barrier_signal -1
	s_barrier_wait -1
	s_mov_b32 s64, exec_lo
	v_readlane_b32 s65, v86, 24
	s_and_b32 s65, s64, s65
	s_delay_alu instid0(SALU_CYCLE_1)
	s_mov_b32 exec_lo, s65
	s_cbranch_execz .LBB17_655
; %bb.654:                              ;   in Loop: Header=BB17_3 Depth=1
	ds_load_b32 v26, v60 offset:1536
	ds_load_b32 v27, v53
	s_wait_dscnt 0x0
	v_fma_f32 v2, -v26, v27, v2
.LBB17_655:                             ;   in Loop: Header=BB17_3 Depth=1
	s_or_b32 exec_lo, exec_lo, s64
	s_barrier_signal -1
	s_barrier_wait -1
	s_mov_b32 s64, exec_lo
	v_readlane_b32 s65, v86, 25
	s_and_b32 s65, s64, s65
	s_delay_alu instid0(SALU_CYCLE_1)
	s_mov_b32 exec_lo, s65
	s_cbranch_execz .LBB17_657
; %bb.656:                              ;   in Loop: Header=BB17_3 Depth=1
	ds_load_b32 v26, v3 offset:1300
	s_wait_dscnt 0x0
	v_mul_f32_e32 v2, v2, v26
	s_delay_alu instid0(VALU_DEP_1)
	v_xor_b32_e32 v26, 0x80000000, v2
	ds_store_b32 v53, v26
.LBB17_657:                             ;   in Loop: Header=BB17_3 Depth=1
	s_or_b32 exec_lo, exec_lo, s64
	s_wait_dscnt 0x0
	s_barrier_signal -1
	s_barrier_wait -1
	s_mov_b32 s64, exec_lo
	v_readlane_b32 s65, v86, 26
	s_and_b32 s65, s64, s65
	s_delay_alu instid0(SALU_CYCLE_1)
	s_mov_b32 exec_lo, s65
	s_cbranch_execz .LBB17_659
; %bb.658:                              ;   in Loop: Header=BB17_3 Depth=1
	ds_load_b32 v26, v60 offset:1280
	ds_load_b32 v27, v53
	s_wait_dscnt 0x0
	v_fma_f32 v2, -v26, v27, v2
.LBB17_659:                             ;   in Loop: Header=BB17_3 Depth=1
	s_or_b32 exec_lo, exec_lo, s64
	s_barrier_signal -1
	s_barrier_wait -1
	s_mov_b32 s64, exec_lo
	v_readlane_b32 s65, v86, 27
	s_and_b32 s65, s64, s65
	s_delay_alu instid0(SALU_CYCLE_1)
	s_mov_b32 exec_lo, s65
	s_cbranch_execz .LBB17_661
; %bb.660:                              ;   in Loop: Header=BB17_3 Depth=1
	ds_load_b32 v26, v3 offset:1040
	s_wait_dscnt 0x0
	v_mul_f32_e32 v2, v2, v26
	s_delay_alu instid0(VALU_DEP_1)
	v_xor_b32_e32 v26, 0x80000000, v2
	ds_store_b32 v53, v26
.LBB17_661:                             ;   in Loop: Header=BB17_3 Depth=1
	s_or_b32 exec_lo, exec_lo, s64
	s_wait_dscnt 0x0
	s_barrier_signal -1
	s_barrier_wait -1
	s_mov_b32 s64, exec_lo
	v_readlane_b32 s65, v86, 28
	s_and_b32 s65, s64, s65
	s_delay_alu instid0(SALU_CYCLE_1)
	s_mov_b32 exec_lo, s65
	s_cbranch_execz .LBB17_663
; %bb.662:                              ;   in Loop: Header=BB17_3 Depth=1
	ds_load_b32 v26, v60 offset:1024
	ds_load_b32 v27, v53
	s_wait_dscnt 0x0
	v_fma_f32 v2, -v26, v27, v2
.LBB17_663:                             ;   in Loop: Header=BB17_3 Depth=1
	s_or_b32 exec_lo, exec_lo, s64
	s_barrier_signal -1
	s_barrier_wait -1
	s_mov_b32 s64, exec_lo
	v_readlane_b32 s65, v86, 29
	s_and_b32 s65, s64, s65
	s_delay_alu instid0(SALU_CYCLE_1)
	s_mov_b32 exec_lo, s65
	s_cbranch_execz .LBB17_665
; %bb.664:                              ;   in Loop: Header=BB17_3 Depth=1
	ds_load_b32 v26, v3 offset:780
	s_wait_dscnt 0x0
	v_mul_f32_e32 v2, v2, v26
	s_delay_alu instid0(VALU_DEP_1)
	v_xor_b32_e32 v26, 0x80000000, v2
	ds_store_b32 v53, v26
.LBB17_665:                             ;   in Loop: Header=BB17_3 Depth=1
	s_or_b32 exec_lo, exec_lo, s64
	s_wait_dscnt 0x0
	s_barrier_signal -1
	s_barrier_wait -1
	s_mov_b32 s64, exec_lo
	v_readlane_b32 s65, v86, 30
	s_and_b32 s65, s64, s65
	s_delay_alu instid0(SALU_CYCLE_1)
	s_mov_b32 exec_lo, s65
	s_cbranch_execz .LBB17_667
; %bb.666:                              ;   in Loop: Header=BB17_3 Depth=1
	ds_load_b32 v26, v60 offset:768
	ds_load_b32 v27, v53
	s_wait_dscnt 0x0
	v_fma_f32 v2, -v26, v27, v2
.LBB17_667:                             ;   in Loop: Header=BB17_3 Depth=1
	s_or_b32 exec_lo, exec_lo, s64
	s_barrier_signal -1
	s_barrier_wait -1
	s_mov_b32 s64, exec_lo
	v_readlane_b32 s65, v86, 31
	s_and_b32 s65, s64, s65
	s_delay_alu instid0(SALU_CYCLE_1)
	s_mov_b32 exec_lo, s65
	s_cbranch_execz .LBB17_669
; %bb.668:                              ;   in Loop: Header=BB17_3 Depth=1
	ds_load_b32 v26, v3 offset:520
	s_wait_dscnt 0x0
	v_mul_f32_e32 v2, v2, v26
	s_delay_alu instid0(VALU_DEP_1)
	v_xor_b32_e32 v26, 0x80000000, v2
	ds_store_b32 v53, v26
.LBB17_669:                             ;   in Loop: Header=BB17_3 Depth=1
	s_or_b32 exec_lo, exec_lo, s64
	s_wait_dscnt 0x0
	s_barrier_signal -1
	s_barrier_wait -1
	s_mov_b32 s64, exec_lo
	v_readlane_b32 s65, v85, 0
	s_and_b32 s65, s64, s65
	s_delay_alu instid0(SALU_CYCLE_1)
	s_mov_b32 exec_lo, s65
	s_cbranch_execz .LBB17_671
; %bb.670:                              ;   in Loop: Header=BB17_3 Depth=1
	ds_load_b32 v26, v60 offset:512
	ds_load_b32 v27, v53
	s_wait_dscnt 0x0
	v_fma_f32 v2, -v26, v27, v2
.LBB17_671:                             ;   in Loop: Header=BB17_3 Depth=1
	s_or_b32 exec_lo, exec_lo, s64
	s_barrier_signal -1
	s_barrier_wait -1
	s_mov_b32 s64, exec_lo
	v_readlane_b32 s65, v85, 1
	s_and_b32 s65, s64, s65
	s_delay_alu instid0(SALU_CYCLE_1)
	s_mov_b32 exec_lo, s65
	s_cbranch_execz .LBB17_673
; %bb.672:                              ;   in Loop: Header=BB17_3 Depth=1
	ds_load_b32 v26, v3 offset:260
	s_wait_dscnt 0x0
	v_mul_f32_e32 v2, v2, v26
	s_delay_alu instid0(VALU_DEP_1)
	v_xor_b32_e32 v26, 0x80000000, v2
	ds_store_b32 v53, v26
.LBB17_673:                             ;   in Loop: Header=BB17_3 Depth=1
	s_or_b32 exec_lo, exec_lo, s64
	s_wait_dscnt 0x0
	s_barrier_signal -1
	s_barrier_wait -1
	s_and_saveexec_b32 s64, s34
	s_cbranch_execz .LBB17_675
; %bb.674:                              ;   in Loop: Header=BB17_3 Depth=1
	ds_load_b32 v26, v3 offset:256
	ds_load_b32 v27, v53
	s_wait_dscnt 0x0
	v_fma_f32 v2, -v26, v27, v2
.LBB17_675:                             ;   in Loop: Header=BB17_3 Depth=1
	s_or_b32 exec_lo, exec_lo, s64
	s_barrier_signal -1
	s_barrier_wait -1
	s_and_saveexec_b32 s64, s34
	s_cbranch_execz .LBB17_677
; %bb.676:                              ;   in Loop: Header=BB17_3 Depth=1
	ds_load_b32 v26, v3
	s_wait_dscnt 0x0
	v_mul_f32_e32 v2, v2, v26
	s_delay_alu instid0(VALU_DEP_1)
	v_xor_b32_e32 v26, 0x80000000, v2
	ds_store_b32 v53, v26
.LBB17_677:                             ;   in Loop: Header=BB17_3 Depth=1
	s_or_b32 exec_lo, exec_lo, s64
	s_wait_dscnt 0x0
	s_barrier_signal -1
	s_barrier_wait -1
	s_barrier_signal -1
	s_barrier_wait -1
	s_and_saveexec_b32 s64, s5
; %bb.678:                              ;   in Loop: Header=BB17_3 Depth=1
	ds_store_b32 v61, v2 offset:16128
; %bb.679:                              ;   in Loop: Header=BB17_3 Depth=1
	s_or_b32 exec_lo, exec_lo, s64
	s_wait_dscnt 0x0
	s_barrier_signal -1
	s_barrier_wait -1
	s_barrier_signal -1
	s_barrier_wait -1
	s_mov_b32 s64, exec_lo
	v_readlane_b32 s65, v85, 2
	s_and_b32 s65, s64, s65
	s_delay_alu instid0(SALU_CYCLE_1)
	s_mov_b32 exec_lo, s65
	s_cbranch_execz .LBB17_681
; %bb.680:                              ;   in Loop: Header=BB17_3 Depth=1
	ds_load_b32 v2, v34 offset:8192
	s_wait_dscnt 0x0
	ds_store_b32 v38, v2 offset:128
	ds_load_b32 v2, v34 offset:8196
	s_wait_dscnt 0x0
	ds_store_b32 v38, v2 offset:384
	;; [unrolled: 3-line block ×32, first 2 shown]
.LBB17_681:                             ;   in Loop: Header=BB17_3 Depth=1
	s_or_b32 exec_lo, exec_lo, s64
	s_wait_dscnt 0x0
	s_barrier_signal -1
	s_barrier_wait -1
	s_and_saveexec_b32 s64, s15
	s_cbranch_execz .LBB17_683
; %bb.682:                              ;   in Loop: Header=BB17_3 Depth=1
	ds_load_b64 v[26:27], v3 offset:8056
	ds_load_b32 v2, v3 offset:7800
	s_wait_dscnt 0x0
	v_mul_f32_e32 v2, v2, v27
	s_delay_alu instid0(VALU_DEP_1)
	v_mul_f32_e32 v2, v26, v2
	v_add_nc_u32_e64 v26, 0x1c00, 0
	ds_store_2addr_b32 v26, v2, v2 offset0:159 offset1:222
.LBB17_683:                             ;   in Loop: Header=BB17_3 Depth=1
	s_or_b32 exec_lo, exec_lo, s64
	v_mov_b32_e32 v2, 0
	s_wait_dscnt 0x0
	s_barrier_signal -1
	s_barrier_wait -1
	global_wb scope:SCOPE_DEV
	s_wait_storecnt 0x0
	global_inv scope:SCOPE_DEV
	s_and_saveexec_b32 s64, s0
	s_cbranch_execz .LBB17_687
; %bb.684:                              ;   in Loop: Header=BB17_3 Depth=1
	ds_load_b32 v2, v31 offset:7792
	ds_load_b32 v26, v30 offset:8056
	s_wait_dscnt 0x0
	v_fma_f32 v2, v2, v26, 0
	s_and_saveexec_b32 s65, s16
	s_cbranch_execz .LBB17_686
; %bb.685:                              ;   in Loop: Header=BB17_3 Depth=1
	ds_load_b32 v26, v32 offset:8048
	ds_load_b32 v27, v3 offset:8060
	s_wait_dscnt 0x0
	v_fmac_f32_e32 v2, v26, v27
.LBB17_686:                             ;   in Loop: Header=BB17_3 Depth=1
	s_or_b32 exec_lo, exec_lo, s65
.LBB17_687:                             ;   in Loop: Header=BB17_3 Depth=1
	s_delay_alu instid0(SALU_CYCLE_1)
	s_or_b32 exec_lo, exec_lo, s64
	s_and_saveexec_b32 s64, s91
	s_cbranch_execz .LBB17_689
; %bb.688:                              ;   in Loop: Header=BB17_3 Depth=1
	ds_load_b32 v26, v3 offset:7540
	s_wait_dscnt 0x0
	v_mul_f32_e32 v2, v2, v26
	s_delay_alu instid0(VALU_DEP_1)
	v_xor_b32_e32 v26, 0x80000000, v2
	ds_store_b32 v5, v26
.LBB17_689:                             ;   in Loop: Header=BB17_3 Depth=1
	s_or_b32 exec_lo, exec_lo, s64
	s_wait_loadcnt_dscnt 0x0
	s_barrier_signal -1
	s_barrier_wait -1
	s_and_saveexec_b32 s64, s92
	s_cbranch_execz .LBB17_691
; %bb.690:                              ;   in Loop: Header=BB17_3 Depth=1
	ds_load_b32 v26, v3 offset:7536
	ds_load_b32 v27, v5
	s_wait_dscnt 0x0
	v_fma_f32 v2, -v26, v27, v2
.LBB17_691:                             ;   in Loop: Header=BB17_3 Depth=1
	s_or_b32 exec_lo, exec_lo, s64
	s_barrier_signal -1
	s_barrier_wait -1
	s_and_saveexec_b32 s64, s92
	s_cbranch_execz .LBB17_693
; %bb.692:                              ;   in Loop: Header=BB17_3 Depth=1
	ds_load_b32 v26, v3 offset:7280
	s_wait_dscnt 0x0
	v_mul_f32_e32 v2, v2, v26
	s_delay_alu instid0(VALU_DEP_1)
	v_xor_b32_e32 v26, 0x80000000, v2
	ds_store_b32 v5, v26
.LBB17_693:                             ;   in Loop: Header=BB17_3 Depth=1
	s_or_b32 exec_lo, exec_lo, s64
	s_wait_dscnt 0x0
	s_barrier_signal -1
	s_barrier_wait -1
	s_barrier_signal -1
	s_barrier_wait -1
	s_and_saveexec_b32 s64, s0
; %bb.694:                              ;   in Loop: Header=BB17_3 Depth=1
	ds_store_b32 v33, v2 offset:8048
; %bb.695:                              ;   in Loop: Header=BB17_3 Depth=1
	s_or_b32 exec_lo, exec_lo, s64
	s_wait_dscnt 0x0
	s_barrier_signal -1
	s_barrier_wait -1
	s_barrier_signal -1
	s_barrier_wait -1
	s_and_saveexec_b32 s64, s93
	s_cbranch_execz .LBB17_697
; %bb.696:                              ;   in Loop: Header=BB17_3 Depth=1
	ds_load_b32 v2, v34 offset:7792
	s_wait_dscnt 0x0
	ds_store_b32 v32, v2 offset:7288
	ds_load_b32 v2, v34 offset:7796
	s_wait_dscnt 0x0
	ds_store_b32 v32, v2 offset:7544
.LBB17_697:                             ;   in Loop: Header=BB17_3 Depth=1
	s_or_b32 exec_lo, exec_lo, s64
	s_wait_dscnt 0x0
	s_barrier_signal -1
	s_barrier_wait -1
	s_and_saveexec_b32 s64, s15
	s_cbranch_execz .LBB17_699
; %bb.698:                              ;   in Loop: Header=BB17_3 Depth=1
	ds_load_b64 v[26:27], v3 offset:7536
	ds_load_b32 v2, v3 offset:7280
	s_wait_dscnt 0x0
	v_mul_f32_e32 v2, v2, v27
	s_delay_alu instid0(VALU_DEP_1)
	v_mul_f32_e32 v2, v26, v2
	v_add_nc_u32_e64 v26, 0x1c00, 0
	ds_store_2addr_b32 v26, v2, v2 offset0:29 offset1:92
.LBB17_699:                             ;   in Loop: Header=BB17_3 Depth=1
	s_or_b32 exec_lo, exec_lo, s64
	v_mov_b32_e32 v2, 0
	s_wait_dscnt 0x0
	s_barrier_signal -1
	s_barrier_wait -1
	global_wb scope:SCOPE_DEV
	s_wait_storecnt 0x0
	global_inv scope:SCOPE_DEV
	s_and_saveexec_b32 s64, s2
	s_cbranch_execz .LBB17_705
; %bb.700:                              ;   in Loop: Header=BB17_3 Depth=1
	ds_load_b32 v2, v37 offset:7264
	ds_load_b32 v26, v36 offset:8048
	s_wait_dscnt 0x0
	v_fma_f32 v2, v2, v26, 0
	s_and_saveexec_b32 s65, s17
	s_cbranch_execnz .LBB17_1233
; %bb.701:                              ;   in Loop: Header=BB17_3 Depth=1
	s_or_b32 exec_lo, exec_lo, s65
	s_and_saveexec_b32 s65, s18
	s_cbranch_execnz .LBB17_1234
.LBB17_702:                             ;   in Loop: Header=BB17_3 Depth=1
	s_or_b32 exec_lo, exec_lo, s65
	s_and_saveexec_b32 s65, s0
	s_cbranch_execz .LBB17_704
.LBB17_703:                             ;   in Loop: Header=BB17_3 Depth=1
	ds_load_b32 v26, v38 offset:8032
	ds_load_b32 v27, v3 offset:8060
	s_wait_dscnt 0x0
	v_fmac_f32_e32 v2, v26, v27
.LBB17_704:                             ;   in Loop: Header=BB17_3 Depth=1
	s_or_b32 exec_lo, exec_lo, s65
.LBB17_705:                             ;   in Loop: Header=BB17_3 Depth=1
	s_delay_alu instid0(SALU_CYCLE_1)
	s_or_b32 exec_lo, exec_lo, s64
	s_and_saveexec_b32 s64, s94
	s_cbranch_execz .LBB17_707
; %bb.706:                              ;   in Loop: Header=BB17_3 Depth=1
	ds_load_b32 v26, v3 offset:7020
	s_wait_dscnt 0x0
	v_mul_f32_e32 v2, v2, v26
	s_delay_alu instid0(VALU_DEP_1)
	v_xor_b32_e32 v26, 0x80000000, v2
	ds_store_b32 v35, v26
.LBB17_707:                             ;   in Loop: Header=BB17_3 Depth=1
	s_or_b32 exec_lo, exec_lo, s64
	s_wait_loadcnt_dscnt 0x0
	s_barrier_signal -1
	s_barrier_wait -1
	s_and_saveexec_b32 s64, s95
	s_cbranch_execz .LBB17_709
; %bb.708:                              ;   in Loop: Header=BB17_3 Depth=1
	ds_load_b32 v26, v37 offset:7008
	ds_load_b32 v27, v35
	s_wait_dscnt 0x0
	v_fma_f32 v2, -v26, v27, v2
.LBB17_709:                             ;   in Loop: Header=BB17_3 Depth=1
	s_or_b32 exec_lo, exec_lo, s64
	s_barrier_signal -1
	s_barrier_wait -1
	s_and_saveexec_b32 s64, s96
	s_cbranch_execz .LBB17_711
; %bb.710:                              ;   in Loop: Header=BB17_3 Depth=1
	ds_load_b32 v26, v3 offset:6760
	s_wait_dscnt 0x0
	v_mul_f32_e32 v2, v2, v26
	s_delay_alu instid0(VALU_DEP_1)
	v_xor_b32_e32 v26, 0x80000000, v2
	ds_store_b32 v35, v26
.LBB17_711:                             ;   in Loop: Header=BB17_3 Depth=1
	s_or_b32 exec_lo, exec_lo, s64
	s_wait_dscnt 0x0
	s_barrier_signal -1
	s_barrier_wait -1
	s_and_saveexec_b32 s64, s97
	s_cbranch_execz .LBB17_713
; %bb.712:                              ;   in Loop: Header=BB17_3 Depth=1
	ds_load_b32 v26, v37 offset:6752
	ds_load_b32 v27, v35
	s_wait_dscnt 0x0
	v_fma_f32 v2, -v26, v27, v2
.LBB17_713:                             ;   in Loop: Header=BB17_3 Depth=1
	s_or_b32 exec_lo, exec_lo, s64
	s_barrier_signal -1
	s_barrier_wait -1
	s_and_saveexec_b32 s64, s98
	s_cbranch_execz .LBB17_715
; %bb.714:                              ;   in Loop: Header=BB17_3 Depth=1
	ds_load_b32 v26, v3 offset:6500
	s_wait_dscnt 0x0
	v_mul_f32_e32 v2, v2, v26
	s_delay_alu instid0(VALU_DEP_1)
	v_xor_b32_e32 v26, 0x80000000, v2
	ds_store_b32 v35, v26
.LBB17_715:                             ;   in Loop: Header=BB17_3 Depth=1
	s_or_b32 exec_lo, exec_lo, s64
	s_wait_dscnt 0x0
	;; [unrolled: 25-line block ×3, first 2 shown]
	s_barrier_signal -1
	s_barrier_wait -1
	s_barrier_signal -1
	s_barrier_wait -1
	s_and_saveexec_b32 s64, s2
; %bb.720:                              ;   in Loop: Header=BB17_3 Depth=1
	ds_store_b32 v41, v2 offset:8032
; %bb.721:                              ;   in Loop: Header=BB17_3 Depth=1
	s_or_b32 exec_lo, exec_lo, s64
	s_wait_dscnt 0x0
	s_barrier_signal -1
	s_barrier_wait -1
	s_barrier_signal -1
	s_barrier_wait -1
	s_and_saveexec_b32 s64, s100
	s_cbranch_execz .LBB17_723
; %bb.722:                              ;   in Loop: Header=BB17_3 Depth=1
	ds_load_b32 v2, v39 offset:7264
	s_wait_dscnt 0x0
	ds_store_b32 v40, v2 offset:6256
	ds_load_b32 v2, v39 offset:7268
	s_wait_dscnt 0x0
	ds_store_b32 v40, v2 offset:6512
	;; [unrolled: 3-line block ×4, first 2 shown]
.LBB17_723:                             ;   in Loop: Header=BB17_3 Depth=1
	s_or_b32 exec_lo, exec_lo, s64
	s_wait_dscnt 0x0
	s_barrier_signal -1
	s_barrier_wait -1
	s_and_saveexec_b32 s64, s15
	s_cbranch_execz .LBB17_725
; %bb.724:                              ;   in Loop: Header=BB17_3 Depth=1
	ds_load_b64 v[26:27], v3 offset:7016
	ds_load_b32 v2, v3 offset:6760
	s_wait_dscnt 0x0
	v_mul_f32_e32 v2, v2, v27
	s_delay_alu instid0(VALU_DEP_1)
	v_mul_f32_e32 v2, v26, v2
	v_add_nc_u32_e64 v26, 0x1800, 0
	ds_store_2addr_b32 v26, v2, v2 offset0:155 offset1:218
.LBB17_725:                             ;   in Loop: Header=BB17_3 Depth=1
	s_or_b32 exec_lo, exec_lo, s64
	v_mov_b32_e32 v2, 0
	s_wait_dscnt 0x0
	s_barrier_signal -1
	s_barrier_wait -1
	global_wb scope:SCOPE_DEV
	s_wait_storecnt 0x0
	global_inv scope:SCOPE_DEV
	s_and_saveexec_b32 s64, s0
	s_cbranch_execz .LBB17_729
; %bb.726:                              ;   in Loop: Header=BB17_3 Depth=1
	ds_load_b32 v2, v31 offset:6752
	ds_load_b32 v26, v30 offset:7016
	s_wait_dscnt 0x0
	v_fma_f32 v2, v2, v26, 0
	s_and_saveexec_b32 s65, s16
	s_cbranch_execz .LBB17_728
; %bb.727:                              ;   in Loop: Header=BB17_3 Depth=1
	ds_load_b32 v26, v40 offset:7008
	ds_load_b32 v27, v3 offset:7020
	s_wait_dscnt 0x0
	v_fmac_f32_e32 v2, v26, v27
.LBB17_728:                             ;   in Loop: Header=BB17_3 Depth=1
	s_or_b32 exec_lo, exec_lo, s65
.LBB17_729:                             ;   in Loop: Header=BB17_3 Depth=1
	s_delay_alu instid0(SALU_CYCLE_1)
	s_or_b32 exec_lo, exec_lo, s64
	s_and_saveexec_b32 s64, s91
	s_cbranch_execz .LBB17_731
; %bb.730:                              ;   in Loop: Header=BB17_3 Depth=1
	ds_load_b32 v26, v3 offset:6500
	s_wait_dscnt 0x0
	v_mul_f32_e32 v2, v2, v26
	s_delay_alu instid0(VALU_DEP_1)
	v_xor_b32_e32 v26, 0x80000000, v2
	ds_store_b32 v5, v26
.LBB17_731:                             ;   in Loop: Header=BB17_3 Depth=1
	s_or_b32 exec_lo, exec_lo, s64
	s_wait_loadcnt_dscnt 0x0
	s_barrier_signal -1
	s_barrier_wait -1
	s_and_saveexec_b32 s64, s92
	s_cbranch_execz .LBB17_733
; %bb.732:                              ;   in Loop: Header=BB17_3 Depth=1
	ds_load_b32 v26, v3 offset:6496
	ds_load_b32 v27, v5
	s_wait_dscnt 0x0
	v_fma_f32 v2, -v26, v27, v2
.LBB17_733:                             ;   in Loop: Header=BB17_3 Depth=1
	s_or_b32 exec_lo, exec_lo, s64
	s_barrier_signal -1
	s_barrier_wait -1
	s_and_saveexec_b32 s64, s92
	s_cbranch_execz .LBB17_735
; %bb.734:                              ;   in Loop: Header=BB17_3 Depth=1
	ds_load_b32 v26, v3 offset:6240
	s_wait_dscnt 0x0
	v_mul_f32_e32 v2, v2, v26
	s_delay_alu instid0(VALU_DEP_1)
	v_xor_b32_e32 v26, 0x80000000, v2
	ds_store_b32 v5, v26
.LBB17_735:                             ;   in Loop: Header=BB17_3 Depth=1
	s_or_b32 exec_lo, exec_lo, s64
	s_wait_dscnt 0x0
	s_barrier_signal -1
	s_barrier_wait -1
	s_barrier_signal -1
	s_barrier_wait -1
	s_and_saveexec_b32 s64, s0
; %bb.736:                              ;   in Loop: Header=BB17_3 Depth=1
	ds_store_b32 v33, v2 offset:7008
; %bb.737:                              ;   in Loop: Header=BB17_3 Depth=1
	s_or_b32 exec_lo, exec_lo, s64
	s_wait_dscnt 0x0
	s_barrier_signal -1
	s_barrier_wait -1
	s_barrier_signal -1
	s_barrier_wait -1
	s_and_saveexec_b32 s64, s93
	s_cbranch_execz .LBB17_739
; %bb.738:                              ;   in Loop: Header=BB17_3 Depth=1
	ds_load_b32 v2, v42 offset:6752
	s_wait_dscnt 0x0
	ds_store_b32 v40, v2 offset:6248
	ds_load_b32 v2, v42 offset:6756
	s_wait_dscnt 0x0
	ds_store_b32 v40, v2 offset:6504
.LBB17_739:                             ;   in Loop: Header=BB17_3 Depth=1
	s_or_b32 exec_lo, exec_lo, s64
	s_wait_dscnt 0x0
	s_barrier_signal -1
	s_barrier_wait -1
	s_and_saveexec_b32 s64, s15
	s_cbranch_execz .LBB17_741
; %bb.740:                              ;   in Loop: Header=BB17_3 Depth=1
	ds_load_b64 v[26:27], v3 offset:6496
	ds_load_b32 v2, v3 offset:6240
	s_wait_dscnt 0x0
	v_mul_f32_e32 v2, v2, v27
	s_delay_alu instid0(VALU_DEP_1)
	v_mul_f32_e32 v2, v26, v2
	v_add_nc_u32_e64 v26, 0x1800, 0
	ds_store_2addr_b32 v26, v2, v2 offset0:25 offset1:88
.LBB17_741:                             ;   in Loop: Header=BB17_3 Depth=1
	s_or_b32 exec_lo, exec_lo, s64
	v_mov_b32_e32 v2, 0
	s_wait_dscnt 0x0
	s_barrier_signal -1
	s_barrier_wait -1
	global_wb scope:SCOPE_DEV
	s_wait_storecnt 0x0
	global_inv scope:SCOPE_DEV
	s_and_saveexec_b32 s64, s3
	s_cbranch_execz .LBB17_751
; %bb.742:                              ;   in Loop: Header=BB17_3 Depth=1
	ds_load_b32 v2, v45 offset:6208
	ds_load_b32 v26, v44 offset:8032
	s_wait_dscnt 0x0
	v_fma_f32 v2, v2, v26, 0
	s_and_saveexec_b32 s65, s19
	s_cbranch_execnz .LBB17_1235
; %bb.743:                              ;   in Loop: Header=BB17_3 Depth=1
	s_or_b32 exec_lo, exec_lo, s65
	s_and_saveexec_b32 s65, s20
	s_cbranch_execnz .LBB17_1236
.LBB17_744:                             ;   in Loop: Header=BB17_3 Depth=1
	s_or_b32 exec_lo, exec_lo, s65
	s_and_saveexec_b32 s65, s21
	s_cbranch_execnz .LBB17_1237
.LBB17_745:                             ;   in Loop: Header=BB17_3 Depth=1
	s_or_b32 exec_lo, exec_lo, s65
	s_and_saveexec_b32 s65, s22
	s_cbranch_execnz .LBB17_1238
.LBB17_746:                             ;   in Loop: Header=BB17_3 Depth=1
	s_or_b32 exec_lo, exec_lo, s65
	s_and_saveexec_b32 s65, s23
	s_cbranch_execnz .LBB17_1239
.LBB17_747:                             ;   in Loop: Header=BB17_3 Depth=1
	s_or_b32 exec_lo, exec_lo, s65
	s_and_saveexec_b32 s65, s2
	s_cbranch_execnz .LBB17_1240
.LBB17_748:                             ;   in Loop: Header=BB17_3 Depth=1
	s_or_b32 exec_lo, exec_lo, s65
	s_and_saveexec_b32 s65, s18
	s_cbranch_execz .LBB17_750
.LBB17_749:                             ;   in Loop: Header=BB17_3 Depth=1
	ds_load_b32 v26, v46 offset:8000
	ds_load_b32 v27, v3 offset:8060
	s_wait_dscnt 0x0
	v_fmac_f32_e32 v2, v26, v27
.LBB17_750:                             ;   in Loop: Header=BB17_3 Depth=1
	s_or_b32 exec_lo, exec_lo, s65
.LBB17_751:                             ;   in Loop: Header=BB17_3 Depth=1
	s_delay_alu instid0(SALU_CYCLE_1)
	s_or_b32 exec_lo, exec_lo, s64
	s_and_saveexec_b32 s64, s101
	s_cbranch_execz .LBB17_753
; %bb.752:                              ;   in Loop: Header=BB17_3 Depth=1
	ds_load_b32 v26, v3 offset:5980
	s_wait_dscnt 0x0
	v_mul_f32_e32 v2, v2, v26
	s_delay_alu instid0(VALU_DEP_1)
	v_xor_b32_e32 v26, 0x80000000, v2
	ds_store_b32 v43, v26
.LBB17_753:                             ;   in Loop: Header=BB17_3 Depth=1
	s_or_b32 exec_lo, exec_lo, s64
	s_wait_loadcnt_dscnt 0x0
	s_barrier_signal -1
	s_barrier_wait -1
	s_and_saveexec_b32 s64, s102
	s_cbranch_execz .LBB17_755
; %bb.754:                              ;   in Loop: Header=BB17_3 Depth=1
	ds_load_b32 v26, v45 offset:5952
	ds_load_b32 v27, v43
	s_wait_dscnt 0x0
	v_fma_f32 v2, -v26, v27, v2
.LBB17_755:                             ;   in Loop: Header=BB17_3 Depth=1
	s_or_b32 exec_lo, exec_lo, s64
	s_barrier_signal -1
	s_barrier_wait -1
	s_and_saveexec_b32 s64, s103
	s_cbranch_execz .LBB17_757
; %bb.756:                              ;   in Loop: Header=BB17_3 Depth=1
	ds_load_b32 v26, v3 offset:5720
	s_wait_dscnt 0x0
	v_mul_f32_e32 v2, v2, v26
	s_delay_alu instid0(VALU_DEP_1)
	v_xor_b32_e32 v26, 0x80000000, v2
	ds_store_b32 v43, v26
.LBB17_757:                             ;   in Loop: Header=BB17_3 Depth=1
	s_or_b32 exec_lo, exec_lo, s64
	s_wait_dscnt 0x0
	s_barrier_signal -1
	s_barrier_wait -1
	s_and_saveexec_b32 s64, s104
	s_cbranch_execz .LBB17_759
; %bb.758:                              ;   in Loop: Header=BB17_3 Depth=1
	ds_load_b32 v26, v45 offset:5696
	ds_load_b32 v27, v43
	s_wait_dscnt 0x0
	v_fma_f32 v2, -v26, v27, v2
.LBB17_759:                             ;   in Loop: Header=BB17_3 Depth=1
	s_or_b32 exec_lo, exec_lo, s64
	s_barrier_signal -1
	s_barrier_wait -1
	s_and_saveexec_b32 s64, vcc_hi
	s_cbranch_execz .LBB17_761
; %bb.760:                              ;   in Loop: Header=BB17_3 Depth=1
	ds_load_b32 v26, v3 offset:5460
	s_wait_dscnt 0x0
	v_mul_f32_e32 v2, v2, v26
	s_delay_alu instid0(VALU_DEP_1)
	v_xor_b32_e32 v26, 0x80000000, v2
	ds_store_b32 v43, v26
.LBB17_761:                             ;   in Loop: Header=BB17_3 Depth=1
	s_or_b32 exec_lo, exec_lo, s64
	s_wait_dscnt 0x0
	s_barrier_signal -1
	s_barrier_wait -1
	s_and_saveexec_b32 s64, s36
	s_cbranch_execz .LBB17_763
; %bb.762:                              ;   in Loop: Header=BB17_3 Depth=1
	ds_load_b32 v26, v45 offset:5440
	ds_load_b32 v27, v43
	s_wait_dscnt 0x0
	v_fma_f32 v2, -v26, v27, v2
.LBB17_763:                             ;   in Loop: Header=BB17_3 Depth=1
	s_or_b32 exec_lo, exec_lo, s64
	s_barrier_signal -1
	s_barrier_wait -1
	s_and_saveexec_b32 s64, s37
	s_cbranch_execz .LBB17_765
; %bb.764:                              ;   in Loop: Header=BB17_3 Depth=1
	ds_load_b32 v26, v3 offset:5200
	s_wait_dscnt 0x0
	v_mul_f32_e32 v2, v2, v26
	s_delay_alu instid0(VALU_DEP_1)
	v_xor_b32_e32 v26, 0x80000000, v2
	ds_store_b32 v43, v26
.LBB17_765:                             ;   in Loop: Header=BB17_3 Depth=1
	s_or_b32 exec_lo, exec_lo, s64
	s_wait_dscnt 0x0
	s_barrier_signal -1
	s_barrier_wait -1
	s_and_saveexec_b32 s64, s38
	s_cbranch_execz .LBB17_767
; %bb.766:                              ;   in Loop: Header=BB17_3 Depth=1
	ds_load_b32 v26, v45 offset:5184
	ds_load_b32 v27, v43
	s_wait_dscnt 0x0
	v_fma_f32 v2, -v26, v27, v2
.LBB17_767:                             ;   in Loop: Header=BB17_3 Depth=1
	s_or_b32 exec_lo, exec_lo, s64
	s_barrier_signal -1
	s_barrier_wait -1
	s_and_saveexec_b32 s64, s39
	;; [unrolled: 25-line block ×5, first 2 shown]
	s_cbranch_execz .LBB17_781
; %bb.780:                              ;   in Loop: Header=BB17_3 Depth=1
	ds_load_b32 v26, v3 offset:4160
	s_wait_dscnt 0x0
	v_mul_f32_e32 v2, v2, v26
	s_delay_alu instid0(VALU_DEP_1)
	v_xor_b32_e32 v26, 0x80000000, v2
	ds_store_b32 v43, v26
.LBB17_781:                             ;   in Loop: Header=BB17_3 Depth=1
	s_or_b32 exec_lo, exec_lo, s64
	s_wait_dscnt 0x0
	s_barrier_signal -1
	s_barrier_wait -1
	s_barrier_signal -1
	s_barrier_wait -1
	s_and_saveexec_b32 s64, s3
; %bb.782:                              ;   in Loop: Header=BB17_3 Depth=1
	ds_store_b32 v48, v2 offset:8000
; %bb.783:                              ;   in Loop: Header=BB17_3 Depth=1
	s_or_b32 exec_lo, exec_lo, s64
	s_wait_dscnt 0x0
	s_barrier_signal -1
	s_barrier_wait -1
	s_barrier_signal -1
	s_barrier_wait -1
	s_and_saveexec_b32 s64, s45
	s_cbranch_execz .LBB17_785
; %bb.784:                              ;   in Loop: Header=BB17_3 Depth=1
	ds_load_b32 v2, v47 offset:6208
	s_wait_dscnt 0x0
	ds_store_b32 v49, v2 offset:4192
	ds_load_b32 v2, v47 offset:6212
	s_wait_dscnt 0x0
	ds_store_b32 v49, v2 offset:4448
	;; [unrolled: 3-line block ×8, first 2 shown]
.LBB17_785:                             ;   in Loop: Header=BB17_3 Depth=1
	s_or_b32 exec_lo, exec_lo, s64
	s_wait_dscnt 0x0
	s_barrier_signal -1
	s_barrier_wait -1
	s_and_saveexec_b32 s64, s15
	s_cbranch_execz .LBB17_787
; %bb.786:                              ;   in Loop: Header=BB17_3 Depth=1
	ds_load_b64 v[26:27], v3 offset:5976
	ds_load_b32 v2, v3 offset:5720
	s_wait_dscnt 0x0
	v_mul_f32_e32 v2, v2, v27
	s_delay_alu instid0(VALU_DEP_1)
	v_mul_f32_e32 v2, v26, v2
	v_add_nc_u32_e64 v26, 0x1400, 0
	ds_store_2addr_b32 v26, v2, v2 offset0:151 offset1:214
.LBB17_787:                             ;   in Loop: Header=BB17_3 Depth=1
	s_or_b32 exec_lo, exec_lo, s64
	v_mov_b32_e32 v2, 0
	s_wait_dscnt 0x0
	s_barrier_signal -1
	s_barrier_wait -1
	global_wb scope:SCOPE_DEV
	s_wait_storecnt 0x0
	global_inv scope:SCOPE_DEV
	s_and_saveexec_b32 s64, s0
	s_cbranch_execz .LBB17_791
; %bb.788:                              ;   in Loop: Header=BB17_3 Depth=1
	ds_load_b32 v2, v31 offset:5712
	ds_load_b32 v26, v30 offset:5976
	s_wait_dscnt 0x0
	v_fma_f32 v2, v2, v26, 0
	s_and_saveexec_b32 s65, s16
	s_cbranch_execz .LBB17_790
; %bb.789:                              ;   in Loop: Header=BB17_3 Depth=1
	ds_load_b32 v26, v49 offset:5968
	ds_load_b32 v27, v3 offset:5980
	s_wait_dscnt 0x0
	v_fmac_f32_e32 v2, v26, v27
.LBB17_790:                             ;   in Loop: Header=BB17_3 Depth=1
	s_or_b32 exec_lo, exec_lo, s65
.LBB17_791:                             ;   in Loop: Header=BB17_3 Depth=1
	s_delay_alu instid0(SALU_CYCLE_1)
	s_or_b32 exec_lo, exec_lo, s64
	s_and_saveexec_b32 s64, s91
	s_cbranch_execz .LBB17_793
; %bb.792:                              ;   in Loop: Header=BB17_3 Depth=1
	ds_load_b32 v26, v3 offset:5460
	s_wait_dscnt 0x0
	v_mul_f32_e32 v2, v2, v26
	s_delay_alu instid0(VALU_DEP_1)
	v_xor_b32_e32 v26, 0x80000000, v2
	ds_store_b32 v5, v26
.LBB17_793:                             ;   in Loop: Header=BB17_3 Depth=1
	s_or_b32 exec_lo, exec_lo, s64
	s_wait_loadcnt_dscnt 0x0
	s_barrier_signal -1
	s_barrier_wait -1
	s_and_saveexec_b32 s64, s92
	s_cbranch_execz .LBB17_795
; %bb.794:                              ;   in Loop: Header=BB17_3 Depth=1
	ds_load_b32 v26, v3 offset:5456
	ds_load_b32 v27, v5
	s_wait_dscnt 0x0
	v_fma_f32 v2, -v26, v27, v2
.LBB17_795:                             ;   in Loop: Header=BB17_3 Depth=1
	s_or_b32 exec_lo, exec_lo, s64
	s_barrier_signal -1
	s_barrier_wait -1
	s_and_saveexec_b32 s64, s92
	s_cbranch_execz .LBB17_797
; %bb.796:                              ;   in Loop: Header=BB17_3 Depth=1
	ds_load_b32 v26, v3 offset:5200
	s_wait_dscnt 0x0
	v_mul_f32_e32 v2, v2, v26
	s_delay_alu instid0(VALU_DEP_1)
	v_xor_b32_e32 v26, 0x80000000, v2
	ds_store_b32 v5, v26
.LBB17_797:                             ;   in Loop: Header=BB17_3 Depth=1
	s_or_b32 exec_lo, exec_lo, s64
	s_wait_dscnt 0x0
	s_barrier_signal -1
	s_barrier_wait -1
	s_barrier_signal -1
	s_barrier_wait -1
	s_and_saveexec_b32 s64, s0
; %bb.798:                              ;   in Loop: Header=BB17_3 Depth=1
	ds_store_b32 v33, v2 offset:5968
; %bb.799:                              ;   in Loop: Header=BB17_3 Depth=1
	s_or_b32 exec_lo, exec_lo, s64
	s_wait_dscnt 0x0
	s_barrier_signal -1
	s_barrier_wait -1
	s_barrier_signal -1
	s_barrier_wait -1
	s_and_saveexec_b32 s64, s93
	s_cbranch_execz .LBB17_801
; %bb.800:                              ;   in Loop: Header=BB17_3 Depth=1
	ds_load_b32 v2, v54 offset:5712
	s_wait_dscnt 0x0
	ds_store_b32 v49, v2 offset:5208
	ds_load_b32 v2, v54 offset:5716
	s_wait_dscnt 0x0
	ds_store_b32 v49, v2 offset:5464
.LBB17_801:                             ;   in Loop: Header=BB17_3 Depth=1
	s_or_b32 exec_lo, exec_lo, s64
	s_wait_dscnt 0x0
	s_barrier_signal -1
	s_barrier_wait -1
	s_and_saveexec_b32 s64, s15
	s_cbranch_execz .LBB17_803
; %bb.802:                              ;   in Loop: Header=BB17_3 Depth=1
	ds_load_b64 v[26:27], v3 offset:5456
	ds_load_b32 v2, v3 offset:5200
	s_wait_dscnt 0x0
	v_mul_f32_e32 v2, v2, v27
	s_delay_alu instid0(VALU_DEP_1)
	v_mul_f32_e32 v2, v26, v2
	v_add_nc_u32_e64 v26, 0x1400, 0
	ds_store_2addr_b32 v26, v2, v2 offset0:21 offset1:84
.LBB17_803:                             ;   in Loop: Header=BB17_3 Depth=1
	s_or_b32 exec_lo, exec_lo, s64
	v_mov_b32_e32 v2, 0
	s_wait_dscnt 0x0
	s_barrier_signal -1
	s_barrier_wait -1
	global_wb scope:SCOPE_DEV
	s_wait_storecnt 0x0
	global_inv scope:SCOPE_DEV
	s_and_saveexec_b32 s64, s2
	s_cbranch_execz .LBB17_809
; %bb.804:                              ;   in Loop: Header=BB17_3 Depth=1
	ds_load_b32 v2, v37 offset:5184
	ds_load_b32 v26, v36 offset:5968
	s_wait_dscnt 0x0
	v_fma_f32 v2, v2, v26, 0
	s_and_saveexec_b32 s65, s17
	s_cbranch_execnz .LBB17_1241
; %bb.805:                              ;   in Loop: Header=BB17_3 Depth=1
	s_or_b32 exec_lo, exec_lo, s65
	s_and_saveexec_b32 s65, s18
	s_cbranch_execnz .LBB17_1242
.LBB17_806:                             ;   in Loop: Header=BB17_3 Depth=1
	s_or_b32 exec_lo, exec_lo, s65
	s_and_saveexec_b32 s65, s0
	s_cbranch_execz .LBB17_808
.LBB17_807:                             ;   in Loop: Header=BB17_3 Depth=1
	ds_load_b32 v26, v55 offset:5952
	ds_load_b32 v27, v3 offset:5980
	s_wait_dscnt 0x0
	v_fmac_f32_e32 v2, v26, v27
.LBB17_808:                             ;   in Loop: Header=BB17_3 Depth=1
	s_or_b32 exec_lo, exec_lo, s65
.LBB17_809:                             ;   in Loop: Header=BB17_3 Depth=1
	s_delay_alu instid0(SALU_CYCLE_1)
	s_or_b32 exec_lo, exec_lo, s64
	s_and_saveexec_b32 s64, s94
	s_cbranch_execz .LBB17_811
; %bb.810:                              ;   in Loop: Header=BB17_3 Depth=1
	ds_load_b32 v26, v3 offset:4940
	s_wait_dscnt 0x0
	v_mul_f32_e32 v2, v2, v26
	s_delay_alu instid0(VALU_DEP_1)
	v_xor_b32_e32 v26, 0x80000000, v2
	ds_store_b32 v35, v26
.LBB17_811:                             ;   in Loop: Header=BB17_3 Depth=1
	s_or_b32 exec_lo, exec_lo, s64
	s_wait_loadcnt_dscnt 0x0
	s_barrier_signal -1
	s_barrier_wait -1
	s_and_saveexec_b32 s64, s95
	s_cbranch_execz .LBB17_813
; %bb.812:                              ;   in Loop: Header=BB17_3 Depth=1
	ds_load_b32 v26, v37 offset:4928
	ds_load_b32 v27, v35
	s_wait_dscnt 0x0
	v_fma_f32 v2, -v26, v27, v2
.LBB17_813:                             ;   in Loop: Header=BB17_3 Depth=1
	s_or_b32 exec_lo, exec_lo, s64
	s_barrier_signal -1
	s_barrier_wait -1
	s_and_saveexec_b32 s64, s96
	s_cbranch_execz .LBB17_815
; %bb.814:                              ;   in Loop: Header=BB17_3 Depth=1
	ds_load_b32 v26, v3 offset:4680
	s_wait_dscnt 0x0
	v_mul_f32_e32 v2, v2, v26
	s_delay_alu instid0(VALU_DEP_1)
	v_xor_b32_e32 v26, 0x80000000, v2
	ds_store_b32 v35, v26
.LBB17_815:                             ;   in Loop: Header=BB17_3 Depth=1
	s_or_b32 exec_lo, exec_lo, s64
	s_wait_dscnt 0x0
	s_barrier_signal -1
	s_barrier_wait -1
	s_and_saveexec_b32 s64, s97
	s_cbranch_execz .LBB17_817
; %bb.816:                              ;   in Loop: Header=BB17_3 Depth=1
	ds_load_b32 v26, v37 offset:4672
	ds_load_b32 v27, v35
	s_wait_dscnt 0x0
	v_fma_f32 v2, -v26, v27, v2
.LBB17_817:                             ;   in Loop: Header=BB17_3 Depth=1
	s_or_b32 exec_lo, exec_lo, s64
	s_barrier_signal -1
	s_barrier_wait -1
	s_and_saveexec_b32 s64, s98
	s_cbranch_execz .LBB17_819
; %bb.818:                              ;   in Loop: Header=BB17_3 Depth=1
	ds_load_b32 v26, v3 offset:4420
	s_wait_dscnt 0x0
	v_mul_f32_e32 v2, v2, v26
	s_delay_alu instid0(VALU_DEP_1)
	v_xor_b32_e32 v26, 0x80000000, v2
	ds_store_b32 v35, v26
.LBB17_819:                             ;   in Loop: Header=BB17_3 Depth=1
	s_or_b32 exec_lo, exec_lo, s64
	s_wait_dscnt 0x0
	;; [unrolled: 25-line block ×3, first 2 shown]
	s_barrier_signal -1
	s_barrier_wait -1
	s_barrier_signal -1
	s_barrier_wait -1
	s_and_saveexec_b32 s64, s2
; %bb.824:                              ;   in Loop: Header=BB17_3 Depth=1
	ds_store_b32 v41, v2 offset:5952
; %bb.825:                              ;   in Loop: Header=BB17_3 Depth=1
	s_or_b32 exec_lo, exec_lo, s64
	s_wait_dscnt 0x0
	s_barrier_signal -1
	s_barrier_wait -1
	s_barrier_signal -1
	s_barrier_wait -1
	s_and_saveexec_b32 s64, s100
	s_cbranch_execz .LBB17_827
; %bb.826:                              ;   in Loop: Header=BB17_3 Depth=1
	ds_load_b32 v2, v56 offset:5184
	s_wait_dscnt 0x0
	ds_store_b32 v57, v2 offset:4176
	ds_load_b32 v2, v56 offset:5188
	s_wait_dscnt 0x0
	ds_store_b32 v57, v2 offset:4432
	;; [unrolled: 3-line block ×4, first 2 shown]
.LBB17_827:                             ;   in Loop: Header=BB17_3 Depth=1
	s_or_b32 exec_lo, exec_lo, s64
	s_wait_dscnt 0x0
	s_barrier_signal -1
	s_barrier_wait -1
	s_and_saveexec_b32 s64, s15
	s_cbranch_execz .LBB17_829
; %bb.828:                              ;   in Loop: Header=BB17_3 Depth=1
	ds_load_b64 v[26:27], v3 offset:4936
	ds_load_b32 v2, v3 offset:4680
	s_wait_dscnt 0x0
	v_mul_f32_e32 v2, v2, v27
	s_delay_alu instid0(VALU_DEP_1)
	v_mul_f32_e32 v2, v26, v2
	v_add_nc_u32_e64 v26, 0x1000, 0
	ds_store_2addr_b32 v26, v2, v2 offset0:147 offset1:210
.LBB17_829:                             ;   in Loop: Header=BB17_3 Depth=1
	s_or_b32 exec_lo, exec_lo, s64
	v_mov_b32_e32 v2, 0
	s_wait_dscnt 0x0
	s_barrier_signal -1
	s_barrier_wait -1
	global_wb scope:SCOPE_DEV
	s_wait_storecnt 0x0
	global_inv scope:SCOPE_DEV
	s_and_saveexec_b32 s64, s0
	s_cbranch_execz .LBB17_833
; %bb.830:                              ;   in Loop: Header=BB17_3 Depth=1
	ds_load_b32 v2, v31 offset:4672
	ds_load_b32 v26, v30 offset:4936
	s_wait_dscnt 0x0
	v_fma_f32 v2, v2, v26, 0
	s_and_saveexec_b32 s65, s16
	s_cbranch_execz .LBB17_832
; %bb.831:                              ;   in Loop: Header=BB17_3 Depth=1
	ds_load_b32 v26, v57 offset:4928
	ds_load_b32 v27, v3 offset:4940
	s_wait_dscnt 0x0
	v_fmac_f32_e32 v2, v26, v27
.LBB17_832:                             ;   in Loop: Header=BB17_3 Depth=1
	s_or_b32 exec_lo, exec_lo, s65
.LBB17_833:                             ;   in Loop: Header=BB17_3 Depth=1
	s_delay_alu instid0(SALU_CYCLE_1)
	s_or_b32 exec_lo, exec_lo, s64
	s_and_saveexec_b32 s64, s91
	s_cbranch_execz .LBB17_835
; %bb.834:                              ;   in Loop: Header=BB17_3 Depth=1
	ds_load_b32 v26, v3 offset:4420
	s_wait_dscnt 0x0
	v_mul_f32_e32 v2, v2, v26
	s_delay_alu instid0(VALU_DEP_1)
	v_xor_b32_e32 v26, 0x80000000, v2
	ds_store_b32 v5, v26
.LBB17_835:                             ;   in Loop: Header=BB17_3 Depth=1
	s_or_b32 exec_lo, exec_lo, s64
	s_wait_loadcnt_dscnt 0x0
	s_barrier_signal -1
	s_barrier_wait -1
	s_and_saveexec_b32 s64, s92
	s_cbranch_execz .LBB17_837
; %bb.836:                              ;   in Loop: Header=BB17_3 Depth=1
	ds_load_b32 v26, v3 offset:4416
	ds_load_b32 v27, v5
	s_wait_dscnt 0x0
	v_fma_f32 v2, -v26, v27, v2
.LBB17_837:                             ;   in Loop: Header=BB17_3 Depth=1
	s_or_b32 exec_lo, exec_lo, s64
	s_barrier_signal -1
	s_barrier_wait -1
	s_and_saveexec_b32 s64, s92
	s_cbranch_execz .LBB17_839
; %bb.838:                              ;   in Loop: Header=BB17_3 Depth=1
	ds_load_b32 v26, v3 offset:4160
	s_wait_dscnt 0x0
	v_mul_f32_e32 v2, v2, v26
	s_delay_alu instid0(VALU_DEP_1)
	v_xor_b32_e32 v26, 0x80000000, v2
	ds_store_b32 v5, v26
.LBB17_839:                             ;   in Loop: Header=BB17_3 Depth=1
	s_or_b32 exec_lo, exec_lo, s64
	s_wait_dscnt 0x0
	s_barrier_signal -1
	s_barrier_wait -1
	s_barrier_signal -1
	s_barrier_wait -1
	s_and_saveexec_b32 s64, s0
; %bb.840:                              ;   in Loop: Header=BB17_3 Depth=1
	ds_store_b32 v33, v2 offset:4928
; %bb.841:                              ;   in Loop: Header=BB17_3 Depth=1
	s_or_b32 exec_lo, exec_lo, s64
	s_wait_dscnt 0x0
	s_barrier_signal -1
	s_barrier_wait -1
	s_barrier_signal -1
	s_barrier_wait -1
	s_and_saveexec_b32 s64, s93
	s_cbranch_execz .LBB17_843
; %bb.842:                              ;   in Loop: Header=BB17_3 Depth=1
	ds_load_b32 v2, v58 offset:4672
	s_wait_dscnt 0x0
	ds_store_b32 v57, v2 offset:4168
	ds_load_b32 v2, v58 offset:4676
	s_wait_dscnt 0x0
	ds_store_b32 v57, v2 offset:4424
.LBB17_843:                             ;   in Loop: Header=BB17_3 Depth=1
	s_or_b32 exec_lo, exec_lo, s64
	s_wait_dscnt 0x0
	s_barrier_signal -1
	s_barrier_wait -1
	s_and_saveexec_b32 s64, s15
	s_cbranch_execz .LBB17_845
; %bb.844:                              ;   in Loop: Header=BB17_3 Depth=1
	ds_load_b64 v[26:27], v3 offset:4416
	ds_load_b32 v2, v3 offset:4160
	s_wait_dscnt 0x0
	v_mul_f32_e32 v2, v2, v27
	s_delay_alu instid0(VALU_DEP_1)
	v_mul_f32_e32 v2, v26, v2
	v_add_nc_u32_e64 v26, 0x1000, 0
	ds_store_2addr_b32 v26, v2, v2 offset0:17 offset1:80
.LBB17_845:                             ;   in Loop: Header=BB17_3 Depth=1
	s_or_b32 exec_lo, exec_lo, s64
	v_mov_b32_e32 v2, 0
	s_wait_dscnt 0x0
	s_barrier_signal -1
	s_barrier_wait -1
	global_wb scope:SCOPE_DEV
	s_wait_storecnt 0x0
	global_inv scope:SCOPE_DEV
	s_and_saveexec_b32 s65, s4
	s_cbranch_execz .LBB17_873
; %bb.846:                              ;   in Loop: Header=BB17_3 Depth=1
	ds_load_b32 v2, v52 offset:4096
	ds_load_b32 v26, v51 offset:8000
	s_wait_dscnt 0x0
	v_fma_f32 v2, v2, v26, 0
	s_mov_b32 s64, exec_lo
	v_readlane_b32 s68, v85, 21
	s_and_b32 s68, s64, s68
	s_delay_alu instid0(SALU_CYCLE_1)
	s_mov_b32 exec_lo, s68
	s_cbranch_execz .LBB17_848
; %bb.847:                              ;   in Loop: Header=BB17_3 Depth=1
	ds_load_b32 v26, v52 offset:4352
	ds_load_b32 v27, v51 offset:8004
	s_wait_dscnt 0x0
	v_fmac_f32_e32 v2, v26, v27
.LBB17_848:                             ;   in Loop: Header=BB17_3 Depth=1
	s_or_b32 exec_lo, exec_lo, s64
	s_delay_alu instid0(SALU_CYCLE_1) | instskip(SKIP_2) | instid1(SALU_CYCLE_1)
	s_mov_b32 s64, exec_lo
	v_readlane_b32 s68, v85, 22
	s_and_b32 s68, s64, s68
	s_mov_b32 exec_lo, s68
	s_cbranch_execz .LBB17_850
; %bb.849:                              ;   in Loop: Header=BB17_3 Depth=1
	ds_load_b32 v26, v52 offset:4608
	ds_load_b32 v27, v51 offset:8008
	s_wait_dscnt 0x0
	v_fmac_f32_e32 v2, v26, v27
.LBB17_850:                             ;   in Loop: Header=BB17_3 Depth=1
	s_or_b32 exec_lo, exec_lo, s64
	s_delay_alu instid0(SALU_CYCLE_1) | instskip(SKIP_2) | instid1(SALU_CYCLE_1)
	s_mov_b32 s64, exec_lo
	v_readlane_b32 s68, v85, 23
	s_and_b32 s68, s64, s68
	s_mov_b32 exec_lo, s68
	s_cbranch_execz .LBB17_852
; %bb.851:                              ;   in Loop: Header=BB17_3 Depth=1
	ds_load_b32 v26, v52 offset:4864
	ds_load_b32 v27, v51 offset:8012
	s_wait_dscnt 0x0
	v_fmac_f32_e32 v2, v26, v27
.LBB17_852:                             ;   in Loop: Header=BB17_3 Depth=1
	s_or_b32 exec_lo, exec_lo, s64
	s_delay_alu instid0(SALU_CYCLE_1) | instskip(SKIP_2) | instid1(SALU_CYCLE_1)
	s_mov_b32 s64, exec_lo
	v_readlane_b32 s68, v85, 24
	s_and_b32 s68, s64, s68
	s_mov_b32 exec_lo, s68
	s_cbranch_execz .LBB17_854
; %bb.853:                              ;   in Loop: Header=BB17_3 Depth=1
	ds_load_b32 v26, v52 offset:5120
	ds_load_b32 v27, v51 offset:8016
	s_wait_dscnt 0x0
	v_fmac_f32_e32 v2, v26, v27
.LBB17_854:                             ;   in Loop: Header=BB17_3 Depth=1
	s_or_b32 exec_lo, exec_lo, s64
	s_delay_alu instid0(SALU_CYCLE_1) | instskip(SKIP_2) | instid1(SALU_CYCLE_1)
	s_mov_b32 s64, exec_lo
	v_readlane_b32 s68, v85, 25
	s_and_b32 s68, s64, s68
	s_mov_b32 exec_lo, s68
	s_cbranch_execz .LBB17_856
; %bb.855:                              ;   in Loop: Header=BB17_3 Depth=1
	ds_load_b32 v26, v52 offset:5376
	ds_load_b32 v27, v51 offset:8020
	s_wait_dscnt 0x0
	v_fmac_f32_e32 v2, v26, v27
.LBB17_856:                             ;   in Loop: Header=BB17_3 Depth=1
	s_or_b32 exec_lo, exec_lo, s64
	s_delay_alu instid0(SALU_CYCLE_1) | instskip(SKIP_2) | instid1(SALU_CYCLE_1)
	s_mov_b32 s64, exec_lo
	v_readlane_b32 s68, v85, 26
	s_and_b32 s68, s64, s68
	s_mov_b32 exec_lo, s68
	s_cbranch_execz .LBB17_858
; %bb.857:                              ;   in Loop: Header=BB17_3 Depth=1
	ds_load_b32 v26, v52 offset:5632
	ds_load_b32 v27, v51 offset:8024
	s_wait_dscnt 0x0
	v_fmac_f32_e32 v2, v26, v27
.LBB17_858:                             ;   in Loop: Header=BB17_3 Depth=1
	s_or_b32 exec_lo, exec_lo, s64
	s_delay_alu instid0(SALU_CYCLE_1) | instskip(SKIP_2) | instid1(SALU_CYCLE_1)
	s_mov_b32 s64, exec_lo
	v_readlane_b32 s68, v85, 27
	s_and_b32 s68, s64, s68
	s_mov_b32 exec_lo, s68
	s_cbranch_execz .LBB17_860
; %bb.859:                              ;   in Loop: Header=BB17_3 Depth=1
	ds_load_b32 v26, v52 offset:5888
	ds_load_b32 v27, v51 offset:8028
	s_wait_dscnt 0x0
	v_fmac_f32_e32 v2, v26, v27
.LBB17_860:                             ;   in Loop: Header=BB17_3 Depth=1
	s_or_b32 exec_lo, exec_lo, s64
	s_delay_alu instid0(SALU_CYCLE_1) | instskip(SKIP_2) | instid1(SALU_CYCLE_1)
	s_mov_b32 s64, exec_lo
	v_readlane_b32 s68, v85, 28
	s_and_b32 s68, s64, s68
	s_mov_b32 exec_lo, s68
	s_cbranch_execz .LBB17_862
; %bb.861:                              ;   in Loop: Header=BB17_3 Depth=1
	ds_load_b32 v26, v52 offset:6144
	ds_load_b32 v27, v51 offset:8032
	s_wait_dscnt 0x0
	v_fmac_f32_e32 v2, v26, v27
.LBB17_862:                             ;   in Loop: Header=BB17_3 Depth=1
	s_or_b32 exec_lo, exec_lo, s64
	s_delay_alu instid0(SALU_CYCLE_1) | instskip(SKIP_2) | instid1(SALU_CYCLE_1)
	s_mov_b32 s64, exec_lo
	v_readlane_b32 s68, v85, 29
	s_and_b32 s68, s64, s68
	s_mov_b32 exec_lo, s68
	s_cbranch_execz .LBB17_864
; %bb.863:                              ;   in Loop: Header=BB17_3 Depth=1
	ds_load_b32 v26, v52 offset:6400
	ds_load_b32 v27, v51 offset:8036
	s_wait_dscnt 0x0
	v_fmac_f32_e32 v2, v26, v27
.LBB17_864:                             ;   in Loop: Header=BB17_3 Depth=1
	s_or_b32 exec_lo, exec_lo, s64
	s_delay_alu instid0(SALU_CYCLE_1) | instskip(SKIP_2) | instid1(SALU_CYCLE_1)
	s_mov_b32 s64, exec_lo
	v_readlane_b32 s68, v85, 30
	s_and_b32 s68, s64, s68
	s_mov_b32 exec_lo, s68
	s_cbranch_execz .LBB17_866
; %bb.865:                              ;   in Loop: Header=BB17_3 Depth=1
	ds_load_b32 v26, v52 offset:6656
	ds_load_b32 v27, v51 offset:8040
	s_wait_dscnt 0x0
	v_fmac_f32_e32 v2, v26, v27
.LBB17_866:                             ;   in Loop: Header=BB17_3 Depth=1
	s_or_b32 exec_lo, exec_lo, s64
	s_delay_alu instid0(SALU_CYCLE_1) | instskip(SKIP_2) | instid1(SALU_CYCLE_1)
	s_mov_b32 s64, exec_lo
	v_readlane_b32 s68, v85, 31
	s_and_b32 s68, s64, s68
	s_mov_b32 exec_lo, s68
	s_cbranch_execnz .LBB17_1243
; %bb.867:                              ;   in Loop: Header=BB17_3 Depth=1
	s_or_b32 exec_lo, exec_lo, s64
	s_and_saveexec_b32 s64, s3
	s_cbranch_execnz .LBB17_1244
.LBB17_868:                             ;   in Loop: Header=BB17_3 Depth=1
	s_or_b32 exec_lo, exec_lo, s64
	s_and_saveexec_b32 s64, s20
	s_cbranch_execnz .LBB17_1245
.LBB17_869:                             ;   in Loop: Header=BB17_3 Depth=1
	s_or_b32 exec_lo, exec_lo, s64
	s_and_saveexec_b32 s64, s22
	s_cbranch_execnz .LBB17_1246
.LBB17_870:                             ;   in Loop: Header=BB17_3 Depth=1
	s_or_b32 exec_lo, exec_lo, s64
	s_and_saveexec_b32 s64, s2
	s_cbranch_execz .LBB17_872
.LBB17_871:                             ;   in Loop: Header=BB17_3 Depth=1
	ds_load_b32 v26, v32 offset:7936
	ds_load_b32 v27, v3 offset:8060
	s_wait_dscnt 0x0
	v_fmac_f32_e32 v2, v26, v27
.LBB17_872:                             ;   in Loop: Header=BB17_3 Depth=1
	s_or_b32 exec_lo, exec_lo, s64
.LBB17_873:                             ;   in Loop: Header=BB17_3 Depth=1
	s_delay_alu instid0(SALU_CYCLE_1)
	s_or_b32 exec_lo, exec_lo, s65
	s_and_saveexec_b32 s64, s46
	s_cbranch_execz .LBB17_875
; %bb.874:                              ;   in Loop: Header=BB17_3 Depth=1
	ds_load_b32 v26, v3 offset:3900
	s_wait_dscnt 0x0
	v_mul_f32_e32 v2, v2, v26
	s_delay_alu instid0(VALU_DEP_1)
	v_xor_b32_e32 v26, 0x80000000, v2
	ds_store_b32 v50, v26
.LBB17_875:                             ;   in Loop: Header=BB17_3 Depth=1
	s_or_b32 exec_lo, exec_lo, s64
	s_wait_loadcnt_dscnt 0x0
	s_barrier_signal -1
	s_barrier_wait -1
	s_and_saveexec_b32 s64, s47
	s_cbranch_execz .LBB17_877
; %bb.876:                              ;   in Loop: Header=BB17_3 Depth=1
	ds_load_b32 v26, v52 offset:3840
	ds_load_b32 v27, v50
	s_wait_dscnt 0x0
	v_fma_f32 v2, -v26, v27, v2
.LBB17_877:                             ;   in Loop: Header=BB17_3 Depth=1
	s_or_b32 exec_lo, exec_lo, s64
	s_barrier_signal -1
	s_barrier_wait -1
	s_and_saveexec_b32 s64, s48
	s_cbranch_execz .LBB17_879
; %bb.878:                              ;   in Loop: Header=BB17_3 Depth=1
	ds_load_b32 v26, v3 offset:3640
	s_wait_dscnt 0x0
	v_mul_f32_e32 v2, v2, v26
	s_delay_alu instid0(VALU_DEP_1)
	v_xor_b32_e32 v26, 0x80000000, v2
	ds_store_b32 v50, v26
.LBB17_879:                             ;   in Loop: Header=BB17_3 Depth=1
	s_or_b32 exec_lo, exec_lo, s64
	s_wait_dscnt 0x0
	s_barrier_signal -1
	s_barrier_wait -1
	s_and_saveexec_b32 s64, s49
	s_cbranch_execz .LBB17_881
; %bb.880:                              ;   in Loop: Header=BB17_3 Depth=1
	ds_load_b32 v26, v52 offset:3584
	ds_load_b32 v27, v50
	s_wait_dscnt 0x0
	v_fma_f32 v2, -v26, v27, v2
.LBB17_881:                             ;   in Loop: Header=BB17_3 Depth=1
	s_or_b32 exec_lo, exec_lo, s64
	s_barrier_signal -1
	s_barrier_wait -1
	s_and_saveexec_b32 s64, s50
	s_cbranch_execz .LBB17_883
; %bb.882:                              ;   in Loop: Header=BB17_3 Depth=1
	ds_load_b32 v26, v3 offset:3380
	s_wait_dscnt 0x0
	v_mul_f32_e32 v2, v2, v26
	s_delay_alu instid0(VALU_DEP_1)
	v_xor_b32_e32 v26, 0x80000000, v2
	ds_store_b32 v50, v26
.LBB17_883:                             ;   in Loop: Header=BB17_3 Depth=1
	s_or_b32 exec_lo, exec_lo, s64
	s_wait_dscnt 0x0
	;; [unrolled: 25-line block ×14, first 2 shown]
	s_barrier_signal -1
	s_barrier_wait -1
	s_and_saveexec_b32 s64, s11
	s_cbranch_execz .LBB17_933
; %bb.932:                              ;   in Loop: Header=BB17_3 Depth=1
	ds_load_b32 v26, v3 offset:256
	ds_load_b32 v27, v50
	s_wait_dscnt 0x0
	v_fma_f32 v2, -v26, v27, v2
.LBB17_933:                             ;   in Loop: Header=BB17_3 Depth=1
	s_or_b32 exec_lo, exec_lo, s64
	s_barrier_signal -1
	s_barrier_wait -1
	s_and_saveexec_b32 s64, s11
	s_cbranch_execz .LBB17_935
; %bb.934:                              ;   in Loop: Header=BB17_3 Depth=1
	ds_load_b32 v26, v3
	s_wait_dscnt 0x0
	v_mul_f32_e32 v2, v2, v26
	s_delay_alu instid0(VALU_DEP_1)
	v_xor_b32_e32 v26, 0x80000000, v2
	ds_store_b32 v50, v26
.LBB17_935:                             ;   in Loop: Header=BB17_3 Depth=1
	s_or_b32 exec_lo, exec_lo, s64
	s_wait_dscnt 0x0
	s_barrier_signal -1
	s_barrier_wait -1
	s_barrier_signal -1
	s_barrier_wait -1
	s_and_saveexec_b32 s64, s4
; %bb.936:                              ;   in Loop: Header=BB17_3 Depth=1
	ds_store_b32 v7, v2 offset:7936
; %bb.937:                              ;   in Loop: Header=BB17_3 Depth=1
	s_or_b32 exec_lo, exec_lo, s64
	s_wait_dscnt 0x0
	s_barrier_signal -1
	s_barrier_wait -1
	s_barrier_signal -1
	s_barrier_wait -1
	s_and_saveexec_b32 s64, s31
	s_cbranch_execz .LBB17_939
; %bb.938:                              ;   in Loop: Header=BB17_3 Depth=1
	ds_load_b32 v2, v34 offset:4096
	s_wait_dscnt 0x0
	ds_store_b32 v38, v2 offset:64
	ds_load_b32 v2, v34 offset:4100
	s_wait_dscnt 0x0
	ds_store_b32 v38, v2 offset:320
	;; [unrolled: 3-line block ×16, first 2 shown]
.LBB17_939:                             ;   in Loop: Header=BB17_3 Depth=1
	s_or_b32 exec_lo, exec_lo, s64
	s_wait_dscnt 0x0
	s_barrier_signal -1
	s_barrier_wait -1
	s_and_saveexec_b32 s64, s15
	s_cbranch_execz .LBB17_941
; %bb.940:                              ;   in Loop: Header=BB17_3 Depth=1
	ds_load_b64 v[26:27], v3 offset:3896
	ds_load_b32 v2, v3 offset:3640
	s_wait_dscnt 0x0
	v_mul_f32_e32 v2, v2, v27
	s_delay_alu instid0(VALU_DEP_1)
	v_mul_f32_e32 v2, v26, v2
	v_add_nc_u32_e64 v26, 0xc00, 0
	ds_store_2addr_b32 v26, v2, v2 offset0:143 offset1:206
.LBB17_941:                             ;   in Loop: Header=BB17_3 Depth=1
	s_or_b32 exec_lo, exec_lo, s64
	v_mov_b32_e32 v2, 0
	s_wait_dscnt 0x0
	s_barrier_signal -1
	s_barrier_wait -1
	global_wb scope:SCOPE_DEV
	s_wait_storecnt 0x0
	global_inv scope:SCOPE_DEV
	s_and_saveexec_b32 s64, s0
	s_cbranch_execz .LBB17_945
; %bb.942:                              ;   in Loop: Header=BB17_3 Depth=1
	ds_load_b32 v2, v31 offset:3632
	ds_load_b32 v26, v30 offset:3896
	s_wait_dscnt 0x0
	v_fma_f32 v2, v2, v26, 0
	s_and_saveexec_b32 s65, s16
	s_cbranch_execz .LBB17_944
; %bb.943:                              ;   in Loop: Header=BB17_3 Depth=1
	ds_load_b32 v26, v32 offset:3888
	ds_load_b32 v27, v3 offset:3900
	s_wait_dscnt 0x0
	v_fmac_f32_e32 v2, v26, v27
.LBB17_944:                             ;   in Loop: Header=BB17_3 Depth=1
	s_or_b32 exec_lo, exec_lo, s65
.LBB17_945:                             ;   in Loop: Header=BB17_3 Depth=1
	s_delay_alu instid0(SALU_CYCLE_1)
	s_or_b32 exec_lo, exec_lo, s64
	s_and_saveexec_b32 s64, s91
	s_cbranch_execz .LBB17_947
; %bb.946:                              ;   in Loop: Header=BB17_3 Depth=1
	ds_load_b32 v26, v3 offset:3380
	s_wait_dscnt 0x0
	v_mul_f32_e32 v2, v2, v26
	s_delay_alu instid0(VALU_DEP_1)
	v_xor_b32_e32 v26, 0x80000000, v2
	ds_store_b32 v5, v26
.LBB17_947:                             ;   in Loop: Header=BB17_3 Depth=1
	s_or_b32 exec_lo, exec_lo, s64
	s_wait_loadcnt_dscnt 0x0
	s_barrier_signal -1
	s_barrier_wait -1
	s_and_saveexec_b32 s64, s92
	s_cbranch_execz .LBB17_949
; %bb.948:                              ;   in Loop: Header=BB17_3 Depth=1
	ds_load_b32 v26, v3 offset:3376
	ds_load_b32 v27, v5
	s_wait_dscnt 0x0
	v_fma_f32 v2, -v26, v27, v2
.LBB17_949:                             ;   in Loop: Header=BB17_3 Depth=1
	s_or_b32 exec_lo, exec_lo, s64
	s_barrier_signal -1
	s_barrier_wait -1
	s_and_saveexec_b32 s64, s92
	s_cbranch_execz .LBB17_951
; %bb.950:                              ;   in Loop: Header=BB17_3 Depth=1
	ds_load_b32 v26, v3 offset:3120
	s_wait_dscnt 0x0
	v_mul_f32_e32 v2, v2, v26
	s_delay_alu instid0(VALU_DEP_1)
	v_xor_b32_e32 v26, 0x80000000, v2
	ds_store_b32 v5, v26
.LBB17_951:                             ;   in Loop: Header=BB17_3 Depth=1
	s_or_b32 exec_lo, exec_lo, s64
	s_wait_dscnt 0x0
	s_barrier_signal -1
	s_barrier_wait -1
	s_barrier_signal -1
	s_barrier_wait -1
	s_and_saveexec_b32 s64, s0
; %bb.952:                              ;   in Loop: Header=BB17_3 Depth=1
	ds_store_b32 v33, v2 offset:3888
; %bb.953:                              ;   in Loop: Header=BB17_3 Depth=1
	s_or_b32 exec_lo, exec_lo, s64
	s_wait_dscnt 0x0
	s_barrier_signal -1
	s_barrier_wait -1
	s_barrier_signal -1
	s_barrier_wait -1
	s_and_saveexec_b32 s64, s93
	s_cbranch_execz .LBB17_955
; %bb.954:                              ;   in Loop: Header=BB17_3 Depth=1
	ds_load_b32 v2, v34 offset:3632
	s_wait_dscnt 0x0
	ds_store_b32 v32, v2 offset:3128
	ds_load_b32 v2, v34 offset:3636
	s_wait_dscnt 0x0
	ds_store_b32 v32, v2 offset:3384
.LBB17_955:                             ;   in Loop: Header=BB17_3 Depth=1
	s_or_b32 exec_lo, exec_lo, s64
	s_wait_dscnt 0x0
	s_barrier_signal -1
	s_barrier_wait -1
	s_and_saveexec_b32 s64, s15
	s_cbranch_execz .LBB17_957
; %bb.956:                              ;   in Loop: Header=BB17_3 Depth=1
	ds_load_b64 v[26:27], v3 offset:3376
	ds_load_b32 v2, v3 offset:3120
	s_wait_dscnt 0x0
	v_mul_f32_e32 v2, v2, v27
	s_delay_alu instid0(VALU_DEP_1)
	v_mul_f32_e32 v2, v26, v2
	v_add_nc_u32_e64 v26, 0xc00, 0
	ds_store_2addr_b32 v26, v2, v2 offset0:13 offset1:76
.LBB17_957:                             ;   in Loop: Header=BB17_3 Depth=1
	s_or_b32 exec_lo, exec_lo, s64
	v_mov_b32_e32 v2, 0
	s_wait_dscnt 0x0
	s_barrier_signal -1
	s_barrier_wait -1
	global_wb scope:SCOPE_DEV
	s_wait_storecnt 0x0
	global_inv scope:SCOPE_DEV
	s_and_saveexec_b32 s64, s2
	s_cbranch_execz .LBB17_963
; %bb.958:                              ;   in Loop: Header=BB17_3 Depth=1
	ds_load_b32 v2, v37 offset:3104
	ds_load_b32 v26, v36 offset:3888
	s_wait_dscnt 0x0
	v_fma_f32 v2, v2, v26, 0
	s_and_saveexec_b32 s65, s17
	s_cbranch_execnz .LBB17_1247
; %bb.959:                              ;   in Loop: Header=BB17_3 Depth=1
	s_or_b32 exec_lo, exec_lo, s65
	s_and_saveexec_b32 s65, s18
	s_cbranch_execnz .LBB17_1248
.LBB17_960:                             ;   in Loop: Header=BB17_3 Depth=1
	s_or_b32 exec_lo, exec_lo, s65
	s_and_saveexec_b32 s65, s0
	s_cbranch_execz .LBB17_962
.LBB17_961:                             ;   in Loop: Header=BB17_3 Depth=1
	ds_load_b32 v26, v38 offset:3872
	ds_load_b32 v27, v3 offset:3900
	s_wait_dscnt 0x0
	v_fmac_f32_e32 v2, v26, v27
.LBB17_962:                             ;   in Loop: Header=BB17_3 Depth=1
	s_or_b32 exec_lo, exec_lo, s65
.LBB17_963:                             ;   in Loop: Header=BB17_3 Depth=1
	s_delay_alu instid0(SALU_CYCLE_1)
	s_or_b32 exec_lo, exec_lo, s64
	s_and_saveexec_b32 s64, s94
	s_cbranch_execz .LBB17_965
; %bb.964:                              ;   in Loop: Header=BB17_3 Depth=1
	ds_load_b32 v26, v3 offset:2860
	s_wait_dscnt 0x0
	v_mul_f32_e32 v2, v2, v26
	s_delay_alu instid0(VALU_DEP_1)
	v_xor_b32_e32 v26, 0x80000000, v2
	ds_store_b32 v35, v26
.LBB17_965:                             ;   in Loop: Header=BB17_3 Depth=1
	s_or_b32 exec_lo, exec_lo, s64
	s_wait_loadcnt_dscnt 0x0
	s_barrier_signal -1
	s_barrier_wait -1
	s_and_saveexec_b32 s64, s95
	s_cbranch_execz .LBB17_967
; %bb.966:                              ;   in Loop: Header=BB17_3 Depth=1
	ds_load_b32 v26, v37 offset:2848
	ds_load_b32 v27, v35
	s_wait_dscnt 0x0
	v_fma_f32 v2, -v26, v27, v2
.LBB17_967:                             ;   in Loop: Header=BB17_3 Depth=1
	s_or_b32 exec_lo, exec_lo, s64
	s_barrier_signal -1
	s_barrier_wait -1
	s_and_saveexec_b32 s64, s96
	s_cbranch_execz .LBB17_969
; %bb.968:                              ;   in Loop: Header=BB17_3 Depth=1
	ds_load_b32 v26, v3 offset:2600
	s_wait_dscnt 0x0
	v_mul_f32_e32 v2, v2, v26
	s_delay_alu instid0(VALU_DEP_1)
	v_xor_b32_e32 v26, 0x80000000, v2
	ds_store_b32 v35, v26
.LBB17_969:                             ;   in Loop: Header=BB17_3 Depth=1
	s_or_b32 exec_lo, exec_lo, s64
	s_wait_dscnt 0x0
	s_barrier_signal -1
	s_barrier_wait -1
	s_and_saveexec_b32 s64, s97
	s_cbranch_execz .LBB17_971
; %bb.970:                              ;   in Loop: Header=BB17_3 Depth=1
	ds_load_b32 v26, v37 offset:2592
	ds_load_b32 v27, v35
	s_wait_dscnt 0x0
	v_fma_f32 v2, -v26, v27, v2
.LBB17_971:                             ;   in Loop: Header=BB17_3 Depth=1
	s_or_b32 exec_lo, exec_lo, s64
	s_barrier_signal -1
	s_barrier_wait -1
	s_and_saveexec_b32 s64, s98
	s_cbranch_execz .LBB17_973
; %bb.972:                              ;   in Loop: Header=BB17_3 Depth=1
	ds_load_b32 v26, v3 offset:2340
	s_wait_dscnt 0x0
	v_mul_f32_e32 v2, v2, v26
	s_delay_alu instid0(VALU_DEP_1)
	v_xor_b32_e32 v26, 0x80000000, v2
	ds_store_b32 v35, v26
.LBB17_973:                             ;   in Loop: Header=BB17_3 Depth=1
	s_or_b32 exec_lo, exec_lo, s64
	s_wait_dscnt 0x0
	;; [unrolled: 25-line block ×3, first 2 shown]
	s_barrier_signal -1
	s_barrier_wait -1
	s_barrier_signal -1
	s_barrier_wait -1
	s_and_saveexec_b32 s64, s2
; %bb.978:                              ;   in Loop: Header=BB17_3 Depth=1
	ds_store_b32 v41, v2 offset:3872
; %bb.979:                              ;   in Loop: Header=BB17_3 Depth=1
	s_or_b32 exec_lo, exec_lo, s64
	s_wait_dscnt 0x0
	s_barrier_signal -1
	s_barrier_wait -1
	s_barrier_signal -1
	s_barrier_wait -1
	s_and_saveexec_b32 s64, s100
	s_cbranch_execz .LBB17_981
; %bb.980:                              ;   in Loop: Header=BB17_3 Depth=1
	ds_load_b32 v2, v39 offset:3104
	s_wait_dscnt 0x0
	ds_store_b32 v40, v2 offset:2096
	ds_load_b32 v2, v39 offset:3108
	s_wait_dscnt 0x0
	ds_store_b32 v40, v2 offset:2352
	;; [unrolled: 3-line block ×4, first 2 shown]
.LBB17_981:                             ;   in Loop: Header=BB17_3 Depth=1
	s_or_b32 exec_lo, exec_lo, s64
	s_wait_dscnt 0x0
	s_barrier_signal -1
	s_barrier_wait -1
	s_and_saveexec_b32 s64, s15
	s_cbranch_execz .LBB17_983
; %bb.982:                              ;   in Loop: Header=BB17_3 Depth=1
	ds_load_b64 v[26:27], v3 offset:2856
	ds_load_b32 v2, v3 offset:2600
	s_wait_dscnt 0x0
	v_mul_f32_e32 v2, v2, v27
	s_delay_alu instid0(VALU_DEP_1)
	v_mul_f32_e32 v2, v26, v2
	v_add_nc_u32_e64 v26, 0x800, 0
	ds_store_2addr_b32 v26, v2, v2 offset0:139 offset1:202
.LBB17_983:                             ;   in Loop: Header=BB17_3 Depth=1
	s_or_b32 exec_lo, exec_lo, s64
	v_mov_b32_e32 v2, 0
	s_wait_dscnt 0x0
	s_barrier_signal -1
	s_barrier_wait -1
	global_wb scope:SCOPE_DEV
	s_wait_storecnt 0x0
	global_inv scope:SCOPE_DEV
	s_and_saveexec_b32 s64, s0
	s_cbranch_execz .LBB17_987
; %bb.984:                              ;   in Loop: Header=BB17_3 Depth=1
	ds_load_b32 v2, v31 offset:2592
	ds_load_b32 v26, v30 offset:2856
	s_wait_dscnt 0x0
	v_fma_f32 v2, v2, v26, 0
	s_and_saveexec_b32 s65, s16
	s_cbranch_execz .LBB17_986
; %bb.985:                              ;   in Loop: Header=BB17_3 Depth=1
	ds_load_b32 v26, v40 offset:2848
	ds_load_b32 v27, v3 offset:2860
	s_wait_dscnt 0x0
	v_fmac_f32_e32 v2, v26, v27
.LBB17_986:                             ;   in Loop: Header=BB17_3 Depth=1
	s_or_b32 exec_lo, exec_lo, s65
.LBB17_987:                             ;   in Loop: Header=BB17_3 Depth=1
	s_delay_alu instid0(SALU_CYCLE_1)
	s_or_b32 exec_lo, exec_lo, s64
	s_and_saveexec_b32 s64, s91
	s_cbranch_execz .LBB17_989
; %bb.988:                              ;   in Loop: Header=BB17_3 Depth=1
	ds_load_b32 v26, v3 offset:2340
	s_wait_dscnt 0x0
	v_mul_f32_e32 v2, v2, v26
	s_delay_alu instid0(VALU_DEP_1)
	v_xor_b32_e32 v26, 0x80000000, v2
	ds_store_b32 v5, v26
.LBB17_989:                             ;   in Loop: Header=BB17_3 Depth=1
	s_or_b32 exec_lo, exec_lo, s64
	s_wait_loadcnt_dscnt 0x0
	s_barrier_signal -1
	s_barrier_wait -1
	s_and_saveexec_b32 s64, s92
	s_cbranch_execz .LBB17_991
; %bb.990:                              ;   in Loop: Header=BB17_3 Depth=1
	ds_load_b32 v26, v3 offset:2336
	ds_load_b32 v27, v5
	s_wait_dscnt 0x0
	v_fma_f32 v2, -v26, v27, v2
.LBB17_991:                             ;   in Loop: Header=BB17_3 Depth=1
	s_or_b32 exec_lo, exec_lo, s64
	s_barrier_signal -1
	s_barrier_wait -1
	s_and_saveexec_b32 s64, s92
	s_cbranch_execz .LBB17_993
; %bb.992:                              ;   in Loop: Header=BB17_3 Depth=1
	ds_load_b32 v26, v3 offset:2080
	s_wait_dscnt 0x0
	v_mul_f32_e32 v2, v2, v26
	s_delay_alu instid0(VALU_DEP_1)
	v_xor_b32_e32 v26, 0x80000000, v2
	ds_store_b32 v5, v26
.LBB17_993:                             ;   in Loop: Header=BB17_3 Depth=1
	s_or_b32 exec_lo, exec_lo, s64
	s_wait_dscnt 0x0
	s_barrier_signal -1
	s_barrier_wait -1
	s_barrier_signal -1
	s_barrier_wait -1
	s_and_saveexec_b32 s64, s0
; %bb.994:                              ;   in Loop: Header=BB17_3 Depth=1
	ds_store_b32 v33, v2 offset:2848
; %bb.995:                              ;   in Loop: Header=BB17_3 Depth=1
	s_or_b32 exec_lo, exec_lo, s64
	s_wait_dscnt 0x0
	s_barrier_signal -1
	s_barrier_wait -1
	s_barrier_signal -1
	s_barrier_wait -1
	s_and_saveexec_b32 s64, s93
	s_cbranch_execz .LBB17_997
; %bb.996:                              ;   in Loop: Header=BB17_3 Depth=1
	ds_load_b32 v2, v42 offset:2592
	s_wait_dscnt 0x0
	ds_store_b32 v40, v2 offset:2088
	ds_load_b32 v2, v42 offset:2596
	s_wait_dscnt 0x0
	ds_store_b32 v40, v2 offset:2344
.LBB17_997:                             ;   in Loop: Header=BB17_3 Depth=1
	s_or_b32 exec_lo, exec_lo, s64
	s_wait_dscnt 0x0
	s_barrier_signal -1
	s_barrier_wait -1
	s_and_saveexec_b32 s64, s15
	s_cbranch_execz .LBB17_999
; %bb.998:                              ;   in Loop: Header=BB17_3 Depth=1
	ds_load_b64 v[26:27], v3 offset:2336
	ds_load_b32 v2, v3 offset:2080
	s_wait_dscnt 0x0
	v_mul_f32_e32 v2, v2, v27
	s_delay_alu instid0(VALU_DEP_1)
	v_mul_f32_e32 v2, v26, v2
	v_add_nc_u32_e64 v26, 0x800, 0
	ds_store_2addr_b32 v26, v2, v2 offset0:9 offset1:72
.LBB17_999:                             ;   in Loop: Header=BB17_3 Depth=1
	s_or_b32 exec_lo, exec_lo, s64
	v_mov_b32_e32 v2, 0
	s_wait_dscnt 0x0
	s_barrier_signal -1
	s_barrier_wait -1
	global_wb scope:SCOPE_DEV
	s_wait_storecnt 0x0
	global_inv scope:SCOPE_DEV
	s_and_saveexec_b32 s64, s3
	s_cbranch_execz .LBB17_1009
; %bb.1000:                             ;   in Loop: Header=BB17_3 Depth=1
	ds_load_b32 v2, v45 offset:2048
	ds_load_b32 v26, v44 offset:3872
	s_wait_dscnt 0x0
	v_fma_f32 v2, v2, v26, 0
	s_and_saveexec_b32 s65, s19
	s_cbranch_execnz .LBB17_1249
; %bb.1001:                             ;   in Loop: Header=BB17_3 Depth=1
	s_or_b32 exec_lo, exec_lo, s65
	s_and_saveexec_b32 s65, s20
	s_cbranch_execnz .LBB17_1250
.LBB17_1002:                            ;   in Loop: Header=BB17_3 Depth=1
	s_or_b32 exec_lo, exec_lo, s65
	s_and_saveexec_b32 s65, s21
	s_cbranch_execnz .LBB17_1251
.LBB17_1003:                            ;   in Loop: Header=BB17_3 Depth=1
	s_or_b32 exec_lo, exec_lo, s65
	s_and_saveexec_b32 s65, s22
	s_cbranch_execnz .LBB17_1252
.LBB17_1004:                            ;   in Loop: Header=BB17_3 Depth=1
	s_or_b32 exec_lo, exec_lo, s65
	s_and_saveexec_b32 s65, s23
	s_cbranch_execnz .LBB17_1253
.LBB17_1005:                            ;   in Loop: Header=BB17_3 Depth=1
	s_or_b32 exec_lo, exec_lo, s65
	s_and_saveexec_b32 s65, s2
	s_cbranch_execnz .LBB17_1254
.LBB17_1006:                            ;   in Loop: Header=BB17_3 Depth=1
	s_or_b32 exec_lo, exec_lo, s65
	s_and_saveexec_b32 s65, s18
	s_cbranch_execz .LBB17_1008
.LBB17_1007:                            ;   in Loop: Header=BB17_3 Depth=1
	ds_load_b32 v26, v46 offset:3840
	ds_load_b32 v27, v3 offset:3900
	s_wait_dscnt 0x0
	v_fmac_f32_e32 v2, v26, v27
.LBB17_1008:                            ;   in Loop: Header=BB17_3 Depth=1
	s_or_b32 exec_lo, exec_lo, s65
.LBB17_1009:                            ;   in Loop: Header=BB17_3 Depth=1
	s_delay_alu instid0(SALU_CYCLE_1)
	s_or_b32 exec_lo, exec_lo, s64
	s_and_saveexec_b32 s64, s101
	s_cbranch_execz .LBB17_1011
; %bb.1010:                             ;   in Loop: Header=BB17_3 Depth=1
	ds_load_b32 v26, v3 offset:1820
	s_wait_dscnt 0x0
	v_mul_f32_e32 v2, v2, v26
	s_delay_alu instid0(VALU_DEP_1)
	v_xor_b32_e32 v26, 0x80000000, v2
	ds_store_b32 v43, v26
.LBB17_1011:                            ;   in Loop: Header=BB17_3 Depth=1
	s_or_b32 exec_lo, exec_lo, s64
	s_wait_loadcnt_dscnt 0x0
	s_barrier_signal -1
	s_barrier_wait -1
	s_and_saveexec_b32 s64, s102
	s_cbranch_execz .LBB17_1013
; %bb.1012:                             ;   in Loop: Header=BB17_3 Depth=1
	ds_load_b32 v26, v45 offset:1792
	ds_load_b32 v27, v43
	s_wait_dscnt 0x0
	v_fma_f32 v2, -v26, v27, v2
.LBB17_1013:                            ;   in Loop: Header=BB17_3 Depth=1
	s_or_b32 exec_lo, exec_lo, s64
	s_barrier_signal -1
	s_barrier_wait -1
	s_and_saveexec_b32 s64, s103
	s_cbranch_execz .LBB17_1015
; %bb.1014:                             ;   in Loop: Header=BB17_3 Depth=1
	ds_load_b32 v26, v3 offset:1560
	s_wait_dscnt 0x0
	v_mul_f32_e32 v2, v2, v26
	s_delay_alu instid0(VALU_DEP_1)
	v_xor_b32_e32 v26, 0x80000000, v2
	ds_store_b32 v43, v26
.LBB17_1015:                            ;   in Loop: Header=BB17_3 Depth=1
	s_or_b32 exec_lo, exec_lo, s64
	s_wait_dscnt 0x0
	s_barrier_signal -1
	s_barrier_wait -1
	s_and_saveexec_b32 s64, s104
	s_cbranch_execz .LBB17_1017
; %bb.1016:                             ;   in Loop: Header=BB17_3 Depth=1
	ds_load_b32 v26, v45 offset:1536
	ds_load_b32 v27, v43
	s_wait_dscnt 0x0
	v_fma_f32 v2, -v26, v27, v2
.LBB17_1017:                            ;   in Loop: Header=BB17_3 Depth=1
	s_or_b32 exec_lo, exec_lo, s64
	s_barrier_signal -1
	s_barrier_wait -1
	s_and_saveexec_b32 s64, vcc_hi
	s_cbranch_execz .LBB17_1019
; %bb.1018:                             ;   in Loop: Header=BB17_3 Depth=1
	ds_load_b32 v26, v3 offset:1300
	s_wait_dscnt 0x0
	v_mul_f32_e32 v2, v2, v26
	s_delay_alu instid0(VALU_DEP_1)
	v_xor_b32_e32 v26, 0x80000000, v2
	ds_store_b32 v43, v26
.LBB17_1019:                            ;   in Loop: Header=BB17_3 Depth=1
	s_or_b32 exec_lo, exec_lo, s64
	s_wait_dscnt 0x0
	s_barrier_signal -1
	s_barrier_wait -1
	s_and_saveexec_b32 s64, s36
	s_cbranch_execz .LBB17_1021
; %bb.1020:                             ;   in Loop: Header=BB17_3 Depth=1
	ds_load_b32 v26, v45 offset:1280
	ds_load_b32 v27, v43
	s_wait_dscnt 0x0
	v_fma_f32 v2, -v26, v27, v2
.LBB17_1021:                            ;   in Loop: Header=BB17_3 Depth=1
	s_or_b32 exec_lo, exec_lo, s64
	s_barrier_signal -1
	s_barrier_wait -1
	s_and_saveexec_b32 s64, s37
	s_cbranch_execz .LBB17_1023
; %bb.1022:                             ;   in Loop: Header=BB17_3 Depth=1
	ds_load_b32 v26, v3 offset:1040
	s_wait_dscnt 0x0
	v_mul_f32_e32 v2, v2, v26
	s_delay_alu instid0(VALU_DEP_1)
	v_xor_b32_e32 v26, 0x80000000, v2
	ds_store_b32 v43, v26
.LBB17_1023:                            ;   in Loop: Header=BB17_3 Depth=1
	s_or_b32 exec_lo, exec_lo, s64
	s_wait_dscnt 0x0
	s_barrier_signal -1
	s_barrier_wait -1
	s_and_saveexec_b32 s64, s38
	s_cbranch_execz .LBB17_1025
; %bb.1024:                             ;   in Loop: Header=BB17_3 Depth=1
	ds_load_b32 v26, v45 offset:1024
	ds_load_b32 v27, v43
	s_wait_dscnt 0x0
	v_fma_f32 v2, -v26, v27, v2
.LBB17_1025:                            ;   in Loop: Header=BB17_3 Depth=1
	s_or_b32 exec_lo, exec_lo, s64
	s_barrier_signal -1
	s_barrier_wait -1
	s_and_saveexec_b32 s64, s39
	;; [unrolled: 25-line block ×5, first 2 shown]
	s_cbranch_execz .LBB17_1039
; %bb.1038:                             ;   in Loop: Header=BB17_3 Depth=1
	ds_load_b32 v26, v3
	s_wait_dscnt 0x0
	v_mul_f32_e32 v2, v2, v26
	s_delay_alu instid0(VALU_DEP_1)
	v_xor_b32_e32 v26, 0x80000000, v2
	ds_store_b32 v43, v26
.LBB17_1039:                            ;   in Loop: Header=BB17_3 Depth=1
	s_or_b32 exec_lo, exec_lo, s64
	s_wait_dscnt 0x0
	s_barrier_signal -1
	s_barrier_wait -1
	s_barrier_signal -1
	s_barrier_wait -1
	s_and_saveexec_b32 s64, s3
; %bb.1040:                             ;   in Loop: Header=BB17_3 Depth=1
	ds_store_b32 v48, v2 offset:3840
; %bb.1041:                             ;   in Loop: Header=BB17_3 Depth=1
	s_or_b32 exec_lo, exec_lo, s64
	s_wait_dscnt 0x0
	s_barrier_signal -1
	s_barrier_wait -1
	s_barrier_signal -1
	s_barrier_wait -1
	s_and_saveexec_b32 s64, s45
	s_cbranch_execz .LBB17_1043
; %bb.1042:                             ;   in Loop: Header=BB17_3 Depth=1
	ds_load_b32 v2, v47 offset:2048
	s_wait_dscnt 0x0
	ds_store_b32 v49, v2 offset:32
	ds_load_b32 v2, v47 offset:2052
	s_wait_dscnt 0x0
	ds_store_b32 v49, v2 offset:288
	;; [unrolled: 3-line block ×8, first 2 shown]
.LBB17_1043:                            ;   in Loop: Header=BB17_3 Depth=1
	s_or_b32 exec_lo, exec_lo, s64
	s_wait_dscnt 0x0
	s_barrier_signal -1
	s_barrier_wait -1
	s_and_saveexec_b32 s64, s15
	s_cbranch_execz .LBB17_1045
; %bb.1044:                             ;   in Loop: Header=BB17_3 Depth=1
	ds_load_b64 v[26:27], v3 offset:1816
	ds_load_b32 v2, v3 offset:1560
	s_wait_dscnt 0x0
	v_mul_f32_e32 v2, v2, v27
	s_delay_alu instid0(VALU_DEP_1)
	v_mul_f32_e32 v2, v26, v2
	v_add_nc_u32_e64 v26, 0x400, 0
	ds_store_2addr_b32 v26, v2, v2 offset0:135 offset1:198
.LBB17_1045:                            ;   in Loop: Header=BB17_3 Depth=1
	s_or_b32 exec_lo, exec_lo, s64
	v_mov_b32_e32 v2, 0
	s_wait_dscnt 0x0
	s_barrier_signal -1
	s_barrier_wait -1
	global_wb scope:SCOPE_DEV
	s_wait_storecnt 0x0
	global_inv scope:SCOPE_DEV
	s_and_saveexec_b32 s64, s0
	s_cbranch_execz .LBB17_1049
; %bb.1046:                             ;   in Loop: Header=BB17_3 Depth=1
	ds_load_b32 v2, v31 offset:1552
	ds_load_b32 v26, v30 offset:1816
	s_wait_dscnt 0x0
	v_fma_f32 v2, v2, v26, 0
	s_and_saveexec_b32 s65, s16
	s_cbranch_execz .LBB17_1048
; %bb.1047:                             ;   in Loop: Header=BB17_3 Depth=1
	ds_load_b32 v26, v49 offset:1808
	ds_load_b32 v27, v3 offset:1820
	s_wait_dscnt 0x0
	v_fmac_f32_e32 v2, v26, v27
.LBB17_1048:                            ;   in Loop: Header=BB17_3 Depth=1
	s_or_b32 exec_lo, exec_lo, s65
.LBB17_1049:                            ;   in Loop: Header=BB17_3 Depth=1
	s_delay_alu instid0(SALU_CYCLE_1)
	s_or_b32 exec_lo, exec_lo, s64
	s_and_saveexec_b32 s64, s91
	s_cbranch_execz .LBB17_1051
; %bb.1050:                             ;   in Loop: Header=BB17_3 Depth=1
	ds_load_b32 v26, v3 offset:1300
	s_wait_dscnt 0x0
	v_mul_f32_e32 v2, v2, v26
	s_delay_alu instid0(VALU_DEP_1)
	v_xor_b32_e32 v26, 0x80000000, v2
	ds_store_b32 v5, v26
.LBB17_1051:                            ;   in Loop: Header=BB17_3 Depth=1
	s_or_b32 exec_lo, exec_lo, s64
	s_wait_loadcnt_dscnt 0x0
	s_barrier_signal -1
	s_barrier_wait -1
	s_and_saveexec_b32 s64, s92
	s_cbranch_execz .LBB17_1053
; %bb.1052:                             ;   in Loop: Header=BB17_3 Depth=1
	ds_load_b32 v26, v3 offset:1296
	ds_load_b32 v27, v5
	s_wait_dscnt 0x0
	v_fma_f32 v2, -v26, v27, v2
.LBB17_1053:                            ;   in Loop: Header=BB17_3 Depth=1
	s_or_b32 exec_lo, exec_lo, s64
	s_barrier_signal -1
	s_barrier_wait -1
	s_and_saveexec_b32 s64, s92
	s_cbranch_execz .LBB17_1055
; %bb.1054:                             ;   in Loop: Header=BB17_3 Depth=1
	ds_load_b32 v26, v3 offset:1040
	s_wait_dscnt 0x0
	v_mul_f32_e32 v2, v2, v26
	s_delay_alu instid0(VALU_DEP_1)
	v_xor_b32_e32 v26, 0x80000000, v2
	ds_store_b32 v5, v26
.LBB17_1055:                            ;   in Loop: Header=BB17_3 Depth=1
	s_or_b32 exec_lo, exec_lo, s64
	s_wait_dscnt 0x0
	s_barrier_signal -1
	s_barrier_wait -1
	s_barrier_signal -1
	s_barrier_wait -1
	s_and_saveexec_b32 s64, s0
; %bb.1056:                             ;   in Loop: Header=BB17_3 Depth=1
	ds_store_b32 v33, v2 offset:1808
; %bb.1057:                             ;   in Loop: Header=BB17_3 Depth=1
	s_or_b32 exec_lo, exec_lo, s64
	s_wait_dscnt 0x0
	s_barrier_signal -1
	s_barrier_wait -1
	s_barrier_signal -1
	s_barrier_wait -1
	s_and_saveexec_b32 s64, s93
	s_cbranch_execz .LBB17_1059
; %bb.1058:                             ;   in Loop: Header=BB17_3 Depth=1
	ds_load_b32 v2, v54 offset:1552
	s_wait_dscnt 0x0
	ds_store_b32 v49, v2 offset:1048
	ds_load_b32 v2, v54 offset:1556
	s_wait_dscnt 0x0
	ds_store_b32 v49, v2 offset:1304
.LBB17_1059:                            ;   in Loop: Header=BB17_3 Depth=1
	s_or_b32 exec_lo, exec_lo, s64
	s_wait_dscnt 0x0
	s_barrier_signal -1
	s_barrier_wait -1
	s_and_saveexec_b32 s64, s15
	s_cbranch_execz .LBB17_1061
; %bb.1060:                             ;   in Loop: Header=BB17_3 Depth=1
	ds_load_b64 v[26:27], v3 offset:1296
	ds_load_b32 v2, v3 offset:1040
	s_wait_dscnt 0x0
	v_mul_f32_e32 v2, v2, v27
	s_delay_alu instid0(VALU_DEP_1)
	v_mul_f32_e32 v2, v26, v2
	v_add_nc_u32_e64 v26, 0x400, 0
	ds_store_2addr_b32 v26, v2, v2 offset0:5 offset1:68
.LBB17_1061:                            ;   in Loop: Header=BB17_3 Depth=1
	s_or_b32 exec_lo, exec_lo, s64
	v_mov_b32_e32 v2, 0
	s_wait_dscnt 0x0
	s_barrier_signal -1
	s_barrier_wait -1
	global_wb scope:SCOPE_DEV
	s_wait_storecnt 0x0
	global_inv scope:SCOPE_DEV
	s_and_saveexec_b32 s64, s2
	s_cbranch_execz .LBB17_1067
; %bb.1062:                             ;   in Loop: Header=BB17_3 Depth=1
	ds_load_b32 v2, v37 offset:1024
	ds_load_b32 v26, v36 offset:1808
	s_wait_dscnt 0x0
	v_fma_f32 v2, v2, v26, 0
	s_and_saveexec_b32 s65, s17
	s_cbranch_execnz .LBB17_1255
; %bb.1063:                             ;   in Loop: Header=BB17_3 Depth=1
	s_or_b32 exec_lo, exec_lo, s65
	s_and_saveexec_b32 s65, s18
	s_cbranch_execnz .LBB17_1256
.LBB17_1064:                            ;   in Loop: Header=BB17_3 Depth=1
	s_or_b32 exec_lo, exec_lo, s65
	s_and_saveexec_b32 s65, s0
	s_cbranch_execz .LBB17_1066
.LBB17_1065:                            ;   in Loop: Header=BB17_3 Depth=1
	ds_load_b32 v26, v55 offset:1792
	ds_load_b32 v27, v3 offset:1820
	s_wait_dscnt 0x0
	v_fmac_f32_e32 v2, v26, v27
.LBB17_1066:                            ;   in Loop: Header=BB17_3 Depth=1
	s_or_b32 exec_lo, exec_lo, s65
.LBB17_1067:                            ;   in Loop: Header=BB17_3 Depth=1
	s_delay_alu instid0(SALU_CYCLE_1)
	s_or_b32 exec_lo, exec_lo, s64
	s_and_saveexec_b32 s64, s94
	s_cbranch_execz .LBB17_1069
; %bb.1068:                             ;   in Loop: Header=BB17_3 Depth=1
	ds_load_b32 v26, v3 offset:780
	s_wait_dscnt 0x0
	v_mul_f32_e32 v2, v2, v26
	s_delay_alu instid0(VALU_DEP_1)
	v_xor_b32_e32 v26, 0x80000000, v2
	ds_store_b32 v35, v26
.LBB17_1069:                            ;   in Loop: Header=BB17_3 Depth=1
	s_or_b32 exec_lo, exec_lo, s64
	s_wait_loadcnt_dscnt 0x0
	s_barrier_signal -1
	s_barrier_wait -1
	s_and_saveexec_b32 s64, s95
	s_cbranch_execz .LBB17_1071
; %bb.1070:                             ;   in Loop: Header=BB17_3 Depth=1
	ds_load_b32 v26, v37 offset:768
	ds_load_b32 v27, v35
	s_wait_dscnt 0x0
	v_fma_f32 v2, -v26, v27, v2
.LBB17_1071:                            ;   in Loop: Header=BB17_3 Depth=1
	s_or_b32 exec_lo, exec_lo, s64
	s_barrier_signal -1
	s_barrier_wait -1
	s_and_saveexec_b32 s64, s96
	s_cbranch_execz .LBB17_1073
; %bb.1072:                             ;   in Loop: Header=BB17_3 Depth=1
	ds_load_b32 v26, v3 offset:520
	s_wait_dscnt 0x0
	v_mul_f32_e32 v2, v2, v26
	s_delay_alu instid0(VALU_DEP_1)
	v_xor_b32_e32 v26, 0x80000000, v2
	ds_store_b32 v35, v26
.LBB17_1073:                            ;   in Loop: Header=BB17_3 Depth=1
	s_or_b32 exec_lo, exec_lo, s64
	s_wait_dscnt 0x0
	s_barrier_signal -1
	s_barrier_wait -1
	s_and_saveexec_b32 s64, s97
	s_cbranch_execz .LBB17_1075
; %bb.1074:                             ;   in Loop: Header=BB17_3 Depth=1
	ds_load_b32 v26, v37 offset:512
	ds_load_b32 v27, v35
	s_wait_dscnt 0x0
	v_fma_f32 v2, -v26, v27, v2
.LBB17_1075:                            ;   in Loop: Header=BB17_3 Depth=1
	s_or_b32 exec_lo, exec_lo, s64
	s_barrier_signal -1
	s_barrier_wait -1
	s_and_saveexec_b32 s64, s98
	s_cbranch_execz .LBB17_1077
; %bb.1076:                             ;   in Loop: Header=BB17_3 Depth=1
	ds_load_b32 v26, v3 offset:260
	s_wait_dscnt 0x0
	v_mul_f32_e32 v2, v2, v26
	s_delay_alu instid0(VALU_DEP_1)
	v_xor_b32_e32 v26, 0x80000000, v2
	ds_store_b32 v35, v26
.LBB17_1077:                            ;   in Loop: Header=BB17_3 Depth=1
	s_or_b32 exec_lo, exec_lo, s64
	s_wait_dscnt 0x0
	s_barrier_signal -1
	s_barrier_wait -1
	s_and_saveexec_b32 s64, s99
	s_cbranch_execz .LBB17_1079
; %bb.1078:                             ;   in Loop: Header=BB17_3 Depth=1
	ds_load_b32 v26, v3 offset:256
	ds_load_b32 v27, v35
	s_wait_dscnt 0x0
	v_fma_f32 v2, -v26, v27, v2
.LBB17_1079:                            ;   in Loop: Header=BB17_3 Depth=1
	s_or_b32 exec_lo, exec_lo, s64
	s_barrier_signal -1
	s_barrier_wait -1
	s_and_saveexec_b32 s64, s99
	s_cbranch_execz .LBB17_1081
; %bb.1080:                             ;   in Loop: Header=BB17_3 Depth=1
	ds_load_b32 v26, v3
	s_wait_dscnt 0x0
	v_mul_f32_e32 v2, v2, v26
	s_delay_alu instid0(VALU_DEP_1)
	v_xor_b32_e32 v26, 0x80000000, v2
	ds_store_b32 v35, v26
.LBB17_1081:                            ;   in Loop: Header=BB17_3 Depth=1
	s_or_b32 exec_lo, exec_lo, s64
	s_wait_dscnt 0x0
	s_barrier_signal -1
	s_barrier_wait -1
	s_barrier_signal -1
	s_barrier_wait -1
	s_and_saveexec_b32 s64, s2
; %bb.1082:                             ;   in Loop: Header=BB17_3 Depth=1
	ds_store_b32 v41, v2 offset:1792
; %bb.1083:                             ;   in Loop: Header=BB17_3 Depth=1
	s_or_b32 exec_lo, exec_lo, s64
	s_wait_dscnt 0x0
	s_barrier_signal -1
	s_barrier_wait -1
	s_barrier_signal -1
	s_barrier_wait -1
	s_and_saveexec_b32 s64, s100
	s_cbranch_execz .LBB17_1085
; %bb.1084:                             ;   in Loop: Header=BB17_3 Depth=1
	ds_load_b32 v2, v56 offset:1024
	s_wait_dscnt 0x0
	ds_store_b32 v57, v2 offset:16
	ds_load_b32 v2, v56 offset:1028
	s_wait_dscnt 0x0
	ds_store_b32 v57, v2 offset:272
	;; [unrolled: 3-line block ×4, first 2 shown]
.LBB17_1085:                            ;   in Loop: Header=BB17_3 Depth=1
	s_or_b32 exec_lo, exec_lo, s64
	s_wait_dscnt 0x0
	s_barrier_signal -1
	s_barrier_wait -1
	s_and_saveexec_b32 s64, s15
	s_cbranch_execz .LBB17_1087
; %bb.1086:                             ;   in Loop: Header=BB17_3 Depth=1
	ds_load_b64 v[26:27], v3 offset:776
	ds_load_b32 v2, v3 offset:520
	s_wait_dscnt 0x0
	v_mul_f32_e32 v2, v2, v27
	s_delay_alu instid0(VALU_DEP_1)
	v_mul_f32_e32 v2, v26, v2
	ds_store_2addr_b32 v3, v2, v2 offset0:131 offset1:194
.LBB17_1087:                            ;   in Loop: Header=BB17_3 Depth=1
	s_or_b32 exec_lo, exec_lo, s64
	v_mov_b32_e32 v2, 0
	s_wait_dscnt 0x0
	s_barrier_signal -1
	s_barrier_wait -1
	global_wb scope:SCOPE_DEV
	s_wait_storecnt 0x0
	global_inv scope:SCOPE_DEV
	s_and_saveexec_b32 s64, s0
	s_cbranch_execz .LBB17_1091
; %bb.1088:                             ;   in Loop: Header=BB17_3 Depth=1
	ds_load_b32 v2, v31 offset:512
	ds_load_b32 v26, v30 offset:776
	s_wait_dscnt 0x0
	v_fma_f32 v2, v2, v26, 0
	s_and_saveexec_b32 s65, s16
	s_cbranch_execz .LBB17_1090
; %bb.1089:                             ;   in Loop: Header=BB17_3 Depth=1
	ds_load_b32 v26, v57 offset:768
	ds_load_b32 v27, v3 offset:780
	s_wait_dscnt 0x0
	v_fmac_f32_e32 v2, v26, v27
.LBB17_1090:                            ;   in Loop: Header=BB17_3 Depth=1
	s_or_b32 exec_lo, exec_lo, s65
.LBB17_1091:                            ;   in Loop: Header=BB17_3 Depth=1
	s_delay_alu instid0(SALU_CYCLE_1)
	s_or_b32 exec_lo, exec_lo, s64
	s_and_saveexec_b32 s64, s91
	s_cbranch_execz .LBB17_1093
; %bb.1092:                             ;   in Loop: Header=BB17_3 Depth=1
	ds_load_b32 v26, v3 offset:260
	s_wait_dscnt 0x0
	v_mul_f32_e32 v2, v2, v26
	s_delay_alu instid0(VALU_DEP_1)
	v_xor_b32_e32 v26, 0x80000000, v2
	ds_store_b32 v5, v26
.LBB17_1093:                            ;   in Loop: Header=BB17_3 Depth=1
	s_or_b32 exec_lo, exec_lo, s64
	s_wait_loadcnt_dscnt 0x0
	s_barrier_signal -1
	s_barrier_wait -1
	s_and_saveexec_b32 s64, s92
	s_cbranch_execz .LBB17_1095
; %bb.1094:                             ;   in Loop: Header=BB17_3 Depth=1
	ds_load_b32 v26, v3 offset:256
	ds_load_b32 v27, v5
	s_wait_dscnt 0x0
	v_fma_f32 v2, -v26, v27, v2
.LBB17_1095:                            ;   in Loop: Header=BB17_3 Depth=1
	s_or_b32 exec_lo, exec_lo, s64
	s_barrier_signal -1
	s_barrier_wait -1
	s_and_saveexec_b32 s64, s92
	s_cbranch_execz .LBB17_1097
; %bb.1096:                             ;   in Loop: Header=BB17_3 Depth=1
	ds_load_b32 v26, v3
	s_wait_dscnt 0x0
	v_mul_f32_e32 v2, v2, v26
	s_delay_alu instid0(VALU_DEP_1)
	v_xor_b32_e32 v26, 0x80000000, v2
	ds_store_b32 v5, v26
.LBB17_1097:                            ;   in Loop: Header=BB17_3 Depth=1
	s_or_b32 exec_lo, exec_lo, s64
	s_wait_dscnt 0x0
	s_barrier_signal -1
	s_barrier_wait -1
	s_barrier_signal -1
	s_barrier_wait -1
	s_and_saveexec_b32 s64, s0
; %bb.1098:                             ;   in Loop: Header=BB17_3 Depth=1
	ds_store_b32 v33, v2 offset:768
; %bb.1099:                             ;   in Loop: Header=BB17_3 Depth=1
	s_or_b32 exec_lo, exec_lo, s64
	s_wait_dscnt 0x0
	s_barrier_signal -1
	s_barrier_wait -1
	s_barrier_signal -1
	s_barrier_wait -1
	s_and_saveexec_b32 s64, s93
	s_cbranch_execz .LBB17_1101
; %bb.1100:                             ;   in Loop: Header=BB17_3 Depth=1
	ds_load_b32 v2, v58 offset:512
	s_wait_dscnt 0x0
	ds_store_b32 v57, v2 offset:8
	ds_load_b32 v2, v58 offset:516
	s_wait_dscnt 0x0
	ds_store_b32 v57, v2 offset:264
.LBB17_1101:                            ;   in Loop: Header=BB17_3 Depth=1
	s_or_b32 exec_lo, exec_lo, s64
	s_wait_dscnt 0x0
	s_barrier_signal -1
	s_barrier_wait -1
	s_and_saveexec_b32 s64, s15
	s_cbranch_execz .LBB17_1103
; %bb.1102:                             ;   in Loop: Header=BB17_3 Depth=1
	ds_load_b64 v[26:27], v3 offset:256
	ds_load_b32 v2, v3
	s_wait_dscnt 0x0
	v_mul_f32_e32 v2, v2, v27
	s_delay_alu instid0(VALU_DEP_1)
	v_mul_f32_e32 v2, v26, v2
	ds_store_2addr_b32 v3, v2, v2 offset0:1 offset1:64
.LBB17_1103:                            ;   in Loop: Header=BB17_3 Depth=1
	s_or_b32 exec_lo, exec_lo, s64
.LBB17_1104:                            ;   in Loop: Header=BB17_3 Depth=1
	v_readlane_b32 s68, v87, 3
	v_readlane_b32 s69, v87, 4
	s_mul_u64 s[64:65], s[74:75], s[76:77]
	v_mov_b32_e32 v78, 0
	s_lshl_b64 s[64:65], s[64:65], 2
	s_wait_dscnt 0x0
	s_add_nc_u64 s[80:81], s[68:69], s[64:65]
	s_barrier_signal -1
	s_barrier_wait -1
	s_and_saveexec_b32 s64, s70
	s_cbranch_execz .LBB17_1106
; %bb.1105:                             ;   in Loop: Header=BB17_3 Depth=1
	v_lshl_add_u64 v[26:27], v[0:1], 2, s[80:81]
	v_readlane_b32 s65, v87, 0
	global_load_b32 v2, v[26:27], off
	s_wait_loadcnt 0x0
	v_mul_f32_e64 v78, v2, -s65
.LBB17_1106:                            ;   in Loop: Header=BB17_3 Depth=1
	s_or_b32 exec_lo, exec_lo, s64
	s_delay_alu instid0(SALU_CYCLE_1)
	s_and_not1_b32 vcc_lo, exec_lo, s71
	s_cbranch_vccnz .LBB17_1132
; %bb.1107:                             ;   in Loop: Header=BB17_3 Depth=1
	v_mov_b32_e32 v79, -1
	s_lshl_b64 s[64:65], s[76:77], 2
	s_delay_alu instid0(SALU_CYCLE_1)
	s_add_nc_u64 s[82:83], s[78:79], s[64:65]
	s_mov_b32 s64, 0
	s_branch .LBB17_1110
.LBB17_1108:                            ;   in Loop: Header=BB17_1110 Depth=2
	s_wait_xcnt 0x0
	ds_load_b32 v26, v62 offset:192
	s_wait_loadcnt_dscnt 0x0
	v_fmac_f32_e32 v78, v2, v26
.LBB17_1109:                            ;   in Loop: Header=BB17_1110 Depth=2
	s_or_b32 exec_lo, exec_lo, s65
	s_add_co_i32 s64, s64, 1
	s_delay_alu instid0(SALU_CYCLE_1)
	s_cmp_eq_u32 s64, s87
	s_cbranch_scc1 .LBB17_1132
.LBB17_1110:                            ;   Parent Loop BB17_3 Depth=1
                                        ; =>  This Loop Header: Depth=2
                                        ;       Child Loop BB17_1112 Depth 3
	v_cmp_gt_i32_e32 vcc_lo, s64, v79
	s_and_b32 s68, s59, vcc_lo
	s_delay_alu instid0(SALU_CYCLE_1)
	s_and_saveexec_b32 s65, s68
	s_cbranch_execz .LBB17_1113
; %bb.1111:                             ;   in Loop: Header=BB17_1110 Depth=2
	global_load_b32 v79, v3, s[82:83]
	s_wait_loadcnt 0x0
	v_cmp_le_i32_e32 vcc_lo, s64, v79
	s_cbranch_vccnz .LBB17_1113
.LBB17_1112:                            ;   Parent Loop BB17_3 Depth=1
                                        ;     Parent Loop BB17_1110 Depth=2
                                        ; =>    This Inner Loop Header: Depth=3
	global_wb scope:SCOPE_DEV
	s_wait_storecnt 0x0
	global_inv scope:SCOPE_DEV
	global_load_b32 v79, v3, s[82:83]
	s_wait_loadcnt 0x0
	v_cmp_gt_i32_e32 vcc_lo, s64, v79
	s_cbranch_vccnz .LBB17_1112
.LBB17_1113:                            ;   in Loop: Header=BB17_1110 Depth=2
	s_or_b32 exec_lo, exec_lo, s65
	s_lshl_b32 s65, s64, 6
	global_wb scope:SCOPE_DEV
	s_wait_storecnt 0x0
	global_inv scope:SCOPE_DEV
	s_wait_loadcnt 0x0
	s_barrier_signal -1
	s_barrier_wait -1
	s_and_saveexec_b32 s68, s60
	s_cbranch_execz .LBB17_1117
; %bb.1114:                             ;   in Loop: Header=BB17_1110 Depth=2
	v_dual_mov_b32 v26, 0 :: v_dual_bitop2_b32 v2, s65, v6 bitop3:0x54
	s_mov_b32 s69, exec_lo
	s_delay_alu instid0(VALU_DEP_1)
	v_cmpx_gt_i32_e64 s85, v2
	s_cbranch_execz .LBB17_1116
; %bb.1115:                             ;   in Loop: Header=BB17_1110 Depth=2
	v_mul_u64_e32 v[26:27], s[72:73], v[2:3]
	s_delay_alu instid0(VALU_DEP_1)
	v_lshl_add_u64 v[26:27], v[26:27], 2, s[80:81]
	global_load_b32 v26, v[26:27], off
.LBB17_1116:                            ;   in Loop: Header=BB17_1110 Depth=2
	s_wait_xcnt 0x0
	s_or_b32 exec_lo, exec_lo, s69
	s_wait_loadcnt 0x0
	ds_store_b32 v63, v26
.LBB17_1117:                            ;   in Loop: Header=BB17_1110 Depth=2
	s_or_b32 exec_lo, exec_lo, s68
	v_add_nc_u32_e32 v2, s65, v28
	v_cmp_ne_u32_e32 vcc_lo, s64, v29
	s_wait_dscnt 0x0
	s_barrier_signal -1
	s_barrier_wait -1
	v_cmp_gt_i32_e64 s65, s85, v2
	v_lshl_add_u64 v[26:27], v[2:3], 2, v[24:25]
	v_cndmask_b32_e64 v80, 0, 1, vcc_lo
	s_and_b32 s68, s65, s6
	s_delay_alu instid0(SALU_CYCLE_1)
	s_and_saveexec_b32 s65, s68
	s_cbranch_execz .LBB17_1121
; %bb.1118:                             ;   in Loop: Header=BB17_1110 Depth=2
	v_mov_b32_e32 v81, v74
	s_and_not1_b32 vcc_lo, exec_lo, vcc_lo
	s_cbranch_vccnz .LBB17_1120
; %bb.1119:                             ;   in Loop: Header=BB17_1110 Depth=2
	global_load_b32 v81, v[26:27], off
.LBB17_1120:                            ;   in Loop: Header=BB17_1110 Depth=2
	ds_load_b32 v82, v62
	s_wait_loadcnt_dscnt 0x0
	v_fmac_f32_e32 v78, v81, v82
.LBB17_1121:                            ;   in Loop: Header=BB17_1110 Depth=2
	s_or_b32 exec_lo, exec_lo, s65
	v_add_nc_u32_e32 v81, 16, v2
	s_delay_alu instid0(VALU_DEP_1) | instskip(SKIP_1) | instid1(SALU_CYCLE_1)
	v_cmp_gt_i32_e32 vcc_lo, s85, v81
	s_and_b32 s68, vcc_lo, s6
	s_and_saveexec_b32 s65, s68
	s_cbranch_execz .LBB17_1125
; %bb.1122:                             ;   in Loop: Header=BB17_1110 Depth=2
	v_cmp_ne_u32_e32 vcc_lo, 1, v80
	v_mov_b32_e32 v81, v75
	s_cbranch_vccnz .LBB17_1124
; %bb.1123:                             ;   in Loop: Header=BB17_1110 Depth=2
	global_load_b32 v81, v[26:27], off offset:64
.LBB17_1124:                            ;   in Loop: Header=BB17_1110 Depth=2
	ds_load_b32 v82, v62 offset:64
	s_wait_loadcnt_dscnt 0x0
	v_fmac_f32_e32 v78, v81, v82
.LBB17_1125:                            ;   in Loop: Header=BB17_1110 Depth=2
	s_or_b32 exec_lo, exec_lo, s65
	v_add_nc_u32_e32 v81, 32, v2
	s_delay_alu instid0(VALU_DEP_1) | instskip(SKIP_1) | instid1(SALU_CYCLE_1)
	v_cmp_gt_i32_e32 vcc_lo, s85, v81
	s_and_b32 s68, vcc_lo, s6
	s_and_saveexec_b32 s65, s68
	s_cbranch_execz .LBB17_1129
; %bb.1126:                             ;   in Loop: Header=BB17_1110 Depth=2
	v_cmp_ne_u32_e32 vcc_lo, 1, v80
	v_mov_b32_e32 v81, v76
	s_cbranch_vccnz .LBB17_1128
; %bb.1127:                             ;   in Loop: Header=BB17_1110 Depth=2
	global_load_b32 v81, v[26:27], off offset:128
.LBB17_1128:                            ;   in Loop: Header=BB17_1110 Depth=2
	ds_load_b32 v82, v62 offset:128
	s_wait_loadcnt_dscnt 0x0
	v_fmac_f32_e32 v78, v81, v82
.LBB17_1129:                            ;   in Loop: Header=BB17_1110 Depth=2
	s_or_b32 exec_lo, exec_lo, s65
	v_add_nc_u32_e32 v2, 48, v2
	s_delay_alu instid0(VALU_DEP_1) | instskip(SKIP_1) | instid1(SALU_CYCLE_1)
	v_cmp_gt_i32_e32 vcc_lo, s85, v2
	s_and_b32 s68, vcc_lo, s6
	s_and_saveexec_b32 s65, s68
	s_cbranch_execz .LBB17_1109
; %bb.1130:                             ;   in Loop: Header=BB17_1110 Depth=2
	v_cmp_ne_u32_e32 vcc_lo, 1, v80
	v_mov_b32_e32 v2, v77
	s_cbranch_vccnz .LBB17_1108
; %bb.1131:                             ;   in Loop: Header=BB17_1110 Depth=2
	global_load_b32 v2, v[26:27], off offset:192
	s_branch .LBB17_1108
.LBB17_1132:                            ;   in Loop: Header=BB17_3 Depth=1
	ds_store_b32 v64, v78
	s_wait_dscnt 0x0
	s_barrier_signal -1
	s_barrier_wait -1
	s_and_saveexec_b32 s64, s1
	s_cbranch_execz .LBB17_1134
; %bb.1133:                             ;   in Loop: Header=BB17_3 Depth=1
	ds_load_2addr_stride64_b32 v[24:25], v65 offset0:1 offset1:2
	ds_load_2addr_stride64_b32 v[26:27], v65 offset0:3 offset1:4
	;; [unrolled: 1-line block ×4, first 2 shown]
	v_readlane_b32 s65, v85, 3
	s_wait_dscnt 0x3
	v_add_f32_e32 v2, v78, v24
	s_delay_alu instid0(VALU_DEP_1) | instskip(SKIP_3) | instid1(VALU_DEP_1)
	v_add_f32_e32 v2, v2, v25
	ds_load_2addr_stride64_b32 v[24:25], v65 offset0:9 offset1:10
	s_wait_dscnt 0x3
	v_add_f32_e32 v2, v2, v26
	v_add_f32_e32 v2, v2, v27
	ds_load_2addr_stride64_b32 v[26:27], v65 offset0:11 offset1:12
	s_wait_dscnt 0x3
	v_add_f32_e32 v2, v2, v80
	ds_load_2addr_stride64_b32 v[78:79], v65 offset0:13 offset1:14
	ds_load_b32 v80, v65 offset:3840
	v_add_f32_e32 v2, v2, v81
	s_wait_dscnt 0x4
	s_delay_alu instid0(VALU_DEP_1) | instskip(NEXT) | instid1(VALU_DEP_1)
	v_add_f32_e32 v2, v2, v82
	v_add_f32_e32 v2, v2, v83
	s_wait_dscnt 0x3
	s_delay_alu instid0(VALU_DEP_1) | instskip(NEXT) | instid1(VALU_DEP_1)
	v_add_f32_e32 v2, v2, v24
	;; [unrolled: 4-line block ×5, first 2 shown]
	v_cndmask_b32_e64 v78, -v2, 0, s65
.LBB17_1134:                            ;   in Loop: Header=BB17_3 Depth=1
	s_or_b32 exec_lo, exec_lo, s64
	s_delay_alu instid0(SALU_CYCLE_1)
	s_and_not1_b32 vcc_lo, exec_lo, s90
	s_cbranch_vccnz .LBB17_1144
; %bb.1135:                             ;   in Loop: Header=BB17_3 Depth=1
	s_and_saveexec_b32 s64, s1
; %bb.1136:                             ;   in Loop: Header=BB17_3 Depth=1
	ds_store_b32 v67, v78
; %bb.1137:                             ;   in Loop: Header=BB17_3 Depth=1
	s_or_b32 exec_lo, exec_lo, s64
	v_mov_b32_e32 v2, 0
	s_wait_dscnt 0x0
	s_barrier_signal -1
	s_barrier_wait -1
	s_and_saveexec_b32 s64, s7
	s_cbranch_execnz .LBB17_1199
; %bb.1138:                             ;   in Loop: Header=BB17_3 Depth=1
	s_or_b32 exec_lo, exec_lo, s64
	s_and_saveexec_b32 s64, s8
	s_cbranch_execnz .LBB17_1200
.LBB17_1139:                            ;   in Loop: Header=BB17_3 Depth=1
	s_or_b32 exec_lo, exec_lo, s64
	s_and_saveexec_b32 s64, s9
	s_cbranch_execnz .LBB17_1201
.LBB17_1140:                            ;   in Loop: Header=BB17_3 Depth=1
	s_or_b32 exec_lo, exec_lo, s64
	s_and_saveexec_b32 s64, s10
	s_cbranch_execz .LBB17_1142
.LBB17_1141:                            ;   in Loop: Header=BB17_3 Depth=1
	ds_load_b32 v24, v66 offset:12288
	ds_load_b32 v25, v62 offset:192
	s_wait_dscnt 0x0
	v_fmac_f32_e32 v2, v24, v25
.LBB17_1142:                            ;   in Loop: Header=BB17_3 Depth=1
	s_or_b32 exec_lo, exec_lo, s64
	s_mov_b32 s64, 0
	s_mov_b32 s65, 0
	ds_store_b32 v64, v2
	s_wait_dscnt 0x0
	s_barrier_signal -1
	s_barrier_wait -1
                                        ; implicit-def: $vgpr24
	s_and_saveexec_b32 s82, s1
	s_cbranch_execz .LBB17_1202
; %bb.1143:                             ;   in Loop: Header=BB17_3 Depth=1
	ds_load_2addr_stride64_b32 v[24:25], v65 offset0:1 offset1:2
	ds_load_2addr_stride64_b32 v[26:27], v65 offset0:3 offset1:4
	ds_load_2addr_stride64_b32 v[80:81], v65 offset0:5 offset1:6
	ds_load_2addr_stride64_b32 v[82:83], v65 offset0:7 offset1:8
	s_mov_b32 s65, exec_lo
	s_wait_dscnt 0x3
	v_add_f32_e32 v2, v2, v24
	s_delay_alu instid0(VALU_DEP_1) | instskip(SKIP_3) | instid1(VALU_DEP_1)
	v_add_f32_e32 v2, v25, v2
	ds_load_2addr_stride64_b32 v[24:25], v65 offset0:9 offset1:10
	s_wait_dscnt 0x3
	v_add_f32_e32 v2, v26, v2
	v_add_f32_e32 v2, v27, v2
	ds_load_2addr_stride64_b32 v[26:27], v65 offset0:11 offset1:12
	s_wait_dscnt 0x3
	v_add_f32_e32 v2, v80, v2
	s_delay_alu instid0(VALU_DEP_1) | instskip(SKIP_4) | instid1(VALU_DEP_1)
	v_add_f32_e32 v2, v81, v2
	ds_load_2addr_stride64_b32 v[80:81], v65 offset0:13 offset1:14
	ds_load_b32 v79, v65 offset:3840
	s_wait_dscnt 0x4
	v_add_f32_e32 v2, v82, v2
	v_add_f32_e32 v2, v83, v2
	s_wait_dscnt 0x3
	s_delay_alu instid0(VALU_DEP_1) | instskip(NEXT) | instid1(VALU_DEP_1)
	v_add_f32_e32 v2, v24, v2
	v_add_f32_e32 v2, v25, v2
	s_wait_dscnt 0x2
	s_delay_alu instid0(VALU_DEP_1) | instskip(NEXT) | instid1(VALU_DEP_1)
	;; [unrolled: 4-line block ×3, first 2 shown]
	v_add_f32_e32 v2, v80, v2
	v_add_f32_e32 v2, v81, v2
	s_wait_dscnt 0x0
	s_delay_alu instid0(VALU_DEP_1) | instskip(SKIP_1) | instid1(SALU_CYCLE_1)
	v_add_f32_e32 v24, v79, v2
	s_or_b32 exec_lo, exec_lo, s82
	s_and_b32 vcc_lo, exec_lo, s64
	s_cbranch_vccnz .LBB17_1145
	s_branch .LBB17_1203
.LBB17_1144:                            ;   in Loop: Header=BB17_3 Depth=1
	s_mov_b32 s65, 0
                                        ; implicit-def: $vgpr24
	s_cbranch_execz .LBB17_1203
.LBB17_1145:                            ;   in Loop: Header=BB17_3 Depth=1
	v_dual_mov_b32 v2, v4 :: v_dual_mov_b32 v24, v73
	s_mov_b32 s64, 0
	s_branch .LBB17_1147
.LBB17_1146:                            ;   in Loop: Header=BB17_1147 Depth=2
	s_or_b32 exec_lo, exec_lo, s68
	v_add_nc_u32_e32 v24, 0x400, v24
	v_add_nc_u32_e32 v2, -4, v2
	s_add_co_i32 s64, s64, 4
	s_delay_alu instid0(SALU_CYCLE_1)
	s_cmp_lg_u32 s64, 64
	s_barrier_signal -1
	s_barrier_wait -1
	s_cbranch_scc0 .LBB17_1163
.LBB17_1147:                            ;   Parent Loop BB17_3 Depth=1
                                        ; =>  This Inner Loop Header: Depth=2
	s_delay_alu instid0(VALU_DEP_1) | instskip(SKIP_2) | instid1(SALU_CYCLE_1)
	v_cmp_eq_u32_e32 vcc_lo, 0, v2
	v_add_nc_u32_e32 v25, v58, v32
	s_and_b32 s69, s1, vcc_lo
	s_and_saveexec_b32 s68, s69
	s_cbranch_execz .LBB17_1149
; %bb.1148:                             ;   in Loop: Header=BB17_1147 Depth=2
	ds_load_b32 v26, v25
	s_wait_dscnt 0x0
	v_mul_f32_e32 v78, v78, v26
	ds_store_b32 v3, v78 offset:20736
.LBB17_1149:                            ;   in Loop: Header=BB17_1147 Depth=2
	s_or_b32 exec_lo, exec_lo, s68
	v_cmp_lt_u32_e32 vcc_lo, s64, v4
	s_wait_dscnt 0x0
	s_barrier_signal -1
	s_barrier_wait -1
	s_and_b32 s69, s1, vcc_lo
	s_delay_alu instid0(SALU_CYCLE_1)
	s_and_saveexec_b32 s68, s69
	s_cbranch_execz .LBB17_1151
; %bb.1150:                             ;   in Loop: Header=BB17_1147 Depth=2
	ds_load_b32 v26, v24
	ds_load_b32 v27, v3 offset:20736
	s_wait_dscnt 0x0
	v_fmac_f32_e32 v78, v26, v27
.LBB17_1151:                            ;   in Loop: Header=BB17_1147 Depth=2
	s_or_b32 exec_lo, exec_lo, s68
	s_or_b32 s68, s64, 1
	s_delay_alu instid0(SALU_CYCLE_1) | instskip(SKIP_3) | instid1(SALU_CYCLE_1)
	v_cmp_eq_u32_e32 vcc_lo, s68, v4
	s_barrier_signal -1
	s_barrier_wait -1
	s_and_b32 s82, s1, vcc_lo
	s_and_saveexec_b32 s69, s82
	s_cbranch_execz .LBB17_1153
; %bb.1152:                             ;   in Loop: Header=BB17_1147 Depth=2
	ds_load_b32 v26, v25
	s_wait_dscnt 0x0
	v_mul_f32_e32 v78, v78, v26
	ds_store_b32 v3, v78 offset:20736
.LBB17_1153:                            ;   in Loop: Header=BB17_1147 Depth=2
	s_or_b32 exec_lo, exec_lo, s69
	v_cmp_lt_u32_e32 vcc_lo, s68, v4
	s_wait_dscnt 0x0
	s_barrier_signal -1
	s_barrier_wait -1
	s_and_b32 s69, s1, vcc_lo
	s_delay_alu instid0(SALU_CYCLE_1)
	s_and_saveexec_b32 s68, s69
	s_cbranch_execz .LBB17_1155
; %bb.1154:                             ;   in Loop: Header=BB17_1147 Depth=2
	ds_load_b32 v26, v24 offset:256
	ds_load_b32 v27, v3 offset:20736
	s_wait_dscnt 0x0
	v_fmac_f32_e32 v78, v26, v27
.LBB17_1155:                            ;   in Loop: Header=BB17_1147 Depth=2
	s_or_b32 exec_lo, exec_lo, s68
	s_or_b32 s68, s64, 2
	s_delay_alu instid0(SALU_CYCLE_1) | instskip(SKIP_3) | instid1(SALU_CYCLE_1)
	v_cmp_eq_u32_e32 vcc_lo, s68, v4
	s_barrier_signal -1
	s_barrier_wait -1
	s_and_b32 s82, s1, vcc_lo
	s_and_saveexec_b32 s69, s82
	s_cbranch_execz .LBB17_1157
; %bb.1156:                             ;   in Loop: Header=BB17_1147 Depth=2
	ds_load_b32 v26, v25
	s_wait_dscnt 0x0
	v_mul_f32_e32 v78, v78, v26
	ds_store_b32 v3, v78 offset:20736
.LBB17_1157:                            ;   in Loop: Header=BB17_1147 Depth=2
	s_or_b32 exec_lo, exec_lo, s69
	v_cmp_lt_u32_e32 vcc_lo, s68, v4
	s_wait_dscnt 0x0
	s_barrier_signal -1
	s_barrier_wait -1
	s_and_b32 s69, s1, vcc_lo
	s_delay_alu instid0(SALU_CYCLE_1)
	s_and_saveexec_b32 s68, s69
	s_cbranch_execz .LBB17_1159
; %bb.1158:                             ;   in Loop: Header=BB17_1147 Depth=2
	ds_load_b32 v26, v24 offset:512
	ds_load_b32 v27, v3 offset:20736
	s_wait_dscnt 0x0
	v_fmac_f32_e32 v78, v26, v27
.LBB17_1159:                            ;   in Loop: Header=BB17_1147 Depth=2
	s_or_b32 exec_lo, exec_lo, s68
	s_or_b32 s68, s64, 3
	s_delay_alu instid0(SALU_CYCLE_1) | instskip(SKIP_3) | instid1(SALU_CYCLE_1)
	v_cmp_eq_u32_e32 vcc_lo, s68, v4
	s_barrier_signal -1
	s_barrier_wait -1
	s_and_b32 s82, s1, vcc_lo
	s_and_saveexec_b32 s69, s82
	s_cbranch_execz .LBB17_1161
; %bb.1160:                             ;   in Loop: Header=BB17_1147 Depth=2
	ds_load_b32 v25, v25
	s_wait_dscnt 0x0
	v_mul_f32_e32 v78, v78, v25
	ds_store_b32 v3, v78 offset:20736
.LBB17_1161:                            ;   in Loop: Header=BB17_1147 Depth=2
	s_or_b32 exec_lo, exec_lo, s69
	v_cmp_lt_u32_e32 vcc_lo, s68, v4
	s_wait_dscnt 0x0
	s_barrier_signal -1
	s_barrier_wait -1
	s_and_b32 s69, s1, vcc_lo
	s_delay_alu instid0(SALU_CYCLE_1)
	s_and_saveexec_b32 s68, s69
	s_cbranch_execz .LBB17_1146
; %bb.1162:                             ;   in Loop: Header=BB17_1147 Depth=2
	ds_load_b32 v25, v24 offset:768
	ds_load_b32 v26, v3 offset:20736
	s_wait_dscnt 0x0
	v_fmac_f32_e32 v78, v25, v26
	s_branch .LBB17_1146
.LBB17_1163:                            ;   in Loop: Header=BB17_3 Depth=1
	s_and_b32 vcc_lo, exec_lo, s89
	s_mov_b32 s64, -1
	s_cbranch_vccz .LBB17_1165
; %bb.1164:                             ;   in Loop: Header=BB17_3 Depth=1
	s_and_not1_b32 s65, s65, exec_lo
	s_and_b32 s68, s1, exec_lo
	s_mov_b32 s64, 0
	s_or_b32 s65, s65, s68
.LBB17_1165:                            ;   in Loop: Header=BB17_3 Depth=1
	s_and_not1_b32 vcc_lo, exec_lo, s64
	s_cbranch_vccnz .LBB17_1167
; %bb.1166:                             ;   in Loop: Header=BB17_3 Depth=1
	s_and_not1_b32 s64, s65, exec_lo
	v_readlane_b32 s65, v85, 4
	s_and_b32 s65, s65, exec_lo
	s_delay_alu instid0(SALU_CYCLE_1)
	s_or_b32 s65, s64, s65
.LBB17_1167:                            ;   in Loop: Header=BB17_3 Depth=1
	v_mov_b64_e32 v[24:25], v[14:15]
	s_and_saveexec_b32 s64, s65
	s_cbranch_execnz .LBB17_1204
	s_branch .LBB17_1205
.LBB17_1168:                            ;   in Loop: Header=BB17_3 Depth=1
	s_mov_b32 s65, exec_lo
	v_readlane_b32 s68, v85, 13
	s_and_b32 s68, s65, s68
	s_delay_alu instid0(SALU_CYCLE_1)
	s_xor_b32 s65, s68, s65
	s_mov_b32 exec_lo, s68
	s_cbranch_execz .LBB17_1172
; %bb.1169:                             ;   in Loop: Header=BB17_3 Depth=1
	s_mov_b32 s68, exec_lo
	v_readlane_b32 s69, v84, 23
	s_and_b32 s69, s68, s69
	s_delay_alu instid0(SALU_CYCLE_1)
	s_mov_b32 exec_lo, s69
; %bb.1170:                             ;   in Loop: Header=BB17_3 Depth=1
	ds_store_b32 v68, v3
; %bb.1171:                             ;   in Loop: Header=BB17_3 Depth=1
	s_or_b32 exec_lo, exec_lo, s68
.LBB17_1172:                            ;   in Loop: Header=BB17_3 Depth=1
	s_and_not1_saveexec_b32 s65, s65
	s_cbranch_execz .LBB17_1174
; %bb.1173:                             ;   in Loop: Header=BB17_3 Depth=1
	v_lshl_add_u64 v[26:27], v[16:17], 2, s[80:81]
	global_load_b32 v2, v[26:27], off
	s_wait_loadcnt 0x0
	v_div_scale_f32 v26, null, v2, v2, 1.0
	s_delay_alu instid0(VALU_DEP_1) | instskip(SKIP_1) | instid1(TRANS32_DEP_1)
	v_rcp_f32_e32 v27, v26
	v_nop
	v_fma_f32 v78, -v26, v27, 1.0
	s_delay_alu instid0(VALU_DEP_1) | instskip(SKIP_1) | instid1(VALU_DEP_1)
	v_fmac_f32_e32 v27, v78, v27
	v_div_scale_f32 v78, vcc_lo, 1.0, v2, 1.0
	v_mul_f32_e32 v79, v78, v27
	s_delay_alu instid0(VALU_DEP_1) | instskip(NEXT) | instid1(VALU_DEP_1)
	v_fma_f32 v80, -v26, v79, v78
	v_fmac_f32_e32 v79, v80, v27
	s_delay_alu instid0(VALU_DEP_1) | instskip(NEXT) | instid1(VALU_DEP_1)
	v_fma_f32 v26, -v26, v79, v78
	v_div_fmas_f32 v26, v26, v27, v79
	s_delay_alu instid0(VALU_DEP_1)
	v_div_fixup_f32 v2, v26, v2, 1.0
	ds_store_b32 v68, v2
.LBB17_1174:                            ;   in Loop: Header=BB17_3 Depth=1
	s_or_b32 exec_lo, exec_lo, s65
	s_and_not1_saveexec_b32 s64, s64
	s_cbranch_execz .LBB17_17
.LBB17_1175:                            ;   in Loop: Header=BB17_3 Depth=1
	v_lshl_add_u64 v[26:27], v[16:17], 2, s[80:81]
	global_load_b32 v2, v[26:27], off
	s_wait_loadcnt 0x0
	v_xor_b32_e32 v2, 0x80000000, v2
	ds_store_b32 v68, v2
	s_or_b32 exec_lo, exec_lo, s64
	s_and_saveexec_b32 s64, s8
	s_delay_alu instid0(SALU_CYCLE_1)
	s_xor_b32 s64, exec_lo, s64
	s_cbranch_execz .LBB17_18
.LBB17_1176:                            ;   in Loop: Header=BB17_3 Depth=1
	s_mov_b32 s65, exec_lo
	v_readlane_b32 s68, v85, 15
	s_and_b32 s68, s65, s68
	s_delay_alu instid0(SALU_CYCLE_1)
	s_xor_b32 s65, s68, s65
	s_mov_b32 exec_lo, s68
	s_cbranch_execz .LBB17_1180
; %bb.1177:                             ;   in Loop: Header=BB17_3 Depth=1
	s_mov_b32 s68, exec_lo
	v_readlane_b32 s69, v84, 24
	s_and_b32 s69, s68, s69
	s_delay_alu instid0(SALU_CYCLE_1)
	s_mov_b32 exec_lo, s69
; %bb.1178:                             ;   in Loop: Header=BB17_3 Depth=1
	ds_store_b32 v69, v3
; %bb.1179:                             ;   in Loop: Header=BB17_3 Depth=1
	s_or_b32 exec_lo, exec_lo, s68
.LBB17_1180:                            ;   in Loop: Header=BB17_3 Depth=1
	s_and_not1_saveexec_b32 s65, s65
	s_cbranch_execz .LBB17_1182
; %bb.1181:                             ;   in Loop: Header=BB17_3 Depth=1
	v_lshl_add_u64 v[26:27], v[18:19], 2, s[80:81]
	global_load_b32 v2, v[26:27], off
	s_wait_loadcnt 0x0
	v_div_scale_f32 v26, null, v2, v2, 1.0
	s_delay_alu instid0(VALU_DEP_1) | instskip(SKIP_1) | instid1(TRANS32_DEP_1)
	v_rcp_f32_e32 v27, v26
	v_nop
	v_fma_f32 v78, -v26, v27, 1.0
	s_delay_alu instid0(VALU_DEP_1) | instskip(SKIP_1) | instid1(VALU_DEP_1)
	v_fmac_f32_e32 v27, v78, v27
	v_div_scale_f32 v78, vcc_lo, 1.0, v2, 1.0
	v_mul_f32_e32 v79, v78, v27
	s_delay_alu instid0(VALU_DEP_1) | instskip(NEXT) | instid1(VALU_DEP_1)
	v_fma_f32 v80, -v26, v79, v78
	v_fmac_f32_e32 v79, v80, v27
	s_delay_alu instid0(VALU_DEP_1) | instskip(NEXT) | instid1(VALU_DEP_1)
	v_fma_f32 v26, -v26, v79, v78
	v_div_fmas_f32 v26, v26, v27, v79
	s_delay_alu instid0(VALU_DEP_1)
	v_div_fixup_f32 v2, v26, v2, 1.0
	ds_store_b32 v69, v2
.LBB17_1182:                            ;   in Loop: Header=BB17_3 Depth=1
	s_or_b32 exec_lo, exec_lo, s65
	s_and_not1_saveexec_b32 s64, s64
	s_cbranch_execz .LBB17_19
.LBB17_1183:                            ;   in Loop: Header=BB17_3 Depth=1
	v_lshl_add_u64 v[26:27], v[18:19], 2, s[80:81]
	global_load_b32 v2, v[26:27], off
	s_wait_loadcnt 0x0
	v_xor_b32_e32 v2, 0x80000000, v2
	ds_store_b32 v69, v2
	s_or_b32 exec_lo, exec_lo, s64
	s_and_saveexec_b32 s64, s9
	s_delay_alu instid0(SALU_CYCLE_1)
	s_xor_b32 s64, exec_lo, s64
	s_cbranch_execz .LBB17_20
.LBB17_1184:                            ;   in Loop: Header=BB17_3 Depth=1
	s_mov_b32 s65, exec_lo
	v_readlane_b32 s68, v85, 17
	s_and_b32 s68, s65, s68
	s_delay_alu instid0(SALU_CYCLE_1)
	s_xor_b32 s65, s68, s65
	s_mov_b32 exec_lo, s68
	s_cbranch_execz .LBB17_1188
; %bb.1185:                             ;   in Loop: Header=BB17_3 Depth=1
	s_mov_b32 s68, exec_lo
	v_readlane_b32 s69, v84, 25
	s_and_b32 s69, s68, s69
	s_delay_alu instid0(SALU_CYCLE_1)
	s_mov_b32 exec_lo, s69
; %bb.1186:                             ;   in Loop: Header=BB17_3 Depth=1
	ds_store_b32 v70, v3
; %bb.1187:                             ;   in Loop: Header=BB17_3 Depth=1
	s_or_b32 exec_lo, exec_lo, s68
.LBB17_1188:                            ;   in Loop: Header=BB17_3 Depth=1
	s_and_not1_saveexec_b32 s65, s65
	s_cbranch_execz .LBB17_1190
; %bb.1189:                             ;   in Loop: Header=BB17_3 Depth=1
	v_lshl_add_u64 v[26:27], v[20:21], 2, s[80:81]
	global_load_b32 v2, v[26:27], off
	s_wait_loadcnt 0x0
	v_div_scale_f32 v26, null, v2, v2, 1.0
	s_delay_alu instid0(VALU_DEP_1) | instskip(SKIP_1) | instid1(TRANS32_DEP_1)
	v_rcp_f32_e32 v27, v26
	v_nop
	v_fma_f32 v78, -v26, v27, 1.0
	s_delay_alu instid0(VALU_DEP_1) | instskip(SKIP_1) | instid1(VALU_DEP_1)
	v_fmac_f32_e32 v27, v78, v27
	v_div_scale_f32 v78, vcc_lo, 1.0, v2, 1.0
	v_mul_f32_e32 v79, v78, v27
	s_delay_alu instid0(VALU_DEP_1) | instskip(NEXT) | instid1(VALU_DEP_1)
	v_fma_f32 v80, -v26, v79, v78
	v_fmac_f32_e32 v79, v80, v27
	s_delay_alu instid0(VALU_DEP_1) | instskip(NEXT) | instid1(VALU_DEP_1)
	v_fma_f32 v26, -v26, v79, v78
	v_div_fmas_f32 v26, v26, v27, v79
	s_delay_alu instid0(VALU_DEP_1)
	v_div_fixup_f32 v2, v26, v2, 1.0
	ds_store_b32 v70, v2
.LBB17_1190:                            ;   in Loop: Header=BB17_3 Depth=1
	s_or_b32 exec_lo, exec_lo, s65
	s_and_not1_saveexec_b32 s64, s64
	s_cbranch_execz .LBB17_21
.LBB17_1191:                            ;   in Loop: Header=BB17_3 Depth=1
	v_lshl_add_u64 v[26:27], v[20:21], 2, s[80:81]
	global_load_b32 v2, v[26:27], off
	s_wait_loadcnt 0x0
	v_xor_b32_e32 v2, 0x80000000, v2
	ds_store_b32 v70, v2
	s_or_b32 exec_lo, exec_lo, s64
	s_and_saveexec_b32 s64, s10
	s_delay_alu instid0(SALU_CYCLE_1)
	s_xor_b32 s64, exec_lo, s64
	s_cbranch_execz .LBB17_22
.LBB17_1192:                            ;   in Loop: Header=BB17_3 Depth=1
	s_mov_b32 s65, exec_lo
	v_readlane_b32 s68, v85, 19
	s_and_b32 s68, s65, s68
	s_delay_alu instid0(SALU_CYCLE_1)
	s_xor_b32 s65, s68, s65
	s_mov_b32 exec_lo, s68
	s_cbranch_execz .LBB17_1196
; %bb.1193:                             ;   in Loop: Header=BB17_3 Depth=1
	s_mov_b32 s68, exec_lo
	v_readlane_b32 s69, v84, 26
	s_and_b32 s69, s68, s69
	s_delay_alu instid0(SALU_CYCLE_1)
	s_mov_b32 exec_lo, s69
; %bb.1194:                             ;   in Loop: Header=BB17_3 Depth=1
	ds_store_b32 v71, v3
; %bb.1195:                             ;   in Loop: Header=BB17_3 Depth=1
	s_or_b32 exec_lo, exec_lo, s68
.LBB17_1196:                            ;   in Loop: Header=BB17_3 Depth=1
	s_and_not1_saveexec_b32 s65, s65
	s_cbranch_execz .LBB17_1198
; %bb.1197:                             ;   in Loop: Header=BB17_3 Depth=1
	v_lshl_add_u64 v[26:27], v[22:23], 2, s[80:81]
	global_load_b32 v2, v[26:27], off
	s_wait_loadcnt 0x0
	v_div_scale_f32 v26, null, v2, v2, 1.0
	s_delay_alu instid0(VALU_DEP_1) | instskip(SKIP_1) | instid1(TRANS32_DEP_1)
	v_rcp_f32_e32 v27, v26
	v_nop
	v_fma_f32 v78, -v26, v27, 1.0
	s_delay_alu instid0(VALU_DEP_1) | instskip(SKIP_1) | instid1(VALU_DEP_1)
	v_fmac_f32_e32 v27, v78, v27
	v_div_scale_f32 v78, vcc_lo, 1.0, v2, 1.0
	v_mul_f32_e32 v79, v78, v27
	s_delay_alu instid0(VALU_DEP_1) | instskip(NEXT) | instid1(VALU_DEP_1)
	v_fma_f32 v80, -v26, v79, v78
	v_fmac_f32_e32 v79, v80, v27
	s_delay_alu instid0(VALU_DEP_1) | instskip(NEXT) | instid1(VALU_DEP_1)
	v_fma_f32 v26, -v26, v79, v78
	v_div_fmas_f32 v26, v26, v27, v79
	s_delay_alu instid0(VALU_DEP_1)
	v_div_fixup_f32 v2, v26, v2, 1.0
	ds_store_b32 v71, v2
.LBB17_1198:                            ;   in Loop: Header=BB17_3 Depth=1
	s_or_b32 exec_lo, exec_lo, s65
	s_and_not1_saveexec_b32 s64, s64
	s_cbranch_execnz .LBB17_23
	s_branch .LBB17_24
.LBB17_1199:                            ;   in Loop: Header=BB17_3 Depth=1
	ds_load_b32 v2, v66
	ds_load_b32 v24, v62
	s_wait_dscnt 0x0
	v_fma_f32 v2, v2, v24, 0
	s_or_b32 exec_lo, exec_lo, s64
	s_and_saveexec_b32 s64, s8
	s_cbranch_execz .LBB17_1139
.LBB17_1200:                            ;   in Loop: Header=BB17_3 Depth=1
	ds_load_b32 v24, v66 offset:4096
	ds_load_b32 v25, v62 offset:64
	s_wait_dscnt 0x0
	v_fmac_f32_e32 v2, v24, v25
	s_or_b32 exec_lo, exec_lo, s64
	s_and_saveexec_b32 s64, s9
	s_cbranch_execz .LBB17_1140
.LBB17_1201:                            ;   in Loop: Header=BB17_3 Depth=1
	ds_load_b32 v24, v66 offset:8192
	ds_load_b32 v25, v62 offset:128
	s_wait_dscnt 0x0
	v_fmac_f32_e32 v2, v24, v25
	s_or_b32 exec_lo, exec_lo, s64
	s_and_saveexec_b32 s64, s10
	s_cbranch_execnz .LBB17_1141
	s_branch .LBB17_1142
.LBB17_1202:                            ;   in Loop: Header=BB17_3 Depth=1
	s_or_b32 exec_lo, exec_lo, s82
	s_delay_alu instid0(SALU_CYCLE_1)
	s_and_b32 vcc_lo, exec_lo, s64
	s_cbranch_vccnz .LBB17_1145
.LBB17_1203:                            ;   in Loop: Header=BB17_3 Depth=1
	v_mov_b32_e32 v78, v24
	v_mov_b64_e32 v[24:25], v[12:13]
	s_and_saveexec_b32 s64, s65
	s_cbranch_execz .LBB17_1205
.LBB17_1204:                            ;   in Loop: Header=BB17_3 Depth=1
	s_delay_alu instid0(VALU_DEP_1)
	v_lshl_add_u64 v[24:25], v[24:25], 2, s[80:81]
	global_store_b32 v[24:25], v78, off
.LBB17_1205:                            ;   in Loop: Header=BB17_3 Depth=1
	s_wait_xcnt 0x0
	s_or_b32 exec_lo, exec_lo, s64
	global_wb scope:SCOPE_DEV
	s_wait_storecnt 0x0
	global_inv scope:SCOPE_DEV
	s_wait_loadcnt 0x0
	s_barrier_signal -1
	s_barrier_wait -1
	s_and_saveexec_b32 s64, s59
	s_cbranch_execz .LBB17_2
; %bb.1206:                             ;   in Loop: Header=BB17_3 Depth=1
	s_lshl_b64 s[68:69], s[76:77], 2
	s_delay_alu instid0(SALU_CYCLE_1)
	s_add_nc_u64 s[68:69], s[78:79], s[68:69]
	global_load_b32 v2, v3, s[68:69]
	s_wait_loadcnt 0x0
	v_add_nc_u32_e32 v2, 1, v2
	global_store_b32 v3, v2, s[68:69]
	s_branch .LBB17_2
.LBB17_1207:                            ;   in Loop: Header=BB17_3 Depth=1
	ds_load_b32 v26, v37 offset:15840
	ds_load_b32 v27, v36 offset:16372
	s_wait_dscnt 0x0
	v_fmac_f32_e32 v2, v26, v27
	s_or_b32 exec_lo, exec_lo, s65
	s_and_saveexec_b32 s65, s18
	s_cbranch_execz .LBB17_88
.LBB17_1208:                            ;   in Loop: Header=BB17_3 Depth=1
	ds_load_b32 v26, v37 offset:16096
	ds_load_b32 v27, v36 offset:16376
	s_wait_dscnt 0x0
	v_fmac_f32_e32 v2, v26, v27
	s_or_b32 exec_lo, exec_lo, s65
	s_and_saveexec_b32 s65, s0
	s_cbranch_execnz .LBB17_89
	s_branch .LBB17_90
.LBB17_1209:                            ;   in Loop: Header=BB17_3 Depth=1
	ds_load_b32 v26, v45 offset:14784
	ds_load_b32 v27, v44 offset:16356
	s_wait_dscnt 0x0
	v_fmac_f32_e32 v2, v26, v27
	s_or_b32 exec_lo, exec_lo, s65
	s_and_saveexec_b32 s65, s20
	s_cbranch_execz .LBB17_130
.LBB17_1210:                            ;   in Loop: Header=BB17_3 Depth=1
	ds_load_b32 v26, v45 offset:15040
	ds_load_b32 v27, v44 offset:16360
	s_wait_dscnt 0x0
	v_fmac_f32_e32 v2, v26, v27
	s_or_b32 exec_lo, exec_lo, s65
	s_and_saveexec_b32 s65, s21
	s_cbranch_execz .LBB17_131
.LBB17_1211:                            ;   in Loop: Header=BB17_3 Depth=1
	ds_load_b32 v26, v45 offset:15296
	ds_load_b32 v27, v44 offset:16364
	s_wait_dscnt 0x0
	v_fmac_f32_e32 v2, v26, v27
	s_or_b32 exec_lo, exec_lo, s65
	s_and_saveexec_b32 s65, s22
	s_cbranch_execz .LBB17_132
.LBB17_1212:                            ;   in Loop: Header=BB17_3 Depth=1
	ds_load_b32 v26, v45 offset:15552
	ds_load_b32 v27, v44 offset:16368
	s_wait_dscnt 0x0
	v_fmac_f32_e32 v2, v26, v27
	s_or_b32 exec_lo, exec_lo, s65
	s_and_saveexec_b32 s65, s23
	s_cbranch_execz .LBB17_133
.LBB17_1213:                            ;   in Loop: Header=BB17_3 Depth=1
	ds_load_b32 v26, v45 offset:15808
	ds_load_b32 v27, v44 offset:16372
	s_wait_dscnt 0x0
	v_fmac_f32_e32 v2, v26, v27
	s_or_b32 exec_lo, exec_lo, s65
	s_and_saveexec_b32 s65, s2
	s_cbranch_execz .LBB17_134
.LBB17_1214:                            ;   in Loop: Header=BB17_3 Depth=1
	ds_load_b32 v26, v45 offset:16064
	ds_load_b32 v27, v44 offset:16376
	s_wait_dscnt 0x0
	v_fmac_f32_e32 v2, v26, v27
	s_or_b32 exec_lo, exec_lo, s65
	s_and_saveexec_b32 s65, s18
	s_cbranch_execnz .LBB17_135
	s_branch .LBB17_136
.LBB17_1215:                            ;   in Loop: Header=BB17_3 Depth=1
	ds_load_b32 v26, v37 offset:13760
	ds_load_b32 v27, v36 offset:14292
	s_wait_dscnt 0x0
	v_fmac_f32_e32 v2, v26, v27
	s_or_b32 exec_lo, exec_lo, s65
	s_and_saveexec_b32 s65, s18
	s_cbranch_execz .LBB17_192
.LBB17_1216:                            ;   in Loop: Header=BB17_3 Depth=1
	ds_load_b32 v26, v37 offset:14016
	ds_load_b32 v27, v36 offset:14296
	s_wait_dscnt 0x0
	v_fmac_f32_e32 v2, v26, v27
	s_or_b32 exec_lo, exec_lo, s65
	s_and_saveexec_b32 s65, s0
	s_cbranch_execnz .LBB17_193
	s_branch .LBB17_194
.LBB17_1217:                            ;   in Loop: Header=BB17_3 Depth=1
	ds_load_b32 v26, v52 offset:15232
	ds_load_b32 v27, v51 offset:16364
	s_wait_dscnt 0x0
	v_fmac_f32_e32 v2, v26, v27
	s_or_b32 exec_lo, exec_lo, s64
	s_and_saveexec_b32 s64, s3
	s_cbranch_execz .LBB17_254
.LBB17_1218:                            ;   in Loop: Header=BB17_3 Depth=1
	ds_load_b32 v26, v52 offset:15488
	ds_load_b32 v27, v51 offset:16368
	s_wait_dscnt 0x0
	v_fmac_f32_e32 v2, v26, v27
	s_or_b32 exec_lo, exec_lo, s64
	s_and_saveexec_b32 s64, s20
	s_cbranch_execz .LBB17_255
.LBB17_1219:                            ;   in Loop: Header=BB17_3 Depth=1
	ds_load_b32 v26, v52 offset:15744
	ds_load_b32 v27, v51 offset:16372
	s_wait_dscnt 0x0
	v_fmac_f32_e32 v2, v26, v27
	s_or_b32 exec_lo, exec_lo, s64
	s_and_saveexec_b32 s64, s22
	s_cbranch_execz .LBB17_256
.LBB17_1220:                            ;   in Loop: Header=BB17_3 Depth=1
	ds_load_b32 v26, v52 offset:16000
	ds_load_b32 v27, v51 offset:16376
	s_wait_dscnt 0x0
	v_fmac_f32_e32 v2, v26, v27
	s_or_b32 exec_lo, exec_lo, s64
	s_and_saveexec_b32 s64, s2
	s_cbranch_execnz .LBB17_257
	s_branch .LBB17_258
.LBB17_1221:                            ;   in Loop: Header=BB17_3 Depth=1
	ds_load_b32 v26, v37 offset:11680
	ds_load_b32 v27, v36 offset:12212
	s_wait_dscnt 0x0
	v_fmac_f32_e32 v2, v26, v27
	s_or_b32 exec_lo, exec_lo, s65
	s_and_saveexec_b32 s65, s18
	s_cbranch_execz .LBB17_346
.LBB17_1222:                            ;   in Loop: Header=BB17_3 Depth=1
	ds_load_b32 v26, v37 offset:11936
	ds_load_b32 v27, v36 offset:12216
	s_wait_dscnt 0x0
	v_fmac_f32_e32 v2, v26, v27
	s_or_b32 exec_lo, exec_lo, s65
	s_and_saveexec_b32 s65, s0
	s_cbranch_execnz .LBB17_347
	s_branch .LBB17_348
.LBB17_1223:                            ;   in Loop: Header=BB17_3 Depth=1
	ds_load_b32 v26, v45 offset:10624
	ds_load_b32 v27, v44 offset:12196
	s_wait_dscnt 0x0
	v_fmac_f32_e32 v2, v26, v27
	s_or_b32 exec_lo, exec_lo, s65
	s_and_saveexec_b32 s65, s20
	s_cbranch_execz .LBB17_388
.LBB17_1224:                            ;   in Loop: Header=BB17_3 Depth=1
	ds_load_b32 v26, v45 offset:10880
	ds_load_b32 v27, v44 offset:12200
	s_wait_dscnt 0x0
	v_fmac_f32_e32 v2, v26, v27
	s_or_b32 exec_lo, exec_lo, s65
	s_and_saveexec_b32 s65, s21
	s_cbranch_execz .LBB17_389
.LBB17_1225:                            ;   in Loop: Header=BB17_3 Depth=1
	ds_load_b32 v26, v45 offset:11136
	ds_load_b32 v27, v44 offset:12204
	s_wait_dscnt 0x0
	v_fmac_f32_e32 v2, v26, v27
	s_or_b32 exec_lo, exec_lo, s65
	s_and_saveexec_b32 s65, s22
	s_cbranch_execz .LBB17_390
.LBB17_1226:                            ;   in Loop: Header=BB17_3 Depth=1
	ds_load_b32 v26, v45 offset:11392
	ds_load_b32 v27, v44 offset:12208
	s_wait_dscnt 0x0
	v_fmac_f32_e32 v2, v26, v27
	s_or_b32 exec_lo, exec_lo, s65
	s_and_saveexec_b32 s65, s23
	s_cbranch_execz .LBB17_391
.LBB17_1227:                            ;   in Loop: Header=BB17_3 Depth=1
	ds_load_b32 v26, v45 offset:11648
	ds_load_b32 v27, v44 offset:12212
	s_wait_dscnt 0x0
	v_fmac_f32_e32 v2, v26, v27
	s_or_b32 exec_lo, exec_lo, s65
	s_and_saveexec_b32 s65, s2
	s_cbranch_execz .LBB17_392
.LBB17_1228:                            ;   in Loop: Header=BB17_3 Depth=1
	ds_load_b32 v26, v45 offset:11904
	ds_load_b32 v27, v44 offset:12216
	s_wait_dscnt 0x0
	v_fmac_f32_e32 v2, v26, v27
	s_or_b32 exec_lo, exec_lo, s65
	s_and_saveexec_b32 s65, s18
	s_cbranch_execnz .LBB17_393
	s_branch .LBB17_394
.LBB17_1229:                            ;   in Loop: Header=BB17_3 Depth=1
	ds_load_b32 v26, v37 offset:9600
	ds_load_b32 v27, v36 offset:10132
	s_wait_dscnt 0x0
	v_fmac_f32_e32 v2, v26, v27
	s_or_b32 exec_lo, exec_lo, s65
	s_and_saveexec_b32 s65, s18
	s_cbranch_execz .LBB17_450
.LBB17_1230:                            ;   in Loop: Header=BB17_3 Depth=1
	ds_load_b32 v26, v37 offset:9856
	ds_load_b32 v27, v36 offset:10136
	s_wait_dscnt 0x0
	v_fmac_f32_e32 v2, v26, v27
	s_or_b32 exec_lo, exec_lo, s65
	s_and_saveexec_b32 s65, s0
	s_cbranch_execnz .LBB17_451
	s_branch .LBB17_452
.LBB17_1231:                            ;   in Loop: Header=BB17_3 Depth=1
	ds_load_b32 v26, v60 offset:15616
	ds_load_b32 v27, v59 offset:16372
	s_wait_dscnt 0x0
	v_fmac_f32_e32 v2, v26, v27
	s_or_b32 exec_lo, exec_lo, s64
	s_and_saveexec_b32 s64, s3
	s_cbranch_execz .LBB17_548
.LBB17_1232:                            ;   in Loop: Header=BB17_3 Depth=1
	ds_load_b32 v26, v60 offset:15872
	ds_load_b32 v27, v59 offset:16376
	s_wait_dscnt 0x0
	v_fmac_f32_e32 v2, v26, v27
	s_or_b32 exec_lo, exec_lo, s64
	s_and_saveexec_b32 s64, s22
	s_cbranch_execnz .LBB17_549
	s_branch .LBB17_550
.LBB17_1233:                            ;   in Loop: Header=BB17_3 Depth=1
	ds_load_b32 v26, v37 offset:7520
	ds_load_b32 v27, v36 offset:8052
	s_wait_dscnt 0x0
	v_fmac_f32_e32 v2, v26, v27
	s_or_b32 exec_lo, exec_lo, s65
	s_and_saveexec_b32 s65, s18
	s_cbranch_execz .LBB17_702
.LBB17_1234:                            ;   in Loop: Header=BB17_3 Depth=1
	ds_load_b32 v26, v37 offset:7776
	ds_load_b32 v27, v36 offset:8056
	s_wait_dscnt 0x0
	v_fmac_f32_e32 v2, v26, v27
	s_or_b32 exec_lo, exec_lo, s65
	s_and_saveexec_b32 s65, s0
	s_cbranch_execnz .LBB17_703
	s_branch .LBB17_704
.LBB17_1235:                            ;   in Loop: Header=BB17_3 Depth=1
	ds_load_b32 v26, v45 offset:6464
	ds_load_b32 v27, v44 offset:8036
	s_wait_dscnt 0x0
	v_fmac_f32_e32 v2, v26, v27
	s_or_b32 exec_lo, exec_lo, s65
	s_and_saveexec_b32 s65, s20
	s_cbranch_execz .LBB17_744
.LBB17_1236:                            ;   in Loop: Header=BB17_3 Depth=1
	ds_load_b32 v26, v45 offset:6720
	ds_load_b32 v27, v44 offset:8040
	s_wait_dscnt 0x0
	v_fmac_f32_e32 v2, v26, v27
	s_or_b32 exec_lo, exec_lo, s65
	s_and_saveexec_b32 s65, s21
	s_cbranch_execz .LBB17_745
.LBB17_1237:                            ;   in Loop: Header=BB17_3 Depth=1
	ds_load_b32 v26, v45 offset:6976
	ds_load_b32 v27, v44 offset:8044
	s_wait_dscnt 0x0
	v_fmac_f32_e32 v2, v26, v27
	s_or_b32 exec_lo, exec_lo, s65
	s_and_saveexec_b32 s65, s22
	s_cbranch_execz .LBB17_746
.LBB17_1238:                            ;   in Loop: Header=BB17_3 Depth=1
	ds_load_b32 v26, v45 offset:7232
	ds_load_b32 v27, v44 offset:8048
	s_wait_dscnt 0x0
	v_fmac_f32_e32 v2, v26, v27
	s_or_b32 exec_lo, exec_lo, s65
	s_and_saveexec_b32 s65, s23
	s_cbranch_execz .LBB17_747
.LBB17_1239:                            ;   in Loop: Header=BB17_3 Depth=1
	ds_load_b32 v26, v45 offset:7488
	ds_load_b32 v27, v44 offset:8052
	s_wait_dscnt 0x0
	v_fmac_f32_e32 v2, v26, v27
	s_or_b32 exec_lo, exec_lo, s65
	s_and_saveexec_b32 s65, s2
	s_cbranch_execz .LBB17_748
.LBB17_1240:                            ;   in Loop: Header=BB17_3 Depth=1
	ds_load_b32 v26, v45 offset:7744
	ds_load_b32 v27, v44 offset:8056
	s_wait_dscnt 0x0
	v_fmac_f32_e32 v2, v26, v27
	s_or_b32 exec_lo, exec_lo, s65
	s_and_saveexec_b32 s65, s18
	s_cbranch_execnz .LBB17_749
	s_branch .LBB17_750
.LBB17_1241:                            ;   in Loop: Header=BB17_3 Depth=1
	ds_load_b32 v26, v37 offset:5440
	ds_load_b32 v27, v36 offset:5972
	s_wait_dscnt 0x0
	v_fmac_f32_e32 v2, v26, v27
	s_or_b32 exec_lo, exec_lo, s65
	s_and_saveexec_b32 s65, s18
	s_cbranch_execz .LBB17_806
.LBB17_1242:                            ;   in Loop: Header=BB17_3 Depth=1
	ds_load_b32 v26, v37 offset:5696
	ds_load_b32 v27, v36 offset:5976
	s_wait_dscnt 0x0
	v_fmac_f32_e32 v2, v26, v27
	s_or_b32 exec_lo, exec_lo, s65
	s_and_saveexec_b32 s65, s0
	s_cbranch_execnz .LBB17_807
	s_branch .LBB17_808
.LBB17_1243:                            ;   in Loop: Header=BB17_3 Depth=1
	ds_load_b32 v26, v52 offset:6912
	ds_load_b32 v27, v51 offset:8044
	s_wait_dscnt 0x0
	v_fmac_f32_e32 v2, v26, v27
	s_or_b32 exec_lo, exec_lo, s64
	s_and_saveexec_b32 s64, s3
	s_cbranch_execz .LBB17_868
.LBB17_1244:                            ;   in Loop: Header=BB17_3 Depth=1
	ds_load_b32 v26, v52 offset:7168
	ds_load_b32 v27, v51 offset:8048
	s_wait_dscnt 0x0
	v_fmac_f32_e32 v2, v26, v27
	s_or_b32 exec_lo, exec_lo, s64
	s_and_saveexec_b32 s64, s20
	s_cbranch_execz .LBB17_869
.LBB17_1245:                            ;   in Loop: Header=BB17_3 Depth=1
	ds_load_b32 v26, v52 offset:7424
	ds_load_b32 v27, v51 offset:8052
	s_wait_dscnt 0x0
	v_fmac_f32_e32 v2, v26, v27
	s_or_b32 exec_lo, exec_lo, s64
	s_and_saveexec_b32 s64, s22
	s_cbranch_execz .LBB17_870
.LBB17_1246:                            ;   in Loop: Header=BB17_3 Depth=1
	ds_load_b32 v26, v52 offset:7680
	ds_load_b32 v27, v51 offset:8056
	s_wait_dscnt 0x0
	v_fmac_f32_e32 v2, v26, v27
	s_or_b32 exec_lo, exec_lo, s64
	s_and_saveexec_b32 s64, s2
	s_cbranch_execnz .LBB17_871
	s_branch .LBB17_872
.LBB17_1247:                            ;   in Loop: Header=BB17_3 Depth=1
	ds_load_b32 v26, v37 offset:3360
	ds_load_b32 v27, v36 offset:3892
	s_wait_dscnt 0x0
	v_fmac_f32_e32 v2, v26, v27
	s_or_b32 exec_lo, exec_lo, s65
	s_and_saveexec_b32 s65, s18
	s_cbranch_execz .LBB17_960
.LBB17_1248:                            ;   in Loop: Header=BB17_3 Depth=1
	ds_load_b32 v26, v37 offset:3616
	ds_load_b32 v27, v36 offset:3896
	s_wait_dscnt 0x0
	v_fmac_f32_e32 v2, v26, v27
	s_or_b32 exec_lo, exec_lo, s65
	s_and_saveexec_b32 s65, s0
	s_cbranch_execnz .LBB17_961
	s_branch .LBB17_962
.LBB17_1249:                            ;   in Loop: Header=BB17_3 Depth=1
	ds_load_b32 v26, v45 offset:2304
	ds_load_b32 v27, v44 offset:3876
	s_wait_dscnt 0x0
	v_fmac_f32_e32 v2, v26, v27
	s_or_b32 exec_lo, exec_lo, s65
	s_and_saveexec_b32 s65, s20
	s_cbranch_execz .LBB17_1002
.LBB17_1250:                            ;   in Loop: Header=BB17_3 Depth=1
	ds_load_b32 v26, v45 offset:2560
	ds_load_b32 v27, v44 offset:3880
	s_wait_dscnt 0x0
	v_fmac_f32_e32 v2, v26, v27
	s_or_b32 exec_lo, exec_lo, s65
	s_and_saveexec_b32 s65, s21
	s_cbranch_execz .LBB17_1003
.LBB17_1251:                            ;   in Loop: Header=BB17_3 Depth=1
	ds_load_b32 v26, v45 offset:2816
	ds_load_b32 v27, v44 offset:3884
	s_wait_dscnt 0x0
	v_fmac_f32_e32 v2, v26, v27
	s_or_b32 exec_lo, exec_lo, s65
	s_and_saveexec_b32 s65, s22
	s_cbranch_execz .LBB17_1004
.LBB17_1252:                            ;   in Loop: Header=BB17_3 Depth=1
	ds_load_b32 v26, v45 offset:3072
	ds_load_b32 v27, v44 offset:3888
	s_wait_dscnt 0x0
	v_fmac_f32_e32 v2, v26, v27
	s_or_b32 exec_lo, exec_lo, s65
	s_and_saveexec_b32 s65, s23
	s_cbranch_execz .LBB17_1005
.LBB17_1253:                            ;   in Loop: Header=BB17_3 Depth=1
	ds_load_b32 v26, v45 offset:3328
	ds_load_b32 v27, v44 offset:3892
	s_wait_dscnt 0x0
	v_fmac_f32_e32 v2, v26, v27
	s_or_b32 exec_lo, exec_lo, s65
	s_and_saveexec_b32 s65, s2
	s_cbranch_execz .LBB17_1006
.LBB17_1254:                            ;   in Loop: Header=BB17_3 Depth=1
	ds_load_b32 v26, v45 offset:3584
	ds_load_b32 v27, v44 offset:3896
	s_wait_dscnt 0x0
	v_fmac_f32_e32 v2, v26, v27
	s_or_b32 exec_lo, exec_lo, s65
	s_and_saveexec_b32 s65, s18
	s_cbranch_execnz .LBB17_1007
	s_branch .LBB17_1008
.LBB17_1255:                            ;   in Loop: Header=BB17_3 Depth=1
	ds_load_b32 v26, v37 offset:1280
	ds_load_b32 v27, v36 offset:1812
	s_wait_dscnt 0x0
	v_fmac_f32_e32 v2, v26, v27
	s_or_b32 exec_lo, exec_lo, s65
	s_and_saveexec_b32 s65, s18
	s_cbranch_execz .LBB17_1064
.LBB17_1256:                            ;   in Loop: Header=BB17_3 Depth=1
	ds_load_b32 v26, v37 offset:1536
	ds_load_b32 v27, v36 offset:1816
	s_wait_dscnt 0x0
	v_fmac_f32_e32 v2, v26, v27
	s_or_b32 exec_lo, exec_lo, s65
	s_and_saveexec_b32 s65, s0
	s_cbranch_execnz .LBB17_1065
	s_branch .LBB17_1066
.LBB17_1257:
	s_endpgm
	.section	.rodata,"a",@progbits
	.p2align	6, 0x0
	.amdhsa_kernel _ZL19rocblas_trsv_deviceILi64ELi16ELb0ELb1ELb0ELb0EffPKfPfEviT7_lllT6_T8_lllPii
		.amdhsa_group_segment_fixed_size 20740
		.amdhsa_private_segment_fixed_size 0
		.amdhsa_kernarg_size 352
		.amdhsa_user_sgpr_count 2
		.amdhsa_user_sgpr_dispatch_ptr 0
		.amdhsa_user_sgpr_queue_ptr 0
		.amdhsa_user_sgpr_kernarg_segment_ptr 1
		.amdhsa_user_sgpr_dispatch_id 0
		.amdhsa_user_sgpr_kernarg_preload_length 0
		.amdhsa_user_sgpr_kernarg_preload_offset 0
		.amdhsa_user_sgpr_private_segment_size 0
		.amdhsa_wavefront_size32 1
		.amdhsa_uses_dynamic_stack 0
		.amdhsa_enable_private_segment 0
		.amdhsa_system_sgpr_workgroup_id_x 1
		.amdhsa_system_sgpr_workgroup_id_y 0
		.amdhsa_system_sgpr_workgroup_id_z 1
		.amdhsa_system_sgpr_workgroup_info 0
		.amdhsa_system_vgpr_workitem_id 1
		.amdhsa_next_free_vgpr 88
		.amdhsa_next_free_sgpr 105
		.amdhsa_named_barrier_count 0
		.amdhsa_reserve_vcc 1
		.amdhsa_float_round_mode_32 0
		.amdhsa_float_round_mode_16_64 0
		.amdhsa_float_denorm_mode_32 3
		.amdhsa_float_denorm_mode_16_64 3
		.amdhsa_fp16_overflow 0
		.amdhsa_memory_ordered 1
		.amdhsa_forward_progress 1
		.amdhsa_inst_pref_size 255
		.amdhsa_round_robin_scheduling 0
		.amdhsa_exception_fp_ieee_invalid_op 0
		.amdhsa_exception_fp_denorm_src 0
		.amdhsa_exception_fp_ieee_div_zero 0
		.amdhsa_exception_fp_ieee_overflow 0
		.amdhsa_exception_fp_ieee_underflow 0
		.amdhsa_exception_fp_ieee_inexact 0
		.amdhsa_exception_int_div_zero 0
	.end_amdhsa_kernel
	.section	.text._ZL19rocblas_trsv_deviceILi64ELi16ELb0ELb1ELb0ELb0EffPKfPfEviT7_lllT6_T8_lllPii,"axG",@progbits,_ZL19rocblas_trsv_deviceILi64ELi16ELb0ELb1ELb0ELb0EffPKfPfEviT7_lllT6_T8_lllPii,comdat
.Lfunc_end17:
	.size	_ZL19rocblas_trsv_deviceILi64ELi16ELb0ELb1ELb0ELb0EffPKfPfEviT7_lllT6_T8_lllPii, .Lfunc_end17-_ZL19rocblas_trsv_deviceILi64ELi16ELb0ELb1ELb0ELb0EffPKfPfEviT7_lllT6_T8_lllPii
                                        ; -- End function
	.set _ZL19rocblas_trsv_deviceILi64ELi16ELb0ELb1ELb0ELb0EffPKfPfEviT7_lllT6_T8_lllPii.num_vgpr, 88
	.set _ZL19rocblas_trsv_deviceILi64ELi16ELb0ELb1ELb0ELb0EffPKfPfEviT7_lllT6_T8_lllPii.num_agpr, 0
	.set _ZL19rocblas_trsv_deviceILi64ELi16ELb0ELb1ELb0ELb0EffPKfPfEviT7_lllT6_T8_lllPii.numbered_sgpr, 105
	.set _ZL19rocblas_trsv_deviceILi64ELi16ELb0ELb1ELb0ELb0EffPKfPfEviT7_lllT6_T8_lllPii.num_named_barrier, 0
	.set _ZL19rocblas_trsv_deviceILi64ELi16ELb0ELb1ELb0ELb0EffPKfPfEviT7_lllT6_T8_lllPii.private_seg_size, 0
	.set _ZL19rocblas_trsv_deviceILi64ELi16ELb0ELb1ELb0ELb0EffPKfPfEviT7_lllT6_T8_lllPii.uses_vcc, 1
	.set _ZL19rocblas_trsv_deviceILi64ELi16ELb0ELb1ELb0ELb0EffPKfPfEviT7_lllT6_T8_lllPii.uses_flat_scratch, 0
	.set _ZL19rocblas_trsv_deviceILi64ELi16ELb0ELb1ELb0ELb0EffPKfPfEviT7_lllT6_T8_lllPii.has_dyn_sized_stack, 0
	.set _ZL19rocblas_trsv_deviceILi64ELi16ELb0ELb1ELb0ELb0EffPKfPfEviT7_lllT6_T8_lllPii.has_recursion, 0
	.set _ZL19rocblas_trsv_deviceILi64ELi16ELb0ELb1ELb0ELb0EffPKfPfEviT7_lllT6_T8_lllPii.has_indirect_call, 0
	.section	.AMDGPU.csdata,"",@progbits
; Kernel info:
; codeLenInByte = 42604
; TotalNumSgprs: 107
; NumVgprs: 88
; ScratchSize: 0
; MemoryBound: 0
; FloatMode: 240
; IeeeMode: 1
; LDSByteSize: 20740 bytes/workgroup (compile time only)
; SGPRBlocks: 0
; VGPRBlocks: 5
; NumSGPRsForWavesPerEU: 107
; NumVGPRsForWavesPerEU: 88
; NamedBarCnt: 0
; Occupancy: 10
; WaveLimiterHint : 0
; COMPUTE_PGM_RSRC2:SCRATCH_EN: 0
; COMPUTE_PGM_RSRC2:USER_SGPR: 2
; COMPUTE_PGM_RSRC2:TRAP_HANDLER: 0
; COMPUTE_PGM_RSRC2:TGID_X_EN: 1
; COMPUTE_PGM_RSRC2:TGID_Y_EN: 0
; COMPUTE_PGM_RSRC2:TGID_Z_EN: 1
; COMPUTE_PGM_RSRC2:TIDIG_COMP_CNT: 1
	.section	.text._ZL19rocblas_trsv_deviceILi64ELi16ELb0ELb1ELb1ELb0EffPKfPfEviT7_lllT6_T8_lllPii,"axG",@progbits,_ZL19rocblas_trsv_deviceILi64ELi16ELb0ELb1ELb1ELb0EffPKfPfEviT7_lllT6_T8_lllPii,comdat
	.globl	_ZL19rocblas_trsv_deviceILi64ELi16ELb0ELb1ELb1ELb0EffPKfPfEviT7_lllT6_T8_lllPii ; -- Begin function _ZL19rocblas_trsv_deviceILi64ELi16ELb0ELb1ELb1ELb0EffPKfPfEviT7_lllT6_T8_lllPii
	.p2align	8
	.type	_ZL19rocblas_trsv_deviceILi64ELi16ELb0ELb1ELb1ELb0EffPKfPfEviT7_lllT6_T8_lllPii,@function
_ZL19rocblas_trsv_deviceILi64ELi16ELb0ELb1ELb1ELb0EffPKfPfEviT7_lllT6_T8_lllPii: ; @_ZL19rocblas_trsv_deviceILi64ELi16ELb0ELb1ELb1ELb0EffPKfPfEviT7_lllT6_T8_lllPii
; %bb.0:
	s_load_b32 s84, s[0:1], 0x58
	s_bfe_u32 s2, ttmp6, 0x40014
	s_lshr_b32 s3, ttmp7, 16
	s_add_co_i32 s2, s2, 1
	s_bfe_u32 s5, ttmp6, 0x40008
	s_mul_i32 s4, s3, s2
	s_getreg_b32 s2, hwreg(HW_REG_IB_STS2, 6, 4)
	s_add_co_i32 s5, s5, s4
	s_cmp_eq_u32 s2, 0
	s_mov_b32 s77, 0
	s_cselect_b32 s76, s3, s5
	s_wait_kmcnt 0x0
	s_cmp_ge_u32 s76, s84
	s_cbranch_scc1 .LBB18_1257
; %bb.1:
	s_clause 0x5
	s_load_b256 s[60:67], s[0:1], 0x8
	s_load_b256 s[68:75], s[0:1], 0x30
	s_load_b32 s3, s[0:1], 0x6c
	s_load_b32 s85, s[0:1], 0x0
	s_load_b64 s[78:79], s[0:1], 0x50
	s_load_b32 s4, s[0:1], 0x28
                                        ; kill: killed $sgpr0_sgpr1
	s_wait_xcnt 0x0
	s_bfe_u32 s1, ttmp6, 0x4000c
	s_and_b32 s0, ttmp6, 15
	s_add_co_i32 s1, s1, 1
                                        ; implicit-def: $vgpr87 : SGPR spill to VGPR lane
	v_bfe_u32 v28, v0, 10, 10
	s_mul_i32 s1, ttmp9, s1
	v_and_b32_e32 v4, 0x3ff, v0
	s_add_co_i32 s6, s0, s1
	v_mov_b32_e32 v3, 0
                                        ; implicit-def: $vgpr86 : SGPR spill to VGPR lane
                                        ; implicit-def: $vgpr85 : SGPR spill to VGPR lane
                                        ; implicit-def: $vgpr84 : SGPR spill to VGPR lane
                                        ; implicit-def: $vgpr76
                                        ; implicit-def: $vgpr77
	v_and_b32_e32 v14, 1, v0
	v_lshlrev_b32_e32 v72, 2, v28
	v_lshlrev_b32_e32 v1, 6, v4
	v_lshl_add_u32 v24, v28, 6, v4
	s_delay_alu instid0(VALU_DEP_4)
	v_dual_mov_b32 v5, v3 :: v_dual_lshlrev_b32 v31, 2, v14
	v_lshlrev_b32_e32 v32, 2, v4
	s_wait_kmcnt 0x0
	s_lshl_b64 s[0:1], s[62:63], 2
	v_add_nc_u32_e32 v2, v28, v1
	s_add_nc_u64 s[0:1], s[60:61], s[0:1]
	v_cmp_gt_u32_e64 s59, 0xf0, v24
	v_writelane_b32 v87, s4, 0
	s_lshl_b64 s[4:5], s[70:71], 2
	s_cmp_eq_u32 s2, 0
	s_add_nc_u64 s[4:5], s[68:69], s[4:5]
	s_cselect_b32 s87, ttmp9, s6
	s_and_b32 s2, s3, 0xffff
	s_add_co_i32 s3, s85, -1
	s_ashr_i32 s6, s85, 31
	s_ashr_i32 s7, s3, 31
	s_lshr_b32 s6, s6, 26
	s_lshr_b32 s7, s7, 26
	s_add_co_i32 s6, s85, s6
	s_add_co_i32 s3, s3, s7
	s_and_not1_b32 s6, s6, 63
	v_writelane_b32 v87, s0, 1
	s_ashr_i32 s3, s3, 6
	s_sub_co_i32 s15, s85, s6
	s_cmp_eq_u32 s3, s87
	v_mad_u32_u24 v6, v28, s2, v4
	v_writelane_b32 v87, s1, 2
	s_cselect_b32 s0, -1, 0
	s_cmp_lg_u32 s15, 0
	v_sub_co_u32 v29, s2, s87, 1
	s_cselect_b32 s1, -1, 0
	s_lshl_b32 s10, s87, 6
	s_delay_alu instid0(SALU_CYCLE_1)
	v_dual_mov_b32 v7, v3 :: v_dual_add_nc_u32 v18, s10, v28
	s_and_b32 s16, s1, s0
	v_add_nc_u32_e32 v16, s10, v4
	s_xor_b32 s88, s2, -1
	s_xor_b32 s89, s16, -1
	s_cmp_lt_i32 s87, 5
	v_subrev_nc_u32_e32 v8, 64, v18
	v_ashrrev_i32_e32 v17, 31, v16
	s_cselect_b32 vcc_lo, -1, 0
	v_dual_cndmask_b32 v68, v24, v2 :: v_dual_add_nc_u32 v25, 16, v28
	s_add_nc_u64 s[0:1], s[64:65], 1
	v_ashrrev_i32_e32 v9, 31, v8
	v_mad_nc_u64_u32 v[22:23], s0, s10, v[4:5]
	s_delay_alu instid0(VALU_DEP_3)
	v_add_nc_u32_e32 v5, v25, v1
	v_lshl_add_u32 v12, v25, 6, v4
	s_or_b32 vcc_lo, vcc_lo, s16
	v_lshrrev_b32_e32 v13, 1, v24
	v_cmp_eq_u32_e64 s2, 1, v14
	v_cmp_eq_u32_e64 s3, 0, v14
	v_cndmask_b32_e32 v27, v12, v5, vcc_lo
	s_ashr_i32 s11, s10, 31
	v_lshlrev_b32_e32 v2, 8, v13
	v_lshl_add_u32 v5, v13, 2, 0x4000
	v_lshlrev_b32_e32 v13, 6, v24
	s_mul_i32 s0, s0, s11
	s_mul_i32 s1, s1, s10
	v_sub_nc_u32_e32 v33, v31, v2
	v_writelane_b32 v87, s4, 3
	v_and_b32_e32 v13, 0xffffff00, v13
	v_and_b32_e32 v14, 3, v0
	v_add3_u32 v23, s0, s1, v23
	v_dual_lshrrev_b32 v12, 10, v0 :: v_dual_sub_nc_u32 v30, 0, v2
	v_cmp_gt_u32_e64 s0, 4, v24
	v_dual_sub_nc_u32 v36, 0, v13 :: v_dual_bitop2_b32 v2, -4, v24 bitop3:0x40
	v_dual_lshlrev_b32 v37, 2, v14 :: v_dual_add_nc_u32 v74, 32, v28
	v_writelane_b32 v87, s5, 4
	v_cmp_eq_u32_e64 s1, 0, v28
	v_cmp_gt_u32_e64 s4, 2, v4
	s_and_b32 s91, s2, s0
	s_and_b32 s92, s3, s0
	v_cmp_gt_u32_e64 s2, 16, v24
	v_dual_add_nc_u32 v75, 48, v28 :: v_dual_add_nc_u32 v20, v74, v1
	v_lshl_add_u32 v21, v74, 6, v4
	v_add_nc_u32_e32 v35, 0x4000, v2
	v_dual_lshrrev_b32 v2, 3, v24 :: v_dual_sub_nc_u32 v41, v37, v13
	v_cmp_eq_u32_e64 s3, 3, v14
	s_and_b32 s93, s1, s4
	v_cmp_ne_u32_e64 s4, 3, v14
	v_cmp_eq_u32_e64 s5, 2, v14
	v_cmp_gt_u32_e64 s6, 2, v14
	s_and_b32 s94, s3, s2
	v_cmp_eq_u32_e64 s3, 1, v14
	s_and_b32 s95, s4, s2
	v_cmp_eq_u32_e64 s4, 0, v14
	v_dual_lshlrev_b32 v13, 8, v2 :: v_dual_bitop2_b32 v14, 7, v0 bitop3:0x40
	s_and_b32 s98, s3, s2
	v_cmp_gt_u32_e64 s3, 4, v4
	s_and_b32 s96, s5, s2
	s_and_b32 s99, s4, s2
	v_cmp_eq_u32_e64 s4, 7, v14
	v_cmp_ne_u32_e64 s5, 7, v14
	s_and_b32 s100, s1, s3
	v_cmp_gt_u32_e64 s3, 64, v24
	s_and_b32 s97, s6, s2
	v_cmp_eq_u32_e64 s6, 6, v14
	v_lshl_add_u32 v43, v2, 2, 0x4000
	v_dual_sub_nc_u32 v44, 0, v13 :: v_dual_lshlrev_b32 v45, 2, v14
	s_and_b32 s101, s4, s3
	v_cmp_gt_u32_e64 s4, 6, v14
	s_and_b32 s102, s5, s3
	v_cmp_eq_u32_e64 s5, 5, v14
	s_and_b32 s103, s6, s3
	v_cmp_gt_u32_e64 s6, 5, v14
	s_and_b32 s104, s4, s3
	v_cmp_eq_u32_e64 s4, 4, v14
	s_and_b32 vcc_hi, s5, s3
	v_cmp_eq_u32_e64 s5, 3, v14
	v_cmp_gt_u32_e64 s7, 4, v14
	v_dual_lshrrev_b32 v2, 4, v24 :: v_dual_sub_nc_u32 v48, v45, v13
	s_and_b32 s37, s4, s3
	v_cmp_gt_u32_e64 s4, 3, v14
	s_and_b32 s39, s5, s3
	v_cmp_gt_u32_e64 s5, 2, v14
	s_and_b32 s36, s6, s3
	s_and_b32 s38, s7, s3
	v_cmp_eq_u32_e64 s6, 2, v14
	v_cmp_eq_u32_e64 s7, 1, v14
	s_and_b32 s40, s4, s3
	v_cmp_eq_u32_e64 s4, 0, v14
	s_and_b32 s42, s5, s3
	v_cmp_gt_u32_e64 s5, 8, v4
	v_dual_lshlrev_b32 v13, 8, v2 :: v_dual_bitop2_b32 v14, 15, v0 bitop3:0x40
	s_and_b32 s44, s4, s3
	v_cmp_gt_u32_e64 s4, 0x100, v24
	s_and_b32 s45, s1, s5
	s_and_b32 s41, s6, s3
	v_cmp_eq_u32_e64 s5, 15, v14
	v_cmp_ne_u32_e64 s6, 15, v14
	s_and_b32 s43, s7, s3
	v_cmp_eq_u32_e64 s7, 14, v14
	v_cmp_gt_u32_e64 s8, 14, v14
	s_and_b32 s46, s5, s4
	v_cmp_eq_u32_e64 s5, 13, v14
	s_and_b32 s47, s6, s4
	v_cmp_gt_u32_e64 s6, 13, v14
	s_and_b32 s48, s7, s4
	s_and_b32 s49, s8, s4
	s_and_b32 s50, s5, s4
	v_cmp_gt_u32_e64 s5, 12, v14
	s_and_b32 s51, s6, s4
	v_cmp_gt_u32_e64 s6, 11, v14
	v_cmp_eq_u32_e64 s7, 12, v14
	v_cmp_eq_u32_e64 s8, 11, v14
	s_and_b32 s53, s5, s4
	v_cmp_eq_u32_e64 s5, 10, v14
	s_and_b32 s55, s6, s4
	;; [unrolled: 2-line block ×3, first 2 shown]
	s_and_b32 s54, s8, s4
	s_and_b32 s56, s5, s4
	v_cmp_eq_u32_e64 s5, 8, v14
	s_and_b32 s58, s6, s4
	v_cmp_gt_u32_e64 s6, 8, v14
	v_cmp_gt_u32_e64 s7, 10, v14
	;; [unrolled: 1-line block ×3, first 2 shown]
	s_and_b32 s62, s5, s4
	v_cmp_gt_u32_e64 s5, 7, v14
	s_and_b32 s63, s6, s4
	v_cmp_gt_u32_e64 s6, 6, v14
	s_and_b32 s57, s7, s4
	s_and_b32 s61, s8, s4
	;; [unrolled: 1-line block ×3, first 2 shown]
	v_cmp_eq_u32_e64 s5, 5, v14
	v_cmp_eq_u32_e64 s7, 7, v14
	;; [unrolled: 1-line block ×3, first 2 shown]
	s_and_b32 s86, s6, s4
	v_cmp_eq_u32_e64 s6, 4, v14
	s_and_b32 s24, s5, s4
	v_cmp_eq_u32_e64 s5, 3, v14
	v_dual_sub_nc_u32 v51, 0, v13 :: v_dual_lshlrev_b32 v52, 2, v14
	s_and_b32 s12, s7, s4
	s_and_b32 s14, s8, s4
	v_cmp_gt_u32_e64 s7, 5, v14
	v_cmp_gt_u32_e64 s8, 4, v14
	s_and_b32 s28, s6, s4
	v_cmp_gt_u32_e64 s6, 3, v14
	s_and_b32 s33, s5, s4
	v_cmp_gt_u32_e64 s5, 2, v14
	v_dual_lshrrev_b32 v19, 5, v24 :: v_dual_add_nc_u32 v1, v75, v1
	v_lshl_add_u32 v53, v75, 6, v4
	v_and_b32_e32 v61, 31, v0
	s_xor_b32 s90, vcc_lo, -1
	s_and_b32 s26, s7, s4
	s_and_b32 s30, s8, s4
	v_cmp_eq_u32_e64 s7, 2, v14
	v_cmp_eq_u32_e64 s8, 1, v14
	s_and_b32 s35, s6, s4
	v_cmp_eq_u32_e64 s6, 0, v14
	s_and_b32 s27, s5, s4
	v_add_nc_u64_e32 v[14:15], s[10:11], v[6:7]
	v_sub_nc_u32_e32 v7, v52, v13
	v_cmp_gt_u32_e64 s5, 0x400, v24
	v_cndmask_b32_e32 v70, v21, v20, vcc_lo
	v_dual_cndmask_b32 v71, v53, v1, vcc_lo :: v_dual_lshlrev_b32 v1, 8, v19
	v_cmp_eq_u32_e32 vcc_lo, 31, v61
	s_and_b32 s25, s7, s4
	v_cmp_gt_u32_e64 s7, 16, v4
	s_and_b32 s11, s6, s4
	v_cmp_ne_u32_e64 s6, 31, v61
	s_and_b32 s9, vcc_lo, s5
	s_and_b32 s29, s8, s4
	v_writelane_b32 v87, s9, 5
	s_and_b32 s31, s1, s7
	v_cmp_eq_u32_e64 s7, 30, v61
	s_and_b32 s6, s6, s5
	v_cmp_gt_u32_e64 s8, 30, v61
	v_writelane_b32 v87, s6, 6
	v_cmp_eq_u32_e32 vcc_lo, 29, v61
	s_and_b32 s6, s7, s5
	v_lshl_add_u32 v50, v2, 2, 0x4000
	v_add_nc_u32_e32 v2, s10, v6
	v_writelane_b32 v87, s6, 7
	s_and_b32 s6, s8, s5
	s_and_b32 s10, vcc_lo, s5
	v_cmp_eq_u32_e64 s7, 28, v61
	v_cmp_gt_u32_e64 s8, 28, v61
	v_writelane_b32 v87, s6, 8
	v_cmp_gt_u32_e64 s6, 29, v61
	v_cmp_eq_u32_e64 s9, 27, v61
	v_cmp_gt_u32_e32 vcc_lo, 27, v61
	v_bitop3_b32 v78, v0, v12, 0x3ff bitop3:0xa8
	v_writelane_b32 v87, s10, 9
	s_and_b32 s6, s6, s5
	v_mul_u64_e32 v[12:13], s[72:73], v[2:3]
	v_subrev_nc_u32_e32 v2, 48, v18
	v_lshlrev_b32_e32 v60, 2, v61
	v_writelane_b32 v87, s6, 10
	s_and_b32 s6, s7, s5
	v_cmp_gt_i32_e64 s7, s85, v8
	v_lshl_add_u32 v53, v19, 2, 0x4000
	v_subrev_nc_u32_e32 v19, 32, v18
	v_writelane_b32 v87, s6, 11
	s_and_b32 s6, s8, s5
	v_or_b32_e32 v62, 0x5000, v72
	v_cmp_le_i32_e64 s10, s15, v75
	v_cmp_ne_u32_e64 s17, v4, v74
	v_writelane_b32 v87, s6, 12
	s_and_b32 s6, s9, s5
	v_add_nc_u32_e32 v67, v62, v32
	v_cmp_ne_u32_e64 s18, v4, v75
	v_mad_u32_u24 v34, 0xfc, v4, v32
	v_writelane_b32 v87, s6, 13
	s_and_b32 s6, vcc_lo, s5
	v_cmp_eq_u32_e32 vcc_lo, 26, v61
	v_mul_u64_e32 v[10:11], s[64:65], v[16:17]
	v_mad_i32_i24 v38, 0xffffff04, v4, v34
	v_writelane_b32 v87, s6, 14
	v_mul_i32_i24_e32 v73, 0xffffff04, v4
	s_and_b32 s6, vcc_lo, s5
	v_cmp_gt_u32_e32 vcc_lo, 26, v61
	v_mad_u32_u24 v39, 0xfc, v4, v38
	v_writelane_b32 v87, s6, 15
	v_sub_nc_u32_e32 v59, 0, v1
	v_mul_u64_e32 v[14:15], s[72:73], v[14:15]
	s_and_b32 s6, vcc_lo, s5
	v_cmp_eq_u32_e32 vcc_lo, 25, v61
	v_writelane_b32 v87, s6, 16
	v_mad_i32_i24 v40, 0xffffff04, v4, v39
	v_mul_lo_u32 v73, v73, 6
	v_mad_nc_u64_u32 v[20:21], s64, v74, v[22:23]
	s_and_b32 s6, vcc_lo, s5
	v_cmp_gt_u32_e32 vcc_lo, 25, v61
	v_writelane_b32 v87, s6, 17
	v_mad_u32_u24 v42, 0xfc, v4, v40
	v_mul_u32_u24_e32 v26, 0xfc, v4
	v_dual_lshlrev_b32 v68, 2, v68 :: v_dual_lshlrev_b32 v69, 2, v27
	s_and_b32 s6, vcc_lo, s5
	v_cmp_eq_u32_e32 vcc_lo, 24, v61
	v_writelane_b32 v87, s6, 18
	v_mad_i32_i24 v46, 0xffffff04, v4, v42
	v_mad_u32 v26, v26, 7, v73
	v_dual_lshlrev_b32 v71, 2, v71 :: v_dual_bitop2_b32 v27, v74, v4 bitop3:0x54
	s_and_b32 s6, vcc_lo, s5
	v_cmp_gt_u32_e32 vcc_lo, 24, v61
	v_writelane_b32 v87, s6, 19
	v_mad_u32_u24 v47, 0xfc, v4, v46
	v_mad_u32 v21, s65, v74, v21
	v_mul_u32_u24_e32 v73, 0xf8, v4
	s_and_b32 s6, vcc_lo, s5
	v_cmp_eq_u32_e32 vcc_lo, 23, v61
	v_writelane_b32 v87, s6, 20
	v_mad_i32_i24 v49, 0xffffff04, v4, v47
	v_dual_sub_nc_u32 v73, v26, v73 :: v_dual_bitop2_b32 v79, v75, v4 bitop3:0x54
	s_and_b32 s6, vcc_lo, s5
	v_cmp_gt_u32_e32 vcc_lo, 23, v61
	v_writelane_b32 v87, s6, 21
	v_mad_u32_u24 v54, 0xfc, v4, v49
	v_lshl_add_u32 v63, v6, 2, 0x5000
	v_lshl_add_u32 v64, v24, 2, 0x4000
	s_and_b32 s6, vcc_lo, s5
	v_cmp_eq_u32_e32 vcc_lo, 22, v61
	v_writelane_b32 v87, s6, 22
	v_mad_i32_i24 v55, 0xffffff04, v4, v54
	v_add_nc_u32_e32 v65, 0x4000, v32
	v_cmp_gt_u32_e64 s19, 56, v24
	s_and_b32 s6, vcc_lo, s5
	v_cmp_gt_u32_e32 vcc_lo, 22, v61
	v_writelane_b32 v87, s6, 23
	v_mad_u32_u24 v56, 0xfc, v4, v55
	v_lshl_add_u32 v66, v28, 8, v55
	v_cmp_gt_u32_e64 s20, 48, v24
	s_and_b32 s6, vcc_lo, s5
	v_cmp_eq_u32_e32 vcc_lo, 21, v61
	v_writelane_b32 v87, s6, 24
	v_mad_i32_i24 v57, 0xffffff04, v4, v56
	v_cmp_gt_u32_e64 s21, 40, v24
	v_cmp_gt_u32_e64 s22, 32, v24
	s_and_b32 s6, vcc_lo, s5
	v_cmp_gt_u32_e32 vcc_lo, 21, v61
	v_writelane_b32 v87, s6, 25
	v_mad_u32_u24 v58, 0xfc, v4, v57
	v_cmp_gt_u32_e64 s23, 24, v24
	v_cmp_gt_u32_e64 s60, 64, v6
	s_and_b32 s6, vcc_lo, s5
	v_cmp_eq_u32_e32 vcc_lo, 20, v61
	v_writelane_b32 v87, s6, 26
	v_dual_add_nc_u32 v72, v58, v72 :: v_dual_lshlrev_b32 v70, 2, v70
	s_and_b32 s6, vcc_lo, s5
	v_cmp_gt_u32_e32 vcc_lo, 20, v61
	v_writelane_b32 v87, s6, 27
	s_and_b32 s6, vcc_lo, s5
	v_cmp_eq_u32_e32 vcc_lo, 19, v61
	v_writelane_b32 v87, s6, 28
	s_and_b32 s6, vcc_lo, s5
	v_cmp_gt_u32_e32 vcc_lo, 19, v61
	v_writelane_b32 v87, s6, 29
	s_and_b32 s6, vcc_lo, s5
	v_cmp_eq_u32_e32 vcc_lo, 18, v61
	v_writelane_b32 v87, s6, 30
	;; [unrolled: 6-line block ×19, first 2 shown]
	s_and_b32 s6, vcc_lo, s5
	v_cmp_eq_u32_e32 vcc_lo, 0, v61
	v_writelane_b32 v85, s6, 1
	v_sub_nc_u32_e32 v61, v60, v1
	v_mul_u64_e32 v[0:1], s[72:73], v[16:17]
	s_and_b32 s34, vcc_lo, s5
	v_cmp_gt_u32_e32 vcc_lo, 32, v4
	s_and_b32 s6, s1, vcc_lo
	v_cmp_le_i32_e32 vcc_lo, s15, v4
	v_writelane_b32 v85, s6, 2
	s_and_b32 s6, vcc_lo, s16
	s_delay_alu instid0(SALU_CYCLE_1) | instskip(SKIP_1) | instid1(SALU_CYCLE_1)
	v_writelane_b32 v85, s6, 3
	s_xor_b32 s6, s6, -1
	s_and_b32 s70, s1, s6
	v_cmp_gt_i32_e64 s6, s15, v4
	s_cmp_gt_i32 s87, 0
	s_cselect_b32 s71, -1, 0
	s_and_b32 s6, s1, s6
	s_delay_alu instid0(SALU_CYCLE_1) | instskip(SKIP_3) | instid1(SALU_CYCLE_1)
	v_writelane_b32 v85, s6, 4
	v_cmp_gt_i32_e64 s6, s85, v16
	v_mad_nc_u64_u32 v[16:17], s64, v28, v[22:23]
	s_and_b32 s7, s7, s6
	v_writelane_b32 v85, s7, 5
	v_cmp_gt_i32_e64 s7, s85, v2
	v_add_nc_u32_e32 v2, -16, v18
	s_delay_alu instid0(VALU_DEP_4) | instskip(SKIP_1) | instid1(SALU_CYCLE_1)
	v_mad_u32 v17, s65, v28, v17
	s_and_b32 s7, s7, s6
	v_writelane_b32 v85, s7, 6
	v_cmp_gt_i32_e64 s7, s85, v19
	v_mad_nc_u64_u32 v[18:19], s64, v25, v[22:23]
	v_mad_nc_u64_u32 v[22:23], s64, v75, v[22:23]
	v_cmp_gt_u32_e64 s64, 64, v78
	s_and_b32 s7, s7, s6
	s_delay_alu instid0(SALU_CYCLE_1)
	v_writelane_b32 v85, s7, 7
	v_cmp_gt_i32_e64 s7, s85, v2
	v_or_b32_e32 v2, v25, v4
	v_mad_u32 v19, s65, v25, v19
	s_and_b32 s7, s7, s6
	v_mad_u32 v23, s65, v75, v23
	v_writelane_b32 v85, s7, 8
	v_cmp_le_i32_e64 s7, s15, v28
	s_or_b32 s8, s7, vcc_lo
	v_cmp_ge_u32_e64 s7, v4, v28
	s_or_b32 s8, s8, s7
	s_delay_alu instid0(SALU_CYCLE_1) | instskip(SKIP_4) | instid1(SALU_CYCLE_1)
	v_writelane_b32 v85, s8, 9
	v_cmp_le_i32_e64 s8, s15, v25
	s_or_b32 s9, s8, vcc_lo
	v_cmp_ge_u32_e64 s8, v4, v25
	s_or_b32 s9, s9, s8
	v_writelane_b32 v85, s9, 10
	v_cmp_le_i32_e64 s9, s15, v74
	s_or_b32 s16, s9, vcc_lo
	v_cmp_ge_u32_e64 s9, v4, v74
                                        ; implicit-def: $vgpr74
	s_or_b32 s15, s16, s9
	v_cmp_ne_u32_e64 s16, v4, v25
	v_writelane_b32 v85, s15, 11
	s_or_b32 s15, s10, vcc_lo
	v_cmp_ge_u32_e64 s10, v4, v75
                                        ; implicit-def: $vgpr75
	s_or_b32 s15, s15, s10
	s_delay_alu instid0(SALU_CYCLE_1) | instskip(SKIP_1) | instid1(VALU_DEP_1)
	v_writelane_b32 v85, s15, 12
	v_cmp_ne_u32_e64 s15, v4, v28
	v_writelane_b32 v85, s15, 13
	s_or_b32 s15, vcc_lo, s15
	s_delay_alu instid0(SALU_CYCLE_1)
	v_writelane_b32 v85, s15, 14
	s_or_b32 s15, vcc_lo, s16
	v_writelane_b32 v85, s16, 15
	v_cmp_gt_u32_e64 s16, 2, v24
	v_writelane_b32 v85, s15, 16
	s_or_b32 s15, vcc_lo, s17
	v_writelane_b32 v85, s17, 17
	v_cmp_gt_u32_e64 s17, 12, v24
	;; [unrolled: 4-line block ×3, first 2 shown]
	v_writelane_b32 v85, s15, 20
	v_cmp_eq_u32_e64 s15, 0, v78
	v_writelane_b32 v85, s59, 21
	v_cmp_gt_u32_e64 s59, 0xe0, v24
	s_delay_alu instid0(VALU_DEP_1) | instskip(SKIP_1) | instid1(VALU_DEP_1)
	v_writelane_b32 v85, s59, 22
	v_cmp_gt_u32_e64 s59, 0xd0, v24
	v_writelane_b32 v85, s59, 23
	v_cmp_gt_u32_e64 s59, 0xc0, v24
	s_delay_alu instid0(VALU_DEP_1) | instskip(SKIP_1) | instid1(VALU_DEP_1)
	v_writelane_b32 v85, s59, 24
	v_cmp_gt_u32_e64 s59, 0xb0, v24
	;; [unrolled: 5-line block ×16, first 2 shown]
	v_writelane_b32 v84, s59, 21
	v_cmp_gt_u32_e64 s59, 0x120, v24
	s_delay_alu instid0(VALU_DEP_1) | instskip(SKIP_3) | instid1(VALU_DEP_1)
	v_writelane_b32 v84, s59, 22
	v_cmp_eq_u32_e64 s59, 0, v6
	v_writelane_b32 v84, s64, 23
	v_cmp_gt_u32_e64 s64, 64, v2
	v_writelane_b32 v84, s64, 24
	v_cmp_gt_u32_e64 s64, 64, v27
	s_delay_alu instid0(VALU_DEP_1) | instskip(SKIP_1) | instid1(VALU_DEP_1)
	v_writelane_b32 v84, s64, 25
	v_cmp_gt_u32_e64 s64, 64, v79
	v_writelane_b32 v84, s64, 26
	s_branch .LBB18_3
.LBB18_2:                               ;   in Loop: Header=BB18_3 Depth=1
	s_wait_xcnt 0x0
	s_or_b32 exec_lo, exec_lo, s64
	s_add_co_i32 s76, s76, 0x10000
	global_wb scope:SCOPE_DEV
	s_wait_storecnt 0x0
	global_inv scope:SCOPE_DEV
	s_cmp_lt_u32 s76, s84
	s_cbranch_scc0 .LBB18_1257
.LBB18_3:                               ; =>This Loop Header: Depth=1
                                        ;     Child Loop BB18_1110 Depth 2
                                        ;       Child Loop BB18_1112 Depth 3
                                        ;     Child Loop BB18_1147 Depth 2
	v_readlane_b32 s68, v87, 1
	v_readlane_b32 s69, v87, 2
	s_mul_u64 s[64:65], s[66:67], s[76:77]
	s_and_not1_b32 vcc_lo, exec_lo, s88
	s_lshl_b64 s[64:65], s[64:65], 2
	s_delay_alu instid0(SALU_CYCLE_1) | instskip(NEXT) | instid1(SALU_CYCLE_1)
	s_add_nc_u64 s[80:81], s[68:69], s[64:65]
	v_lshl_add_u64 v[24:25], v[10:11], 2, s[80:81]
	s_cbranch_vccz .LBB18_6
; %bb.4:                                ;   in Loop: Header=BB18_3 Depth=1
	s_and_not1_b32 vcc_lo, exec_lo, s89
	s_mov_b32 s64, -1
	s_cbranch_vccz .LBB18_15
.LBB18_5:                               ;   in Loop: Header=BB18_3 Depth=1
	s_and_b32 vcc_lo, exec_lo, s64
	s_cbranch_vccnz .LBB18_25
	s_branch .LBB18_66
.LBB18_6:                               ;   in Loop: Header=BB18_3 Depth=1
	s_delay_alu instid0(VALU_DEP_1)
	v_lshl_add_u64 v[26:27], v[8:9], 2, v[24:25]
	v_dual_mov_b32 v75, 0 :: v_dual_mov_b32 v74, 0
	s_barrier_signal -1
	s_barrier_wait -1
	s_mov_b32 s64, exec_lo
	v_readlane_b32 s65, v85, 5
	s_and_b32 s65, s64, s65
	s_delay_alu instid0(SALU_CYCLE_1)
	s_mov_b32 exec_lo, s65
	s_cbranch_execz .LBB18_8
; %bb.7:                                ;   in Loop: Header=BB18_3 Depth=1
	global_load_b32 v74, v[26:27], off
.LBB18_8:                               ;   in Loop: Header=BB18_3 Depth=1
	s_wait_xcnt 0x0
	s_or_b32 exec_lo, exec_lo, s64
	s_wait_loadcnt 0x0
	s_barrier_signal -1
	s_barrier_wait -1
	s_mov_b32 s64, exec_lo
	v_readlane_b32 s65, v85, 6
	s_and_b32 s65, s64, s65
	s_delay_alu instid0(SALU_CYCLE_1)
	s_mov_b32 exec_lo, s65
	s_cbranch_execz .LBB18_10
; %bb.9:                                ;   in Loop: Header=BB18_3 Depth=1
	global_load_b32 v75, v[26:27], off offset:64
.LBB18_10:                              ;   in Loop: Header=BB18_3 Depth=1
	s_wait_xcnt 0x0
	s_or_b32 exec_lo, exec_lo, s64
	v_dual_mov_b32 v77, 0 :: v_dual_mov_b32 v76, 0
	s_wait_loadcnt 0x0
	s_barrier_signal -1
	s_barrier_wait -1
	s_mov_b32 s64, exec_lo
	v_readlane_b32 s65, v85, 7
	s_and_b32 s65, s64, s65
	s_delay_alu instid0(SALU_CYCLE_1)
	s_mov_b32 exec_lo, s65
	s_cbranch_execz .LBB18_12
; %bb.11:                               ;   in Loop: Header=BB18_3 Depth=1
	global_load_b32 v76, v[26:27], off offset:128
.LBB18_12:                              ;   in Loop: Header=BB18_3 Depth=1
	s_wait_xcnt 0x0
	s_or_b32 exec_lo, exec_lo, s64
	s_wait_loadcnt 0x0
	s_barrier_signal -1
	s_barrier_wait -1
	s_mov_b32 s64, exec_lo
	v_readlane_b32 s65, v85, 8
	s_and_b32 s65, s64, s65
	s_delay_alu instid0(SALU_CYCLE_1)
	s_mov_b32 exec_lo, s65
	s_cbranch_execz .LBB18_14
; %bb.13:                               ;   in Loop: Header=BB18_3 Depth=1
	global_load_b32 v77, v[26:27], off offset:192
.LBB18_14:                              ;   in Loop: Header=BB18_3 Depth=1
	s_wait_xcnt 0x0
	s_or_b32 exec_lo, exec_lo, s64
	s_delay_alu instid0(SALU_CYCLE_1)
	s_and_not1_b32 vcc_lo, exec_lo, s89
	s_mov_b32 s64, -1
	s_cbranch_vccnz .LBB18_5
.LBB18_15:                              ;   in Loop: Header=BB18_3 Depth=1
	s_and_saveexec_b32 s64, s7
	s_delay_alu instid0(SALU_CYCLE_1)
	s_xor_b32 s64, exec_lo, s64
	s_cbranch_execnz .LBB18_1168
; %bb.16:                               ;   in Loop: Header=BB18_3 Depth=1
	s_and_not1_saveexec_b32 s64, s64
	s_cbranch_execnz .LBB18_1175
.LBB18_17:                              ;   in Loop: Header=BB18_3 Depth=1
	s_or_b32 exec_lo, exec_lo, s64
	s_and_saveexec_b32 s64, s8
	s_delay_alu instid0(SALU_CYCLE_1)
	s_xor_b32 s64, exec_lo, s64
	s_cbranch_execnz .LBB18_1176
.LBB18_18:                              ;   in Loop: Header=BB18_3 Depth=1
	s_and_not1_saveexec_b32 s64, s64
	s_cbranch_execnz .LBB18_1183
.LBB18_19:                              ;   in Loop: Header=BB18_3 Depth=1
	s_or_b32 exec_lo, exec_lo, s64
	s_and_saveexec_b32 s64, s9
	s_delay_alu instid0(SALU_CYCLE_1)
	s_xor_b32 s64, exec_lo, s64
	s_cbranch_execnz .LBB18_1184
.LBB18_20:                              ;   in Loop: Header=BB18_3 Depth=1
	s_and_not1_saveexec_b32 s64, s64
	s_cbranch_execnz .LBB18_1191
.LBB18_21:                              ;   in Loop: Header=BB18_3 Depth=1
	s_or_b32 exec_lo, exec_lo, s64
	s_and_saveexec_b32 s64, s10
	s_delay_alu instid0(SALU_CYCLE_1)
	s_xor_b32 s64, exec_lo, s64
	s_cbranch_execnz .LBB18_1192
.LBB18_22:                              ;   in Loop: Header=BB18_3 Depth=1
	s_and_not1_saveexec_b32 s64, s64
	s_cbranch_execz .LBB18_24
.LBB18_23:                              ;   in Loop: Header=BB18_3 Depth=1
	v_lshl_add_u64 v[26:27], v[22:23], 2, s[80:81]
	global_load_b32 v2, v[26:27], off
	s_wait_loadcnt 0x0
	v_xor_b32_e32 v2, 0x80000000, v2
	ds_store_b32 v71, v2
.LBB18_24:                              ;   in Loop: Header=BB18_3 Depth=1
	s_or_b32 exec_lo, exec_lo, s64
	s_branch .LBB18_66
.LBB18_25:                              ;   in Loop: Header=BB18_3 Depth=1
	s_mov_b32 s64, exec_lo
	v_readlane_b32 s65, v85, 9
	s_and_b32 s65, s64, s65
	s_delay_alu instid0(SALU_CYCLE_1)
	s_xor_b32 s64, s65, s64
	s_mov_b32 exec_lo, s65
	s_cbranch_execz .LBB18_33
; %bb.26:                               ;   in Loop: Header=BB18_3 Depth=1
	s_mov_b32 s65, exec_lo
	v_readlane_b32 s68, v85, 14
	s_and_b32 s68, s65, s68
	s_delay_alu instid0(SALU_CYCLE_1)
	s_xor_b32 s65, s68, s65
	s_mov_b32 exec_lo, s68
	s_cbranch_execz .LBB18_30
; %bb.27:                               ;   in Loop: Header=BB18_3 Depth=1
	s_mov_b32 s68, exec_lo
	v_readlane_b32 s69, v84, 23
	s_and_b32 s69, s68, s69
	s_delay_alu instid0(SALU_CYCLE_1)
	s_mov_b32 exec_lo, s69
; %bb.28:                               ;   in Loop: Header=BB18_3 Depth=1
	ds_store_b32 v72, v3
; %bb.29:                               ;   in Loop: Header=BB18_3 Depth=1
	s_or_b32 exec_lo, exec_lo, s68
.LBB18_30:                              ;   in Loop: Header=BB18_3 Depth=1
	s_and_not1_saveexec_b32 s65, s65
	s_cbranch_execz .LBB18_32
; %bb.31:                               ;   in Loop: Header=BB18_3 Depth=1
	v_lshl_add_u64 v[26:27], v[16:17], 2, s[80:81]
	global_load_b32 v2, v[26:27], off
	s_wait_loadcnt 0x0
	v_div_scale_f32 v26, null, v2, v2, 1.0
	s_delay_alu instid0(VALU_DEP_1) | instskip(SKIP_1) | instid1(TRANS32_DEP_1)
	v_rcp_f32_e32 v27, v26
	v_nop
	v_fma_f32 v78, -v26, v27, 1.0
	s_delay_alu instid0(VALU_DEP_1) | instskip(SKIP_1) | instid1(VALU_DEP_1)
	v_fmac_f32_e32 v27, v78, v27
	v_div_scale_f32 v78, vcc_lo, 1.0, v2, 1.0
	v_mul_f32_e32 v79, v78, v27
	s_delay_alu instid0(VALU_DEP_1) | instskip(NEXT) | instid1(VALU_DEP_1)
	v_fma_f32 v80, -v26, v79, v78
	v_fmac_f32_e32 v79, v80, v27
	s_delay_alu instid0(VALU_DEP_1) | instskip(NEXT) | instid1(VALU_DEP_1)
	v_fma_f32 v26, -v26, v79, v78
	v_div_fmas_f32 v26, v26, v27, v79
	s_delay_alu instid0(VALU_DEP_1)
	v_div_fixup_f32 v2, v26, v2, 1.0
	ds_store_b32 v72, v2
.LBB18_32:                              ;   in Loop: Header=BB18_3 Depth=1
	s_or_b32 exec_lo, exec_lo, s65
.LBB18_33:                              ;   in Loop: Header=BB18_3 Depth=1
	s_and_not1_saveexec_b32 s64, s64
	s_cbranch_execz .LBB18_35
; %bb.34:                               ;   in Loop: Header=BB18_3 Depth=1
	v_lshl_add_u64 v[26:27], v[16:17], 2, s[80:81]
	global_load_b32 v2, v[26:27], off
	s_wait_loadcnt 0x0
	v_xor_b32_e32 v2, 0x80000000, v2
	ds_store_b32 v72, v2
.LBB18_35:                              ;   in Loop: Header=BB18_3 Depth=1
	s_or_b32 exec_lo, exec_lo, s64
	s_delay_alu instid0(SALU_CYCLE_1) | instskip(SKIP_2) | instid1(SALU_CYCLE_1)
	s_mov_b32 s64, exec_lo
	v_readlane_b32 s65, v85, 10
	s_and_b32 s65, s64, s65
	s_xor_b32 s64, s65, s64
	s_mov_b32 exec_lo, s65
	s_cbranch_execz .LBB18_43
; %bb.36:                               ;   in Loop: Header=BB18_3 Depth=1
	s_mov_b32 s65, exec_lo
	v_readlane_b32 s68, v85, 16
	s_and_b32 s68, s65, s68
	s_delay_alu instid0(SALU_CYCLE_1)
	s_xor_b32 s65, s68, s65
	s_mov_b32 exec_lo, s68
	s_cbranch_execz .LBB18_40
; %bb.37:                               ;   in Loop: Header=BB18_3 Depth=1
	s_mov_b32 s68, exec_lo
	v_readlane_b32 s69, v84, 24
	s_and_b32 s69, s68, s69
	s_delay_alu instid0(SALU_CYCLE_1)
	s_mov_b32 exec_lo, s69
; %bb.38:                               ;   in Loop: Header=BB18_3 Depth=1
	ds_store_b32 v69, v3
; %bb.39:                               ;   in Loop: Header=BB18_3 Depth=1
	s_or_b32 exec_lo, exec_lo, s68
.LBB18_40:                              ;   in Loop: Header=BB18_3 Depth=1
	s_and_not1_saveexec_b32 s65, s65
	s_cbranch_execz .LBB18_42
; %bb.41:                               ;   in Loop: Header=BB18_3 Depth=1
	v_lshl_add_u64 v[26:27], v[18:19], 2, s[80:81]
	global_load_b32 v2, v[26:27], off
	s_wait_loadcnt 0x0
	v_div_scale_f32 v26, null, v2, v2, 1.0
	s_delay_alu instid0(VALU_DEP_1) | instskip(SKIP_1) | instid1(TRANS32_DEP_1)
	v_rcp_f32_e32 v27, v26
	v_nop
	v_fma_f32 v78, -v26, v27, 1.0
	s_delay_alu instid0(VALU_DEP_1) | instskip(SKIP_1) | instid1(VALU_DEP_1)
	v_fmac_f32_e32 v27, v78, v27
	v_div_scale_f32 v78, vcc_lo, 1.0, v2, 1.0
	v_mul_f32_e32 v79, v78, v27
	s_delay_alu instid0(VALU_DEP_1) | instskip(NEXT) | instid1(VALU_DEP_1)
	v_fma_f32 v80, -v26, v79, v78
	v_fmac_f32_e32 v79, v80, v27
	s_delay_alu instid0(VALU_DEP_1) | instskip(NEXT) | instid1(VALU_DEP_1)
	v_fma_f32 v26, -v26, v79, v78
	v_div_fmas_f32 v26, v26, v27, v79
	s_delay_alu instid0(VALU_DEP_1)
	v_div_fixup_f32 v2, v26, v2, 1.0
	ds_store_b32 v69, v2
.LBB18_42:                              ;   in Loop: Header=BB18_3 Depth=1
	s_or_b32 exec_lo, exec_lo, s65
.LBB18_43:                              ;   in Loop: Header=BB18_3 Depth=1
	s_and_not1_saveexec_b32 s64, s64
	s_cbranch_execz .LBB18_45
; %bb.44:                               ;   in Loop: Header=BB18_3 Depth=1
	v_lshl_add_u64 v[26:27], v[18:19], 2, s[80:81]
	global_load_b32 v2, v[26:27], off
	s_wait_loadcnt 0x0
	v_xor_b32_e32 v2, 0x80000000, v2
	ds_store_b32 v69, v2
.LBB18_45:                              ;   in Loop: Header=BB18_3 Depth=1
	s_or_b32 exec_lo, exec_lo, s64
	s_delay_alu instid0(SALU_CYCLE_1) | instskip(SKIP_2) | instid1(SALU_CYCLE_1)
	s_mov_b32 s64, exec_lo
	v_readlane_b32 s65, v85, 11
	s_and_b32 s65, s64, s65
	;; [unrolled: 63-line block ×3, first 2 shown]
	s_xor_b32 s64, s65, s64
	s_mov_b32 exec_lo, s65
	s_cbranch_execz .LBB18_63
; %bb.56:                               ;   in Loop: Header=BB18_3 Depth=1
	s_mov_b32 s65, exec_lo
	v_readlane_b32 s68, v85, 20
	s_and_b32 s68, s65, s68
	s_delay_alu instid0(SALU_CYCLE_1)
	s_xor_b32 s65, s68, s65
	s_mov_b32 exec_lo, s68
	s_cbranch_execz .LBB18_60
; %bb.57:                               ;   in Loop: Header=BB18_3 Depth=1
	s_mov_b32 s68, exec_lo
	v_readlane_b32 s69, v84, 26
	s_and_b32 s69, s68, s69
	s_delay_alu instid0(SALU_CYCLE_1)
	s_mov_b32 exec_lo, s69
; %bb.58:                               ;   in Loop: Header=BB18_3 Depth=1
	ds_store_b32 v71, v3
; %bb.59:                               ;   in Loop: Header=BB18_3 Depth=1
	s_or_b32 exec_lo, exec_lo, s68
.LBB18_60:                              ;   in Loop: Header=BB18_3 Depth=1
	s_and_not1_saveexec_b32 s65, s65
	s_cbranch_execz .LBB18_62
; %bb.61:                               ;   in Loop: Header=BB18_3 Depth=1
	v_lshl_add_u64 v[26:27], v[22:23], 2, s[80:81]
	global_load_b32 v2, v[26:27], off
	s_wait_loadcnt 0x0
	v_div_scale_f32 v26, null, v2, v2, 1.0
	s_delay_alu instid0(VALU_DEP_1) | instskip(SKIP_1) | instid1(TRANS32_DEP_1)
	v_rcp_f32_e32 v27, v26
	v_nop
	v_fma_f32 v78, -v26, v27, 1.0
	s_delay_alu instid0(VALU_DEP_1) | instskip(SKIP_1) | instid1(VALU_DEP_1)
	v_fmac_f32_e32 v27, v78, v27
	v_div_scale_f32 v78, vcc_lo, 1.0, v2, 1.0
	v_mul_f32_e32 v79, v78, v27
	s_delay_alu instid0(VALU_DEP_1) | instskip(NEXT) | instid1(VALU_DEP_1)
	v_fma_f32 v80, -v26, v79, v78
	v_fmac_f32_e32 v79, v80, v27
	s_delay_alu instid0(VALU_DEP_1) | instskip(NEXT) | instid1(VALU_DEP_1)
	v_fma_f32 v26, -v26, v79, v78
	v_div_fmas_f32 v26, v26, v27, v79
	s_delay_alu instid0(VALU_DEP_1)
	v_div_fixup_f32 v2, v26, v2, 1.0
	ds_store_b32 v71, v2
.LBB18_62:                              ;   in Loop: Header=BB18_3 Depth=1
	s_or_b32 exec_lo, exec_lo, s65
.LBB18_63:                              ;   in Loop: Header=BB18_3 Depth=1
	s_and_not1_saveexec_b32 s64, s64
	s_cbranch_execz .LBB18_65
; %bb.64:                               ;   in Loop: Header=BB18_3 Depth=1
	v_lshl_add_u64 v[26:27], v[22:23], 2, s[80:81]
	global_load_b32 v2, v[26:27], off
	s_wait_loadcnt 0x0
	v_xor_b32_e32 v2, 0x80000000, v2
	ds_store_b32 v71, v2
.LBB18_65:                              ;   in Loop: Header=BB18_3 Depth=1
	s_or_b32 exec_lo, exec_lo, s64
.LBB18_66:                              ;   in Loop: Header=BB18_3 Depth=1
	s_delay_alu instid0(SALU_CYCLE_1)
	s_and_not1_b32 vcc_lo, exec_lo, s90
	s_wait_loadcnt_dscnt 0x0
	s_barrier_signal -1
	s_barrier_wait -1
	s_cbranch_vccnz .LBB18_1104
; %bb.67:                               ;   in Loop: Header=BB18_3 Depth=1
	s_and_saveexec_b32 s64, s15
	s_cbranch_execz .LBB18_69
; %bb.68:                               ;   in Loop: Header=BB18_3 Depth=1
	ds_load_b64 v[26:27], v3 offset:16376
	ds_load_b32 v2, v3 offset:16120
	s_wait_dscnt 0x0
	v_mul_f32_e32 v2, v2, v27
	s_delay_alu instid0(VALU_DEP_1)
	v_mul_f32_e32 v2, v26, v2
	v_add_nc_u32_e64 v26, 0x3c00, 0
	ds_store_2addr_b32 v26, v2, v2 offset0:191 offset1:254
.LBB18_69:                              ;   in Loop: Header=BB18_3 Depth=1
	s_or_b32 exec_lo, exec_lo, s64
	v_mov_b32_e32 v2, 0
	s_wait_dscnt 0x0
	s_barrier_signal -1
	s_barrier_wait -1
	global_wb scope:SCOPE_DEV
	s_wait_storecnt 0x0
	global_inv scope:SCOPE_DEV
	s_and_saveexec_b32 s64, s0
	s_cbranch_execz .LBB18_73
; %bb.70:                               ;   in Loop: Header=BB18_3 Depth=1
	ds_load_b32 v2, v31 offset:16112
	ds_load_b32 v26, v30 offset:16376
	s_wait_dscnt 0x0
	v_fma_f32 v2, v2, v26, 0
	s_and_saveexec_b32 s65, s16
	s_cbranch_execz .LBB18_72
; %bb.71:                               ;   in Loop: Header=BB18_3 Depth=1
	ds_load_b32 v26, v32 offset:16368
	ds_load_b32 v27, v3 offset:16380
	s_wait_dscnt 0x0
	v_fmac_f32_e32 v2, v26, v27
.LBB18_72:                              ;   in Loop: Header=BB18_3 Depth=1
	s_or_b32 exec_lo, exec_lo, s65
.LBB18_73:                              ;   in Loop: Header=BB18_3 Depth=1
	s_delay_alu instid0(SALU_CYCLE_1)
	s_or_b32 exec_lo, exec_lo, s64
	s_and_saveexec_b32 s64, s91
	s_cbranch_execz .LBB18_75
; %bb.74:                               ;   in Loop: Header=BB18_3 Depth=1
	ds_load_b32 v26, v3 offset:15860
	s_wait_dscnt 0x0
	v_mul_f32_e32 v2, v2, v26
	s_delay_alu instid0(VALU_DEP_1)
	v_xor_b32_e32 v26, 0x80000000, v2
	ds_store_b32 v5, v26
.LBB18_75:                              ;   in Loop: Header=BB18_3 Depth=1
	s_or_b32 exec_lo, exec_lo, s64
	s_wait_loadcnt_dscnt 0x0
	s_barrier_signal -1
	s_barrier_wait -1
	s_and_saveexec_b32 s64, s92
	s_cbranch_execz .LBB18_77
; %bb.76:                               ;   in Loop: Header=BB18_3 Depth=1
	ds_load_b32 v26, v3 offset:15856
	ds_load_b32 v27, v5
	s_wait_dscnt 0x0
	v_fma_f32 v2, -v26, v27, v2
.LBB18_77:                              ;   in Loop: Header=BB18_3 Depth=1
	s_or_b32 exec_lo, exec_lo, s64
	s_barrier_signal -1
	s_barrier_wait -1
	s_and_saveexec_b32 s64, s92
	s_cbranch_execz .LBB18_79
; %bb.78:                               ;   in Loop: Header=BB18_3 Depth=1
	ds_load_b32 v26, v3 offset:15600
	s_wait_dscnt 0x0
	v_mul_f32_e32 v2, v2, v26
	s_delay_alu instid0(VALU_DEP_1)
	v_xor_b32_e32 v26, 0x80000000, v2
	ds_store_b32 v5, v26
.LBB18_79:                              ;   in Loop: Header=BB18_3 Depth=1
	s_or_b32 exec_lo, exec_lo, s64
	s_wait_dscnt 0x0
	s_barrier_signal -1
	s_barrier_wait -1
	s_barrier_signal -1
	s_barrier_wait -1
	s_and_saveexec_b32 s64, s0
; %bb.80:                               ;   in Loop: Header=BB18_3 Depth=1
	ds_store_b32 v33, v2 offset:16368
; %bb.81:                               ;   in Loop: Header=BB18_3 Depth=1
	s_or_b32 exec_lo, exec_lo, s64
	s_wait_dscnt 0x0
	s_barrier_signal -1
	s_barrier_wait -1
	s_barrier_signal -1
	s_barrier_wait -1
	s_and_saveexec_b32 s64, s93
	s_cbranch_execz .LBB18_83
; %bb.82:                               ;   in Loop: Header=BB18_3 Depth=1
	ds_load_b32 v2, v34 offset:16112
	s_wait_dscnt 0x0
	ds_store_b32 v32, v2 offset:15608
	ds_load_b32 v2, v34 offset:16116
	s_wait_dscnt 0x0
	ds_store_b32 v32, v2 offset:15864
.LBB18_83:                              ;   in Loop: Header=BB18_3 Depth=1
	s_or_b32 exec_lo, exec_lo, s64
	s_wait_dscnt 0x0
	s_barrier_signal -1
	s_barrier_wait -1
	s_and_saveexec_b32 s64, s15
	s_cbranch_execz .LBB18_85
; %bb.84:                               ;   in Loop: Header=BB18_3 Depth=1
	ds_load_b64 v[26:27], v3 offset:15856
	ds_load_b32 v2, v3 offset:15600
	s_wait_dscnt 0x0
	v_mul_f32_e32 v2, v2, v27
	s_delay_alu instid0(VALU_DEP_1)
	v_mul_f32_e32 v2, v26, v2
	v_add_nc_u32_e64 v26, 0x3c00, 0
	ds_store_2addr_b32 v26, v2, v2 offset0:61 offset1:124
.LBB18_85:                              ;   in Loop: Header=BB18_3 Depth=1
	s_or_b32 exec_lo, exec_lo, s64
	v_mov_b32_e32 v2, 0
	s_wait_dscnt 0x0
	s_barrier_signal -1
	s_barrier_wait -1
	global_wb scope:SCOPE_DEV
	s_wait_storecnt 0x0
	global_inv scope:SCOPE_DEV
	s_and_saveexec_b32 s64, s2
	s_cbranch_execz .LBB18_91
; %bb.86:                               ;   in Loop: Header=BB18_3 Depth=1
	ds_load_b32 v2, v37 offset:15584
	ds_load_b32 v26, v36 offset:16368
	s_wait_dscnt 0x0
	v_fma_f32 v2, v2, v26, 0
	s_and_saveexec_b32 s65, s17
	s_cbranch_execnz .LBB18_1207
; %bb.87:                               ;   in Loop: Header=BB18_3 Depth=1
	s_or_b32 exec_lo, exec_lo, s65
	s_and_saveexec_b32 s65, s18
	s_cbranch_execnz .LBB18_1208
.LBB18_88:                              ;   in Loop: Header=BB18_3 Depth=1
	s_or_b32 exec_lo, exec_lo, s65
	s_and_saveexec_b32 s65, s0
	s_cbranch_execz .LBB18_90
.LBB18_89:                              ;   in Loop: Header=BB18_3 Depth=1
	ds_load_b32 v26, v38 offset:16352
	ds_load_b32 v27, v3 offset:16380
	s_wait_dscnt 0x0
	v_fmac_f32_e32 v2, v26, v27
.LBB18_90:                              ;   in Loop: Header=BB18_3 Depth=1
	s_or_b32 exec_lo, exec_lo, s65
.LBB18_91:                              ;   in Loop: Header=BB18_3 Depth=1
	s_delay_alu instid0(SALU_CYCLE_1)
	s_or_b32 exec_lo, exec_lo, s64
	s_and_saveexec_b32 s64, s94
	s_cbranch_execz .LBB18_93
; %bb.92:                               ;   in Loop: Header=BB18_3 Depth=1
	ds_load_b32 v26, v3 offset:15340
	s_wait_dscnt 0x0
	v_mul_f32_e32 v2, v2, v26
	s_delay_alu instid0(VALU_DEP_1)
	v_xor_b32_e32 v26, 0x80000000, v2
	ds_store_b32 v35, v26
.LBB18_93:                              ;   in Loop: Header=BB18_3 Depth=1
	s_or_b32 exec_lo, exec_lo, s64
	s_wait_loadcnt_dscnt 0x0
	s_barrier_signal -1
	s_barrier_wait -1
	s_and_saveexec_b32 s64, s95
	s_cbranch_execz .LBB18_95
; %bb.94:                               ;   in Loop: Header=BB18_3 Depth=1
	ds_load_b32 v26, v37 offset:15328
	ds_load_b32 v27, v35
	s_wait_dscnt 0x0
	v_fma_f32 v2, -v26, v27, v2
.LBB18_95:                              ;   in Loop: Header=BB18_3 Depth=1
	s_or_b32 exec_lo, exec_lo, s64
	s_barrier_signal -1
	s_barrier_wait -1
	s_and_saveexec_b32 s64, s96
	s_cbranch_execz .LBB18_97
; %bb.96:                               ;   in Loop: Header=BB18_3 Depth=1
	ds_load_b32 v26, v3 offset:15080
	s_wait_dscnt 0x0
	v_mul_f32_e32 v2, v2, v26
	s_delay_alu instid0(VALU_DEP_1)
	v_xor_b32_e32 v26, 0x80000000, v2
	ds_store_b32 v35, v26
.LBB18_97:                              ;   in Loop: Header=BB18_3 Depth=1
	s_or_b32 exec_lo, exec_lo, s64
	s_wait_dscnt 0x0
	s_barrier_signal -1
	s_barrier_wait -1
	s_and_saveexec_b32 s64, s97
	s_cbranch_execz .LBB18_99
; %bb.98:                               ;   in Loop: Header=BB18_3 Depth=1
	ds_load_b32 v26, v37 offset:15072
	ds_load_b32 v27, v35
	s_wait_dscnt 0x0
	v_fma_f32 v2, -v26, v27, v2
.LBB18_99:                              ;   in Loop: Header=BB18_3 Depth=1
	s_or_b32 exec_lo, exec_lo, s64
	s_barrier_signal -1
	s_barrier_wait -1
	s_and_saveexec_b32 s64, s98
	s_cbranch_execz .LBB18_101
; %bb.100:                              ;   in Loop: Header=BB18_3 Depth=1
	ds_load_b32 v26, v3 offset:14820
	s_wait_dscnt 0x0
	v_mul_f32_e32 v2, v2, v26
	s_delay_alu instid0(VALU_DEP_1)
	v_xor_b32_e32 v26, 0x80000000, v2
	ds_store_b32 v35, v26
.LBB18_101:                             ;   in Loop: Header=BB18_3 Depth=1
	s_or_b32 exec_lo, exec_lo, s64
	s_wait_dscnt 0x0
	s_barrier_signal -1
	s_barrier_wait -1
	s_and_saveexec_b32 s64, s99
	s_cbranch_execz .LBB18_103
; %bb.102:                              ;   in Loop: Header=BB18_3 Depth=1
	ds_load_b32 v26, v3 offset:14816
	ds_load_b32 v27, v35
	s_wait_dscnt 0x0
	v_fma_f32 v2, -v26, v27, v2
.LBB18_103:                             ;   in Loop: Header=BB18_3 Depth=1
	s_or_b32 exec_lo, exec_lo, s64
	s_barrier_signal -1
	s_barrier_wait -1
	s_and_saveexec_b32 s64, s99
	s_cbranch_execz .LBB18_105
; %bb.104:                              ;   in Loop: Header=BB18_3 Depth=1
	ds_load_b32 v26, v3 offset:14560
	s_wait_dscnt 0x0
	v_mul_f32_e32 v2, v2, v26
	s_delay_alu instid0(VALU_DEP_1)
	v_xor_b32_e32 v26, 0x80000000, v2
	ds_store_b32 v35, v26
.LBB18_105:                             ;   in Loop: Header=BB18_3 Depth=1
	s_or_b32 exec_lo, exec_lo, s64
	s_wait_dscnt 0x0
	s_barrier_signal -1
	s_barrier_wait -1
	s_barrier_signal -1
	s_barrier_wait -1
	s_and_saveexec_b32 s64, s2
; %bb.106:                              ;   in Loop: Header=BB18_3 Depth=1
	ds_store_b32 v41, v2 offset:16352
; %bb.107:                              ;   in Loop: Header=BB18_3 Depth=1
	s_or_b32 exec_lo, exec_lo, s64
	s_wait_dscnt 0x0
	s_barrier_signal -1
	s_barrier_wait -1
	s_barrier_signal -1
	s_barrier_wait -1
	s_and_saveexec_b32 s64, s100
	s_cbranch_execz .LBB18_109
; %bb.108:                              ;   in Loop: Header=BB18_3 Depth=1
	ds_load_b32 v2, v39 offset:15584
	s_wait_dscnt 0x0
	ds_store_b32 v40, v2 offset:14576
	ds_load_b32 v2, v39 offset:15588
	s_wait_dscnt 0x0
	ds_store_b32 v40, v2 offset:14832
	;; [unrolled: 3-line block ×4, first 2 shown]
.LBB18_109:                             ;   in Loop: Header=BB18_3 Depth=1
	s_or_b32 exec_lo, exec_lo, s64
	s_wait_dscnt 0x0
	s_barrier_signal -1
	s_barrier_wait -1
	s_and_saveexec_b32 s64, s15
	s_cbranch_execz .LBB18_111
; %bb.110:                              ;   in Loop: Header=BB18_3 Depth=1
	ds_load_b64 v[26:27], v3 offset:15336
	ds_load_b32 v2, v3 offset:15080
	s_wait_dscnt 0x0
	v_mul_f32_e32 v2, v2, v27
	s_delay_alu instid0(VALU_DEP_1)
	v_mul_f32_e32 v2, v26, v2
	v_add_nc_u32_e64 v26, 0x3800, 0
	ds_store_2addr_b32 v26, v2, v2 offset0:187 offset1:250
.LBB18_111:                             ;   in Loop: Header=BB18_3 Depth=1
	s_or_b32 exec_lo, exec_lo, s64
	v_mov_b32_e32 v2, 0
	s_wait_dscnt 0x0
	s_barrier_signal -1
	s_barrier_wait -1
	global_wb scope:SCOPE_DEV
	s_wait_storecnt 0x0
	global_inv scope:SCOPE_DEV
	s_and_saveexec_b32 s64, s0
	s_cbranch_execz .LBB18_115
; %bb.112:                              ;   in Loop: Header=BB18_3 Depth=1
	ds_load_b32 v2, v31 offset:15072
	ds_load_b32 v26, v30 offset:15336
	s_wait_dscnt 0x0
	v_fma_f32 v2, v2, v26, 0
	s_and_saveexec_b32 s65, s16
	s_cbranch_execz .LBB18_114
; %bb.113:                              ;   in Loop: Header=BB18_3 Depth=1
	ds_load_b32 v26, v40 offset:15328
	ds_load_b32 v27, v3 offset:15340
	s_wait_dscnt 0x0
	v_fmac_f32_e32 v2, v26, v27
.LBB18_114:                             ;   in Loop: Header=BB18_3 Depth=1
	s_or_b32 exec_lo, exec_lo, s65
.LBB18_115:                             ;   in Loop: Header=BB18_3 Depth=1
	s_delay_alu instid0(SALU_CYCLE_1)
	s_or_b32 exec_lo, exec_lo, s64
	s_and_saveexec_b32 s64, s91
	s_cbranch_execz .LBB18_117
; %bb.116:                              ;   in Loop: Header=BB18_3 Depth=1
	ds_load_b32 v26, v3 offset:14820
	s_wait_dscnt 0x0
	v_mul_f32_e32 v2, v2, v26
	s_delay_alu instid0(VALU_DEP_1)
	v_xor_b32_e32 v26, 0x80000000, v2
	ds_store_b32 v5, v26
.LBB18_117:                             ;   in Loop: Header=BB18_3 Depth=1
	s_or_b32 exec_lo, exec_lo, s64
	s_wait_loadcnt_dscnt 0x0
	s_barrier_signal -1
	s_barrier_wait -1
	s_and_saveexec_b32 s64, s92
	s_cbranch_execz .LBB18_119
; %bb.118:                              ;   in Loop: Header=BB18_3 Depth=1
	ds_load_b32 v26, v3 offset:14816
	ds_load_b32 v27, v5
	s_wait_dscnt 0x0
	v_fma_f32 v2, -v26, v27, v2
.LBB18_119:                             ;   in Loop: Header=BB18_3 Depth=1
	s_or_b32 exec_lo, exec_lo, s64
	s_barrier_signal -1
	s_barrier_wait -1
	s_and_saveexec_b32 s64, s92
	s_cbranch_execz .LBB18_121
; %bb.120:                              ;   in Loop: Header=BB18_3 Depth=1
	ds_load_b32 v26, v3 offset:14560
	s_wait_dscnt 0x0
	v_mul_f32_e32 v2, v2, v26
	s_delay_alu instid0(VALU_DEP_1)
	v_xor_b32_e32 v26, 0x80000000, v2
	ds_store_b32 v5, v26
.LBB18_121:                             ;   in Loop: Header=BB18_3 Depth=1
	s_or_b32 exec_lo, exec_lo, s64
	s_wait_dscnt 0x0
	s_barrier_signal -1
	s_barrier_wait -1
	s_barrier_signal -1
	s_barrier_wait -1
	s_and_saveexec_b32 s64, s0
; %bb.122:                              ;   in Loop: Header=BB18_3 Depth=1
	ds_store_b32 v33, v2 offset:15328
; %bb.123:                              ;   in Loop: Header=BB18_3 Depth=1
	s_or_b32 exec_lo, exec_lo, s64
	s_wait_dscnt 0x0
	s_barrier_signal -1
	s_barrier_wait -1
	s_barrier_signal -1
	s_barrier_wait -1
	s_and_saveexec_b32 s64, s93
	s_cbranch_execz .LBB18_125
; %bb.124:                              ;   in Loop: Header=BB18_3 Depth=1
	ds_load_b32 v2, v42 offset:15072
	s_wait_dscnt 0x0
	ds_store_b32 v40, v2 offset:14568
	ds_load_b32 v2, v42 offset:15076
	s_wait_dscnt 0x0
	ds_store_b32 v40, v2 offset:14824
.LBB18_125:                             ;   in Loop: Header=BB18_3 Depth=1
	s_or_b32 exec_lo, exec_lo, s64
	s_wait_dscnt 0x0
	s_barrier_signal -1
	s_barrier_wait -1
	s_and_saveexec_b32 s64, s15
	s_cbranch_execz .LBB18_127
; %bb.126:                              ;   in Loop: Header=BB18_3 Depth=1
	ds_load_b64 v[26:27], v3 offset:14816
	ds_load_b32 v2, v3 offset:14560
	s_wait_dscnt 0x0
	v_mul_f32_e32 v2, v2, v27
	s_delay_alu instid0(VALU_DEP_1)
	v_mul_f32_e32 v2, v26, v2
	v_add_nc_u32_e64 v26, 0x3800, 0
	ds_store_2addr_b32 v26, v2, v2 offset0:57 offset1:120
.LBB18_127:                             ;   in Loop: Header=BB18_3 Depth=1
	s_or_b32 exec_lo, exec_lo, s64
	v_mov_b32_e32 v2, 0
	s_wait_dscnt 0x0
	s_barrier_signal -1
	s_barrier_wait -1
	global_wb scope:SCOPE_DEV
	s_wait_storecnt 0x0
	global_inv scope:SCOPE_DEV
	s_and_saveexec_b32 s64, s3
	s_cbranch_execz .LBB18_137
; %bb.128:                              ;   in Loop: Header=BB18_3 Depth=1
	ds_load_b32 v2, v45 offset:14528
	ds_load_b32 v26, v44 offset:16352
	s_wait_dscnt 0x0
	v_fma_f32 v2, v2, v26, 0
	s_and_saveexec_b32 s65, s19
	s_cbranch_execnz .LBB18_1209
; %bb.129:                              ;   in Loop: Header=BB18_3 Depth=1
	s_or_b32 exec_lo, exec_lo, s65
	s_and_saveexec_b32 s65, s20
	s_cbranch_execnz .LBB18_1210
.LBB18_130:                             ;   in Loop: Header=BB18_3 Depth=1
	s_or_b32 exec_lo, exec_lo, s65
	s_and_saveexec_b32 s65, s21
	s_cbranch_execnz .LBB18_1211
.LBB18_131:                             ;   in Loop: Header=BB18_3 Depth=1
	s_or_b32 exec_lo, exec_lo, s65
	s_and_saveexec_b32 s65, s22
	s_cbranch_execnz .LBB18_1212
.LBB18_132:                             ;   in Loop: Header=BB18_3 Depth=1
	s_or_b32 exec_lo, exec_lo, s65
	s_and_saveexec_b32 s65, s23
	s_cbranch_execnz .LBB18_1213
.LBB18_133:                             ;   in Loop: Header=BB18_3 Depth=1
	s_or_b32 exec_lo, exec_lo, s65
	s_and_saveexec_b32 s65, s2
	s_cbranch_execnz .LBB18_1214
.LBB18_134:                             ;   in Loop: Header=BB18_3 Depth=1
	s_or_b32 exec_lo, exec_lo, s65
	s_and_saveexec_b32 s65, s18
	s_cbranch_execz .LBB18_136
.LBB18_135:                             ;   in Loop: Header=BB18_3 Depth=1
	ds_load_b32 v26, v46 offset:16320
	ds_load_b32 v27, v3 offset:16380
	s_wait_dscnt 0x0
	v_fmac_f32_e32 v2, v26, v27
.LBB18_136:                             ;   in Loop: Header=BB18_3 Depth=1
	s_or_b32 exec_lo, exec_lo, s65
.LBB18_137:                             ;   in Loop: Header=BB18_3 Depth=1
	s_delay_alu instid0(SALU_CYCLE_1)
	s_or_b32 exec_lo, exec_lo, s64
	s_and_saveexec_b32 s64, s101
	s_cbranch_execz .LBB18_139
; %bb.138:                              ;   in Loop: Header=BB18_3 Depth=1
	ds_load_b32 v26, v3 offset:14300
	s_wait_dscnt 0x0
	v_mul_f32_e32 v2, v2, v26
	s_delay_alu instid0(VALU_DEP_1)
	v_xor_b32_e32 v26, 0x80000000, v2
	ds_store_b32 v43, v26
.LBB18_139:                             ;   in Loop: Header=BB18_3 Depth=1
	s_or_b32 exec_lo, exec_lo, s64
	s_wait_loadcnt_dscnt 0x0
	s_barrier_signal -1
	s_barrier_wait -1
	s_and_saveexec_b32 s64, s102
	s_cbranch_execz .LBB18_141
; %bb.140:                              ;   in Loop: Header=BB18_3 Depth=1
	ds_load_b32 v26, v45 offset:14272
	ds_load_b32 v27, v43
	s_wait_dscnt 0x0
	v_fma_f32 v2, -v26, v27, v2
.LBB18_141:                             ;   in Loop: Header=BB18_3 Depth=1
	s_or_b32 exec_lo, exec_lo, s64
	s_barrier_signal -1
	s_barrier_wait -1
	s_and_saveexec_b32 s64, s103
	s_cbranch_execz .LBB18_143
; %bb.142:                              ;   in Loop: Header=BB18_3 Depth=1
	ds_load_b32 v26, v3 offset:14040
	s_wait_dscnt 0x0
	v_mul_f32_e32 v2, v2, v26
	s_delay_alu instid0(VALU_DEP_1)
	v_xor_b32_e32 v26, 0x80000000, v2
	ds_store_b32 v43, v26
.LBB18_143:                             ;   in Loop: Header=BB18_3 Depth=1
	s_or_b32 exec_lo, exec_lo, s64
	s_wait_dscnt 0x0
	s_barrier_signal -1
	s_barrier_wait -1
	s_and_saveexec_b32 s64, s104
	s_cbranch_execz .LBB18_145
; %bb.144:                              ;   in Loop: Header=BB18_3 Depth=1
	ds_load_b32 v26, v45 offset:14016
	ds_load_b32 v27, v43
	s_wait_dscnt 0x0
	v_fma_f32 v2, -v26, v27, v2
.LBB18_145:                             ;   in Loop: Header=BB18_3 Depth=1
	s_or_b32 exec_lo, exec_lo, s64
	s_barrier_signal -1
	s_barrier_wait -1
	s_and_saveexec_b32 s64, vcc_hi
	s_cbranch_execz .LBB18_147
; %bb.146:                              ;   in Loop: Header=BB18_3 Depth=1
	ds_load_b32 v26, v3 offset:13780
	s_wait_dscnt 0x0
	v_mul_f32_e32 v2, v2, v26
	s_delay_alu instid0(VALU_DEP_1)
	v_xor_b32_e32 v26, 0x80000000, v2
	ds_store_b32 v43, v26
.LBB18_147:                             ;   in Loop: Header=BB18_3 Depth=1
	s_or_b32 exec_lo, exec_lo, s64
	s_wait_dscnt 0x0
	s_barrier_signal -1
	s_barrier_wait -1
	s_and_saveexec_b32 s64, s36
	s_cbranch_execz .LBB18_149
; %bb.148:                              ;   in Loop: Header=BB18_3 Depth=1
	ds_load_b32 v26, v45 offset:13760
	ds_load_b32 v27, v43
	s_wait_dscnt 0x0
	v_fma_f32 v2, -v26, v27, v2
.LBB18_149:                             ;   in Loop: Header=BB18_3 Depth=1
	s_or_b32 exec_lo, exec_lo, s64
	s_barrier_signal -1
	s_barrier_wait -1
	s_and_saveexec_b32 s64, s37
	s_cbranch_execz .LBB18_151
; %bb.150:                              ;   in Loop: Header=BB18_3 Depth=1
	ds_load_b32 v26, v3 offset:13520
	s_wait_dscnt 0x0
	v_mul_f32_e32 v2, v2, v26
	s_delay_alu instid0(VALU_DEP_1)
	v_xor_b32_e32 v26, 0x80000000, v2
	ds_store_b32 v43, v26
.LBB18_151:                             ;   in Loop: Header=BB18_3 Depth=1
	s_or_b32 exec_lo, exec_lo, s64
	s_wait_dscnt 0x0
	s_barrier_signal -1
	s_barrier_wait -1
	s_and_saveexec_b32 s64, s38
	s_cbranch_execz .LBB18_153
; %bb.152:                              ;   in Loop: Header=BB18_3 Depth=1
	ds_load_b32 v26, v45 offset:13504
	ds_load_b32 v27, v43
	s_wait_dscnt 0x0
	v_fma_f32 v2, -v26, v27, v2
.LBB18_153:                             ;   in Loop: Header=BB18_3 Depth=1
	s_or_b32 exec_lo, exec_lo, s64
	s_barrier_signal -1
	s_barrier_wait -1
	s_and_saveexec_b32 s64, s39
	;; [unrolled: 25-line block ×5, first 2 shown]
	s_cbranch_execz .LBB18_167
; %bb.166:                              ;   in Loop: Header=BB18_3 Depth=1
	ds_load_b32 v26, v3 offset:12480
	s_wait_dscnt 0x0
	v_mul_f32_e32 v2, v2, v26
	s_delay_alu instid0(VALU_DEP_1)
	v_xor_b32_e32 v26, 0x80000000, v2
	ds_store_b32 v43, v26
.LBB18_167:                             ;   in Loop: Header=BB18_3 Depth=1
	s_or_b32 exec_lo, exec_lo, s64
	s_wait_dscnt 0x0
	s_barrier_signal -1
	s_barrier_wait -1
	s_barrier_signal -1
	s_barrier_wait -1
	s_and_saveexec_b32 s64, s3
; %bb.168:                              ;   in Loop: Header=BB18_3 Depth=1
	ds_store_b32 v48, v2 offset:16320
; %bb.169:                              ;   in Loop: Header=BB18_3 Depth=1
	s_or_b32 exec_lo, exec_lo, s64
	s_wait_dscnt 0x0
	s_barrier_signal -1
	s_barrier_wait -1
	s_barrier_signal -1
	s_barrier_wait -1
	s_and_saveexec_b32 s64, s45
	s_cbranch_execz .LBB18_171
; %bb.170:                              ;   in Loop: Header=BB18_3 Depth=1
	ds_load_b32 v2, v47 offset:14528
	s_wait_dscnt 0x0
	ds_store_b32 v49, v2 offset:12512
	ds_load_b32 v2, v47 offset:14532
	s_wait_dscnt 0x0
	ds_store_b32 v49, v2 offset:12768
	;; [unrolled: 3-line block ×8, first 2 shown]
.LBB18_171:                             ;   in Loop: Header=BB18_3 Depth=1
	s_or_b32 exec_lo, exec_lo, s64
	s_wait_dscnt 0x0
	s_barrier_signal -1
	s_barrier_wait -1
	s_and_saveexec_b32 s64, s15
	s_cbranch_execz .LBB18_173
; %bb.172:                              ;   in Loop: Header=BB18_3 Depth=1
	ds_load_b64 v[26:27], v3 offset:14296
	ds_load_b32 v2, v3 offset:14040
	s_wait_dscnt 0x0
	v_mul_f32_e32 v2, v2, v27
	s_delay_alu instid0(VALU_DEP_1)
	v_mul_f32_e32 v2, v26, v2
	v_add_nc_u32_e64 v26, 0x3400, 0
	ds_store_2addr_b32 v26, v2, v2 offset0:183 offset1:246
.LBB18_173:                             ;   in Loop: Header=BB18_3 Depth=1
	s_or_b32 exec_lo, exec_lo, s64
	v_mov_b32_e32 v2, 0
	s_wait_dscnt 0x0
	s_barrier_signal -1
	s_barrier_wait -1
	global_wb scope:SCOPE_DEV
	s_wait_storecnt 0x0
	global_inv scope:SCOPE_DEV
	s_and_saveexec_b32 s64, s0
	s_cbranch_execz .LBB18_177
; %bb.174:                              ;   in Loop: Header=BB18_3 Depth=1
	ds_load_b32 v2, v31 offset:14032
	ds_load_b32 v26, v30 offset:14296
	s_wait_dscnt 0x0
	v_fma_f32 v2, v2, v26, 0
	s_and_saveexec_b32 s65, s16
	s_cbranch_execz .LBB18_176
; %bb.175:                              ;   in Loop: Header=BB18_3 Depth=1
	ds_load_b32 v26, v49 offset:14288
	ds_load_b32 v27, v3 offset:14300
	s_wait_dscnt 0x0
	v_fmac_f32_e32 v2, v26, v27
.LBB18_176:                             ;   in Loop: Header=BB18_3 Depth=1
	s_or_b32 exec_lo, exec_lo, s65
.LBB18_177:                             ;   in Loop: Header=BB18_3 Depth=1
	s_delay_alu instid0(SALU_CYCLE_1)
	s_or_b32 exec_lo, exec_lo, s64
	s_and_saveexec_b32 s64, s91
	s_cbranch_execz .LBB18_179
; %bb.178:                              ;   in Loop: Header=BB18_3 Depth=1
	ds_load_b32 v26, v3 offset:13780
	s_wait_dscnt 0x0
	v_mul_f32_e32 v2, v2, v26
	s_delay_alu instid0(VALU_DEP_1)
	v_xor_b32_e32 v26, 0x80000000, v2
	ds_store_b32 v5, v26
.LBB18_179:                             ;   in Loop: Header=BB18_3 Depth=1
	s_or_b32 exec_lo, exec_lo, s64
	s_wait_loadcnt_dscnt 0x0
	s_barrier_signal -1
	s_barrier_wait -1
	s_and_saveexec_b32 s64, s92
	s_cbranch_execz .LBB18_181
; %bb.180:                              ;   in Loop: Header=BB18_3 Depth=1
	ds_load_b32 v26, v3 offset:13776
	ds_load_b32 v27, v5
	s_wait_dscnt 0x0
	v_fma_f32 v2, -v26, v27, v2
.LBB18_181:                             ;   in Loop: Header=BB18_3 Depth=1
	s_or_b32 exec_lo, exec_lo, s64
	s_barrier_signal -1
	s_barrier_wait -1
	s_and_saveexec_b32 s64, s92
	s_cbranch_execz .LBB18_183
; %bb.182:                              ;   in Loop: Header=BB18_3 Depth=1
	ds_load_b32 v26, v3 offset:13520
	s_wait_dscnt 0x0
	v_mul_f32_e32 v2, v2, v26
	s_delay_alu instid0(VALU_DEP_1)
	v_xor_b32_e32 v26, 0x80000000, v2
	ds_store_b32 v5, v26
.LBB18_183:                             ;   in Loop: Header=BB18_3 Depth=1
	s_or_b32 exec_lo, exec_lo, s64
	s_wait_dscnt 0x0
	s_barrier_signal -1
	s_barrier_wait -1
	s_barrier_signal -1
	s_barrier_wait -1
	s_and_saveexec_b32 s64, s0
; %bb.184:                              ;   in Loop: Header=BB18_3 Depth=1
	ds_store_b32 v33, v2 offset:14288
; %bb.185:                              ;   in Loop: Header=BB18_3 Depth=1
	s_or_b32 exec_lo, exec_lo, s64
	s_wait_dscnt 0x0
	s_barrier_signal -1
	s_barrier_wait -1
	s_barrier_signal -1
	s_barrier_wait -1
	s_and_saveexec_b32 s64, s93
	s_cbranch_execz .LBB18_187
; %bb.186:                              ;   in Loop: Header=BB18_3 Depth=1
	ds_load_b32 v2, v54 offset:14032
	s_wait_dscnt 0x0
	ds_store_b32 v49, v2 offset:13528
	ds_load_b32 v2, v54 offset:14036
	s_wait_dscnt 0x0
	ds_store_b32 v49, v2 offset:13784
.LBB18_187:                             ;   in Loop: Header=BB18_3 Depth=1
	s_or_b32 exec_lo, exec_lo, s64
	s_wait_dscnt 0x0
	s_barrier_signal -1
	s_barrier_wait -1
	s_and_saveexec_b32 s64, s15
	s_cbranch_execz .LBB18_189
; %bb.188:                              ;   in Loop: Header=BB18_3 Depth=1
	ds_load_b64 v[26:27], v3 offset:13776
	ds_load_b32 v2, v3 offset:13520
	s_wait_dscnt 0x0
	v_mul_f32_e32 v2, v2, v27
	s_delay_alu instid0(VALU_DEP_1)
	v_mul_f32_e32 v2, v26, v2
	v_add_nc_u32_e64 v26, 0x3400, 0
	ds_store_2addr_b32 v26, v2, v2 offset0:53 offset1:116
.LBB18_189:                             ;   in Loop: Header=BB18_3 Depth=1
	s_or_b32 exec_lo, exec_lo, s64
	v_mov_b32_e32 v2, 0
	s_wait_dscnt 0x0
	s_barrier_signal -1
	s_barrier_wait -1
	global_wb scope:SCOPE_DEV
	s_wait_storecnt 0x0
	global_inv scope:SCOPE_DEV
	s_and_saveexec_b32 s64, s2
	s_cbranch_execz .LBB18_195
; %bb.190:                              ;   in Loop: Header=BB18_3 Depth=1
	ds_load_b32 v2, v37 offset:13504
	ds_load_b32 v26, v36 offset:14288
	s_wait_dscnt 0x0
	v_fma_f32 v2, v2, v26, 0
	s_and_saveexec_b32 s65, s17
	s_cbranch_execnz .LBB18_1215
; %bb.191:                              ;   in Loop: Header=BB18_3 Depth=1
	s_or_b32 exec_lo, exec_lo, s65
	s_and_saveexec_b32 s65, s18
	s_cbranch_execnz .LBB18_1216
.LBB18_192:                             ;   in Loop: Header=BB18_3 Depth=1
	s_or_b32 exec_lo, exec_lo, s65
	s_and_saveexec_b32 s65, s0
	s_cbranch_execz .LBB18_194
.LBB18_193:                             ;   in Loop: Header=BB18_3 Depth=1
	ds_load_b32 v26, v55 offset:14272
	ds_load_b32 v27, v3 offset:14300
	s_wait_dscnt 0x0
	v_fmac_f32_e32 v2, v26, v27
.LBB18_194:                             ;   in Loop: Header=BB18_3 Depth=1
	s_or_b32 exec_lo, exec_lo, s65
.LBB18_195:                             ;   in Loop: Header=BB18_3 Depth=1
	s_delay_alu instid0(SALU_CYCLE_1)
	s_or_b32 exec_lo, exec_lo, s64
	s_and_saveexec_b32 s64, s94
	s_cbranch_execz .LBB18_197
; %bb.196:                              ;   in Loop: Header=BB18_3 Depth=1
	ds_load_b32 v26, v3 offset:13260
	s_wait_dscnt 0x0
	v_mul_f32_e32 v2, v2, v26
	s_delay_alu instid0(VALU_DEP_1)
	v_xor_b32_e32 v26, 0x80000000, v2
	ds_store_b32 v35, v26
.LBB18_197:                             ;   in Loop: Header=BB18_3 Depth=1
	s_or_b32 exec_lo, exec_lo, s64
	s_wait_loadcnt_dscnt 0x0
	s_barrier_signal -1
	s_barrier_wait -1
	s_and_saveexec_b32 s64, s95
	s_cbranch_execz .LBB18_199
; %bb.198:                              ;   in Loop: Header=BB18_3 Depth=1
	ds_load_b32 v26, v37 offset:13248
	ds_load_b32 v27, v35
	s_wait_dscnt 0x0
	v_fma_f32 v2, -v26, v27, v2
.LBB18_199:                             ;   in Loop: Header=BB18_3 Depth=1
	s_or_b32 exec_lo, exec_lo, s64
	s_barrier_signal -1
	s_barrier_wait -1
	s_and_saveexec_b32 s64, s96
	s_cbranch_execz .LBB18_201
; %bb.200:                              ;   in Loop: Header=BB18_3 Depth=1
	ds_load_b32 v26, v3 offset:13000
	s_wait_dscnt 0x0
	v_mul_f32_e32 v2, v2, v26
	s_delay_alu instid0(VALU_DEP_1)
	v_xor_b32_e32 v26, 0x80000000, v2
	ds_store_b32 v35, v26
.LBB18_201:                             ;   in Loop: Header=BB18_3 Depth=1
	s_or_b32 exec_lo, exec_lo, s64
	s_wait_dscnt 0x0
	s_barrier_signal -1
	s_barrier_wait -1
	s_and_saveexec_b32 s64, s97
	s_cbranch_execz .LBB18_203
; %bb.202:                              ;   in Loop: Header=BB18_3 Depth=1
	ds_load_b32 v26, v37 offset:12992
	ds_load_b32 v27, v35
	s_wait_dscnt 0x0
	v_fma_f32 v2, -v26, v27, v2
.LBB18_203:                             ;   in Loop: Header=BB18_3 Depth=1
	s_or_b32 exec_lo, exec_lo, s64
	s_barrier_signal -1
	s_barrier_wait -1
	s_and_saveexec_b32 s64, s98
	s_cbranch_execz .LBB18_205
; %bb.204:                              ;   in Loop: Header=BB18_3 Depth=1
	ds_load_b32 v26, v3 offset:12740
	s_wait_dscnt 0x0
	v_mul_f32_e32 v2, v2, v26
	s_delay_alu instid0(VALU_DEP_1)
	v_xor_b32_e32 v26, 0x80000000, v2
	ds_store_b32 v35, v26
.LBB18_205:                             ;   in Loop: Header=BB18_3 Depth=1
	s_or_b32 exec_lo, exec_lo, s64
	s_wait_dscnt 0x0
	;; [unrolled: 25-line block ×3, first 2 shown]
	s_barrier_signal -1
	s_barrier_wait -1
	s_barrier_signal -1
	s_barrier_wait -1
	s_and_saveexec_b32 s64, s2
; %bb.210:                              ;   in Loop: Header=BB18_3 Depth=1
	ds_store_b32 v41, v2 offset:14272
; %bb.211:                              ;   in Loop: Header=BB18_3 Depth=1
	s_or_b32 exec_lo, exec_lo, s64
	s_wait_dscnt 0x0
	s_barrier_signal -1
	s_barrier_wait -1
	s_barrier_signal -1
	s_barrier_wait -1
	s_and_saveexec_b32 s64, s100
	s_cbranch_execz .LBB18_213
; %bb.212:                              ;   in Loop: Header=BB18_3 Depth=1
	ds_load_b32 v2, v56 offset:13504
	s_wait_dscnt 0x0
	ds_store_b32 v57, v2 offset:12496
	ds_load_b32 v2, v56 offset:13508
	s_wait_dscnt 0x0
	ds_store_b32 v57, v2 offset:12752
	;; [unrolled: 3-line block ×4, first 2 shown]
.LBB18_213:                             ;   in Loop: Header=BB18_3 Depth=1
	s_or_b32 exec_lo, exec_lo, s64
	s_wait_dscnt 0x0
	s_barrier_signal -1
	s_barrier_wait -1
	s_and_saveexec_b32 s64, s15
	s_cbranch_execz .LBB18_215
; %bb.214:                              ;   in Loop: Header=BB18_3 Depth=1
	ds_load_b64 v[26:27], v3 offset:13256
	ds_load_b32 v2, v3 offset:13000
	s_wait_dscnt 0x0
	v_mul_f32_e32 v2, v2, v27
	s_delay_alu instid0(VALU_DEP_1)
	v_mul_f32_e32 v2, v26, v2
	v_add_nc_u32_e64 v26, 0x3000, 0
	ds_store_2addr_b32 v26, v2, v2 offset0:179 offset1:242
.LBB18_215:                             ;   in Loop: Header=BB18_3 Depth=1
	s_or_b32 exec_lo, exec_lo, s64
	v_mov_b32_e32 v2, 0
	s_wait_dscnt 0x0
	s_barrier_signal -1
	s_barrier_wait -1
	global_wb scope:SCOPE_DEV
	s_wait_storecnt 0x0
	global_inv scope:SCOPE_DEV
	s_and_saveexec_b32 s64, s0
	s_cbranch_execz .LBB18_219
; %bb.216:                              ;   in Loop: Header=BB18_3 Depth=1
	ds_load_b32 v2, v31 offset:12992
	ds_load_b32 v26, v30 offset:13256
	s_wait_dscnt 0x0
	v_fma_f32 v2, v2, v26, 0
	s_and_saveexec_b32 s65, s16
	s_cbranch_execz .LBB18_218
; %bb.217:                              ;   in Loop: Header=BB18_3 Depth=1
	ds_load_b32 v26, v57 offset:13248
	ds_load_b32 v27, v3 offset:13260
	s_wait_dscnt 0x0
	v_fmac_f32_e32 v2, v26, v27
.LBB18_218:                             ;   in Loop: Header=BB18_3 Depth=1
	s_or_b32 exec_lo, exec_lo, s65
.LBB18_219:                             ;   in Loop: Header=BB18_3 Depth=1
	s_delay_alu instid0(SALU_CYCLE_1)
	s_or_b32 exec_lo, exec_lo, s64
	s_and_saveexec_b32 s64, s91
	s_cbranch_execz .LBB18_221
; %bb.220:                              ;   in Loop: Header=BB18_3 Depth=1
	ds_load_b32 v26, v3 offset:12740
	s_wait_dscnt 0x0
	v_mul_f32_e32 v2, v2, v26
	s_delay_alu instid0(VALU_DEP_1)
	v_xor_b32_e32 v26, 0x80000000, v2
	ds_store_b32 v5, v26
.LBB18_221:                             ;   in Loop: Header=BB18_3 Depth=1
	s_or_b32 exec_lo, exec_lo, s64
	s_wait_loadcnt_dscnt 0x0
	s_barrier_signal -1
	s_barrier_wait -1
	s_and_saveexec_b32 s64, s92
	s_cbranch_execz .LBB18_223
; %bb.222:                              ;   in Loop: Header=BB18_3 Depth=1
	ds_load_b32 v26, v3 offset:12736
	ds_load_b32 v27, v5
	s_wait_dscnt 0x0
	v_fma_f32 v2, -v26, v27, v2
.LBB18_223:                             ;   in Loop: Header=BB18_3 Depth=1
	s_or_b32 exec_lo, exec_lo, s64
	s_barrier_signal -1
	s_barrier_wait -1
	s_and_saveexec_b32 s64, s92
	s_cbranch_execz .LBB18_225
; %bb.224:                              ;   in Loop: Header=BB18_3 Depth=1
	ds_load_b32 v26, v3 offset:12480
	s_wait_dscnt 0x0
	v_mul_f32_e32 v2, v2, v26
	s_delay_alu instid0(VALU_DEP_1)
	v_xor_b32_e32 v26, 0x80000000, v2
	ds_store_b32 v5, v26
.LBB18_225:                             ;   in Loop: Header=BB18_3 Depth=1
	s_or_b32 exec_lo, exec_lo, s64
	s_wait_dscnt 0x0
	s_barrier_signal -1
	s_barrier_wait -1
	s_barrier_signal -1
	s_barrier_wait -1
	s_and_saveexec_b32 s64, s0
; %bb.226:                              ;   in Loop: Header=BB18_3 Depth=1
	ds_store_b32 v33, v2 offset:13248
; %bb.227:                              ;   in Loop: Header=BB18_3 Depth=1
	s_or_b32 exec_lo, exec_lo, s64
	s_wait_dscnt 0x0
	s_barrier_signal -1
	s_barrier_wait -1
	s_barrier_signal -1
	s_barrier_wait -1
	s_and_saveexec_b32 s64, s93
	s_cbranch_execz .LBB18_229
; %bb.228:                              ;   in Loop: Header=BB18_3 Depth=1
	ds_load_b32 v2, v58 offset:12992
	s_wait_dscnt 0x0
	ds_store_b32 v57, v2 offset:12488
	ds_load_b32 v2, v58 offset:12996
	s_wait_dscnt 0x0
	ds_store_b32 v57, v2 offset:12744
.LBB18_229:                             ;   in Loop: Header=BB18_3 Depth=1
	s_or_b32 exec_lo, exec_lo, s64
	s_wait_dscnt 0x0
	s_barrier_signal -1
	s_barrier_wait -1
	s_and_saveexec_b32 s64, s15
	s_cbranch_execz .LBB18_231
; %bb.230:                              ;   in Loop: Header=BB18_3 Depth=1
	ds_load_b64 v[26:27], v3 offset:12736
	ds_load_b32 v2, v3 offset:12480
	s_wait_dscnt 0x0
	v_mul_f32_e32 v2, v2, v27
	s_delay_alu instid0(VALU_DEP_1)
	v_mul_f32_e32 v2, v26, v2
	v_add_nc_u32_e64 v26, 0x3000, 0
	ds_store_2addr_b32 v26, v2, v2 offset0:49 offset1:112
.LBB18_231:                             ;   in Loop: Header=BB18_3 Depth=1
	s_or_b32 exec_lo, exec_lo, s64
	v_mov_b32_e32 v2, 0
	s_wait_dscnt 0x0
	s_barrier_signal -1
	s_barrier_wait -1
	global_wb scope:SCOPE_DEV
	s_wait_storecnt 0x0
	global_inv scope:SCOPE_DEV
	s_and_saveexec_b32 s65, s4
	s_cbranch_execz .LBB18_259
; %bb.232:                              ;   in Loop: Header=BB18_3 Depth=1
	ds_load_b32 v2, v52 offset:12416
	ds_load_b32 v26, v51 offset:16320
	s_wait_dscnt 0x0
	v_fma_f32 v2, v2, v26, 0
	s_mov_b32 s64, exec_lo
	v_readlane_b32 s68, v85, 21
	s_and_b32 s68, s64, s68
	s_delay_alu instid0(SALU_CYCLE_1)
	s_mov_b32 exec_lo, s68
	s_cbranch_execz .LBB18_234
; %bb.233:                              ;   in Loop: Header=BB18_3 Depth=1
	ds_load_b32 v26, v52 offset:12672
	ds_load_b32 v27, v51 offset:16324
	s_wait_dscnt 0x0
	v_fmac_f32_e32 v2, v26, v27
.LBB18_234:                             ;   in Loop: Header=BB18_3 Depth=1
	s_or_b32 exec_lo, exec_lo, s64
	s_delay_alu instid0(SALU_CYCLE_1) | instskip(SKIP_2) | instid1(SALU_CYCLE_1)
	s_mov_b32 s64, exec_lo
	v_readlane_b32 s68, v85, 22
	s_and_b32 s68, s64, s68
	s_mov_b32 exec_lo, s68
	s_cbranch_execz .LBB18_236
; %bb.235:                              ;   in Loop: Header=BB18_3 Depth=1
	ds_load_b32 v26, v52 offset:12928
	ds_load_b32 v27, v51 offset:16328
	s_wait_dscnt 0x0
	v_fmac_f32_e32 v2, v26, v27
.LBB18_236:                             ;   in Loop: Header=BB18_3 Depth=1
	s_or_b32 exec_lo, exec_lo, s64
	s_delay_alu instid0(SALU_CYCLE_1) | instskip(SKIP_2) | instid1(SALU_CYCLE_1)
	s_mov_b32 s64, exec_lo
	v_readlane_b32 s68, v85, 23
	s_and_b32 s68, s64, s68
	s_mov_b32 exec_lo, s68
	s_cbranch_execz .LBB18_238
; %bb.237:                              ;   in Loop: Header=BB18_3 Depth=1
	ds_load_b32 v26, v52 offset:13184
	ds_load_b32 v27, v51 offset:16332
	s_wait_dscnt 0x0
	v_fmac_f32_e32 v2, v26, v27
.LBB18_238:                             ;   in Loop: Header=BB18_3 Depth=1
	s_or_b32 exec_lo, exec_lo, s64
	s_delay_alu instid0(SALU_CYCLE_1) | instskip(SKIP_2) | instid1(SALU_CYCLE_1)
	s_mov_b32 s64, exec_lo
	v_readlane_b32 s68, v85, 24
	s_and_b32 s68, s64, s68
	s_mov_b32 exec_lo, s68
	s_cbranch_execz .LBB18_240
; %bb.239:                              ;   in Loop: Header=BB18_3 Depth=1
	ds_load_b32 v26, v52 offset:13440
	ds_load_b32 v27, v51 offset:16336
	s_wait_dscnt 0x0
	v_fmac_f32_e32 v2, v26, v27
.LBB18_240:                             ;   in Loop: Header=BB18_3 Depth=1
	s_or_b32 exec_lo, exec_lo, s64
	s_delay_alu instid0(SALU_CYCLE_1) | instskip(SKIP_2) | instid1(SALU_CYCLE_1)
	s_mov_b32 s64, exec_lo
	v_readlane_b32 s68, v85, 25
	s_and_b32 s68, s64, s68
	s_mov_b32 exec_lo, s68
	s_cbranch_execz .LBB18_242
; %bb.241:                              ;   in Loop: Header=BB18_3 Depth=1
	ds_load_b32 v26, v52 offset:13696
	ds_load_b32 v27, v51 offset:16340
	s_wait_dscnt 0x0
	v_fmac_f32_e32 v2, v26, v27
.LBB18_242:                             ;   in Loop: Header=BB18_3 Depth=1
	s_or_b32 exec_lo, exec_lo, s64
	s_delay_alu instid0(SALU_CYCLE_1) | instskip(SKIP_2) | instid1(SALU_CYCLE_1)
	s_mov_b32 s64, exec_lo
	v_readlane_b32 s68, v85, 26
	s_and_b32 s68, s64, s68
	s_mov_b32 exec_lo, s68
	s_cbranch_execz .LBB18_244
; %bb.243:                              ;   in Loop: Header=BB18_3 Depth=1
	ds_load_b32 v26, v52 offset:13952
	ds_load_b32 v27, v51 offset:16344
	s_wait_dscnt 0x0
	v_fmac_f32_e32 v2, v26, v27
.LBB18_244:                             ;   in Loop: Header=BB18_3 Depth=1
	s_or_b32 exec_lo, exec_lo, s64
	s_delay_alu instid0(SALU_CYCLE_1) | instskip(SKIP_2) | instid1(SALU_CYCLE_1)
	s_mov_b32 s64, exec_lo
	v_readlane_b32 s68, v85, 27
	s_and_b32 s68, s64, s68
	s_mov_b32 exec_lo, s68
	s_cbranch_execz .LBB18_246
; %bb.245:                              ;   in Loop: Header=BB18_3 Depth=1
	ds_load_b32 v26, v52 offset:14208
	ds_load_b32 v27, v51 offset:16348
	s_wait_dscnt 0x0
	v_fmac_f32_e32 v2, v26, v27
.LBB18_246:                             ;   in Loop: Header=BB18_3 Depth=1
	s_or_b32 exec_lo, exec_lo, s64
	s_delay_alu instid0(SALU_CYCLE_1) | instskip(SKIP_2) | instid1(SALU_CYCLE_1)
	s_mov_b32 s64, exec_lo
	v_readlane_b32 s68, v85, 28
	s_and_b32 s68, s64, s68
	s_mov_b32 exec_lo, s68
	s_cbranch_execz .LBB18_248
; %bb.247:                              ;   in Loop: Header=BB18_3 Depth=1
	ds_load_b32 v26, v52 offset:14464
	ds_load_b32 v27, v51 offset:16352
	s_wait_dscnt 0x0
	v_fmac_f32_e32 v2, v26, v27
.LBB18_248:                             ;   in Loop: Header=BB18_3 Depth=1
	s_or_b32 exec_lo, exec_lo, s64
	s_delay_alu instid0(SALU_CYCLE_1) | instskip(SKIP_2) | instid1(SALU_CYCLE_1)
	s_mov_b32 s64, exec_lo
	v_readlane_b32 s68, v85, 29
	s_and_b32 s68, s64, s68
	s_mov_b32 exec_lo, s68
	s_cbranch_execz .LBB18_250
; %bb.249:                              ;   in Loop: Header=BB18_3 Depth=1
	ds_load_b32 v26, v52 offset:14720
	ds_load_b32 v27, v51 offset:16356
	s_wait_dscnt 0x0
	v_fmac_f32_e32 v2, v26, v27
.LBB18_250:                             ;   in Loop: Header=BB18_3 Depth=1
	s_or_b32 exec_lo, exec_lo, s64
	s_delay_alu instid0(SALU_CYCLE_1) | instskip(SKIP_2) | instid1(SALU_CYCLE_1)
	s_mov_b32 s64, exec_lo
	v_readlane_b32 s68, v85, 30
	s_and_b32 s68, s64, s68
	s_mov_b32 exec_lo, s68
	s_cbranch_execz .LBB18_252
; %bb.251:                              ;   in Loop: Header=BB18_3 Depth=1
	ds_load_b32 v26, v52 offset:14976
	ds_load_b32 v27, v51 offset:16360
	s_wait_dscnt 0x0
	v_fmac_f32_e32 v2, v26, v27
.LBB18_252:                             ;   in Loop: Header=BB18_3 Depth=1
	s_or_b32 exec_lo, exec_lo, s64
	s_delay_alu instid0(SALU_CYCLE_1) | instskip(SKIP_2) | instid1(SALU_CYCLE_1)
	s_mov_b32 s64, exec_lo
	v_readlane_b32 s68, v85, 31
	s_and_b32 s68, s64, s68
	s_mov_b32 exec_lo, s68
	s_cbranch_execnz .LBB18_1217
; %bb.253:                              ;   in Loop: Header=BB18_3 Depth=1
	s_or_b32 exec_lo, exec_lo, s64
	s_and_saveexec_b32 s64, s3
	s_cbranch_execnz .LBB18_1218
.LBB18_254:                             ;   in Loop: Header=BB18_3 Depth=1
	s_or_b32 exec_lo, exec_lo, s64
	s_and_saveexec_b32 s64, s20
	s_cbranch_execnz .LBB18_1219
.LBB18_255:                             ;   in Loop: Header=BB18_3 Depth=1
	s_or_b32 exec_lo, exec_lo, s64
	s_and_saveexec_b32 s64, s22
	s_cbranch_execnz .LBB18_1220
.LBB18_256:                             ;   in Loop: Header=BB18_3 Depth=1
	s_or_b32 exec_lo, exec_lo, s64
	s_and_saveexec_b32 s64, s2
	s_cbranch_execz .LBB18_258
.LBB18_257:                             ;   in Loop: Header=BB18_3 Depth=1
	ds_load_b32 v26, v32 offset:16256
	ds_load_b32 v27, v3 offset:16380
	s_wait_dscnt 0x0
	v_fmac_f32_e32 v2, v26, v27
.LBB18_258:                             ;   in Loop: Header=BB18_3 Depth=1
	s_or_b32 exec_lo, exec_lo, s64
.LBB18_259:                             ;   in Loop: Header=BB18_3 Depth=1
	s_delay_alu instid0(SALU_CYCLE_1)
	s_or_b32 exec_lo, exec_lo, s65
	s_and_saveexec_b32 s64, s46
	s_cbranch_execz .LBB18_261
; %bb.260:                              ;   in Loop: Header=BB18_3 Depth=1
	ds_load_b32 v26, v3 offset:12220
	s_wait_dscnt 0x0
	v_mul_f32_e32 v2, v2, v26
	s_delay_alu instid0(VALU_DEP_1)
	v_xor_b32_e32 v26, 0x80000000, v2
	ds_store_b32 v50, v26
.LBB18_261:                             ;   in Loop: Header=BB18_3 Depth=1
	s_or_b32 exec_lo, exec_lo, s64
	s_wait_loadcnt_dscnt 0x0
	s_barrier_signal -1
	s_barrier_wait -1
	s_and_saveexec_b32 s64, s47
	s_cbranch_execz .LBB18_263
; %bb.262:                              ;   in Loop: Header=BB18_3 Depth=1
	ds_load_b32 v26, v52 offset:12160
	ds_load_b32 v27, v50
	s_wait_dscnt 0x0
	v_fma_f32 v2, -v26, v27, v2
.LBB18_263:                             ;   in Loop: Header=BB18_3 Depth=1
	s_or_b32 exec_lo, exec_lo, s64
	s_barrier_signal -1
	s_barrier_wait -1
	s_and_saveexec_b32 s64, s48
	s_cbranch_execz .LBB18_265
; %bb.264:                              ;   in Loop: Header=BB18_3 Depth=1
	ds_load_b32 v26, v3 offset:11960
	s_wait_dscnt 0x0
	v_mul_f32_e32 v2, v2, v26
	s_delay_alu instid0(VALU_DEP_1)
	v_xor_b32_e32 v26, 0x80000000, v2
	ds_store_b32 v50, v26
.LBB18_265:                             ;   in Loop: Header=BB18_3 Depth=1
	s_or_b32 exec_lo, exec_lo, s64
	s_wait_dscnt 0x0
	s_barrier_signal -1
	s_barrier_wait -1
	s_and_saveexec_b32 s64, s49
	s_cbranch_execz .LBB18_267
; %bb.266:                              ;   in Loop: Header=BB18_3 Depth=1
	ds_load_b32 v26, v52 offset:11904
	ds_load_b32 v27, v50
	s_wait_dscnt 0x0
	v_fma_f32 v2, -v26, v27, v2
.LBB18_267:                             ;   in Loop: Header=BB18_3 Depth=1
	s_or_b32 exec_lo, exec_lo, s64
	s_barrier_signal -1
	s_barrier_wait -1
	s_and_saveexec_b32 s64, s50
	s_cbranch_execz .LBB18_269
; %bb.268:                              ;   in Loop: Header=BB18_3 Depth=1
	ds_load_b32 v26, v3 offset:11700
	s_wait_dscnt 0x0
	v_mul_f32_e32 v2, v2, v26
	s_delay_alu instid0(VALU_DEP_1)
	v_xor_b32_e32 v26, 0x80000000, v2
	ds_store_b32 v50, v26
.LBB18_269:                             ;   in Loop: Header=BB18_3 Depth=1
	s_or_b32 exec_lo, exec_lo, s64
	s_wait_dscnt 0x0
	;; [unrolled: 25-line block ×15, first 2 shown]
	s_barrier_signal -1
	s_barrier_wait -1
	s_barrier_signal -1
	s_barrier_wait -1
	s_and_saveexec_b32 s64, s4
; %bb.322:                              ;   in Loop: Header=BB18_3 Depth=1
	ds_store_b32 v7, v2 offset:16256
; %bb.323:                              ;   in Loop: Header=BB18_3 Depth=1
	s_or_b32 exec_lo, exec_lo, s64
	s_wait_dscnt 0x0
	s_barrier_signal -1
	s_barrier_wait -1
	s_barrier_signal -1
	s_barrier_wait -1
	s_and_saveexec_b32 s64, s31
	s_cbranch_execz .LBB18_325
; %bb.324:                              ;   in Loop: Header=BB18_3 Depth=1
	ds_load_b32 v2, v34 offset:12416
	s_wait_dscnt 0x0
	ds_store_b32 v38, v2 offset:8384
	ds_load_b32 v2, v34 offset:12420
	s_wait_dscnt 0x0
	ds_store_b32 v38, v2 offset:8640
	;; [unrolled: 3-line block ×16, first 2 shown]
.LBB18_325:                             ;   in Loop: Header=BB18_3 Depth=1
	s_or_b32 exec_lo, exec_lo, s64
	s_wait_dscnt 0x0
	s_barrier_signal -1
	s_barrier_wait -1
	s_and_saveexec_b32 s64, s15
	s_cbranch_execz .LBB18_327
; %bb.326:                              ;   in Loop: Header=BB18_3 Depth=1
	ds_load_b64 v[26:27], v3 offset:12216
	ds_load_b32 v2, v3 offset:11960
	s_wait_dscnt 0x0
	v_mul_f32_e32 v2, v2, v27
	s_delay_alu instid0(VALU_DEP_1)
	v_mul_f32_e32 v2, v26, v2
	v_add_nc_u32_e64 v26, 0x2c00, 0
	ds_store_2addr_b32 v26, v2, v2 offset0:175 offset1:238
.LBB18_327:                             ;   in Loop: Header=BB18_3 Depth=1
	s_or_b32 exec_lo, exec_lo, s64
	v_mov_b32_e32 v2, 0
	s_wait_dscnt 0x0
	s_barrier_signal -1
	s_barrier_wait -1
	global_wb scope:SCOPE_DEV
	s_wait_storecnt 0x0
	global_inv scope:SCOPE_DEV
	s_and_saveexec_b32 s64, s0
	s_cbranch_execz .LBB18_331
; %bb.328:                              ;   in Loop: Header=BB18_3 Depth=1
	ds_load_b32 v2, v31 offset:11952
	ds_load_b32 v26, v30 offset:12216
	s_wait_dscnt 0x0
	v_fma_f32 v2, v2, v26, 0
	s_and_saveexec_b32 s65, s16
	s_cbranch_execz .LBB18_330
; %bb.329:                              ;   in Loop: Header=BB18_3 Depth=1
	ds_load_b32 v26, v32 offset:12208
	ds_load_b32 v27, v3 offset:12220
	s_wait_dscnt 0x0
	v_fmac_f32_e32 v2, v26, v27
.LBB18_330:                             ;   in Loop: Header=BB18_3 Depth=1
	s_or_b32 exec_lo, exec_lo, s65
.LBB18_331:                             ;   in Loop: Header=BB18_3 Depth=1
	s_delay_alu instid0(SALU_CYCLE_1)
	s_or_b32 exec_lo, exec_lo, s64
	s_and_saveexec_b32 s64, s91
	s_cbranch_execz .LBB18_333
; %bb.332:                              ;   in Loop: Header=BB18_3 Depth=1
	ds_load_b32 v26, v3 offset:11700
	s_wait_dscnt 0x0
	v_mul_f32_e32 v2, v2, v26
	s_delay_alu instid0(VALU_DEP_1)
	v_xor_b32_e32 v26, 0x80000000, v2
	ds_store_b32 v5, v26
.LBB18_333:                             ;   in Loop: Header=BB18_3 Depth=1
	s_or_b32 exec_lo, exec_lo, s64
	s_wait_loadcnt_dscnt 0x0
	s_barrier_signal -1
	s_barrier_wait -1
	s_and_saveexec_b32 s64, s92
	s_cbranch_execz .LBB18_335
; %bb.334:                              ;   in Loop: Header=BB18_3 Depth=1
	ds_load_b32 v26, v3 offset:11696
	ds_load_b32 v27, v5
	s_wait_dscnt 0x0
	v_fma_f32 v2, -v26, v27, v2
.LBB18_335:                             ;   in Loop: Header=BB18_3 Depth=1
	s_or_b32 exec_lo, exec_lo, s64
	s_barrier_signal -1
	s_barrier_wait -1
	s_and_saveexec_b32 s64, s92
	s_cbranch_execz .LBB18_337
; %bb.336:                              ;   in Loop: Header=BB18_3 Depth=1
	ds_load_b32 v26, v3 offset:11440
	s_wait_dscnt 0x0
	v_mul_f32_e32 v2, v2, v26
	s_delay_alu instid0(VALU_DEP_1)
	v_xor_b32_e32 v26, 0x80000000, v2
	ds_store_b32 v5, v26
.LBB18_337:                             ;   in Loop: Header=BB18_3 Depth=1
	s_or_b32 exec_lo, exec_lo, s64
	s_wait_dscnt 0x0
	s_barrier_signal -1
	s_barrier_wait -1
	s_barrier_signal -1
	s_barrier_wait -1
	s_and_saveexec_b32 s64, s0
; %bb.338:                              ;   in Loop: Header=BB18_3 Depth=1
	ds_store_b32 v33, v2 offset:12208
; %bb.339:                              ;   in Loop: Header=BB18_3 Depth=1
	s_or_b32 exec_lo, exec_lo, s64
	s_wait_dscnt 0x0
	s_barrier_signal -1
	s_barrier_wait -1
	s_barrier_signal -1
	s_barrier_wait -1
	s_and_saveexec_b32 s64, s93
	s_cbranch_execz .LBB18_341
; %bb.340:                              ;   in Loop: Header=BB18_3 Depth=1
	ds_load_b32 v2, v34 offset:11952
	s_wait_dscnt 0x0
	ds_store_b32 v32, v2 offset:11448
	ds_load_b32 v2, v34 offset:11956
	s_wait_dscnt 0x0
	ds_store_b32 v32, v2 offset:11704
.LBB18_341:                             ;   in Loop: Header=BB18_3 Depth=1
	s_or_b32 exec_lo, exec_lo, s64
	s_wait_dscnt 0x0
	s_barrier_signal -1
	s_barrier_wait -1
	s_and_saveexec_b32 s64, s15
	s_cbranch_execz .LBB18_343
; %bb.342:                              ;   in Loop: Header=BB18_3 Depth=1
	ds_load_b64 v[26:27], v3 offset:11696
	ds_load_b32 v2, v3 offset:11440
	s_wait_dscnt 0x0
	v_mul_f32_e32 v2, v2, v27
	s_delay_alu instid0(VALU_DEP_1)
	v_mul_f32_e32 v2, v26, v2
	v_add_nc_u32_e64 v26, 0x2c00, 0
	ds_store_2addr_b32 v26, v2, v2 offset0:45 offset1:108
.LBB18_343:                             ;   in Loop: Header=BB18_3 Depth=1
	s_or_b32 exec_lo, exec_lo, s64
	v_mov_b32_e32 v2, 0
	s_wait_dscnt 0x0
	s_barrier_signal -1
	s_barrier_wait -1
	global_wb scope:SCOPE_DEV
	s_wait_storecnt 0x0
	global_inv scope:SCOPE_DEV
	s_and_saveexec_b32 s64, s2
	s_cbranch_execz .LBB18_349
; %bb.344:                              ;   in Loop: Header=BB18_3 Depth=1
	ds_load_b32 v2, v37 offset:11424
	ds_load_b32 v26, v36 offset:12208
	s_wait_dscnt 0x0
	v_fma_f32 v2, v2, v26, 0
	s_and_saveexec_b32 s65, s17
	s_cbranch_execnz .LBB18_1221
; %bb.345:                              ;   in Loop: Header=BB18_3 Depth=1
	s_or_b32 exec_lo, exec_lo, s65
	s_and_saveexec_b32 s65, s18
	s_cbranch_execnz .LBB18_1222
.LBB18_346:                             ;   in Loop: Header=BB18_3 Depth=1
	s_or_b32 exec_lo, exec_lo, s65
	s_and_saveexec_b32 s65, s0
	s_cbranch_execz .LBB18_348
.LBB18_347:                             ;   in Loop: Header=BB18_3 Depth=1
	ds_load_b32 v26, v38 offset:12192
	ds_load_b32 v27, v3 offset:12220
	s_wait_dscnt 0x0
	v_fmac_f32_e32 v2, v26, v27
.LBB18_348:                             ;   in Loop: Header=BB18_3 Depth=1
	s_or_b32 exec_lo, exec_lo, s65
.LBB18_349:                             ;   in Loop: Header=BB18_3 Depth=1
	s_delay_alu instid0(SALU_CYCLE_1)
	s_or_b32 exec_lo, exec_lo, s64
	s_and_saveexec_b32 s64, s94
	s_cbranch_execz .LBB18_351
; %bb.350:                              ;   in Loop: Header=BB18_3 Depth=1
	ds_load_b32 v26, v3 offset:11180
	s_wait_dscnt 0x0
	v_mul_f32_e32 v2, v2, v26
	s_delay_alu instid0(VALU_DEP_1)
	v_xor_b32_e32 v26, 0x80000000, v2
	ds_store_b32 v35, v26
.LBB18_351:                             ;   in Loop: Header=BB18_3 Depth=1
	s_or_b32 exec_lo, exec_lo, s64
	s_wait_loadcnt_dscnt 0x0
	s_barrier_signal -1
	s_barrier_wait -1
	s_and_saveexec_b32 s64, s95
	s_cbranch_execz .LBB18_353
; %bb.352:                              ;   in Loop: Header=BB18_3 Depth=1
	ds_load_b32 v26, v37 offset:11168
	ds_load_b32 v27, v35
	s_wait_dscnt 0x0
	v_fma_f32 v2, -v26, v27, v2
.LBB18_353:                             ;   in Loop: Header=BB18_3 Depth=1
	s_or_b32 exec_lo, exec_lo, s64
	s_barrier_signal -1
	s_barrier_wait -1
	s_and_saveexec_b32 s64, s96
	s_cbranch_execz .LBB18_355
; %bb.354:                              ;   in Loop: Header=BB18_3 Depth=1
	ds_load_b32 v26, v3 offset:10920
	s_wait_dscnt 0x0
	v_mul_f32_e32 v2, v2, v26
	s_delay_alu instid0(VALU_DEP_1)
	v_xor_b32_e32 v26, 0x80000000, v2
	ds_store_b32 v35, v26
.LBB18_355:                             ;   in Loop: Header=BB18_3 Depth=1
	s_or_b32 exec_lo, exec_lo, s64
	s_wait_dscnt 0x0
	s_barrier_signal -1
	s_barrier_wait -1
	s_and_saveexec_b32 s64, s97
	s_cbranch_execz .LBB18_357
; %bb.356:                              ;   in Loop: Header=BB18_3 Depth=1
	ds_load_b32 v26, v37 offset:10912
	ds_load_b32 v27, v35
	s_wait_dscnt 0x0
	v_fma_f32 v2, -v26, v27, v2
.LBB18_357:                             ;   in Loop: Header=BB18_3 Depth=1
	s_or_b32 exec_lo, exec_lo, s64
	s_barrier_signal -1
	s_barrier_wait -1
	s_and_saveexec_b32 s64, s98
	s_cbranch_execz .LBB18_359
; %bb.358:                              ;   in Loop: Header=BB18_3 Depth=1
	ds_load_b32 v26, v3 offset:10660
	s_wait_dscnt 0x0
	v_mul_f32_e32 v2, v2, v26
	s_delay_alu instid0(VALU_DEP_1)
	v_xor_b32_e32 v26, 0x80000000, v2
	ds_store_b32 v35, v26
.LBB18_359:                             ;   in Loop: Header=BB18_3 Depth=1
	s_or_b32 exec_lo, exec_lo, s64
	s_wait_dscnt 0x0
	;; [unrolled: 25-line block ×3, first 2 shown]
	s_barrier_signal -1
	s_barrier_wait -1
	s_barrier_signal -1
	s_barrier_wait -1
	s_and_saveexec_b32 s64, s2
; %bb.364:                              ;   in Loop: Header=BB18_3 Depth=1
	ds_store_b32 v41, v2 offset:12192
; %bb.365:                              ;   in Loop: Header=BB18_3 Depth=1
	s_or_b32 exec_lo, exec_lo, s64
	s_wait_dscnt 0x0
	s_barrier_signal -1
	s_barrier_wait -1
	s_barrier_signal -1
	s_barrier_wait -1
	s_and_saveexec_b32 s64, s100
	s_cbranch_execz .LBB18_367
; %bb.366:                              ;   in Loop: Header=BB18_3 Depth=1
	ds_load_b32 v2, v39 offset:11424
	s_wait_dscnt 0x0
	ds_store_b32 v40, v2 offset:10416
	ds_load_b32 v2, v39 offset:11428
	s_wait_dscnt 0x0
	ds_store_b32 v40, v2 offset:10672
	;; [unrolled: 3-line block ×4, first 2 shown]
.LBB18_367:                             ;   in Loop: Header=BB18_3 Depth=1
	s_or_b32 exec_lo, exec_lo, s64
	s_wait_dscnt 0x0
	s_barrier_signal -1
	s_barrier_wait -1
	s_and_saveexec_b32 s64, s15
	s_cbranch_execz .LBB18_369
; %bb.368:                              ;   in Loop: Header=BB18_3 Depth=1
	ds_load_b64 v[26:27], v3 offset:11176
	ds_load_b32 v2, v3 offset:10920
	s_wait_dscnt 0x0
	v_mul_f32_e32 v2, v2, v27
	s_delay_alu instid0(VALU_DEP_1)
	v_mul_f32_e32 v2, v26, v2
	v_add_nc_u32_e64 v26, 0x2800, 0
	ds_store_2addr_b32 v26, v2, v2 offset0:171 offset1:234
.LBB18_369:                             ;   in Loop: Header=BB18_3 Depth=1
	s_or_b32 exec_lo, exec_lo, s64
	v_mov_b32_e32 v2, 0
	s_wait_dscnt 0x0
	s_barrier_signal -1
	s_barrier_wait -1
	global_wb scope:SCOPE_DEV
	s_wait_storecnt 0x0
	global_inv scope:SCOPE_DEV
	s_and_saveexec_b32 s64, s0
	s_cbranch_execz .LBB18_373
; %bb.370:                              ;   in Loop: Header=BB18_3 Depth=1
	ds_load_b32 v2, v31 offset:10912
	ds_load_b32 v26, v30 offset:11176
	s_wait_dscnt 0x0
	v_fma_f32 v2, v2, v26, 0
	s_and_saveexec_b32 s65, s16
	s_cbranch_execz .LBB18_372
; %bb.371:                              ;   in Loop: Header=BB18_3 Depth=1
	ds_load_b32 v26, v40 offset:11168
	ds_load_b32 v27, v3 offset:11180
	s_wait_dscnt 0x0
	v_fmac_f32_e32 v2, v26, v27
.LBB18_372:                             ;   in Loop: Header=BB18_3 Depth=1
	s_or_b32 exec_lo, exec_lo, s65
.LBB18_373:                             ;   in Loop: Header=BB18_3 Depth=1
	s_delay_alu instid0(SALU_CYCLE_1)
	s_or_b32 exec_lo, exec_lo, s64
	s_and_saveexec_b32 s64, s91
	s_cbranch_execz .LBB18_375
; %bb.374:                              ;   in Loop: Header=BB18_3 Depth=1
	ds_load_b32 v26, v3 offset:10660
	s_wait_dscnt 0x0
	v_mul_f32_e32 v2, v2, v26
	s_delay_alu instid0(VALU_DEP_1)
	v_xor_b32_e32 v26, 0x80000000, v2
	ds_store_b32 v5, v26
.LBB18_375:                             ;   in Loop: Header=BB18_3 Depth=1
	s_or_b32 exec_lo, exec_lo, s64
	s_wait_loadcnt_dscnt 0x0
	s_barrier_signal -1
	s_barrier_wait -1
	s_and_saveexec_b32 s64, s92
	s_cbranch_execz .LBB18_377
; %bb.376:                              ;   in Loop: Header=BB18_3 Depth=1
	ds_load_b32 v26, v3 offset:10656
	ds_load_b32 v27, v5
	s_wait_dscnt 0x0
	v_fma_f32 v2, -v26, v27, v2
.LBB18_377:                             ;   in Loop: Header=BB18_3 Depth=1
	s_or_b32 exec_lo, exec_lo, s64
	s_barrier_signal -1
	s_barrier_wait -1
	s_and_saveexec_b32 s64, s92
	s_cbranch_execz .LBB18_379
; %bb.378:                              ;   in Loop: Header=BB18_3 Depth=1
	ds_load_b32 v26, v3 offset:10400
	s_wait_dscnt 0x0
	v_mul_f32_e32 v2, v2, v26
	s_delay_alu instid0(VALU_DEP_1)
	v_xor_b32_e32 v26, 0x80000000, v2
	ds_store_b32 v5, v26
.LBB18_379:                             ;   in Loop: Header=BB18_3 Depth=1
	s_or_b32 exec_lo, exec_lo, s64
	s_wait_dscnt 0x0
	s_barrier_signal -1
	s_barrier_wait -1
	s_barrier_signal -1
	s_barrier_wait -1
	s_and_saveexec_b32 s64, s0
; %bb.380:                              ;   in Loop: Header=BB18_3 Depth=1
	ds_store_b32 v33, v2 offset:11168
; %bb.381:                              ;   in Loop: Header=BB18_3 Depth=1
	s_or_b32 exec_lo, exec_lo, s64
	s_wait_dscnt 0x0
	s_barrier_signal -1
	s_barrier_wait -1
	s_barrier_signal -1
	s_barrier_wait -1
	s_and_saveexec_b32 s64, s93
	s_cbranch_execz .LBB18_383
; %bb.382:                              ;   in Loop: Header=BB18_3 Depth=1
	ds_load_b32 v2, v42 offset:10912
	s_wait_dscnt 0x0
	ds_store_b32 v40, v2 offset:10408
	ds_load_b32 v2, v42 offset:10916
	s_wait_dscnt 0x0
	ds_store_b32 v40, v2 offset:10664
.LBB18_383:                             ;   in Loop: Header=BB18_3 Depth=1
	s_or_b32 exec_lo, exec_lo, s64
	s_wait_dscnt 0x0
	s_barrier_signal -1
	s_barrier_wait -1
	s_and_saveexec_b32 s64, s15
	s_cbranch_execz .LBB18_385
; %bb.384:                              ;   in Loop: Header=BB18_3 Depth=1
	ds_load_b64 v[26:27], v3 offset:10656
	ds_load_b32 v2, v3 offset:10400
	s_wait_dscnt 0x0
	v_mul_f32_e32 v2, v2, v27
	s_delay_alu instid0(VALU_DEP_1)
	v_mul_f32_e32 v2, v26, v2
	v_add_nc_u32_e64 v26, 0x2800, 0
	ds_store_2addr_b32 v26, v2, v2 offset0:41 offset1:104
.LBB18_385:                             ;   in Loop: Header=BB18_3 Depth=1
	s_or_b32 exec_lo, exec_lo, s64
	v_mov_b32_e32 v2, 0
	s_wait_dscnt 0x0
	s_barrier_signal -1
	s_barrier_wait -1
	global_wb scope:SCOPE_DEV
	s_wait_storecnt 0x0
	global_inv scope:SCOPE_DEV
	s_and_saveexec_b32 s64, s3
	s_cbranch_execz .LBB18_395
; %bb.386:                              ;   in Loop: Header=BB18_3 Depth=1
	ds_load_b32 v2, v45 offset:10368
	ds_load_b32 v26, v44 offset:12192
	s_wait_dscnt 0x0
	v_fma_f32 v2, v2, v26, 0
	s_and_saveexec_b32 s65, s19
	s_cbranch_execnz .LBB18_1223
; %bb.387:                              ;   in Loop: Header=BB18_3 Depth=1
	s_or_b32 exec_lo, exec_lo, s65
	s_and_saveexec_b32 s65, s20
	s_cbranch_execnz .LBB18_1224
.LBB18_388:                             ;   in Loop: Header=BB18_3 Depth=1
	s_or_b32 exec_lo, exec_lo, s65
	s_and_saveexec_b32 s65, s21
	s_cbranch_execnz .LBB18_1225
.LBB18_389:                             ;   in Loop: Header=BB18_3 Depth=1
	s_or_b32 exec_lo, exec_lo, s65
	s_and_saveexec_b32 s65, s22
	s_cbranch_execnz .LBB18_1226
.LBB18_390:                             ;   in Loop: Header=BB18_3 Depth=1
	s_or_b32 exec_lo, exec_lo, s65
	s_and_saveexec_b32 s65, s23
	s_cbranch_execnz .LBB18_1227
.LBB18_391:                             ;   in Loop: Header=BB18_3 Depth=1
	s_or_b32 exec_lo, exec_lo, s65
	s_and_saveexec_b32 s65, s2
	s_cbranch_execnz .LBB18_1228
.LBB18_392:                             ;   in Loop: Header=BB18_3 Depth=1
	s_or_b32 exec_lo, exec_lo, s65
	s_and_saveexec_b32 s65, s18
	s_cbranch_execz .LBB18_394
.LBB18_393:                             ;   in Loop: Header=BB18_3 Depth=1
	ds_load_b32 v26, v46 offset:12160
	ds_load_b32 v27, v3 offset:12220
	s_wait_dscnt 0x0
	v_fmac_f32_e32 v2, v26, v27
.LBB18_394:                             ;   in Loop: Header=BB18_3 Depth=1
	s_or_b32 exec_lo, exec_lo, s65
.LBB18_395:                             ;   in Loop: Header=BB18_3 Depth=1
	s_delay_alu instid0(SALU_CYCLE_1)
	s_or_b32 exec_lo, exec_lo, s64
	s_and_saveexec_b32 s64, s101
	s_cbranch_execz .LBB18_397
; %bb.396:                              ;   in Loop: Header=BB18_3 Depth=1
	ds_load_b32 v26, v3 offset:10140
	s_wait_dscnt 0x0
	v_mul_f32_e32 v2, v2, v26
	s_delay_alu instid0(VALU_DEP_1)
	v_xor_b32_e32 v26, 0x80000000, v2
	ds_store_b32 v43, v26
.LBB18_397:                             ;   in Loop: Header=BB18_3 Depth=1
	s_or_b32 exec_lo, exec_lo, s64
	s_wait_loadcnt_dscnt 0x0
	s_barrier_signal -1
	s_barrier_wait -1
	s_and_saveexec_b32 s64, s102
	s_cbranch_execz .LBB18_399
; %bb.398:                              ;   in Loop: Header=BB18_3 Depth=1
	ds_load_b32 v26, v45 offset:10112
	ds_load_b32 v27, v43
	s_wait_dscnt 0x0
	v_fma_f32 v2, -v26, v27, v2
.LBB18_399:                             ;   in Loop: Header=BB18_3 Depth=1
	s_or_b32 exec_lo, exec_lo, s64
	s_barrier_signal -1
	s_barrier_wait -1
	s_and_saveexec_b32 s64, s103
	s_cbranch_execz .LBB18_401
; %bb.400:                              ;   in Loop: Header=BB18_3 Depth=1
	ds_load_b32 v26, v3 offset:9880
	s_wait_dscnt 0x0
	v_mul_f32_e32 v2, v2, v26
	s_delay_alu instid0(VALU_DEP_1)
	v_xor_b32_e32 v26, 0x80000000, v2
	ds_store_b32 v43, v26
.LBB18_401:                             ;   in Loop: Header=BB18_3 Depth=1
	s_or_b32 exec_lo, exec_lo, s64
	s_wait_dscnt 0x0
	s_barrier_signal -1
	s_barrier_wait -1
	s_and_saveexec_b32 s64, s104
	s_cbranch_execz .LBB18_403
; %bb.402:                              ;   in Loop: Header=BB18_3 Depth=1
	ds_load_b32 v26, v45 offset:9856
	ds_load_b32 v27, v43
	s_wait_dscnt 0x0
	v_fma_f32 v2, -v26, v27, v2
.LBB18_403:                             ;   in Loop: Header=BB18_3 Depth=1
	s_or_b32 exec_lo, exec_lo, s64
	s_barrier_signal -1
	s_barrier_wait -1
	s_and_saveexec_b32 s64, vcc_hi
	s_cbranch_execz .LBB18_405
; %bb.404:                              ;   in Loop: Header=BB18_3 Depth=1
	ds_load_b32 v26, v3 offset:9620
	s_wait_dscnt 0x0
	v_mul_f32_e32 v2, v2, v26
	s_delay_alu instid0(VALU_DEP_1)
	v_xor_b32_e32 v26, 0x80000000, v2
	ds_store_b32 v43, v26
.LBB18_405:                             ;   in Loop: Header=BB18_3 Depth=1
	s_or_b32 exec_lo, exec_lo, s64
	s_wait_dscnt 0x0
	s_barrier_signal -1
	s_barrier_wait -1
	s_and_saveexec_b32 s64, s36
	s_cbranch_execz .LBB18_407
; %bb.406:                              ;   in Loop: Header=BB18_3 Depth=1
	ds_load_b32 v26, v45 offset:9600
	ds_load_b32 v27, v43
	s_wait_dscnt 0x0
	v_fma_f32 v2, -v26, v27, v2
.LBB18_407:                             ;   in Loop: Header=BB18_3 Depth=1
	s_or_b32 exec_lo, exec_lo, s64
	s_barrier_signal -1
	s_barrier_wait -1
	s_and_saveexec_b32 s64, s37
	s_cbranch_execz .LBB18_409
; %bb.408:                              ;   in Loop: Header=BB18_3 Depth=1
	ds_load_b32 v26, v3 offset:9360
	s_wait_dscnt 0x0
	v_mul_f32_e32 v2, v2, v26
	s_delay_alu instid0(VALU_DEP_1)
	v_xor_b32_e32 v26, 0x80000000, v2
	ds_store_b32 v43, v26
.LBB18_409:                             ;   in Loop: Header=BB18_3 Depth=1
	s_or_b32 exec_lo, exec_lo, s64
	s_wait_dscnt 0x0
	s_barrier_signal -1
	s_barrier_wait -1
	s_and_saveexec_b32 s64, s38
	s_cbranch_execz .LBB18_411
; %bb.410:                              ;   in Loop: Header=BB18_3 Depth=1
	ds_load_b32 v26, v45 offset:9344
	ds_load_b32 v27, v43
	s_wait_dscnt 0x0
	v_fma_f32 v2, -v26, v27, v2
.LBB18_411:                             ;   in Loop: Header=BB18_3 Depth=1
	s_or_b32 exec_lo, exec_lo, s64
	s_barrier_signal -1
	s_barrier_wait -1
	s_and_saveexec_b32 s64, s39
	;; [unrolled: 25-line block ×5, first 2 shown]
	s_cbranch_execz .LBB18_425
; %bb.424:                              ;   in Loop: Header=BB18_3 Depth=1
	ds_load_b32 v26, v3 offset:8320
	s_wait_dscnt 0x0
	v_mul_f32_e32 v2, v2, v26
	s_delay_alu instid0(VALU_DEP_1)
	v_xor_b32_e32 v26, 0x80000000, v2
	ds_store_b32 v43, v26
.LBB18_425:                             ;   in Loop: Header=BB18_3 Depth=1
	s_or_b32 exec_lo, exec_lo, s64
	s_wait_dscnt 0x0
	s_barrier_signal -1
	s_barrier_wait -1
	s_barrier_signal -1
	s_barrier_wait -1
	s_and_saveexec_b32 s64, s3
; %bb.426:                              ;   in Loop: Header=BB18_3 Depth=1
	ds_store_b32 v48, v2 offset:12160
; %bb.427:                              ;   in Loop: Header=BB18_3 Depth=1
	s_or_b32 exec_lo, exec_lo, s64
	s_wait_dscnt 0x0
	s_barrier_signal -1
	s_barrier_wait -1
	s_barrier_signal -1
	s_barrier_wait -1
	s_and_saveexec_b32 s64, s45
	s_cbranch_execz .LBB18_429
; %bb.428:                              ;   in Loop: Header=BB18_3 Depth=1
	ds_load_b32 v2, v47 offset:10368
	s_wait_dscnt 0x0
	ds_store_b32 v49, v2 offset:8352
	ds_load_b32 v2, v47 offset:10372
	s_wait_dscnt 0x0
	ds_store_b32 v49, v2 offset:8608
	;; [unrolled: 3-line block ×8, first 2 shown]
.LBB18_429:                             ;   in Loop: Header=BB18_3 Depth=1
	s_or_b32 exec_lo, exec_lo, s64
	s_wait_dscnt 0x0
	s_barrier_signal -1
	s_barrier_wait -1
	s_and_saveexec_b32 s64, s15
	s_cbranch_execz .LBB18_431
; %bb.430:                              ;   in Loop: Header=BB18_3 Depth=1
	ds_load_b64 v[26:27], v3 offset:10136
	ds_load_b32 v2, v3 offset:9880
	s_wait_dscnt 0x0
	v_mul_f32_e32 v2, v2, v27
	s_delay_alu instid0(VALU_DEP_1)
	v_mul_f32_e32 v2, v26, v2
	v_add_nc_u32_e64 v26, 0x2400, 0
	ds_store_2addr_b32 v26, v2, v2 offset0:167 offset1:230
.LBB18_431:                             ;   in Loop: Header=BB18_3 Depth=1
	s_or_b32 exec_lo, exec_lo, s64
	v_mov_b32_e32 v2, 0
	s_wait_dscnt 0x0
	s_barrier_signal -1
	s_barrier_wait -1
	global_wb scope:SCOPE_DEV
	s_wait_storecnt 0x0
	global_inv scope:SCOPE_DEV
	s_and_saveexec_b32 s64, s0
	s_cbranch_execz .LBB18_435
; %bb.432:                              ;   in Loop: Header=BB18_3 Depth=1
	ds_load_b32 v2, v31 offset:9872
	ds_load_b32 v26, v30 offset:10136
	s_wait_dscnt 0x0
	v_fma_f32 v2, v2, v26, 0
	s_and_saveexec_b32 s65, s16
	s_cbranch_execz .LBB18_434
; %bb.433:                              ;   in Loop: Header=BB18_3 Depth=1
	ds_load_b32 v26, v49 offset:10128
	ds_load_b32 v27, v3 offset:10140
	s_wait_dscnt 0x0
	v_fmac_f32_e32 v2, v26, v27
.LBB18_434:                             ;   in Loop: Header=BB18_3 Depth=1
	s_or_b32 exec_lo, exec_lo, s65
.LBB18_435:                             ;   in Loop: Header=BB18_3 Depth=1
	s_delay_alu instid0(SALU_CYCLE_1)
	s_or_b32 exec_lo, exec_lo, s64
	s_and_saveexec_b32 s64, s91
	s_cbranch_execz .LBB18_437
; %bb.436:                              ;   in Loop: Header=BB18_3 Depth=1
	ds_load_b32 v26, v3 offset:9620
	s_wait_dscnt 0x0
	v_mul_f32_e32 v2, v2, v26
	s_delay_alu instid0(VALU_DEP_1)
	v_xor_b32_e32 v26, 0x80000000, v2
	ds_store_b32 v5, v26
.LBB18_437:                             ;   in Loop: Header=BB18_3 Depth=1
	s_or_b32 exec_lo, exec_lo, s64
	s_wait_loadcnt_dscnt 0x0
	s_barrier_signal -1
	s_barrier_wait -1
	s_and_saveexec_b32 s64, s92
	s_cbranch_execz .LBB18_439
; %bb.438:                              ;   in Loop: Header=BB18_3 Depth=1
	ds_load_b32 v26, v3 offset:9616
	ds_load_b32 v27, v5
	s_wait_dscnt 0x0
	v_fma_f32 v2, -v26, v27, v2
.LBB18_439:                             ;   in Loop: Header=BB18_3 Depth=1
	s_or_b32 exec_lo, exec_lo, s64
	s_barrier_signal -1
	s_barrier_wait -1
	s_and_saveexec_b32 s64, s92
	s_cbranch_execz .LBB18_441
; %bb.440:                              ;   in Loop: Header=BB18_3 Depth=1
	ds_load_b32 v26, v3 offset:9360
	s_wait_dscnt 0x0
	v_mul_f32_e32 v2, v2, v26
	s_delay_alu instid0(VALU_DEP_1)
	v_xor_b32_e32 v26, 0x80000000, v2
	ds_store_b32 v5, v26
.LBB18_441:                             ;   in Loop: Header=BB18_3 Depth=1
	s_or_b32 exec_lo, exec_lo, s64
	s_wait_dscnt 0x0
	s_barrier_signal -1
	s_barrier_wait -1
	s_barrier_signal -1
	s_barrier_wait -1
	s_and_saveexec_b32 s64, s0
; %bb.442:                              ;   in Loop: Header=BB18_3 Depth=1
	ds_store_b32 v33, v2 offset:10128
; %bb.443:                              ;   in Loop: Header=BB18_3 Depth=1
	s_or_b32 exec_lo, exec_lo, s64
	s_wait_dscnt 0x0
	s_barrier_signal -1
	s_barrier_wait -1
	s_barrier_signal -1
	s_barrier_wait -1
	s_and_saveexec_b32 s64, s93
	s_cbranch_execz .LBB18_445
; %bb.444:                              ;   in Loop: Header=BB18_3 Depth=1
	ds_load_b32 v2, v54 offset:9872
	s_wait_dscnt 0x0
	ds_store_b32 v49, v2 offset:9368
	ds_load_b32 v2, v54 offset:9876
	s_wait_dscnt 0x0
	ds_store_b32 v49, v2 offset:9624
.LBB18_445:                             ;   in Loop: Header=BB18_3 Depth=1
	s_or_b32 exec_lo, exec_lo, s64
	s_wait_dscnt 0x0
	s_barrier_signal -1
	s_barrier_wait -1
	s_and_saveexec_b32 s64, s15
	s_cbranch_execz .LBB18_447
; %bb.446:                              ;   in Loop: Header=BB18_3 Depth=1
	ds_load_b64 v[26:27], v3 offset:9616
	ds_load_b32 v2, v3 offset:9360
	s_wait_dscnt 0x0
	v_mul_f32_e32 v2, v2, v27
	s_delay_alu instid0(VALU_DEP_1)
	v_mul_f32_e32 v2, v26, v2
	v_add_nc_u32_e64 v26, 0x2400, 0
	ds_store_2addr_b32 v26, v2, v2 offset0:37 offset1:100
.LBB18_447:                             ;   in Loop: Header=BB18_3 Depth=1
	s_or_b32 exec_lo, exec_lo, s64
	v_mov_b32_e32 v2, 0
	s_wait_dscnt 0x0
	s_barrier_signal -1
	s_barrier_wait -1
	global_wb scope:SCOPE_DEV
	s_wait_storecnt 0x0
	global_inv scope:SCOPE_DEV
	s_and_saveexec_b32 s64, s2
	s_cbranch_execz .LBB18_453
; %bb.448:                              ;   in Loop: Header=BB18_3 Depth=1
	ds_load_b32 v2, v37 offset:9344
	ds_load_b32 v26, v36 offset:10128
	s_wait_dscnt 0x0
	v_fma_f32 v2, v2, v26, 0
	s_and_saveexec_b32 s65, s17
	s_cbranch_execnz .LBB18_1229
; %bb.449:                              ;   in Loop: Header=BB18_3 Depth=1
	s_or_b32 exec_lo, exec_lo, s65
	s_and_saveexec_b32 s65, s18
	s_cbranch_execnz .LBB18_1230
.LBB18_450:                             ;   in Loop: Header=BB18_3 Depth=1
	s_or_b32 exec_lo, exec_lo, s65
	s_and_saveexec_b32 s65, s0
	s_cbranch_execz .LBB18_452
.LBB18_451:                             ;   in Loop: Header=BB18_3 Depth=1
	ds_load_b32 v26, v55 offset:10112
	ds_load_b32 v27, v3 offset:10140
	s_wait_dscnt 0x0
	v_fmac_f32_e32 v2, v26, v27
.LBB18_452:                             ;   in Loop: Header=BB18_3 Depth=1
	s_or_b32 exec_lo, exec_lo, s65
.LBB18_453:                             ;   in Loop: Header=BB18_3 Depth=1
	s_delay_alu instid0(SALU_CYCLE_1)
	s_or_b32 exec_lo, exec_lo, s64
	s_and_saveexec_b32 s64, s94
	s_cbranch_execz .LBB18_455
; %bb.454:                              ;   in Loop: Header=BB18_3 Depth=1
	ds_load_b32 v26, v3 offset:9100
	s_wait_dscnt 0x0
	v_mul_f32_e32 v2, v2, v26
	s_delay_alu instid0(VALU_DEP_1)
	v_xor_b32_e32 v26, 0x80000000, v2
	ds_store_b32 v35, v26
.LBB18_455:                             ;   in Loop: Header=BB18_3 Depth=1
	s_or_b32 exec_lo, exec_lo, s64
	s_wait_loadcnt_dscnt 0x0
	s_barrier_signal -1
	s_barrier_wait -1
	s_and_saveexec_b32 s64, s95
	s_cbranch_execz .LBB18_457
; %bb.456:                              ;   in Loop: Header=BB18_3 Depth=1
	ds_load_b32 v26, v37 offset:9088
	ds_load_b32 v27, v35
	s_wait_dscnt 0x0
	v_fma_f32 v2, -v26, v27, v2
.LBB18_457:                             ;   in Loop: Header=BB18_3 Depth=1
	s_or_b32 exec_lo, exec_lo, s64
	s_barrier_signal -1
	s_barrier_wait -1
	s_and_saveexec_b32 s64, s96
	s_cbranch_execz .LBB18_459
; %bb.458:                              ;   in Loop: Header=BB18_3 Depth=1
	ds_load_b32 v26, v3 offset:8840
	s_wait_dscnt 0x0
	v_mul_f32_e32 v2, v2, v26
	s_delay_alu instid0(VALU_DEP_1)
	v_xor_b32_e32 v26, 0x80000000, v2
	ds_store_b32 v35, v26
.LBB18_459:                             ;   in Loop: Header=BB18_3 Depth=1
	s_or_b32 exec_lo, exec_lo, s64
	s_wait_dscnt 0x0
	s_barrier_signal -1
	s_barrier_wait -1
	s_and_saveexec_b32 s64, s97
	s_cbranch_execz .LBB18_461
; %bb.460:                              ;   in Loop: Header=BB18_3 Depth=1
	ds_load_b32 v26, v37 offset:8832
	ds_load_b32 v27, v35
	s_wait_dscnt 0x0
	v_fma_f32 v2, -v26, v27, v2
.LBB18_461:                             ;   in Loop: Header=BB18_3 Depth=1
	s_or_b32 exec_lo, exec_lo, s64
	s_barrier_signal -1
	s_barrier_wait -1
	s_and_saveexec_b32 s64, s98
	s_cbranch_execz .LBB18_463
; %bb.462:                              ;   in Loop: Header=BB18_3 Depth=1
	ds_load_b32 v26, v3 offset:8580
	s_wait_dscnt 0x0
	v_mul_f32_e32 v2, v2, v26
	s_delay_alu instid0(VALU_DEP_1)
	v_xor_b32_e32 v26, 0x80000000, v2
	ds_store_b32 v35, v26
.LBB18_463:                             ;   in Loop: Header=BB18_3 Depth=1
	s_or_b32 exec_lo, exec_lo, s64
	s_wait_dscnt 0x0
	;; [unrolled: 25-line block ×3, first 2 shown]
	s_barrier_signal -1
	s_barrier_wait -1
	s_barrier_signal -1
	s_barrier_wait -1
	s_and_saveexec_b32 s64, s2
; %bb.468:                              ;   in Loop: Header=BB18_3 Depth=1
	ds_store_b32 v41, v2 offset:10112
; %bb.469:                              ;   in Loop: Header=BB18_3 Depth=1
	s_or_b32 exec_lo, exec_lo, s64
	s_wait_dscnt 0x0
	s_barrier_signal -1
	s_barrier_wait -1
	s_barrier_signal -1
	s_barrier_wait -1
	s_and_saveexec_b32 s64, s100
	s_cbranch_execz .LBB18_471
; %bb.470:                              ;   in Loop: Header=BB18_3 Depth=1
	ds_load_b32 v2, v56 offset:9344
	s_wait_dscnt 0x0
	ds_store_b32 v57, v2 offset:8336
	ds_load_b32 v2, v56 offset:9348
	s_wait_dscnt 0x0
	ds_store_b32 v57, v2 offset:8592
	;; [unrolled: 3-line block ×4, first 2 shown]
.LBB18_471:                             ;   in Loop: Header=BB18_3 Depth=1
	s_or_b32 exec_lo, exec_lo, s64
	s_wait_dscnt 0x0
	s_barrier_signal -1
	s_barrier_wait -1
	s_and_saveexec_b32 s64, s15
	s_cbranch_execz .LBB18_473
; %bb.472:                              ;   in Loop: Header=BB18_3 Depth=1
	ds_load_b64 v[26:27], v3 offset:9096
	ds_load_b32 v2, v3 offset:8840
	s_wait_dscnt 0x0
	v_mul_f32_e32 v2, v2, v27
	s_delay_alu instid0(VALU_DEP_1)
	v_mul_f32_e32 v2, v26, v2
	v_add_nc_u32_e64 v26, 0x2000, 0
	ds_store_2addr_b32 v26, v2, v2 offset0:163 offset1:226
.LBB18_473:                             ;   in Loop: Header=BB18_3 Depth=1
	s_or_b32 exec_lo, exec_lo, s64
	v_mov_b32_e32 v2, 0
	s_wait_dscnt 0x0
	s_barrier_signal -1
	s_barrier_wait -1
	global_wb scope:SCOPE_DEV
	s_wait_storecnt 0x0
	global_inv scope:SCOPE_DEV
	s_and_saveexec_b32 s64, s0
	s_cbranch_execz .LBB18_477
; %bb.474:                              ;   in Loop: Header=BB18_3 Depth=1
	ds_load_b32 v2, v31 offset:8832
	ds_load_b32 v26, v30 offset:9096
	s_wait_dscnt 0x0
	v_fma_f32 v2, v2, v26, 0
	s_and_saveexec_b32 s65, s16
	s_cbranch_execz .LBB18_476
; %bb.475:                              ;   in Loop: Header=BB18_3 Depth=1
	ds_load_b32 v26, v57 offset:9088
	ds_load_b32 v27, v3 offset:9100
	s_wait_dscnt 0x0
	v_fmac_f32_e32 v2, v26, v27
.LBB18_476:                             ;   in Loop: Header=BB18_3 Depth=1
	s_or_b32 exec_lo, exec_lo, s65
.LBB18_477:                             ;   in Loop: Header=BB18_3 Depth=1
	s_delay_alu instid0(SALU_CYCLE_1)
	s_or_b32 exec_lo, exec_lo, s64
	s_and_saveexec_b32 s64, s91
	s_cbranch_execz .LBB18_479
; %bb.478:                              ;   in Loop: Header=BB18_3 Depth=1
	ds_load_b32 v26, v3 offset:8580
	s_wait_dscnt 0x0
	v_mul_f32_e32 v2, v2, v26
	s_delay_alu instid0(VALU_DEP_1)
	v_xor_b32_e32 v26, 0x80000000, v2
	ds_store_b32 v5, v26
.LBB18_479:                             ;   in Loop: Header=BB18_3 Depth=1
	s_or_b32 exec_lo, exec_lo, s64
	s_wait_loadcnt_dscnt 0x0
	s_barrier_signal -1
	s_barrier_wait -1
	s_and_saveexec_b32 s64, s92
	s_cbranch_execz .LBB18_481
; %bb.480:                              ;   in Loop: Header=BB18_3 Depth=1
	ds_load_b32 v26, v3 offset:8576
	ds_load_b32 v27, v5
	s_wait_dscnt 0x0
	v_fma_f32 v2, -v26, v27, v2
.LBB18_481:                             ;   in Loop: Header=BB18_3 Depth=1
	s_or_b32 exec_lo, exec_lo, s64
	s_barrier_signal -1
	s_barrier_wait -1
	s_and_saveexec_b32 s64, s92
	s_cbranch_execz .LBB18_483
; %bb.482:                              ;   in Loop: Header=BB18_3 Depth=1
	ds_load_b32 v26, v3 offset:8320
	s_wait_dscnt 0x0
	v_mul_f32_e32 v2, v2, v26
	s_delay_alu instid0(VALU_DEP_1)
	v_xor_b32_e32 v26, 0x80000000, v2
	ds_store_b32 v5, v26
.LBB18_483:                             ;   in Loop: Header=BB18_3 Depth=1
	s_or_b32 exec_lo, exec_lo, s64
	s_wait_dscnt 0x0
	s_barrier_signal -1
	s_barrier_wait -1
	s_barrier_signal -1
	s_barrier_wait -1
	s_and_saveexec_b32 s64, s0
; %bb.484:                              ;   in Loop: Header=BB18_3 Depth=1
	ds_store_b32 v33, v2 offset:9088
; %bb.485:                              ;   in Loop: Header=BB18_3 Depth=1
	s_or_b32 exec_lo, exec_lo, s64
	s_wait_dscnt 0x0
	s_barrier_signal -1
	s_barrier_wait -1
	s_barrier_signal -1
	s_barrier_wait -1
	s_and_saveexec_b32 s64, s93
	s_cbranch_execz .LBB18_487
; %bb.486:                              ;   in Loop: Header=BB18_3 Depth=1
	ds_load_b32 v2, v58 offset:8832
	s_wait_dscnt 0x0
	ds_store_b32 v57, v2 offset:8328
	ds_load_b32 v2, v58 offset:8836
	s_wait_dscnt 0x0
	ds_store_b32 v57, v2 offset:8584
.LBB18_487:                             ;   in Loop: Header=BB18_3 Depth=1
	s_or_b32 exec_lo, exec_lo, s64
	s_wait_dscnt 0x0
	s_barrier_signal -1
	s_barrier_wait -1
	s_and_saveexec_b32 s64, s15
	s_cbranch_execz .LBB18_489
; %bb.488:                              ;   in Loop: Header=BB18_3 Depth=1
	ds_load_b64 v[26:27], v3 offset:8576
	ds_load_b32 v2, v3 offset:8320
	s_wait_dscnt 0x0
	v_mul_f32_e32 v2, v2, v27
	s_delay_alu instid0(VALU_DEP_1)
	v_mul_f32_e32 v2, v26, v2
	v_add_nc_u32_e64 v26, 0x2000, 0
	ds_store_2addr_b32 v26, v2, v2 offset0:33 offset1:96
.LBB18_489:                             ;   in Loop: Header=BB18_3 Depth=1
	s_or_b32 exec_lo, exec_lo, s64
	v_mov_b32_e32 v2, 0
	s_wait_dscnt 0x0
	s_barrier_signal -1
	s_barrier_wait -1
	global_wb scope:SCOPE_DEV
	s_wait_storecnt 0x0
	global_inv scope:SCOPE_DEV
	s_and_saveexec_b32 s65, s5
	s_cbranch_execz .LBB18_551
; %bb.490:                              ;   in Loop: Header=BB18_3 Depth=1
	ds_load_b32 v2, v60 offset:8192
	ds_load_b32 v26, v59 offset:16256
	s_wait_dscnt 0x0
	v_fma_f32 v2, v2, v26, 0
	s_mov_b32 s64, exec_lo
	v_readlane_b32 s68, v84, 0
	s_and_b32 s68, s64, s68
	s_delay_alu instid0(SALU_CYCLE_1)
	s_mov_b32 exec_lo, s68
	s_cbranch_execz .LBB18_492
; %bb.491:                              ;   in Loop: Header=BB18_3 Depth=1
	ds_load_b32 v26, v60 offset:8448
	ds_load_b32 v27, v59 offset:16260
	s_wait_dscnt 0x0
	v_fmac_f32_e32 v2, v26, v27
.LBB18_492:                             ;   in Loop: Header=BB18_3 Depth=1
	s_or_b32 exec_lo, exec_lo, s64
	s_delay_alu instid0(SALU_CYCLE_1) | instskip(SKIP_2) | instid1(SALU_CYCLE_1)
	s_mov_b32 s64, exec_lo
	v_readlane_b32 s68, v84, 1
	s_and_b32 s68, s64, s68
	s_mov_b32 exec_lo, s68
	s_cbranch_execz .LBB18_494
; %bb.493:                              ;   in Loop: Header=BB18_3 Depth=1
	ds_load_b32 v26, v60 offset:8704
	ds_load_b32 v27, v59 offset:16264
	s_wait_dscnt 0x0
	v_fmac_f32_e32 v2, v26, v27
.LBB18_494:                             ;   in Loop: Header=BB18_3 Depth=1
	s_or_b32 exec_lo, exec_lo, s64
	s_delay_alu instid0(SALU_CYCLE_1) | instskip(SKIP_2) | instid1(SALU_CYCLE_1)
	s_mov_b32 s64, exec_lo
	v_readlane_b32 s68, v84, 2
	s_and_b32 s68, s64, s68
	;; [unrolled: 13-line block ×22, first 2 shown]
	s_mov_b32 exec_lo, s68
	s_cbranch_execz .LBB18_536
; %bb.535:                              ;   in Loop: Header=BB18_3 Depth=1
	ds_load_b32 v26, v60 offset:14080
	ds_load_b32 v27, v59 offset:16348
	s_wait_dscnt 0x0
	v_fmac_f32_e32 v2, v26, v27
.LBB18_536:                             ;   in Loop: Header=BB18_3 Depth=1
	s_or_b32 exec_lo, exec_lo, s64
	s_and_saveexec_b32 s64, s4
	s_cbranch_execz .LBB18_538
; %bb.537:                              ;   in Loop: Header=BB18_3 Depth=1
	ds_load_b32 v26, v60 offset:14336
	ds_load_b32 v27, v59 offset:16352
	s_wait_dscnt 0x0
	v_fmac_f32_e32 v2, v26, v27
.LBB18_538:                             ;   in Loop: Header=BB18_3 Depth=1
	s_or_b32 exec_lo, exec_lo, s64
	s_delay_alu instid0(SALU_CYCLE_1) | instskip(SKIP_2) | instid1(SALU_CYCLE_1)
	s_mov_b32 s64, exec_lo
	v_readlane_b32 s68, v85, 22
	s_and_b32 s68, s64, s68
	s_mov_b32 exec_lo, s68
	s_cbranch_execz .LBB18_540
; %bb.539:                              ;   in Loop: Header=BB18_3 Depth=1
	ds_load_b32 v26, v60 offset:14592
	ds_load_b32 v27, v59 offset:16356
	s_wait_dscnt 0x0
	v_fmac_f32_e32 v2, v26, v27
.LBB18_540:                             ;   in Loop: Header=BB18_3 Depth=1
	s_or_b32 exec_lo, exec_lo, s64
	s_delay_alu instid0(SALU_CYCLE_1) | instskip(SKIP_2) | instid1(SALU_CYCLE_1)
	s_mov_b32 s64, exec_lo
	v_readlane_b32 s68, v85, 24
	s_and_b32 s68, s64, s68
	s_mov_b32 exec_lo, s68
	;; [unrolled: 13-line block ×5, first 2 shown]
	s_cbranch_execnz .LBB18_1231
; %bb.547:                              ;   in Loop: Header=BB18_3 Depth=1
	s_or_b32 exec_lo, exec_lo, s64
	s_and_saveexec_b32 s64, s3
	s_cbranch_execnz .LBB18_1232
.LBB18_548:                             ;   in Loop: Header=BB18_3 Depth=1
	s_or_b32 exec_lo, exec_lo, s64
	s_and_saveexec_b32 s64, s22
	s_cbranch_execz .LBB18_550
.LBB18_549:                             ;   in Loop: Header=BB18_3 Depth=1
	ds_load_b32 v26, v32 offset:16128
	ds_load_b32 v27, v3 offset:16380
	s_wait_dscnt 0x0
	v_fmac_f32_e32 v2, v26, v27
.LBB18_550:                             ;   in Loop: Header=BB18_3 Depth=1
	s_or_b32 exec_lo, exec_lo, s64
.LBB18_551:                             ;   in Loop: Header=BB18_3 Depth=1
	s_delay_alu instid0(SALU_CYCLE_1) | instskip(NEXT) | instid1(SALU_CYCLE_1)
	s_or_b32 exec_lo, exec_lo, s65
	s_mov_b32 s64, exec_lo
	v_readlane_b32 s65, v87, 5
	s_and_b32 s65, s64, s65
	s_delay_alu instid0(SALU_CYCLE_1)
	s_mov_b32 exec_lo, s65
	s_cbranch_execz .LBB18_553
; %bb.552:                              ;   in Loop: Header=BB18_3 Depth=1
	ds_load_b32 v26, v3 offset:8060
	s_wait_dscnt 0x0
	v_mul_f32_e32 v2, v2, v26
	s_delay_alu instid0(VALU_DEP_1)
	v_xor_b32_e32 v26, 0x80000000, v2
	ds_store_b32 v53, v26
.LBB18_553:                             ;   in Loop: Header=BB18_3 Depth=1
	s_or_b32 exec_lo, exec_lo, s64
	s_wait_loadcnt_dscnt 0x0
	s_barrier_signal -1
	s_barrier_wait -1
	s_mov_b32 s64, exec_lo
	v_readlane_b32 s65, v87, 6
	s_and_b32 s65, s64, s65
	s_delay_alu instid0(SALU_CYCLE_1)
	s_mov_b32 exec_lo, s65
	s_cbranch_execz .LBB18_555
; %bb.554:                              ;   in Loop: Header=BB18_3 Depth=1
	ds_load_b32 v26, v60 offset:7936
	ds_load_b32 v27, v53
	s_wait_dscnt 0x0
	v_fma_f32 v2, -v26, v27, v2
.LBB18_555:                             ;   in Loop: Header=BB18_3 Depth=1
	s_or_b32 exec_lo, exec_lo, s64
	s_barrier_signal -1
	s_barrier_wait -1
	s_mov_b32 s64, exec_lo
	v_readlane_b32 s65, v87, 7
	s_and_b32 s65, s64, s65
	s_delay_alu instid0(SALU_CYCLE_1)
	s_mov_b32 exec_lo, s65
	s_cbranch_execz .LBB18_557
; %bb.556:                              ;   in Loop: Header=BB18_3 Depth=1
	ds_load_b32 v26, v3 offset:7800
	s_wait_dscnt 0x0
	v_mul_f32_e32 v2, v2, v26
	s_delay_alu instid0(VALU_DEP_1)
	v_xor_b32_e32 v26, 0x80000000, v2
	ds_store_b32 v53, v26
.LBB18_557:                             ;   in Loop: Header=BB18_3 Depth=1
	s_or_b32 exec_lo, exec_lo, s64
	s_wait_dscnt 0x0
	s_barrier_signal -1
	s_barrier_wait -1
	s_mov_b32 s64, exec_lo
	v_readlane_b32 s65, v87, 8
	s_and_b32 s65, s64, s65
	s_delay_alu instid0(SALU_CYCLE_1)
	s_mov_b32 exec_lo, s65
	s_cbranch_execz .LBB18_559
; %bb.558:                              ;   in Loop: Header=BB18_3 Depth=1
	ds_load_b32 v26, v60 offset:7680
	ds_load_b32 v27, v53
	s_wait_dscnt 0x0
	v_fma_f32 v2, -v26, v27, v2
.LBB18_559:                             ;   in Loop: Header=BB18_3 Depth=1
	s_or_b32 exec_lo, exec_lo, s64
	s_barrier_signal -1
	s_barrier_wait -1
	s_mov_b32 s64, exec_lo
	v_readlane_b32 s65, v87, 9
	s_and_b32 s65, s64, s65
	s_delay_alu instid0(SALU_CYCLE_1)
	s_mov_b32 exec_lo, s65
	s_cbranch_execz .LBB18_561
; %bb.560:                              ;   in Loop: Header=BB18_3 Depth=1
	ds_load_b32 v26, v3 offset:7540
	s_wait_dscnt 0x0
	v_mul_f32_e32 v2, v2, v26
	s_delay_alu instid0(VALU_DEP_1)
	v_xor_b32_e32 v26, 0x80000000, v2
	ds_store_b32 v53, v26
.LBB18_561:                             ;   in Loop: Header=BB18_3 Depth=1
	s_or_b32 exec_lo, exec_lo, s64
	s_wait_dscnt 0x0
	;; [unrolled: 33-line block ×30, first 2 shown]
	s_barrier_signal -1
	s_barrier_wait -1
	s_and_saveexec_b32 s64, s34
	s_cbranch_execz .LBB18_675
; %bb.674:                              ;   in Loop: Header=BB18_3 Depth=1
	ds_load_b32 v26, v3 offset:256
	ds_load_b32 v27, v53
	s_wait_dscnt 0x0
	v_fma_f32 v2, -v26, v27, v2
.LBB18_675:                             ;   in Loop: Header=BB18_3 Depth=1
	s_or_b32 exec_lo, exec_lo, s64
	s_barrier_signal -1
	s_barrier_wait -1
	s_and_saveexec_b32 s64, s34
	s_cbranch_execz .LBB18_677
; %bb.676:                              ;   in Loop: Header=BB18_3 Depth=1
	ds_load_b32 v26, v3
	s_wait_dscnt 0x0
	v_mul_f32_e32 v2, v2, v26
	s_delay_alu instid0(VALU_DEP_1)
	v_xor_b32_e32 v26, 0x80000000, v2
	ds_store_b32 v53, v26
.LBB18_677:                             ;   in Loop: Header=BB18_3 Depth=1
	s_or_b32 exec_lo, exec_lo, s64
	s_wait_dscnt 0x0
	s_barrier_signal -1
	s_barrier_wait -1
	s_barrier_signal -1
	s_barrier_wait -1
	s_and_saveexec_b32 s64, s5
; %bb.678:                              ;   in Loop: Header=BB18_3 Depth=1
	ds_store_b32 v61, v2 offset:16128
; %bb.679:                              ;   in Loop: Header=BB18_3 Depth=1
	s_or_b32 exec_lo, exec_lo, s64
	s_wait_dscnt 0x0
	s_barrier_signal -1
	s_barrier_wait -1
	s_barrier_signal -1
	s_barrier_wait -1
	s_mov_b32 s64, exec_lo
	v_readlane_b32 s65, v85, 2
	s_and_b32 s65, s64, s65
	s_delay_alu instid0(SALU_CYCLE_1)
	s_mov_b32 exec_lo, s65
	s_cbranch_execz .LBB18_681
; %bb.680:                              ;   in Loop: Header=BB18_3 Depth=1
	ds_load_b32 v2, v34 offset:8192
	s_wait_dscnt 0x0
	ds_store_b32 v38, v2 offset:128
	ds_load_b32 v2, v34 offset:8196
	s_wait_dscnt 0x0
	ds_store_b32 v38, v2 offset:384
	;; [unrolled: 3-line block ×32, first 2 shown]
.LBB18_681:                             ;   in Loop: Header=BB18_3 Depth=1
	s_or_b32 exec_lo, exec_lo, s64
	s_wait_dscnt 0x0
	s_barrier_signal -1
	s_barrier_wait -1
	s_and_saveexec_b32 s64, s15
	s_cbranch_execz .LBB18_683
; %bb.682:                              ;   in Loop: Header=BB18_3 Depth=1
	ds_load_b64 v[26:27], v3 offset:8056
	ds_load_b32 v2, v3 offset:7800
	s_wait_dscnt 0x0
	v_mul_f32_e32 v2, v2, v27
	s_delay_alu instid0(VALU_DEP_1)
	v_mul_f32_e32 v2, v26, v2
	v_add_nc_u32_e64 v26, 0x1c00, 0
	ds_store_2addr_b32 v26, v2, v2 offset0:159 offset1:222
.LBB18_683:                             ;   in Loop: Header=BB18_3 Depth=1
	s_or_b32 exec_lo, exec_lo, s64
	v_mov_b32_e32 v2, 0
	s_wait_dscnt 0x0
	s_barrier_signal -1
	s_barrier_wait -1
	global_wb scope:SCOPE_DEV
	s_wait_storecnt 0x0
	global_inv scope:SCOPE_DEV
	s_and_saveexec_b32 s64, s0
	s_cbranch_execz .LBB18_687
; %bb.684:                              ;   in Loop: Header=BB18_3 Depth=1
	ds_load_b32 v2, v31 offset:7792
	ds_load_b32 v26, v30 offset:8056
	s_wait_dscnt 0x0
	v_fma_f32 v2, v2, v26, 0
	s_and_saveexec_b32 s65, s16
	s_cbranch_execz .LBB18_686
; %bb.685:                              ;   in Loop: Header=BB18_3 Depth=1
	ds_load_b32 v26, v32 offset:8048
	ds_load_b32 v27, v3 offset:8060
	s_wait_dscnt 0x0
	v_fmac_f32_e32 v2, v26, v27
.LBB18_686:                             ;   in Loop: Header=BB18_3 Depth=1
	s_or_b32 exec_lo, exec_lo, s65
.LBB18_687:                             ;   in Loop: Header=BB18_3 Depth=1
	s_delay_alu instid0(SALU_CYCLE_1)
	s_or_b32 exec_lo, exec_lo, s64
	s_and_saveexec_b32 s64, s91
	s_cbranch_execz .LBB18_689
; %bb.688:                              ;   in Loop: Header=BB18_3 Depth=1
	ds_load_b32 v26, v3 offset:7540
	s_wait_dscnt 0x0
	v_mul_f32_e32 v2, v2, v26
	s_delay_alu instid0(VALU_DEP_1)
	v_xor_b32_e32 v26, 0x80000000, v2
	ds_store_b32 v5, v26
.LBB18_689:                             ;   in Loop: Header=BB18_3 Depth=1
	s_or_b32 exec_lo, exec_lo, s64
	s_wait_loadcnt_dscnt 0x0
	s_barrier_signal -1
	s_barrier_wait -1
	s_and_saveexec_b32 s64, s92
	s_cbranch_execz .LBB18_691
; %bb.690:                              ;   in Loop: Header=BB18_3 Depth=1
	ds_load_b32 v26, v3 offset:7536
	ds_load_b32 v27, v5
	s_wait_dscnt 0x0
	v_fma_f32 v2, -v26, v27, v2
.LBB18_691:                             ;   in Loop: Header=BB18_3 Depth=1
	s_or_b32 exec_lo, exec_lo, s64
	s_barrier_signal -1
	s_barrier_wait -1
	s_and_saveexec_b32 s64, s92
	s_cbranch_execz .LBB18_693
; %bb.692:                              ;   in Loop: Header=BB18_3 Depth=1
	ds_load_b32 v26, v3 offset:7280
	s_wait_dscnt 0x0
	v_mul_f32_e32 v2, v2, v26
	s_delay_alu instid0(VALU_DEP_1)
	v_xor_b32_e32 v26, 0x80000000, v2
	ds_store_b32 v5, v26
.LBB18_693:                             ;   in Loop: Header=BB18_3 Depth=1
	s_or_b32 exec_lo, exec_lo, s64
	s_wait_dscnt 0x0
	s_barrier_signal -1
	s_barrier_wait -1
	s_barrier_signal -1
	s_barrier_wait -1
	s_and_saveexec_b32 s64, s0
; %bb.694:                              ;   in Loop: Header=BB18_3 Depth=1
	ds_store_b32 v33, v2 offset:8048
; %bb.695:                              ;   in Loop: Header=BB18_3 Depth=1
	s_or_b32 exec_lo, exec_lo, s64
	s_wait_dscnt 0x0
	s_barrier_signal -1
	s_barrier_wait -1
	s_barrier_signal -1
	s_barrier_wait -1
	s_and_saveexec_b32 s64, s93
	s_cbranch_execz .LBB18_697
; %bb.696:                              ;   in Loop: Header=BB18_3 Depth=1
	ds_load_b32 v2, v34 offset:7792
	s_wait_dscnt 0x0
	ds_store_b32 v32, v2 offset:7288
	ds_load_b32 v2, v34 offset:7796
	s_wait_dscnt 0x0
	ds_store_b32 v32, v2 offset:7544
.LBB18_697:                             ;   in Loop: Header=BB18_3 Depth=1
	s_or_b32 exec_lo, exec_lo, s64
	s_wait_dscnt 0x0
	s_barrier_signal -1
	s_barrier_wait -1
	s_and_saveexec_b32 s64, s15
	s_cbranch_execz .LBB18_699
; %bb.698:                              ;   in Loop: Header=BB18_3 Depth=1
	ds_load_b64 v[26:27], v3 offset:7536
	ds_load_b32 v2, v3 offset:7280
	s_wait_dscnt 0x0
	v_mul_f32_e32 v2, v2, v27
	s_delay_alu instid0(VALU_DEP_1)
	v_mul_f32_e32 v2, v26, v2
	v_add_nc_u32_e64 v26, 0x1c00, 0
	ds_store_2addr_b32 v26, v2, v2 offset0:29 offset1:92
.LBB18_699:                             ;   in Loop: Header=BB18_3 Depth=1
	s_or_b32 exec_lo, exec_lo, s64
	v_mov_b32_e32 v2, 0
	s_wait_dscnt 0x0
	s_barrier_signal -1
	s_barrier_wait -1
	global_wb scope:SCOPE_DEV
	s_wait_storecnt 0x0
	global_inv scope:SCOPE_DEV
	s_and_saveexec_b32 s64, s2
	s_cbranch_execz .LBB18_705
; %bb.700:                              ;   in Loop: Header=BB18_3 Depth=1
	ds_load_b32 v2, v37 offset:7264
	ds_load_b32 v26, v36 offset:8048
	s_wait_dscnt 0x0
	v_fma_f32 v2, v2, v26, 0
	s_and_saveexec_b32 s65, s17
	s_cbranch_execnz .LBB18_1233
; %bb.701:                              ;   in Loop: Header=BB18_3 Depth=1
	s_or_b32 exec_lo, exec_lo, s65
	s_and_saveexec_b32 s65, s18
	s_cbranch_execnz .LBB18_1234
.LBB18_702:                             ;   in Loop: Header=BB18_3 Depth=1
	s_or_b32 exec_lo, exec_lo, s65
	s_and_saveexec_b32 s65, s0
	s_cbranch_execz .LBB18_704
.LBB18_703:                             ;   in Loop: Header=BB18_3 Depth=1
	ds_load_b32 v26, v38 offset:8032
	ds_load_b32 v27, v3 offset:8060
	s_wait_dscnt 0x0
	v_fmac_f32_e32 v2, v26, v27
.LBB18_704:                             ;   in Loop: Header=BB18_3 Depth=1
	s_or_b32 exec_lo, exec_lo, s65
.LBB18_705:                             ;   in Loop: Header=BB18_3 Depth=1
	s_delay_alu instid0(SALU_CYCLE_1)
	s_or_b32 exec_lo, exec_lo, s64
	s_and_saveexec_b32 s64, s94
	s_cbranch_execz .LBB18_707
; %bb.706:                              ;   in Loop: Header=BB18_3 Depth=1
	ds_load_b32 v26, v3 offset:7020
	s_wait_dscnt 0x0
	v_mul_f32_e32 v2, v2, v26
	s_delay_alu instid0(VALU_DEP_1)
	v_xor_b32_e32 v26, 0x80000000, v2
	ds_store_b32 v35, v26
.LBB18_707:                             ;   in Loop: Header=BB18_3 Depth=1
	s_or_b32 exec_lo, exec_lo, s64
	s_wait_loadcnt_dscnt 0x0
	s_barrier_signal -1
	s_barrier_wait -1
	s_and_saveexec_b32 s64, s95
	s_cbranch_execz .LBB18_709
; %bb.708:                              ;   in Loop: Header=BB18_3 Depth=1
	ds_load_b32 v26, v37 offset:7008
	ds_load_b32 v27, v35
	s_wait_dscnt 0x0
	v_fma_f32 v2, -v26, v27, v2
.LBB18_709:                             ;   in Loop: Header=BB18_3 Depth=1
	s_or_b32 exec_lo, exec_lo, s64
	s_barrier_signal -1
	s_barrier_wait -1
	s_and_saveexec_b32 s64, s96
	s_cbranch_execz .LBB18_711
; %bb.710:                              ;   in Loop: Header=BB18_3 Depth=1
	ds_load_b32 v26, v3 offset:6760
	s_wait_dscnt 0x0
	v_mul_f32_e32 v2, v2, v26
	s_delay_alu instid0(VALU_DEP_1)
	v_xor_b32_e32 v26, 0x80000000, v2
	ds_store_b32 v35, v26
.LBB18_711:                             ;   in Loop: Header=BB18_3 Depth=1
	s_or_b32 exec_lo, exec_lo, s64
	s_wait_dscnt 0x0
	s_barrier_signal -1
	s_barrier_wait -1
	s_and_saveexec_b32 s64, s97
	s_cbranch_execz .LBB18_713
; %bb.712:                              ;   in Loop: Header=BB18_3 Depth=1
	ds_load_b32 v26, v37 offset:6752
	ds_load_b32 v27, v35
	s_wait_dscnt 0x0
	v_fma_f32 v2, -v26, v27, v2
.LBB18_713:                             ;   in Loop: Header=BB18_3 Depth=1
	s_or_b32 exec_lo, exec_lo, s64
	s_barrier_signal -1
	s_barrier_wait -1
	s_and_saveexec_b32 s64, s98
	s_cbranch_execz .LBB18_715
; %bb.714:                              ;   in Loop: Header=BB18_3 Depth=1
	ds_load_b32 v26, v3 offset:6500
	s_wait_dscnt 0x0
	v_mul_f32_e32 v2, v2, v26
	s_delay_alu instid0(VALU_DEP_1)
	v_xor_b32_e32 v26, 0x80000000, v2
	ds_store_b32 v35, v26
.LBB18_715:                             ;   in Loop: Header=BB18_3 Depth=1
	s_or_b32 exec_lo, exec_lo, s64
	s_wait_dscnt 0x0
	;; [unrolled: 25-line block ×3, first 2 shown]
	s_barrier_signal -1
	s_barrier_wait -1
	s_barrier_signal -1
	s_barrier_wait -1
	s_and_saveexec_b32 s64, s2
; %bb.720:                              ;   in Loop: Header=BB18_3 Depth=1
	ds_store_b32 v41, v2 offset:8032
; %bb.721:                              ;   in Loop: Header=BB18_3 Depth=1
	s_or_b32 exec_lo, exec_lo, s64
	s_wait_dscnt 0x0
	s_barrier_signal -1
	s_barrier_wait -1
	s_barrier_signal -1
	s_barrier_wait -1
	s_and_saveexec_b32 s64, s100
	s_cbranch_execz .LBB18_723
; %bb.722:                              ;   in Loop: Header=BB18_3 Depth=1
	ds_load_b32 v2, v39 offset:7264
	s_wait_dscnt 0x0
	ds_store_b32 v40, v2 offset:6256
	ds_load_b32 v2, v39 offset:7268
	s_wait_dscnt 0x0
	ds_store_b32 v40, v2 offset:6512
	;; [unrolled: 3-line block ×4, first 2 shown]
.LBB18_723:                             ;   in Loop: Header=BB18_3 Depth=1
	s_or_b32 exec_lo, exec_lo, s64
	s_wait_dscnt 0x0
	s_barrier_signal -1
	s_barrier_wait -1
	s_and_saveexec_b32 s64, s15
	s_cbranch_execz .LBB18_725
; %bb.724:                              ;   in Loop: Header=BB18_3 Depth=1
	ds_load_b64 v[26:27], v3 offset:7016
	ds_load_b32 v2, v3 offset:6760
	s_wait_dscnt 0x0
	v_mul_f32_e32 v2, v2, v27
	s_delay_alu instid0(VALU_DEP_1)
	v_mul_f32_e32 v2, v26, v2
	v_add_nc_u32_e64 v26, 0x1800, 0
	ds_store_2addr_b32 v26, v2, v2 offset0:155 offset1:218
.LBB18_725:                             ;   in Loop: Header=BB18_3 Depth=1
	s_or_b32 exec_lo, exec_lo, s64
	v_mov_b32_e32 v2, 0
	s_wait_dscnt 0x0
	s_barrier_signal -1
	s_barrier_wait -1
	global_wb scope:SCOPE_DEV
	s_wait_storecnt 0x0
	global_inv scope:SCOPE_DEV
	s_and_saveexec_b32 s64, s0
	s_cbranch_execz .LBB18_729
; %bb.726:                              ;   in Loop: Header=BB18_3 Depth=1
	ds_load_b32 v2, v31 offset:6752
	ds_load_b32 v26, v30 offset:7016
	s_wait_dscnt 0x0
	v_fma_f32 v2, v2, v26, 0
	s_and_saveexec_b32 s65, s16
	s_cbranch_execz .LBB18_728
; %bb.727:                              ;   in Loop: Header=BB18_3 Depth=1
	ds_load_b32 v26, v40 offset:7008
	ds_load_b32 v27, v3 offset:7020
	s_wait_dscnt 0x0
	v_fmac_f32_e32 v2, v26, v27
.LBB18_728:                             ;   in Loop: Header=BB18_3 Depth=1
	s_or_b32 exec_lo, exec_lo, s65
.LBB18_729:                             ;   in Loop: Header=BB18_3 Depth=1
	s_delay_alu instid0(SALU_CYCLE_1)
	s_or_b32 exec_lo, exec_lo, s64
	s_and_saveexec_b32 s64, s91
	s_cbranch_execz .LBB18_731
; %bb.730:                              ;   in Loop: Header=BB18_3 Depth=1
	ds_load_b32 v26, v3 offset:6500
	s_wait_dscnt 0x0
	v_mul_f32_e32 v2, v2, v26
	s_delay_alu instid0(VALU_DEP_1)
	v_xor_b32_e32 v26, 0x80000000, v2
	ds_store_b32 v5, v26
.LBB18_731:                             ;   in Loop: Header=BB18_3 Depth=1
	s_or_b32 exec_lo, exec_lo, s64
	s_wait_loadcnt_dscnt 0x0
	s_barrier_signal -1
	s_barrier_wait -1
	s_and_saveexec_b32 s64, s92
	s_cbranch_execz .LBB18_733
; %bb.732:                              ;   in Loop: Header=BB18_3 Depth=1
	ds_load_b32 v26, v3 offset:6496
	ds_load_b32 v27, v5
	s_wait_dscnt 0x0
	v_fma_f32 v2, -v26, v27, v2
.LBB18_733:                             ;   in Loop: Header=BB18_3 Depth=1
	s_or_b32 exec_lo, exec_lo, s64
	s_barrier_signal -1
	s_barrier_wait -1
	s_and_saveexec_b32 s64, s92
	s_cbranch_execz .LBB18_735
; %bb.734:                              ;   in Loop: Header=BB18_3 Depth=1
	ds_load_b32 v26, v3 offset:6240
	s_wait_dscnt 0x0
	v_mul_f32_e32 v2, v2, v26
	s_delay_alu instid0(VALU_DEP_1)
	v_xor_b32_e32 v26, 0x80000000, v2
	ds_store_b32 v5, v26
.LBB18_735:                             ;   in Loop: Header=BB18_3 Depth=1
	s_or_b32 exec_lo, exec_lo, s64
	s_wait_dscnt 0x0
	s_barrier_signal -1
	s_barrier_wait -1
	s_barrier_signal -1
	s_barrier_wait -1
	s_and_saveexec_b32 s64, s0
; %bb.736:                              ;   in Loop: Header=BB18_3 Depth=1
	ds_store_b32 v33, v2 offset:7008
; %bb.737:                              ;   in Loop: Header=BB18_3 Depth=1
	s_or_b32 exec_lo, exec_lo, s64
	s_wait_dscnt 0x0
	s_barrier_signal -1
	s_barrier_wait -1
	s_barrier_signal -1
	s_barrier_wait -1
	s_and_saveexec_b32 s64, s93
	s_cbranch_execz .LBB18_739
; %bb.738:                              ;   in Loop: Header=BB18_3 Depth=1
	ds_load_b32 v2, v42 offset:6752
	s_wait_dscnt 0x0
	ds_store_b32 v40, v2 offset:6248
	ds_load_b32 v2, v42 offset:6756
	s_wait_dscnt 0x0
	ds_store_b32 v40, v2 offset:6504
.LBB18_739:                             ;   in Loop: Header=BB18_3 Depth=1
	s_or_b32 exec_lo, exec_lo, s64
	s_wait_dscnt 0x0
	s_barrier_signal -1
	s_barrier_wait -1
	s_and_saveexec_b32 s64, s15
	s_cbranch_execz .LBB18_741
; %bb.740:                              ;   in Loop: Header=BB18_3 Depth=1
	ds_load_b64 v[26:27], v3 offset:6496
	ds_load_b32 v2, v3 offset:6240
	s_wait_dscnt 0x0
	v_mul_f32_e32 v2, v2, v27
	s_delay_alu instid0(VALU_DEP_1)
	v_mul_f32_e32 v2, v26, v2
	v_add_nc_u32_e64 v26, 0x1800, 0
	ds_store_2addr_b32 v26, v2, v2 offset0:25 offset1:88
.LBB18_741:                             ;   in Loop: Header=BB18_3 Depth=1
	s_or_b32 exec_lo, exec_lo, s64
	v_mov_b32_e32 v2, 0
	s_wait_dscnt 0x0
	s_barrier_signal -1
	s_barrier_wait -1
	global_wb scope:SCOPE_DEV
	s_wait_storecnt 0x0
	global_inv scope:SCOPE_DEV
	s_and_saveexec_b32 s64, s3
	s_cbranch_execz .LBB18_751
; %bb.742:                              ;   in Loop: Header=BB18_3 Depth=1
	ds_load_b32 v2, v45 offset:6208
	ds_load_b32 v26, v44 offset:8032
	s_wait_dscnt 0x0
	v_fma_f32 v2, v2, v26, 0
	s_and_saveexec_b32 s65, s19
	s_cbranch_execnz .LBB18_1235
; %bb.743:                              ;   in Loop: Header=BB18_3 Depth=1
	s_or_b32 exec_lo, exec_lo, s65
	s_and_saveexec_b32 s65, s20
	s_cbranch_execnz .LBB18_1236
.LBB18_744:                             ;   in Loop: Header=BB18_3 Depth=1
	s_or_b32 exec_lo, exec_lo, s65
	s_and_saveexec_b32 s65, s21
	s_cbranch_execnz .LBB18_1237
.LBB18_745:                             ;   in Loop: Header=BB18_3 Depth=1
	s_or_b32 exec_lo, exec_lo, s65
	s_and_saveexec_b32 s65, s22
	s_cbranch_execnz .LBB18_1238
.LBB18_746:                             ;   in Loop: Header=BB18_3 Depth=1
	s_or_b32 exec_lo, exec_lo, s65
	s_and_saveexec_b32 s65, s23
	s_cbranch_execnz .LBB18_1239
.LBB18_747:                             ;   in Loop: Header=BB18_3 Depth=1
	s_or_b32 exec_lo, exec_lo, s65
	s_and_saveexec_b32 s65, s2
	s_cbranch_execnz .LBB18_1240
.LBB18_748:                             ;   in Loop: Header=BB18_3 Depth=1
	s_or_b32 exec_lo, exec_lo, s65
	s_and_saveexec_b32 s65, s18
	s_cbranch_execz .LBB18_750
.LBB18_749:                             ;   in Loop: Header=BB18_3 Depth=1
	ds_load_b32 v26, v46 offset:8000
	ds_load_b32 v27, v3 offset:8060
	s_wait_dscnt 0x0
	v_fmac_f32_e32 v2, v26, v27
.LBB18_750:                             ;   in Loop: Header=BB18_3 Depth=1
	s_or_b32 exec_lo, exec_lo, s65
.LBB18_751:                             ;   in Loop: Header=BB18_3 Depth=1
	s_delay_alu instid0(SALU_CYCLE_1)
	s_or_b32 exec_lo, exec_lo, s64
	s_and_saveexec_b32 s64, s101
	s_cbranch_execz .LBB18_753
; %bb.752:                              ;   in Loop: Header=BB18_3 Depth=1
	ds_load_b32 v26, v3 offset:5980
	s_wait_dscnt 0x0
	v_mul_f32_e32 v2, v2, v26
	s_delay_alu instid0(VALU_DEP_1)
	v_xor_b32_e32 v26, 0x80000000, v2
	ds_store_b32 v43, v26
.LBB18_753:                             ;   in Loop: Header=BB18_3 Depth=1
	s_or_b32 exec_lo, exec_lo, s64
	s_wait_loadcnt_dscnt 0x0
	s_barrier_signal -1
	s_barrier_wait -1
	s_and_saveexec_b32 s64, s102
	s_cbranch_execz .LBB18_755
; %bb.754:                              ;   in Loop: Header=BB18_3 Depth=1
	ds_load_b32 v26, v45 offset:5952
	ds_load_b32 v27, v43
	s_wait_dscnt 0x0
	v_fma_f32 v2, -v26, v27, v2
.LBB18_755:                             ;   in Loop: Header=BB18_3 Depth=1
	s_or_b32 exec_lo, exec_lo, s64
	s_barrier_signal -1
	s_barrier_wait -1
	s_and_saveexec_b32 s64, s103
	s_cbranch_execz .LBB18_757
; %bb.756:                              ;   in Loop: Header=BB18_3 Depth=1
	ds_load_b32 v26, v3 offset:5720
	s_wait_dscnt 0x0
	v_mul_f32_e32 v2, v2, v26
	s_delay_alu instid0(VALU_DEP_1)
	v_xor_b32_e32 v26, 0x80000000, v2
	ds_store_b32 v43, v26
.LBB18_757:                             ;   in Loop: Header=BB18_3 Depth=1
	s_or_b32 exec_lo, exec_lo, s64
	s_wait_dscnt 0x0
	s_barrier_signal -1
	s_barrier_wait -1
	s_and_saveexec_b32 s64, s104
	s_cbranch_execz .LBB18_759
; %bb.758:                              ;   in Loop: Header=BB18_3 Depth=1
	ds_load_b32 v26, v45 offset:5696
	ds_load_b32 v27, v43
	s_wait_dscnt 0x0
	v_fma_f32 v2, -v26, v27, v2
.LBB18_759:                             ;   in Loop: Header=BB18_3 Depth=1
	s_or_b32 exec_lo, exec_lo, s64
	s_barrier_signal -1
	s_barrier_wait -1
	s_and_saveexec_b32 s64, vcc_hi
	s_cbranch_execz .LBB18_761
; %bb.760:                              ;   in Loop: Header=BB18_3 Depth=1
	ds_load_b32 v26, v3 offset:5460
	s_wait_dscnt 0x0
	v_mul_f32_e32 v2, v2, v26
	s_delay_alu instid0(VALU_DEP_1)
	v_xor_b32_e32 v26, 0x80000000, v2
	ds_store_b32 v43, v26
.LBB18_761:                             ;   in Loop: Header=BB18_3 Depth=1
	s_or_b32 exec_lo, exec_lo, s64
	s_wait_dscnt 0x0
	s_barrier_signal -1
	s_barrier_wait -1
	s_and_saveexec_b32 s64, s36
	s_cbranch_execz .LBB18_763
; %bb.762:                              ;   in Loop: Header=BB18_3 Depth=1
	ds_load_b32 v26, v45 offset:5440
	ds_load_b32 v27, v43
	s_wait_dscnt 0x0
	v_fma_f32 v2, -v26, v27, v2
.LBB18_763:                             ;   in Loop: Header=BB18_3 Depth=1
	s_or_b32 exec_lo, exec_lo, s64
	s_barrier_signal -1
	s_barrier_wait -1
	s_and_saveexec_b32 s64, s37
	s_cbranch_execz .LBB18_765
; %bb.764:                              ;   in Loop: Header=BB18_3 Depth=1
	ds_load_b32 v26, v3 offset:5200
	s_wait_dscnt 0x0
	v_mul_f32_e32 v2, v2, v26
	s_delay_alu instid0(VALU_DEP_1)
	v_xor_b32_e32 v26, 0x80000000, v2
	ds_store_b32 v43, v26
.LBB18_765:                             ;   in Loop: Header=BB18_3 Depth=1
	s_or_b32 exec_lo, exec_lo, s64
	s_wait_dscnt 0x0
	s_barrier_signal -1
	s_barrier_wait -1
	s_and_saveexec_b32 s64, s38
	s_cbranch_execz .LBB18_767
; %bb.766:                              ;   in Loop: Header=BB18_3 Depth=1
	ds_load_b32 v26, v45 offset:5184
	ds_load_b32 v27, v43
	s_wait_dscnt 0x0
	v_fma_f32 v2, -v26, v27, v2
.LBB18_767:                             ;   in Loop: Header=BB18_3 Depth=1
	s_or_b32 exec_lo, exec_lo, s64
	s_barrier_signal -1
	s_barrier_wait -1
	s_and_saveexec_b32 s64, s39
	s_cbranch_execz .LBB18_769
; %bb.768:                              ;   in Loop: Header=BB18_3 Depth=1
	ds_load_b32 v26, v3 offset:4940
	s_wait_dscnt 0x0
	v_mul_f32_e32 v2, v2, v26
	s_delay_alu instid0(VALU_DEP_1)
	v_xor_b32_e32 v26, 0x80000000, v2
	ds_store_b32 v43, v26
.LBB18_769:                             ;   in Loop: Header=BB18_3 Depth=1
	s_or_b32 exec_lo, exec_lo, s64
	s_wait_dscnt 0x0
	s_barrier_signal -1
	s_barrier_wait -1
	s_and_saveexec_b32 s64, s40
	s_cbranch_execz .LBB18_771
; %bb.770:                              ;   in Loop: Header=BB18_3 Depth=1
	ds_load_b32 v26, v45 offset:4928
	ds_load_b32 v27, v43
	s_wait_dscnt 0x0
	v_fma_f32 v2, -v26, v27, v2
.LBB18_771:                             ;   in Loop: Header=BB18_3 Depth=1
	s_or_b32 exec_lo, exec_lo, s64
	s_barrier_signal -1
	s_barrier_wait -1
	s_and_saveexec_b32 s64, s41
	s_cbranch_execz .LBB18_773
; %bb.772:                              ;   in Loop: Header=BB18_3 Depth=1
	ds_load_b32 v26, v3 offset:4680
	s_wait_dscnt 0x0
	v_mul_f32_e32 v2, v2, v26
	s_delay_alu instid0(VALU_DEP_1)
	v_xor_b32_e32 v26, 0x80000000, v2
	ds_store_b32 v43, v26
.LBB18_773:                             ;   in Loop: Header=BB18_3 Depth=1
	s_or_b32 exec_lo, exec_lo, s64
	s_wait_dscnt 0x0
	s_barrier_signal -1
	s_barrier_wait -1
	s_and_saveexec_b32 s64, s42
	s_cbranch_execz .LBB18_775
; %bb.774:                              ;   in Loop: Header=BB18_3 Depth=1
	ds_load_b32 v26, v45 offset:4672
	ds_load_b32 v27, v43
	s_wait_dscnt 0x0
	v_fma_f32 v2, -v26, v27, v2
.LBB18_775:                             ;   in Loop: Header=BB18_3 Depth=1
	s_or_b32 exec_lo, exec_lo, s64
	s_barrier_signal -1
	s_barrier_wait -1
	s_and_saveexec_b32 s64, s43
	s_cbranch_execz .LBB18_777
; %bb.776:                              ;   in Loop: Header=BB18_3 Depth=1
	ds_load_b32 v26, v3 offset:4420
	s_wait_dscnt 0x0
	v_mul_f32_e32 v2, v2, v26
	s_delay_alu instid0(VALU_DEP_1)
	v_xor_b32_e32 v26, 0x80000000, v2
	ds_store_b32 v43, v26
.LBB18_777:                             ;   in Loop: Header=BB18_3 Depth=1
	s_or_b32 exec_lo, exec_lo, s64
	s_wait_dscnt 0x0
	s_barrier_signal -1
	s_barrier_wait -1
	s_and_saveexec_b32 s64, s44
	s_cbranch_execz .LBB18_779
; %bb.778:                              ;   in Loop: Header=BB18_3 Depth=1
	ds_load_b32 v26, v3 offset:4416
	ds_load_b32 v27, v43
	s_wait_dscnt 0x0
	v_fma_f32 v2, -v26, v27, v2
.LBB18_779:                             ;   in Loop: Header=BB18_3 Depth=1
	s_or_b32 exec_lo, exec_lo, s64
	s_barrier_signal -1
	s_barrier_wait -1
	s_and_saveexec_b32 s64, s44
	s_cbranch_execz .LBB18_781
; %bb.780:                              ;   in Loop: Header=BB18_3 Depth=1
	ds_load_b32 v26, v3 offset:4160
	s_wait_dscnt 0x0
	v_mul_f32_e32 v2, v2, v26
	s_delay_alu instid0(VALU_DEP_1)
	v_xor_b32_e32 v26, 0x80000000, v2
	ds_store_b32 v43, v26
.LBB18_781:                             ;   in Loop: Header=BB18_3 Depth=1
	s_or_b32 exec_lo, exec_lo, s64
	s_wait_dscnt 0x0
	s_barrier_signal -1
	s_barrier_wait -1
	s_barrier_signal -1
	s_barrier_wait -1
	s_and_saveexec_b32 s64, s3
; %bb.782:                              ;   in Loop: Header=BB18_3 Depth=1
	ds_store_b32 v48, v2 offset:8000
; %bb.783:                              ;   in Loop: Header=BB18_3 Depth=1
	s_or_b32 exec_lo, exec_lo, s64
	s_wait_dscnt 0x0
	s_barrier_signal -1
	s_barrier_wait -1
	s_barrier_signal -1
	s_barrier_wait -1
	s_and_saveexec_b32 s64, s45
	s_cbranch_execz .LBB18_785
; %bb.784:                              ;   in Loop: Header=BB18_3 Depth=1
	ds_load_b32 v2, v47 offset:6208
	s_wait_dscnt 0x0
	ds_store_b32 v49, v2 offset:4192
	ds_load_b32 v2, v47 offset:6212
	s_wait_dscnt 0x0
	ds_store_b32 v49, v2 offset:4448
	;; [unrolled: 3-line block ×8, first 2 shown]
.LBB18_785:                             ;   in Loop: Header=BB18_3 Depth=1
	s_or_b32 exec_lo, exec_lo, s64
	s_wait_dscnt 0x0
	s_barrier_signal -1
	s_barrier_wait -1
	s_and_saveexec_b32 s64, s15
	s_cbranch_execz .LBB18_787
; %bb.786:                              ;   in Loop: Header=BB18_3 Depth=1
	ds_load_b64 v[26:27], v3 offset:5976
	ds_load_b32 v2, v3 offset:5720
	s_wait_dscnt 0x0
	v_mul_f32_e32 v2, v2, v27
	s_delay_alu instid0(VALU_DEP_1)
	v_mul_f32_e32 v2, v26, v2
	v_add_nc_u32_e64 v26, 0x1400, 0
	ds_store_2addr_b32 v26, v2, v2 offset0:151 offset1:214
.LBB18_787:                             ;   in Loop: Header=BB18_3 Depth=1
	s_or_b32 exec_lo, exec_lo, s64
	v_mov_b32_e32 v2, 0
	s_wait_dscnt 0x0
	s_barrier_signal -1
	s_barrier_wait -1
	global_wb scope:SCOPE_DEV
	s_wait_storecnt 0x0
	global_inv scope:SCOPE_DEV
	s_and_saveexec_b32 s64, s0
	s_cbranch_execz .LBB18_791
; %bb.788:                              ;   in Loop: Header=BB18_3 Depth=1
	ds_load_b32 v2, v31 offset:5712
	ds_load_b32 v26, v30 offset:5976
	s_wait_dscnt 0x0
	v_fma_f32 v2, v2, v26, 0
	s_and_saveexec_b32 s65, s16
	s_cbranch_execz .LBB18_790
; %bb.789:                              ;   in Loop: Header=BB18_3 Depth=1
	ds_load_b32 v26, v49 offset:5968
	ds_load_b32 v27, v3 offset:5980
	s_wait_dscnt 0x0
	v_fmac_f32_e32 v2, v26, v27
.LBB18_790:                             ;   in Loop: Header=BB18_3 Depth=1
	s_or_b32 exec_lo, exec_lo, s65
.LBB18_791:                             ;   in Loop: Header=BB18_3 Depth=1
	s_delay_alu instid0(SALU_CYCLE_1)
	s_or_b32 exec_lo, exec_lo, s64
	s_and_saveexec_b32 s64, s91
	s_cbranch_execz .LBB18_793
; %bb.792:                              ;   in Loop: Header=BB18_3 Depth=1
	ds_load_b32 v26, v3 offset:5460
	s_wait_dscnt 0x0
	v_mul_f32_e32 v2, v2, v26
	s_delay_alu instid0(VALU_DEP_1)
	v_xor_b32_e32 v26, 0x80000000, v2
	ds_store_b32 v5, v26
.LBB18_793:                             ;   in Loop: Header=BB18_3 Depth=1
	s_or_b32 exec_lo, exec_lo, s64
	s_wait_loadcnt_dscnt 0x0
	s_barrier_signal -1
	s_barrier_wait -1
	s_and_saveexec_b32 s64, s92
	s_cbranch_execz .LBB18_795
; %bb.794:                              ;   in Loop: Header=BB18_3 Depth=1
	ds_load_b32 v26, v3 offset:5456
	ds_load_b32 v27, v5
	s_wait_dscnt 0x0
	v_fma_f32 v2, -v26, v27, v2
.LBB18_795:                             ;   in Loop: Header=BB18_3 Depth=1
	s_or_b32 exec_lo, exec_lo, s64
	s_barrier_signal -1
	s_barrier_wait -1
	s_and_saveexec_b32 s64, s92
	s_cbranch_execz .LBB18_797
; %bb.796:                              ;   in Loop: Header=BB18_3 Depth=1
	ds_load_b32 v26, v3 offset:5200
	s_wait_dscnt 0x0
	v_mul_f32_e32 v2, v2, v26
	s_delay_alu instid0(VALU_DEP_1)
	v_xor_b32_e32 v26, 0x80000000, v2
	ds_store_b32 v5, v26
.LBB18_797:                             ;   in Loop: Header=BB18_3 Depth=1
	s_or_b32 exec_lo, exec_lo, s64
	s_wait_dscnt 0x0
	s_barrier_signal -1
	s_barrier_wait -1
	s_barrier_signal -1
	s_barrier_wait -1
	s_and_saveexec_b32 s64, s0
; %bb.798:                              ;   in Loop: Header=BB18_3 Depth=1
	ds_store_b32 v33, v2 offset:5968
; %bb.799:                              ;   in Loop: Header=BB18_3 Depth=1
	s_or_b32 exec_lo, exec_lo, s64
	s_wait_dscnt 0x0
	s_barrier_signal -1
	s_barrier_wait -1
	s_barrier_signal -1
	s_barrier_wait -1
	s_and_saveexec_b32 s64, s93
	s_cbranch_execz .LBB18_801
; %bb.800:                              ;   in Loop: Header=BB18_3 Depth=1
	ds_load_b32 v2, v54 offset:5712
	s_wait_dscnt 0x0
	ds_store_b32 v49, v2 offset:5208
	ds_load_b32 v2, v54 offset:5716
	s_wait_dscnt 0x0
	ds_store_b32 v49, v2 offset:5464
.LBB18_801:                             ;   in Loop: Header=BB18_3 Depth=1
	s_or_b32 exec_lo, exec_lo, s64
	s_wait_dscnt 0x0
	s_barrier_signal -1
	s_barrier_wait -1
	s_and_saveexec_b32 s64, s15
	s_cbranch_execz .LBB18_803
; %bb.802:                              ;   in Loop: Header=BB18_3 Depth=1
	ds_load_b64 v[26:27], v3 offset:5456
	ds_load_b32 v2, v3 offset:5200
	s_wait_dscnt 0x0
	v_mul_f32_e32 v2, v2, v27
	s_delay_alu instid0(VALU_DEP_1)
	v_mul_f32_e32 v2, v26, v2
	v_add_nc_u32_e64 v26, 0x1400, 0
	ds_store_2addr_b32 v26, v2, v2 offset0:21 offset1:84
.LBB18_803:                             ;   in Loop: Header=BB18_3 Depth=1
	s_or_b32 exec_lo, exec_lo, s64
	v_mov_b32_e32 v2, 0
	s_wait_dscnt 0x0
	s_barrier_signal -1
	s_barrier_wait -1
	global_wb scope:SCOPE_DEV
	s_wait_storecnt 0x0
	global_inv scope:SCOPE_DEV
	s_and_saveexec_b32 s64, s2
	s_cbranch_execz .LBB18_809
; %bb.804:                              ;   in Loop: Header=BB18_3 Depth=1
	ds_load_b32 v2, v37 offset:5184
	ds_load_b32 v26, v36 offset:5968
	s_wait_dscnt 0x0
	v_fma_f32 v2, v2, v26, 0
	s_and_saveexec_b32 s65, s17
	s_cbranch_execnz .LBB18_1241
; %bb.805:                              ;   in Loop: Header=BB18_3 Depth=1
	s_or_b32 exec_lo, exec_lo, s65
	s_and_saveexec_b32 s65, s18
	s_cbranch_execnz .LBB18_1242
.LBB18_806:                             ;   in Loop: Header=BB18_3 Depth=1
	s_or_b32 exec_lo, exec_lo, s65
	s_and_saveexec_b32 s65, s0
	s_cbranch_execz .LBB18_808
.LBB18_807:                             ;   in Loop: Header=BB18_3 Depth=1
	ds_load_b32 v26, v55 offset:5952
	ds_load_b32 v27, v3 offset:5980
	s_wait_dscnt 0x0
	v_fmac_f32_e32 v2, v26, v27
.LBB18_808:                             ;   in Loop: Header=BB18_3 Depth=1
	s_or_b32 exec_lo, exec_lo, s65
.LBB18_809:                             ;   in Loop: Header=BB18_3 Depth=1
	s_delay_alu instid0(SALU_CYCLE_1)
	s_or_b32 exec_lo, exec_lo, s64
	s_and_saveexec_b32 s64, s94
	s_cbranch_execz .LBB18_811
; %bb.810:                              ;   in Loop: Header=BB18_3 Depth=1
	ds_load_b32 v26, v3 offset:4940
	s_wait_dscnt 0x0
	v_mul_f32_e32 v2, v2, v26
	s_delay_alu instid0(VALU_DEP_1)
	v_xor_b32_e32 v26, 0x80000000, v2
	ds_store_b32 v35, v26
.LBB18_811:                             ;   in Loop: Header=BB18_3 Depth=1
	s_or_b32 exec_lo, exec_lo, s64
	s_wait_loadcnt_dscnt 0x0
	s_barrier_signal -1
	s_barrier_wait -1
	s_and_saveexec_b32 s64, s95
	s_cbranch_execz .LBB18_813
; %bb.812:                              ;   in Loop: Header=BB18_3 Depth=1
	ds_load_b32 v26, v37 offset:4928
	ds_load_b32 v27, v35
	s_wait_dscnt 0x0
	v_fma_f32 v2, -v26, v27, v2
.LBB18_813:                             ;   in Loop: Header=BB18_3 Depth=1
	s_or_b32 exec_lo, exec_lo, s64
	s_barrier_signal -1
	s_barrier_wait -1
	s_and_saveexec_b32 s64, s96
	s_cbranch_execz .LBB18_815
; %bb.814:                              ;   in Loop: Header=BB18_3 Depth=1
	ds_load_b32 v26, v3 offset:4680
	s_wait_dscnt 0x0
	v_mul_f32_e32 v2, v2, v26
	s_delay_alu instid0(VALU_DEP_1)
	v_xor_b32_e32 v26, 0x80000000, v2
	ds_store_b32 v35, v26
.LBB18_815:                             ;   in Loop: Header=BB18_3 Depth=1
	s_or_b32 exec_lo, exec_lo, s64
	s_wait_dscnt 0x0
	s_barrier_signal -1
	s_barrier_wait -1
	s_and_saveexec_b32 s64, s97
	s_cbranch_execz .LBB18_817
; %bb.816:                              ;   in Loop: Header=BB18_3 Depth=1
	ds_load_b32 v26, v37 offset:4672
	ds_load_b32 v27, v35
	s_wait_dscnt 0x0
	v_fma_f32 v2, -v26, v27, v2
.LBB18_817:                             ;   in Loop: Header=BB18_3 Depth=1
	s_or_b32 exec_lo, exec_lo, s64
	s_barrier_signal -1
	s_barrier_wait -1
	s_and_saveexec_b32 s64, s98
	s_cbranch_execz .LBB18_819
; %bb.818:                              ;   in Loop: Header=BB18_3 Depth=1
	ds_load_b32 v26, v3 offset:4420
	s_wait_dscnt 0x0
	v_mul_f32_e32 v2, v2, v26
	s_delay_alu instid0(VALU_DEP_1)
	v_xor_b32_e32 v26, 0x80000000, v2
	ds_store_b32 v35, v26
.LBB18_819:                             ;   in Loop: Header=BB18_3 Depth=1
	s_or_b32 exec_lo, exec_lo, s64
	s_wait_dscnt 0x0
	;; [unrolled: 25-line block ×3, first 2 shown]
	s_barrier_signal -1
	s_barrier_wait -1
	s_barrier_signal -1
	s_barrier_wait -1
	s_and_saveexec_b32 s64, s2
; %bb.824:                              ;   in Loop: Header=BB18_3 Depth=1
	ds_store_b32 v41, v2 offset:5952
; %bb.825:                              ;   in Loop: Header=BB18_3 Depth=1
	s_or_b32 exec_lo, exec_lo, s64
	s_wait_dscnt 0x0
	s_barrier_signal -1
	s_barrier_wait -1
	s_barrier_signal -1
	s_barrier_wait -1
	s_and_saveexec_b32 s64, s100
	s_cbranch_execz .LBB18_827
; %bb.826:                              ;   in Loop: Header=BB18_3 Depth=1
	ds_load_b32 v2, v56 offset:5184
	s_wait_dscnt 0x0
	ds_store_b32 v57, v2 offset:4176
	ds_load_b32 v2, v56 offset:5188
	s_wait_dscnt 0x0
	ds_store_b32 v57, v2 offset:4432
	ds_load_b32 v2, v56 offset:5192
	s_wait_dscnt 0x0
	ds_store_b32 v57, v2 offset:4688
	ds_load_b32 v2, v56 offset:5196
	s_wait_dscnt 0x0
	ds_store_b32 v57, v2 offset:4944
.LBB18_827:                             ;   in Loop: Header=BB18_3 Depth=1
	s_or_b32 exec_lo, exec_lo, s64
	s_wait_dscnt 0x0
	s_barrier_signal -1
	s_barrier_wait -1
	s_and_saveexec_b32 s64, s15
	s_cbranch_execz .LBB18_829
; %bb.828:                              ;   in Loop: Header=BB18_3 Depth=1
	ds_load_b64 v[26:27], v3 offset:4936
	ds_load_b32 v2, v3 offset:4680
	s_wait_dscnt 0x0
	v_mul_f32_e32 v2, v2, v27
	s_delay_alu instid0(VALU_DEP_1)
	v_mul_f32_e32 v2, v26, v2
	v_add_nc_u32_e64 v26, 0x1000, 0
	ds_store_2addr_b32 v26, v2, v2 offset0:147 offset1:210
.LBB18_829:                             ;   in Loop: Header=BB18_3 Depth=1
	s_or_b32 exec_lo, exec_lo, s64
	v_mov_b32_e32 v2, 0
	s_wait_dscnt 0x0
	s_barrier_signal -1
	s_barrier_wait -1
	global_wb scope:SCOPE_DEV
	s_wait_storecnt 0x0
	global_inv scope:SCOPE_DEV
	s_and_saveexec_b32 s64, s0
	s_cbranch_execz .LBB18_833
; %bb.830:                              ;   in Loop: Header=BB18_3 Depth=1
	ds_load_b32 v2, v31 offset:4672
	ds_load_b32 v26, v30 offset:4936
	s_wait_dscnt 0x0
	v_fma_f32 v2, v2, v26, 0
	s_and_saveexec_b32 s65, s16
	s_cbranch_execz .LBB18_832
; %bb.831:                              ;   in Loop: Header=BB18_3 Depth=1
	ds_load_b32 v26, v57 offset:4928
	ds_load_b32 v27, v3 offset:4940
	s_wait_dscnt 0x0
	v_fmac_f32_e32 v2, v26, v27
.LBB18_832:                             ;   in Loop: Header=BB18_3 Depth=1
	s_or_b32 exec_lo, exec_lo, s65
.LBB18_833:                             ;   in Loop: Header=BB18_3 Depth=1
	s_delay_alu instid0(SALU_CYCLE_1)
	s_or_b32 exec_lo, exec_lo, s64
	s_and_saveexec_b32 s64, s91
	s_cbranch_execz .LBB18_835
; %bb.834:                              ;   in Loop: Header=BB18_3 Depth=1
	ds_load_b32 v26, v3 offset:4420
	s_wait_dscnt 0x0
	v_mul_f32_e32 v2, v2, v26
	s_delay_alu instid0(VALU_DEP_1)
	v_xor_b32_e32 v26, 0x80000000, v2
	ds_store_b32 v5, v26
.LBB18_835:                             ;   in Loop: Header=BB18_3 Depth=1
	s_or_b32 exec_lo, exec_lo, s64
	s_wait_loadcnt_dscnt 0x0
	s_barrier_signal -1
	s_barrier_wait -1
	s_and_saveexec_b32 s64, s92
	s_cbranch_execz .LBB18_837
; %bb.836:                              ;   in Loop: Header=BB18_3 Depth=1
	ds_load_b32 v26, v3 offset:4416
	ds_load_b32 v27, v5
	s_wait_dscnt 0x0
	v_fma_f32 v2, -v26, v27, v2
.LBB18_837:                             ;   in Loop: Header=BB18_3 Depth=1
	s_or_b32 exec_lo, exec_lo, s64
	s_barrier_signal -1
	s_barrier_wait -1
	s_and_saveexec_b32 s64, s92
	s_cbranch_execz .LBB18_839
; %bb.838:                              ;   in Loop: Header=BB18_3 Depth=1
	ds_load_b32 v26, v3 offset:4160
	s_wait_dscnt 0x0
	v_mul_f32_e32 v2, v2, v26
	s_delay_alu instid0(VALU_DEP_1)
	v_xor_b32_e32 v26, 0x80000000, v2
	ds_store_b32 v5, v26
.LBB18_839:                             ;   in Loop: Header=BB18_3 Depth=1
	s_or_b32 exec_lo, exec_lo, s64
	s_wait_dscnt 0x0
	s_barrier_signal -1
	s_barrier_wait -1
	s_barrier_signal -1
	s_barrier_wait -1
	s_and_saveexec_b32 s64, s0
; %bb.840:                              ;   in Loop: Header=BB18_3 Depth=1
	ds_store_b32 v33, v2 offset:4928
; %bb.841:                              ;   in Loop: Header=BB18_3 Depth=1
	s_or_b32 exec_lo, exec_lo, s64
	s_wait_dscnt 0x0
	s_barrier_signal -1
	s_barrier_wait -1
	s_barrier_signal -1
	s_barrier_wait -1
	s_and_saveexec_b32 s64, s93
	s_cbranch_execz .LBB18_843
; %bb.842:                              ;   in Loop: Header=BB18_3 Depth=1
	ds_load_b32 v2, v58 offset:4672
	s_wait_dscnt 0x0
	ds_store_b32 v57, v2 offset:4168
	ds_load_b32 v2, v58 offset:4676
	s_wait_dscnt 0x0
	ds_store_b32 v57, v2 offset:4424
.LBB18_843:                             ;   in Loop: Header=BB18_3 Depth=1
	s_or_b32 exec_lo, exec_lo, s64
	s_wait_dscnt 0x0
	s_barrier_signal -1
	s_barrier_wait -1
	s_and_saveexec_b32 s64, s15
	s_cbranch_execz .LBB18_845
; %bb.844:                              ;   in Loop: Header=BB18_3 Depth=1
	ds_load_b64 v[26:27], v3 offset:4416
	ds_load_b32 v2, v3 offset:4160
	s_wait_dscnt 0x0
	v_mul_f32_e32 v2, v2, v27
	s_delay_alu instid0(VALU_DEP_1)
	v_mul_f32_e32 v2, v26, v2
	v_add_nc_u32_e64 v26, 0x1000, 0
	ds_store_2addr_b32 v26, v2, v2 offset0:17 offset1:80
.LBB18_845:                             ;   in Loop: Header=BB18_3 Depth=1
	s_or_b32 exec_lo, exec_lo, s64
	v_mov_b32_e32 v2, 0
	s_wait_dscnt 0x0
	s_barrier_signal -1
	s_barrier_wait -1
	global_wb scope:SCOPE_DEV
	s_wait_storecnt 0x0
	global_inv scope:SCOPE_DEV
	s_and_saveexec_b32 s65, s4
	s_cbranch_execz .LBB18_873
; %bb.846:                              ;   in Loop: Header=BB18_3 Depth=1
	ds_load_b32 v2, v52 offset:4096
	ds_load_b32 v26, v51 offset:8000
	s_wait_dscnt 0x0
	v_fma_f32 v2, v2, v26, 0
	s_mov_b32 s64, exec_lo
	v_readlane_b32 s68, v85, 21
	s_and_b32 s68, s64, s68
	s_delay_alu instid0(SALU_CYCLE_1)
	s_mov_b32 exec_lo, s68
	s_cbranch_execz .LBB18_848
; %bb.847:                              ;   in Loop: Header=BB18_3 Depth=1
	ds_load_b32 v26, v52 offset:4352
	ds_load_b32 v27, v51 offset:8004
	s_wait_dscnt 0x0
	v_fmac_f32_e32 v2, v26, v27
.LBB18_848:                             ;   in Loop: Header=BB18_3 Depth=1
	s_or_b32 exec_lo, exec_lo, s64
	s_delay_alu instid0(SALU_CYCLE_1) | instskip(SKIP_2) | instid1(SALU_CYCLE_1)
	s_mov_b32 s64, exec_lo
	v_readlane_b32 s68, v85, 22
	s_and_b32 s68, s64, s68
	s_mov_b32 exec_lo, s68
	s_cbranch_execz .LBB18_850
; %bb.849:                              ;   in Loop: Header=BB18_3 Depth=1
	ds_load_b32 v26, v52 offset:4608
	ds_load_b32 v27, v51 offset:8008
	s_wait_dscnt 0x0
	v_fmac_f32_e32 v2, v26, v27
.LBB18_850:                             ;   in Loop: Header=BB18_3 Depth=1
	s_or_b32 exec_lo, exec_lo, s64
	s_delay_alu instid0(SALU_CYCLE_1) | instskip(SKIP_2) | instid1(SALU_CYCLE_1)
	s_mov_b32 s64, exec_lo
	v_readlane_b32 s68, v85, 23
	s_and_b32 s68, s64, s68
	;; [unrolled: 13-line block ×10, first 2 shown]
	s_mov_b32 exec_lo, s68
	s_cbranch_execnz .LBB18_1243
; %bb.867:                              ;   in Loop: Header=BB18_3 Depth=1
	s_or_b32 exec_lo, exec_lo, s64
	s_and_saveexec_b32 s64, s3
	s_cbranch_execnz .LBB18_1244
.LBB18_868:                             ;   in Loop: Header=BB18_3 Depth=1
	s_or_b32 exec_lo, exec_lo, s64
	s_and_saveexec_b32 s64, s20
	s_cbranch_execnz .LBB18_1245
.LBB18_869:                             ;   in Loop: Header=BB18_3 Depth=1
	s_or_b32 exec_lo, exec_lo, s64
	s_and_saveexec_b32 s64, s22
	s_cbranch_execnz .LBB18_1246
.LBB18_870:                             ;   in Loop: Header=BB18_3 Depth=1
	s_or_b32 exec_lo, exec_lo, s64
	s_and_saveexec_b32 s64, s2
	s_cbranch_execz .LBB18_872
.LBB18_871:                             ;   in Loop: Header=BB18_3 Depth=1
	ds_load_b32 v26, v32 offset:7936
	ds_load_b32 v27, v3 offset:8060
	s_wait_dscnt 0x0
	v_fmac_f32_e32 v2, v26, v27
.LBB18_872:                             ;   in Loop: Header=BB18_3 Depth=1
	s_or_b32 exec_lo, exec_lo, s64
.LBB18_873:                             ;   in Loop: Header=BB18_3 Depth=1
	s_delay_alu instid0(SALU_CYCLE_1)
	s_or_b32 exec_lo, exec_lo, s65
	s_and_saveexec_b32 s64, s46
	s_cbranch_execz .LBB18_875
; %bb.874:                              ;   in Loop: Header=BB18_3 Depth=1
	ds_load_b32 v26, v3 offset:3900
	s_wait_dscnt 0x0
	v_mul_f32_e32 v2, v2, v26
	s_delay_alu instid0(VALU_DEP_1)
	v_xor_b32_e32 v26, 0x80000000, v2
	ds_store_b32 v50, v26
.LBB18_875:                             ;   in Loop: Header=BB18_3 Depth=1
	s_or_b32 exec_lo, exec_lo, s64
	s_wait_loadcnt_dscnt 0x0
	s_barrier_signal -1
	s_barrier_wait -1
	s_and_saveexec_b32 s64, s47
	s_cbranch_execz .LBB18_877
; %bb.876:                              ;   in Loop: Header=BB18_3 Depth=1
	ds_load_b32 v26, v52 offset:3840
	ds_load_b32 v27, v50
	s_wait_dscnt 0x0
	v_fma_f32 v2, -v26, v27, v2
.LBB18_877:                             ;   in Loop: Header=BB18_3 Depth=1
	s_or_b32 exec_lo, exec_lo, s64
	s_barrier_signal -1
	s_barrier_wait -1
	s_and_saveexec_b32 s64, s48
	s_cbranch_execz .LBB18_879
; %bb.878:                              ;   in Loop: Header=BB18_3 Depth=1
	ds_load_b32 v26, v3 offset:3640
	s_wait_dscnt 0x0
	v_mul_f32_e32 v2, v2, v26
	s_delay_alu instid0(VALU_DEP_1)
	v_xor_b32_e32 v26, 0x80000000, v2
	ds_store_b32 v50, v26
.LBB18_879:                             ;   in Loop: Header=BB18_3 Depth=1
	s_or_b32 exec_lo, exec_lo, s64
	s_wait_dscnt 0x0
	s_barrier_signal -1
	s_barrier_wait -1
	s_and_saveexec_b32 s64, s49
	s_cbranch_execz .LBB18_881
; %bb.880:                              ;   in Loop: Header=BB18_3 Depth=1
	ds_load_b32 v26, v52 offset:3584
	ds_load_b32 v27, v50
	s_wait_dscnt 0x0
	v_fma_f32 v2, -v26, v27, v2
.LBB18_881:                             ;   in Loop: Header=BB18_3 Depth=1
	s_or_b32 exec_lo, exec_lo, s64
	s_barrier_signal -1
	s_barrier_wait -1
	s_and_saveexec_b32 s64, s50
	s_cbranch_execz .LBB18_883
; %bb.882:                              ;   in Loop: Header=BB18_3 Depth=1
	ds_load_b32 v26, v3 offset:3380
	s_wait_dscnt 0x0
	v_mul_f32_e32 v2, v2, v26
	s_delay_alu instid0(VALU_DEP_1)
	v_xor_b32_e32 v26, 0x80000000, v2
	ds_store_b32 v50, v26
.LBB18_883:                             ;   in Loop: Header=BB18_3 Depth=1
	s_or_b32 exec_lo, exec_lo, s64
	s_wait_dscnt 0x0
	;; [unrolled: 25-line block ×14, first 2 shown]
	s_barrier_signal -1
	s_barrier_wait -1
	s_and_saveexec_b32 s64, s11
	s_cbranch_execz .LBB18_933
; %bb.932:                              ;   in Loop: Header=BB18_3 Depth=1
	ds_load_b32 v26, v3 offset:256
	ds_load_b32 v27, v50
	s_wait_dscnt 0x0
	v_fma_f32 v2, -v26, v27, v2
.LBB18_933:                             ;   in Loop: Header=BB18_3 Depth=1
	s_or_b32 exec_lo, exec_lo, s64
	s_barrier_signal -1
	s_barrier_wait -1
	s_and_saveexec_b32 s64, s11
	s_cbranch_execz .LBB18_935
; %bb.934:                              ;   in Loop: Header=BB18_3 Depth=1
	ds_load_b32 v26, v3
	s_wait_dscnt 0x0
	v_mul_f32_e32 v2, v2, v26
	s_delay_alu instid0(VALU_DEP_1)
	v_xor_b32_e32 v26, 0x80000000, v2
	ds_store_b32 v50, v26
.LBB18_935:                             ;   in Loop: Header=BB18_3 Depth=1
	s_or_b32 exec_lo, exec_lo, s64
	s_wait_dscnt 0x0
	s_barrier_signal -1
	s_barrier_wait -1
	s_barrier_signal -1
	s_barrier_wait -1
	s_and_saveexec_b32 s64, s4
; %bb.936:                              ;   in Loop: Header=BB18_3 Depth=1
	ds_store_b32 v7, v2 offset:7936
; %bb.937:                              ;   in Loop: Header=BB18_3 Depth=1
	s_or_b32 exec_lo, exec_lo, s64
	s_wait_dscnt 0x0
	s_barrier_signal -1
	s_barrier_wait -1
	s_barrier_signal -1
	s_barrier_wait -1
	s_and_saveexec_b32 s64, s31
	s_cbranch_execz .LBB18_939
; %bb.938:                              ;   in Loop: Header=BB18_3 Depth=1
	ds_load_b32 v2, v34 offset:4096
	s_wait_dscnt 0x0
	ds_store_b32 v38, v2 offset:64
	ds_load_b32 v2, v34 offset:4100
	s_wait_dscnt 0x0
	ds_store_b32 v38, v2 offset:320
	;; [unrolled: 3-line block ×16, first 2 shown]
.LBB18_939:                             ;   in Loop: Header=BB18_3 Depth=1
	s_or_b32 exec_lo, exec_lo, s64
	s_wait_dscnt 0x0
	s_barrier_signal -1
	s_barrier_wait -1
	s_and_saveexec_b32 s64, s15
	s_cbranch_execz .LBB18_941
; %bb.940:                              ;   in Loop: Header=BB18_3 Depth=1
	ds_load_b64 v[26:27], v3 offset:3896
	ds_load_b32 v2, v3 offset:3640
	s_wait_dscnt 0x0
	v_mul_f32_e32 v2, v2, v27
	s_delay_alu instid0(VALU_DEP_1)
	v_mul_f32_e32 v2, v26, v2
	v_add_nc_u32_e64 v26, 0xc00, 0
	ds_store_2addr_b32 v26, v2, v2 offset0:143 offset1:206
.LBB18_941:                             ;   in Loop: Header=BB18_3 Depth=1
	s_or_b32 exec_lo, exec_lo, s64
	v_mov_b32_e32 v2, 0
	s_wait_dscnt 0x0
	s_barrier_signal -1
	s_barrier_wait -1
	global_wb scope:SCOPE_DEV
	s_wait_storecnt 0x0
	global_inv scope:SCOPE_DEV
	s_and_saveexec_b32 s64, s0
	s_cbranch_execz .LBB18_945
; %bb.942:                              ;   in Loop: Header=BB18_3 Depth=1
	ds_load_b32 v2, v31 offset:3632
	ds_load_b32 v26, v30 offset:3896
	s_wait_dscnt 0x0
	v_fma_f32 v2, v2, v26, 0
	s_and_saveexec_b32 s65, s16
	s_cbranch_execz .LBB18_944
; %bb.943:                              ;   in Loop: Header=BB18_3 Depth=1
	ds_load_b32 v26, v32 offset:3888
	ds_load_b32 v27, v3 offset:3900
	s_wait_dscnt 0x0
	v_fmac_f32_e32 v2, v26, v27
.LBB18_944:                             ;   in Loop: Header=BB18_3 Depth=1
	s_or_b32 exec_lo, exec_lo, s65
.LBB18_945:                             ;   in Loop: Header=BB18_3 Depth=1
	s_delay_alu instid0(SALU_CYCLE_1)
	s_or_b32 exec_lo, exec_lo, s64
	s_and_saveexec_b32 s64, s91
	s_cbranch_execz .LBB18_947
; %bb.946:                              ;   in Loop: Header=BB18_3 Depth=1
	ds_load_b32 v26, v3 offset:3380
	s_wait_dscnt 0x0
	v_mul_f32_e32 v2, v2, v26
	s_delay_alu instid0(VALU_DEP_1)
	v_xor_b32_e32 v26, 0x80000000, v2
	ds_store_b32 v5, v26
.LBB18_947:                             ;   in Loop: Header=BB18_3 Depth=1
	s_or_b32 exec_lo, exec_lo, s64
	s_wait_loadcnt_dscnt 0x0
	s_barrier_signal -1
	s_barrier_wait -1
	s_and_saveexec_b32 s64, s92
	s_cbranch_execz .LBB18_949
; %bb.948:                              ;   in Loop: Header=BB18_3 Depth=1
	ds_load_b32 v26, v3 offset:3376
	ds_load_b32 v27, v5
	s_wait_dscnt 0x0
	v_fma_f32 v2, -v26, v27, v2
.LBB18_949:                             ;   in Loop: Header=BB18_3 Depth=1
	s_or_b32 exec_lo, exec_lo, s64
	s_barrier_signal -1
	s_barrier_wait -1
	s_and_saveexec_b32 s64, s92
	s_cbranch_execz .LBB18_951
; %bb.950:                              ;   in Loop: Header=BB18_3 Depth=1
	ds_load_b32 v26, v3 offset:3120
	s_wait_dscnt 0x0
	v_mul_f32_e32 v2, v2, v26
	s_delay_alu instid0(VALU_DEP_1)
	v_xor_b32_e32 v26, 0x80000000, v2
	ds_store_b32 v5, v26
.LBB18_951:                             ;   in Loop: Header=BB18_3 Depth=1
	s_or_b32 exec_lo, exec_lo, s64
	s_wait_dscnt 0x0
	s_barrier_signal -1
	s_barrier_wait -1
	s_barrier_signal -1
	s_barrier_wait -1
	s_and_saveexec_b32 s64, s0
; %bb.952:                              ;   in Loop: Header=BB18_3 Depth=1
	ds_store_b32 v33, v2 offset:3888
; %bb.953:                              ;   in Loop: Header=BB18_3 Depth=1
	s_or_b32 exec_lo, exec_lo, s64
	s_wait_dscnt 0x0
	s_barrier_signal -1
	s_barrier_wait -1
	s_barrier_signal -1
	s_barrier_wait -1
	s_and_saveexec_b32 s64, s93
	s_cbranch_execz .LBB18_955
; %bb.954:                              ;   in Loop: Header=BB18_3 Depth=1
	ds_load_b32 v2, v34 offset:3632
	s_wait_dscnt 0x0
	ds_store_b32 v32, v2 offset:3128
	ds_load_b32 v2, v34 offset:3636
	s_wait_dscnt 0x0
	ds_store_b32 v32, v2 offset:3384
.LBB18_955:                             ;   in Loop: Header=BB18_3 Depth=1
	s_or_b32 exec_lo, exec_lo, s64
	s_wait_dscnt 0x0
	s_barrier_signal -1
	s_barrier_wait -1
	s_and_saveexec_b32 s64, s15
	s_cbranch_execz .LBB18_957
; %bb.956:                              ;   in Loop: Header=BB18_3 Depth=1
	ds_load_b64 v[26:27], v3 offset:3376
	ds_load_b32 v2, v3 offset:3120
	s_wait_dscnt 0x0
	v_mul_f32_e32 v2, v2, v27
	s_delay_alu instid0(VALU_DEP_1)
	v_mul_f32_e32 v2, v26, v2
	v_add_nc_u32_e64 v26, 0xc00, 0
	ds_store_2addr_b32 v26, v2, v2 offset0:13 offset1:76
.LBB18_957:                             ;   in Loop: Header=BB18_3 Depth=1
	s_or_b32 exec_lo, exec_lo, s64
	v_mov_b32_e32 v2, 0
	s_wait_dscnt 0x0
	s_barrier_signal -1
	s_barrier_wait -1
	global_wb scope:SCOPE_DEV
	s_wait_storecnt 0x0
	global_inv scope:SCOPE_DEV
	s_and_saveexec_b32 s64, s2
	s_cbranch_execz .LBB18_963
; %bb.958:                              ;   in Loop: Header=BB18_3 Depth=1
	ds_load_b32 v2, v37 offset:3104
	ds_load_b32 v26, v36 offset:3888
	s_wait_dscnt 0x0
	v_fma_f32 v2, v2, v26, 0
	s_and_saveexec_b32 s65, s17
	s_cbranch_execnz .LBB18_1247
; %bb.959:                              ;   in Loop: Header=BB18_3 Depth=1
	s_or_b32 exec_lo, exec_lo, s65
	s_and_saveexec_b32 s65, s18
	s_cbranch_execnz .LBB18_1248
.LBB18_960:                             ;   in Loop: Header=BB18_3 Depth=1
	s_or_b32 exec_lo, exec_lo, s65
	s_and_saveexec_b32 s65, s0
	s_cbranch_execz .LBB18_962
.LBB18_961:                             ;   in Loop: Header=BB18_3 Depth=1
	ds_load_b32 v26, v38 offset:3872
	ds_load_b32 v27, v3 offset:3900
	s_wait_dscnt 0x0
	v_fmac_f32_e32 v2, v26, v27
.LBB18_962:                             ;   in Loop: Header=BB18_3 Depth=1
	s_or_b32 exec_lo, exec_lo, s65
.LBB18_963:                             ;   in Loop: Header=BB18_3 Depth=1
	s_delay_alu instid0(SALU_CYCLE_1)
	s_or_b32 exec_lo, exec_lo, s64
	s_and_saveexec_b32 s64, s94
	s_cbranch_execz .LBB18_965
; %bb.964:                              ;   in Loop: Header=BB18_3 Depth=1
	ds_load_b32 v26, v3 offset:2860
	s_wait_dscnt 0x0
	v_mul_f32_e32 v2, v2, v26
	s_delay_alu instid0(VALU_DEP_1)
	v_xor_b32_e32 v26, 0x80000000, v2
	ds_store_b32 v35, v26
.LBB18_965:                             ;   in Loop: Header=BB18_3 Depth=1
	s_or_b32 exec_lo, exec_lo, s64
	s_wait_loadcnt_dscnt 0x0
	s_barrier_signal -1
	s_barrier_wait -1
	s_and_saveexec_b32 s64, s95
	s_cbranch_execz .LBB18_967
; %bb.966:                              ;   in Loop: Header=BB18_3 Depth=1
	ds_load_b32 v26, v37 offset:2848
	ds_load_b32 v27, v35
	s_wait_dscnt 0x0
	v_fma_f32 v2, -v26, v27, v2
.LBB18_967:                             ;   in Loop: Header=BB18_3 Depth=1
	s_or_b32 exec_lo, exec_lo, s64
	s_barrier_signal -1
	s_barrier_wait -1
	s_and_saveexec_b32 s64, s96
	s_cbranch_execz .LBB18_969
; %bb.968:                              ;   in Loop: Header=BB18_3 Depth=1
	ds_load_b32 v26, v3 offset:2600
	s_wait_dscnt 0x0
	v_mul_f32_e32 v2, v2, v26
	s_delay_alu instid0(VALU_DEP_1)
	v_xor_b32_e32 v26, 0x80000000, v2
	ds_store_b32 v35, v26
.LBB18_969:                             ;   in Loop: Header=BB18_3 Depth=1
	s_or_b32 exec_lo, exec_lo, s64
	s_wait_dscnt 0x0
	s_barrier_signal -1
	s_barrier_wait -1
	s_and_saveexec_b32 s64, s97
	s_cbranch_execz .LBB18_971
; %bb.970:                              ;   in Loop: Header=BB18_3 Depth=1
	ds_load_b32 v26, v37 offset:2592
	ds_load_b32 v27, v35
	s_wait_dscnt 0x0
	v_fma_f32 v2, -v26, v27, v2
.LBB18_971:                             ;   in Loop: Header=BB18_3 Depth=1
	s_or_b32 exec_lo, exec_lo, s64
	s_barrier_signal -1
	s_barrier_wait -1
	s_and_saveexec_b32 s64, s98
	s_cbranch_execz .LBB18_973
; %bb.972:                              ;   in Loop: Header=BB18_3 Depth=1
	ds_load_b32 v26, v3 offset:2340
	s_wait_dscnt 0x0
	v_mul_f32_e32 v2, v2, v26
	s_delay_alu instid0(VALU_DEP_1)
	v_xor_b32_e32 v26, 0x80000000, v2
	ds_store_b32 v35, v26
.LBB18_973:                             ;   in Loop: Header=BB18_3 Depth=1
	s_or_b32 exec_lo, exec_lo, s64
	s_wait_dscnt 0x0
	;; [unrolled: 25-line block ×3, first 2 shown]
	s_barrier_signal -1
	s_barrier_wait -1
	s_barrier_signal -1
	s_barrier_wait -1
	s_and_saveexec_b32 s64, s2
; %bb.978:                              ;   in Loop: Header=BB18_3 Depth=1
	ds_store_b32 v41, v2 offset:3872
; %bb.979:                              ;   in Loop: Header=BB18_3 Depth=1
	s_or_b32 exec_lo, exec_lo, s64
	s_wait_dscnt 0x0
	s_barrier_signal -1
	s_barrier_wait -1
	s_barrier_signal -1
	s_barrier_wait -1
	s_and_saveexec_b32 s64, s100
	s_cbranch_execz .LBB18_981
; %bb.980:                              ;   in Loop: Header=BB18_3 Depth=1
	ds_load_b32 v2, v39 offset:3104
	s_wait_dscnt 0x0
	ds_store_b32 v40, v2 offset:2096
	ds_load_b32 v2, v39 offset:3108
	s_wait_dscnt 0x0
	ds_store_b32 v40, v2 offset:2352
	ds_load_b32 v2, v39 offset:3112
	s_wait_dscnt 0x0
	ds_store_b32 v40, v2 offset:2608
	ds_load_b32 v2, v39 offset:3116
	s_wait_dscnt 0x0
	ds_store_b32 v40, v2 offset:2864
.LBB18_981:                             ;   in Loop: Header=BB18_3 Depth=1
	s_or_b32 exec_lo, exec_lo, s64
	s_wait_dscnt 0x0
	s_barrier_signal -1
	s_barrier_wait -1
	s_and_saveexec_b32 s64, s15
	s_cbranch_execz .LBB18_983
; %bb.982:                              ;   in Loop: Header=BB18_3 Depth=1
	ds_load_b64 v[26:27], v3 offset:2856
	ds_load_b32 v2, v3 offset:2600
	s_wait_dscnt 0x0
	v_mul_f32_e32 v2, v2, v27
	s_delay_alu instid0(VALU_DEP_1)
	v_mul_f32_e32 v2, v26, v2
	v_add_nc_u32_e64 v26, 0x800, 0
	ds_store_2addr_b32 v26, v2, v2 offset0:139 offset1:202
.LBB18_983:                             ;   in Loop: Header=BB18_3 Depth=1
	s_or_b32 exec_lo, exec_lo, s64
	v_mov_b32_e32 v2, 0
	s_wait_dscnt 0x0
	s_barrier_signal -1
	s_barrier_wait -1
	global_wb scope:SCOPE_DEV
	s_wait_storecnt 0x0
	global_inv scope:SCOPE_DEV
	s_and_saveexec_b32 s64, s0
	s_cbranch_execz .LBB18_987
; %bb.984:                              ;   in Loop: Header=BB18_3 Depth=1
	ds_load_b32 v2, v31 offset:2592
	ds_load_b32 v26, v30 offset:2856
	s_wait_dscnt 0x0
	v_fma_f32 v2, v2, v26, 0
	s_and_saveexec_b32 s65, s16
	s_cbranch_execz .LBB18_986
; %bb.985:                              ;   in Loop: Header=BB18_3 Depth=1
	ds_load_b32 v26, v40 offset:2848
	ds_load_b32 v27, v3 offset:2860
	s_wait_dscnt 0x0
	v_fmac_f32_e32 v2, v26, v27
.LBB18_986:                             ;   in Loop: Header=BB18_3 Depth=1
	s_or_b32 exec_lo, exec_lo, s65
.LBB18_987:                             ;   in Loop: Header=BB18_3 Depth=1
	s_delay_alu instid0(SALU_CYCLE_1)
	s_or_b32 exec_lo, exec_lo, s64
	s_and_saveexec_b32 s64, s91
	s_cbranch_execz .LBB18_989
; %bb.988:                              ;   in Loop: Header=BB18_3 Depth=1
	ds_load_b32 v26, v3 offset:2340
	s_wait_dscnt 0x0
	v_mul_f32_e32 v2, v2, v26
	s_delay_alu instid0(VALU_DEP_1)
	v_xor_b32_e32 v26, 0x80000000, v2
	ds_store_b32 v5, v26
.LBB18_989:                             ;   in Loop: Header=BB18_3 Depth=1
	s_or_b32 exec_lo, exec_lo, s64
	s_wait_loadcnt_dscnt 0x0
	s_barrier_signal -1
	s_barrier_wait -1
	s_and_saveexec_b32 s64, s92
	s_cbranch_execz .LBB18_991
; %bb.990:                              ;   in Loop: Header=BB18_3 Depth=1
	ds_load_b32 v26, v3 offset:2336
	ds_load_b32 v27, v5
	s_wait_dscnt 0x0
	v_fma_f32 v2, -v26, v27, v2
.LBB18_991:                             ;   in Loop: Header=BB18_3 Depth=1
	s_or_b32 exec_lo, exec_lo, s64
	s_barrier_signal -1
	s_barrier_wait -1
	s_and_saveexec_b32 s64, s92
	s_cbranch_execz .LBB18_993
; %bb.992:                              ;   in Loop: Header=BB18_3 Depth=1
	ds_load_b32 v26, v3 offset:2080
	s_wait_dscnt 0x0
	v_mul_f32_e32 v2, v2, v26
	s_delay_alu instid0(VALU_DEP_1)
	v_xor_b32_e32 v26, 0x80000000, v2
	ds_store_b32 v5, v26
.LBB18_993:                             ;   in Loop: Header=BB18_3 Depth=1
	s_or_b32 exec_lo, exec_lo, s64
	s_wait_dscnt 0x0
	s_barrier_signal -1
	s_barrier_wait -1
	s_barrier_signal -1
	s_barrier_wait -1
	s_and_saveexec_b32 s64, s0
; %bb.994:                              ;   in Loop: Header=BB18_3 Depth=1
	ds_store_b32 v33, v2 offset:2848
; %bb.995:                              ;   in Loop: Header=BB18_3 Depth=1
	s_or_b32 exec_lo, exec_lo, s64
	s_wait_dscnt 0x0
	s_barrier_signal -1
	s_barrier_wait -1
	s_barrier_signal -1
	s_barrier_wait -1
	s_and_saveexec_b32 s64, s93
	s_cbranch_execz .LBB18_997
; %bb.996:                              ;   in Loop: Header=BB18_3 Depth=1
	ds_load_b32 v2, v42 offset:2592
	s_wait_dscnt 0x0
	ds_store_b32 v40, v2 offset:2088
	ds_load_b32 v2, v42 offset:2596
	s_wait_dscnt 0x0
	ds_store_b32 v40, v2 offset:2344
.LBB18_997:                             ;   in Loop: Header=BB18_3 Depth=1
	s_or_b32 exec_lo, exec_lo, s64
	s_wait_dscnt 0x0
	s_barrier_signal -1
	s_barrier_wait -1
	s_and_saveexec_b32 s64, s15
	s_cbranch_execz .LBB18_999
; %bb.998:                              ;   in Loop: Header=BB18_3 Depth=1
	ds_load_b64 v[26:27], v3 offset:2336
	ds_load_b32 v2, v3 offset:2080
	s_wait_dscnt 0x0
	v_mul_f32_e32 v2, v2, v27
	s_delay_alu instid0(VALU_DEP_1)
	v_mul_f32_e32 v2, v26, v2
	v_add_nc_u32_e64 v26, 0x800, 0
	ds_store_2addr_b32 v26, v2, v2 offset0:9 offset1:72
.LBB18_999:                             ;   in Loop: Header=BB18_3 Depth=1
	s_or_b32 exec_lo, exec_lo, s64
	v_mov_b32_e32 v2, 0
	s_wait_dscnt 0x0
	s_barrier_signal -1
	s_barrier_wait -1
	global_wb scope:SCOPE_DEV
	s_wait_storecnt 0x0
	global_inv scope:SCOPE_DEV
	s_and_saveexec_b32 s64, s3
	s_cbranch_execz .LBB18_1009
; %bb.1000:                             ;   in Loop: Header=BB18_3 Depth=1
	ds_load_b32 v2, v45 offset:2048
	ds_load_b32 v26, v44 offset:3872
	s_wait_dscnt 0x0
	v_fma_f32 v2, v2, v26, 0
	s_and_saveexec_b32 s65, s19
	s_cbranch_execnz .LBB18_1249
; %bb.1001:                             ;   in Loop: Header=BB18_3 Depth=1
	s_or_b32 exec_lo, exec_lo, s65
	s_and_saveexec_b32 s65, s20
	s_cbranch_execnz .LBB18_1250
.LBB18_1002:                            ;   in Loop: Header=BB18_3 Depth=1
	s_or_b32 exec_lo, exec_lo, s65
	s_and_saveexec_b32 s65, s21
	s_cbranch_execnz .LBB18_1251
.LBB18_1003:                            ;   in Loop: Header=BB18_3 Depth=1
	s_or_b32 exec_lo, exec_lo, s65
	s_and_saveexec_b32 s65, s22
	s_cbranch_execnz .LBB18_1252
.LBB18_1004:                            ;   in Loop: Header=BB18_3 Depth=1
	s_or_b32 exec_lo, exec_lo, s65
	s_and_saveexec_b32 s65, s23
	s_cbranch_execnz .LBB18_1253
.LBB18_1005:                            ;   in Loop: Header=BB18_3 Depth=1
	s_or_b32 exec_lo, exec_lo, s65
	s_and_saveexec_b32 s65, s2
	s_cbranch_execnz .LBB18_1254
.LBB18_1006:                            ;   in Loop: Header=BB18_3 Depth=1
	s_or_b32 exec_lo, exec_lo, s65
	s_and_saveexec_b32 s65, s18
	s_cbranch_execz .LBB18_1008
.LBB18_1007:                            ;   in Loop: Header=BB18_3 Depth=1
	ds_load_b32 v26, v46 offset:3840
	ds_load_b32 v27, v3 offset:3900
	s_wait_dscnt 0x0
	v_fmac_f32_e32 v2, v26, v27
.LBB18_1008:                            ;   in Loop: Header=BB18_3 Depth=1
	s_or_b32 exec_lo, exec_lo, s65
.LBB18_1009:                            ;   in Loop: Header=BB18_3 Depth=1
	s_delay_alu instid0(SALU_CYCLE_1)
	s_or_b32 exec_lo, exec_lo, s64
	s_and_saveexec_b32 s64, s101
	s_cbranch_execz .LBB18_1011
; %bb.1010:                             ;   in Loop: Header=BB18_3 Depth=1
	ds_load_b32 v26, v3 offset:1820
	s_wait_dscnt 0x0
	v_mul_f32_e32 v2, v2, v26
	s_delay_alu instid0(VALU_DEP_1)
	v_xor_b32_e32 v26, 0x80000000, v2
	ds_store_b32 v43, v26
.LBB18_1011:                            ;   in Loop: Header=BB18_3 Depth=1
	s_or_b32 exec_lo, exec_lo, s64
	s_wait_loadcnt_dscnt 0x0
	s_barrier_signal -1
	s_barrier_wait -1
	s_and_saveexec_b32 s64, s102
	s_cbranch_execz .LBB18_1013
; %bb.1012:                             ;   in Loop: Header=BB18_3 Depth=1
	ds_load_b32 v26, v45 offset:1792
	ds_load_b32 v27, v43
	s_wait_dscnt 0x0
	v_fma_f32 v2, -v26, v27, v2
.LBB18_1013:                            ;   in Loop: Header=BB18_3 Depth=1
	s_or_b32 exec_lo, exec_lo, s64
	s_barrier_signal -1
	s_barrier_wait -1
	s_and_saveexec_b32 s64, s103
	s_cbranch_execz .LBB18_1015
; %bb.1014:                             ;   in Loop: Header=BB18_3 Depth=1
	ds_load_b32 v26, v3 offset:1560
	s_wait_dscnt 0x0
	v_mul_f32_e32 v2, v2, v26
	s_delay_alu instid0(VALU_DEP_1)
	v_xor_b32_e32 v26, 0x80000000, v2
	ds_store_b32 v43, v26
.LBB18_1015:                            ;   in Loop: Header=BB18_3 Depth=1
	s_or_b32 exec_lo, exec_lo, s64
	s_wait_dscnt 0x0
	s_barrier_signal -1
	s_barrier_wait -1
	s_and_saveexec_b32 s64, s104
	s_cbranch_execz .LBB18_1017
; %bb.1016:                             ;   in Loop: Header=BB18_3 Depth=1
	ds_load_b32 v26, v45 offset:1536
	ds_load_b32 v27, v43
	s_wait_dscnt 0x0
	v_fma_f32 v2, -v26, v27, v2
.LBB18_1017:                            ;   in Loop: Header=BB18_3 Depth=1
	s_or_b32 exec_lo, exec_lo, s64
	s_barrier_signal -1
	s_barrier_wait -1
	s_and_saveexec_b32 s64, vcc_hi
	s_cbranch_execz .LBB18_1019
; %bb.1018:                             ;   in Loop: Header=BB18_3 Depth=1
	ds_load_b32 v26, v3 offset:1300
	s_wait_dscnt 0x0
	v_mul_f32_e32 v2, v2, v26
	s_delay_alu instid0(VALU_DEP_1)
	v_xor_b32_e32 v26, 0x80000000, v2
	ds_store_b32 v43, v26
.LBB18_1019:                            ;   in Loop: Header=BB18_3 Depth=1
	s_or_b32 exec_lo, exec_lo, s64
	s_wait_dscnt 0x0
	s_barrier_signal -1
	s_barrier_wait -1
	s_and_saveexec_b32 s64, s36
	s_cbranch_execz .LBB18_1021
; %bb.1020:                             ;   in Loop: Header=BB18_3 Depth=1
	ds_load_b32 v26, v45 offset:1280
	ds_load_b32 v27, v43
	s_wait_dscnt 0x0
	v_fma_f32 v2, -v26, v27, v2
.LBB18_1021:                            ;   in Loop: Header=BB18_3 Depth=1
	s_or_b32 exec_lo, exec_lo, s64
	s_barrier_signal -1
	s_barrier_wait -1
	s_and_saveexec_b32 s64, s37
	s_cbranch_execz .LBB18_1023
; %bb.1022:                             ;   in Loop: Header=BB18_3 Depth=1
	ds_load_b32 v26, v3 offset:1040
	s_wait_dscnt 0x0
	v_mul_f32_e32 v2, v2, v26
	s_delay_alu instid0(VALU_DEP_1)
	v_xor_b32_e32 v26, 0x80000000, v2
	ds_store_b32 v43, v26
.LBB18_1023:                            ;   in Loop: Header=BB18_3 Depth=1
	s_or_b32 exec_lo, exec_lo, s64
	s_wait_dscnt 0x0
	s_barrier_signal -1
	s_barrier_wait -1
	s_and_saveexec_b32 s64, s38
	s_cbranch_execz .LBB18_1025
; %bb.1024:                             ;   in Loop: Header=BB18_3 Depth=1
	ds_load_b32 v26, v45 offset:1024
	ds_load_b32 v27, v43
	s_wait_dscnt 0x0
	v_fma_f32 v2, -v26, v27, v2
.LBB18_1025:                            ;   in Loop: Header=BB18_3 Depth=1
	s_or_b32 exec_lo, exec_lo, s64
	s_barrier_signal -1
	s_barrier_wait -1
	s_and_saveexec_b32 s64, s39
	;; [unrolled: 25-line block ×5, first 2 shown]
	s_cbranch_execz .LBB18_1039
; %bb.1038:                             ;   in Loop: Header=BB18_3 Depth=1
	ds_load_b32 v26, v3
	s_wait_dscnt 0x0
	v_mul_f32_e32 v2, v2, v26
	s_delay_alu instid0(VALU_DEP_1)
	v_xor_b32_e32 v26, 0x80000000, v2
	ds_store_b32 v43, v26
.LBB18_1039:                            ;   in Loop: Header=BB18_3 Depth=1
	s_or_b32 exec_lo, exec_lo, s64
	s_wait_dscnt 0x0
	s_barrier_signal -1
	s_barrier_wait -1
	s_barrier_signal -1
	s_barrier_wait -1
	s_and_saveexec_b32 s64, s3
; %bb.1040:                             ;   in Loop: Header=BB18_3 Depth=1
	ds_store_b32 v48, v2 offset:3840
; %bb.1041:                             ;   in Loop: Header=BB18_3 Depth=1
	s_or_b32 exec_lo, exec_lo, s64
	s_wait_dscnt 0x0
	s_barrier_signal -1
	s_barrier_wait -1
	s_barrier_signal -1
	s_barrier_wait -1
	s_and_saveexec_b32 s64, s45
	s_cbranch_execz .LBB18_1043
; %bb.1042:                             ;   in Loop: Header=BB18_3 Depth=1
	ds_load_b32 v2, v47 offset:2048
	s_wait_dscnt 0x0
	ds_store_b32 v49, v2 offset:32
	ds_load_b32 v2, v47 offset:2052
	s_wait_dscnt 0x0
	ds_store_b32 v49, v2 offset:288
	;; [unrolled: 3-line block ×8, first 2 shown]
.LBB18_1043:                            ;   in Loop: Header=BB18_3 Depth=1
	s_or_b32 exec_lo, exec_lo, s64
	s_wait_dscnt 0x0
	s_barrier_signal -1
	s_barrier_wait -1
	s_and_saveexec_b32 s64, s15
	s_cbranch_execz .LBB18_1045
; %bb.1044:                             ;   in Loop: Header=BB18_3 Depth=1
	ds_load_b64 v[26:27], v3 offset:1816
	ds_load_b32 v2, v3 offset:1560
	s_wait_dscnt 0x0
	v_mul_f32_e32 v2, v2, v27
	s_delay_alu instid0(VALU_DEP_1)
	v_mul_f32_e32 v2, v26, v2
	v_add_nc_u32_e64 v26, 0x400, 0
	ds_store_2addr_b32 v26, v2, v2 offset0:135 offset1:198
.LBB18_1045:                            ;   in Loop: Header=BB18_3 Depth=1
	s_or_b32 exec_lo, exec_lo, s64
	v_mov_b32_e32 v2, 0
	s_wait_dscnt 0x0
	s_barrier_signal -1
	s_barrier_wait -1
	global_wb scope:SCOPE_DEV
	s_wait_storecnt 0x0
	global_inv scope:SCOPE_DEV
	s_and_saveexec_b32 s64, s0
	s_cbranch_execz .LBB18_1049
; %bb.1046:                             ;   in Loop: Header=BB18_3 Depth=1
	ds_load_b32 v2, v31 offset:1552
	ds_load_b32 v26, v30 offset:1816
	s_wait_dscnt 0x0
	v_fma_f32 v2, v2, v26, 0
	s_and_saveexec_b32 s65, s16
	s_cbranch_execz .LBB18_1048
; %bb.1047:                             ;   in Loop: Header=BB18_3 Depth=1
	ds_load_b32 v26, v49 offset:1808
	ds_load_b32 v27, v3 offset:1820
	s_wait_dscnt 0x0
	v_fmac_f32_e32 v2, v26, v27
.LBB18_1048:                            ;   in Loop: Header=BB18_3 Depth=1
	s_or_b32 exec_lo, exec_lo, s65
.LBB18_1049:                            ;   in Loop: Header=BB18_3 Depth=1
	s_delay_alu instid0(SALU_CYCLE_1)
	s_or_b32 exec_lo, exec_lo, s64
	s_and_saveexec_b32 s64, s91
	s_cbranch_execz .LBB18_1051
; %bb.1050:                             ;   in Loop: Header=BB18_3 Depth=1
	ds_load_b32 v26, v3 offset:1300
	s_wait_dscnt 0x0
	v_mul_f32_e32 v2, v2, v26
	s_delay_alu instid0(VALU_DEP_1)
	v_xor_b32_e32 v26, 0x80000000, v2
	ds_store_b32 v5, v26
.LBB18_1051:                            ;   in Loop: Header=BB18_3 Depth=1
	s_or_b32 exec_lo, exec_lo, s64
	s_wait_loadcnt_dscnt 0x0
	s_barrier_signal -1
	s_barrier_wait -1
	s_and_saveexec_b32 s64, s92
	s_cbranch_execz .LBB18_1053
; %bb.1052:                             ;   in Loop: Header=BB18_3 Depth=1
	ds_load_b32 v26, v3 offset:1296
	ds_load_b32 v27, v5
	s_wait_dscnt 0x0
	v_fma_f32 v2, -v26, v27, v2
.LBB18_1053:                            ;   in Loop: Header=BB18_3 Depth=1
	s_or_b32 exec_lo, exec_lo, s64
	s_barrier_signal -1
	s_barrier_wait -1
	s_and_saveexec_b32 s64, s92
	s_cbranch_execz .LBB18_1055
; %bb.1054:                             ;   in Loop: Header=BB18_3 Depth=1
	ds_load_b32 v26, v3 offset:1040
	s_wait_dscnt 0x0
	v_mul_f32_e32 v2, v2, v26
	s_delay_alu instid0(VALU_DEP_1)
	v_xor_b32_e32 v26, 0x80000000, v2
	ds_store_b32 v5, v26
.LBB18_1055:                            ;   in Loop: Header=BB18_3 Depth=1
	s_or_b32 exec_lo, exec_lo, s64
	s_wait_dscnt 0x0
	s_barrier_signal -1
	s_barrier_wait -1
	s_barrier_signal -1
	s_barrier_wait -1
	s_and_saveexec_b32 s64, s0
; %bb.1056:                             ;   in Loop: Header=BB18_3 Depth=1
	ds_store_b32 v33, v2 offset:1808
; %bb.1057:                             ;   in Loop: Header=BB18_3 Depth=1
	s_or_b32 exec_lo, exec_lo, s64
	s_wait_dscnt 0x0
	s_barrier_signal -1
	s_barrier_wait -1
	s_barrier_signal -1
	s_barrier_wait -1
	s_and_saveexec_b32 s64, s93
	s_cbranch_execz .LBB18_1059
; %bb.1058:                             ;   in Loop: Header=BB18_3 Depth=1
	ds_load_b32 v2, v54 offset:1552
	s_wait_dscnt 0x0
	ds_store_b32 v49, v2 offset:1048
	ds_load_b32 v2, v54 offset:1556
	s_wait_dscnt 0x0
	ds_store_b32 v49, v2 offset:1304
.LBB18_1059:                            ;   in Loop: Header=BB18_3 Depth=1
	s_or_b32 exec_lo, exec_lo, s64
	s_wait_dscnt 0x0
	s_barrier_signal -1
	s_barrier_wait -1
	s_and_saveexec_b32 s64, s15
	s_cbranch_execz .LBB18_1061
; %bb.1060:                             ;   in Loop: Header=BB18_3 Depth=1
	ds_load_b64 v[26:27], v3 offset:1296
	ds_load_b32 v2, v3 offset:1040
	s_wait_dscnt 0x0
	v_mul_f32_e32 v2, v2, v27
	s_delay_alu instid0(VALU_DEP_1)
	v_mul_f32_e32 v2, v26, v2
	v_add_nc_u32_e64 v26, 0x400, 0
	ds_store_2addr_b32 v26, v2, v2 offset0:5 offset1:68
.LBB18_1061:                            ;   in Loop: Header=BB18_3 Depth=1
	s_or_b32 exec_lo, exec_lo, s64
	v_mov_b32_e32 v2, 0
	s_wait_dscnt 0x0
	s_barrier_signal -1
	s_barrier_wait -1
	global_wb scope:SCOPE_DEV
	s_wait_storecnt 0x0
	global_inv scope:SCOPE_DEV
	s_and_saveexec_b32 s64, s2
	s_cbranch_execz .LBB18_1067
; %bb.1062:                             ;   in Loop: Header=BB18_3 Depth=1
	ds_load_b32 v2, v37 offset:1024
	ds_load_b32 v26, v36 offset:1808
	s_wait_dscnt 0x0
	v_fma_f32 v2, v2, v26, 0
	s_and_saveexec_b32 s65, s17
	s_cbranch_execnz .LBB18_1255
; %bb.1063:                             ;   in Loop: Header=BB18_3 Depth=1
	s_or_b32 exec_lo, exec_lo, s65
	s_and_saveexec_b32 s65, s18
	s_cbranch_execnz .LBB18_1256
.LBB18_1064:                            ;   in Loop: Header=BB18_3 Depth=1
	s_or_b32 exec_lo, exec_lo, s65
	s_and_saveexec_b32 s65, s0
	s_cbranch_execz .LBB18_1066
.LBB18_1065:                            ;   in Loop: Header=BB18_3 Depth=1
	ds_load_b32 v26, v55 offset:1792
	ds_load_b32 v27, v3 offset:1820
	s_wait_dscnt 0x0
	v_fmac_f32_e32 v2, v26, v27
.LBB18_1066:                            ;   in Loop: Header=BB18_3 Depth=1
	s_or_b32 exec_lo, exec_lo, s65
.LBB18_1067:                            ;   in Loop: Header=BB18_3 Depth=1
	s_delay_alu instid0(SALU_CYCLE_1)
	s_or_b32 exec_lo, exec_lo, s64
	s_and_saveexec_b32 s64, s94
	s_cbranch_execz .LBB18_1069
; %bb.1068:                             ;   in Loop: Header=BB18_3 Depth=1
	ds_load_b32 v26, v3 offset:780
	s_wait_dscnt 0x0
	v_mul_f32_e32 v2, v2, v26
	s_delay_alu instid0(VALU_DEP_1)
	v_xor_b32_e32 v26, 0x80000000, v2
	ds_store_b32 v35, v26
.LBB18_1069:                            ;   in Loop: Header=BB18_3 Depth=1
	s_or_b32 exec_lo, exec_lo, s64
	s_wait_loadcnt_dscnt 0x0
	s_barrier_signal -1
	s_barrier_wait -1
	s_and_saveexec_b32 s64, s95
	s_cbranch_execz .LBB18_1071
; %bb.1070:                             ;   in Loop: Header=BB18_3 Depth=1
	ds_load_b32 v26, v37 offset:768
	ds_load_b32 v27, v35
	s_wait_dscnt 0x0
	v_fma_f32 v2, -v26, v27, v2
.LBB18_1071:                            ;   in Loop: Header=BB18_3 Depth=1
	s_or_b32 exec_lo, exec_lo, s64
	s_barrier_signal -1
	s_barrier_wait -1
	s_and_saveexec_b32 s64, s96
	s_cbranch_execz .LBB18_1073
; %bb.1072:                             ;   in Loop: Header=BB18_3 Depth=1
	ds_load_b32 v26, v3 offset:520
	s_wait_dscnt 0x0
	v_mul_f32_e32 v2, v2, v26
	s_delay_alu instid0(VALU_DEP_1)
	v_xor_b32_e32 v26, 0x80000000, v2
	ds_store_b32 v35, v26
.LBB18_1073:                            ;   in Loop: Header=BB18_3 Depth=1
	s_or_b32 exec_lo, exec_lo, s64
	s_wait_dscnt 0x0
	s_barrier_signal -1
	s_barrier_wait -1
	s_and_saveexec_b32 s64, s97
	s_cbranch_execz .LBB18_1075
; %bb.1074:                             ;   in Loop: Header=BB18_3 Depth=1
	ds_load_b32 v26, v37 offset:512
	ds_load_b32 v27, v35
	s_wait_dscnt 0x0
	v_fma_f32 v2, -v26, v27, v2
.LBB18_1075:                            ;   in Loop: Header=BB18_3 Depth=1
	s_or_b32 exec_lo, exec_lo, s64
	s_barrier_signal -1
	s_barrier_wait -1
	s_and_saveexec_b32 s64, s98
	s_cbranch_execz .LBB18_1077
; %bb.1076:                             ;   in Loop: Header=BB18_3 Depth=1
	ds_load_b32 v26, v3 offset:260
	s_wait_dscnt 0x0
	v_mul_f32_e32 v2, v2, v26
	s_delay_alu instid0(VALU_DEP_1)
	v_xor_b32_e32 v26, 0x80000000, v2
	ds_store_b32 v35, v26
.LBB18_1077:                            ;   in Loop: Header=BB18_3 Depth=1
	s_or_b32 exec_lo, exec_lo, s64
	s_wait_dscnt 0x0
	s_barrier_signal -1
	s_barrier_wait -1
	s_and_saveexec_b32 s64, s99
	s_cbranch_execz .LBB18_1079
; %bb.1078:                             ;   in Loop: Header=BB18_3 Depth=1
	ds_load_b32 v26, v3 offset:256
	ds_load_b32 v27, v35
	s_wait_dscnt 0x0
	v_fma_f32 v2, -v26, v27, v2
.LBB18_1079:                            ;   in Loop: Header=BB18_3 Depth=1
	s_or_b32 exec_lo, exec_lo, s64
	s_barrier_signal -1
	s_barrier_wait -1
	s_and_saveexec_b32 s64, s99
	s_cbranch_execz .LBB18_1081
; %bb.1080:                             ;   in Loop: Header=BB18_3 Depth=1
	ds_load_b32 v26, v3
	s_wait_dscnt 0x0
	v_mul_f32_e32 v2, v2, v26
	s_delay_alu instid0(VALU_DEP_1)
	v_xor_b32_e32 v26, 0x80000000, v2
	ds_store_b32 v35, v26
.LBB18_1081:                            ;   in Loop: Header=BB18_3 Depth=1
	s_or_b32 exec_lo, exec_lo, s64
	s_wait_dscnt 0x0
	s_barrier_signal -1
	s_barrier_wait -1
	s_barrier_signal -1
	s_barrier_wait -1
	s_and_saveexec_b32 s64, s2
; %bb.1082:                             ;   in Loop: Header=BB18_3 Depth=1
	ds_store_b32 v41, v2 offset:1792
; %bb.1083:                             ;   in Loop: Header=BB18_3 Depth=1
	s_or_b32 exec_lo, exec_lo, s64
	s_wait_dscnt 0x0
	s_barrier_signal -1
	s_barrier_wait -1
	s_barrier_signal -1
	s_barrier_wait -1
	s_and_saveexec_b32 s64, s100
	s_cbranch_execz .LBB18_1085
; %bb.1084:                             ;   in Loop: Header=BB18_3 Depth=1
	ds_load_b32 v2, v56 offset:1024
	s_wait_dscnt 0x0
	ds_store_b32 v57, v2 offset:16
	ds_load_b32 v2, v56 offset:1028
	s_wait_dscnt 0x0
	ds_store_b32 v57, v2 offset:272
	;; [unrolled: 3-line block ×4, first 2 shown]
.LBB18_1085:                            ;   in Loop: Header=BB18_3 Depth=1
	s_or_b32 exec_lo, exec_lo, s64
	s_wait_dscnt 0x0
	s_barrier_signal -1
	s_barrier_wait -1
	s_and_saveexec_b32 s64, s15
	s_cbranch_execz .LBB18_1087
; %bb.1086:                             ;   in Loop: Header=BB18_3 Depth=1
	ds_load_b64 v[26:27], v3 offset:776
	ds_load_b32 v2, v3 offset:520
	s_wait_dscnt 0x0
	v_mul_f32_e32 v2, v2, v27
	s_delay_alu instid0(VALU_DEP_1)
	v_mul_f32_e32 v2, v26, v2
	ds_store_2addr_b32 v3, v2, v2 offset0:131 offset1:194
.LBB18_1087:                            ;   in Loop: Header=BB18_3 Depth=1
	s_or_b32 exec_lo, exec_lo, s64
	v_mov_b32_e32 v2, 0
	s_wait_dscnt 0x0
	s_barrier_signal -1
	s_barrier_wait -1
	global_wb scope:SCOPE_DEV
	s_wait_storecnt 0x0
	global_inv scope:SCOPE_DEV
	s_and_saveexec_b32 s64, s0
	s_cbranch_execz .LBB18_1091
; %bb.1088:                             ;   in Loop: Header=BB18_3 Depth=1
	ds_load_b32 v2, v31 offset:512
	ds_load_b32 v26, v30 offset:776
	s_wait_dscnt 0x0
	v_fma_f32 v2, v2, v26, 0
	s_and_saveexec_b32 s65, s16
	s_cbranch_execz .LBB18_1090
; %bb.1089:                             ;   in Loop: Header=BB18_3 Depth=1
	ds_load_b32 v26, v57 offset:768
	ds_load_b32 v27, v3 offset:780
	s_wait_dscnt 0x0
	v_fmac_f32_e32 v2, v26, v27
.LBB18_1090:                            ;   in Loop: Header=BB18_3 Depth=1
	s_or_b32 exec_lo, exec_lo, s65
.LBB18_1091:                            ;   in Loop: Header=BB18_3 Depth=1
	s_delay_alu instid0(SALU_CYCLE_1)
	s_or_b32 exec_lo, exec_lo, s64
	s_and_saveexec_b32 s64, s91
	s_cbranch_execz .LBB18_1093
; %bb.1092:                             ;   in Loop: Header=BB18_3 Depth=1
	ds_load_b32 v26, v3 offset:260
	s_wait_dscnt 0x0
	v_mul_f32_e32 v2, v2, v26
	s_delay_alu instid0(VALU_DEP_1)
	v_xor_b32_e32 v26, 0x80000000, v2
	ds_store_b32 v5, v26
.LBB18_1093:                            ;   in Loop: Header=BB18_3 Depth=1
	s_or_b32 exec_lo, exec_lo, s64
	s_wait_loadcnt_dscnt 0x0
	s_barrier_signal -1
	s_barrier_wait -1
	s_and_saveexec_b32 s64, s92
	s_cbranch_execz .LBB18_1095
; %bb.1094:                             ;   in Loop: Header=BB18_3 Depth=1
	ds_load_b32 v26, v3 offset:256
	ds_load_b32 v27, v5
	s_wait_dscnt 0x0
	v_fma_f32 v2, -v26, v27, v2
.LBB18_1095:                            ;   in Loop: Header=BB18_3 Depth=1
	s_or_b32 exec_lo, exec_lo, s64
	s_barrier_signal -1
	s_barrier_wait -1
	s_and_saveexec_b32 s64, s92
	s_cbranch_execz .LBB18_1097
; %bb.1096:                             ;   in Loop: Header=BB18_3 Depth=1
	ds_load_b32 v26, v3
	s_wait_dscnt 0x0
	v_mul_f32_e32 v2, v2, v26
	s_delay_alu instid0(VALU_DEP_1)
	v_xor_b32_e32 v26, 0x80000000, v2
	ds_store_b32 v5, v26
.LBB18_1097:                            ;   in Loop: Header=BB18_3 Depth=1
	s_or_b32 exec_lo, exec_lo, s64
	s_wait_dscnt 0x0
	s_barrier_signal -1
	s_barrier_wait -1
	s_barrier_signal -1
	s_barrier_wait -1
	s_and_saveexec_b32 s64, s0
; %bb.1098:                             ;   in Loop: Header=BB18_3 Depth=1
	ds_store_b32 v33, v2 offset:768
; %bb.1099:                             ;   in Loop: Header=BB18_3 Depth=1
	s_or_b32 exec_lo, exec_lo, s64
	s_wait_dscnt 0x0
	s_barrier_signal -1
	s_barrier_wait -1
	s_barrier_signal -1
	s_barrier_wait -1
	s_and_saveexec_b32 s64, s93
	s_cbranch_execz .LBB18_1101
; %bb.1100:                             ;   in Loop: Header=BB18_3 Depth=1
	ds_load_b32 v2, v58 offset:512
	s_wait_dscnt 0x0
	ds_store_b32 v57, v2 offset:8
	ds_load_b32 v2, v58 offset:516
	s_wait_dscnt 0x0
	ds_store_b32 v57, v2 offset:264
.LBB18_1101:                            ;   in Loop: Header=BB18_3 Depth=1
	s_or_b32 exec_lo, exec_lo, s64
	s_wait_dscnt 0x0
	s_barrier_signal -1
	s_barrier_wait -1
	s_and_saveexec_b32 s64, s15
	s_cbranch_execz .LBB18_1103
; %bb.1102:                             ;   in Loop: Header=BB18_3 Depth=1
	ds_load_b64 v[26:27], v3 offset:256
	ds_load_b32 v2, v3
	s_wait_dscnt 0x0
	v_mul_f32_e32 v2, v2, v27
	s_delay_alu instid0(VALU_DEP_1)
	v_mul_f32_e32 v2, v26, v2
	ds_store_2addr_b32 v3, v2, v2 offset0:1 offset1:64
.LBB18_1103:                            ;   in Loop: Header=BB18_3 Depth=1
	s_or_b32 exec_lo, exec_lo, s64
.LBB18_1104:                            ;   in Loop: Header=BB18_3 Depth=1
	v_readlane_b32 s68, v87, 3
	v_readlane_b32 s69, v87, 4
	s_mul_u64 s[64:65], s[74:75], s[76:77]
	v_mov_b32_e32 v78, 0
	s_lshl_b64 s[64:65], s[64:65], 2
	s_wait_dscnt 0x0
	s_add_nc_u64 s[80:81], s[68:69], s[64:65]
	s_barrier_signal -1
	s_barrier_wait -1
	s_and_saveexec_b32 s64, s70
	s_cbranch_execz .LBB18_1106
; %bb.1105:                             ;   in Loop: Header=BB18_3 Depth=1
	v_lshl_add_u64 v[26:27], v[0:1], 2, s[80:81]
	v_readlane_b32 s65, v87, 0
	global_load_b32 v2, v[26:27], off
	s_wait_loadcnt 0x0
	v_mul_f32_e64 v78, v2, -s65
.LBB18_1106:                            ;   in Loop: Header=BB18_3 Depth=1
	s_or_b32 exec_lo, exec_lo, s64
	s_delay_alu instid0(SALU_CYCLE_1)
	s_and_not1_b32 vcc_lo, exec_lo, s71
	s_cbranch_vccnz .LBB18_1132
; %bb.1107:                             ;   in Loop: Header=BB18_3 Depth=1
	v_mov_b32_e32 v79, -1
	s_lshl_b64 s[64:65], s[76:77], 2
	s_delay_alu instid0(SALU_CYCLE_1)
	s_add_nc_u64 s[82:83], s[78:79], s[64:65]
	s_mov_b32 s64, 0
	s_branch .LBB18_1110
.LBB18_1108:                            ;   in Loop: Header=BB18_1110 Depth=2
	s_wait_xcnt 0x0
	ds_load_b32 v26, v62 offset:192
	s_wait_loadcnt_dscnt 0x0
	v_fmac_f32_e32 v78, v2, v26
.LBB18_1109:                            ;   in Loop: Header=BB18_1110 Depth=2
	s_or_b32 exec_lo, exec_lo, s65
	s_add_co_i32 s64, s64, 1
	s_delay_alu instid0(SALU_CYCLE_1)
	s_cmp_eq_u32 s64, s87
	s_cbranch_scc1 .LBB18_1132
.LBB18_1110:                            ;   Parent Loop BB18_3 Depth=1
                                        ; =>  This Loop Header: Depth=2
                                        ;       Child Loop BB18_1112 Depth 3
	v_cmp_gt_i32_e32 vcc_lo, s64, v79
	s_and_b32 s68, s59, vcc_lo
	s_delay_alu instid0(SALU_CYCLE_1)
	s_and_saveexec_b32 s65, s68
	s_cbranch_execz .LBB18_1113
; %bb.1111:                             ;   in Loop: Header=BB18_1110 Depth=2
	global_load_b32 v79, v3, s[82:83]
	s_wait_loadcnt 0x0
	v_cmp_le_i32_e32 vcc_lo, s64, v79
	s_cbranch_vccnz .LBB18_1113
.LBB18_1112:                            ;   Parent Loop BB18_3 Depth=1
                                        ;     Parent Loop BB18_1110 Depth=2
                                        ; =>    This Inner Loop Header: Depth=3
	global_wb scope:SCOPE_DEV
	s_wait_storecnt 0x0
	global_inv scope:SCOPE_DEV
	global_load_b32 v79, v3, s[82:83]
	s_wait_loadcnt 0x0
	v_cmp_gt_i32_e32 vcc_lo, s64, v79
	s_cbranch_vccnz .LBB18_1112
.LBB18_1113:                            ;   in Loop: Header=BB18_1110 Depth=2
	s_or_b32 exec_lo, exec_lo, s65
	s_lshl_b32 s65, s64, 6
	global_wb scope:SCOPE_DEV
	s_wait_storecnt 0x0
	global_inv scope:SCOPE_DEV
	s_wait_loadcnt 0x0
	s_barrier_signal -1
	s_barrier_wait -1
	s_and_saveexec_b32 s68, s60
	s_cbranch_execz .LBB18_1117
; %bb.1114:                             ;   in Loop: Header=BB18_1110 Depth=2
	v_dual_mov_b32 v26, 0 :: v_dual_bitop2_b32 v2, s65, v6 bitop3:0x54
	s_mov_b32 s69, exec_lo
	s_delay_alu instid0(VALU_DEP_1)
	v_cmpx_gt_i32_e64 s85, v2
	s_cbranch_execz .LBB18_1116
; %bb.1115:                             ;   in Loop: Header=BB18_1110 Depth=2
	v_mul_u64_e32 v[26:27], s[72:73], v[2:3]
	s_delay_alu instid0(VALU_DEP_1)
	v_lshl_add_u64 v[26:27], v[26:27], 2, s[80:81]
	global_load_b32 v26, v[26:27], off
.LBB18_1116:                            ;   in Loop: Header=BB18_1110 Depth=2
	s_wait_xcnt 0x0
	s_or_b32 exec_lo, exec_lo, s69
	s_wait_loadcnt 0x0
	ds_store_b32 v63, v26
.LBB18_1117:                            ;   in Loop: Header=BB18_1110 Depth=2
	s_or_b32 exec_lo, exec_lo, s68
	v_add_nc_u32_e32 v2, s65, v28
	v_cmp_ne_u32_e32 vcc_lo, s64, v29
	s_wait_dscnt 0x0
	s_barrier_signal -1
	s_barrier_wait -1
	v_cmp_gt_i32_e64 s65, s85, v2
	v_lshl_add_u64 v[26:27], v[2:3], 2, v[24:25]
	v_cndmask_b32_e64 v80, 0, 1, vcc_lo
	s_and_b32 s68, s65, s6
	s_delay_alu instid0(SALU_CYCLE_1)
	s_and_saveexec_b32 s65, s68
	s_cbranch_execz .LBB18_1121
; %bb.1118:                             ;   in Loop: Header=BB18_1110 Depth=2
	v_mov_b32_e32 v81, v74
	s_and_not1_b32 vcc_lo, exec_lo, vcc_lo
	s_cbranch_vccnz .LBB18_1120
; %bb.1119:                             ;   in Loop: Header=BB18_1110 Depth=2
	global_load_b32 v81, v[26:27], off
.LBB18_1120:                            ;   in Loop: Header=BB18_1110 Depth=2
	ds_load_b32 v82, v62
	s_wait_loadcnt_dscnt 0x0
	v_fmac_f32_e32 v78, v81, v82
.LBB18_1121:                            ;   in Loop: Header=BB18_1110 Depth=2
	s_or_b32 exec_lo, exec_lo, s65
	v_add_nc_u32_e32 v81, 16, v2
	s_delay_alu instid0(VALU_DEP_1) | instskip(SKIP_1) | instid1(SALU_CYCLE_1)
	v_cmp_gt_i32_e32 vcc_lo, s85, v81
	s_and_b32 s68, vcc_lo, s6
	s_and_saveexec_b32 s65, s68
	s_cbranch_execz .LBB18_1125
; %bb.1122:                             ;   in Loop: Header=BB18_1110 Depth=2
	v_cmp_ne_u32_e32 vcc_lo, 1, v80
	v_mov_b32_e32 v81, v75
	s_cbranch_vccnz .LBB18_1124
; %bb.1123:                             ;   in Loop: Header=BB18_1110 Depth=2
	global_load_b32 v81, v[26:27], off offset:64
.LBB18_1124:                            ;   in Loop: Header=BB18_1110 Depth=2
	ds_load_b32 v82, v62 offset:64
	s_wait_loadcnt_dscnt 0x0
	v_fmac_f32_e32 v78, v81, v82
.LBB18_1125:                            ;   in Loop: Header=BB18_1110 Depth=2
	s_or_b32 exec_lo, exec_lo, s65
	v_add_nc_u32_e32 v81, 32, v2
	s_delay_alu instid0(VALU_DEP_1) | instskip(SKIP_1) | instid1(SALU_CYCLE_1)
	v_cmp_gt_i32_e32 vcc_lo, s85, v81
	s_and_b32 s68, vcc_lo, s6
	s_and_saveexec_b32 s65, s68
	s_cbranch_execz .LBB18_1129
; %bb.1126:                             ;   in Loop: Header=BB18_1110 Depth=2
	v_cmp_ne_u32_e32 vcc_lo, 1, v80
	v_mov_b32_e32 v81, v76
	s_cbranch_vccnz .LBB18_1128
; %bb.1127:                             ;   in Loop: Header=BB18_1110 Depth=2
	global_load_b32 v81, v[26:27], off offset:128
.LBB18_1128:                            ;   in Loop: Header=BB18_1110 Depth=2
	ds_load_b32 v82, v62 offset:128
	s_wait_loadcnt_dscnt 0x0
	v_fmac_f32_e32 v78, v81, v82
.LBB18_1129:                            ;   in Loop: Header=BB18_1110 Depth=2
	s_or_b32 exec_lo, exec_lo, s65
	v_add_nc_u32_e32 v2, 48, v2
	s_delay_alu instid0(VALU_DEP_1) | instskip(SKIP_1) | instid1(SALU_CYCLE_1)
	v_cmp_gt_i32_e32 vcc_lo, s85, v2
	s_and_b32 s68, vcc_lo, s6
	s_and_saveexec_b32 s65, s68
	s_cbranch_execz .LBB18_1109
; %bb.1130:                             ;   in Loop: Header=BB18_1110 Depth=2
	v_cmp_ne_u32_e32 vcc_lo, 1, v80
	v_mov_b32_e32 v2, v77
	s_cbranch_vccnz .LBB18_1108
; %bb.1131:                             ;   in Loop: Header=BB18_1110 Depth=2
	global_load_b32 v2, v[26:27], off offset:192
	s_branch .LBB18_1108
.LBB18_1132:                            ;   in Loop: Header=BB18_3 Depth=1
	ds_store_b32 v64, v78
	s_wait_dscnt 0x0
	s_barrier_signal -1
	s_barrier_wait -1
	s_and_saveexec_b32 s64, s1
	s_cbranch_execz .LBB18_1134
; %bb.1133:                             ;   in Loop: Header=BB18_3 Depth=1
	ds_load_2addr_stride64_b32 v[24:25], v65 offset0:1 offset1:2
	ds_load_2addr_stride64_b32 v[26:27], v65 offset0:3 offset1:4
	;; [unrolled: 1-line block ×4, first 2 shown]
	v_readlane_b32 s65, v85, 3
	s_wait_dscnt 0x3
	v_add_f32_e32 v2, v78, v24
	s_delay_alu instid0(VALU_DEP_1) | instskip(SKIP_3) | instid1(VALU_DEP_1)
	v_add_f32_e32 v2, v2, v25
	ds_load_2addr_stride64_b32 v[24:25], v65 offset0:9 offset1:10
	s_wait_dscnt 0x3
	v_add_f32_e32 v2, v2, v26
	v_add_f32_e32 v2, v2, v27
	ds_load_2addr_stride64_b32 v[26:27], v65 offset0:11 offset1:12
	s_wait_dscnt 0x3
	v_add_f32_e32 v2, v2, v80
	ds_load_2addr_stride64_b32 v[78:79], v65 offset0:13 offset1:14
	ds_load_b32 v80, v65 offset:3840
	v_add_f32_e32 v2, v2, v81
	s_wait_dscnt 0x4
	s_delay_alu instid0(VALU_DEP_1) | instskip(NEXT) | instid1(VALU_DEP_1)
	v_add_f32_e32 v2, v2, v82
	v_add_f32_e32 v2, v2, v83
	s_wait_dscnt 0x3
	s_delay_alu instid0(VALU_DEP_1) | instskip(NEXT) | instid1(VALU_DEP_1)
	v_add_f32_e32 v2, v2, v24
	;; [unrolled: 4-line block ×5, first 2 shown]
	v_cndmask_b32_e64 v78, -v2, 0, s65
.LBB18_1134:                            ;   in Loop: Header=BB18_3 Depth=1
	s_or_b32 exec_lo, exec_lo, s64
	s_delay_alu instid0(SALU_CYCLE_1)
	s_and_not1_b32 vcc_lo, exec_lo, s90
	s_cbranch_vccnz .LBB18_1144
; %bb.1135:                             ;   in Loop: Header=BB18_3 Depth=1
	s_and_saveexec_b32 s64, s1
; %bb.1136:                             ;   in Loop: Header=BB18_3 Depth=1
	ds_store_b32 v67, v78
; %bb.1137:                             ;   in Loop: Header=BB18_3 Depth=1
	s_or_b32 exec_lo, exec_lo, s64
	v_mov_b32_e32 v2, 0
	s_wait_dscnt 0x0
	s_barrier_signal -1
	s_barrier_wait -1
	s_and_saveexec_b32 s64, s7
	s_cbranch_execnz .LBB18_1199
; %bb.1138:                             ;   in Loop: Header=BB18_3 Depth=1
	s_or_b32 exec_lo, exec_lo, s64
	s_and_saveexec_b32 s64, s8
	s_cbranch_execnz .LBB18_1200
.LBB18_1139:                            ;   in Loop: Header=BB18_3 Depth=1
	s_or_b32 exec_lo, exec_lo, s64
	s_and_saveexec_b32 s64, s9
	s_cbranch_execnz .LBB18_1201
.LBB18_1140:                            ;   in Loop: Header=BB18_3 Depth=1
	s_or_b32 exec_lo, exec_lo, s64
	s_and_saveexec_b32 s64, s10
	s_cbranch_execz .LBB18_1142
.LBB18_1141:                            ;   in Loop: Header=BB18_3 Depth=1
	ds_load_b32 v24, v66 offset:12288
	ds_load_b32 v25, v62 offset:192
	s_wait_dscnt 0x0
	v_fmac_f32_e32 v2, v24, v25
.LBB18_1142:                            ;   in Loop: Header=BB18_3 Depth=1
	s_or_b32 exec_lo, exec_lo, s64
	s_mov_b32 s64, 0
	s_mov_b32 s65, 0
	ds_store_b32 v64, v2
	s_wait_dscnt 0x0
	s_barrier_signal -1
	s_barrier_wait -1
                                        ; implicit-def: $vgpr24
	s_and_saveexec_b32 s82, s1
	s_cbranch_execz .LBB18_1202
; %bb.1143:                             ;   in Loop: Header=BB18_3 Depth=1
	ds_load_2addr_stride64_b32 v[24:25], v65 offset0:1 offset1:2
	ds_load_2addr_stride64_b32 v[26:27], v65 offset0:3 offset1:4
	;; [unrolled: 1-line block ×4, first 2 shown]
	s_mov_b32 s65, exec_lo
	s_wait_dscnt 0x3
	v_add_f32_e32 v2, v2, v24
	s_delay_alu instid0(VALU_DEP_1) | instskip(SKIP_3) | instid1(VALU_DEP_1)
	v_add_f32_e32 v2, v25, v2
	ds_load_2addr_stride64_b32 v[24:25], v65 offset0:9 offset1:10
	s_wait_dscnt 0x3
	v_add_f32_e32 v2, v26, v2
	v_add_f32_e32 v2, v27, v2
	ds_load_2addr_stride64_b32 v[26:27], v65 offset0:11 offset1:12
	s_wait_dscnt 0x3
	v_add_f32_e32 v2, v80, v2
	s_delay_alu instid0(VALU_DEP_1) | instskip(SKIP_4) | instid1(VALU_DEP_1)
	v_add_f32_e32 v2, v81, v2
	ds_load_2addr_stride64_b32 v[80:81], v65 offset0:13 offset1:14
	ds_load_b32 v79, v65 offset:3840
	s_wait_dscnt 0x4
	v_add_f32_e32 v2, v82, v2
	v_add_f32_e32 v2, v83, v2
	s_wait_dscnt 0x3
	s_delay_alu instid0(VALU_DEP_1) | instskip(NEXT) | instid1(VALU_DEP_1)
	v_add_f32_e32 v2, v24, v2
	v_add_f32_e32 v2, v25, v2
	s_wait_dscnt 0x2
	s_delay_alu instid0(VALU_DEP_1) | instskip(NEXT) | instid1(VALU_DEP_1)
	;; [unrolled: 4-line block ×3, first 2 shown]
	v_add_f32_e32 v2, v80, v2
	v_add_f32_e32 v2, v81, v2
	s_wait_dscnt 0x0
	s_delay_alu instid0(VALU_DEP_1) | instskip(SKIP_1) | instid1(SALU_CYCLE_1)
	v_add_f32_e32 v24, v79, v2
	s_or_b32 exec_lo, exec_lo, s82
	s_and_b32 vcc_lo, exec_lo, s64
	s_cbranch_vccnz .LBB18_1145
	s_branch .LBB18_1203
.LBB18_1144:                            ;   in Loop: Header=BB18_3 Depth=1
	s_mov_b32 s65, 0
                                        ; implicit-def: $vgpr24
	s_cbranch_execz .LBB18_1203
.LBB18_1145:                            ;   in Loop: Header=BB18_3 Depth=1
	v_dual_mov_b32 v2, v4 :: v_dual_mov_b32 v24, v73
	s_mov_b32 s64, 0
	s_branch .LBB18_1147
.LBB18_1146:                            ;   in Loop: Header=BB18_1147 Depth=2
	s_or_b32 exec_lo, exec_lo, s68
	v_add_nc_u32_e32 v24, 0x400, v24
	v_add_nc_u32_e32 v2, -4, v2
	s_add_co_i32 s64, s64, 4
	s_delay_alu instid0(SALU_CYCLE_1)
	s_cmp_lg_u32 s64, 64
	s_barrier_signal -1
	s_barrier_wait -1
	s_cbranch_scc0 .LBB18_1163
.LBB18_1147:                            ;   Parent Loop BB18_3 Depth=1
                                        ; =>  This Inner Loop Header: Depth=2
	s_delay_alu instid0(VALU_DEP_1) | instskip(SKIP_2) | instid1(SALU_CYCLE_1)
	v_cmp_eq_u32_e32 vcc_lo, 0, v2
	v_add_nc_u32_e32 v25, v58, v32
	s_and_b32 s69, s1, vcc_lo
	s_and_saveexec_b32 s68, s69
	s_cbranch_execz .LBB18_1149
; %bb.1148:                             ;   in Loop: Header=BB18_1147 Depth=2
	ds_load_b32 v26, v25
	s_wait_dscnt 0x0
	v_mul_f32_e32 v78, v78, v26
	ds_store_b32 v3, v78 offset:20736
.LBB18_1149:                            ;   in Loop: Header=BB18_1147 Depth=2
	s_or_b32 exec_lo, exec_lo, s68
	v_cmp_lt_u32_e32 vcc_lo, s64, v4
	s_wait_dscnt 0x0
	s_barrier_signal -1
	s_barrier_wait -1
	s_and_b32 s69, s1, vcc_lo
	s_delay_alu instid0(SALU_CYCLE_1)
	s_and_saveexec_b32 s68, s69
	s_cbranch_execz .LBB18_1151
; %bb.1150:                             ;   in Loop: Header=BB18_1147 Depth=2
	ds_load_b32 v26, v24
	ds_load_b32 v27, v3 offset:20736
	s_wait_dscnt 0x0
	v_fmac_f32_e32 v78, v26, v27
.LBB18_1151:                            ;   in Loop: Header=BB18_1147 Depth=2
	s_or_b32 exec_lo, exec_lo, s68
	s_or_b32 s68, s64, 1
	s_delay_alu instid0(SALU_CYCLE_1) | instskip(SKIP_3) | instid1(SALU_CYCLE_1)
	v_cmp_eq_u32_e32 vcc_lo, s68, v4
	s_barrier_signal -1
	s_barrier_wait -1
	s_and_b32 s82, s1, vcc_lo
	s_and_saveexec_b32 s69, s82
	s_cbranch_execz .LBB18_1153
; %bb.1152:                             ;   in Loop: Header=BB18_1147 Depth=2
	ds_load_b32 v26, v25
	s_wait_dscnt 0x0
	v_mul_f32_e32 v78, v78, v26
	ds_store_b32 v3, v78 offset:20736
.LBB18_1153:                            ;   in Loop: Header=BB18_1147 Depth=2
	s_or_b32 exec_lo, exec_lo, s69
	v_cmp_lt_u32_e32 vcc_lo, s68, v4
	s_wait_dscnt 0x0
	s_barrier_signal -1
	s_barrier_wait -1
	s_and_b32 s69, s1, vcc_lo
	s_delay_alu instid0(SALU_CYCLE_1)
	s_and_saveexec_b32 s68, s69
	s_cbranch_execz .LBB18_1155
; %bb.1154:                             ;   in Loop: Header=BB18_1147 Depth=2
	ds_load_b32 v26, v24 offset:256
	ds_load_b32 v27, v3 offset:20736
	s_wait_dscnt 0x0
	v_fmac_f32_e32 v78, v26, v27
.LBB18_1155:                            ;   in Loop: Header=BB18_1147 Depth=2
	s_or_b32 exec_lo, exec_lo, s68
	s_or_b32 s68, s64, 2
	s_delay_alu instid0(SALU_CYCLE_1) | instskip(SKIP_3) | instid1(SALU_CYCLE_1)
	v_cmp_eq_u32_e32 vcc_lo, s68, v4
	s_barrier_signal -1
	s_barrier_wait -1
	s_and_b32 s82, s1, vcc_lo
	s_and_saveexec_b32 s69, s82
	s_cbranch_execz .LBB18_1157
; %bb.1156:                             ;   in Loop: Header=BB18_1147 Depth=2
	ds_load_b32 v26, v25
	s_wait_dscnt 0x0
	v_mul_f32_e32 v78, v78, v26
	ds_store_b32 v3, v78 offset:20736
.LBB18_1157:                            ;   in Loop: Header=BB18_1147 Depth=2
	s_or_b32 exec_lo, exec_lo, s69
	v_cmp_lt_u32_e32 vcc_lo, s68, v4
	s_wait_dscnt 0x0
	s_barrier_signal -1
	s_barrier_wait -1
	s_and_b32 s69, s1, vcc_lo
	s_delay_alu instid0(SALU_CYCLE_1)
	s_and_saveexec_b32 s68, s69
	s_cbranch_execz .LBB18_1159
; %bb.1158:                             ;   in Loop: Header=BB18_1147 Depth=2
	ds_load_b32 v26, v24 offset:512
	ds_load_b32 v27, v3 offset:20736
	s_wait_dscnt 0x0
	v_fmac_f32_e32 v78, v26, v27
.LBB18_1159:                            ;   in Loop: Header=BB18_1147 Depth=2
	s_or_b32 exec_lo, exec_lo, s68
	s_or_b32 s68, s64, 3
	s_delay_alu instid0(SALU_CYCLE_1) | instskip(SKIP_3) | instid1(SALU_CYCLE_1)
	v_cmp_eq_u32_e32 vcc_lo, s68, v4
	s_barrier_signal -1
	s_barrier_wait -1
	s_and_b32 s82, s1, vcc_lo
	s_and_saveexec_b32 s69, s82
	s_cbranch_execz .LBB18_1161
; %bb.1160:                             ;   in Loop: Header=BB18_1147 Depth=2
	ds_load_b32 v25, v25
	s_wait_dscnt 0x0
	v_mul_f32_e32 v78, v78, v25
	ds_store_b32 v3, v78 offset:20736
.LBB18_1161:                            ;   in Loop: Header=BB18_1147 Depth=2
	s_or_b32 exec_lo, exec_lo, s69
	v_cmp_lt_u32_e32 vcc_lo, s68, v4
	s_wait_dscnt 0x0
	s_barrier_signal -1
	s_barrier_wait -1
	s_and_b32 s69, s1, vcc_lo
	s_delay_alu instid0(SALU_CYCLE_1)
	s_and_saveexec_b32 s68, s69
	s_cbranch_execz .LBB18_1146
; %bb.1162:                             ;   in Loop: Header=BB18_1147 Depth=2
	ds_load_b32 v25, v24 offset:768
	ds_load_b32 v26, v3 offset:20736
	s_wait_dscnt 0x0
	v_fmac_f32_e32 v78, v25, v26
	s_branch .LBB18_1146
.LBB18_1163:                            ;   in Loop: Header=BB18_3 Depth=1
	s_and_b32 vcc_lo, exec_lo, s89
	s_mov_b32 s64, -1
	s_cbranch_vccz .LBB18_1165
; %bb.1164:                             ;   in Loop: Header=BB18_3 Depth=1
	s_and_not1_b32 s65, s65, exec_lo
	s_and_b32 s68, s1, exec_lo
	s_mov_b32 s64, 0
	s_or_b32 s65, s65, s68
.LBB18_1165:                            ;   in Loop: Header=BB18_3 Depth=1
	s_and_not1_b32 vcc_lo, exec_lo, s64
	s_cbranch_vccnz .LBB18_1167
; %bb.1166:                             ;   in Loop: Header=BB18_3 Depth=1
	s_and_not1_b32 s64, s65, exec_lo
	v_readlane_b32 s65, v85, 4
	s_and_b32 s65, s65, exec_lo
	s_delay_alu instid0(SALU_CYCLE_1)
	s_or_b32 s65, s64, s65
.LBB18_1167:                            ;   in Loop: Header=BB18_3 Depth=1
	v_mov_b64_e32 v[24:25], v[14:15]
	s_and_saveexec_b32 s64, s65
	s_cbranch_execnz .LBB18_1204
	s_branch .LBB18_1205
.LBB18_1168:                            ;   in Loop: Header=BB18_3 Depth=1
	s_mov_b32 s65, exec_lo
	v_readlane_b32 s68, v85, 13
	s_and_b32 s68, s65, s68
	s_delay_alu instid0(SALU_CYCLE_1)
	s_xor_b32 s65, s68, s65
	s_mov_b32 exec_lo, s68
	s_cbranch_execz .LBB18_1172
; %bb.1169:                             ;   in Loop: Header=BB18_3 Depth=1
	s_mov_b32 s68, exec_lo
	v_readlane_b32 s69, v84, 23
	s_and_b32 s69, s68, s69
	s_delay_alu instid0(SALU_CYCLE_1)
	s_mov_b32 exec_lo, s69
; %bb.1170:                             ;   in Loop: Header=BB18_3 Depth=1
	ds_store_b32 v68, v3
; %bb.1171:                             ;   in Loop: Header=BB18_3 Depth=1
	s_or_b32 exec_lo, exec_lo, s68
.LBB18_1172:                            ;   in Loop: Header=BB18_3 Depth=1
	s_and_not1_saveexec_b32 s65, s65
	s_cbranch_execz .LBB18_1174
; %bb.1173:                             ;   in Loop: Header=BB18_3 Depth=1
	v_lshl_add_u64 v[26:27], v[16:17], 2, s[80:81]
	global_load_b32 v2, v[26:27], off
	s_wait_loadcnt 0x0
	v_div_scale_f32 v26, null, v2, v2, 1.0
	s_delay_alu instid0(VALU_DEP_1) | instskip(SKIP_1) | instid1(TRANS32_DEP_1)
	v_rcp_f32_e32 v27, v26
	v_nop
	v_fma_f32 v78, -v26, v27, 1.0
	s_delay_alu instid0(VALU_DEP_1) | instskip(SKIP_1) | instid1(VALU_DEP_1)
	v_fmac_f32_e32 v27, v78, v27
	v_div_scale_f32 v78, vcc_lo, 1.0, v2, 1.0
	v_mul_f32_e32 v79, v78, v27
	s_delay_alu instid0(VALU_DEP_1) | instskip(NEXT) | instid1(VALU_DEP_1)
	v_fma_f32 v80, -v26, v79, v78
	v_fmac_f32_e32 v79, v80, v27
	s_delay_alu instid0(VALU_DEP_1) | instskip(NEXT) | instid1(VALU_DEP_1)
	v_fma_f32 v26, -v26, v79, v78
	v_div_fmas_f32 v26, v26, v27, v79
	s_delay_alu instid0(VALU_DEP_1)
	v_div_fixup_f32 v2, v26, v2, 1.0
	ds_store_b32 v68, v2
.LBB18_1174:                            ;   in Loop: Header=BB18_3 Depth=1
	s_or_b32 exec_lo, exec_lo, s65
	s_and_not1_saveexec_b32 s64, s64
	s_cbranch_execz .LBB18_17
.LBB18_1175:                            ;   in Loop: Header=BB18_3 Depth=1
	v_lshl_add_u64 v[26:27], v[16:17], 2, s[80:81]
	global_load_b32 v2, v[26:27], off
	s_wait_loadcnt 0x0
	v_xor_b32_e32 v2, 0x80000000, v2
	ds_store_b32 v68, v2
	s_or_b32 exec_lo, exec_lo, s64
	s_and_saveexec_b32 s64, s8
	s_delay_alu instid0(SALU_CYCLE_1)
	s_xor_b32 s64, exec_lo, s64
	s_cbranch_execz .LBB18_18
.LBB18_1176:                            ;   in Loop: Header=BB18_3 Depth=1
	s_mov_b32 s65, exec_lo
	v_readlane_b32 s68, v85, 15
	s_and_b32 s68, s65, s68
	s_delay_alu instid0(SALU_CYCLE_1)
	s_xor_b32 s65, s68, s65
	s_mov_b32 exec_lo, s68
	s_cbranch_execz .LBB18_1180
; %bb.1177:                             ;   in Loop: Header=BB18_3 Depth=1
	s_mov_b32 s68, exec_lo
	v_readlane_b32 s69, v84, 24
	s_and_b32 s69, s68, s69
	s_delay_alu instid0(SALU_CYCLE_1)
	s_mov_b32 exec_lo, s69
; %bb.1178:                             ;   in Loop: Header=BB18_3 Depth=1
	ds_store_b32 v69, v3
; %bb.1179:                             ;   in Loop: Header=BB18_3 Depth=1
	s_or_b32 exec_lo, exec_lo, s68
.LBB18_1180:                            ;   in Loop: Header=BB18_3 Depth=1
	s_and_not1_saveexec_b32 s65, s65
	s_cbranch_execz .LBB18_1182
; %bb.1181:                             ;   in Loop: Header=BB18_3 Depth=1
	v_lshl_add_u64 v[26:27], v[18:19], 2, s[80:81]
	global_load_b32 v2, v[26:27], off
	s_wait_loadcnt 0x0
	v_div_scale_f32 v26, null, v2, v2, 1.0
	s_delay_alu instid0(VALU_DEP_1) | instskip(SKIP_1) | instid1(TRANS32_DEP_1)
	v_rcp_f32_e32 v27, v26
	v_nop
	v_fma_f32 v78, -v26, v27, 1.0
	s_delay_alu instid0(VALU_DEP_1) | instskip(SKIP_1) | instid1(VALU_DEP_1)
	v_fmac_f32_e32 v27, v78, v27
	v_div_scale_f32 v78, vcc_lo, 1.0, v2, 1.0
	v_mul_f32_e32 v79, v78, v27
	s_delay_alu instid0(VALU_DEP_1) | instskip(NEXT) | instid1(VALU_DEP_1)
	v_fma_f32 v80, -v26, v79, v78
	v_fmac_f32_e32 v79, v80, v27
	s_delay_alu instid0(VALU_DEP_1) | instskip(NEXT) | instid1(VALU_DEP_1)
	v_fma_f32 v26, -v26, v79, v78
	v_div_fmas_f32 v26, v26, v27, v79
	s_delay_alu instid0(VALU_DEP_1)
	v_div_fixup_f32 v2, v26, v2, 1.0
	ds_store_b32 v69, v2
.LBB18_1182:                            ;   in Loop: Header=BB18_3 Depth=1
	s_or_b32 exec_lo, exec_lo, s65
	s_and_not1_saveexec_b32 s64, s64
	s_cbranch_execz .LBB18_19
.LBB18_1183:                            ;   in Loop: Header=BB18_3 Depth=1
	v_lshl_add_u64 v[26:27], v[18:19], 2, s[80:81]
	global_load_b32 v2, v[26:27], off
	s_wait_loadcnt 0x0
	v_xor_b32_e32 v2, 0x80000000, v2
	ds_store_b32 v69, v2
	s_or_b32 exec_lo, exec_lo, s64
	s_and_saveexec_b32 s64, s9
	s_delay_alu instid0(SALU_CYCLE_1)
	s_xor_b32 s64, exec_lo, s64
	s_cbranch_execz .LBB18_20
.LBB18_1184:                            ;   in Loop: Header=BB18_3 Depth=1
	s_mov_b32 s65, exec_lo
	v_readlane_b32 s68, v85, 17
	s_and_b32 s68, s65, s68
	s_delay_alu instid0(SALU_CYCLE_1)
	s_xor_b32 s65, s68, s65
	s_mov_b32 exec_lo, s68
	s_cbranch_execz .LBB18_1188
; %bb.1185:                             ;   in Loop: Header=BB18_3 Depth=1
	s_mov_b32 s68, exec_lo
	v_readlane_b32 s69, v84, 25
	s_and_b32 s69, s68, s69
	s_delay_alu instid0(SALU_CYCLE_1)
	s_mov_b32 exec_lo, s69
; %bb.1186:                             ;   in Loop: Header=BB18_3 Depth=1
	ds_store_b32 v70, v3
; %bb.1187:                             ;   in Loop: Header=BB18_3 Depth=1
	s_or_b32 exec_lo, exec_lo, s68
.LBB18_1188:                            ;   in Loop: Header=BB18_3 Depth=1
	s_and_not1_saveexec_b32 s65, s65
	s_cbranch_execz .LBB18_1190
; %bb.1189:                             ;   in Loop: Header=BB18_3 Depth=1
	v_lshl_add_u64 v[26:27], v[20:21], 2, s[80:81]
	global_load_b32 v2, v[26:27], off
	s_wait_loadcnt 0x0
	v_div_scale_f32 v26, null, v2, v2, 1.0
	s_delay_alu instid0(VALU_DEP_1) | instskip(SKIP_1) | instid1(TRANS32_DEP_1)
	v_rcp_f32_e32 v27, v26
	v_nop
	v_fma_f32 v78, -v26, v27, 1.0
	s_delay_alu instid0(VALU_DEP_1) | instskip(SKIP_1) | instid1(VALU_DEP_1)
	v_fmac_f32_e32 v27, v78, v27
	v_div_scale_f32 v78, vcc_lo, 1.0, v2, 1.0
	v_mul_f32_e32 v79, v78, v27
	s_delay_alu instid0(VALU_DEP_1) | instskip(NEXT) | instid1(VALU_DEP_1)
	v_fma_f32 v80, -v26, v79, v78
	v_fmac_f32_e32 v79, v80, v27
	s_delay_alu instid0(VALU_DEP_1) | instskip(NEXT) | instid1(VALU_DEP_1)
	v_fma_f32 v26, -v26, v79, v78
	v_div_fmas_f32 v26, v26, v27, v79
	s_delay_alu instid0(VALU_DEP_1)
	v_div_fixup_f32 v2, v26, v2, 1.0
	ds_store_b32 v70, v2
.LBB18_1190:                            ;   in Loop: Header=BB18_3 Depth=1
	s_or_b32 exec_lo, exec_lo, s65
	s_and_not1_saveexec_b32 s64, s64
	s_cbranch_execz .LBB18_21
.LBB18_1191:                            ;   in Loop: Header=BB18_3 Depth=1
	v_lshl_add_u64 v[26:27], v[20:21], 2, s[80:81]
	global_load_b32 v2, v[26:27], off
	s_wait_loadcnt 0x0
	v_xor_b32_e32 v2, 0x80000000, v2
	ds_store_b32 v70, v2
	s_or_b32 exec_lo, exec_lo, s64
	s_and_saveexec_b32 s64, s10
	s_delay_alu instid0(SALU_CYCLE_1)
	s_xor_b32 s64, exec_lo, s64
	s_cbranch_execz .LBB18_22
.LBB18_1192:                            ;   in Loop: Header=BB18_3 Depth=1
	s_mov_b32 s65, exec_lo
	v_readlane_b32 s68, v85, 19
	s_and_b32 s68, s65, s68
	s_delay_alu instid0(SALU_CYCLE_1)
	s_xor_b32 s65, s68, s65
	s_mov_b32 exec_lo, s68
	s_cbranch_execz .LBB18_1196
; %bb.1193:                             ;   in Loop: Header=BB18_3 Depth=1
	s_mov_b32 s68, exec_lo
	v_readlane_b32 s69, v84, 26
	s_and_b32 s69, s68, s69
	s_delay_alu instid0(SALU_CYCLE_1)
	s_mov_b32 exec_lo, s69
; %bb.1194:                             ;   in Loop: Header=BB18_3 Depth=1
	ds_store_b32 v71, v3
; %bb.1195:                             ;   in Loop: Header=BB18_3 Depth=1
	s_or_b32 exec_lo, exec_lo, s68
.LBB18_1196:                            ;   in Loop: Header=BB18_3 Depth=1
	s_and_not1_saveexec_b32 s65, s65
	s_cbranch_execz .LBB18_1198
; %bb.1197:                             ;   in Loop: Header=BB18_3 Depth=1
	v_lshl_add_u64 v[26:27], v[22:23], 2, s[80:81]
	global_load_b32 v2, v[26:27], off
	s_wait_loadcnt 0x0
	v_div_scale_f32 v26, null, v2, v2, 1.0
	s_delay_alu instid0(VALU_DEP_1) | instskip(SKIP_1) | instid1(TRANS32_DEP_1)
	v_rcp_f32_e32 v27, v26
	v_nop
	v_fma_f32 v78, -v26, v27, 1.0
	s_delay_alu instid0(VALU_DEP_1) | instskip(SKIP_1) | instid1(VALU_DEP_1)
	v_fmac_f32_e32 v27, v78, v27
	v_div_scale_f32 v78, vcc_lo, 1.0, v2, 1.0
	v_mul_f32_e32 v79, v78, v27
	s_delay_alu instid0(VALU_DEP_1) | instskip(NEXT) | instid1(VALU_DEP_1)
	v_fma_f32 v80, -v26, v79, v78
	v_fmac_f32_e32 v79, v80, v27
	s_delay_alu instid0(VALU_DEP_1) | instskip(NEXT) | instid1(VALU_DEP_1)
	v_fma_f32 v26, -v26, v79, v78
	v_div_fmas_f32 v26, v26, v27, v79
	s_delay_alu instid0(VALU_DEP_1)
	v_div_fixup_f32 v2, v26, v2, 1.0
	ds_store_b32 v71, v2
.LBB18_1198:                            ;   in Loop: Header=BB18_3 Depth=1
	s_or_b32 exec_lo, exec_lo, s65
	s_and_not1_saveexec_b32 s64, s64
	s_cbranch_execnz .LBB18_23
	s_branch .LBB18_24
.LBB18_1199:                            ;   in Loop: Header=BB18_3 Depth=1
	ds_load_b32 v2, v66
	ds_load_b32 v24, v62
	s_wait_dscnt 0x0
	v_fma_f32 v2, v2, v24, 0
	s_or_b32 exec_lo, exec_lo, s64
	s_and_saveexec_b32 s64, s8
	s_cbranch_execz .LBB18_1139
.LBB18_1200:                            ;   in Loop: Header=BB18_3 Depth=1
	ds_load_b32 v24, v66 offset:4096
	ds_load_b32 v25, v62 offset:64
	s_wait_dscnt 0x0
	v_fmac_f32_e32 v2, v24, v25
	s_or_b32 exec_lo, exec_lo, s64
	s_and_saveexec_b32 s64, s9
	s_cbranch_execz .LBB18_1140
.LBB18_1201:                            ;   in Loop: Header=BB18_3 Depth=1
	ds_load_b32 v24, v66 offset:8192
	ds_load_b32 v25, v62 offset:128
	s_wait_dscnt 0x0
	v_fmac_f32_e32 v2, v24, v25
	s_or_b32 exec_lo, exec_lo, s64
	s_and_saveexec_b32 s64, s10
	s_cbranch_execnz .LBB18_1141
	s_branch .LBB18_1142
.LBB18_1202:                            ;   in Loop: Header=BB18_3 Depth=1
	s_or_b32 exec_lo, exec_lo, s82
	s_delay_alu instid0(SALU_CYCLE_1)
	s_and_b32 vcc_lo, exec_lo, s64
	s_cbranch_vccnz .LBB18_1145
.LBB18_1203:                            ;   in Loop: Header=BB18_3 Depth=1
	v_mov_b32_e32 v78, v24
	v_mov_b64_e32 v[24:25], v[12:13]
	s_and_saveexec_b32 s64, s65
	s_cbranch_execz .LBB18_1205
.LBB18_1204:                            ;   in Loop: Header=BB18_3 Depth=1
	s_delay_alu instid0(VALU_DEP_1)
	v_lshl_add_u64 v[24:25], v[24:25], 2, s[80:81]
	global_store_b32 v[24:25], v78, off
.LBB18_1205:                            ;   in Loop: Header=BB18_3 Depth=1
	s_wait_xcnt 0x0
	s_or_b32 exec_lo, exec_lo, s64
	global_wb scope:SCOPE_DEV
	s_wait_storecnt 0x0
	global_inv scope:SCOPE_DEV
	s_wait_loadcnt 0x0
	s_barrier_signal -1
	s_barrier_wait -1
	s_and_saveexec_b32 s64, s59
	s_cbranch_execz .LBB18_2
; %bb.1206:                             ;   in Loop: Header=BB18_3 Depth=1
	s_lshl_b64 s[68:69], s[76:77], 2
	s_delay_alu instid0(SALU_CYCLE_1)
	s_add_nc_u64 s[68:69], s[78:79], s[68:69]
	global_load_b32 v2, v3, s[68:69]
	s_wait_loadcnt 0x0
	v_add_nc_u32_e32 v2, 1, v2
	global_store_b32 v3, v2, s[68:69]
	s_branch .LBB18_2
.LBB18_1207:                            ;   in Loop: Header=BB18_3 Depth=1
	ds_load_b32 v26, v37 offset:15840
	ds_load_b32 v27, v36 offset:16372
	s_wait_dscnt 0x0
	v_fmac_f32_e32 v2, v26, v27
	s_or_b32 exec_lo, exec_lo, s65
	s_and_saveexec_b32 s65, s18
	s_cbranch_execz .LBB18_88
.LBB18_1208:                            ;   in Loop: Header=BB18_3 Depth=1
	ds_load_b32 v26, v37 offset:16096
	ds_load_b32 v27, v36 offset:16376
	s_wait_dscnt 0x0
	v_fmac_f32_e32 v2, v26, v27
	s_or_b32 exec_lo, exec_lo, s65
	s_and_saveexec_b32 s65, s0
	s_cbranch_execnz .LBB18_89
	s_branch .LBB18_90
.LBB18_1209:                            ;   in Loop: Header=BB18_3 Depth=1
	ds_load_b32 v26, v45 offset:14784
	ds_load_b32 v27, v44 offset:16356
	s_wait_dscnt 0x0
	v_fmac_f32_e32 v2, v26, v27
	s_or_b32 exec_lo, exec_lo, s65
	s_and_saveexec_b32 s65, s20
	s_cbranch_execz .LBB18_130
.LBB18_1210:                            ;   in Loop: Header=BB18_3 Depth=1
	ds_load_b32 v26, v45 offset:15040
	ds_load_b32 v27, v44 offset:16360
	s_wait_dscnt 0x0
	v_fmac_f32_e32 v2, v26, v27
	s_or_b32 exec_lo, exec_lo, s65
	s_and_saveexec_b32 s65, s21
	s_cbranch_execz .LBB18_131
.LBB18_1211:                            ;   in Loop: Header=BB18_3 Depth=1
	ds_load_b32 v26, v45 offset:15296
	ds_load_b32 v27, v44 offset:16364
	s_wait_dscnt 0x0
	v_fmac_f32_e32 v2, v26, v27
	s_or_b32 exec_lo, exec_lo, s65
	s_and_saveexec_b32 s65, s22
	s_cbranch_execz .LBB18_132
.LBB18_1212:                            ;   in Loop: Header=BB18_3 Depth=1
	ds_load_b32 v26, v45 offset:15552
	ds_load_b32 v27, v44 offset:16368
	s_wait_dscnt 0x0
	v_fmac_f32_e32 v2, v26, v27
	s_or_b32 exec_lo, exec_lo, s65
	s_and_saveexec_b32 s65, s23
	s_cbranch_execz .LBB18_133
.LBB18_1213:                            ;   in Loop: Header=BB18_3 Depth=1
	ds_load_b32 v26, v45 offset:15808
	ds_load_b32 v27, v44 offset:16372
	s_wait_dscnt 0x0
	v_fmac_f32_e32 v2, v26, v27
	s_or_b32 exec_lo, exec_lo, s65
	s_and_saveexec_b32 s65, s2
	s_cbranch_execz .LBB18_134
.LBB18_1214:                            ;   in Loop: Header=BB18_3 Depth=1
	ds_load_b32 v26, v45 offset:16064
	ds_load_b32 v27, v44 offset:16376
	s_wait_dscnt 0x0
	v_fmac_f32_e32 v2, v26, v27
	s_or_b32 exec_lo, exec_lo, s65
	s_and_saveexec_b32 s65, s18
	s_cbranch_execnz .LBB18_135
	s_branch .LBB18_136
.LBB18_1215:                            ;   in Loop: Header=BB18_3 Depth=1
	ds_load_b32 v26, v37 offset:13760
	ds_load_b32 v27, v36 offset:14292
	s_wait_dscnt 0x0
	v_fmac_f32_e32 v2, v26, v27
	s_or_b32 exec_lo, exec_lo, s65
	s_and_saveexec_b32 s65, s18
	s_cbranch_execz .LBB18_192
.LBB18_1216:                            ;   in Loop: Header=BB18_3 Depth=1
	ds_load_b32 v26, v37 offset:14016
	ds_load_b32 v27, v36 offset:14296
	s_wait_dscnt 0x0
	v_fmac_f32_e32 v2, v26, v27
	s_or_b32 exec_lo, exec_lo, s65
	s_and_saveexec_b32 s65, s0
	s_cbranch_execnz .LBB18_193
	s_branch .LBB18_194
.LBB18_1217:                            ;   in Loop: Header=BB18_3 Depth=1
	ds_load_b32 v26, v52 offset:15232
	ds_load_b32 v27, v51 offset:16364
	s_wait_dscnt 0x0
	v_fmac_f32_e32 v2, v26, v27
	s_or_b32 exec_lo, exec_lo, s64
	s_and_saveexec_b32 s64, s3
	s_cbranch_execz .LBB18_254
.LBB18_1218:                            ;   in Loop: Header=BB18_3 Depth=1
	ds_load_b32 v26, v52 offset:15488
	ds_load_b32 v27, v51 offset:16368
	s_wait_dscnt 0x0
	v_fmac_f32_e32 v2, v26, v27
	s_or_b32 exec_lo, exec_lo, s64
	s_and_saveexec_b32 s64, s20
	s_cbranch_execz .LBB18_255
.LBB18_1219:                            ;   in Loop: Header=BB18_3 Depth=1
	ds_load_b32 v26, v52 offset:15744
	ds_load_b32 v27, v51 offset:16372
	s_wait_dscnt 0x0
	v_fmac_f32_e32 v2, v26, v27
	s_or_b32 exec_lo, exec_lo, s64
	s_and_saveexec_b32 s64, s22
	s_cbranch_execz .LBB18_256
.LBB18_1220:                            ;   in Loop: Header=BB18_3 Depth=1
	ds_load_b32 v26, v52 offset:16000
	ds_load_b32 v27, v51 offset:16376
	s_wait_dscnt 0x0
	v_fmac_f32_e32 v2, v26, v27
	s_or_b32 exec_lo, exec_lo, s64
	s_and_saveexec_b32 s64, s2
	s_cbranch_execnz .LBB18_257
	s_branch .LBB18_258
.LBB18_1221:                            ;   in Loop: Header=BB18_3 Depth=1
	ds_load_b32 v26, v37 offset:11680
	ds_load_b32 v27, v36 offset:12212
	s_wait_dscnt 0x0
	v_fmac_f32_e32 v2, v26, v27
	s_or_b32 exec_lo, exec_lo, s65
	s_and_saveexec_b32 s65, s18
	s_cbranch_execz .LBB18_346
.LBB18_1222:                            ;   in Loop: Header=BB18_3 Depth=1
	ds_load_b32 v26, v37 offset:11936
	ds_load_b32 v27, v36 offset:12216
	s_wait_dscnt 0x0
	v_fmac_f32_e32 v2, v26, v27
	s_or_b32 exec_lo, exec_lo, s65
	s_and_saveexec_b32 s65, s0
	s_cbranch_execnz .LBB18_347
	s_branch .LBB18_348
.LBB18_1223:                            ;   in Loop: Header=BB18_3 Depth=1
	ds_load_b32 v26, v45 offset:10624
	ds_load_b32 v27, v44 offset:12196
	s_wait_dscnt 0x0
	v_fmac_f32_e32 v2, v26, v27
	s_or_b32 exec_lo, exec_lo, s65
	s_and_saveexec_b32 s65, s20
	s_cbranch_execz .LBB18_388
.LBB18_1224:                            ;   in Loop: Header=BB18_3 Depth=1
	ds_load_b32 v26, v45 offset:10880
	ds_load_b32 v27, v44 offset:12200
	s_wait_dscnt 0x0
	v_fmac_f32_e32 v2, v26, v27
	s_or_b32 exec_lo, exec_lo, s65
	s_and_saveexec_b32 s65, s21
	s_cbranch_execz .LBB18_389
.LBB18_1225:                            ;   in Loop: Header=BB18_3 Depth=1
	ds_load_b32 v26, v45 offset:11136
	ds_load_b32 v27, v44 offset:12204
	s_wait_dscnt 0x0
	v_fmac_f32_e32 v2, v26, v27
	s_or_b32 exec_lo, exec_lo, s65
	s_and_saveexec_b32 s65, s22
	s_cbranch_execz .LBB18_390
.LBB18_1226:                            ;   in Loop: Header=BB18_3 Depth=1
	ds_load_b32 v26, v45 offset:11392
	ds_load_b32 v27, v44 offset:12208
	s_wait_dscnt 0x0
	v_fmac_f32_e32 v2, v26, v27
	s_or_b32 exec_lo, exec_lo, s65
	s_and_saveexec_b32 s65, s23
	s_cbranch_execz .LBB18_391
.LBB18_1227:                            ;   in Loop: Header=BB18_3 Depth=1
	ds_load_b32 v26, v45 offset:11648
	ds_load_b32 v27, v44 offset:12212
	s_wait_dscnt 0x0
	v_fmac_f32_e32 v2, v26, v27
	s_or_b32 exec_lo, exec_lo, s65
	s_and_saveexec_b32 s65, s2
	s_cbranch_execz .LBB18_392
.LBB18_1228:                            ;   in Loop: Header=BB18_3 Depth=1
	ds_load_b32 v26, v45 offset:11904
	ds_load_b32 v27, v44 offset:12216
	s_wait_dscnt 0x0
	v_fmac_f32_e32 v2, v26, v27
	s_or_b32 exec_lo, exec_lo, s65
	s_and_saveexec_b32 s65, s18
	s_cbranch_execnz .LBB18_393
	s_branch .LBB18_394
.LBB18_1229:                            ;   in Loop: Header=BB18_3 Depth=1
	ds_load_b32 v26, v37 offset:9600
	ds_load_b32 v27, v36 offset:10132
	s_wait_dscnt 0x0
	v_fmac_f32_e32 v2, v26, v27
	s_or_b32 exec_lo, exec_lo, s65
	s_and_saveexec_b32 s65, s18
	s_cbranch_execz .LBB18_450
.LBB18_1230:                            ;   in Loop: Header=BB18_3 Depth=1
	ds_load_b32 v26, v37 offset:9856
	ds_load_b32 v27, v36 offset:10136
	s_wait_dscnt 0x0
	v_fmac_f32_e32 v2, v26, v27
	s_or_b32 exec_lo, exec_lo, s65
	s_and_saveexec_b32 s65, s0
	s_cbranch_execnz .LBB18_451
	s_branch .LBB18_452
.LBB18_1231:                            ;   in Loop: Header=BB18_3 Depth=1
	ds_load_b32 v26, v60 offset:15616
	ds_load_b32 v27, v59 offset:16372
	s_wait_dscnt 0x0
	v_fmac_f32_e32 v2, v26, v27
	s_or_b32 exec_lo, exec_lo, s64
	s_and_saveexec_b32 s64, s3
	s_cbranch_execz .LBB18_548
.LBB18_1232:                            ;   in Loop: Header=BB18_3 Depth=1
	ds_load_b32 v26, v60 offset:15872
	ds_load_b32 v27, v59 offset:16376
	s_wait_dscnt 0x0
	v_fmac_f32_e32 v2, v26, v27
	s_or_b32 exec_lo, exec_lo, s64
	s_and_saveexec_b32 s64, s22
	s_cbranch_execnz .LBB18_549
	s_branch .LBB18_550
.LBB18_1233:                            ;   in Loop: Header=BB18_3 Depth=1
	ds_load_b32 v26, v37 offset:7520
	ds_load_b32 v27, v36 offset:8052
	s_wait_dscnt 0x0
	v_fmac_f32_e32 v2, v26, v27
	s_or_b32 exec_lo, exec_lo, s65
	s_and_saveexec_b32 s65, s18
	s_cbranch_execz .LBB18_702
.LBB18_1234:                            ;   in Loop: Header=BB18_3 Depth=1
	ds_load_b32 v26, v37 offset:7776
	ds_load_b32 v27, v36 offset:8056
	s_wait_dscnt 0x0
	v_fmac_f32_e32 v2, v26, v27
	s_or_b32 exec_lo, exec_lo, s65
	s_and_saveexec_b32 s65, s0
	s_cbranch_execnz .LBB18_703
	s_branch .LBB18_704
.LBB18_1235:                            ;   in Loop: Header=BB18_3 Depth=1
	ds_load_b32 v26, v45 offset:6464
	ds_load_b32 v27, v44 offset:8036
	s_wait_dscnt 0x0
	v_fmac_f32_e32 v2, v26, v27
	s_or_b32 exec_lo, exec_lo, s65
	s_and_saveexec_b32 s65, s20
	s_cbranch_execz .LBB18_744
.LBB18_1236:                            ;   in Loop: Header=BB18_3 Depth=1
	ds_load_b32 v26, v45 offset:6720
	ds_load_b32 v27, v44 offset:8040
	s_wait_dscnt 0x0
	v_fmac_f32_e32 v2, v26, v27
	s_or_b32 exec_lo, exec_lo, s65
	s_and_saveexec_b32 s65, s21
	s_cbranch_execz .LBB18_745
.LBB18_1237:                            ;   in Loop: Header=BB18_3 Depth=1
	ds_load_b32 v26, v45 offset:6976
	ds_load_b32 v27, v44 offset:8044
	s_wait_dscnt 0x0
	v_fmac_f32_e32 v2, v26, v27
	s_or_b32 exec_lo, exec_lo, s65
	s_and_saveexec_b32 s65, s22
	s_cbranch_execz .LBB18_746
.LBB18_1238:                            ;   in Loop: Header=BB18_3 Depth=1
	ds_load_b32 v26, v45 offset:7232
	ds_load_b32 v27, v44 offset:8048
	s_wait_dscnt 0x0
	v_fmac_f32_e32 v2, v26, v27
	s_or_b32 exec_lo, exec_lo, s65
	s_and_saveexec_b32 s65, s23
	s_cbranch_execz .LBB18_747
.LBB18_1239:                            ;   in Loop: Header=BB18_3 Depth=1
	ds_load_b32 v26, v45 offset:7488
	ds_load_b32 v27, v44 offset:8052
	s_wait_dscnt 0x0
	v_fmac_f32_e32 v2, v26, v27
	s_or_b32 exec_lo, exec_lo, s65
	s_and_saveexec_b32 s65, s2
	s_cbranch_execz .LBB18_748
.LBB18_1240:                            ;   in Loop: Header=BB18_3 Depth=1
	ds_load_b32 v26, v45 offset:7744
	ds_load_b32 v27, v44 offset:8056
	s_wait_dscnt 0x0
	v_fmac_f32_e32 v2, v26, v27
	s_or_b32 exec_lo, exec_lo, s65
	s_and_saveexec_b32 s65, s18
	s_cbranch_execnz .LBB18_749
	s_branch .LBB18_750
.LBB18_1241:                            ;   in Loop: Header=BB18_3 Depth=1
	ds_load_b32 v26, v37 offset:5440
	ds_load_b32 v27, v36 offset:5972
	s_wait_dscnt 0x0
	v_fmac_f32_e32 v2, v26, v27
	s_or_b32 exec_lo, exec_lo, s65
	s_and_saveexec_b32 s65, s18
	s_cbranch_execz .LBB18_806
.LBB18_1242:                            ;   in Loop: Header=BB18_3 Depth=1
	ds_load_b32 v26, v37 offset:5696
	ds_load_b32 v27, v36 offset:5976
	s_wait_dscnt 0x0
	v_fmac_f32_e32 v2, v26, v27
	s_or_b32 exec_lo, exec_lo, s65
	s_and_saveexec_b32 s65, s0
	s_cbranch_execnz .LBB18_807
	s_branch .LBB18_808
.LBB18_1243:                            ;   in Loop: Header=BB18_3 Depth=1
	ds_load_b32 v26, v52 offset:6912
	ds_load_b32 v27, v51 offset:8044
	s_wait_dscnt 0x0
	v_fmac_f32_e32 v2, v26, v27
	s_or_b32 exec_lo, exec_lo, s64
	s_and_saveexec_b32 s64, s3
	s_cbranch_execz .LBB18_868
.LBB18_1244:                            ;   in Loop: Header=BB18_3 Depth=1
	ds_load_b32 v26, v52 offset:7168
	ds_load_b32 v27, v51 offset:8048
	s_wait_dscnt 0x0
	v_fmac_f32_e32 v2, v26, v27
	s_or_b32 exec_lo, exec_lo, s64
	s_and_saveexec_b32 s64, s20
	s_cbranch_execz .LBB18_869
.LBB18_1245:                            ;   in Loop: Header=BB18_3 Depth=1
	ds_load_b32 v26, v52 offset:7424
	ds_load_b32 v27, v51 offset:8052
	s_wait_dscnt 0x0
	v_fmac_f32_e32 v2, v26, v27
	s_or_b32 exec_lo, exec_lo, s64
	s_and_saveexec_b32 s64, s22
	s_cbranch_execz .LBB18_870
.LBB18_1246:                            ;   in Loop: Header=BB18_3 Depth=1
	ds_load_b32 v26, v52 offset:7680
	ds_load_b32 v27, v51 offset:8056
	s_wait_dscnt 0x0
	v_fmac_f32_e32 v2, v26, v27
	s_or_b32 exec_lo, exec_lo, s64
	s_and_saveexec_b32 s64, s2
	s_cbranch_execnz .LBB18_871
	s_branch .LBB18_872
.LBB18_1247:                            ;   in Loop: Header=BB18_3 Depth=1
	ds_load_b32 v26, v37 offset:3360
	ds_load_b32 v27, v36 offset:3892
	s_wait_dscnt 0x0
	v_fmac_f32_e32 v2, v26, v27
	s_or_b32 exec_lo, exec_lo, s65
	s_and_saveexec_b32 s65, s18
	s_cbranch_execz .LBB18_960
.LBB18_1248:                            ;   in Loop: Header=BB18_3 Depth=1
	ds_load_b32 v26, v37 offset:3616
	ds_load_b32 v27, v36 offset:3896
	s_wait_dscnt 0x0
	v_fmac_f32_e32 v2, v26, v27
	s_or_b32 exec_lo, exec_lo, s65
	s_and_saveexec_b32 s65, s0
	s_cbranch_execnz .LBB18_961
	s_branch .LBB18_962
.LBB18_1249:                            ;   in Loop: Header=BB18_3 Depth=1
	ds_load_b32 v26, v45 offset:2304
	ds_load_b32 v27, v44 offset:3876
	s_wait_dscnt 0x0
	v_fmac_f32_e32 v2, v26, v27
	s_or_b32 exec_lo, exec_lo, s65
	s_and_saveexec_b32 s65, s20
	s_cbranch_execz .LBB18_1002
.LBB18_1250:                            ;   in Loop: Header=BB18_3 Depth=1
	ds_load_b32 v26, v45 offset:2560
	ds_load_b32 v27, v44 offset:3880
	s_wait_dscnt 0x0
	v_fmac_f32_e32 v2, v26, v27
	s_or_b32 exec_lo, exec_lo, s65
	s_and_saveexec_b32 s65, s21
	s_cbranch_execz .LBB18_1003
.LBB18_1251:                            ;   in Loop: Header=BB18_3 Depth=1
	ds_load_b32 v26, v45 offset:2816
	ds_load_b32 v27, v44 offset:3884
	s_wait_dscnt 0x0
	v_fmac_f32_e32 v2, v26, v27
	s_or_b32 exec_lo, exec_lo, s65
	s_and_saveexec_b32 s65, s22
	s_cbranch_execz .LBB18_1004
.LBB18_1252:                            ;   in Loop: Header=BB18_3 Depth=1
	ds_load_b32 v26, v45 offset:3072
	ds_load_b32 v27, v44 offset:3888
	s_wait_dscnt 0x0
	v_fmac_f32_e32 v2, v26, v27
	s_or_b32 exec_lo, exec_lo, s65
	s_and_saveexec_b32 s65, s23
	s_cbranch_execz .LBB18_1005
.LBB18_1253:                            ;   in Loop: Header=BB18_3 Depth=1
	ds_load_b32 v26, v45 offset:3328
	ds_load_b32 v27, v44 offset:3892
	s_wait_dscnt 0x0
	v_fmac_f32_e32 v2, v26, v27
	s_or_b32 exec_lo, exec_lo, s65
	s_and_saveexec_b32 s65, s2
	s_cbranch_execz .LBB18_1006
.LBB18_1254:                            ;   in Loop: Header=BB18_3 Depth=1
	ds_load_b32 v26, v45 offset:3584
	ds_load_b32 v27, v44 offset:3896
	s_wait_dscnt 0x0
	v_fmac_f32_e32 v2, v26, v27
	s_or_b32 exec_lo, exec_lo, s65
	s_and_saveexec_b32 s65, s18
	s_cbranch_execnz .LBB18_1007
	s_branch .LBB18_1008
.LBB18_1255:                            ;   in Loop: Header=BB18_3 Depth=1
	ds_load_b32 v26, v37 offset:1280
	ds_load_b32 v27, v36 offset:1812
	s_wait_dscnt 0x0
	v_fmac_f32_e32 v2, v26, v27
	s_or_b32 exec_lo, exec_lo, s65
	s_and_saveexec_b32 s65, s18
	s_cbranch_execz .LBB18_1064
.LBB18_1256:                            ;   in Loop: Header=BB18_3 Depth=1
	ds_load_b32 v26, v37 offset:1536
	ds_load_b32 v27, v36 offset:1816
	s_wait_dscnt 0x0
	v_fmac_f32_e32 v2, v26, v27
	s_or_b32 exec_lo, exec_lo, s65
	s_and_saveexec_b32 s65, s0
	s_cbranch_execnz .LBB18_1065
	s_branch .LBB18_1066
.LBB18_1257:
	s_endpgm
	.section	.rodata,"a",@progbits
	.p2align	6, 0x0
	.amdhsa_kernel _ZL19rocblas_trsv_deviceILi64ELi16ELb0ELb1ELb1ELb0EffPKfPfEviT7_lllT6_T8_lllPii
		.amdhsa_group_segment_fixed_size 20740
		.amdhsa_private_segment_fixed_size 0
		.amdhsa_kernarg_size 352
		.amdhsa_user_sgpr_count 2
		.amdhsa_user_sgpr_dispatch_ptr 0
		.amdhsa_user_sgpr_queue_ptr 0
		.amdhsa_user_sgpr_kernarg_segment_ptr 1
		.amdhsa_user_sgpr_dispatch_id 0
		.amdhsa_user_sgpr_kernarg_preload_length 0
		.amdhsa_user_sgpr_kernarg_preload_offset 0
		.amdhsa_user_sgpr_private_segment_size 0
		.amdhsa_wavefront_size32 1
		.amdhsa_uses_dynamic_stack 0
		.amdhsa_enable_private_segment 0
		.amdhsa_system_sgpr_workgroup_id_x 1
		.amdhsa_system_sgpr_workgroup_id_y 0
		.amdhsa_system_sgpr_workgroup_id_z 1
		.amdhsa_system_sgpr_workgroup_info 0
		.amdhsa_system_vgpr_workitem_id 1
		.amdhsa_next_free_vgpr 88
		.amdhsa_next_free_sgpr 105
		.amdhsa_named_barrier_count 0
		.amdhsa_reserve_vcc 1
		.amdhsa_float_round_mode_32 0
		.amdhsa_float_round_mode_16_64 0
		.amdhsa_float_denorm_mode_32 3
		.amdhsa_float_denorm_mode_16_64 3
		.amdhsa_fp16_overflow 0
		.amdhsa_memory_ordered 1
		.amdhsa_forward_progress 1
		.amdhsa_inst_pref_size 255
		.amdhsa_round_robin_scheduling 0
		.amdhsa_exception_fp_ieee_invalid_op 0
		.amdhsa_exception_fp_denorm_src 0
		.amdhsa_exception_fp_ieee_div_zero 0
		.amdhsa_exception_fp_ieee_overflow 0
		.amdhsa_exception_fp_ieee_underflow 0
		.amdhsa_exception_fp_ieee_inexact 0
		.amdhsa_exception_int_div_zero 0
	.end_amdhsa_kernel
	.section	.text._ZL19rocblas_trsv_deviceILi64ELi16ELb0ELb1ELb1ELb0EffPKfPfEviT7_lllT6_T8_lllPii,"axG",@progbits,_ZL19rocblas_trsv_deviceILi64ELi16ELb0ELb1ELb1ELb0EffPKfPfEviT7_lllT6_T8_lllPii,comdat
.Lfunc_end18:
	.size	_ZL19rocblas_trsv_deviceILi64ELi16ELb0ELb1ELb1ELb0EffPKfPfEviT7_lllT6_T8_lllPii, .Lfunc_end18-_ZL19rocblas_trsv_deviceILi64ELi16ELb0ELb1ELb1ELb0EffPKfPfEviT7_lllT6_T8_lllPii
                                        ; -- End function
	.set _ZL19rocblas_trsv_deviceILi64ELi16ELb0ELb1ELb1ELb0EffPKfPfEviT7_lllT6_T8_lllPii.num_vgpr, 88
	.set _ZL19rocblas_trsv_deviceILi64ELi16ELb0ELb1ELb1ELb0EffPKfPfEviT7_lllT6_T8_lllPii.num_agpr, 0
	.set _ZL19rocblas_trsv_deviceILi64ELi16ELb0ELb1ELb1ELb0EffPKfPfEviT7_lllT6_T8_lllPii.numbered_sgpr, 105
	.set _ZL19rocblas_trsv_deviceILi64ELi16ELb0ELb1ELb1ELb0EffPKfPfEviT7_lllT6_T8_lllPii.num_named_barrier, 0
	.set _ZL19rocblas_trsv_deviceILi64ELi16ELb0ELb1ELb1ELb0EffPKfPfEviT7_lllT6_T8_lllPii.private_seg_size, 0
	.set _ZL19rocblas_trsv_deviceILi64ELi16ELb0ELb1ELb1ELb0EffPKfPfEviT7_lllT6_T8_lllPii.uses_vcc, 1
	.set _ZL19rocblas_trsv_deviceILi64ELi16ELb0ELb1ELb1ELb0EffPKfPfEviT7_lllT6_T8_lllPii.uses_flat_scratch, 0
	.set _ZL19rocblas_trsv_deviceILi64ELi16ELb0ELb1ELb1ELb0EffPKfPfEviT7_lllT6_T8_lllPii.has_dyn_sized_stack, 0
	.set _ZL19rocblas_trsv_deviceILi64ELi16ELb0ELb1ELb1ELb0EffPKfPfEviT7_lllT6_T8_lllPii.has_recursion, 0
	.set _ZL19rocblas_trsv_deviceILi64ELi16ELb0ELb1ELb1ELb0EffPKfPfEviT7_lllT6_T8_lllPii.has_indirect_call, 0
	.section	.AMDGPU.csdata,"",@progbits
; Kernel info:
; codeLenInByte = 42604
; TotalNumSgprs: 107
; NumVgprs: 88
; ScratchSize: 0
; MemoryBound: 0
; FloatMode: 240
; IeeeMode: 1
; LDSByteSize: 20740 bytes/workgroup (compile time only)
; SGPRBlocks: 0
; VGPRBlocks: 5
; NumSGPRsForWavesPerEU: 107
; NumVGPRsForWavesPerEU: 88
; NamedBarCnt: 0
; Occupancy: 10
; WaveLimiterHint : 0
; COMPUTE_PGM_RSRC2:SCRATCH_EN: 0
; COMPUTE_PGM_RSRC2:USER_SGPR: 2
; COMPUTE_PGM_RSRC2:TRAP_HANDLER: 0
; COMPUTE_PGM_RSRC2:TGID_X_EN: 1
; COMPUTE_PGM_RSRC2:TGID_Y_EN: 0
; COMPUTE_PGM_RSRC2:TGID_Z_EN: 1
; COMPUTE_PGM_RSRC2:TIDIG_COMP_CNT: 1
	.section	.text._ZL19rocblas_trsv_deviceILi64ELi16ELb1ELb0ELb0ELb1EffPKfPfEviT7_lllT6_T8_lllPii,"axG",@progbits,_ZL19rocblas_trsv_deviceILi64ELi16ELb1ELb0ELb0ELb1EffPKfPfEviT7_lllT6_T8_lllPii,comdat
	.globl	_ZL19rocblas_trsv_deviceILi64ELi16ELb1ELb0ELb0ELb1EffPKfPfEviT7_lllT6_T8_lllPii ; -- Begin function _ZL19rocblas_trsv_deviceILi64ELi16ELb1ELb0ELb0ELb1EffPKfPfEviT7_lllT6_T8_lllPii
	.p2align	8
	.type	_ZL19rocblas_trsv_deviceILi64ELi16ELb1ELb0ELb0ELb1EffPKfPfEviT7_lllT6_T8_lllPii,@function
_ZL19rocblas_trsv_deviceILi64ELi16ELb1ELb0ELb0ELb1EffPKfPfEviT7_lllT6_T8_lllPii: ; @_ZL19rocblas_trsv_deviceILi64ELi16ELb1ELb0ELb0ELb1EffPKfPfEviT7_lllT6_T8_lllPii
; %bb.0:
	s_load_b32 s6, s[0:1], 0x58
	s_bfe_u32 s2, ttmp6, 0x40014
	s_lshr_b32 s3, ttmp7, 16
	s_add_co_i32 s2, s2, 1
	s_bfe_u32 s5, ttmp6, 0x40008
	s_mul_i32 s4, s3, s2
	s_getreg_b32 s2, hwreg(HW_REG_IB_STS2, 6, 4)
	s_add_co_i32 s5, s5, s4
	s_cmp_eq_u32 s2, 0
	s_mov_b32 s81, 0
	s_cselect_b32 s80, s3, s5
                                        ; implicit-def: $vgpr77 : SGPR spill to VGPR lane
	s_wait_kmcnt 0x0
	s_cmp_ge_u32 s80, s6
	v_writelane_b32 v77, s6, 0
	s_cbranch_scc1 .LBB19_1163
; %bb.1:
	s_clause 0x3
	s_load_b256 s[64:71], s[0:1], 0x8
	s_load_b256 s[72:79], s[0:1], 0x30
	s_load_b32 s3, s[0:1], 0x6c
	s_load_b32 s95, s[0:1], 0x0
	s_bfe_u32 s5, ttmp6, 0x4000c
	s_and_b32 s4, ttmp6, 15
	s_add_co_i32 s5, s5, 1
	v_bfe_u32 v4, v0, 10, 10
	s_mul_i32 s5, ttmp9, s5
	v_and_b32_e32 v6, 0x3ff, v0
	s_add_co_i32 s6, s4, s5
	v_dual_lshrrev_b32 v22, 10, v0 :: v_dual_bitop2_b32 v15, 7, v0 bitop3:0x40
	v_dual_lshlrev_b32 v11, 6, v4 :: v_dual_add_nc_u32 v32, 16, v4
	v_and_b32_e32 v14, 1, v0
	s_delay_alu instid0(VALU_DEP_3) | instskip(NEXT) | instid1(VALU_DEP_4)
	v_cmp_lt_u32_e64 s8, 2, v15
	v_bitop3_b32 v70, v0, v22, 0x3ff bitop3:0xa8
	s_delay_alu instid0(VALU_DEP_4)
	v_dual_add_nc_u32 v69, v11, v6 :: v_dual_bitop2_b32 v18, 15, v0 bitop3:0x40
	s_wait_kmcnt 0x0
	s_lshl_b64 s[16:17], s[66:67], 2
	s_lshl_b64 s[14:15], s[74:75], 2
	s_cmp_eq_u32 s2, 0
	s_add_nc_u64 s[4:5], s[68:69], 1
	s_cselect_b32 s96, ttmp9, s6
	s_and_b32 s2, s3, 0xffff
	s_add_co_i32 s3, s95, -1
	s_ashr_i32 s6, s95, 31
	s_ashr_i32 s7, s3, 31
	s_lshr_b32 s6, s6, 26
	s_lshr_b32 s7, s7, 26
	s_add_co_i32 s6, s95, s6
	s_add_co_i32 s3, s3, s7
	s_and_not1_b32 s6, s6, 63
	s_ashr_i32 s3, s3, 6
	s_sub_co_i32 s11, s95, s6
	s_cmp_eq_u32 s3, s96
	v_mad_u32_u24 v8, v4, s2, v6
	s_cselect_b32 s2, -1, 0
	s_cmp_lg_u32 s11, 0
	v_sub_co_u32 v7, s3, s96, 1
	s_cselect_b32 s6, -1, 0
	s_lshl_b32 s18, s96, 6
	s_delay_alu instid0(SALU_CYCLE_1) | instskip(SKIP_2) | instid1(VALU_DEP_2)
	v_dual_mov_b32 v3, 0 :: v_dual_add_nc_u32 v5, s18, v4
	s_ashr_i32 s19, s18, 31
	v_dual_add_nc_u32 v10, s18, v6 :: v_dual_add_nc_u32 v2, s18, v8
	v_dual_mov_b32 v9, v3 :: v_dual_bitop2_b32 v1, 3, v0 bitop3:0x40
	s_delay_alu instid0(VALU_DEP_3) | instskip(SKIP_2) | instid1(VALU_DEP_2)
	v_subrev_nc_u32_e32 v20, 64, v5
	s_xor_b32 s3, s3, -1
	s_and_b32 s51, s6, s2
	v_add_nc_u64_e32 v[16:17], s[18:19], v[8:9]
	v_xor_b32_e32 v9, v11, v6
	v_dual_ashrrev_i32 v21, 31, v20 :: v_dual_bitop2_b32 v11, v11, v6 bitop3:0x40
	v_writelane_b32 v77, s3, 1
	s_xor_b32 s98, s51, -1
	s_delay_alu instid0(VALU_DEP_3)
	v_lshrrev_b16 v9, 1, v9
	s_mul_u64 s[12:13], s[4:5], s[18:19]
	v_cmp_gt_u32_e64 s3, 16, v69
	s_cmp_gt_i32 s96, 4
	v_cmp_eq_u32_e32 vcc_lo, 1, v14
	v_add_nc_u16 v9, v11, v9
	v_ashrrev_i32_e32 v11, 31, v10
	v_cmp_ne_u32_e64 s5, 0, v1
	v_cmp_eq_u32_e64 s6, 1, v1
	s_cselect_b32 s2, -1, 0
	v_cmp_eq_u32_e64 s4, 0, v1
	s_and_b32 s99, s2, s98
	v_cmp_gt_u32_e64 s2, 4, v69
	s_and_b32 s103, s5, s3
	s_and_b32 s104, s6, s3
	v_cmp_eq_u32_e64 s5, 2, v1
	v_cmp_eq_u32_e64 s6, 3, v1
	s_xor_b32 s7, vcc_lo, -1
	s_and_b32 s101, vcc_lo, s2
	s_and_b32 s102, s4, s3
	v_cmp_lt_u32_e32 vcc_lo, 1, v1
	v_cmp_gt_u32_e64 s4, 64, v69
	s_and_b32 s31, s5, s3
	s_and_b32 s33, s6, s3
	v_cmp_eq_u32_e64 s5, 1, v15
	v_cmp_lt_u32_e64 s6, 1, v15
	s_and_b32 vcc_hi, vcc_lo, s3
	v_cmp_ne_u32_e32 vcc_lo, 0, v15
	s_and_b32 s39, s8, s4
	s_and_b32 s36, s5, s4
	;; [unrolled: 1-line block ×3, first 2 shown]
	v_cmp_lt_u32_e64 s5, 3, v15
	v_cmp_eq_u32_e64 s6, 4, v15
	v_cmp_eq_u32_e64 s8, 5, v15
	s_and_b32 s35, vcc_lo, s4
	v_cmp_eq_u32_e32 vcc_lo, 3, v15
	s_and_b32 s41, s5, s4
	s_and_b32 s42, s6, s4
	;; [unrolled: 1-line block ×3, first 2 shown]
	v_cmp_eq_u32_e64 s6, 6, v15
	v_cmp_gt_u32_e64 s5, 0x100, v69
	v_lshlrev_b32_e32 v14, 2, v14
	v_cmp_eq_u32_e64 s8, 0, v18
	s_and_b32 s40, vcc_lo, s4
	v_cmp_lt_u32_e32 vcc_lo, 5, v15
	v_cmp_ne_u32_e64 s9, 0, v18
	s_and_b32 s46, s6, s4
	s_and_b32 s6, s8, s5
	;; [unrolled: 1-line block ×3, first 2 shown]
	v_cmp_eq_u32_e64 s7, 0, v15
	v_writelane_b32 v77, s6, 2
	s_and_b32 s45, vcc_lo, s4
	s_and_b32 s6, s9, s5
	v_cmp_eq_u32_e32 vcc_lo, 1, v18
	s_and_b32 s34, s7, s4
	v_cmp_eq_u32_e64 s7, 2, v15
	v_writelane_b32 v77, s6, 3
	v_cmp_lt_u32_e64 s6, 1, v18
	s_and_b32 s10, vcc_lo, s5
	v_cmp_eq_u32_e64 s9, 3, v18
	s_and_b32 s38, s7, s4
	v_cmp_lt_u32_e64 s7, 4, v15
	v_writelane_b32 v77, s10, 4
	s_and_b32 s6, s6, s5
	s_and_b32 s54, s9, s5
	v_cmp_lt_u32_e64 s9, 5, v18
	s_and_b32 s43, s7, s4
	v_cmp_eq_u32_e64 s7, 7, v15
	v_writelane_b32 v77, s6, 5
	v_cmp_eq_u32_e64 s6, 4, v18
	v_cmp_lt_u32_e32 vcc_lo, 3, v18
	s_and_b32 s28, s9, s5
	s_and_b32 s47, s7, s4
	v_cmp_eq_u32_e64 s7, 2, v18
	s_and_b32 s22, s6, s5
	v_cmp_lt_u32_e64 s6, 6, v18
	v_cmp_eq_u32_e64 s9, 8, v18
	v_cmp_lt_u32_e64 s8, 2, v18
	s_and_b32 s52, s7, s5
	v_cmp_lt_u32_e64 s7, 4, v18
	s_and_b32 s20, vcc_lo, s5
	v_cmp_eq_u32_e32 vcc_lo, 6, v18
	s_and_b32 s57, s6, s5
	s_and_b32 s60, s9, s5
	v_cmp_eq_u32_e64 s6, 9, v18
	v_cmp_lt_u32_e64 s9, 10, v18
	s_and_b32 s53, s8, s5
	v_cmp_eq_u32_e64 s8, 5, v18
	s_and_b32 s24, s7, s5
	v_cmp_eq_u32_e64 s7, 7, v18
	s_and_b32 s30, vcc_lo, s5
	v_cmp_lt_u32_e32 vcc_lo, 8, v18
	s_and_b32 s62, s6, s5
	s_and_b32 s23, s9, s5
	v_cmp_lt_u32_e64 s6, 11, v18
	v_cmp_eq_u32_e64 s9, 13, v18
	v_dual_lshrrev_b32 v0, 2, v69 :: v_dual_bitop2_b32 v19, 31, v0 bitop3:0x40
	s_and_b32 s26, s8, s5
	v_cmp_lt_u32_e64 s8, 7, v18
	s_and_b32 s58, s7, s5
	v_cmp_lt_u32_e64 s7, 9, v18
	s_and_b32 s61, vcc_lo, s5
	v_cmp_eq_u32_e32 vcc_lo, 11, v18
	s_and_b32 s27, s6, s5
	s_and_b32 s94, s9, s5
	v_cmp_gt_u32_e64 s6, 0x400, v69
	v_cmp_eq_u32_e64 s9, 0, v19
	s_and_b32 s59, s8, s5
	v_cmp_eq_u32_e64 s8, 10, v18
	s_and_b32 s63, s7, s5
	v_cmp_eq_u32_e64 s7, 12, v18
	s_and_b32 s25, vcc_lo, s5
	v_cmp_lt_u32_e32 vcc_lo, 13, v18
	v_cmp_ne_u32_e64 s10, 0, v19
	s_and_b32 s9, s9, s6
	s_and_b32 s21, s8, s5
	v_writelane_b32 v77, s9, 6
	v_cmp_lt_u32_e64 s8, 12, v18
	s_and_b32 s29, s7, s5
	v_cmp_eq_u32_e64 s7, 14, v18
	s_and_b32 s48, vcc_lo, s5
	v_cmp_eq_u32_e32 vcc_lo, 1, v19
	s_and_b32 s9, s10, s6
	s_and_b32 s97, s8, s5
	v_writelane_b32 v77, s9, 7
	v_cmp_eq_u32_e64 s8, 15, v18
	s_and_b32 s49, s7, s5
	v_cmp_lt_u32_e64 s7, 1, v19
	s_and_b32 s9, vcc_lo, s6
	v_cmp_lt_u32_e32 vcc_lo, 2, v19
	v_writelane_b32 v77, s9, 8
	s_and_b32 s50, s8, s5
	v_cmp_eq_u32_e64 s8, 2, v19
	s_and_b32 s7, s7, s6
	s_and_b32 s18, vcc_lo, s6
	v_writelane_b32 v77, s7, 9
	v_cmp_eq_u32_e64 s9, 4, v19
	s_and_b32 s7, s8, s6
	v_cmp_lt_u32_e64 s8, 3, v19
	v_cmp_lt_u32_e64 s10, 4, v19
	v_writelane_b32 v77, s7, 10
	v_cmp_eq_u32_e64 s7, 3, v19
	v_cmp_eq_u32_e32 vcc_lo, 5, v19
                                        ; implicit-def: $vgpr76 : SGPR spill to VGPR lane
                                        ; implicit-def: $vgpr75 : SGPR spill to VGPR lane
	s_load_b64 s[82:83], s[0:1], 0x50
	v_dual_add_nc_u32 v30, 32, v4 :: v_dual_add_nc_u32 v28, 48, v4
	v_writelane_b32 v77, s18, 11
	s_and_b32 s7, s7, s6
	s_wait_xcnt 0x0
	s_load_b32 s0, s[0:1], 0x28
	v_mul_u64_e32 v[12:13], s[68:69], v[20:21]
	v_and_b32_e32 v21, 0xffff, v9
	v_writelane_b32 v77, s7, 12
	s_and_b32 s7, s8, s6
	v_mul_u32_u24_e32 v36, 0x104, v0
	v_lshlrev_b32_e32 v38, 2, v6
	v_lshl_add_u32 v9, v21, 2, 0x4000
	v_writelane_b32 v77, s7, 13
	s_and_b32 s7, s9, s6
	v_lshl_or_b32 v34, v21, 8, v14
	v_mul_u32_u24_e32 v35, 0x104, v21
	v_and_b32_e32 v14, 0x1fffc, v69
	v_writelane_b32 v77, s7, 14
	s_and_b32 s7, s10, s6
	v_lshrrev_b32_e32 v21, 3, v69
	s_delay_alu instid0(VALU_DEP_3)
	v_dual_lshlrev_b32 v37, 2, v1 :: v_dual_sub_nc_u32 v1, v36, v14
	v_writelane_b32 v77, s7, 15
	s_and_b32 s7, vcc_lo, s6
	v_cmp_lt_u32_e32 vcc_lo, 5, v19
	v_dual_mov_b32 v64, 1.0 :: v_dual_add_nc_u32 v39, 0x4000, v14
	v_writelane_b32 v77, s7, 16
	v_dual_lshlrev_b32 v14, 2, v21 :: v_dual_lshlrev_b32 v44, 2, v15
	s_and_b32 s7, vcc_lo, s6
	v_cmp_eq_u32_e32 vcc_lo, 6, v19
	v_writelane_b32 v77, s7, 17
	v_lshl_or_b32 v40, v0, 8, v37
	v_mul_u32_u24_e32 v41, 0x104, v21
	v_lshrrev_b32_e32 v0, 4, v69
	s_and_b32 s7, vcc_lo, s6
	v_cmp_lt_u32_e32 vcc_lo, 6, v19
	v_writelane_b32 v77, s7, 18
	v_add_nc_u32_e32 v42, v1, v37
	v_add_nc_u32_e32 v43, 0x4000, v14
	v_sub_nc_u32_e32 v1, v41, v14
	s_and_b32 s7, vcc_lo, s6
	v_cmp_eq_u32_e32 vcc_lo, 7, v19
	v_writelane_b32 v77, s7, 19
	v_lshlrev_b32_e32 v14, 2, v0
	v_mul_u32_u24_e32 v45, 0x104, v0
	v_dual_lshrrev_b32 v15, 5, v69 :: v_dual_add_nc_u32 v47, v1, v44
	s_and_b32 s7, vcc_lo, s6
	v_cmp_lt_u32_e32 vcc_lo, 7, v19
	v_writelane_b32 v77, s7, 20
	s_delay_alu instid0(VALU_DEP_3)
	v_dual_lshlrev_b32 v48, 2, v18 :: v_dual_lshlrev_b32 v49, 2, v15
	v_dual_sub_nc_u32 v1, v45, v14 :: v_dual_lshlrev_b32 v50, 8, v15
	s_and_b32 s7, vcc_lo, s6
	v_cmp_eq_u32_e32 vcc_lo, 8, v19
	v_writelane_b32 v77, s7, 21
	v_add_nc_u32_e32 v52, 0x4000, v14
	v_mul_u64_e32 v[14:15], s[76:77], v[2:3]
	v_subrev_nc_u32_e32 v2, 48, v5
	s_and_b32 s7, vcc_lo, s6
	v_cmp_lt_u32_e32 vcc_lo, 8, v19
	v_writelane_b32 v77, s7, 22
	v_subrev_nc_u32_e32 v18, 32, v5
                                        ; implicit-def: $vgpr74 : SGPR spill to VGPR lane
	v_dual_mov_b32 v33, v3 :: v_dual_add_nc_u32 v60, 0x4000, v38
	s_and_b32 s7, vcc_lo, s6
	v_cmp_eq_u32_e32 vcc_lo, 9, v19
	v_writelane_b32 v77, s7, 23
	v_lshl_or_b32 v46, v21, 8, v44
	v_dual_lshlrev_b32 v51, 2, v19 :: v_dual_add_nc_u32 v54, v1, v48
	s_and_b32 s7, vcc_lo, s6
	v_cmp_lt_u32_e32 vcc_lo, 9, v19
	v_writelane_b32 v77, s7, 24
	v_lshl_or_b32 v53, v0, 8, v48
	v_mul_u64_e32 v[0:1], s[76:77], v[10:11]
	v_mul_u64_e32 v[16:17], s[76:77], v[16:17]
	s_and_b32 s7, vcc_lo, s6
	v_cmp_eq_u32_e32 vcc_lo, 10, v19
	v_writelane_b32 v77, s7, 25
	v_dual_lshlrev_b32 v26, 2, v6 :: v_dual_bitop2_b32 v71, v30, v6 bitop3:0x54
	v_lshl_add_u32 v57, v4, 2, 0x5000
	s_and_b32 s7, vcc_lo, s6
	v_cmp_lt_u32_e32 vcc_lo, 10, v19
	v_writelane_b32 v77, s7, 26
	s_add_nc_u64 s[66:67], s[64:65], s[16:17]
	s_add_nc_u64 s[72:73], s[72:73], s[14:15]
	v_add_nc_u32_e32 v55, 0x4000, v49
	s_and_b32 s7, vcc_lo, s6
	v_cmp_eq_u32_e32 vcc_lo, 11, v19
	v_writelane_b32 v77, s7, 27
	v_dual_add_nc_u32 v62, v57, v38 :: v_dual_bitop2_b32 v56, v50, v51 bitop3:0x54
	v_lshl_add_u32 v58, v8, 2, 0x5000
	s_and_b32 s7, vcc_lo, s6
	v_cmp_lt_u32_e32 vcc_lo, 11, v19
	v_writelane_b32 v77, s7, 28
	v_lshl_add_u32 v59, v69, 2, 0x4000
	v_lshl_add_u32 v61, v4, 8, v38
	;; [unrolled: 1-line block ×3, first 2 shown]
	s_and_b32 s7, vcc_lo, s6
	v_cmp_eq_u32_e32 vcc_lo, 12, v19
	v_writelane_b32 v77, s7, 29
	v_cmp_gt_u32_e64 s14, 8, v69
	v_cmp_gt_u32_e64 s15, 56, v69
	;; [unrolled: 1-line block ×3, first 2 shown]
	s_and_b32 s7, vcc_lo, s6
	v_cmp_lt_u32_e32 vcc_lo, 12, v19
	v_writelane_b32 v77, s7, 30
	v_cmp_gt_u32_e64 s17, 40, v69
	v_cmp_gt_u32_e64 s56, 64, v8
	s_mul_u64 s[88:89], s[68:69], 0xc0
	s_and_b32 s7, vcc_lo, s6
	v_cmp_eq_u32_e32 vcc_lo, 13, v19
	v_writelane_b32 v77, s7, 31
                                        ; implicit-def: $vgpr65
                                        ; implicit-def: $vgpr66
                                        ; implicit-def: $vgpr67
                                        ; implicit-def: $vgpr68
	v_dual_mov_b32 v31, v3 :: v_dual_mov_b32 v27, v3
	v_mov_b32_e32 v29, v3
	s_and_b32 s7, vcc_lo, s6
	v_cmp_lt_u32_e32 vcc_lo, 13, v19
	v_writelane_b32 v76, s7, 0
	v_mul_u64_e32 v[22:23], s[68:69], v[30:31]
	v_or_b32_e32 v31, v28, v6
	v_mul_u64_e32 v[24:25], s[68:69], v[28:29]
	s_and_b32 s7, vcc_lo, s6
	v_cmp_eq_u32_e32 vcc_lo, 14, v19
	v_writelane_b32 v76, s7, 1
	s_and_b32 s7, vcc_lo, s6
	v_cmp_lt_u32_e32 vcc_lo, 14, v19
	v_writelane_b32 v76, s7, 2
	s_and_b32 s7, vcc_lo, s6
	v_cmp_eq_u32_e32 vcc_lo, 15, v19
	v_writelane_b32 v76, s7, 3
	s_and_b32 s7, vcc_lo, s6
	v_cmp_lt_u32_e32 vcc_lo, 15, v19
	v_writelane_b32 v76, s7, 4
	;; [unrolled: 6-line block ×16, first 2 shown]
	s_and_b32 s7, vcc_lo, s6
	v_cmp_eq_u32_e32 vcc_lo, 30, v19
	v_writelane_b32 v75, s7, 1
	s_and_b32 s7, vcc_lo, s6
	v_cmp_eq_u32_e32 vcc_lo, 31, v19
	v_writelane_b32 v75, s7, 2
	v_cmp_eq_u32_e64 s7, 0, v4
	s_and_b32 s9, vcc_lo, s6
	v_cmp_le_i32_e32 vcc_lo, s11, v6
	s_and_b32 s8, vcc_lo, s51
	s_delay_alu instid0(SALU_CYCLE_1) | instskip(SKIP_1) | instid1(SALU_CYCLE_1)
	v_writelane_b32 v75, s8, 3
	s_xor_b32 s8, s8, -1
	s_and_b32 s10, s7, s8
	v_cmp_le_i32_e64 s8, s11, v4
	s_cmp_gt_i32 s96, 0
	s_wait_kmcnt 0x0
	v_writelane_b32 v75, s0, 4
	s_cselect_b32 s51, -1, 0
	s_lshl_b64 s[74:75], s[12:13], 2
	s_or_b32 s18, s8, vcc_lo
	v_cmp_le_i32_e64 s8, s11, v32
	v_cmp_gt_u32_e64 s12, 2, v69
	v_cmp_gt_u32_e64 s13, 12, v69
	s_lshl_b64 s[84:85], s[68:69], 6
	s_lshl_b64 s[86:87], s[68:69], 7
	s_or_b32 s19, s8, vcc_lo
	v_cmp_le_i32_e64 s8, s11, v30
	s_or_b32 s55, s8, vcc_lo
	v_cmp_le_i32_e64 s8, s11, v28
	s_or_b32 s8, s8, vcc_lo
	v_cmp_gt_i32_e32 vcc_lo, s11, v6
	v_cmp_eq_u32_e64 s11, 0, v70
	s_and_b32 s0, s7, vcc_lo
	v_cmp_gt_i32_e32 vcc_lo, s95, v20
	v_writelane_b32 v75, s0, 5
	v_cmp_gt_i32_e64 s0, s95, v10
	v_mul_u64_e32 v[20:21], s[68:69], v[32:33]
	v_lshl_add_u32 v33, v30, 8, v38
	s_and_b32 s1, s0, vcc_lo
	v_cmp_gt_i32_e32 vcc_lo, s95, v2
	v_writelane_b32 v75, s1, 6
	v_dual_mov_b32 v5, v3 :: v_dual_add_nc_u32 v2, -16, v5
	s_and_b32 s1, s0, vcc_lo
	v_cmp_gt_i32_e32 vcc_lo, s95, v18
	v_writelane_b32 v75, s1, 7
	s_delay_alu instid0(VALU_DEP_3)
	v_mul_u64_e32 v[18:19], s[68:69], v[4:5]
	v_lshl_add_u32 v5, v32, 8, v38
	s_and_b32 s1, s0, vcc_lo
	v_cmp_gt_i32_e32 vcc_lo, s95, v2
	v_writelane_b32 v75, s1, 8
	v_or_b32_e32 v2, v32, v6
	s_and_b32 s1, s0, vcc_lo
	s_delay_alu instid0(SALU_CYCLE_1) | instskip(SKIP_1) | instid1(VALU_DEP_1)
	v_writelane_b32 v75, s1, 9
	v_cmp_le_u32_e64 s1, v6, v4
	v_writelane_b32 v75, s1, 10
	s_or_b32 s1, s18, s1
	v_cmp_gt_u32_e64 s18, 32, v69
	v_writelane_b32 v75, s1, 11
	v_cmp_le_u32_e64 s1, v6, v32
	s_delay_alu instid0(VALU_DEP_1) | instskip(SKIP_4) | instid1(VALU_DEP_1)
	v_writelane_b32 v75, s1, 12
	s_or_b32 s1, s19, s1
	v_cmp_gt_u32_e64 s19, 24, v69
	v_writelane_b32 v75, s1, 13
	v_cmp_le_u32_e64 s1, v6, v30
	v_writelane_b32 v75, s1, 14
	s_or_b32 s1, s55, s1
	v_cmp_eq_u32_e64 s55, 0, v8
	v_writelane_b32 v75, s1, 15
	v_cmp_le_u32_e64 s1, v6, v28
	s_delay_alu instid0(VALU_DEP_1) | instskip(SKIP_1) | instid1(SALU_CYCLE_1)
	v_writelane_b32 v75, s1, 16
	s_or_b32 s1, s8, s1
	v_writelane_b32 v75, s1, 17
	v_cmp_gt_u32_e64 s1, 0xf0, v69
	s_delay_alu instid0(VALU_DEP_1) | instskip(SKIP_1) | instid1(VALU_DEP_1)
	v_writelane_b32 v75, s1, 18
	v_cmp_gt_u32_e64 s1, 0xe0, v69
	v_writelane_b32 v75, s1, 19
	v_cmp_gt_u32_e64 s1, 0xd0, v69
	s_delay_alu instid0(VALU_DEP_1) | instskip(SKIP_1) | instid1(VALU_DEP_1)
	v_writelane_b32 v75, s1, 20
	v_cmp_gt_u32_e64 s1, 0xc0, v69
	;; [unrolled: 5-line block ×17, first 2 shown]
	v_writelane_b32 v74, s1, 19
	v_cmp_ge_u32_e64 s1, v6, v4
	s_delay_alu instid0(VALU_DEP_1) | instskip(SKIP_1) | instid1(VALU_DEP_1)
	v_writelane_b32 v74, s1, 20
	v_cmp_ge_u32_e64 s1, v6, v32
	v_writelane_b32 v74, s1, 21
	v_cmp_ge_u32_e64 s1, v6, v30
	s_delay_alu instid0(VALU_DEP_1) | instskip(SKIP_1) | instid1(VALU_DEP_1)
	v_writelane_b32 v74, s1, 22
	v_cmp_ge_u32_e64 s1, v6, v28
	v_writelane_b32 v74, s1, 23
	v_cmp_gt_u32_e64 s1, 64, v70
	s_delay_alu instid0(VALU_DEP_1) | instskip(SKIP_1) | instid1(VALU_DEP_1)
	v_writelane_b32 v74, s1, 24
	v_cmp_gt_u32_e64 s1, 64, v2
	v_writelane_b32 v74, s1, 25
	v_cmp_gt_u32_e64 s1, 64, v71
	s_delay_alu instid0(VALU_DEP_1) | instskip(SKIP_1) | instid1(VALU_DEP_1)
	v_writelane_b32 v74, s1, 26
	v_cmp_gt_u32_e64 s1, 64, v31
	v_writelane_b32 v74, s1, 27
	s_branch .LBB19_3
.LBB19_2:                               ;   in Loop: Header=BB19_3 Depth=1
	s_wait_xcnt 0x0
	s_or_b32 exec_lo, exec_lo, s1
	v_readlane_b32 s1, v77, 0
	s_add_co_i32 s80, s80, 0x10000
	global_wb scope:SCOPE_DEV
	s_wait_storecnt 0x0
	global_inv scope:SCOPE_DEV
	s_cmp_lt_u32 s80, s1
	s_cbranch_scc0 .LBB19_1163
.LBB19_3:                               ; =>This Loop Header: Depth=1
                                        ;     Child Loop BB19_1043 Depth 2
                                        ;       Child Loop BB19_1045 Depth 3
                                        ;     Child Loop BB19_1083 Depth 2
	v_readlane_b32 s1, v77, 1
	s_mul_u64 s[64:65], s[70:71], s[80:81]
	s_delay_alu instid0(SALU_CYCLE_1) | instskip(NEXT) | instid1(SALU_CYCLE_1)
	s_lshl_b64 s[64:65], s[64:65], 2
	s_add_nc_u64 s[90:91], s[66:67], s[64:65]
	s_and_not1_b32 vcc_lo, exec_lo, s1
	s_cbranch_vccnz .LBB19_13
; %bb.4:                                ;   in Loop: Header=BB19_3 Depth=1
	v_lshl_add_u64 v[28:29], v[12:13], 2, s[90:91]
	v_dual_mov_b32 v66, 0 :: v_dual_mov_b32 v65, 0
	s_barrier_signal -1
	s_delay_alu instid0(VALU_DEP_2) | instskip(SKIP_4) | instid1(SALU_CYCLE_1)
	v_lshl_add_u64 v[28:29], v[10:11], 2, v[28:29]
	s_barrier_wait -1
	s_mov_b32 s1, exec_lo
	v_readlane_b32 s8, v75, 6
	s_and_b32 s8, s1, s8
	s_mov_b32 exec_lo, s8
	s_cbranch_execz .LBB19_6
; %bb.5:                                ;   in Loop: Header=BB19_3 Depth=1
	global_load_b32 v65, v[28:29], off
.LBB19_6:                               ;   in Loop: Header=BB19_3 Depth=1
	s_wait_xcnt 0x0
	s_or_b32 exec_lo, exec_lo, s1
	s_wait_loadcnt 0x0
	s_barrier_signal -1
	s_barrier_wait -1
	s_mov_b32 s1, exec_lo
	v_readlane_b32 s8, v75, 7
	s_and_b32 s8, s1, s8
	s_delay_alu instid0(SALU_CYCLE_1)
	s_mov_b32 exec_lo, s8
	s_cbranch_execz .LBB19_8
; %bb.7:                                ;   in Loop: Header=BB19_3 Depth=1
	v_add_nc_u64_e32 v[30:31], s[84:85], v[28:29]
	global_load_b32 v66, v[30:31], off
.LBB19_8:                               ;   in Loop: Header=BB19_3 Depth=1
	s_wait_xcnt 0x0
	s_or_b32 exec_lo, exec_lo, s1
	v_dual_mov_b32 v68, 0 :: v_dual_mov_b32 v67, 0
	s_wait_loadcnt 0x0
	s_barrier_signal -1
	s_barrier_wait -1
	s_mov_b32 s1, exec_lo
	v_readlane_b32 s8, v75, 8
	s_and_b32 s8, s1, s8
	s_delay_alu instid0(SALU_CYCLE_1)
	s_mov_b32 exec_lo, s8
	s_cbranch_execz .LBB19_10
; %bb.9:                                ;   in Loop: Header=BB19_3 Depth=1
	v_add_nc_u64_e32 v[30:31], s[86:87], v[28:29]
	global_load_b32 v67, v[30:31], off
.LBB19_10:                              ;   in Loop: Header=BB19_3 Depth=1
	s_wait_xcnt 0x0
	s_or_b32 exec_lo, exec_lo, s1
	s_wait_loadcnt 0x0
	s_barrier_signal -1
	s_barrier_wait -1
	s_mov_b32 s1, exec_lo
	v_readlane_b32 s8, v75, 9
	s_and_b32 s8, s1, s8
	s_delay_alu instid0(SALU_CYCLE_1)
	s_mov_b32 exec_lo, s8
	s_cbranch_execz .LBB19_12
; %bb.11:                               ;   in Loop: Header=BB19_3 Depth=1
	v_add_nc_u64_e32 v[28:29], s[88:89], v[28:29]
	global_load_b32 v68, v[28:29], off
.LBB19_12:                              ;   in Loop: Header=BB19_3 Depth=1
	s_wait_xcnt 0x0
	s_or_b32 exec_lo, exec_lo, s1
.LBB19_13:                              ;   in Loop: Header=BB19_3 Depth=1
	s_add_nc_u64 s[64:65], s[90:91], s[74:75]
	s_and_not1_b32 vcc_lo, exec_lo, s98
	v_add_nc_u64_e32 v[28:29], s[64:65], v[26:27]
	s_mov_b32 s1, -1
	s_cbranch_vccnz .LBB19_37
; %bb.14:                               ;   in Loop: Header=BB19_3 Depth=1
	s_mov_b32 s8, 0
	s_mov_b32 s1, exec_lo
	v_readlane_b32 s64, v75, 10
	s_and_b32 s64, s1, s64
	s_delay_alu instid0(SALU_CYCLE_1)
	s_xor_b32 s1, s64, s1
	s_mov_b32 exec_lo, s64
	s_cbranch_execnz .LBB19_1104
; %bb.15:                               ;   in Loop: Header=BB19_3 Depth=1
	s_or_saveexec_b32 s64, s1
	v_mov_b32_e32 v2, 0
	s_xor_b32 exec_lo, exec_lo, s64
	s_cbranch_execnz .LBB19_1105
.LBB19_16:                              ;   in Loop: Header=BB19_3 Depth=1
	s_or_b32 exec_lo, exec_lo, s64
	s_and_saveexec_b32 s1, s8
.LBB19_17:                              ;   in Loop: Header=BB19_3 Depth=1
	ds_store_b32 v61, v2
.LBB19_18:                              ;   in Loop: Header=BB19_3 Depth=1
	s_or_b32 exec_lo, exec_lo, s1
	v_readlane_b32 s8, v75, 12
	s_and_saveexec_b32 s1, s8
	s_delay_alu instid0(SALU_CYCLE_1)
	s_xor_b32 s8, exec_lo, s1
	s_cbranch_execz .LBB19_22
; %bb.19:                               ;   in Loop: Header=BB19_3 Depth=1
	s_mov_b32 s1, exec_lo
	v_readlane_b32 s64, v74, 25
	s_and_b32 s64, s1, s64
	s_delay_alu instid0(SALU_CYCLE_1)
	s_mov_b32 exec_lo, s64
; %bb.20:                               ;   in Loop: Header=BB19_3 Depth=1
	ds_store_b32 v5, v3
; %bb.21:                               ;   in Loop: Header=BB19_3 Depth=1
	s_or_b32 exec_lo, exec_lo, s1
.LBB19_22:                              ;   in Loop: Header=BB19_3 Depth=1
	s_and_not1_saveexec_b32 s1, s8
	s_cbranch_execz .LBB19_24
; %bb.23:                               ;   in Loop: Header=BB19_3 Depth=1
	v_lshl_add_u64 v[30:31], v[20:21], 2, v[28:29]
	global_load_b32 v2, v[30:31], off
	s_wait_loadcnt 0x0
	v_xor_b32_e32 v2, 0x80000000, v2
	ds_store_b32 v5, v2
.LBB19_24:                              ;   in Loop: Header=BB19_3 Depth=1
	s_or_b32 exec_lo, exec_lo, s1
	v_readlane_b32 s8, v75, 14
	s_and_saveexec_b32 s1, s8
	s_delay_alu instid0(SALU_CYCLE_1)
	s_xor_b32 s8, exec_lo, s1
	s_cbranch_execz .LBB19_28
; %bb.25:                               ;   in Loop: Header=BB19_3 Depth=1
	s_mov_b32 s1, exec_lo
	v_readlane_b32 s64, v74, 26
	s_and_b32 s64, s1, s64
	s_delay_alu instid0(SALU_CYCLE_1)
	s_mov_b32 exec_lo, s64
; %bb.26:                               ;   in Loop: Header=BB19_3 Depth=1
	ds_store_b32 v33, v3
; %bb.27:                               ;   in Loop: Header=BB19_3 Depth=1
	s_or_b32 exec_lo, exec_lo, s1
.LBB19_28:                              ;   in Loop: Header=BB19_3 Depth=1
	s_and_not1_saveexec_b32 s1, s8
	s_cbranch_execz .LBB19_30
; %bb.29:                               ;   in Loop: Header=BB19_3 Depth=1
	v_lshl_add_u64 v[30:31], v[22:23], 2, v[28:29]
	global_load_b32 v2, v[30:31], off
	s_wait_loadcnt 0x0
	v_xor_b32_e32 v2, 0x80000000, v2
	ds_store_b32 v33, v2
.LBB19_30:                              ;   in Loop: Header=BB19_3 Depth=1
	;; [unrolled: 26-line block ×3, first 2 shown]
	s_or_b32 exec_lo, exec_lo, s1
	s_mov_b32 s1, 0
.LBB19_37:                              ;   in Loop: Header=BB19_3 Depth=1
	s_delay_alu instid0(SALU_CYCLE_1)
	s_and_b32 vcc_lo, exec_lo, s1
	s_cbranch_vccz .LBB19_61
; %bb.38:                               ;   in Loop: Header=BB19_3 Depth=1
	s_mov_b32 s8, 0
	s_mov_b32 s1, exec_lo
	v_readlane_b32 s64, v75, 11
	s_and_b32 s64, s1, s64
	s_delay_alu instid0(SALU_CYCLE_1)
	s_xor_b32 s1, s64, s1
	s_mov_b32 exec_lo, s64
	s_cbranch_execnz .LBB19_1106
; %bb.39:                               ;   in Loop: Header=BB19_3 Depth=1
	s_or_saveexec_b32 s64, s1
	v_mov_b32_e32 v2, 0
	s_xor_b32 exec_lo, exec_lo, s64
	s_cbranch_execnz .LBB19_1107
.LBB19_40:                              ;   in Loop: Header=BB19_3 Depth=1
	s_or_b32 exec_lo, exec_lo, s64
	s_and_saveexec_b32 s1, s8
.LBB19_41:                              ;   in Loop: Header=BB19_3 Depth=1
	ds_store_b32 v61, v2
.LBB19_42:                              ;   in Loop: Header=BB19_3 Depth=1
	s_or_b32 exec_lo, exec_lo, s1
	v_readlane_b32 s8, v75, 13
	s_and_saveexec_b32 s1, s8
	s_delay_alu instid0(SALU_CYCLE_1)
	s_xor_b32 s8, exec_lo, s1
	s_cbranch_execz .LBB19_46
; %bb.43:                               ;   in Loop: Header=BB19_3 Depth=1
	s_mov_b32 s1, exec_lo
	v_readlane_b32 s64, v74, 25
	s_and_b32 s64, s1, s64
	s_delay_alu instid0(SALU_CYCLE_1)
	s_mov_b32 exec_lo, s64
; %bb.44:                               ;   in Loop: Header=BB19_3 Depth=1
	ds_store_b32 v5, v3
; %bb.45:                               ;   in Loop: Header=BB19_3 Depth=1
	s_or_b32 exec_lo, exec_lo, s1
.LBB19_46:                              ;   in Loop: Header=BB19_3 Depth=1
	s_and_not1_saveexec_b32 s1, s8
	s_cbranch_execz .LBB19_48
; %bb.47:                               ;   in Loop: Header=BB19_3 Depth=1
	v_lshl_add_u64 v[30:31], v[20:21], 2, v[28:29]
	global_load_b32 v2, v[30:31], off
	s_wait_loadcnt 0x0
	v_xor_b32_e32 v2, 0x80000000, v2
	ds_store_b32 v5, v2
.LBB19_48:                              ;   in Loop: Header=BB19_3 Depth=1
	s_or_b32 exec_lo, exec_lo, s1
	v_readlane_b32 s8, v75, 15
	s_and_saveexec_b32 s1, s8
	s_delay_alu instid0(SALU_CYCLE_1)
	s_xor_b32 s8, exec_lo, s1
	s_cbranch_execz .LBB19_52
; %bb.49:                               ;   in Loop: Header=BB19_3 Depth=1
	s_mov_b32 s1, exec_lo
	v_readlane_b32 s64, v74, 26
	s_and_b32 s64, s1, s64
	s_delay_alu instid0(SALU_CYCLE_1)
	s_mov_b32 exec_lo, s64
; %bb.50:                               ;   in Loop: Header=BB19_3 Depth=1
	ds_store_b32 v33, v3
; %bb.51:                               ;   in Loop: Header=BB19_3 Depth=1
	s_or_b32 exec_lo, exec_lo, s1
.LBB19_52:                              ;   in Loop: Header=BB19_3 Depth=1
	s_and_not1_saveexec_b32 s1, s8
	s_cbranch_execz .LBB19_54
; %bb.53:                               ;   in Loop: Header=BB19_3 Depth=1
	v_lshl_add_u64 v[30:31], v[22:23], 2, v[28:29]
	global_load_b32 v2, v[30:31], off
	s_wait_loadcnt 0x0
	v_xor_b32_e32 v2, 0x80000000, v2
	ds_store_b32 v33, v2
.LBB19_54:                              ;   in Loop: Header=BB19_3 Depth=1
	s_or_b32 exec_lo, exec_lo, s1
	v_readlane_b32 s8, v75, 17
	s_and_saveexec_b32 s1, s8
	s_delay_alu instid0(SALU_CYCLE_1)
	s_xor_b32 s8, exec_lo, s1
	s_cbranch_execz .LBB19_58
; %bb.55:                               ;   in Loop: Header=BB19_3 Depth=1
	s_mov_b32 s1, exec_lo
	v_readlane_b32 s64, v74, 27
	s_and_b32 s64, s1, s64
	s_delay_alu instid0(SALU_CYCLE_1)
	s_mov_b32 exec_lo, s64
; %bb.56:                               ;   in Loop: Header=BB19_3 Depth=1
	ds_store_b32 v63, v3
; %bb.57:                               ;   in Loop: Header=BB19_3 Depth=1
	s_or_b32 exec_lo, exec_lo, s1
                                        ; implicit-def: $vgpr28_vgpr29
.LBB19_58:                              ;   in Loop: Header=BB19_3 Depth=1
	s_and_not1_saveexec_b32 s1, s8
	s_cbranch_execz .LBB19_60
; %bb.59:                               ;   in Loop: Header=BB19_3 Depth=1
	v_lshl_add_u64 v[28:29], v[24:25], 2, v[28:29]
	global_load_b32 v2, v[28:29], off
	s_wait_loadcnt 0x0
	v_xor_b32_e32 v2, 0x80000000, v2
	ds_store_b32 v63, v2
.LBB19_60:                              ;   in Loop: Header=BB19_3 Depth=1
	s_or_b32 exec_lo, exec_lo, s1
.LBB19_61:                              ;   in Loop: Header=BB19_3 Depth=1
	s_delay_alu instid0(SALU_CYCLE_1)
	s_and_not1_b32 vcc_lo, exec_lo, s99
	s_wait_loadcnt_dscnt 0x0
	s_barrier_signal -1
	s_barrier_wait -1
	s_cbranch_vccnz .LBB19_1037
; %bb.62:                               ;   in Loop: Header=BB19_3 Depth=1
	s_and_saveexec_b32 s1, s11
; %bb.63:                               ;   in Loop: Header=BB19_3 Depth=1
	ds_store_2addr_b32 v3, v64, v64 offset1:65
; %bb.64:                               ;   in Loop: Header=BB19_3 Depth=1
	s_or_b32 exec_lo, exec_lo, s1
	v_mov_b32_e32 v2, 0
	s_wait_dscnt 0x0
	s_barrier_signal -1
	s_barrier_wait -1
	s_and_saveexec_b32 s8, s2
	s_cbranch_execz .LBB19_68
; %bb.65:                               ;   in Loop: Header=BB19_3 Depth=1
	ds_load_b32 v2, v34 offset:8
	ds_load_b32 v28, v35
	s_wait_dscnt 0x0
	v_fma_f32 v2, v2, v28, 0
	s_and_saveexec_b32 s1, s12
	s_cbranch_execz .LBB19_67
; %bb.66:                               ;   in Loop: Header=BB19_3 Depth=1
	ds_load_b32 v28, v38 offset:264
	ds_load_b32 v29, v3 offset:4
	s_wait_dscnt 0x0
	v_fmac_f32_e32 v2, v28, v29
.LBB19_67:                              ;   in Loop: Header=BB19_3 Depth=1
	s_or_b32 exec_lo, exec_lo, s1
	s_delay_alu instid0(VALU_DEP_1)
	v_xor_b32_e32 v2, 0x80000000, v2
.LBB19_68:                              ;   in Loop: Header=BB19_3 Depth=1
	s_or_b32 exec_lo, exec_lo, s8
	s_and_saveexec_b32 s1, s100
; %bb.69:                               ;   in Loop: Header=BB19_3 Depth=1
	ds_store_b32 v9, v2
; %bb.70:                               ;   in Loop: Header=BB19_3 Depth=1
	s_or_b32 exec_lo, exec_lo, s1
	s_wait_dscnt 0x0
	s_barrier_signal -1
	s_barrier_wait -1
	s_and_saveexec_b32 s1, s101
	s_cbranch_execz .LBB19_72
; %bb.71:                               ;   in Loop: Header=BB19_3 Depth=1
	ds_load_b32 v28, v3 offset:524
	ds_load_b32 v29, v9
	s_wait_dscnt 0x0
	v_fmac_f32_e32 v2, v28, v29
.LBB19_72:                              ;   in Loop: Header=BB19_3 Depth=1
	s_or_b32 exec_lo, exec_lo, s1
	s_barrier_signal -1
	s_barrier_wait -1
	s_and_saveexec_b32 s1, s101
; %bb.73:                               ;   in Loop: Header=BB19_3 Depth=1
	ds_store_b32 v9, v2
; %bb.74:                               ;   in Loop: Header=BB19_3 Depth=1
	s_or_b32 exec_lo, exec_lo, s1
	s_wait_dscnt 0x0
	s_barrier_signal -1
	s_barrier_wait -1
	s_barrier_signal -1
	s_barrier_wait -1
	s_and_saveexec_b32 s1, s2
; %bb.75:                               ;   in Loop: Header=BB19_3 Depth=1
	v_xor_b32_e32 v2, 0x80000000, v2
	ds_store_b32 v34, v2 offset:8
; %bb.76:                               ;   in Loop: Header=BB19_3 Depth=1
	s_or_b32 exec_lo, exec_lo, s1
	s_wait_dscnt 0x0
	s_barrier_signal -1
	s_barrier_wait -1
	s_barrier_signal -1
	s_barrier_wait -1
	s_and_saveexec_b32 s1, s11
; %bb.77:                               ;   in Loop: Header=BB19_3 Depth=1
	ds_store_2addr_b32 v3, v64, v64 offset0:130 offset1:195
; %bb.78:                               ;   in Loop: Header=BB19_3 Depth=1
	s_or_b32 exec_lo, exec_lo, s1
	v_mov_b32_e32 v2, 0
	s_wait_dscnt 0x0
	s_barrier_signal -1
	s_barrier_wait -1
	s_and_saveexec_b32 s8, s3
	s_cbranch_execz .LBB19_84
; %bb.79:                               ;   in Loop: Header=BB19_3 Depth=1
	ds_load_b32 v2, v40 offset:16
	ds_load_b32 v28, v36
	s_wait_dscnt 0x0
	v_fma_f32 v2, v2, v28, 0
	s_and_saveexec_b32 s1, s13
	s_cbranch_execnz .LBB19_1113
; %bb.80:                               ;   in Loop: Header=BB19_3 Depth=1
	s_or_b32 exec_lo, exec_lo, s1
	s_and_saveexec_b32 s1, s14
	s_cbranch_execnz .LBB19_1114
.LBB19_81:                              ;   in Loop: Header=BB19_3 Depth=1
	s_or_b32 exec_lo, exec_lo, s1
	s_and_saveexec_b32 s1, s2
	s_cbranch_execz .LBB19_83
.LBB19_82:                              ;   in Loop: Header=BB19_3 Depth=1
	ds_load_b32 v28, v38 offset:784
	ds_load_b32 v29, v3 offset:12
	s_wait_dscnt 0x0
	v_fmac_f32_e32 v2, v28, v29
.LBB19_83:                              ;   in Loop: Header=BB19_3 Depth=1
	s_or_b32 exec_lo, exec_lo, s1
	s_delay_alu instid0(VALU_DEP_1)
	v_xor_b32_e32 v2, 0x80000000, v2
.LBB19_84:                              ;   in Loop: Header=BB19_3 Depth=1
	s_or_b32 exec_lo, exec_lo, s8
	s_and_saveexec_b32 s1, s102
; %bb.85:                               ;   in Loop: Header=BB19_3 Depth=1
	ds_store_b32 v39, v2
; %bb.86:                               ;   in Loop: Header=BB19_3 Depth=1
	s_or_b32 exec_lo, exec_lo, s1
	s_wait_dscnt 0x0
	s_barrier_signal -1
	s_barrier_wait -1
	s_and_saveexec_b32 s1, s103
	s_cbranch_execz .LBB19_88
; %bb.87:                               ;   in Loop: Header=BB19_3 Depth=1
	ds_load_b32 v28, v37 offset:1040
	ds_load_b32 v29, v39
	s_wait_dscnt 0x0
	v_fmac_f32_e32 v2, v28, v29
.LBB19_88:                              ;   in Loop: Header=BB19_3 Depth=1
	s_or_b32 exec_lo, exec_lo, s1
	s_barrier_signal -1
	s_barrier_wait -1
	s_and_saveexec_b32 s1, s104
; %bb.89:                               ;   in Loop: Header=BB19_3 Depth=1
	ds_store_b32 v39, v2
; %bb.90:                               ;   in Loop: Header=BB19_3 Depth=1
	s_or_b32 exec_lo, exec_lo, s1
	s_wait_dscnt 0x0
	s_barrier_signal -1
	s_barrier_wait -1
	s_and_saveexec_b32 s1, vcc_hi
	s_cbranch_execz .LBB19_92
; %bb.91:                               ;   in Loop: Header=BB19_3 Depth=1
	ds_load_b32 v28, v37 offset:1296
	ds_load_b32 v29, v39
	s_wait_dscnt 0x0
	v_fmac_f32_e32 v2, v28, v29
.LBB19_92:                              ;   in Loop: Header=BB19_3 Depth=1
	s_or_b32 exec_lo, exec_lo, s1
	s_barrier_signal -1
	s_barrier_wait -1
	s_and_saveexec_b32 s1, s31
; %bb.93:                               ;   in Loop: Header=BB19_3 Depth=1
	ds_store_b32 v39, v2
; %bb.94:                               ;   in Loop: Header=BB19_3 Depth=1
	s_or_b32 exec_lo, exec_lo, s1
	s_wait_dscnt 0x0
	s_barrier_signal -1
	s_barrier_wait -1
	s_and_saveexec_b32 s1, s33
	s_cbranch_execz .LBB19_96
; %bb.95:                               ;   in Loop: Header=BB19_3 Depth=1
	ds_load_b32 v28, v3 offset:1564
	ds_load_b32 v29, v39
	s_wait_dscnt 0x0
	v_fmac_f32_e32 v2, v28, v29
.LBB19_96:                              ;   in Loop: Header=BB19_3 Depth=1
	s_or_b32 exec_lo, exec_lo, s1
	s_barrier_signal -1
	s_barrier_wait -1
	s_and_saveexec_b32 s1, s33
; %bb.97:                               ;   in Loop: Header=BB19_3 Depth=1
	ds_store_b32 v39, v2
; %bb.98:                               ;   in Loop: Header=BB19_3 Depth=1
	s_or_b32 exec_lo, exec_lo, s1
	s_wait_dscnt 0x0
	s_barrier_signal -1
	s_barrier_wait -1
	s_barrier_signal -1
	s_barrier_wait -1
	s_and_saveexec_b32 s1, s3
; %bb.99:                               ;   in Loop: Header=BB19_3 Depth=1
	v_xor_b32_e32 v2, 0x80000000, v2
	ds_store_b32 v40, v2 offset:16
; %bb.100:                              ;   in Loop: Header=BB19_3 Depth=1
	s_or_b32 exec_lo, exec_lo, s1
	s_wait_dscnt 0x0
	s_barrier_signal -1
	s_barrier_wait -1
	s_barrier_signal -1
	s_barrier_wait -1
	s_and_saveexec_b32 s1, s11
; %bb.101:                              ;   in Loop: Header=BB19_3 Depth=1
	v_add_nc_u32_e64 v2, 0x400, 0
	ds_store_2addr_b32 v2, v64, v64 offset0:4 offset1:69
; %bb.102:                              ;   in Loop: Header=BB19_3 Depth=1
	s_or_b32 exec_lo, exec_lo, s1
	v_mov_b32_e32 v2, 0
	s_wait_dscnt 0x0
	s_barrier_signal -1
	s_barrier_wait -1
	s_and_saveexec_b32 s8, s2
	s_cbranch_execz .LBB19_106
; %bb.103:                              ;   in Loop: Header=BB19_3 Depth=1
	ds_load_b32 v2, v34 offset:1048
	ds_load_b32 v28, v35 offset:1040
	s_wait_dscnt 0x0
	v_fma_f32 v2, v2, v28, 0
	s_and_saveexec_b32 s1, s12
	s_cbranch_execz .LBB19_105
; %bb.104:                              ;   in Loop: Header=BB19_3 Depth=1
	ds_load_b32 v28, v38 offset:1304
	ds_load_b32 v29, v3 offset:1044
	s_wait_dscnt 0x0
	v_fmac_f32_e32 v2, v28, v29
.LBB19_105:                             ;   in Loop: Header=BB19_3 Depth=1
	s_or_b32 exec_lo, exec_lo, s1
	s_delay_alu instid0(VALU_DEP_1)
	v_xor_b32_e32 v2, 0x80000000, v2
.LBB19_106:                             ;   in Loop: Header=BB19_3 Depth=1
	s_or_b32 exec_lo, exec_lo, s8
	s_and_saveexec_b32 s1, s100
; %bb.107:                              ;   in Loop: Header=BB19_3 Depth=1
	ds_store_b32 v9, v2
; %bb.108:                              ;   in Loop: Header=BB19_3 Depth=1
	s_or_b32 exec_lo, exec_lo, s1
	s_wait_dscnt 0x0
	s_barrier_signal -1
	s_barrier_wait -1
	s_and_saveexec_b32 s1, s101
	s_cbranch_execz .LBB19_110
; %bb.109:                              ;   in Loop: Header=BB19_3 Depth=1
	ds_load_b32 v28, v3 offset:1564
	ds_load_b32 v29, v9
	s_wait_dscnt 0x0
	v_fmac_f32_e32 v2, v28, v29
.LBB19_110:                             ;   in Loop: Header=BB19_3 Depth=1
	s_or_b32 exec_lo, exec_lo, s1
	s_barrier_signal -1
	s_barrier_wait -1
	s_and_saveexec_b32 s1, s101
; %bb.111:                              ;   in Loop: Header=BB19_3 Depth=1
	ds_store_b32 v9, v2
; %bb.112:                              ;   in Loop: Header=BB19_3 Depth=1
	s_or_b32 exec_lo, exec_lo, s1
	s_wait_dscnt 0x0
	s_barrier_signal -1
	s_barrier_wait -1
	s_barrier_signal -1
	s_barrier_wait -1
	s_and_saveexec_b32 s1, s2
; %bb.113:                              ;   in Loop: Header=BB19_3 Depth=1
	v_xor_b32_e32 v2, 0x80000000, v2
	ds_store_b32 v34, v2 offset:1048
; %bb.114:                              ;   in Loop: Header=BB19_3 Depth=1
	s_or_b32 exec_lo, exec_lo, s1
	s_wait_dscnt 0x0
	s_barrier_signal -1
	s_barrier_wait -1
	s_barrier_signal -1
	s_barrier_wait -1
	s_and_saveexec_b32 s1, s11
; %bb.115:                              ;   in Loop: Header=BB19_3 Depth=1
	v_add_nc_u32_e64 v2, 0x400, 0
	ds_store_2addr_b32 v2, v64, v64 offset0:134 offset1:199
; %bb.116:                              ;   in Loop: Header=BB19_3 Depth=1
	s_or_b32 exec_lo, exec_lo, s1
	v_mov_b32_e32 v2, 0
	s_wait_dscnt 0x0
	s_barrier_signal -1
	s_barrier_wait -1
	s_and_saveexec_b32 s8, s4
	s_cbranch_execz .LBB19_126
; %bb.117:                              ;   in Loop: Header=BB19_3 Depth=1
	ds_load_b32 v2, v46 offset:32
	ds_load_b32 v28, v41
	s_wait_dscnt 0x0
	v_fma_f32 v2, v2, v28, 0
	s_and_saveexec_b32 s1, s15
	s_cbranch_execnz .LBB19_1115
; %bb.118:                              ;   in Loop: Header=BB19_3 Depth=1
	s_or_b32 exec_lo, exec_lo, s1
	s_and_saveexec_b32 s1, s16
	s_cbranch_execnz .LBB19_1116
.LBB19_119:                             ;   in Loop: Header=BB19_3 Depth=1
	s_or_b32 exec_lo, exec_lo, s1
	s_and_saveexec_b32 s1, s17
	s_cbranch_execnz .LBB19_1117
.LBB19_120:                             ;   in Loop: Header=BB19_3 Depth=1
	s_or_b32 exec_lo, exec_lo, s1
	s_and_saveexec_b32 s1, s18
	s_cbranch_execnz .LBB19_1118
.LBB19_121:                             ;   in Loop: Header=BB19_3 Depth=1
	s_or_b32 exec_lo, exec_lo, s1
	s_and_saveexec_b32 s1, s19
	s_cbranch_execnz .LBB19_1119
.LBB19_122:                             ;   in Loop: Header=BB19_3 Depth=1
	s_or_b32 exec_lo, exec_lo, s1
	s_and_saveexec_b32 s1, s3
	s_cbranch_execnz .LBB19_1120
.LBB19_123:                             ;   in Loop: Header=BB19_3 Depth=1
	s_or_b32 exec_lo, exec_lo, s1
	s_and_saveexec_b32 s1, s14
	s_cbranch_execz .LBB19_125
.LBB19_124:                             ;   in Loop: Header=BB19_3 Depth=1
	ds_load_b32 v28, v38 offset:1824
	ds_load_b32 v29, v3 offset:28
	s_wait_dscnt 0x0
	v_fmac_f32_e32 v2, v28, v29
.LBB19_125:                             ;   in Loop: Header=BB19_3 Depth=1
	s_or_b32 exec_lo, exec_lo, s1
	s_delay_alu instid0(VALU_DEP_1)
	v_xor_b32_e32 v2, 0x80000000, v2
.LBB19_126:                             ;   in Loop: Header=BB19_3 Depth=1
	s_or_b32 exec_lo, exec_lo, s8
	s_and_saveexec_b32 s1, s34
; %bb.127:                              ;   in Loop: Header=BB19_3 Depth=1
	ds_store_b32 v43, v2
; %bb.128:                              ;   in Loop: Header=BB19_3 Depth=1
	s_or_b32 exec_lo, exec_lo, s1
	s_wait_dscnt 0x0
	s_barrier_signal -1
	s_barrier_wait -1
	s_and_saveexec_b32 s1, s35
	s_cbranch_execz .LBB19_130
; %bb.129:                              ;   in Loop: Header=BB19_3 Depth=1
	ds_load_b32 v28, v44 offset:2080
	ds_load_b32 v29, v43
	s_wait_dscnt 0x0
	v_fmac_f32_e32 v2, v28, v29
.LBB19_130:                             ;   in Loop: Header=BB19_3 Depth=1
	s_or_b32 exec_lo, exec_lo, s1
	s_barrier_signal -1
	s_barrier_wait -1
	s_and_saveexec_b32 s1, s36
; %bb.131:                              ;   in Loop: Header=BB19_3 Depth=1
	ds_store_b32 v43, v2
; %bb.132:                              ;   in Loop: Header=BB19_3 Depth=1
	s_or_b32 exec_lo, exec_lo, s1
	s_wait_dscnt 0x0
	s_barrier_signal -1
	s_barrier_wait -1
	s_and_saveexec_b32 s1, s37
	s_cbranch_execz .LBB19_134
; %bb.133:                              ;   in Loop: Header=BB19_3 Depth=1
	ds_load_b32 v28, v44 offset:2336
	ds_load_b32 v29, v43
	s_wait_dscnt 0x0
	v_fmac_f32_e32 v2, v28, v29
.LBB19_134:                             ;   in Loop: Header=BB19_3 Depth=1
	s_or_b32 exec_lo, exec_lo, s1
	s_barrier_signal -1
	s_barrier_wait -1
	;; [unrolled: 19-line block ×7, first 2 shown]
	s_and_saveexec_b32 s1, s47
; %bb.155:                              ;   in Loop: Header=BB19_3 Depth=1
	ds_store_b32 v43, v2
; %bb.156:                              ;   in Loop: Header=BB19_3 Depth=1
	s_or_b32 exec_lo, exec_lo, s1
	s_wait_dscnt 0x0
	s_barrier_signal -1
	s_barrier_wait -1
	s_barrier_signal -1
	s_barrier_wait -1
	s_and_saveexec_b32 s1, s4
; %bb.157:                              ;   in Loop: Header=BB19_3 Depth=1
	v_xor_b32_e32 v2, 0x80000000, v2
	ds_store_b32 v46, v2 offset:32
; %bb.158:                              ;   in Loop: Header=BB19_3 Depth=1
	s_or_b32 exec_lo, exec_lo, s1
	s_wait_dscnt 0x0
	s_barrier_signal -1
	s_barrier_wait -1
	s_barrier_signal -1
	s_barrier_wait -1
	s_and_saveexec_b32 s1, s11
; %bb.159:                              ;   in Loop: Header=BB19_3 Depth=1
	v_add_nc_u32_e64 v2, 0x800, 0
	ds_store_2addr_b32 v2, v64, v64 offset0:8 offset1:73
; %bb.160:                              ;   in Loop: Header=BB19_3 Depth=1
	s_or_b32 exec_lo, exec_lo, s1
	v_mov_b32_e32 v2, 0
	s_wait_dscnt 0x0
	s_barrier_signal -1
	s_barrier_wait -1
	s_and_saveexec_b32 s8, s2
	s_cbranch_execz .LBB19_164
; %bb.161:                              ;   in Loop: Header=BB19_3 Depth=1
	ds_load_b32 v2, v34 offset:2088
	ds_load_b32 v28, v35 offset:2080
	s_wait_dscnt 0x0
	v_fma_f32 v2, v2, v28, 0
	s_and_saveexec_b32 s1, s12
	s_cbranch_execz .LBB19_163
; %bb.162:                              ;   in Loop: Header=BB19_3 Depth=1
	ds_load_b32 v28, v38 offset:2344
	ds_load_b32 v29, v3 offset:2084
	s_wait_dscnt 0x0
	v_fmac_f32_e32 v2, v28, v29
.LBB19_163:                             ;   in Loop: Header=BB19_3 Depth=1
	s_or_b32 exec_lo, exec_lo, s1
	s_delay_alu instid0(VALU_DEP_1)
	v_xor_b32_e32 v2, 0x80000000, v2
.LBB19_164:                             ;   in Loop: Header=BB19_3 Depth=1
	s_or_b32 exec_lo, exec_lo, s8
	s_and_saveexec_b32 s1, s100
; %bb.165:                              ;   in Loop: Header=BB19_3 Depth=1
	ds_store_b32 v9, v2
; %bb.166:                              ;   in Loop: Header=BB19_3 Depth=1
	s_or_b32 exec_lo, exec_lo, s1
	s_wait_dscnt 0x0
	s_barrier_signal -1
	s_barrier_wait -1
	s_and_saveexec_b32 s1, s101
	s_cbranch_execz .LBB19_168
; %bb.167:                              ;   in Loop: Header=BB19_3 Depth=1
	ds_load_b32 v28, v3 offset:2604
	ds_load_b32 v29, v9
	s_wait_dscnt 0x0
	v_fmac_f32_e32 v2, v28, v29
.LBB19_168:                             ;   in Loop: Header=BB19_3 Depth=1
	s_or_b32 exec_lo, exec_lo, s1
	s_barrier_signal -1
	s_barrier_wait -1
	s_and_saveexec_b32 s1, s101
; %bb.169:                              ;   in Loop: Header=BB19_3 Depth=1
	ds_store_b32 v9, v2
; %bb.170:                              ;   in Loop: Header=BB19_3 Depth=1
	s_or_b32 exec_lo, exec_lo, s1
	s_wait_dscnt 0x0
	s_barrier_signal -1
	s_barrier_wait -1
	s_barrier_signal -1
	s_barrier_wait -1
	s_and_saveexec_b32 s1, s2
; %bb.171:                              ;   in Loop: Header=BB19_3 Depth=1
	v_xor_b32_e32 v2, 0x80000000, v2
	ds_store_b32 v34, v2 offset:2088
; %bb.172:                              ;   in Loop: Header=BB19_3 Depth=1
	s_or_b32 exec_lo, exec_lo, s1
	s_wait_dscnt 0x0
	s_barrier_signal -1
	s_barrier_wait -1
	s_barrier_signal -1
	s_barrier_wait -1
	s_and_saveexec_b32 s1, s11
; %bb.173:                              ;   in Loop: Header=BB19_3 Depth=1
	v_add_nc_u32_e64 v2, 0x800, 0
	ds_store_2addr_b32 v2, v64, v64 offset0:138 offset1:203
; %bb.174:                              ;   in Loop: Header=BB19_3 Depth=1
	s_or_b32 exec_lo, exec_lo, s1
	v_mov_b32_e32 v2, 0
	s_wait_dscnt 0x0
	s_barrier_signal -1
	s_barrier_wait -1
	s_and_saveexec_b32 s8, s3
	s_cbranch_execz .LBB19_180
; %bb.175:                              ;   in Loop: Header=BB19_3 Depth=1
	ds_load_b32 v2, v40 offset:2096
	ds_load_b32 v28, v36 offset:2080
	s_wait_dscnt 0x0
	v_fma_f32 v2, v2, v28, 0
	s_and_saveexec_b32 s1, s13
	s_cbranch_execnz .LBB19_1121
; %bb.176:                              ;   in Loop: Header=BB19_3 Depth=1
	s_or_b32 exec_lo, exec_lo, s1
	s_and_saveexec_b32 s1, s14
	s_cbranch_execnz .LBB19_1122
.LBB19_177:                             ;   in Loop: Header=BB19_3 Depth=1
	s_or_b32 exec_lo, exec_lo, s1
	s_and_saveexec_b32 s1, s2
	s_cbranch_execz .LBB19_179
.LBB19_178:                             ;   in Loop: Header=BB19_3 Depth=1
	ds_load_b32 v28, v38 offset:2864
	ds_load_b32 v29, v3 offset:2092
	s_wait_dscnt 0x0
	v_fmac_f32_e32 v2, v28, v29
.LBB19_179:                             ;   in Loop: Header=BB19_3 Depth=1
	s_or_b32 exec_lo, exec_lo, s1
	s_delay_alu instid0(VALU_DEP_1)
	v_xor_b32_e32 v2, 0x80000000, v2
.LBB19_180:                             ;   in Loop: Header=BB19_3 Depth=1
	s_or_b32 exec_lo, exec_lo, s8
	s_and_saveexec_b32 s1, s102
; %bb.181:                              ;   in Loop: Header=BB19_3 Depth=1
	ds_store_b32 v39, v2
; %bb.182:                              ;   in Loop: Header=BB19_3 Depth=1
	s_or_b32 exec_lo, exec_lo, s1
	s_wait_dscnt 0x0
	s_barrier_signal -1
	s_barrier_wait -1
	s_and_saveexec_b32 s1, s103
	s_cbranch_execz .LBB19_184
; %bb.183:                              ;   in Loop: Header=BB19_3 Depth=1
	ds_load_b32 v28, v37 offset:3120
	ds_load_b32 v29, v39
	s_wait_dscnt 0x0
	v_fmac_f32_e32 v2, v28, v29
.LBB19_184:                             ;   in Loop: Header=BB19_3 Depth=1
	s_or_b32 exec_lo, exec_lo, s1
	s_barrier_signal -1
	s_barrier_wait -1
	s_and_saveexec_b32 s1, s104
; %bb.185:                              ;   in Loop: Header=BB19_3 Depth=1
	ds_store_b32 v39, v2
; %bb.186:                              ;   in Loop: Header=BB19_3 Depth=1
	s_or_b32 exec_lo, exec_lo, s1
	s_wait_dscnt 0x0
	s_barrier_signal -1
	s_barrier_wait -1
	s_and_saveexec_b32 s1, vcc_hi
	s_cbranch_execz .LBB19_188
; %bb.187:                              ;   in Loop: Header=BB19_3 Depth=1
	ds_load_b32 v28, v37 offset:3376
	ds_load_b32 v29, v39
	s_wait_dscnt 0x0
	v_fmac_f32_e32 v2, v28, v29
.LBB19_188:                             ;   in Loop: Header=BB19_3 Depth=1
	s_or_b32 exec_lo, exec_lo, s1
	s_barrier_signal -1
	s_barrier_wait -1
	s_and_saveexec_b32 s1, s31
; %bb.189:                              ;   in Loop: Header=BB19_3 Depth=1
	ds_store_b32 v39, v2
; %bb.190:                              ;   in Loop: Header=BB19_3 Depth=1
	s_or_b32 exec_lo, exec_lo, s1
	s_wait_dscnt 0x0
	s_barrier_signal -1
	s_barrier_wait -1
	s_and_saveexec_b32 s1, s33
	s_cbranch_execz .LBB19_192
; %bb.191:                              ;   in Loop: Header=BB19_3 Depth=1
	ds_load_b32 v28, v3 offset:3644
	ds_load_b32 v29, v39
	s_wait_dscnt 0x0
	v_fmac_f32_e32 v2, v28, v29
.LBB19_192:                             ;   in Loop: Header=BB19_3 Depth=1
	s_or_b32 exec_lo, exec_lo, s1
	s_barrier_signal -1
	s_barrier_wait -1
	s_and_saveexec_b32 s1, s33
; %bb.193:                              ;   in Loop: Header=BB19_3 Depth=1
	ds_store_b32 v39, v2
; %bb.194:                              ;   in Loop: Header=BB19_3 Depth=1
	s_or_b32 exec_lo, exec_lo, s1
	s_wait_dscnt 0x0
	s_barrier_signal -1
	s_barrier_wait -1
	s_barrier_signal -1
	s_barrier_wait -1
	s_and_saveexec_b32 s1, s3
; %bb.195:                              ;   in Loop: Header=BB19_3 Depth=1
	v_xor_b32_e32 v2, 0x80000000, v2
	ds_store_b32 v40, v2 offset:2096
; %bb.196:                              ;   in Loop: Header=BB19_3 Depth=1
	s_or_b32 exec_lo, exec_lo, s1
	s_wait_dscnt 0x0
	s_barrier_signal -1
	s_barrier_wait -1
	s_barrier_signal -1
	s_barrier_wait -1
	s_and_saveexec_b32 s1, s11
; %bb.197:                              ;   in Loop: Header=BB19_3 Depth=1
	v_add_nc_u32_e64 v2, 0xc00, 0
	ds_store_2addr_b32 v2, v64, v64 offset0:12 offset1:77
; %bb.198:                              ;   in Loop: Header=BB19_3 Depth=1
	s_or_b32 exec_lo, exec_lo, s1
	v_mov_b32_e32 v2, 0
	s_wait_dscnt 0x0
	s_barrier_signal -1
	s_barrier_wait -1
	s_and_saveexec_b32 s8, s2
	s_cbranch_execz .LBB19_202
; %bb.199:                              ;   in Loop: Header=BB19_3 Depth=1
	ds_load_b32 v2, v34 offset:3128
	ds_load_b32 v28, v35 offset:3120
	s_wait_dscnt 0x0
	v_fma_f32 v2, v2, v28, 0
	s_and_saveexec_b32 s1, s12
	s_cbranch_execz .LBB19_201
; %bb.200:                              ;   in Loop: Header=BB19_3 Depth=1
	ds_load_b32 v28, v38 offset:3384
	ds_load_b32 v29, v3 offset:3124
	s_wait_dscnt 0x0
	v_fmac_f32_e32 v2, v28, v29
.LBB19_201:                             ;   in Loop: Header=BB19_3 Depth=1
	s_or_b32 exec_lo, exec_lo, s1
	s_delay_alu instid0(VALU_DEP_1)
	v_xor_b32_e32 v2, 0x80000000, v2
.LBB19_202:                             ;   in Loop: Header=BB19_3 Depth=1
	s_or_b32 exec_lo, exec_lo, s8
	s_and_saveexec_b32 s1, s100
; %bb.203:                              ;   in Loop: Header=BB19_3 Depth=1
	ds_store_b32 v9, v2
; %bb.204:                              ;   in Loop: Header=BB19_3 Depth=1
	s_or_b32 exec_lo, exec_lo, s1
	s_wait_dscnt 0x0
	s_barrier_signal -1
	s_barrier_wait -1
	s_and_saveexec_b32 s1, s101
	s_cbranch_execz .LBB19_206
; %bb.205:                              ;   in Loop: Header=BB19_3 Depth=1
	ds_load_b32 v28, v3 offset:3644
	ds_load_b32 v29, v9
	s_wait_dscnt 0x0
	v_fmac_f32_e32 v2, v28, v29
.LBB19_206:                             ;   in Loop: Header=BB19_3 Depth=1
	s_or_b32 exec_lo, exec_lo, s1
	s_barrier_signal -1
	s_barrier_wait -1
	s_and_saveexec_b32 s1, s101
; %bb.207:                              ;   in Loop: Header=BB19_3 Depth=1
	ds_store_b32 v9, v2
; %bb.208:                              ;   in Loop: Header=BB19_3 Depth=1
	s_or_b32 exec_lo, exec_lo, s1
	s_wait_dscnt 0x0
	s_barrier_signal -1
	s_barrier_wait -1
	s_barrier_signal -1
	s_barrier_wait -1
	s_and_saveexec_b32 s1, s2
; %bb.209:                              ;   in Loop: Header=BB19_3 Depth=1
	v_xor_b32_e32 v2, 0x80000000, v2
	ds_store_b32 v34, v2 offset:3128
; %bb.210:                              ;   in Loop: Header=BB19_3 Depth=1
	s_or_b32 exec_lo, exec_lo, s1
	s_wait_dscnt 0x0
	s_barrier_signal -1
	s_barrier_wait -1
	s_barrier_signal -1
	s_barrier_wait -1
	s_and_saveexec_b32 s1, s11
; %bb.211:                              ;   in Loop: Header=BB19_3 Depth=1
	v_add_nc_u32_e64 v2, 0xc00, 0
	ds_store_2addr_b32 v2, v64, v64 offset0:142 offset1:207
; %bb.212:                              ;   in Loop: Header=BB19_3 Depth=1
	s_or_b32 exec_lo, exec_lo, s1
	v_mov_b32_e32 v2, 0
	s_wait_dscnt 0x0
	s_barrier_signal -1
	s_barrier_wait -1
	s_and_saveexec_b32 s65, s5
	s_cbranch_execz .LBB19_240
; %bb.213:                              ;   in Loop: Header=BB19_3 Depth=1
	ds_load_b32 v2, v53 offset:64
	ds_load_b32 v28, v45
	s_wait_dscnt 0x0
	v_fma_f32 v2, v2, v28, 0
	s_mov_b32 s1, exec_lo
	v_readlane_b32 s8, v75, 18
	s_and_b32 s8, s1, s8
	s_delay_alu instid0(SALU_CYCLE_1)
	s_mov_b32 exec_lo, s8
	s_cbranch_execz .LBB19_215
; %bb.214:                              ;   in Loop: Header=BB19_3 Depth=1
	ds_load_b32 v28, v54 offset:320
	ds_load_b32 v29, v45 offset:4
	s_wait_dscnt 0x0
	v_fmac_f32_e32 v2, v28, v29
.LBB19_215:                             ;   in Loop: Header=BB19_3 Depth=1
	s_or_b32 exec_lo, exec_lo, s1
	s_delay_alu instid0(SALU_CYCLE_1) | instskip(SKIP_2) | instid1(SALU_CYCLE_1)
	s_mov_b32 s1, exec_lo
	v_readlane_b32 s8, v75, 19
	s_and_b32 s8, s1, s8
	s_mov_b32 exec_lo, s8
	s_cbranch_execz .LBB19_217
; %bb.216:                              ;   in Loop: Header=BB19_3 Depth=1
	ds_load_b32 v28, v54 offset:576
	ds_load_b32 v29, v45 offset:8
	s_wait_dscnt 0x0
	v_fmac_f32_e32 v2, v28, v29
.LBB19_217:                             ;   in Loop: Header=BB19_3 Depth=1
	s_or_b32 exec_lo, exec_lo, s1
	s_delay_alu instid0(SALU_CYCLE_1) | instskip(SKIP_2) | instid1(SALU_CYCLE_1)
	s_mov_b32 s1, exec_lo
	v_readlane_b32 s8, v75, 20
	s_and_b32 s8, s1, s8
	;; [unrolled: 13-line block ×10, first 2 shown]
	s_mov_b32 exec_lo, s8
	s_cbranch_execnz .LBB19_1123
; %bb.234:                              ;   in Loop: Header=BB19_3 Depth=1
	s_or_b32 exec_lo, exec_lo, s1
	s_and_saveexec_b32 s1, s4
	s_cbranch_execnz .LBB19_1124
.LBB19_235:                             ;   in Loop: Header=BB19_3 Depth=1
	s_or_b32 exec_lo, exec_lo, s1
	s_and_saveexec_b32 s1, s16
	s_cbranch_execnz .LBB19_1125
.LBB19_236:                             ;   in Loop: Header=BB19_3 Depth=1
	s_or_b32 exec_lo, exec_lo, s1
	s_and_saveexec_b32 s1, s18
	s_cbranch_execnz .LBB19_1126
.LBB19_237:                             ;   in Loop: Header=BB19_3 Depth=1
	s_or_b32 exec_lo, exec_lo, s1
	s_and_saveexec_b32 s1, s3
	s_cbranch_execz .LBB19_239
.LBB19_238:                             ;   in Loop: Header=BB19_3 Depth=1
	ds_load_b32 v28, v38 offset:3904
	ds_load_b32 v29, v3 offset:60
	s_wait_dscnt 0x0
	v_fmac_f32_e32 v2, v28, v29
.LBB19_239:                             ;   in Loop: Header=BB19_3 Depth=1
	s_or_b32 exec_lo, exec_lo, s1
	s_delay_alu instid0(VALU_DEP_1)
	v_xor_b32_e32 v2, 0x80000000, v2
.LBB19_240:                             ;   in Loop: Header=BB19_3 Depth=1
	s_or_b32 exec_lo, exec_lo, s65
	s_delay_alu instid0(SALU_CYCLE_1) | instskip(SKIP_2) | instid1(SALU_CYCLE_1)
	s_mov_b32 s1, exec_lo
	v_readlane_b32 s8, v77, 2
	s_and_b32 s8, s1, s8
	s_mov_b32 exec_lo, s8
; %bb.241:                              ;   in Loop: Header=BB19_3 Depth=1
	ds_store_b32 v52, v2
; %bb.242:                              ;   in Loop: Header=BB19_3 Depth=1
	s_or_b32 exec_lo, exec_lo, s1
	s_wait_dscnt 0x0
	s_barrier_signal -1
	s_barrier_wait -1
	s_mov_b32 s1, exec_lo
	v_readlane_b32 s8, v77, 3
	s_and_b32 s8, s1, s8
	s_delay_alu instid0(SALU_CYCLE_1)
	s_mov_b32 exec_lo, s8
	s_cbranch_execz .LBB19_244
; %bb.243:                              ;   in Loop: Header=BB19_3 Depth=1
	ds_load_b32 v28, v48 offset:4160
	ds_load_b32 v29, v52
	s_wait_dscnt 0x0
	v_fmac_f32_e32 v2, v28, v29
.LBB19_244:                             ;   in Loop: Header=BB19_3 Depth=1
	s_or_b32 exec_lo, exec_lo, s1
	s_barrier_signal -1
	s_barrier_wait -1
	s_mov_b32 s1, exec_lo
	v_readlane_b32 s8, v77, 4
	s_and_b32 s8, s1, s8
	s_delay_alu instid0(SALU_CYCLE_1)
	s_mov_b32 exec_lo, s8
; %bb.245:                              ;   in Loop: Header=BB19_3 Depth=1
	ds_store_b32 v52, v2
; %bb.246:                              ;   in Loop: Header=BB19_3 Depth=1
	s_or_b32 exec_lo, exec_lo, s1
	s_wait_dscnt 0x0
	s_barrier_signal -1
	s_barrier_wait -1
	s_mov_b32 s1, exec_lo
	v_readlane_b32 s8, v77, 5
	s_and_b32 s8, s1, s8
	s_delay_alu instid0(SALU_CYCLE_1)
	s_mov_b32 exec_lo, s8
	s_cbranch_execz .LBB19_248
; %bb.247:                              ;   in Loop: Header=BB19_3 Depth=1
	ds_load_b32 v28, v48 offset:4416
	ds_load_b32 v29, v52
	s_wait_dscnt 0x0
	v_fmac_f32_e32 v2, v28, v29
.LBB19_248:                             ;   in Loop: Header=BB19_3 Depth=1
	s_or_b32 exec_lo, exec_lo, s1
	s_barrier_signal -1
	s_barrier_wait -1
	s_and_saveexec_b32 s1, s52
; %bb.249:                              ;   in Loop: Header=BB19_3 Depth=1
	ds_store_b32 v52, v2
; %bb.250:                              ;   in Loop: Header=BB19_3 Depth=1
	s_or_b32 exec_lo, exec_lo, s1
	s_wait_dscnt 0x0
	s_barrier_signal -1
	s_barrier_wait -1
	s_and_saveexec_b32 s1, s53
	s_cbranch_execz .LBB19_252
; %bb.251:                              ;   in Loop: Header=BB19_3 Depth=1
	ds_load_b32 v28, v48 offset:4672
	ds_load_b32 v29, v52
	s_wait_dscnt 0x0
	v_fmac_f32_e32 v2, v28, v29
.LBB19_252:                             ;   in Loop: Header=BB19_3 Depth=1
	s_or_b32 exec_lo, exec_lo, s1
	s_barrier_signal -1
	s_barrier_wait -1
	s_and_saveexec_b32 s1, s54
; %bb.253:                              ;   in Loop: Header=BB19_3 Depth=1
	ds_store_b32 v52, v2
; %bb.254:                              ;   in Loop: Header=BB19_3 Depth=1
	s_or_b32 exec_lo, exec_lo, s1
	s_wait_dscnt 0x0
	s_barrier_signal -1
	s_barrier_wait -1
	s_and_saveexec_b32 s1, s20
	;; [unrolled: 19-line block ×13, first 2 shown]
	s_cbranch_execz .LBB19_300
; %bb.299:                              ;   in Loop: Header=BB19_3 Depth=1
	ds_load_b32 v28, v3 offset:7804
	ds_load_b32 v29, v52
	s_wait_dscnt 0x0
	v_fmac_f32_e32 v2, v28, v29
.LBB19_300:                             ;   in Loop: Header=BB19_3 Depth=1
	s_or_b32 exec_lo, exec_lo, s1
	s_barrier_signal -1
	s_barrier_wait -1
	s_and_saveexec_b32 s1, s50
; %bb.301:                              ;   in Loop: Header=BB19_3 Depth=1
	ds_store_b32 v52, v2
; %bb.302:                              ;   in Loop: Header=BB19_3 Depth=1
	s_or_b32 exec_lo, exec_lo, s1
	s_wait_dscnt 0x0
	s_barrier_signal -1
	s_barrier_wait -1
	s_barrier_signal -1
	s_barrier_wait -1
	s_and_saveexec_b32 s1, s5
; %bb.303:                              ;   in Loop: Header=BB19_3 Depth=1
	v_xor_b32_e32 v2, 0x80000000, v2
	ds_store_b32 v53, v2 offset:64
; %bb.304:                              ;   in Loop: Header=BB19_3 Depth=1
	s_or_b32 exec_lo, exec_lo, s1
	s_wait_dscnt 0x0
	s_barrier_signal -1
	s_barrier_wait -1
	s_barrier_signal -1
	s_barrier_wait -1
	s_and_saveexec_b32 s1, s11
; %bb.305:                              ;   in Loop: Header=BB19_3 Depth=1
	v_add_nc_u32_e64 v2, 0x1000, 0
	ds_store_2addr_b32 v2, v64, v64 offset0:16 offset1:81
; %bb.306:                              ;   in Loop: Header=BB19_3 Depth=1
	s_or_b32 exec_lo, exec_lo, s1
	v_mov_b32_e32 v2, 0
	s_wait_dscnt 0x0
	s_barrier_signal -1
	s_barrier_wait -1
	s_and_saveexec_b32 s8, s2
	s_cbranch_execz .LBB19_310
; %bb.307:                              ;   in Loop: Header=BB19_3 Depth=1
	ds_load_b32 v2, v34 offset:4168
	ds_load_b32 v28, v35 offset:4160
	s_wait_dscnt 0x0
	v_fma_f32 v2, v2, v28, 0
	s_and_saveexec_b32 s1, s12
	s_cbranch_execz .LBB19_309
; %bb.308:                              ;   in Loop: Header=BB19_3 Depth=1
	ds_load_b32 v28, v38 offset:4424
	ds_load_b32 v29, v3 offset:4164
	s_wait_dscnt 0x0
	v_fmac_f32_e32 v2, v28, v29
.LBB19_309:                             ;   in Loop: Header=BB19_3 Depth=1
	s_or_b32 exec_lo, exec_lo, s1
	s_delay_alu instid0(VALU_DEP_1)
	v_xor_b32_e32 v2, 0x80000000, v2
.LBB19_310:                             ;   in Loop: Header=BB19_3 Depth=1
	s_or_b32 exec_lo, exec_lo, s8
	s_and_saveexec_b32 s1, s100
; %bb.311:                              ;   in Loop: Header=BB19_3 Depth=1
	ds_store_b32 v9, v2
; %bb.312:                              ;   in Loop: Header=BB19_3 Depth=1
	s_or_b32 exec_lo, exec_lo, s1
	s_wait_dscnt 0x0
	s_barrier_signal -1
	s_barrier_wait -1
	s_and_saveexec_b32 s1, s101
	s_cbranch_execz .LBB19_314
; %bb.313:                              ;   in Loop: Header=BB19_3 Depth=1
	ds_load_b32 v28, v3 offset:4684
	ds_load_b32 v29, v9
	s_wait_dscnt 0x0
	v_fmac_f32_e32 v2, v28, v29
.LBB19_314:                             ;   in Loop: Header=BB19_3 Depth=1
	s_or_b32 exec_lo, exec_lo, s1
	s_barrier_signal -1
	s_barrier_wait -1
	s_and_saveexec_b32 s1, s101
; %bb.315:                              ;   in Loop: Header=BB19_3 Depth=1
	ds_store_b32 v9, v2
; %bb.316:                              ;   in Loop: Header=BB19_3 Depth=1
	s_or_b32 exec_lo, exec_lo, s1
	s_wait_dscnt 0x0
	s_barrier_signal -1
	s_barrier_wait -1
	s_barrier_signal -1
	s_barrier_wait -1
	s_and_saveexec_b32 s1, s2
; %bb.317:                              ;   in Loop: Header=BB19_3 Depth=1
	v_xor_b32_e32 v2, 0x80000000, v2
	ds_store_b32 v34, v2 offset:4168
; %bb.318:                              ;   in Loop: Header=BB19_3 Depth=1
	s_or_b32 exec_lo, exec_lo, s1
	s_wait_dscnt 0x0
	s_barrier_signal -1
	s_barrier_wait -1
	s_barrier_signal -1
	s_barrier_wait -1
	s_and_saveexec_b32 s1, s11
; %bb.319:                              ;   in Loop: Header=BB19_3 Depth=1
	v_add_nc_u32_e64 v2, 0x1000, 0
	ds_store_2addr_b32 v2, v64, v64 offset0:146 offset1:211
; %bb.320:                              ;   in Loop: Header=BB19_3 Depth=1
	s_or_b32 exec_lo, exec_lo, s1
	v_mov_b32_e32 v2, 0
	s_wait_dscnt 0x0
	s_barrier_signal -1
	s_barrier_wait -1
	s_and_saveexec_b32 s8, s3
	s_cbranch_execz .LBB19_326
; %bb.321:                              ;   in Loop: Header=BB19_3 Depth=1
	ds_load_b32 v2, v40 offset:4176
	ds_load_b32 v28, v36 offset:4160
	s_wait_dscnt 0x0
	v_fma_f32 v2, v2, v28, 0
	s_and_saveexec_b32 s1, s13
	s_cbranch_execnz .LBB19_1127
; %bb.322:                              ;   in Loop: Header=BB19_3 Depth=1
	s_or_b32 exec_lo, exec_lo, s1
	s_and_saveexec_b32 s1, s14
	s_cbranch_execnz .LBB19_1128
.LBB19_323:                             ;   in Loop: Header=BB19_3 Depth=1
	s_or_b32 exec_lo, exec_lo, s1
	s_and_saveexec_b32 s1, s2
	s_cbranch_execz .LBB19_325
.LBB19_324:                             ;   in Loop: Header=BB19_3 Depth=1
	ds_load_b32 v28, v38 offset:4944
	ds_load_b32 v29, v3 offset:4172
	s_wait_dscnt 0x0
	v_fmac_f32_e32 v2, v28, v29
.LBB19_325:                             ;   in Loop: Header=BB19_3 Depth=1
	s_or_b32 exec_lo, exec_lo, s1
	s_delay_alu instid0(VALU_DEP_1)
	v_xor_b32_e32 v2, 0x80000000, v2
.LBB19_326:                             ;   in Loop: Header=BB19_3 Depth=1
	s_or_b32 exec_lo, exec_lo, s8
	s_and_saveexec_b32 s1, s102
; %bb.327:                              ;   in Loop: Header=BB19_3 Depth=1
	ds_store_b32 v39, v2
; %bb.328:                              ;   in Loop: Header=BB19_3 Depth=1
	s_or_b32 exec_lo, exec_lo, s1
	s_wait_dscnt 0x0
	s_barrier_signal -1
	s_barrier_wait -1
	s_and_saveexec_b32 s1, s103
	s_cbranch_execz .LBB19_330
; %bb.329:                              ;   in Loop: Header=BB19_3 Depth=1
	ds_load_b32 v28, v37 offset:5200
	ds_load_b32 v29, v39
	s_wait_dscnt 0x0
	v_fmac_f32_e32 v2, v28, v29
.LBB19_330:                             ;   in Loop: Header=BB19_3 Depth=1
	s_or_b32 exec_lo, exec_lo, s1
	s_barrier_signal -1
	s_barrier_wait -1
	s_and_saveexec_b32 s1, s104
; %bb.331:                              ;   in Loop: Header=BB19_3 Depth=1
	ds_store_b32 v39, v2
; %bb.332:                              ;   in Loop: Header=BB19_3 Depth=1
	s_or_b32 exec_lo, exec_lo, s1
	s_wait_dscnt 0x0
	s_barrier_signal -1
	s_barrier_wait -1
	s_and_saveexec_b32 s1, vcc_hi
	s_cbranch_execz .LBB19_334
; %bb.333:                              ;   in Loop: Header=BB19_3 Depth=1
	ds_load_b32 v28, v37 offset:5456
	ds_load_b32 v29, v39
	s_wait_dscnt 0x0
	v_fmac_f32_e32 v2, v28, v29
.LBB19_334:                             ;   in Loop: Header=BB19_3 Depth=1
	s_or_b32 exec_lo, exec_lo, s1
	s_barrier_signal -1
	s_barrier_wait -1
	s_and_saveexec_b32 s1, s31
; %bb.335:                              ;   in Loop: Header=BB19_3 Depth=1
	ds_store_b32 v39, v2
; %bb.336:                              ;   in Loop: Header=BB19_3 Depth=1
	s_or_b32 exec_lo, exec_lo, s1
	s_wait_dscnt 0x0
	s_barrier_signal -1
	s_barrier_wait -1
	s_and_saveexec_b32 s1, s33
	s_cbranch_execz .LBB19_338
; %bb.337:                              ;   in Loop: Header=BB19_3 Depth=1
	ds_load_b32 v28, v3 offset:5724
	ds_load_b32 v29, v39
	s_wait_dscnt 0x0
	v_fmac_f32_e32 v2, v28, v29
.LBB19_338:                             ;   in Loop: Header=BB19_3 Depth=1
	s_or_b32 exec_lo, exec_lo, s1
	s_barrier_signal -1
	s_barrier_wait -1
	s_and_saveexec_b32 s1, s33
; %bb.339:                              ;   in Loop: Header=BB19_3 Depth=1
	ds_store_b32 v39, v2
; %bb.340:                              ;   in Loop: Header=BB19_3 Depth=1
	s_or_b32 exec_lo, exec_lo, s1
	s_wait_dscnt 0x0
	s_barrier_signal -1
	s_barrier_wait -1
	s_barrier_signal -1
	s_barrier_wait -1
	s_and_saveexec_b32 s1, s3
; %bb.341:                              ;   in Loop: Header=BB19_3 Depth=1
	v_xor_b32_e32 v2, 0x80000000, v2
	ds_store_b32 v40, v2 offset:4176
; %bb.342:                              ;   in Loop: Header=BB19_3 Depth=1
	s_or_b32 exec_lo, exec_lo, s1
	s_wait_dscnt 0x0
	s_barrier_signal -1
	s_barrier_wait -1
	s_barrier_signal -1
	s_barrier_wait -1
	s_and_saveexec_b32 s1, s11
; %bb.343:                              ;   in Loop: Header=BB19_3 Depth=1
	v_add_nc_u32_e64 v2, 0x1400, 0
	ds_store_2addr_b32 v2, v64, v64 offset0:20 offset1:85
; %bb.344:                              ;   in Loop: Header=BB19_3 Depth=1
	s_or_b32 exec_lo, exec_lo, s1
	v_mov_b32_e32 v2, 0
	s_wait_dscnt 0x0
	s_barrier_signal -1
	s_barrier_wait -1
	s_and_saveexec_b32 s8, s2
	s_cbranch_execz .LBB19_348
; %bb.345:                              ;   in Loop: Header=BB19_3 Depth=1
	ds_load_b32 v2, v34 offset:5208
	ds_load_b32 v28, v35 offset:5200
	s_wait_dscnt 0x0
	v_fma_f32 v2, v2, v28, 0
	s_and_saveexec_b32 s1, s12
	s_cbranch_execz .LBB19_347
; %bb.346:                              ;   in Loop: Header=BB19_3 Depth=1
	ds_load_b32 v28, v38 offset:5464
	ds_load_b32 v29, v3 offset:5204
	s_wait_dscnt 0x0
	v_fmac_f32_e32 v2, v28, v29
.LBB19_347:                             ;   in Loop: Header=BB19_3 Depth=1
	s_or_b32 exec_lo, exec_lo, s1
	s_delay_alu instid0(VALU_DEP_1)
	v_xor_b32_e32 v2, 0x80000000, v2
.LBB19_348:                             ;   in Loop: Header=BB19_3 Depth=1
	s_or_b32 exec_lo, exec_lo, s8
	s_and_saveexec_b32 s1, s100
; %bb.349:                              ;   in Loop: Header=BB19_3 Depth=1
	ds_store_b32 v9, v2
; %bb.350:                              ;   in Loop: Header=BB19_3 Depth=1
	s_or_b32 exec_lo, exec_lo, s1
	s_wait_dscnt 0x0
	s_barrier_signal -1
	s_barrier_wait -1
	s_and_saveexec_b32 s1, s101
	s_cbranch_execz .LBB19_352
; %bb.351:                              ;   in Loop: Header=BB19_3 Depth=1
	ds_load_b32 v28, v3 offset:5724
	ds_load_b32 v29, v9
	s_wait_dscnt 0x0
	v_fmac_f32_e32 v2, v28, v29
.LBB19_352:                             ;   in Loop: Header=BB19_3 Depth=1
	s_or_b32 exec_lo, exec_lo, s1
	s_barrier_signal -1
	s_barrier_wait -1
	s_and_saveexec_b32 s1, s101
; %bb.353:                              ;   in Loop: Header=BB19_3 Depth=1
	ds_store_b32 v9, v2
; %bb.354:                              ;   in Loop: Header=BB19_3 Depth=1
	s_or_b32 exec_lo, exec_lo, s1
	s_wait_dscnt 0x0
	s_barrier_signal -1
	s_barrier_wait -1
	s_barrier_signal -1
	s_barrier_wait -1
	s_and_saveexec_b32 s1, s2
; %bb.355:                              ;   in Loop: Header=BB19_3 Depth=1
	v_xor_b32_e32 v2, 0x80000000, v2
	ds_store_b32 v34, v2 offset:5208
; %bb.356:                              ;   in Loop: Header=BB19_3 Depth=1
	s_or_b32 exec_lo, exec_lo, s1
	s_wait_dscnt 0x0
	s_barrier_signal -1
	s_barrier_wait -1
	s_barrier_signal -1
	s_barrier_wait -1
	s_and_saveexec_b32 s1, s11
; %bb.357:                              ;   in Loop: Header=BB19_3 Depth=1
	v_add_nc_u32_e64 v2, 0x1400, 0
	ds_store_2addr_b32 v2, v64, v64 offset0:150 offset1:215
; %bb.358:                              ;   in Loop: Header=BB19_3 Depth=1
	s_or_b32 exec_lo, exec_lo, s1
	v_mov_b32_e32 v2, 0
	s_wait_dscnt 0x0
	s_barrier_signal -1
	s_barrier_wait -1
	s_and_saveexec_b32 s8, s4
	s_cbranch_execz .LBB19_368
; %bb.359:                              ;   in Loop: Header=BB19_3 Depth=1
	ds_load_b32 v2, v46 offset:4192
	ds_load_b32 v28, v41 offset:4160
	s_wait_dscnt 0x0
	v_fma_f32 v2, v2, v28, 0
	s_and_saveexec_b32 s1, s15
	s_cbranch_execnz .LBB19_1129
; %bb.360:                              ;   in Loop: Header=BB19_3 Depth=1
	s_or_b32 exec_lo, exec_lo, s1
	s_and_saveexec_b32 s1, s16
	s_cbranch_execnz .LBB19_1130
.LBB19_361:                             ;   in Loop: Header=BB19_3 Depth=1
	s_or_b32 exec_lo, exec_lo, s1
	s_and_saveexec_b32 s1, s17
	s_cbranch_execnz .LBB19_1131
.LBB19_362:                             ;   in Loop: Header=BB19_3 Depth=1
	s_or_b32 exec_lo, exec_lo, s1
	s_and_saveexec_b32 s1, s18
	s_cbranch_execnz .LBB19_1132
.LBB19_363:                             ;   in Loop: Header=BB19_3 Depth=1
	s_or_b32 exec_lo, exec_lo, s1
	s_and_saveexec_b32 s1, s19
	s_cbranch_execnz .LBB19_1133
.LBB19_364:                             ;   in Loop: Header=BB19_3 Depth=1
	s_or_b32 exec_lo, exec_lo, s1
	s_and_saveexec_b32 s1, s3
	s_cbranch_execnz .LBB19_1134
.LBB19_365:                             ;   in Loop: Header=BB19_3 Depth=1
	s_or_b32 exec_lo, exec_lo, s1
	s_and_saveexec_b32 s1, s14
	s_cbranch_execz .LBB19_367
.LBB19_366:                             ;   in Loop: Header=BB19_3 Depth=1
	ds_load_b32 v28, v38 offset:5984
	ds_load_b32 v29, v3 offset:4188
	s_wait_dscnt 0x0
	v_fmac_f32_e32 v2, v28, v29
.LBB19_367:                             ;   in Loop: Header=BB19_3 Depth=1
	s_or_b32 exec_lo, exec_lo, s1
	s_delay_alu instid0(VALU_DEP_1)
	v_xor_b32_e32 v2, 0x80000000, v2
.LBB19_368:                             ;   in Loop: Header=BB19_3 Depth=1
	s_or_b32 exec_lo, exec_lo, s8
	s_and_saveexec_b32 s1, s34
; %bb.369:                              ;   in Loop: Header=BB19_3 Depth=1
	ds_store_b32 v43, v2
; %bb.370:                              ;   in Loop: Header=BB19_3 Depth=1
	s_or_b32 exec_lo, exec_lo, s1
	s_wait_dscnt 0x0
	s_barrier_signal -1
	s_barrier_wait -1
	s_and_saveexec_b32 s1, s35
	s_cbranch_execz .LBB19_372
; %bb.371:                              ;   in Loop: Header=BB19_3 Depth=1
	ds_load_b32 v28, v44 offset:6240
	ds_load_b32 v29, v43
	s_wait_dscnt 0x0
	v_fmac_f32_e32 v2, v28, v29
.LBB19_372:                             ;   in Loop: Header=BB19_3 Depth=1
	s_or_b32 exec_lo, exec_lo, s1
	s_barrier_signal -1
	s_barrier_wait -1
	s_and_saveexec_b32 s1, s36
; %bb.373:                              ;   in Loop: Header=BB19_3 Depth=1
	ds_store_b32 v43, v2
; %bb.374:                              ;   in Loop: Header=BB19_3 Depth=1
	s_or_b32 exec_lo, exec_lo, s1
	s_wait_dscnt 0x0
	s_barrier_signal -1
	s_barrier_wait -1
	s_and_saveexec_b32 s1, s37
	s_cbranch_execz .LBB19_376
; %bb.375:                              ;   in Loop: Header=BB19_3 Depth=1
	ds_load_b32 v28, v44 offset:6496
	ds_load_b32 v29, v43
	s_wait_dscnt 0x0
	v_fmac_f32_e32 v2, v28, v29
.LBB19_376:                             ;   in Loop: Header=BB19_3 Depth=1
	s_or_b32 exec_lo, exec_lo, s1
	s_barrier_signal -1
	s_barrier_wait -1
	;; [unrolled: 19-line block ×7, first 2 shown]
	s_and_saveexec_b32 s1, s47
; %bb.397:                              ;   in Loop: Header=BB19_3 Depth=1
	ds_store_b32 v43, v2
; %bb.398:                              ;   in Loop: Header=BB19_3 Depth=1
	s_or_b32 exec_lo, exec_lo, s1
	s_wait_dscnt 0x0
	s_barrier_signal -1
	s_barrier_wait -1
	s_barrier_signal -1
	s_barrier_wait -1
	s_and_saveexec_b32 s1, s4
; %bb.399:                              ;   in Loop: Header=BB19_3 Depth=1
	v_xor_b32_e32 v2, 0x80000000, v2
	ds_store_b32 v46, v2 offset:4192
; %bb.400:                              ;   in Loop: Header=BB19_3 Depth=1
	s_or_b32 exec_lo, exec_lo, s1
	s_wait_dscnt 0x0
	s_barrier_signal -1
	s_barrier_wait -1
	s_barrier_signal -1
	s_barrier_wait -1
	s_and_saveexec_b32 s1, s11
; %bb.401:                              ;   in Loop: Header=BB19_3 Depth=1
	v_add_nc_u32_e64 v2, 0x1800, 0
	ds_store_2addr_b32 v2, v64, v64 offset0:24 offset1:89
; %bb.402:                              ;   in Loop: Header=BB19_3 Depth=1
	s_or_b32 exec_lo, exec_lo, s1
	v_mov_b32_e32 v2, 0
	s_wait_dscnt 0x0
	s_barrier_signal -1
	s_barrier_wait -1
	s_and_saveexec_b32 s8, s2
	s_cbranch_execz .LBB19_406
; %bb.403:                              ;   in Loop: Header=BB19_3 Depth=1
	ds_load_b32 v2, v34 offset:6248
	ds_load_b32 v28, v35 offset:6240
	s_wait_dscnt 0x0
	v_fma_f32 v2, v2, v28, 0
	s_and_saveexec_b32 s1, s12
	s_cbranch_execz .LBB19_405
; %bb.404:                              ;   in Loop: Header=BB19_3 Depth=1
	ds_load_b32 v28, v38 offset:6504
	ds_load_b32 v29, v3 offset:6244
	s_wait_dscnt 0x0
	v_fmac_f32_e32 v2, v28, v29
.LBB19_405:                             ;   in Loop: Header=BB19_3 Depth=1
	s_or_b32 exec_lo, exec_lo, s1
	s_delay_alu instid0(VALU_DEP_1)
	v_xor_b32_e32 v2, 0x80000000, v2
.LBB19_406:                             ;   in Loop: Header=BB19_3 Depth=1
	s_or_b32 exec_lo, exec_lo, s8
	s_and_saveexec_b32 s1, s100
; %bb.407:                              ;   in Loop: Header=BB19_3 Depth=1
	ds_store_b32 v9, v2
; %bb.408:                              ;   in Loop: Header=BB19_3 Depth=1
	s_or_b32 exec_lo, exec_lo, s1
	s_wait_dscnt 0x0
	s_barrier_signal -1
	s_barrier_wait -1
	s_and_saveexec_b32 s1, s101
	s_cbranch_execz .LBB19_410
; %bb.409:                              ;   in Loop: Header=BB19_3 Depth=1
	ds_load_b32 v28, v3 offset:6764
	ds_load_b32 v29, v9
	s_wait_dscnt 0x0
	v_fmac_f32_e32 v2, v28, v29
.LBB19_410:                             ;   in Loop: Header=BB19_3 Depth=1
	s_or_b32 exec_lo, exec_lo, s1
	s_barrier_signal -1
	s_barrier_wait -1
	s_and_saveexec_b32 s1, s101
; %bb.411:                              ;   in Loop: Header=BB19_3 Depth=1
	ds_store_b32 v9, v2
; %bb.412:                              ;   in Loop: Header=BB19_3 Depth=1
	s_or_b32 exec_lo, exec_lo, s1
	s_wait_dscnt 0x0
	s_barrier_signal -1
	s_barrier_wait -1
	s_barrier_signal -1
	s_barrier_wait -1
	s_and_saveexec_b32 s1, s2
; %bb.413:                              ;   in Loop: Header=BB19_3 Depth=1
	v_xor_b32_e32 v2, 0x80000000, v2
	ds_store_b32 v34, v2 offset:6248
; %bb.414:                              ;   in Loop: Header=BB19_3 Depth=1
	s_or_b32 exec_lo, exec_lo, s1
	s_wait_dscnt 0x0
	s_barrier_signal -1
	s_barrier_wait -1
	s_barrier_signal -1
	s_barrier_wait -1
	s_and_saveexec_b32 s1, s11
; %bb.415:                              ;   in Loop: Header=BB19_3 Depth=1
	v_add_nc_u32_e64 v2, 0x1800, 0
	ds_store_2addr_b32 v2, v64, v64 offset0:154 offset1:219
; %bb.416:                              ;   in Loop: Header=BB19_3 Depth=1
	s_or_b32 exec_lo, exec_lo, s1
	v_mov_b32_e32 v2, 0
	s_wait_dscnt 0x0
	s_barrier_signal -1
	s_barrier_wait -1
	s_and_saveexec_b32 s8, s3
	s_cbranch_execz .LBB19_422
; %bb.417:                              ;   in Loop: Header=BB19_3 Depth=1
	ds_load_b32 v2, v40 offset:6256
	ds_load_b32 v28, v36 offset:6240
	s_wait_dscnt 0x0
	v_fma_f32 v2, v2, v28, 0
	s_and_saveexec_b32 s1, s13
	s_cbranch_execnz .LBB19_1135
; %bb.418:                              ;   in Loop: Header=BB19_3 Depth=1
	s_or_b32 exec_lo, exec_lo, s1
	s_and_saveexec_b32 s1, s14
	s_cbranch_execnz .LBB19_1136
.LBB19_419:                             ;   in Loop: Header=BB19_3 Depth=1
	s_or_b32 exec_lo, exec_lo, s1
	s_and_saveexec_b32 s1, s2
	s_cbranch_execz .LBB19_421
.LBB19_420:                             ;   in Loop: Header=BB19_3 Depth=1
	ds_load_b32 v28, v38 offset:7024
	ds_load_b32 v29, v3 offset:6252
	s_wait_dscnt 0x0
	v_fmac_f32_e32 v2, v28, v29
.LBB19_421:                             ;   in Loop: Header=BB19_3 Depth=1
	s_or_b32 exec_lo, exec_lo, s1
	s_delay_alu instid0(VALU_DEP_1)
	v_xor_b32_e32 v2, 0x80000000, v2
.LBB19_422:                             ;   in Loop: Header=BB19_3 Depth=1
	s_or_b32 exec_lo, exec_lo, s8
	s_and_saveexec_b32 s1, s102
; %bb.423:                              ;   in Loop: Header=BB19_3 Depth=1
	ds_store_b32 v39, v2
; %bb.424:                              ;   in Loop: Header=BB19_3 Depth=1
	s_or_b32 exec_lo, exec_lo, s1
	s_wait_dscnt 0x0
	s_barrier_signal -1
	s_barrier_wait -1
	s_and_saveexec_b32 s1, s103
	s_cbranch_execz .LBB19_426
; %bb.425:                              ;   in Loop: Header=BB19_3 Depth=1
	ds_load_b32 v28, v37 offset:7280
	ds_load_b32 v29, v39
	s_wait_dscnt 0x0
	v_fmac_f32_e32 v2, v28, v29
.LBB19_426:                             ;   in Loop: Header=BB19_3 Depth=1
	s_or_b32 exec_lo, exec_lo, s1
	s_barrier_signal -1
	s_barrier_wait -1
	s_and_saveexec_b32 s1, s104
; %bb.427:                              ;   in Loop: Header=BB19_3 Depth=1
	ds_store_b32 v39, v2
; %bb.428:                              ;   in Loop: Header=BB19_3 Depth=1
	s_or_b32 exec_lo, exec_lo, s1
	s_wait_dscnt 0x0
	s_barrier_signal -1
	s_barrier_wait -1
	s_and_saveexec_b32 s1, vcc_hi
	s_cbranch_execz .LBB19_430
; %bb.429:                              ;   in Loop: Header=BB19_3 Depth=1
	ds_load_b32 v28, v37 offset:7536
	ds_load_b32 v29, v39
	s_wait_dscnt 0x0
	v_fmac_f32_e32 v2, v28, v29
.LBB19_430:                             ;   in Loop: Header=BB19_3 Depth=1
	s_or_b32 exec_lo, exec_lo, s1
	s_barrier_signal -1
	s_barrier_wait -1
	s_and_saveexec_b32 s1, s31
; %bb.431:                              ;   in Loop: Header=BB19_3 Depth=1
	ds_store_b32 v39, v2
; %bb.432:                              ;   in Loop: Header=BB19_3 Depth=1
	s_or_b32 exec_lo, exec_lo, s1
	s_wait_dscnt 0x0
	s_barrier_signal -1
	s_barrier_wait -1
	s_and_saveexec_b32 s1, s33
	s_cbranch_execz .LBB19_434
; %bb.433:                              ;   in Loop: Header=BB19_3 Depth=1
	ds_load_b32 v28, v3 offset:7804
	ds_load_b32 v29, v39
	s_wait_dscnt 0x0
	v_fmac_f32_e32 v2, v28, v29
.LBB19_434:                             ;   in Loop: Header=BB19_3 Depth=1
	s_or_b32 exec_lo, exec_lo, s1
	s_barrier_signal -1
	s_barrier_wait -1
	s_and_saveexec_b32 s1, s33
; %bb.435:                              ;   in Loop: Header=BB19_3 Depth=1
	ds_store_b32 v39, v2
; %bb.436:                              ;   in Loop: Header=BB19_3 Depth=1
	s_or_b32 exec_lo, exec_lo, s1
	s_wait_dscnt 0x0
	s_barrier_signal -1
	s_barrier_wait -1
	s_barrier_signal -1
	s_barrier_wait -1
	s_and_saveexec_b32 s1, s3
; %bb.437:                              ;   in Loop: Header=BB19_3 Depth=1
	v_xor_b32_e32 v2, 0x80000000, v2
	ds_store_b32 v40, v2 offset:6256
; %bb.438:                              ;   in Loop: Header=BB19_3 Depth=1
	s_or_b32 exec_lo, exec_lo, s1
	s_wait_dscnt 0x0
	s_barrier_signal -1
	s_barrier_wait -1
	s_barrier_signal -1
	s_barrier_wait -1
	s_and_saveexec_b32 s1, s11
; %bb.439:                              ;   in Loop: Header=BB19_3 Depth=1
	v_add_nc_u32_e64 v2, 0x1c00, 0
	ds_store_2addr_b32 v2, v64, v64 offset0:28 offset1:93
; %bb.440:                              ;   in Loop: Header=BB19_3 Depth=1
	s_or_b32 exec_lo, exec_lo, s1
	v_mov_b32_e32 v2, 0
	s_wait_dscnt 0x0
	s_barrier_signal -1
	s_barrier_wait -1
	s_and_saveexec_b32 s8, s2
	s_cbranch_execz .LBB19_444
; %bb.441:                              ;   in Loop: Header=BB19_3 Depth=1
	ds_load_b32 v2, v34 offset:7288
	ds_load_b32 v28, v35 offset:7280
	s_wait_dscnt 0x0
	v_fma_f32 v2, v2, v28, 0
	s_and_saveexec_b32 s1, s12
	s_cbranch_execz .LBB19_443
; %bb.442:                              ;   in Loop: Header=BB19_3 Depth=1
	ds_load_b32 v28, v38 offset:7544
	ds_load_b32 v29, v3 offset:7284
	s_wait_dscnt 0x0
	v_fmac_f32_e32 v2, v28, v29
.LBB19_443:                             ;   in Loop: Header=BB19_3 Depth=1
	s_or_b32 exec_lo, exec_lo, s1
	s_delay_alu instid0(VALU_DEP_1)
	v_xor_b32_e32 v2, 0x80000000, v2
.LBB19_444:                             ;   in Loop: Header=BB19_3 Depth=1
	s_or_b32 exec_lo, exec_lo, s8
	s_and_saveexec_b32 s1, s100
; %bb.445:                              ;   in Loop: Header=BB19_3 Depth=1
	ds_store_b32 v9, v2
; %bb.446:                              ;   in Loop: Header=BB19_3 Depth=1
	s_or_b32 exec_lo, exec_lo, s1
	s_wait_dscnt 0x0
	s_barrier_signal -1
	s_barrier_wait -1
	s_and_saveexec_b32 s1, s101
	s_cbranch_execz .LBB19_448
; %bb.447:                              ;   in Loop: Header=BB19_3 Depth=1
	ds_load_b32 v28, v3 offset:7804
	ds_load_b32 v29, v9
	s_wait_dscnt 0x0
	v_fmac_f32_e32 v2, v28, v29
.LBB19_448:                             ;   in Loop: Header=BB19_3 Depth=1
	s_or_b32 exec_lo, exec_lo, s1
	s_barrier_signal -1
	s_barrier_wait -1
	s_and_saveexec_b32 s1, s101
; %bb.449:                              ;   in Loop: Header=BB19_3 Depth=1
	ds_store_b32 v9, v2
; %bb.450:                              ;   in Loop: Header=BB19_3 Depth=1
	s_or_b32 exec_lo, exec_lo, s1
	s_wait_dscnt 0x0
	s_barrier_signal -1
	s_barrier_wait -1
	s_barrier_signal -1
	s_barrier_wait -1
	s_and_saveexec_b32 s1, s2
; %bb.451:                              ;   in Loop: Header=BB19_3 Depth=1
	v_xor_b32_e32 v2, 0x80000000, v2
	ds_store_b32 v34, v2 offset:7288
; %bb.452:                              ;   in Loop: Header=BB19_3 Depth=1
	s_or_b32 exec_lo, exec_lo, s1
	s_wait_dscnt 0x0
	s_barrier_signal -1
	s_barrier_wait -1
	s_barrier_signal -1
	s_barrier_wait -1
	s_and_saveexec_b32 s1, s11
; %bb.453:                              ;   in Loop: Header=BB19_3 Depth=1
	v_add_nc_u32_e64 v2, 0x1c00, 0
	ds_store_2addr_b32 v2, v64, v64 offset0:158 offset1:223
; %bb.454:                              ;   in Loop: Header=BB19_3 Depth=1
	s_or_b32 exec_lo, exec_lo, s1
	v_mov_b32_e32 v2, 0
	s_wait_dscnt 0x0
	s_barrier_signal -1
	s_barrier_wait -1
	s_and_saveexec_b32 s65, s6
	s_cbranch_execz .LBB19_516
; %bb.455:                              ;   in Loop: Header=BB19_3 Depth=1
	v_add_nc_u32_e32 v28, v50, v49
	ds_load_b32 v2, v56 offset:128
	ds_load_b32 v29, v28
	s_wait_dscnt 0x0
	v_fma_f32 v2, v2, v29, 0
	s_mov_b32 s1, exec_lo
	v_readlane_b32 s8, v75, 29
	s_and_b32 s8, s1, s8
	s_delay_alu instid0(SALU_CYCLE_1)
	s_mov_b32 exec_lo, s8
	s_cbranch_execz .LBB19_457
; %bb.456:                              ;   in Loop: Header=BB19_3 Depth=1
	ds_load_b32 v29, v56 offset:384
	ds_load_b32 v30, v28 offset:4
	s_wait_dscnt 0x0
	v_fmac_f32_e32 v2, v29, v30
.LBB19_457:                             ;   in Loop: Header=BB19_3 Depth=1
	s_or_b32 exec_lo, exec_lo, s1
	s_delay_alu instid0(SALU_CYCLE_1) | instskip(SKIP_2) | instid1(SALU_CYCLE_1)
	s_mov_b32 s1, exec_lo
	v_readlane_b32 s8, v75, 30
	s_and_b32 s8, s1, s8
	s_mov_b32 exec_lo, s8
	s_cbranch_execz .LBB19_459
; %bb.458:                              ;   in Loop: Header=BB19_3 Depth=1
	ds_load_b32 v29, v56 offset:640
	ds_load_b32 v30, v28 offset:8
	s_wait_dscnt 0x0
	v_fmac_f32_e32 v2, v29, v30
.LBB19_459:                             ;   in Loop: Header=BB19_3 Depth=1
	s_or_b32 exec_lo, exec_lo, s1
	s_delay_alu instid0(SALU_CYCLE_1) | instskip(SKIP_2) | instid1(SALU_CYCLE_1)
	s_mov_b32 s1, exec_lo
	v_readlane_b32 s8, v75, 31
	s_and_b32 s8, s1, s8
	;; [unrolled: 13-line block ×22, first 2 shown]
	s_mov_b32 exec_lo, s8
	s_cbranch_execz .LBB19_501
; %bb.500:                              ;   in Loop: Header=BB19_3 Depth=1
	ds_load_b32 v29, v56 offset:6016
	ds_load_b32 v30, v28 offset:92
	s_wait_dscnt 0x0
	v_fmac_f32_e32 v2, v29, v30
.LBB19_501:                             ;   in Loop: Header=BB19_3 Depth=1
	s_or_b32 exec_lo, exec_lo, s1
	s_and_saveexec_b32 s1, s5
	s_cbranch_execz .LBB19_503
; %bb.502:                              ;   in Loop: Header=BB19_3 Depth=1
	ds_load_b32 v29, v56 offset:6272
	ds_load_b32 v30, v28 offset:96
	s_wait_dscnt 0x0
	v_fmac_f32_e32 v2, v29, v30
.LBB19_503:                             ;   in Loop: Header=BB19_3 Depth=1
	s_or_b32 exec_lo, exec_lo, s1
	s_delay_alu instid0(SALU_CYCLE_1) | instskip(SKIP_2) | instid1(SALU_CYCLE_1)
	s_mov_b32 s1, exec_lo
	v_readlane_b32 s8, v75, 19
	s_and_b32 s8, s1, s8
	s_mov_b32 exec_lo, s8
	s_cbranch_execz .LBB19_505
; %bb.504:                              ;   in Loop: Header=BB19_3 Depth=1
	ds_load_b32 v29, v56 offset:6528
	ds_load_b32 v30, v28 offset:100
	s_wait_dscnt 0x0
	v_fmac_f32_e32 v2, v29, v30
.LBB19_505:                             ;   in Loop: Header=BB19_3 Depth=1
	s_or_b32 exec_lo, exec_lo, s1
	s_delay_alu instid0(SALU_CYCLE_1) | instskip(SKIP_2) | instid1(SALU_CYCLE_1)
	s_mov_b32 s1, exec_lo
	v_readlane_b32 s8, v75, 21
	s_and_b32 s8, s1, s8
	s_mov_b32 exec_lo, s8
	s_cbranch_execz .LBB19_507
; %bb.506:                              ;   in Loop: Header=BB19_3 Depth=1
	ds_load_b32 v29, v56 offset:6784
	ds_load_b32 v30, v28 offset:104
	s_wait_dscnt 0x0
	v_fmac_f32_e32 v2, v29, v30
.LBB19_507:                             ;   in Loop: Header=BB19_3 Depth=1
	s_or_b32 exec_lo, exec_lo, s1
	s_delay_alu instid0(SALU_CYCLE_1) | instskip(SKIP_2) | instid1(SALU_CYCLE_1)
	s_mov_b32 s1, exec_lo
	v_readlane_b32 s8, v75, 23
	s_and_b32 s8, s1, s8
	s_mov_b32 exec_lo, s8
	s_cbranch_execz .LBB19_509
; %bb.508:                              ;   in Loop: Header=BB19_3 Depth=1
	ds_load_b32 v29, v56 offset:7040
	ds_load_b32 v30, v28 offset:108
	s_wait_dscnt 0x0
	v_fmac_f32_e32 v2, v29, v30
.LBB19_509:                             ;   in Loop: Header=BB19_3 Depth=1
	s_or_b32 exec_lo, exec_lo, s1
	s_delay_alu instid0(SALU_CYCLE_1) | instskip(SKIP_2) | instid1(SALU_CYCLE_1)
	s_mov_b32 s1, exec_lo
	v_readlane_b32 s8, v75, 25
	s_and_b32 s8, s1, s8
	s_mov_b32 exec_lo, s8
	s_cbranch_execz .LBB19_511
; %bb.510:                              ;   in Loop: Header=BB19_3 Depth=1
	ds_load_b32 v29, v56 offset:7296
	ds_load_b32 v30, v28 offset:112
	s_wait_dscnt 0x0
	v_fmac_f32_e32 v2, v29, v30
.LBB19_511:                             ;   in Loop: Header=BB19_3 Depth=1
	s_or_b32 exec_lo, exec_lo, s1
	s_delay_alu instid0(SALU_CYCLE_1) | instskip(SKIP_2) | instid1(SALU_CYCLE_1)
	s_mov_b32 s1, exec_lo
	v_readlane_b32 s8, v75, 27
	s_and_b32 s8, s1, s8
	s_mov_b32 exec_lo, s8
	s_cbranch_execnz .LBB19_1137
; %bb.512:                              ;   in Loop: Header=BB19_3 Depth=1
	s_or_b32 exec_lo, exec_lo, s1
	s_and_saveexec_b32 s1, s4
	s_cbranch_execnz .LBB19_1138
.LBB19_513:                             ;   in Loop: Header=BB19_3 Depth=1
	s_or_b32 exec_lo, exec_lo, s1
	s_and_saveexec_b32 s1, s18
	s_cbranch_execz .LBB19_515
.LBB19_514:                             ;   in Loop: Header=BB19_3 Depth=1
	ds_load_b32 v28, v38 offset:8064
	ds_load_b32 v29, v3 offset:124
	s_wait_dscnt 0x0
	v_fmac_f32_e32 v2, v28, v29
.LBB19_515:                             ;   in Loop: Header=BB19_3 Depth=1
	s_or_b32 exec_lo, exec_lo, s1
	s_delay_alu instid0(VALU_DEP_1)
	v_xor_b32_e32 v2, 0x80000000, v2
.LBB19_516:                             ;   in Loop: Header=BB19_3 Depth=1
	s_or_b32 exec_lo, exec_lo, s65
	s_delay_alu instid0(SALU_CYCLE_1) | instskip(SKIP_2) | instid1(SALU_CYCLE_1)
	s_mov_b32 s1, exec_lo
	v_readlane_b32 s8, v77, 6
	s_and_b32 s8, s1, s8
	s_mov_b32 exec_lo, s8
; %bb.517:                              ;   in Loop: Header=BB19_3 Depth=1
	ds_store_b32 v55, v2
; %bb.518:                              ;   in Loop: Header=BB19_3 Depth=1
	s_or_b32 exec_lo, exec_lo, s1
	s_wait_dscnt 0x0
	s_barrier_signal -1
	s_barrier_wait -1
	s_mov_b32 s1, exec_lo
	v_readlane_b32 s8, v77, 7
	s_and_b32 s8, s1, s8
	s_delay_alu instid0(SALU_CYCLE_1)
	s_mov_b32 exec_lo, s8
	s_cbranch_execz .LBB19_520
; %bb.519:                              ;   in Loop: Header=BB19_3 Depth=1
	ds_load_b32 v28, v51 offset:8320
	ds_load_b32 v29, v55
	s_wait_dscnt 0x0
	v_fmac_f32_e32 v2, v28, v29
.LBB19_520:                             ;   in Loop: Header=BB19_3 Depth=1
	s_or_b32 exec_lo, exec_lo, s1
	s_barrier_signal -1
	s_barrier_wait -1
	s_mov_b32 s1, exec_lo
	v_readlane_b32 s8, v77, 8
	s_and_b32 s8, s1, s8
	s_delay_alu instid0(SALU_CYCLE_1)
	s_mov_b32 exec_lo, s8
; %bb.521:                              ;   in Loop: Header=BB19_3 Depth=1
	ds_store_b32 v55, v2
; %bb.522:                              ;   in Loop: Header=BB19_3 Depth=1
	s_or_b32 exec_lo, exec_lo, s1
	s_wait_dscnt 0x0
	s_barrier_signal -1
	s_barrier_wait -1
	s_mov_b32 s1, exec_lo
	v_readlane_b32 s8, v77, 9
	s_and_b32 s8, s1, s8
	s_delay_alu instid0(SALU_CYCLE_1)
	s_mov_b32 exec_lo, s8
	s_cbranch_execz .LBB19_524
; %bb.523:                              ;   in Loop: Header=BB19_3 Depth=1
	ds_load_b32 v28, v51 offset:8576
	ds_load_b32 v29, v55
	s_wait_dscnt 0x0
	v_fmac_f32_e32 v2, v28, v29
.LBB19_524:                             ;   in Loop: Header=BB19_3 Depth=1
	s_or_b32 exec_lo, exec_lo, s1
	s_barrier_signal -1
	s_barrier_wait -1
	s_mov_b32 s1, exec_lo
	v_readlane_b32 s8, v77, 10
	s_and_b32 s8, s1, s8
	s_delay_alu instid0(SALU_CYCLE_1)
	;; [unrolled: 27-line block ×30, first 2 shown]
	s_mov_b32 exec_lo, s8
; %bb.637:                              ;   in Loop: Header=BB19_3 Depth=1
	ds_store_b32 v55, v2
; %bb.638:                              ;   in Loop: Header=BB19_3 Depth=1
	s_or_b32 exec_lo, exec_lo, s1
	s_wait_dscnt 0x0
	s_barrier_signal -1
	s_barrier_wait -1
	s_and_saveexec_b32 s1, s9
	s_cbranch_execz .LBB19_640
; %bb.639:                              ;   in Loop: Header=BB19_3 Depth=1
	ds_load_b32 v28, v3 offset:16124
	ds_load_b32 v29, v55
	s_wait_dscnt 0x0
	v_fmac_f32_e32 v2, v28, v29
.LBB19_640:                             ;   in Loop: Header=BB19_3 Depth=1
	s_or_b32 exec_lo, exec_lo, s1
	s_barrier_signal -1
	s_barrier_wait -1
	s_and_saveexec_b32 s1, s9
; %bb.641:                              ;   in Loop: Header=BB19_3 Depth=1
	ds_store_b32 v55, v2
; %bb.642:                              ;   in Loop: Header=BB19_3 Depth=1
	s_or_b32 exec_lo, exec_lo, s1
	s_wait_dscnt 0x0
	s_barrier_signal -1
	s_barrier_wait -1
	s_barrier_signal -1
	s_barrier_wait -1
	s_and_saveexec_b32 s1, s6
; %bb.643:                              ;   in Loop: Header=BB19_3 Depth=1
	v_xor_b32_e32 v2, 0x80000000, v2
	ds_store_b32 v56, v2 offset:128
; %bb.644:                              ;   in Loop: Header=BB19_3 Depth=1
	s_or_b32 exec_lo, exec_lo, s1
	s_wait_dscnt 0x0
	s_barrier_signal -1
	s_barrier_wait -1
	s_barrier_signal -1
	s_barrier_wait -1
	s_and_saveexec_b32 s1, s11
; %bb.645:                              ;   in Loop: Header=BB19_3 Depth=1
	v_add_nc_u32_e64 v2, 0x2000, 0
	ds_store_2addr_b32 v2, v64, v64 offset0:32 offset1:97
; %bb.646:                              ;   in Loop: Header=BB19_3 Depth=1
	s_or_b32 exec_lo, exec_lo, s1
	v_mov_b32_e32 v2, 0
	s_wait_dscnt 0x0
	s_barrier_signal -1
	s_barrier_wait -1
	s_and_saveexec_b32 s8, s2
	s_cbranch_execz .LBB19_650
; %bb.647:                              ;   in Loop: Header=BB19_3 Depth=1
	ds_load_b32 v2, v34 offset:8328
	ds_load_b32 v28, v35 offset:8320
	s_wait_dscnt 0x0
	v_fma_f32 v2, v2, v28, 0
	s_and_saveexec_b32 s1, s12
	s_cbranch_execz .LBB19_649
; %bb.648:                              ;   in Loop: Header=BB19_3 Depth=1
	ds_load_b32 v28, v38 offset:8584
	ds_load_b32 v29, v3 offset:8324
	s_wait_dscnt 0x0
	v_fmac_f32_e32 v2, v28, v29
.LBB19_649:                             ;   in Loop: Header=BB19_3 Depth=1
	s_or_b32 exec_lo, exec_lo, s1
	s_delay_alu instid0(VALU_DEP_1)
	v_xor_b32_e32 v2, 0x80000000, v2
.LBB19_650:                             ;   in Loop: Header=BB19_3 Depth=1
	s_or_b32 exec_lo, exec_lo, s8
	s_and_saveexec_b32 s1, s100
; %bb.651:                              ;   in Loop: Header=BB19_3 Depth=1
	ds_store_b32 v9, v2
; %bb.652:                              ;   in Loop: Header=BB19_3 Depth=1
	s_or_b32 exec_lo, exec_lo, s1
	s_wait_dscnt 0x0
	s_barrier_signal -1
	s_barrier_wait -1
	s_and_saveexec_b32 s1, s101
	s_cbranch_execz .LBB19_654
; %bb.653:                              ;   in Loop: Header=BB19_3 Depth=1
	ds_load_b32 v28, v3 offset:8844
	ds_load_b32 v29, v9
	s_wait_dscnt 0x0
	v_fmac_f32_e32 v2, v28, v29
.LBB19_654:                             ;   in Loop: Header=BB19_3 Depth=1
	s_or_b32 exec_lo, exec_lo, s1
	s_barrier_signal -1
	s_barrier_wait -1
	s_and_saveexec_b32 s1, s101
; %bb.655:                              ;   in Loop: Header=BB19_3 Depth=1
	ds_store_b32 v9, v2
; %bb.656:                              ;   in Loop: Header=BB19_3 Depth=1
	s_or_b32 exec_lo, exec_lo, s1
	s_wait_dscnt 0x0
	s_barrier_signal -1
	s_barrier_wait -1
	s_barrier_signal -1
	s_barrier_wait -1
	s_and_saveexec_b32 s1, s2
; %bb.657:                              ;   in Loop: Header=BB19_3 Depth=1
	v_xor_b32_e32 v2, 0x80000000, v2
	ds_store_b32 v34, v2 offset:8328
; %bb.658:                              ;   in Loop: Header=BB19_3 Depth=1
	s_or_b32 exec_lo, exec_lo, s1
	s_wait_dscnt 0x0
	s_barrier_signal -1
	s_barrier_wait -1
	s_barrier_signal -1
	s_barrier_wait -1
	s_and_saveexec_b32 s1, s11
; %bb.659:                              ;   in Loop: Header=BB19_3 Depth=1
	v_add_nc_u32_e64 v2, 0x2000, 0
	ds_store_2addr_b32 v2, v64, v64 offset0:162 offset1:227
; %bb.660:                              ;   in Loop: Header=BB19_3 Depth=1
	s_or_b32 exec_lo, exec_lo, s1
	v_mov_b32_e32 v2, 0
	s_wait_dscnt 0x0
	s_barrier_signal -1
	s_barrier_wait -1
	s_and_saveexec_b32 s8, s3
	s_cbranch_execz .LBB19_666
; %bb.661:                              ;   in Loop: Header=BB19_3 Depth=1
	ds_load_b32 v2, v40 offset:8336
	ds_load_b32 v28, v36 offset:8320
	s_wait_dscnt 0x0
	v_fma_f32 v2, v2, v28, 0
	s_and_saveexec_b32 s1, s13
	s_cbranch_execnz .LBB19_1139
; %bb.662:                              ;   in Loop: Header=BB19_3 Depth=1
	s_or_b32 exec_lo, exec_lo, s1
	s_and_saveexec_b32 s1, s14
	s_cbranch_execnz .LBB19_1140
.LBB19_663:                             ;   in Loop: Header=BB19_3 Depth=1
	s_or_b32 exec_lo, exec_lo, s1
	s_and_saveexec_b32 s1, s2
	s_cbranch_execz .LBB19_665
.LBB19_664:                             ;   in Loop: Header=BB19_3 Depth=1
	ds_load_b32 v28, v38 offset:9104
	ds_load_b32 v29, v3 offset:8332
	s_wait_dscnt 0x0
	v_fmac_f32_e32 v2, v28, v29
.LBB19_665:                             ;   in Loop: Header=BB19_3 Depth=1
	s_or_b32 exec_lo, exec_lo, s1
	s_delay_alu instid0(VALU_DEP_1)
	v_xor_b32_e32 v2, 0x80000000, v2
.LBB19_666:                             ;   in Loop: Header=BB19_3 Depth=1
	s_or_b32 exec_lo, exec_lo, s8
	s_and_saveexec_b32 s1, s102
; %bb.667:                              ;   in Loop: Header=BB19_3 Depth=1
	ds_store_b32 v39, v2
; %bb.668:                              ;   in Loop: Header=BB19_3 Depth=1
	s_or_b32 exec_lo, exec_lo, s1
	s_wait_dscnt 0x0
	s_barrier_signal -1
	s_barrier_wait -1
	s_and_saveexec_b32 s1, s103
	s_cbranch_execz .LBB19_670
; %bb.669:                              ;   in Loop: Header=BB19_3 Depth=1
	ds_load_b32 v28, v37 offset:9360
	ds_load_b32 v29, v39
	s_wait_dscnt 0x0
	v_fmac_f32_e32 v2, v28, v29
.LBB19_670:                             ;   in Loop: Header=BB19_3 Depth=1
	s_or_b32 exec_lo, exec_lo, s1
	s_barrier_signal -1
	s_barrier_wait -1
	s_and_saveexec_b32 s1, s104
; %bb.671:                              ;   in Loop: Header=BB19_3 Depth=1
	ds_store_b32 v39, v2
; %bb.672:                              ;   in Loop: Header=BB19_3 Depth=1
	s_or_b32 exec_lo, exec_lo, s1
	s_wait_dscnt 0x0
	s_barrier_signal -1
	s_barrier_wait -1
	s_and_saveexec_b32 s1, vcc_hi
	s_cbranch_execz .LBB19_674
; %bb.673:                              ;   in Loop: Header=BB19_3 Depth=1
	ds_load_b32 v28, v37 offset:9616
	ds_load_b32 v29, v39
	s_wait_dscnt 0x0
	v_fmac_f32_e32 v2, v28, v29
.LBB19_674:                             ;   in Loop: Header=BB19_3 Depth=1
	s_or_b32 exec_lo, exec_lo, s1
	s_barrier_signal -1
	s_barrier_wait -1
	s_and_saveexec_b32 s1, s31
; %bb.675:                              ;   in Loop: Header=BB19_3 Depth=1
	ds_store_b32 v39, v2
; %bb.676:                              ;   in Loop: Header=BB19_3 Depth=1
	s_or_b32 exec_lo, exec_lo, s1
	s_wait_dscnt 0x0
	s_barrier_signal -1
	s_barrier_wait -1
	s_and_saveexec_b32 s1, s33
	s_cbranch_execz .LBB19_678
; %bb.677:                              ;   in Loop: Header=BB19_3 Depth=1
	ds_load_b32 v28, v3 offset:9884
	ds_load_b32 v29, v39
	s_wait_dscnt 0x0
	v_fmac_f32_e32 v2, v28, v29
.LBB19_678:                             ;   in Loop: Header=BB19_3 Depth=1
	s_or_b32 exec_lo, exec_lo, s1
	s_barrier_signal -1
	s_barrier_wait -1
	s_and_saveexec_b32 s1, s33
; %bb.679:                              ;   in Loop: Header=BB19_3 Depth=1
	ds_store_b32 v39, v2
; %bb.680:                              ;   in Loop: Header=BB19_3 Depth=1
	s_or_b32 exec_lo, exec_lo, s1
	s_wait_dscnt 0x0
	s_barrier_signal -1
	s_barrier_wait -1
	s_barrier_signal -1
	s_barrier_wait -1
	s_and_saveexec_b32 s1, s3
; %bb.681:                              ;   in Loop: Header=BB19_3 Depth=1
	v_xor_b32_e32 v2, 0x80000000, v2
	ds_store_b32 v40, v2 offset:8336
; %bb.682:                              ;   in Loop: Header=BB19_3 Depth=1
	s_or_b32 exec_lo, exec_lo, s1
	s_wait_dscnt 0x0
	s_barrier_signal -1
	s_barrier_wait -1
	s_barrier_signal -1
	s_barrier_wait -1
	s_and_saveexec_b32 s1, s11
; %bb.683:                              ;   in Loop: Header=BB19_3 Depth=1
	v_add_nc_u32_e64 v2, 0x2400, 0
	ds_store_2addr_b32 v2, v64, v64 offset0:36 offset1:101
; %bb.684:                              ;   in Loop: Header=BB19_3 Depth=1
	s_or_b32 exec_lo, exec_lo, s1
	v_mov_b32_e32 v2, 0
	s_wait_dscnt 0x0
	s_barrier_signal -1
	s_barrier_wait -1
	s_and_saveexec_b32 s8, s2
	s_cbranch_execz .LBB19_688
; %bb.685:                              ;   in Loop: Header=BB19_3 Depth=1
	ds_load_b32 v2, v34 offset:9368
	ds_load_b32 v28, v35 offset:9360
	s_wait_dscnt 0x0
	v_fma_f32 v2, v2, v28, 0
	s_and_saveexec_b32 s1, s12
	s_cbranch_execz .LBB19_687
; %bb.686:                              ;   in Loop: Header=BB19_3 Depth=1
	ds_load_b32 v28, v38 offset:9624
	ds_load_b32 v29, v3 offset:9364
	s_wait_dscnt 0x0
	v_fmac_f32_e32 v2, v28, v29
.LBB19_687:                             ;   in Loop: Header=BB19_3 Depth=1
	s_or_b32 exec_lo, exec_lo, s1
	s_delay_alu instid0(VALU_DEP_1)
	v_xor_b32_e32 v2, 0x80000000, v2
.LBB19_688:                             ;   in Loop: Header=BB19_3 Depth=1
	s_or_b32 exec_lo, exec_lo, s8
	s_and_saveexec_b32 s1, s100
; %bb.689:                              ;   in Loop: Header=BB19_3 Depth=1
	ds_store_b32 v9, v2
; %bb.690:                              ;   in Loop: Header=BB19_3 Depth=1
	s_or_b32 exec_lo, exec_lo, s1
	s_wait_dscnt 0x0
	s_barrier_signal -1
	s_barrier_wait -1
	s_and_saveexec_b32 s1, s101
	s_cbranch_execz .LBB19_692
; %bb.691:                              ;   in Loop: Header=BB19_3 Depth=1
	ds_load_b32 v28, v3 offset:9884
	ds_load_b32 v29, v9
	s_wait_dscnt 0x0
	v_fmac_f32_e32 v2, v28, v29
.LBB19_692:                             ;   in Loop: Header=BB19_3 Depth=1
	s_or_b32 exec_lo, exec_lo, s1
	s_barrier_signal -1
	s_barrier_wait -1
	s_and_saveexec_b32 s1, s101
; %bb.693:                              ;   in Loop: Header=BB19_3 Depth=1
	ds_store_b32 v9, v2
; %bb.694:                              ;   in Loop: Header=BB19_3 Depth=1
	s_or_b32 exec_lo, exec_lo, s1
	s_wait_dscnt 0x0
	s_barrier_signal -1
	s_barrier_wait -1
	s_barrier_signal -1
	s_barrier_wait -1
	s_and_saveexec_b32 s1, s2
; %bb.695:                              ;   in Loop: Header=BB19_3 Depth=1
	v_xor_b32_e32 v2, 0x80000000, v2
	ds_store_b32 v34, v2 offset:9368
; %bb.696:                              ;   in Loop: Header=BB19_3 Depth=1
	s_or_b32 exec_lo, exec_lo, s1
	s_wait_dscnt 0x0
	s_barrier_signal -1
	s_barrier_wait -1
	s_barrier_signal -1
	s_barrier_wait -1
	s_and_saveexec_b32 s1, s11
; %bb.697:                              ;   in Loop: Header=BB19_3 Depth=1
	v_add_nc_u32_e64 v2, 0x2400, 0
	ds_store_2addr_b32 v2, v64, v64 offset0:166 offset1:231
; %bb.698:                              ;   in Loop: Header=BB19_3 Depth=1
	s_or_b32 exec_lo, exec_lo, s1
	v_mov_b32_e32 v2, 0
	s_wait_dscnt 0x0
	s_barrier_signal -1
	s_barrier_wait -1
	s_and_saveexec_b32 s8, s4
	s_cbranch_execz .LBB19_708
; %bb.699:                              ;   in Loop: Header=BB19_3 Depth=1
	ds_load_b32 v2, v46 offset:8352
	ds_load_b32 v28, v41 offset:8320
	s_wait_dscnt 0x0
	v_fma_f32 v2, v2, v28, 0
	s_and_saveexec_b32 s1, s15
	s_cbranch_execnz .LBB19_1141
; %bb.700:                              ;   in Loop: Header=BB19_3 Depth=1
	s_or_b32 exec_lo, exec_lo, s1
	s_and_saveexec_b32 s1, s16
	s_cbranch_execnz .LBB19_1142
.LBB19_701:                             ;   in Loop: Header=BB19_3 Depth=1
	s_or_b32 exec_lo, exec_lo, s1
	s_and_saveexec_b32 s1, s17
	s_cbranch_execnz .LBB19_1143
.LBB19_702:                             ;   in Loop: Header=BB19_3 Depth=1
	s_or_b32 exec_lo, exec_lo, s1
	s_and_saveexec_b32 s1, s18
	s_cbranch_execnz .LBB19_1144
.LBB19_703:                             ;   in Loop: Header=BB19_3 Depth=1
	s_or_b32 exec_lo, exec_lo, s1
	s_and_saveexec_b32 s1, s19
	s_cbranch_execnz .LBB19_1145
.LBB19_704:                             ;   in Loop: Header=BB19_3 Depth=1
	s_or_b32 exec_lo, exec_lo, s1
	s_and_saveexec_b32 s1, s3
	s_cbranch_execnz .LBB19_1146
.LBB19_705:                             ;   in Loop: Header=BB19_3 Depth=1
	s_or_b32 exec_lo, exec_lo, s1
	s_and_saveexec_b32 s1, s14
	s_cbranch_execz .LBB19_707
.LBB19_706:                             ;   in Loop: Header=BB19_3 Depth=1
	ds_load_b32 v28, v38 offset:10144
	ds_load_b32 v29, v3 offset:8348
	s_wait_dscnt 0x0
	v_fmac_f32_e32 v2, v28, v29
.LBB19_707:                             ;   in Loop: Header=BB19_3 Depth=1
	s_or_b32 exec_lo, exec_lo, s1
	s_delay_alu instid0(VALU_DEP_1)
	v_xor_b32_e32 v2, 0x80000000, v2
.LBB19_708:                             ;   in Loop: Header=BB19_3 Depth=1
	s_or_b32 exec_lo, exec_lo, s8
	s_and_saveexec_b32 s1, s34
; %bb.709:                              ;   in Loop: Header=BB19_3 Depth=1
	ds_store_b32 v43, v2
; %bb.710:                              ;   in Loop: Header=BB19_3 Depth=1
	s_or_b32 exec_lo, exec_lo, s1
	s_wait_dscnt 0x0
	s_barrier_signal -1
	s_barrier_wait -1
	s_and_saveexec_b32 s1, s35
	s_cbranch_execz .LBB19_712
; %bb.711:                              ;   in Loop: Header=BB19_3 Depth=1
	ds_load_b32 v28, v44 offset:10400
	ds_load_b32 v29, v43
	s_wait_dscnt 0x0
	v_fmac_f32_e32 v2, v28, v29
.LBB19_712:                             ;   in Loop: Header=BB19_3 Depth=1
	s_or_b32 exec_lo, exec_lo, s1
	s_barrier_signal -1
	s_barrier_wait -1
	s_and_saveexec_b32 s1, s36
; %bb.713:                              ;   in Loop: Header=BB19_3 Depth=1
	ds_store_b32 v43, v2
; %bb.714:                              ;   in Loop: Header=BB19_3 Depth=1
	s_or_b32 exec_lo, exec_lo, s1
	s_wait_dscnt 0x0
	s_barrier_signal -1
	s_barrier_wait -1
	s_and_saveexec_b32 s1, s37
	s_cbranch_execz .LBB19_716
; %bb.715:                              ;   in Loop: Header=BB19_3 Depth=1
	ds_load_b32 v28, v44 offset:10656
	ds_load_b32 v29, v43
	s_wait_dscnt 0x0
	v_fmac_f32_e32 v2, v28, v29
.LBB19_716:                             ;   in Loop: Header=BB19_3 Depth=1
	s_or_b32 exec_lo, exec_lo, s1
	s_barrier_signal -1
	s_barrier_wait -1
	;; [unrolled: 19-line block ×7, first 2 shown]
	s_and_saveexec_b32 s1, s47
; %bb.737:                              ;   in Loop: Header=BB19_3 Depth=1
	ds_store_b32 v43, v2
; %bb.738:                              ;   in Loop: Header=BB19_3 Depth=1
	s_or_b32 exec_lo, exec_lo, s1
	s_wait_dscnt 0x0
	s_barrier_signal -1
	s_barrier_wait -1
	s_barrier_signal -1
	s_barrier_wait -1
	s_and_saveexec_b32 s1, s4
; %bb.739:                              ;   in Loop: Header=BB19_3 Depth=1
	v_xor_b32_e32 v2, 0x80000000, v2
	ds_store_b32 v46, v2 offset:8352
; %bb.740:                              ;   in Loop: Header=BB19_3 Depth=1
	s_or_b32 exec_lo, exec_lo, s1
	s_wait_dscnt 0x0
	s_barrier_signal -1
	s_barrier_wait -1
	s_barrier_signal -1
	s_barrier_wait -1
	s_and_saveexec_b32 s1, s11
; %bb.741:                              ;   in Loop: Header=BB19_3 Depth=1
	v_add_nc_u32_e64 v2, 0x2800, 0
	ds_store_2addr_b32 v2, v64, v64 offset0:40 offset1:105
; %bb.742:                              ;   in Loop: Header=BB19_3 Depth=1
	s_or_b32 exec_lo, exec_lo, s1
	v_mov_b32_e32 v2, 0
	s_wait_dscnt 0x0
	s_barrier_signal -1
	s_barrier_wait -1
	s_and_saveexec_b32 s8, s2
	s_cbranch_execz .LBB19_746
; %bb.743:                              ;   in Loop: Header=BB19_3 Depth=1
	ds_load_b32 v2, v34 offset:10408
	ds_load_b32 v28, v35 offset:10400
	s_wait_dscnt 0x0
	v_fma_f32 v2, v2, v28, 0
	s_and_saveexec_b32 s1, s12
	s_cbranch_execz .LBB19_745
; %bb.744:                              ;   in Loop: Header=BB19_3 Depth=1
	ds_load_b32 v28, v38 offset:10664
	ds_load_b32 v29, v3 offset:10404
	s_wait_dscnt 0x0
	v_fmac_f32_e32 v2, v28, v29
.LBB19_745:                             ;   in Loop: Header=BB19_3 Depth=1
	s_or_b32 exec_lo, exec_lo, s1
	s_delay_alu instid0(VALU_DEP_1)
	v_xor_b32_e32 v2, 0x80000000, v2
.LBB19_746:                             ;   in Loop: Header=BB19_3 Depth=1
	s_or_b32 exec_lo, exec_lo, s8
	s_and_saveexec_b32 s1, s100
; %bb.747:                              ;   in Loop: Header=BB19_3 Depth=1
	ds_store_b32 v9, v2
; %bb.748:                              ;   in Loop: Header=BB19_3 Depth=1
	s_or_b32 exec_lo, exec_lo, s1
	s_wait_dscnt 0x0
	s_barrier_signal -1
	s_barrier_wait -1
	s_and_saveexec_b32 s1, s101
	s_cbranch_execz .LBB19_750
; %bb.749:                              ;   in Loop: Header=BB19_3 Depth=1
	ds_load_b32 v28, v3 offset:10924
	ds_load_b32 v29, v9
	s_wait_dscnt 0x0
	v_fmac_f32_e32 v2, v28, v29
.LBB19_750:                             ;   in Loop: Header=BB19_3 Depth=1
	s_or_b32 exec_lo, exec_lo, s1
	s_barrier_signal -1
	s_barrier_wait -1
	s_and_saveexec_b32 s1, s101
; %bb.751:                              ;   in Loop: Header=BB19_3 Depth=1
	ds_store_b32 v9, v2
; %bb.752:                              ;   in Loop: Header=BB19_3 Depth=1
	s_or_b32 exec_lo, exec_lo, s1
	s_wait_dscnt 0x0
	s_barrier_signal -1
	s_barrier_wait -1
	s_barrier_signal -1
	s_barrier_wait -1
	s_and_saveexec_b32 s1, s2
; %bb.753:                              ;   in Loop: Header=BB19_3 Depth=1
	v_xor_b32_e32 v2, 0x80000000, v2
	ds_store_b32 v34, v2 offset:10408
; %bb.754:                              ;   in Loop: Header=BB19_3 Depth=1
	s_or_b32 exec_lo, exec_lo, s1
	s_wait_dscnt 0x0
	s_barrier_signal -1
	s_barrier_wait -1
	s_barrier_signal -1
	s_barrier_wait -1
	s_and_saveexec_b32 s1, s11
; %bb.755:                              ;   in Loop: Header=BB19_3 Depth=1
	v_add_nc_u32_e64 v2, 0x2800, 0
	ds_store_2addr_b32 v2, v64, v64 offset0:170 offset1:235
; %bb.756:                              ;   in Loop: Header=BB19_3 Depth=1
	s_or_b32 exec_lo, exec_lo, s1
	v_mov_b32_e32 v2, 0
	s_wait_dscnt 0x0
	s_barrier_signal -1
	s_barrier_wait -1
	s_and_saveexec_b32 s8, s3
	s_cbranch_execz .LBB19_762
; %bb.757:                              ;   in Loop: Header=BB19_3 Depth=1
	ds_load_b32 v2, v40 offset:10416
	ds_load_b32 v28, v36 offset:10400
	s_wait_dscnt 0x0
	v_fma_f32 v2, v2, v28, 0
	s_and_saveexec_b32 s1, s13
	s_cbranch_execnz .LBB19_1147
; %bb.758:                              ;   in Loop: Header=BB19_3 Depth=1
	s_or_b32 exec_lo, exec_lo, s1
	s_and_saveexec_b32 s1, s14
	s_cbranch_execnz .LBB19_1148
.LBB19_759:                             ;   in Loop: Header=BB19_3 Depth=1
	s_or_b32 exec_lo, exec_lo, s1
	s_and_saveexec_b32 s1, s2
	s_cbranch_execz .LBB19_761
.LBB19_760:                             ;   in Loop: Header=BB19_3 Depth=1
	ds_load_b32 v28, v38 offset:11184
	ds_load_b32 v29, v3 offset:10412
	s_wait_dscnt 0x0
	v_fmac_f32_e32 v2, v28, v29
.LBB19_761:                             ;   in Loop: Header=BB19_3 Depth=1
	s_or_b32 exec_lo, exec_lo, s1
	s_delay_alu instid0(VALU_DEP_1)
	v_xor_b32_e32 v2, 0x80000000, v2
.LBB19_762:                             ;   in Loop: Header=BB19_3 Depth=1
	s_or_b32 exec_lo, exec_lo, s8
	s_and_saveexec_b32 s1, s102
; %bb.763:                              ;   in Loop: Header=BB19_3 Depth=1
	ds_store_b32 v39, v2
; %bb.764:                              ;   in Loop: Header=BB19_3 Depth=1
	s_or_b32 exec_lo, exec_lo, s1
	s_wait_dscnt 0x0
	s_barrier_signal -1
	s_barrier_wait -1
	s_and_saveexec_b32 s1, s103
	s_cbranch_execz .LBB19_766
; %bb.765:                              ;   in Loop: Header=BB19_3 Depth=1
	ds_load_b32 v28, v37 offset:11440
	ds_load_b32 v29, v39
	s_wait_dscnt 0x0
	v_fmac_f32_e32 v2, v28, v29
.LBB19_766:                             ;   in Loop: Header=BB19_3 Depth=1
	s_or_b32 exec_lo, exec_lo, s1
	s_barrier_signal -1
	s_barrier_wait -1
	s_and_saveexec_b32 s1, s104
; %bb.767:                              ;   in Loop: Header=BB19_3 Depth=1
	ds_store_b32 v39, v2
; %bb.768:                              ;   in Loop: Header=BB19_3 Depth=1
	s_or_b32 exec_lo, exec_lo, s1
	s_wait_dscnt 0x0
	s_barrier_signal -1
	s_barrier_wait -1
	s_and_saveexec_b32 s1, vcc_hi
	s_cbranch_execz .LBB19_770
; %bb.769:                              ;   in Loop: Header=BB19_3 Depth=1
	ds_load_b32 v28, v37 offset:11696
	ds_load_b32 v29, v39
	s_wait_dscnt 0x0
	v_fmac_f32_e32 v2, v28, v29
.LBB19_770:                             ;   in Loop: Header=BB19_3 Depth=1
	s_or_b32 exec_lo, exec_lo, s1
	s_barrier_signal -1
	s_barrier_wait -1
	s_and_saveexec_b32 s1, s31
; %bb.771:                              ;   in Loop: Header=BB19_3 Depth=1
	ds_store_b32 v39, v2
; %bb.772:                              ;   in Loop: Header=BB19_3 Depth=1
	s_or_b32 exec_lo, exec_lo, s1
	s_wait_dscnt 0x0
	s_barrier_signal -1
	s_barrier_wait -1
	s_and_saveexec_b32 s1, s33
	s_cbranch_execz .LBB19_774
; %bb.773:                              ;   in Loop: Header=BB19_3 Depth=1
	ds_load_b32 v28, v3 offset:11964
	ds_load_b32 v29, v39
	s_wait_dscnt 0x0
	v_fmac_f32_e32 v2, v28, v29
.LBB19_774:                             ;   in Loop: Header=BB19_3 Depth=1
	s_or_b32 exec_lo, exec_lo, s1
	s_barrier_signal -1
	s_barrier_wait -1
	s_and_saveexec_b32 s1, s33
; %bb.775:                              ;   in Loop: Header=BB19_3 Depth=1
	ds_store_b32 v39, v2
; %bb.776:                              ;   in Loop: Header=BB19_3 Depth=1
	s_or_b32 exec_lo, exec_lo, s1
	s_wait_dscnt 0x0
	s_barrier_signal -1
	s_barrier_wait -1
	s_barrier_signal -1
	s_barrier_wait -1
	s_and_saveexec_b32 s1, s3
; %bb.777:                              ;   in Loop: Header=BB19_3 Depth=1
	v_xor_b32_e32 v2, 0x80000000, v2
	ds_store_b32 v40, v2 offset:10416
; %bb.778:                              ;   in Loop: Header=BB19_3 Depth=1
	s_or_b32 exec_lo, exec_lo, s1
	s_wait_dscnt 0x0
	s_barrier_signal -1
	s_barrier_wait -1
	s_barrier_signal -1
	s_barrier_wait -1
	s_and_saveexec_b32 s1, s11
; %bb.779:                              ;   in Loop: Header=BB19_3 Depth=1
	v_add_nc_u32_e64 v2, 0x2c00, 0
	ds_store_2addr_b32 v2, v64, v64 offset0:44 offset1:109
; %bb.780:                              ;   in Loop: Header=BB19_3 Depth=1
	s_or_b32 exec_lo, exec_lo, s1
	v_mov_b32_e32 v2, 0
	s_wait_dscnt 0x0
	s_barrier_signal -1
	s_barrier_wait -1
	s_and_saveexec_b32 s8, s2
	s_cbranch_execz .LBB19_784
; %bb.781:                              ;   in Loop: Header=BB19_3 Depth=1
	ds_load_b32 v2, v34 offset:11448
	ds_load_b32 v28, v35 offset:11440
	s_wait_dscnt 0x0
	v_fma_f32 v2, v2, v28, 0
	s_and_saveexec_b32 s1, s12
	s_cbranch_execz .LBB19_783
; %bb.782:                              ;   in Loop: Header=BB19_3 Depth=1
	ds_load_b32 v28, v38 offset:11704
	ds_load_b32 v29, v3 offset:11444
	s_wait_dscnt 0x0
	v_fmac_f32_e32 v2, v28, v29
.LBB19_783:                             ;   in Loop: Header=BB19_3 Depth=1
	s_or_b32 exec_lo, exec_lo, s1
	s_delay_alu instid0(VALU_DEP_1)
	v_xor_b32_e32 v2, 0x80000000, v2
.LBB19_784:                             ;   in Loop: Header=BB19_3 Depth=1
	s_or_b32 exec_lo, exec_lo, s8
	s_and_saveexec_b32 s1, s100
; %bb.785:                              ;   in Loop: Header=BB19_3 Depth=1
	ds_store_b32 v9, v2
; %bb.786:                              ;   in Loop: Header=BB19_3 Depth=1
	s_or_b32 exec_lo, exec_lo, s1
	s_wait_dscnt 0x0
	s_barrier_signal -1
	s_barrier_wait -1
	s_and_saveexec_b32 s1, s101
	s_cbranch_execz .LBB19_788
; %bb.787:                              ;   in Loop: Header=BB19_3 Depth=1
	ds_load_b32 v28, v3 offset:11964
	ds_load_b32 v29, v9
	s_wait_dscnt 0x0
	v_fmac_f32_e32 v2, v28, v29
.LBB19_788:                             ;   in Loop: Header=BB19_3 Depth=1
	s_or_b32 exec_lo, exec_lo, s1
	s_barrier_signal -1
	s_barrier_wait -1
	s_and_saveexec_b32 s1, s101
; %bb.789:                              ;   in Loop: Header=BB19_3 Depth=1
	ds_store_b32 v9, v2
; %bb.790:                              ;   in Loop: Header=BB19_3 Depth=1
	s_or_b32 exec_lo, exec_lo, s1
	s_wait_dscnt 0x0
	s_barrier_signal -1
	s_barrier_wait -1
	s_barrier_signal -1
	s_barrier_wait -1
	s_and_saveexec_b32 s1, s2
; %bb.791:                              ;   in Loop: Header=BB19_3 Depth=1
	v_xor_b32_e32 v2, 0x80000000, v2
	ds_store_b32 v34, v2 offset:11448
; %bb.792:                              ;   in Loop: Header=BB19_3 Depth=1
	s_or_b32 exec_lo, exec_lo, s1
	s_wait_dscnt 0x0
	s_barrier_signal -1
	s_barrier_wait -1
	s_barrier_signal -1
	s_barrier_wait -1
	s_and_saveexec_b32 s1, s11
; %bb.793:                              ;   in Loop: Header=BB19_3 Depth=1
	v_add_nc_u32_e64 v2, 0x2c00, 0
	ds_store_2addr_b32 v2, v64, v64 offset0:174 offset1:239
; %bb.794:                              ;   in Loop: Header=BB19_3 Depth=1
	s_or_b32 exec_lo, exec_lo, s1
	v_mov_b32_e32 v2, 0
	s_wait_dscnt 0x0
	s_barrier_signal -1
	s_barrier_wait -1
	s_and_saveexec_b32 s65, s5
	s_cbranch_execz .LBB19_822
; %bb.795:                              ;   in Loop: Header=BB19_3 Depth=1
	ds_load_b32 v2, v53 offset:8384
	ds_load_b32 v28, v45 offset:8320
	s_wait_dscnt 0x0
	v_fma_f32 v2, v2, v28, 0
	s_mov_b32 s1, exec_lo
	v_readlane_b32 s8, v75, 18
	s_and_b32 s8, s1, s8
	s_delay_alu instid0(SALU_CYCLE_1)
	s_mov_b32 exec_lo, s8
	s_cbranch_execz .LBB19_797
; %bb.796:                              ;   in Loop: Header=BB19_3 Depth=1
	ds_load_b32 v28, v54 offset:8640
	ds_load_b32 v29, v45 offset:8324
	s_wait_dscnt 0x0
	v_fmac_f32_e32 v2, v28, v29
.LBB19_797:                             ;   in Loop: Header=BB19_3 Depth=1
	s_or_b32 exec_lo, exec_lo, s1
	s_delay_alu instid0(SALU_CYCLE_1) | instskip(SKIP_2) | instid1(SALU_CYCLE_1)
	s_mov_b32 s1, exec_lo
	v_readlane_b32 s8, v75, 19
	s_and_b32 s8, s1, s8
	s_mov_b32 exec_lo, s8
	s_cbranch_execz .LBB19_799
; %bb.798:                              ;   in Loop: Header=BB19_3 Depth=1
	ds_load_b32 v28, v54 offset:8896
	ds_load_b32 v29, v45 offset:8328
	s_wait_dscnt 0x0
	v_fmac_f32_e32 v2, v28, v29
.LBB19_799:                             ;   in Loop: Header=BB19_3 Depth=1
	s_or_b32 exec_lo, exec_lo, s1
	s_delay_alu instid0(SALU_CYCLE_1) | instskip(SKIP_2) | instid1(SALU_CYCLE_1)
	s_mov_b32 s1, exec_lo
	v_readlane_b32 s8, v75, 20
	s_and_b32 s8, s1, s8
	s_mov_b32 exec_lo, s8
	s_cbranch_execz .LBB19_801
; %bb.800:                              ;   in Loop: Header=BB19_3 Depth=1
	ds_load_b32 v28, v54 offset:9152
	ds_load_b32 v29, v45 offset:8332
	s_wait_dscnt 0x0
	v_fmac_f32_e32 v2, v28, v29
.LBB19_801:                             ;   in Loop: Header=BB19_3 Depth=1
	s_or_b32 exec_lo, exec_lo, s1
	s_delay_alu instid0(SALU_CYCLE_1) | instskip(SKIP_2) | instid1(SALU_CYCLE_1)
	s_mov_b32 s1, exec_lo
	v_readlane_b32 s8, v75, 21
	s_and_b32 s8, s1, s8
	s_mov_b32 exec_lo, s8
	s_cbranch_execz .LBB19_803
; %bb.802:                              ;   in Loop: Header=BB19_3 Depth=1
	ds_load_b32 v28, v54 offset:9408
	ds_load_b32 v29, v45 offset:8336
	s_wait_dscnt 0x0
	v_fmac_f32_e32 v2, v28, v29
.LBB19_803:                             ;   in Loop: Header=BB19_3 Depth=1
	s_or_b32 exec_lo, exec_lo, s1
	s_delay_alu instid0(SALU_CYCLE_1) | instskip(SKIP_2) | instid1(SALU_CYCLE_1)
	s_mov_b32 s1, exec_lo
	v_readlane_b32 s8, v75, 22
	s_and_b32 s8, s1, s8
	s_mov_b32 exec_lo, s8
	s_cbranch_execz .LBB19_805
; %bb.804:                              ;   in Loop: Header=BB19_3 Depth=1
	ds_load_b32 v28, v54 offset:9664
	ds_load_b32 v29, v45 offset:8340
	s_wait_dscnt 0x0
	v_fmac_f32_e32 v2, v28, v29
.LBB19_805:                             ;   in Loop: Header=BB19_3 Depth=1
	s_or_b32 exec_lo, exec_lo, s1
	s_delay_alu instid0(SALU_CYCLE_1) | instskip(SKIP_2) | instid1(SALU_CYCLE_1)
	s_mov_b32 s1, exec_lo
	v_readlane_b32 s8, v75, 23
	s_and_b32 s8, s1, s8
	s_mov_b32 exec_lo, s8
	s_cbranch_execz .LBB19_807
; %bb.806:                              ;   in Loop: Header=BB19_3 Depth=1
	ds_load_b32 v28, v54 offset:9920
	ds_load_b32 v29, v45 offset:8344
	s_wait_dscnt 0x0
	v_fmac_f32_e32 v2, v28, v29
.LBB19_807:                             ;   in Loop: Header=BB19_3 Depth=1
	s_or_b32 exec_lo, exec_lo, s1
	s_delay_alu instid0(SALU_CYCLE_1) | instskip(SKIP_2) | instid1(SALU_CYCLE_1)
	s_mov_b32 s1, exec_lo
	v_readlane_b32 s8, v75, 24
	s_and_b32 s8, s1, s8
	s_mov_b32 exec_lo, s8
	s_cbranch_execz .LBB19_809
; %bb.808:                              ;   in Loop: Header=BB19_3 Depth=1
	ds_load_b32 v28, v54 offset:10176
	ds_load_b32 v29, v45 offset:8348
	s_wait_dscnt 0x0
	v_fmac_f32_e32 v2, v28, v29
.LBB19_809:                             ;   in Loop: Header=BB19_3 Depth=1
	s_or_b32 exec_lo, exec_lo, s1
	s_delay_alu instid0(SALU_CYCLE_1) | instskip(SKIP_2) | instid1(SALU_CYCLE_1)
	s_mov_b32 s1, exec_lo
	v_readlane_b32 s8, v75, 25
	s_and_b32 s8, s1, s8
	s_mov_b32 exec_lo, s8
	s_cbranch_execz .LBB19_811
; %bb.810:                              ;   in Loop: Header=BB19_3 Depth=1
	ds_load_b32 v28, v53 offset:10432
	ds_load_b32 v29, v45 offset:8352
	s_wait_dscnt 0x0
	v_fmac_f32_e32 v2, v28, v29
.LBB19_811:                             ;   in Loop: Header=BB19_3 Depth=1
	s_or_b32 exec_lo, exec_lo, s1
	s_delay_alu instid0(SALU_CYCLE_1) | instskip(SKIP_2) | instid1(SALU_CYCLE_1)
	s_mov_b32 s1, exec_lo
	v_readlane_b32 s8, v75, 26
	s_and_b32 s8, s1, s8
	s_mov_b32 exec_lo, s8
	s_cbranch_execz .LBB19_813
; %bb.812:                              ;   in Loop: Header=BB19_3 Depth=1
	ds_load_b32 v28, v54 offset:10688
	ds_load_b32 v29, v45 offset:8356
	s_wait_dscnt 0x0
	v_fmac_f32_e32 v2, v28, v29
.LBB19_813:                             ;   in Loop: Header=BB19_3 Depth=1
	s_or_b32 exec_lo, exec_lo, s1
	s_delay_alu instid0(SALU_CYCLE_1) | instskip(SKIP_2) | instid1(SALU_CYCLE_1)
	s_mov_b32 s1, exec_lo
	v_readlane_b32 s8, v75, 27
	s_and_b32 s8, s1, s8
	s_mov_b32 exec_lo, s8
	s_cbranch_execz .LBB19_815
; %bb.814:                              ;   in Loop: Header=BB19_3 Depth=1
	ds_load_b32 v28, v54 offset:10944
	ds_load_b32 v29, v45 offset:8360
	s_wait_dscnt 0x0
	v_fmac_f32_e32 v2, v28, v29
.LBB19_815:                             ;   in Loop: Header=BB19_3 Depth=1
	s_or_b32 exec_lo, exec_lo, s1
	s_delay_alu instid0(SALU_CYCLE_1) | instskip(SKIP_2) | instid1(SALU_CYCLE_1)
	s_mov_b32 s1, exec_lo
	v_readlane_b32 s8, v75, 28
	s_and_b32 s8, s1, s8
	s_mov_b32 exec_lo, s8
	s_cbranch_execnz .LBB19_1149
; %bb.816:                              ;   in Loop: Header=BB19_3 Depth=1
	s_or_b32 exec_lo, exec_lo, s1
	s_and_saveexec_b32 s1, s4
	s_cbranch_execnz .LBB19_1150
.LBB19_817:                             ;   in Loop: Header=BB19_3 Depth=1
	s_or_b32 exec_lo, exec_lo, s1
	s_and_saveexec_b32 s1, s16
	s_cbranch_execnz .LBB19_1151
.LBB19_818:                             ;   in Loop: Header=BB19_3 Depth=1
	s_or_b32 exec_lo, exec_lo, s1
	s_and_saveexec_b32 s1, s18
	s_cbranch_execnz .LBB19_1152
.LBB19_819:                             ;   in Loop: Header=BB19_3 Depth=1
	s_or_b32 exec_lo, exec_lo, s1
	s_and_saveexec_b32 s1, s3
	s_cbranch_execz .LBB19_821
.LBB19_820:                             ;   in Loop: Header=BB19_3 Depth=1
	ds_load_b32 v28, v38 offset:12224
	ds_load_b32 v29, v3 offset:8380
	s_wait_dscnt 0x0
	v_fmac_f32_e32 v2, v28, v29
.LBB19_821:                             ;   in Loop: Header=BB19_3 Depth=1
	s_or_b32 exec_lo, exec_lo, s1
	s_delay_alu instid0(VALU_DEP_1)
	v_xor_b32_e32 v2, 0x80000000, v2
.LBB19_822:                             ;   in Loop: Header=BB19_3 Depth=1
	s_or_b32 exec_lo, exec_lo, s65
	s_delay_alu instid0(SALU_CYCLE_1) | instskip(SKIP_2) | instid1(SALU_CYCLE_1)
	s_mov_b32 s1, exec_lo
	v_readlane_b32 s8, v77, 2
	s_and_b32 s8, s1, s8
	s_mov_b32 exec_lo, s8
; %bb.823:                              ;   in Loop: Header=BB19_3 Depth=1
	ds_store_b32 v52, v2
; %bb.824:                              ;   in Loop: Header=BB19_3 Depth=1
	s_or_b32 exec_lo, exec_lo, s1
	s_wait_dscnt 0x0
	s_barrier_signal -1
	s_barrier_wait -1
	s_mov_b32 s1, exec_lo
	v_readlane_b32 s8, v77, 3
	s_and_b32 s8, s1, s8
	s_delay_alu instid0(SALU_CYCLE_1)
	s_mov_b32 exec_lo, s8
	s_cbranch_execz .LBB19_826
; %bb.825:                              ;   in Loop: Header=BB19_3 Depth=1
	ds_load_b32 v28, v48 offset:12480
	ds_load_b32 v29, v52
	s_wait_dscnt 0x0
	v_fmac_f32_e32 v2, v28, v29
.LBB19_826:                             ;   in Loop: Header=BB19_3 Depth=1
	s_or_b32 exec_lo, exec_lo, s1
	s_barrier_signal -1
	s_barrier_wait -1
	s_mov_b32 s1, exec_lo
	v_readlane_b32 s8, v77, 4
	s_and_b32 s8, s1, s8
	s_delay_alu instid0(SALU_CYCLE_1)
	s_mov_b32 exec_lo, s8
; %bb.827:                              ;   in Loop: Header=BB19_3 Depth=1
	ds_store_b32 v52, v2
; %bb.828:                              ;   in Loop: Header=BB19_3 Depth=1
	s_or_b32 exec_lo, exec_lo, s1
	s_wait_dscnt 0x0
	s_barrier_signal -1
	s_barrier_wait -1
	s_mov_b32 s1, exec_lo
	v_readlane_b32 s8, v77, 5
	s_and_b32 s8, s1, s8
	s_delay_alu instid0(SALU_CYCLE_1)
	s_mov_b32 exec_lo, s8
	s_cbranch_execz .LBB19_830
; %bb.829:                              ;   in Loop: Header=BB19_3 Depth=1
	ds_load_b32 v28, v48 offset:12736
	ds_load_b32 v29, v52
	s_wait_dscnt 0x0
	v_fmac_f32_e32 v2, v28, v29
.LBB19_830:                             ;   in Loop: Header=BB19_3 Depth=1
	s_or_b32 exec_lo, exec_lo, s1
	s_barrier_signal -1
	s_barrier_wait -1
	s_and_saveexec_b32 s1, s52
; %bb.831:                              ;   in Loop: Header=BB19_3 Depth=1
	ds_store_b32 v52, v2
; %bb.832:                              ;   in Loop: Header=BB19_3 Depth=1
	s_or_b32 exec_lo, exec_lo, s1
	s_wait_dscnt 0x0
	s_barrier_signal -1
	s_barrier_wait -1
	s_and_saveexec_b32 s1, s53
	s_cbranch_execz .LBB19_834
; %bb.833:                              ;   in Loop: Header=BB19_3 Depth=1
	ds_load_b32 v28, v48 offset:12992
	ds_load_b32 v29, v52
	s_wait_dscnt 0x0
	v_fmac_f32_e32 v2, v28, v29
.LBB19_834:                             ;   in Loop: Header=BB19_3 Depth=1
	s_or_b32 exec_lo, exec_lo, s1
	s_barrier_signal -1
	s_barrier_wait -1
	s_and_saveexec_b32 s1, s54
; %bb.835:                              ;   in Loop: Header=BB19_3 Depth=1
	ds_store_b32 v52, v2
; %bb.836:                              ;   in Loop: Header=BB19_3 Depth=1
	s_or_b32 exec_lo, exec_lo, s1
	s_wait_dscnt 0x0
	s_barrier_signal -1
	s_barrier_wait -1
	s_and_saveexec_b32 s1, s20
	;; [unrolled: 19-line block ×13, first 2 shown]
	s_cbranch_execz .LBB19_882
; %bb.881:                              ;   in Loop: Header=BB19_3 Depth=1
	ds_load_b32 v28, v3 offset:16124
	ds_load_b32 v29, v52
	s_wait_dscnt 0x0
	v_fmac_f32_e32 v2, v28, v29
.LBB19_882:                             ;   in Loop: Header=BB19_3 Depth=1
	s_or_b32 exec_lo, exec_lo, s1
	s_barrier_signal -1
	s_barrier_wait -1
	s_and_saveexec_b32 s1, s50
; %bb.883:                              ;   in Loop: Header=BB19_3 Depth=1
	ds_store_b32 v52, v2
; %bb.884:                              ;   in Loop: Header=BB19_3 Depth=1
	s_or_b32 exec_lo, exec_lo, s1
	s_wait_dscnt 0x0
	s_barrier_signal -1
	s_barrier_wait -1
	s_barrier_signal -1
	s_barrier_wait -1
	s_and_saveexec_b32 s1, s5
; %bb.885:                              ;   in Loop: Header=BB19_3 Depth=1
	v_xor_b32_e32 v2, 0x80000000, v2
	ds_store_b32 v53, v2 offset:8384
; %bb.886:                              ;   in Loop: Header=BB19_3 Depth=1
	s_or_b32 exec_lo, exec_lo, s1
	s_wait_dscnt 0x0
	s_barrier_signal -1
	s_barrier_wait -1
	s_barrier_signal -1
	s_barrier_wait -1
	s_and_saveexec_b32 s1, s11
; %bb.887:                              ;   in Loop: Header=BB19_3 Depth=1
	v_add_nc_u32_e64 v2, 0x3000, 0
	ds_store_2addr_b32 v2, v64, v64 offset0:48 offset1:113
; %bb.888:                              ;   in Loop: Header=BB19_3 Depth=1
	s_or_b32 exec_lo, exec_lo, s1
	v_mov_b32_e32 v2, 0
	s_wait_dscnt 0x0
	s_barrier_signal -1
	s_barrier_wait -1
	s_and_saveexec_b32 s8, s2
	s_cbranch_execz .LBB19_892
; %bb.889:                              ;   in Loop: Header=BB19_3 Depth=1
	ds_load_b32 v2, v34 offset:12488
	ds_load_b32 v28, v35 offset:12480
	s_wait_dscnt 0x0
	v_fma_f32 v2, v2, v28, 0
	s_and_saveexec_b32 s1, s12
	s_cbranch_execz .LBB19_891
; %bb.890:                              ;   in Loop: Header=BB19_3 Depth=1
	ds_load_b32 v28, v38 offset:12744
	ds_load_b32 v29, v3 offset:12484
	s_wait_dscnt 0x0
	v_fmac_f32_e32 v2, v28, v29
.LBB19_891:                             ;   in Loop: Header=BB19_3 Depth=1
	s_or_b32 exec_lo, exec_lo, s1
	s_delay_alu instid0(VALU_DEP_1)
	v_xor_b32_e32 v2, 0x80000000, v2
.LBB19_892:                             ;   in Loop: Header=BB19_3 Depth=1
	s_or_b32 exec_lo, exec_lo, s8
	s_and_saveexec_b32 s1, s100
; %bb.893:                              ;   in Loop: Header=BB19_3 Depth=1
	ds_store_b32 v9, v2
; %bb.894:                              ;   in Loop: Header=BB19_3 Depth=1
	s_or_b32 exec_lo, exec_lo, s1
	s_wait_dscnt 0x0
	s_barrier_signal -1
	s_barrier_wait -1
	s_and_saveexec_b32 s1, s101
	s_cbranch_execz .LBB19_896
; %bb.895:                              ;   in Loop: Header=BB19_3 Depth=1
	ds_load_b32 v28, v3 offset:13004
	ds_load_b32 v29, v9
	s_wait_dscnt 0x0
	v_fmac_f32_e32 v2, v28, v29
.LBB19_896:                             ;   in Loop: Header=BB19_3 Depth=1
	s_or_b32 exec_lo, exec_lo, s1
	s_barrier_signal -1
	s_barrier_wait -1
	s_and_saveexec_b32 s1, s101
; %bb.897:                              ;   in Loop: Header=BB19_3 Depth=1
	ds_store_b32 v9, v2
; %bb.898:                              ;   in Loop: Header=BB19_3 Depth=1
	s_or_b32 exec_lo, exec_lo, s1
	s_wait_dscnt 0x0
	s_barrier_signal -1
	s_barrier_wait -1
	s_barrier_signal -1
	s_barrier_wait -1
	s_and_saveexec_b32 s1, s2
; %bb.899:                              ;   in Loop: Header=BB19_3 Depth=1
	v_xor_b32_e32 v2, 0x80000000, v2
	ds_store_b32 v34, v2 offset:12488
; %bb.900:                              ;   in Loop: Header=BB19_3 Depth=1
	s_or_b32 exec_lo, exec_lo, s1
	s_wait_dscnt 0x0
	s_barrier_signal -1
	s_barrier_wait -1
	s_barrier_signal -1
	s_barrier_wait -1
	s_and_saveexec_b32 s1, s11
; %bb.901:                              ;   in Loop: Header=BB19_3 Depth=1
	v_add_nc_u32_e64 v2, 0x3000, 0
	ds_store_2addr_b32 v2, v64, v64 offset0:178 offset1:243
; %bb.902:                              ;   in Loop: Header=BB19_3 Depth=1
	s_or_b32 exec_lo, exec_lo, s1
	v_mov_b32_e32 v2, 0
	s_wait_dscnt 0x0
	s_barrier_signal -1
	s_barrier_wait -1
	s_and_saveexec_b32 s8, s3
	s_cbranch_execz .LBB19_908
; %bb.903:                              ;   in Loop: Header=BB19_3 Depth=1
	ds_load_b32 v2, v40 offset:12496
	ds_load_b32 v28, v36 offset:12480
	s_wait_dscnt 0x0
	v_fma_f32 v2, v2, v28, 0
	s_and_saveexec_b32 s1, s13
	s_cbranch_execnz .LBB19_1153
; %bb.904:                              ;   in Loop: Header=BB19_3 Depth=1
	s_or_b32 exec_lo, exec_lo, s1
	s_and_saveexec_b32 s1, s14
	s_cbranch_execnz .LBB19_1154
.LBB19_905:                             ;   in Loop: Header=BB19_3 Depth=1
	s_or_b32 exec_lo, exec_lo, s1
	s_and_saveexec_b32 s1, s2
	s_cbranch_execz .LBB19_907
.LBB19_906:                             ;   in Loop: Header=BB19_3 Depth=1
	ds_load_b32 v28, v38 offset:13264
	ds_load_b32 v29, v3 offset:12492
	s_wait_dscnt 0x0
	v_fmac_f32_e32 v2, v28, v29
.LBB19_907:                             ;   in Loop: Header=BB19_3 Depth=1
	s_or_b32 exec_lo, exec_lo, s1
	s_delay_alu instid0(VALU_DEP_1)
	v_xor_b32_e32 v2, 0x80000000, v2
.LBB19_908:                             ;   in Loop: Header=BB19_3 Depth=1
	s_or_b32 exec_lo, exec_lo, s8
	s_and_saveexec_b32 s1, s102
; %bb.909:                              ;   in Loop: Header=BB19_3 Depth=1
	ds_store_b32 v39, v2
; %bb.910:                              ;   in Loop: Header=BB19_3 Depth=1
	s_or_b32 exec_lo, exec_lo, s1
	s_wait_dscnt 0x0
	s_barrier_signal -1
	s_barrier_wait -1
	s_and_saveexec_b32 s1, s103
	s_cbranch_execz .LBB19_912
; %bb.911:                              ;   in Loop: Header=BB19_3 Depth=1
	ds_load_b32 v28, v37 offset:13520
	ds_load_b32 v29, v39
	s_wait_dscnt 0x0
	v_fmac_f32_e32 v2, v28, v29
.LBB19_912:                             ;   in Loop: Header=BB19_3 Depth=1
	s_or_b32 exec_lo, exec_lo, s1
	s_barrier_signal -1
	s_barrier_wait -1
	s_and_saveexec_b32 s1, s104
; %bb.913:                              ;   in Loop: Header=BB19_3 Depth=1
	ds_store_b32 v39, v2
; %bb.914:                              ;   in Loop: Header=BB19_3 Depth=1
	s_or_b32 exec_lo, exec_lo, s1
	s_wait_dscnt 0x0
	s_barrier_signal -1
	s_barrier_wait -1
	s_and_saveexec_b32 s1, vcc_hi
	s_cbranch_execz .LBB19_916
; %bb.915:                              ;   in Loop: Header=BB19_3 Depth=1
	ds_load_b32 v28, v37 offset:13776
	ds_load_b32 v29, v39
	s_wait_dscnt 0x0
	v_fmac_f32_e32 v2, v28, v29
.LBB19_916:                             ;   in Loop: Header=BB19_3 Depth=1
	s_or_b32 exec_lo, exec_lo, s1
	s_barrier_signal -1
	s_barrier_wait -1
	s_and_saveexec_b32 s1, s31
; %bb.917:                              ;   in Loop: Header=BB19_3 Depth=1
	ds_store_b32 v39, v2
; %bb.918:                              ;   in Loop: Header=BB19_3 Depth=1
	s_or_b32 exec_lo, exec_lo, s1
	s_wait_dscnt 0x0
	s_barrier_signal -1
	s_barrier_wait -1
	s_and_saveexec_b32 s1, s33
	s_cbranch_execz .LBB19_920
; %bb.919:                              ;   in Loop: Header=BB19_3 Depth=1
	ds_load_b32 v28, v3 offset:14044
	ds_load_b32 v29, v39
	s_wait_dscnt 0x0
	v_fmac_f32_e32 v2, v28, v29
.LBB19_920:                             ;   in Loop: Header=BB19_3 Depth=1
	s_or_b32 exec_lo, exec_lo, s1
	s_barrier_signal -1
	s_barrier_wait -1
	s_and_saveexec_b32 s1, s33
; %bb.921:                              ;   in Loop: Header=BB19_3 Depth=1
	ds_store_b32 v39, v2
; %bb.922:                              ;   in Loop: Header=BB19_3 Depth=1
	s_or_b32 exec_lo, exec_lo, s1
	s_wait_dscnt 0x0
	s_barrier_signal -1
	s_barrier_wait -1
	s_barrier_signal -1
	s_barrier_wait -1
	s_and_saveexec_b32 s1, s3
; %bb.923:                              ;   in Loop: Header=BB19_3 Depth=1
	v_xor_b32_e32 v2, 0x80000000, v2
	ds_store_b32 v40, v2 offset:12496
; %bb.924:                              ;   in Loop: Header=BB19_3 Depth=1
	s_or_b32 exec_lo, exec_lo, s1
	s_wait_dscnt 0x0
	s_barrier_signal -1
	s_barrier_wait -1
	s_barrier_signal -1
	s_barrier_wait -1
	s_and_saveexec_b32 s1, s11
; %bb.925:                              ;   in Loop: Header=BB19_3 Depth=1
	v_add_nc_u32_e64 v2, 0x3400, 0
	ds_store_2addr_b32 v2, v64, v64 offset0:52 offset1:117
; %bb.926:                              ;   in Loop: Header=BB19_3 Depth=1
	s_or_b32 exec_lo, exec_lo, s1
	v_mov_b32_e32 v2, 0
	s_wait_dscnt 0x0
	s_barrier_signal -1
	s_barrier_wait -1
	s_and_saveexec_b32 s8, s2
	s_cbranch_execz .LBB19_930
; %bb.927:                              ;   in Loop: Header=BB19_3 Depth=1
	ds_load_b32 v2, v34 offset:13528
	ds_load_b32 v28, v35 offset:13520
	s_wait_dscnt 0x0
	v_fma_f32 v2, v2, v28, 0
	s_and_saveexec_b32 s1, s12
	s_cbranch_execz .LBB19_929
; %bb.928:                              ;   in Loop: Header=BB19_3 Depth=1
	ds_load_b32 v28, v38 offset:13784
	ds_load_b32 v29, v3 offset:13524
	s_wait_dscnt 0x0
	v_fmac_f32_e32 v2, v28, v29
.LBB19_929:                             ;   in Loop: Header=BB19_3 Depth=1
	s_or_b32 exec_lo, exec_lo, s1
	s_delay_alu instid0(VALU_DEP_1)
	v_xor_b32_e32 v2, 0x80000000, v2
.LBB19_930:                             ;   in Loop: Header=BB19_3 Depth=1
	s_or_b32 exec_lo, exec_lo, s8
	s_and_saveexec_b32 s1, s100
; %bb.931:                              ;   in Loop: Header=BB19_3 Depth=1
	ds_store_b32 v9, v2
; %bb.932:                              ;   in Loop: Header=BB19_3 Depth=1
	s_or_b32 exec_lo, exec_lo, s1
	s_wait_dscnt 0x0
	s_barrier_signal -1
	s_barrier_wait -1
	s_and_saveexec_b32 s1, s101
	s_cbranch_execz .LBB19_934
; %bb.933:                              ;   in Loop: Header=BB19_3 Depth=1
	ds_load_b32 v28, v3 offset:14044
	ds_load_b32 v29, v9
	s_wait_dscnt 0x0
	v_fmac_f32_e32 v2, v28, v29
.LBB19_934:                             ;   in Loop: Header=BB19_3 Depth=1
	s_or_b32 exec_lo, exec_lo, s1
	s_barrier_signal -1
	s_barrier_wait -1
	s_and_saveexec_b32 s1, s101
; %bb.935:                              ;   in Loop: Header=BB19_3 Depth=1
	ds_store_b32 v9, v2
; %bb.936:                              ;   in Loop: Header=BB19_3 Depth=1
	s_or_b32 exec_lo, exec_lo, s1
	s_wait_dscnt 0x0
	s_barrier_signal -1
	s_barrier_wait -1
	s_barrier_signal -1
	s_barrier_wait -1
	s_and_saveexec_b32 s1, s2
; %bb.937:                              ;   in Loop: Header=BB19_3 Depth=1
	v_xor_b32_e32 v2, 0x80000000, v2
	ds_store_b32 v34, v2 offset:13528
; %bb.938:                              ;   in Loop: Header=BB19_3 Depth=1
	s_or_b32 exec_lo, exec_lo, s1
	s_wait_dscnt 0x0
	s_barrier_signal -1
	s_barrier_wait -1
	s_barrier_signal -1
	s_barrier_wait -1
	s_and_saveexec_b32 s1, s11
; %bb.939:                              ;   in Loop: Header=BB19_3 Depth=1
	v_add_nc_u32_e64 v2, 0x3400, 0
	ds_store_2addr_b32 v2, v64, v64 offset0:182 offset1:247
; %bb.940:                              ;   in Loop: Header=BB19_3 Depth=1
	s_or_b32 exec_lo, exec_lo, s1
	v_mov_b32_e32 v2, 0
	s_wait_dscnt 0x0
	s_barrier_signal -1
	s_barrier_wait -1
	s_and_saveexec_b32 s8, s4
	s_cbranch_execz .LBB19_950
; %bb.941:                              ;   in Loop: Header=BB19_3 Depth=1
	ds_load_b32 v2, v46 offset:12512
	ds_load_b32 v28, v41 offset:12480
	s_wait_dscnt 0x0
	v_fma_f32 v2, v2, v28, 0
	s_and_saveexec_b32 s1, s15
	s_cbranch_execnz .LBB19_1155
; %bb.942:                              ;   in Loop: Header=BB19_3 Depth=1
	s_or_b32 exec_lo, exec_lo, s1
	s_and_saveexec_b32 s1, s16
	s_cbranch_execnz .LBB19_1156
.LBB19_943:                             ;   in Loop: Header=BB19_3 Depth=1
	s_or_b32 exec_lo, exec_lo, s1
	s_and_saveexec_b32 s1, s17
	s_cbranch_execnz .LBB19_1157
.LBB19_944:                             ;   in Loop: Header=BB19_3 Depth=1
	s_or_b32 exec_lo, exec_lo, s1
	s_and_saveexec_b32 s1, s18
	s_cbranch_execnz .LBB19_1158
.LBB19_945:                             ;   in Loop: Header=BB19_3 Depth=1
	s_or_b32 exec_lo, exec_lo, s1
	s_and_saveexec_b32 s1, s19
	s_cbranch_execnz .LBB19_1159
.LBB19_946:                             ;   in Loop: Header=BB19_3 Depth=1
	s_or_b32 exec_lo, exec_lo, s1
	s_and_saveexec_b32 s1, s3
	s_cbranch_execnz .LBB19_1160
.LBB19_947:                             ;   in Loop: Header=BB19_3 Depth=1
	s_or_b32 exec_lo, exec_lo, s1
	s_and_saveexec_b32 s1, s14
	s_cbranch_execz .LBB19_949
.LBB19_948:                             ;   in Loop: Header=BB19_3 Depth=1
	ds_load_b32 v28, v38 offset:14304
	ds_load_b32 v29, v3 offset:12508
	s_wait_dscnt 0x0
	v_fmac_f32_e32 v2, v28, v29
.LBB19_949:                             ;   in Loop: Header=BB19_3 Depth=1
	s_or_b32 exec_lo, exec_lo, s1
	s_delay_alu instid0(VALU_DEP_1)
	v_xor_b32_e32 v2, 0x80000000, v2
.LBB19_950:                             ;   in Loop: Header=BB19_3 Depth=1
	s_or_b32 exec_lo, exec_lo, s8
	s_and_saveexec_b32 s1, s34
; %bb.951:                              ;   in Loop: Header=BB19_3 Depth=1
	ds_store_b32 v43, v2
; %bb.952:                              ;   in Loop: Header=BB19_3 Depth=1
	s_or_b32 exec_lo, exec_lo, s1
	s_wait_dscnt 0x0
	s_barrier_signal -1
	s_barrier_wait -1
	s_and_saveexec_b32 s1, s35
	s_cbranch_execz .LBB19_954
; %bb.953:                              ;   in Loop: Header=BB19_3 Depth=1
	ds_load_b32 v28, v44 offset:14560
	ds_load_b32 v29, v43
	s_wait_dscnt 0x0
	v_fmac_f32_e32 v2, v28, v29
.LBB19_954:                             ;   in Loop: Header=BB19_3 Depth=1
	s_or_b32 exec_lo, exec_lo, s1
	s_barrier_signal -1
	s_barrier_wait -1
	s_and_saveexec_b32 s1, s36
; %bb.955:                              ;   in Loop: Header=BB19_3 Depth=1
	ds_store_b32 v43, v2
; %bb.956:                              ;   in Loop: Header=BB19_3 Depth=1
	s_or_b32 exec_lo, exec_lo, s1
	s_wait_dscnt 0x0
	s_barrier_signal -1
	s_barrier_wait -1
	s_and_saveexec_b32 s1, s37
	s_cbranch_execz .LBB19_958
; %bb.957:                              ;   in Loop: Header=BB19_3 Depth=1
	ds_load_b32 v28, v44 offset:14816
	ds_load_b32 v29, v43
	s_wait_dscnt 0x0
	v_fmac_f32_e32 v2, v28, v29
.LBB19_958:                             ;   in Loop: Header=BB19_3 Depth=1
	s_or_b32 exec_lo, exec_lo, s1
	s_barrier_signal -1
	s_barrier_wait -1
	;; [unrolled: 19-line block ×7, first 2 shown]
	s_and_saveexec_b32 s1, s47
; %bb.979:                              ;   in Loop: Header=BB19_3 Depth=1
	ds_store_b32 v43, v2
; %bb.980:                              ;   in Loop: Header=BB19_3 Depth=1
	s_or_b32 exec_lo, exec_lo, s1
	s_wait_dscnt 0x0
	s_barrier_signal -1
	s_barrier_wait -1
	s_barrier_signal -1
	s_barrier_wait -1
	s_and_saveexec_b32 s1, s4
; %bb.981:                              ;   in Loop: Header=BB19_3 Depth=1
	v_xor_b32_e32 v2, 0x80000000, v2
	ds_store_b32 v46, v2 offset:12512
; %bb.982:                              ;   in Loop: Header=BB19_3 Depth=1
	s_or_b32 exec_lo, exec_lo, s1
	s_wait_dscnt 0x0
	s_barrier_signal -1
	s_barrier_wait -1
	s_barrier_signal -1
	s_barrier_wait -1
	s_and_saveexec_b32 s1, s11
; %bb.983:                              ;   in Loop: Header=BB19_3 Depth=1
	v_add_nc_u32_e64 v2, 0x3800, 0
	ds_store_2addr_b32 v2, v64, v64 offset0:56 offset1:121
; %bb.984:                              ;   in Loop: Header=BB19_3 Depth=1
	s_or_b32 exec_lo, exec_lo, s1
	v_mov_b32_e32 v2, 0
	s_wait_dscnt 0x0
	s_barrier_signal -1
	s_barrier_wait -1
	s_and_saveexec_b32 s8, s2
	s_cbranch_execz .LBB19_988
; %bb.985:                              ;   in Loop: Header=BB19_3 Depth=1
	ds_load_b32 v2, v34 offset:14568
	ds_load_b32 v28, v35 offset:14560
	s_wait_dscnt 0x0
	v_fma_f32 v2, v2, v28, 0
	s_and_saveexec_b32 s1, s12
	s_cbranch_execz .LBB19_987
; %bb.986:                              ;   in Loop: Header=BB19_3 Depth=1
	ds_load_b32 v28, v38 offset:14824
	ds_load_b32 v29, v3 offset:14564
	s_wait_dscnt 0x0
	v_fmac_f32_e32 v2, v28, v29
.LBB19_987:                             ;   in Loop: Header=BB19_3 Depth=1
	s_or_b32 exec_lo, exec_lo, s1
	s_delay_alu instid0(VALU_DEP_1)
	v_xor_b32_e32 v2, 0x80000000, v2
.LBB19_988:                             ;   in Loop: Header=BB19_3 Depth=1
	s_or_b32 exec_lo, exec_lo, s8
	s_and_saveexec_b32 s1, s100
; %bb.989:                              ;   in Loop: Header=BB19_3 Depth=1
	ds_store_b32 v9, v2
; %bb.990:                              ;   in Loop: Header=BB19_3 Depth=1
	s_or_b32 exec_lo, exec_lo, s1
	s_wait_dscnt 0x0
	s_barrier_signal -1
	s_barrier_wait -1
	s_and_saveexec_b32 s1, s101
	s_cbranch_execz .LBB19_992
; %bb.991:                              ;   in Loop: Header=BB19_3 Depth=1
	ds_load_b32 v28, v3 offset:15084
	ds_load_b32 v29, v9
	s_wait_dscnt 0x0
	v_fmac_f32_e32 v2, v28, v29
.LBB19_992:                             ;   in Loop: Header=BB19_3 Depth=1
	s_or_b32 exec_lo, exec_lo, s1
	s_barrier_signal -1
	s_barrier_wait -1
	s_and_saveexec_b32 s1, s101
; %bb.993:                              ;   in Loop: Header=BB19_3 Depth=1
	ds_store_b32 v9, v2
; %bb.994:                              ;   in Loop: Header=BB19_3 Depth=1
	s_or_b32 exec_lo, exec_lo, s1
	s_wait_dscnt 0x0
	s_barrier_signal -1
	s_barrier_wait -1
	s_barrier_signal -1
	s_barrier_wait -1
	s_and_saveexec_b32 s1, s2
; %bb.995:                              ;   in Loop: Header=BB19_3 Depth=1
	v_xor_b32_e32 v2, 0x80000000, v2
	ds_store_b32 v34, v2 offset:14568
; %bb.996:                              ;   in Loop: Header=BB19_3 Depth=1
	s_or_b32 exec_lo, exec_lo, s1
	s_wait_dscnt 0x0
	s_barrier_signal -1
	s_barrier_wait -1
	s_barrier_signal -1
	s_barrier_wait -1
	s_and_saveexec_b32 s1, s11
; %bb.997:                              ;   in Loop: Header=BB19_3 Depth=1
	v_add_nc_u32_e64 v2, 0x3800, 0
	ds_store_2addr_b32 v2, v64, v64 offset0:186 offset1:251
; %bb.998:                              ;   in Loop: Header=BB19_3 Depth=1
	s_or_b32 exec_lo, exec_lo, s1
	v_mov_b32_e32 v2, 0
	s_wait_dscnt 0x0
	s_barrier_signal -1
	s_barrier_wait -1
	s_and_saveexec_b32 s8, s3
	s_cbranch_execz .LBB19_1004
; %bb.999:                              ;   in Loop: Header=BB19_3 Depth=1
	ds_load_b32 v2, v40 offset:14576
	ds_load_b32 v28, v36 offset:14560
	s_wait_dscnt 0x0
	v_fma_f32 v2, v2, v28, 0
	s_and_saveexec_b32 s1, s13
	s_cbranch_execnz .LBB19_1161
; %bb.1000:                             ;   in Loop: Header=BB19_3 Depth=1
	s_or_b32 exec_lo, exec_lo, s1
	s_and_saveexec_b32 s1, s14
	s_cbranch_execnz .LBB19_1162
.LBB19_1001:                            ;   in Loop: Header=BB19_3 Depth=1
	s_or_b32 exec_lo, exec_lo, s1
	s_and_saveexec_b32 s1, s2
	s_cbranch_execz .LBB19_1003
.LBB19_1002:                            ;   in Loop: Header=BB19_3 Depth=1
	ds_load_b32 v28, v38 offset:15344
	ds_load_b32 v29, v3 offset:14572
	s_wait_dscnt 0x0
	v_fmac_f32_e32 v2, v28, v29
.LBB19_1003:                            ;   in Loop: Header=BB19_3 Depth=1
	s_or_b32 exec_lo, exec_lo, s1
	s_delay_alu instid0(VALU_DEP_1)
	v_xor_b32_e32 v2, 0x80000000, v2
.LBB19_1004:                            ;   in Loop: Header=BB19_3 Depth=1
	s_or_b32 exec_lo, exec_lo, s8
	s_and_saveexec_b32 s1, s102
; %bb.1005:                             ;   in Loop: Header=BB19_3 Depth=1
	ds_store_b32 v39, v2
; %bb.1006:                             ;   in Loop: Header=BB19_3 Depth=1
	s_or_b32 exec_lo, exec_lo, s1
	s_wait_dscnt 0x0
	s_barrier_signal -1
	s_barrier_wait -1
	s_and_saveexec_b32 s1, s103
	s_cbranch_execz .LBB19_1008
; %bb.1007:                             ;   in Loop: Header=BB19_3 Depth=1
	ds_load_b32 v28, v37 offset:15600
	ds_load_b32 v29, v39
	s_wait_dscnt 0x0
	v_fmac_f32_e32 v2, v28, v29
.LBB19_1008:                            ;   in Loop: Header=BB19_3 Depth=1
	s_or_b32 exec_lo, exec_lo, s1
	s_barrier_signal -1
	s_barrier_wait -1
	s_and_saveexec_b32 s1, s104
; %bb.1009:                             ;   in Loop: Header=BB19_3 Depth=1
	ds_store_b32 v39, v2
; %bb.1010:                             ;   in Loop: Header=BB19_3 Depth=1
	s_or_b32 exec_lo, exec_lo, s1
	s_wait_dscnt 0x0
	s_barrier_signal -1
	s_barrier_wait -1
	s_and_saveexec_b32 s1, vcc_hi
	s_cbranch_execz .LBB19_1012
; %bb.1011:                             ;   in Loop: Header=BB19_3 Depth=1
	ds_load_b32 v28, v37 offset:15856
	ds_load_b32 v29, v39
	s_wait_dscnt 0x0
	v_fmac_f32_e32 v2, v28, v29
.LBB19_1012:                            ;   in Loop: Header=BB19_3 Depth=1
	s_or_b32 exec_lo, exec_lo, s1
	s_barrier_signal -1
	s_barrier_wait -1
	s_and_saveexec_b32 s1, s31
; %bb.1013:                             ;   in Loop: Header=BB19_3 Depth=1
	ds_store_b32 v39, v2
; %bb.1014:                             ;   in Loop: Header=BB19_3 Depth=1
	s_or_b32 exec_lo, exec_lo, s1
	s_wait_dscnt 0x0
	s_barrier_signal -1
	s_barrier_wait -1
	s_and_saveexec_b32 s1, s33
	s_cbranch_execz .LBB19_1016
; %bb.1015:                             ;   in Loop: Header=BB19_3 Depth=1
	ds_load_b32 v28, v3 offset:16124
	ds_load_b32 v29, v39
	s_wait_dscnt 0x0
	v_fmac_f32_e32 v2, v28, v29
.LBB19_1016:                            ;   in Loop: Header=BB19_3 Depth=1
	s_or_b32 exec_lo, exec_lo, s1
	s_barrier_signal -1
	s_barrier_wait -1
	s_and_saveexec_b32 s1, s33
; %bb.1017:                             ;   in Loop: Header=BB19_3 Depth=1
	ds_store_b32 v39, v2
; %bb.1018:                             ;   in Loop: Header=BB19_3 Depth=1
	s_or_b32 exec_lo, exec_lo, s1
	s_wait_dscnt 0x0
	s_barrier_signal -1
	s_barrier_wait -1
	s_barrier_signal -1
	s_barrier_wait -1
	s_and_saveexec_b32 s1, s3
; %bb.1019:                             ;   in Loop: Header=BB19_3 Depth=1
	v_xor_b32_e32 v2, 0x80000000, v2
	ds_store_b32 v40, v2 offset:14576
; %bb.1020:                             ;   in Loop: Header=BB19_3 Depth=1
	s_or_b32 exec_lo, exec_lo, s1
	s_wait_dscnt 0x0
	s_barrier_signal -1
	s_barrier_wait -1
	s_barrier_signal -1
	s_barrier_wait -1
	s_and_saveexec_b32 s1, s11
; %bb.1021:                             ;   in Loop: Header=BB19_3 Depth=1
	v_add_nc_u32_e64 v2, 0x3c00, 0
	ds_store_2addr_b32 v2, v64, v64 offset0:60 offset1:125
; %bb.1022:                             ;   in Loop: Header=BB19_3 Depth=1
	s_or_b32 exec_lo, exec_lo, s1
	v_mov_b32_e32 v2, 0
	s_wait_dscnt 0x0
	s_barrier_signal -1
	s_barrier_wait -1
	s_and_saveexec_b32 s8, s2
	s_cbranch_execz .LBB19_1026
; %bb.1023:                             ;   in Loop: Header=BB19_3 Depth=1
	ds_load_b32 v2, v34 offset:15608
	ds_load_b32 v28, v35 offset:15600
	s_wait_dscnt 0x0
	v_fma_f32 v2, v2, v28, 0
	s_and_saveexec_b32 s1, s12
	s_cbranch_execz .LBB19_1025
; %bb.1024:                             ;   in Loop: Header=BB19_3 Depth=1
	ds_load_b32 v28, v38 offset:15864
	ds_load_b32 v29, v3 offset:15604
	s_wait_dscnt 0x0
	v_fmac_f32_e32 v2, v28, v29
.LBB19_1025:                            ;   in Loop: Header=BB19_3 Depth=1
	s_or_b32 exec_lo, exec_lo, s1
	s_delay_alu instid0(VALU_DEP_1)
	v_xor_b32_e32 v2, 0x80000000, v2
.LBB19_1026:                            ;   in Loop: Header=BB19_3 Depth=1
	s_or_b32 exec_lo, exec_lo, s8
	s_and_saveexec_b32 s1, s100
; %bb.1027:                             ;   in Loop: Header=BB19_3 Depth=1
	ds_store_b32 v9, v2
; %bb.1028:                             ;   in Loop: Header=BB19_3 Depth=1
	s_or_b32 exec_lo, exec_lo, s1
	s_wait_dscnt 0x0
	s_barrier_signal -1
	s_barrier_wait -1
	s_and_saveexec_b32 s1, s101
	s_cbranch_execz .LBB19_1030
; %bb.1029:                             ;   in Loop: Header=BB19_3 Depth=1
	ds_load_b32 v28, v3 offset:16124
	ds_load_b32 v29, v9
	s_wait_dscnt 0x0
	v_fmac_f32_e32 v2, v28, v29
.LBB19_1030:                            ;   in Loop: Header=BB19_3 Depth=1
	s_or_b32 exec_lo, exec_lo, s1
	s_barrier_signal -1
	s_barrier_wait -1
	s_and_saveexec_b32 s1, s101
; %bb.1031:                             ;   in Loop: Header=BB19_3 Depth=1
	ds_store_b32 v9, v2
; %bb.1032:                             ;   in Loop: Header=BB19_3 Depth=1
	s_or_b32 exec_lo, exec_lo, s1
	s_wait_dscnt 0x0
	s_barrier_signal -1
	s_barrier_wait -1
	s_barrier_signal -1
	s_barrier_wait -1
	s_and_saveexec_b32 s1, s2
; %bb.1033:                             ;   in Loop: Header=BB19_3 Depth=1
	v_xor_b32_e32 v2, 0x80000000, v2
	ds_store_b32 v34, v2 offset:15608
; %bb.1034:                             ;   in Loop: Header=BB19_3 Depth=1
	s_or_b32 exec_lo, exec_lo, s1
	s_wait_dscnt 0x0
	s_barrier_signal -1
	s_barrier_wait -1
	s_barrier_signal -1
	s_barrier_wait -1
	s_and_saveexec_b32 s1, s11
; %bb.1035:                             ;   in Loop: Header=BB19_3 Depth=1
	v_add_nc_u32_e64 v2, 0x3c00, 0
	ds_store_2addr_b32 v2, v64, v64 offset0:190 offset1:255
; %bb.1036:                             ;   in Loop: Header=BB19_3 Depth=1
	s_or_b32 exec_lo, exec_lo, s1
.LBB19_1037:                            ;   in Loop: Header=BB19_3 Depth=1
	s_mul_u64 s[64:65], s[78:79], s[80:81]
	v_mov_b32_e32 v32, 0
	s_lshl_b64 s[64:65], s[64:65], 2
	s_wait_dscnt 0x0
	s_add_nc_u64 s[92:93], s[72:73], s[64:65]
	s_barrier_signal -1
	s_barrier_wait -1
	s_and_saveexec_b32 s1, s10
	s_cbranch_execz .LBB19_1039
; %bb.1038:                             ;   in Loop: Header=BB19_3 Depth=1
	v_lshl_add_u64 v[28:29], v[0:1], 2, s[92:93]
	v_readlane_b32 s8, v75, 4
	global_load_b32 v2, v[28:29], off
	s_wait_loadcnt 0x0
	v_mul_f32_e64 v32, v2, -s8
.LBB19_1039:                            ;   in Loop: Header=BB19_3 Depth=1
	s_or_b32 exec_lo, exec_lo, s1
	s_delay_alu instid0(SALU_CYCLE_1)
	s_and_not1_b32 vcc_lo, exec_lo, s51
	s_cbranch_vccnz .LBB19_1065
; %bb.1040:                             ;   in Loop: Header=BB19_3 Depth=1
	v_lshl_add_u64 v[28:29], v[10:11], 2, s[90:91]
	v_mov_b32_e32 v69, -1
	s_lshl_b64 s[64:65], s[80:81], 2
	s_mov_b32 s8, 0
	s_add_nc_u64 s[90:91], s[82:83], s[64:65]
	s_branch .LBB19_1043
.LBB19_1041:                            ;   in Loop: Header=BB19_1043 Depth=2
	s_wait_xcnt 0x0
	ds_load_b32 v30, v57 offset:192
	s_wait_loadcnt_dscnt 0x0
	v_fmac_f32_e32 v32, v2, v30
.LBB19_1042:                            ;   in Loop: Header=BB19_1043 Depth=2
	s_or_b32 exec_lo, exec_lo, s64
	s_add_co_i32 s8, s8, 1
	s_delay_alu instid0(SALU_CYCLE_1)
	s_cmp_eq_u32 s8, s96
	s_cbranch_scc1 .LBB19_1065
.LBB19_1043:                            ;   Parent Loop BB19_3 Depth=1
                                        ; =>  This Loop Header: Depth=2
                                        ;       Child Loop BB19_1045 Depth 3
	v_cmp_gt_i32_e32 vcc_lo, s8, v69
	s_and_b32 s1, s55, vcc_lo
	s_delay_alu instid0(SALU_CYCLE_1)
	s_and_saveexec_b32 s64, s1
	s_cbranch_execz .LBB19_1046
; %bb.1044:                             ;   in Loop: Header=BB19_1043 Depth=2
	global_load_b32 v69, v3, s[90:91]
	s_wait_loadcnt 0x0
	v_cmp_le_i32_e32 vcc_lo, s8, v69
	s_cbranch_vccnz .LBB19_1046
.LBB19_1045:                            ;   Parent Loop BB19_3 Depth=1
                                        ;     Parent Loop BB19_1043 Depth=2
                                        ; =>    This Inner Loop Header: Depth=3
	global_wb scope:SCOPE_DEV
	s_wait_storecnt 0x0
	global_inv scope:SCOPE_DEV
	global_load_b32 v69, v3, s[90:91]
	s_wait_loadcnt 0x0
	v_cmp_gt_i32_e32 vcc_lo, s8, v69
	s_cbranch_vccnz .LBB19_1045
.LBB19_1046:                            ;   in Loop: Header=BB19_1043 Depth=2
	s_or_b32 exec_lo, exec_lo, s64
	s_lshl_b32 s65, s8, 6
	global_wb scope:SCOPE_DEV
	s_wait_storecnt 0x0
	global_inv scope:SCOPE_DEV
	s_wait_loadcnt 0x0
	s_barrier_signal -1
	s_barrier_wait -1
	s_and_saveexec_b32 s64, s56
	s_cbranch_execz .LBB19_1050
; %bb.1047:                             ;   in Loop: Header=BB19_1043 Depth=2
	v_dual_mov_b32 v30, 0 :: v_dual_bitop2_b32 v2, s65, v8 bitop3:0x54
	s_mov_b32 s1, exec_lo
	s_delay_alu instid0(VALU_DEP_1)
	v_cmpx_gt_i32_e64 s95, v2
	s_cbranch_execz .LBB19_1049
; %bb.1048:                             ;   in Loop: Header=BB19_1043 Depth=2
	v_mul_u64_e32 v[30:31], s[76:77], v[2:3]
	s_delay_alu instid0(VALU_DEP_1)
	v_lshl_add_u64 v[30:31], v[30:31], 2, s[92:93]
	global_load_b32 v30, v[30:31], off
.LBB19_1049:                            ;   in Loop: Header=BB19_1043 Depth=2
	s_wait_xcnt 0x0
	s_or_b32 exec_lo, exec_lo, s1
	s_wait_loadcnt 0x0
	ds_store_b32 v58, v30
.LBB19_1050:                            ;   in Loop: Header=BB19_1043 Depth=2
	s_or_b32 exec_lo, exec_lo, s64
	v_add_nc_u32_e32 v2, s65, v4
	v_cmp_ne_u32_e32 vcc_lo, s8, v7
	s_wait_dscnt 0x0
	s_barrier_signal -1
	s_barrier_wait -1
	v_mul_u64_e32 v[30:31], s[68:69], v[2:3]
	v_cmp_gt_i32_e64 s65, s95, v2
	v_cndmask_b32_e64 v70, 0, 1, vcc_lo
	s_and_b32 s1, s0, s65
	v_lshl_add_u64 v[30:31], v[30:31], 2, v[28:29]
	s_and_saveexec_b32 s64, s1
	s_cbranch_execz .LBB19_1054
; %bb.1051:                             ;   in Loop: Header=BB19_1043 Depth=2
	v_mov_b32_e32 v71, v65
	s_and_not1_b32 vcc_lo, exec_lo, vcc_lo
	s_cbranch_vccnz .LBB19_1053
; %bb.1052:                             ;   in Loop: Header=BB19_1043 Depth=2
	global_load_b32 v71, v[30:31], off
.LBB19_1053:                            ;   in Loop: Header=BB19_1043 Depth=2
	ds_load_b32 v72, v57
	s_wait_loadcnt_dscnt 0x0
	v_fmac_f32_e32 v32, v71, v72
.LBB19_1054:                            ;   in Loop: Header=BB19_1043 Depth=2
	s_or_b32 exec_lo, exec_lo, s64
	v_add_nc_u32_e32 v71, 16, v2
	s_delay_alu instid0(VALU_DEP_1) | instskip(SKIP_1) | instid1(SALU_CYCLE_1)
	v_cmp_gt_i32_e32 vcc_lo, s95, v71
	s_and_b32 s1, s0, vcc_lo
	s_and_saveexec_b32 s64, s1
	s_cbranch_execz .LBB19_1058
; %bb.1055:                             ;   in Loop: Header=BB19_1043 Depth=2
	v_cmp_ne_u32_e32 vcc_lo, 1, v70
	v_mov_b32_e32 v71, v66
	s_cbranch_vccnz .LBB19_1057
; %bb.1056:                             ;   in Loop: Header=BB19_1043 Depth=2
	v_add_nc_u64_e32 v[72:73], s[84:85], v[30:31]
	global_load_b32 v71, v[72:73], off
.LBB19_1057:                            ;   in Loop: Header=BB19_1043 Depth=2
	s_wait_xcnt 0x0
	ds_load_b32 v72, v57 offset:64
	s_wait_loadcnt_dscnt 0x0
	v_fmac_f32_e32 v32, v71, v72
.LBB19_1058:                            ;   in Loop: Header=BB19_1043 Depth=2
	s_or_b32 exec_lo, exec_lo, s64
	v_add_nc_u32_e32 v71, 32, v2
	s_delay_alu instid0(VALU_DEP_1) | instskip(SKIP_1) | instid1(SALU_CYCLE_1)
	v_cmp_gt_i32_e32 vcc_lo, s95, v71
	s_and_b32 s1, s0, vcc_lo
	s_and_saveexec_b32 s64, s1
	s_cbranch_execz .LBB19_1062
; %bb.1059:                             ;   in Loop: Header=BB19_1043 Depth=2
	v_cmp_ne_u32_e32 vcc_lo, 1, v70
	v_mov_b32_e32 v71, v67
	s_cbranch_vccnz .LBB19_1061
; %bb.1060:                             ;   in Loop: Header=BB19_1043 Depth=2
	v_add_nc_u64_e32 v[72:73], s[86:87], v[30:31]
	global_load_b32 v71, v[72:73], off
.LBB19_1061:                            ;   in Loop: Header=BB19_1043 Depth=2
	s_wait_xcnt 0x0
	ds_load_b32 v72, v57 offset:128
	s_wait_loadcnt_dscnt 0x0
	v_fmac_f32_e32 v32, v71, v72
.LBB19_1062:                            ;   in Loop: Header=BB19_1043 Depth=2
	s_or_b32 exec_lo, exec_lo, s64
	v_add_nc_u32_e32 v2, 48, v2
	s_delay_alu instid0(VALU_DEP_1) | instskip(SKIP_1) | instid1(SALU_CYCLE_1)
	v_cmp_gt_i32_e32 vcc_lo, s95, v2
	s_and_b32 s1, s0, vcc_lo
	s_and_saveexec_b32 s64, s1
	s_cbranch_execz .LBB19_1042
; %bb.1063:                             ;   in Loop: Header=BB19_1043 Depth=2
	v_cmp_ne_u32_e32 vcc_lo, 1, v70
	v_mov_b32_e32 v2, v68
	s_cbranch_vccnz .LBB19_1041
; %bb.1064:                             ;   in Loop: Header=BB19_1043 Depth=2
	v_add_nc_u64_e32 v[30:31], s[88:89], v[30:31]
	global_load_b32 v2, v[30:31], off
	s_branch .LBB19_1041
.LBB19_1065:                            ;   in Loop: Header=BB19_3 Depth=1
	ds_store_b32 v59, v32
	s_wait_dscnt 0x0
	s_barrier_signal -1
	s_barrier_wait -1
	s_and_saveexec_b32 s8, s7
	s_cbranch_execz .LBB19_1067
; %bb.1066:                             ;   in Loop: Header=BB19_3 Depth=1
	ds_load_2addr_stride64_b32 v[28:29], v60 offset0:1 offset1:2
	ds_load_2addr_stride64_b32 v[30:31], v60 offset0:3 offset1:4
	;; [unrolled: 1-line block ×4, first 2 shown]
	v_readlane_b32 s1, v75, 3
	s_wait_dscnt 0x3
	v_add_f32_e32 v2, v32, v28
	s_delay_alu instid0(VALU_DEP_1) | instskip(SKIP_3) | instid1(VALU_DEP_1)
	v_add_f32_e32 v2, v2, v29
	ds_load_2addr_stride64_b32 v[28:29], v60 offset0:9 offset1:10
	s_wait_dscnt 0x3
	v_add_f32_e32 v2, v2, v30
	v_add_f32_e32 v2, v2, v31
	ds_load_2addr_stride64_b32 v[30:31], v60 offset0:11 offset1:12
	s_wait_dscnt 0x3
	v_add_f32_e32 v2, v2, v70
	s_delay_alu instid0(VALU_DEP_1) | instskip(SKIP_4) | instid1(VALU_DEP_1)
	v_add_f32_e32 v2, v2, v71
	ds_load_2addr_stride64_b32 v[70:71], v60 offset0:13 offset1:14
	ds_load_b32 v32, v60 offset:3840
	s_wait_dscnt 0x4
	v_add_f32_e32 v2, v2, v72
	v_add_f32_e32 v2, v2, v73
	s_wait_dscnt 0x3
	s_delay_alu instid0(VALU_DEP_1) | instskip(NEXT) | instid1(VALU_DEP_1)
	v_add_f32_e32 v2, v2, v28
	v_add_f32_e32 v2, v2, v29
	s_wait_dscnt 0x2
	s_delay_alu instid0(VALU_DEP_1) | instskip(NEXT) | instid1(VALU_DEP_1)
	;; [unrolled: 4-line block ×4, first 2 shown]
	v_add_f32_e32 v2, v2, v32
	v_cndmask_b32_e64 v32, -v2, 0, s1
.LBB19_1067:                            ;   in Loop: Header=BB19_3 Depth=1
	s_or_b32 exec_lo, exec_lo, s8
	s_delay_alu instid0(SALU_CYCLE_1)
	s_and_not1_b32 vcc_lo, exec_lo, s99
	s_cbranch_vccnz .LBB19_1080
; %bb.1068:                             ;   in Loop: Header=BB19_3 Depth=1
	s_and_saveexec_b32 s1, s7
; %bb.1069:                             ;   in Loop: Header=BB19_3 Depth=1
	ds_store_b32 v62, v32
; %bb.1070:                             ;   in Loop: Header=BB19_3 Depth=1
	s_or_b32 exec_lo, exec_lo, s1
	v_mov_b32_e32 v2, 0
	s_wait_dscnt 0x0
	s_barrier_signal -1
	s_barrier_wait -1
	s_mov_b32 s1, exec_lo
	v_readlane_b32 s8, v74, 20
	s_and_b32 s8, s1, s8
	s_delay_alu instid0(SALU_CYCLE_1)
	s_mov_b32 exec_lo, s8
	s_cbranch_execz .LBB19_1072
; %bb.1071:                             ;   in Loop: Header=BB19_3 Depth=1
	ds_load_b32 v2, v61
	ds_load_b32 v28, v57
	s_wait_dscnt 0x0
	v_fma_f32 v2, v2, v28, 0
.LBB19_1072:                            ;   in Loop: Header=BB19_3 Depth=1
	s_or_b32 exec_lo, exec_lo, s1
	s_delay_alu instid0(SALU_CYCLE_1) | instskip(SKIP_2) | instid1(SALU_CYCLE_1)
	s_mov_b32 s1, exec_lo
	v_readlane_b32 s8, v74, 21
	s_and_b32 s8, s1, s8
	s_mov_b32 exec_lo, s8
	s_cbranch_execz .LBB19_1074
; %bb.1073:                             ;   in Loop: Header=BB19_3 Depth=1
	ds_load_b32 v28, v61 offset:4096
	ds_load_b32 v29, v57 offset:64
	s_wait_dscnt 0x0
	v_fmac_f32_e32 v2, v28, v29
.LBB19_1074:                            ;   in Loop: Header=BB19_3 Depth=1
	s_or_b32 exec_lo, exec_lo, s1
	s_delay_alu instid0(SALU_CYCLE_1) | instskip(SKIP_2) | instid1(SALU_CYCLE_1)
	s_mov_b32 s1, exec_lo
	v_readlane_b32 s8, v74, 22
	s_and_b32 s8, s1, s8
	s_mov_b32 exec_lo, s8
	s_cbranch_execz .LBB19_1076
; %bb.1075:                             ;   in Loop: Header=BB19_3 Depth=1
	ds_load_b32 v28, v61 offset:8192
	ds_load_b32 v29, v57 offset:128
	s_wait_dscnt 0x0
	v_fmac_f32_e32 v2, v28, v29
.LBB19_1076:                            ;   in Loop: Header=BB19_3 Depth=1
	;; [unrolled: 13-line block ×3, first 2 shown]
	s_or_b32 exec_lo, exec_lo, s1
	s_mov_b32 s8, 0
	s_mov_b32 s65, 0
	ds_store_b32 v59, v2
	s_wait_dscnt 0x0
	s_barrier_signal -1
	s_barrier_wait -1
                                        ; implicit-def: $vgpr28
	s_and_saveexec_b32 s90, s7
	s_cbranch_execz .LBB19_1108
; %bb.1079:                             ;   in Loop: Header=BB19_3 Depth=1
	ds_load_2addr_stride64_b32 v[28:29], v60 offset0:1 offset1:2
	ds_load_2addr_stride64_b32 v[30:31], v60 offset0:3 offset1:4
	ds_load_2addr_stride64_b32 v[70:71], v60 offset0:5 offset1:6
	ds_load_2addr_stride64_b32 v[72:73], v60 offset0:7 offset1:8
	s_mov_b32 s65, exec_lo
	s_wait_dscnt 0x3
	v_add_f32_e32 v2, v2, v28
	s_delay_alu instid0(VALU_DEP_1) | instskip(SKIP_3) | instid1(VALU_DEP_1)
	v_add_f32_e32 v2, v29, v2
	ds_load_2addr_stride64_b32 v[28:29], v60 offset0:9 offset1:10
	s_wait_dscnt 0x3
	v_add_f32_e32 v2, v30, v2
	v_add_f32_e32 v2, v31, v2
	ds_load_2addr_stride64_b32 v[30:31], v60 offset0:11 offset1:12
	s_wait_dscnt 0x3
	v_add_f32_e32 v2, v70, v2
	s_delay_alu instid0(VALU_DEP_1) | instskip(SKIP_4) | instid1(VALU_DEP_1)
	v_add_f32_e32 v2, v71, v2
	ds_load_2addr_stride64_b32 v[70:71], v60 offset0:13 offset1:14
	ds_load_b32 v69, v60 offset:3840
	s_wait_dscnt 0x4
	v_add_f32_e32 v2, v72, v2
	v_add_f32_e32 v2, v73, v2
	s_wait_dscnt 0x3
	s_delay_alu instid0(VALU_DEP_1) | instskip(NEXT) | instid1(VALU_DEP_1)
	v_add_f32_e32 v2, v28, v2
	v_add_f32_e32 v2, v29, v2
	s_wait_dscnt 0x2
	s_delay_alu instid0(VALU_DEP_1) | instskip(NEXT) | instid1(VALU_DEP_1)
	;; [unrolled: 4-line block ×3, first 2 shown]
	v_add_f32_e32 v2, v70, v2
	v_add_f32_e32 v2, v71, v2
	s_wait_dscnt 0x0
	s_delay_alu instid0(VALU_DEP_1) | instskip(SKIP_1) | instid1(SALU_CYCLE_1)
	v_add_f32_e32 v28, v69, v2
	s_or_b32 exec_lo, exec_lo, s90
	s_and_b32 vcc_lo, exec_lo, s8
	s_cbranch_vccnz .LBB19_1081
	s_branch .LBB19_1109
.LBB19_1080:                            ;   in Loop: Header=BB19_3 Depth=1
	s_mov_b32 s65, 0
                                        ; implicit-def: $vgpr28
	s_cbranch_execz .LBB19_1109
.LBB19_1081:                            ;   in Loop: Header=BB19_3 Depth=1
	v_dual_mov_b32 v2, v6 :: v_dual_mov_b32 v28, v38
	s_mov_b32 s8, 0
	s_branch .LBB19_1083
.LBB19_1082:                            ;   in Loop: Header=BB19_1083 Depth=2
	s_or_b32 exec_lo, exec_lo, s1
	v_add_nc_u32_e32 v28, 0x400, v28
	v_add_nc_u32_e32 v2, -4, v2
	s_add_co_i32 s8, s8, 4
	s_delay_alu instid0(SALU_CYCLE_1)
	s_cmp_lg_u32 s8, 64
	s_barrier_signal -1
	s_barrier_wait -1
	s_cbranch_scc0 .LBB19_1099
.LBB19_1083:                            ;   Parent Loop BB19_3 Depth=1
                                        ; =>  This Inner Loop Header: Depth=2
	s_delay_alu instid0(VALU_DEP_1) | instskip(SKIP_1) | instid1(SALU_CYCLE_1)
	v_cmp_eq_u32_e32 vcc_lo, 0, v2
	s_and_b32 s64, s7, vcc_lo
	s_and_saveexec_b32 s1, s64
; %bb.1084:                             ;   in Loop: Header=BB19_1083 Depth=2
	ds_store_b32 v3, v32 offset:20736
; %bb.1085:                             ;   in Loop: Header=BB19_1083 Depth=2
	s_or_b32 exec_lo, exec_lo, s1
	v_cmp_lt_u32_e32 vcc_lo, s8, v6
	s_wait_dscnt 0x0
	s_barrier_signal -1
	s_barrier_wait -1
	s_and_b32 s64, s7, vcc_lo
	s_delay_alu instid0(SALU_CYCLE_1)
	s_and_saveexec_b32 s1, s64
	s_cbranch_execz .LBB19_1087
; %bb.1086:                             ;   in Loop: Header=BB19_1083 Depth=2
	ds_load_b32 v29, v28
	ds_load_b32 v30, v3 offset:20736
	s_wait_dscnt 0x0
	v_fmac_f32_e32 v32, v29, v30
.LBB19_1087:                            ;   in Loop: Header=BB19_1083 Depth=2
	s_or_b32 exec_lo, exec_lo, s1
	s_or_b32 s64, s8, 1
	s_delay_alu instid0(SALU_CYCLE_1) | instskip(SKIP_3) | instid1(SALU_CYCLE_1)
	v_cmp_eq_u32_e32 vcc_lo, s64, v6
	s_barrier_signal -1
	s_barrier_wait -1
	s_and_b32 s90, s7, vcc_lo
	s_and_saveexec_b32 s1, s90
; %bb.1088:                             ;   in Loop: Header=BB19_1083 Depth=2
	ds_store_b32 v3, v32 offset:20736
; %bb.1089:                             ;   in Loop: Header=BB19_1083 Depth=2
	s_or_b32 exec_lo, exec_lo, s1
	v_cmp_lt_u32_e32 vcc_lo, s64, v6
	s_wait_dscnt 0x0
	s_barrier_signal -1
	s_barrier_wait -1
	s_and_b32 s64, s7, vcc_lo
	s_delay_alu instid0(SALU_CYCLE_1)
	s_and_saveexec_b32 s1, s64
	s_cbranch_execz .LBB19_1091
; %bb.1090:                             ;   in Loop: Header=BB19_1083 Depth=2
	ds_load_b32 v29, v28 offset:256
	ds_load_b32 v30, v3 offset:20736
	s_wait_dscnt 0x0
	v_fmac_f32_e32 v32, v29, v30
.LBB19_1091:                            ;   in Loop: Header=BB19_1083 Depth=2
	s_or_b32 exec_lo, exec_lo, s1
	s_or_b32 s64, s8, 2
	s_delay_alu instid0(SALU_CYCLE_1) | instskip(SKIP_3) | instid1(SALU_CYCLE_1)
	v_cmp_eq_u32_e32 vcc_lo, s64, v6
	s_barrier_signal -1
	s_barrier_wait -1
	s_and_b32 s90, s7, vcc_lo
	s_and_saveexec_b32 s1, s90
; %bb.1092:                             ;   in Loop: Header=BB19_1083 Depth=2
	ds_store_b32 v3, v32 offset:20736
; %bb.1093:                             ;   in Loop: Header=BB19_1083 Depth=2
	s_or_b32 exec_lo, exec_lo, s1
	v_cmp_lt_u32_e32 vcc_lo, s64, v6
	s_wait_dscnt 0x0
	s_barrier_signal -1
	s_barrier_wait -1
	s_and_b32 s64, s7, vcc_lo
	s_delay_alu instid0(SALU_CYCLE_1)
	s_and_saveexec_b32 s1, s64
	s_cbranch_execz .LBB19_1095
; %bb.1094:                             ;   in Loop: Header=BB19_1083 Depth=2
	ds_load_b32 v29, v28 offset:512
	ds_load_b32 v30, v3 offset:20736
	s_wait_dscnt 0x0
	v_fmac_f32_e32 v32, v29, v30
.LBB19_1095:                            ;   in Loop: Header=BB19_1083 Depth=2
	s_or_b32 exec_lo, exec_lo, s1
	s_or_b32 s64, s8, 3
	s_delay_alu instid0(SALU_CYCLE_1) | instskip(SKIP_3) | instid1(SALU_CYCLE_1)
	v_cmp_eq_u32_e32 vcc_lo, s64, v6
	s_barrier_signal -1
	s_barrier_wait -1
	s_and_b32 s90, s7, vcc_lo
	s_and_saveexec_b32 s1, s90
; %bb.1096:                             ;   in Loop: Header=BB19_1083 Depth=2
	ds_store_b32 v3, v32 offset:20736
; %bb.1097:                             ;   in Loop: Header=BB19_1083 Depth=2
	s_or_b32 exec_lo, exec_lo, s1
	v_cmp_lt_u32_e32 vcc_lo, s64, v6
	s_wait_dscnt 0x0
	s_barrier_signal -1
	s_barrier_wait -1
	s_and_b32 s64, s7, vcc_lo
	s_delay_alu instid0(SALU_CYCLE_1)
	s_and_saveexec_b32 s1, s64
	s_cbranch_execz .LBB19_1082
; %bb.1098:                             ;   in Loop: Header=BB19_1083 Depth=2
	ds_load_b32 v29, v28 offset:768
	ds_load_b32 v30, v3 offset:20736
	s_wait_dscnt 0x0
	v_fmac_f32_e32 v32, v29, v30
	s_branch .LBB19_1082
.LBB19_1099:                            ;   in Loop: Header=BB19_3 Depth=1
	s_and_b32 vcc_lo, exec_lo, s98
	s_mov_b32 s8, -1
	s_cbranch_vccz .LBB19_1101
; %bb.1100:                             ;   in Loop: Header=BB19_3 Depth=1
	s_and_not1_b32 s1, s65, exec_lo
	s_and_b32 s64, s7, exec_lo
	s_mov_b32 s8, 0
	s_or_b32 s65, s1, s64
.LBB19_1101:                            ;   in Loop: Header=BB19_3 Depth=1
	s_and_not1_b32 vcc_lo, exec_lo, s8
	s_cbranch_vccnz .LBB19_1103
; %bb.1102:                             ;   in Loop: Header=BB19_3 Depth=1
	v_readlane_b32 s8, v75, 5
	s_and_not1_b32 s1, s65, exec_lo
	s_and_b32 s8, s8, exec_lo
	s_delay_alu instid0(SALU_CYCLE_1)
	s_or_b32 s65, s1, s8
.LBB19_1103:                            ;   in Loop: Header=BB19_3 Depth=1
	v_mov_b64_e32 v[28:29], v[16:17]
	s_and_saveexec_b32 s1, s65
	s_cbranch_execnz .LBB19_1110
	s_branch .LBB19_1111
.LBB19_1104:                            ;   in Loop: Header=BB19_3 Depth=1
	v_readlane_b32 s8, v74, 24
	s_and_b32 s8, s8, exec_lo
	s_or_saveexec_b32 s64, s1
	v_mov_b32_e32 v2, 0
	s_xor_b32 exec_lo, exec_lo, s64
	s_cbranch_execz .LBB19_16
.LBB19_1105:                            ;   in Loop: Header=BB19_3 Depth=1
	v_lshl_add_u64 v[30:31], v[18:19], 2, v[28:29]
	s_or_b32 s8, s8, exec_lo
	global_load_b32 v2, v[30:31], off
	s_wait_loadcnt 0x0
	v_xor_b32_e32 v2, 0x80000000, v2
	s_or_b32 exec_lo, exec_lo, s64
	s_and_saveexec_b32 s1, s8
	s_cbranch_execnz .LBB19_17
	s_branch .LBB19_18
.LBB19_1106:                            ;   in Loop: Header=BB19_3 Depth=1
	v_readlane_b32 s8, v74, 24
	s_and_b32 s8, s8, exec_lo
	s_or_saveexec_b32 s64, s1
	v_mov_b32_e32 v2, 0
	s_xor_b32 exec_lo, exec_lo, s64
	s_cbranch_execz .LBB19_40
.LBB19_1107:                            ;   in Loop: Header=BB19_3 Depth=1
	v_lshl_add_u64 v[30:31], v[18:19], 2, v[28:29]
	s_or_b32 s8, s8, exec_lo
	global_load_b32 v2, v[30:31], off
	s_wait_loadcnt 0x0
	v_xor_b32_e32 v2, 0x80000000, v2
	s_or_b32 exec_lo, exec_lo, s64
	s_and_saveexec_b32 s1, s8
	s_cbranch_execnz .LBB19_41
	s_branch .LBB19_42
.LBB19_1108:                            ;   in Loop: Header=BB19_3 Depth=1
	s_or_b32 exec_lo, exec_lo, s90
	s_delay_alu instid0(SALU_CYCLE_1)
	s_and_b32 vcc_lo, exec_lo, s8
	s_cbranch_vccnz .LBB19_1081
.LBB19_1109:                            ;   in Loop: Header=BB19_3 Depth=1
	v_mov_b32_e32 v32, v28
	v_mov_b64_e32 v[28:29], v[14:15]
	s_and_saveexec_b32 s1, s65
	s_cbranch_execz .LBB19_1111
.LBB19_1110:                            ;   in Loop: Header=BB19_3 Depth=1
	s_delay_alu instid0(VALU_DEP_1)
	v_lshl_add_u64 v[28:29], v[28:29], 2, s[92:93]
	global_store_b32 v[28:29], v32, off
.LBB19_1111:                            ;   in Loop: Header=BB19_3 Depth=1
	s_wait_xcnt 0x0
	s_or_b32 exec_lo, exec_lo, s1
	global_wb scope:SCOPE_DEV
	s_wait_storecnt 0x0
	global_inv scope:SCOPE_DEV
	s_wait_loadcnt 0x0
	s_barrier_signal -1
	s_barrier_wait -1
	s_and_saveexec_b32 s1, s55
	s_cbranch_execz .LBB19_2
; %bb.1112:                             ;   in Loop: Header=BB19_3 Depth=1
	s_lshl_b64 s[64:65], s[80:81], 2
	s_delay_alu instid0(SALU_CYCLE_1)
	s_add_nc_u64 s[64:65], s[82:83], s[64:65]
	global_load_b32 v2, v3, s[64:65]
	s_wait_loadcnt 0x0
	v_add_nc_u32_e32 v2, 1, v2
	global_store_b32 v3, v2, s[64:65]
	s_branch .LBB19_2
.LBB19_1113:                            ;   in Loop: Header=BB19_3 Depth=1
	ds_load_b32 v28, v42 offset:272
	ds_load_b32 v29, v36 offset:4
	s_wait_dscnt 0x0
	v_fmac_f32_e32 v2, v28, v29
	s_or_b32 exec_lo, exec_lo, s1
	s_and_saveexec_b32 s1, s14
	s_cbranch_execz .LBB19_81
.LBB19_1114:                            ;   in Loop: Header=BB19_3 Depth=1
	ds_load_b32 v28, v40 offset:528
	ds_load_b32 v29, v36 offset:8
	s_wait_dscnt 0x0
	v_fmac_f32_e32 v2, v28, v29
	s_or_b32 exec_lo, exec_lo, s1
	s_and_saveexec_b32 s1, s2
	s_cbranch_execnz .LBB19_82
	s_branch .LBB19_83
.LBB19_1115:                            ;   in Loop: Header=BB19_3 Depth=1
	ds_load_b32 v28, v47 offset:288
	ds_load_b32 v29, v41 offset:4
	s_wait_dscnt 0x0
	v_fmac_f32_e32 v2, v28, v29
	s_or_b32 exec_lo, exec_lo, s1
	s_and_saveexec_b32 s1, s16
	s_cbranch_execz .LBB19_119
.LBB19_1116:                            ;   in Loop: Header=BB19_3 Depth=1
	ds_load_b32 v28, v47 offset:544
	ds_load_b32 v29, v41 offset:8
	s_wait_dscnt 0x0
	v_fmac_f32_e32 v2, v28, v29
	s_or_b32 exec_lo, exec_lo, s1
	s_and_saveexec_b32 s1, s17
	s_cbranch_execz .LBB19_120
.LBB19_1117:                            ;   in Loop: Header=BB19_3 Depth=1
	ds_load_b32 v28, v47 offset:800
	ds_load_b32 v29, v41 offset:12
	s_wait_dscnt 0x0
	v_fmac_f32_e32 v2, v28, v29
	s_or_b32 exec_lo, exec_lo, s1
	s_and_saveexec_b32 s1, s18
	s_cbranch_execz .LBB19_121
.LBB19_1118:                            ;   in Loop: Header=BB19_3 Depth=1
	ds_load_b32 v28, v46 offset:1056
	ds_load_b32 v29, v41 offset:16
	s_wait_dscnt 0x0
	v_fmac_f32_e32 v2, v28, v29
	s_or_b32 exec_lo, exec_lo, s1
	s_and_saveexec_b32 s1, s19
	s_cbranch_execz .LBB19_122
.LBB19_1119:                            ;   in Loop: Header=BB19_3 Depth=1
	ds_load_b32 v28, v47 offset:1312
	ds_load_b32 v29, v41 offset:20
	s_wait_dscnt 0x0
	v_fmac_f32_e32 v2, v28, v29
	s_or_b32 exec_lo, exec_lo, s1
	s_and_saveexec_b32 s1, s3
	s_cbranch_execz .LBB19_123
.LBB19_1120:                            ;   in Loop: Header=BB19_3 Depth=1
	ds_load_b32 v28, v46 offset:1568
	ds_load_b32 v29, v41 offset:24
	s_wait_dscnt 0x0
	v_fmac_f32_e32 v2, v28, v29
	s_or_b32 exec_lo, exec_lo, s1
	s_and_saveexec_b32 s1, s14
	s_cbranch_execnz .LBB19_124
	s_branch .LBB19_125
.LBB19_1121:                            ;   in Loop: Header=BB19_3 Depth=1
	ds_load_b32 v28, v42 offset:2352
	ds_load_b32 v29, v36 offset:2084
	s_wait_dscnt 0x0
	v_fmac_f32_e32 v2, v28, v29
	s_or_b32 exec_lo, exec_lo, s1
	s_and_saveexec_b32 s1, s14
	s_cbranch_execz .LBB19_177
.LBB19_1122:                            ;   in Loop: Header=BB19_3 Depth=1
	ds_load_b32 v28, v40 offset:2608
	ds_load_b32 v29, v36 offset:2088
	s_wait_dscnt 0x0
	v_fmac_f32_e32 v2, v28, v29
	s_or_b32 exec_lo, exec_lo, s1
	s_and_saveexec_b32 s1, s2
	s_cbranch_execnz .LBB19_178
	s_branch .LBB19_179
.LBB19_1123:                            ;   in Loop: Header=BB19_3 Depth=1
	ds_load_b32 v28, v54 offset:2880
	ds_load_b32 v29, v45 offset:44
	s_wait_dscnt 0x0
	v_fmac_f32_e32 v2, v28, v29
	s_or_b32 exec_lo, exec_lo, s1
	s_and_saveexec_b32 s1, s4
	s_cbranch_execz .LBB19_235
.LBB19_1124:                            ;   in Loop: Header=BB19_3 Depth=1
	ds_load_b32 v28, v53 offset:3136
	ds_load_b32 v29, v45 offset:48
	s_wait_dscnt 0x0
	v_fmac_f32_e32 v2, v28, v29
	s_or_b32 exec_lo, exec_lo, s1
	s_and_saveexec_b32 s1, s16
	s_cbranch_execz .LBB19_236
.LBB19_1125:                            ;   in Loop: Header=BB19_3 Depth=1
	ds_load_b32 v28, v54 offset:3392
	ds_load_b32 v29, v45 offset:52
	s_wait_dscnt 0x0
	v_fmac_f32_e32 v2, v28, v29
	s_or_b32 exec_lo, exec_lo, s1
	s_and_saveexec_b32 s1, s18
	s_cbranch_execz .LBB19_237
.LBB19_1126:                            ;   in Loop: Header=BB19_3 Depth=1
	ds_load_b32 v28, v53 offset:3648
	ds_load_b32 v29, v45 offset:56
	s_wait_dscnt 0x0
	v_fmac_f32_e32 v2, v28, v29
	s_or_b32 exec_lo, exec_lo, s1
	s_and_saveexec_b32 s1, s3
	s_cbranch_execnz .LBB19_238
	s_branch .LBB19_239
.LBB19_1127:                            ;   in Loop: Header=BB19_3 Depth=1
	ds_load_b32 v28, v42 offset:4432
	ds_load_b32 v29, v36 offset:4164
	s_wait_dscnt 0x0
	v_fmac_f32_e32 v2, v28, v29
	s_or_b32 exec_lo, exec_lo, s1
	s_and_saveexec_b32 s1, s14
	s_cbranch_execz .LBB19_323
.LBB19_1128:                            ;   in Loop: Header=BB19_3 Depth=1
	ds_load_b32 v28, v40 offset:4688
	ds_load_b32 v29, v36 offset:4168
	s_wait_dscnt 0x0
	v_fmac_f32_e32 v2, v28, v29
	s_or_b32 exec_lo, exec_lo, s1
	s_and_saveexec_b32 s1, s2
	s_cbranch_execnz .LBB19_324
	s_branch .LBB19_325
.LBB19_1129:                            ;   in Loop: Header=BB19_3 Depth=1
	ds_load_b32 v28, v47 offset:4448
	ds_load_b32 v29, v41 offset:4164
	s_wait_dscnt 0x0
	v_fmac_f32_e32 v2, v28, v29
	s_or_b32 exec_lo, exec_lo, s1
	s_and_saveexec_b32 s1, s16
	s_cbranch_execz .LBB19_361
.LBB19_1130:                            ;   in Loop: Header=BB19_3 Depth=1
	ds_load_b32 v28, v47 offset:4704
	ds_load_b32 v29, v41 offset:4168
	s_wait_dscnt 0x0
	v_fmac_f32_e32 v2, v28, v29
	s_or_b32 exec_lo, exec_lo, s1
	s_and_saveexec_b32 s1, s17
	s_cbranch_execz .LBB19_362
.LBB19_1131:                            ;   in Loop: Header=BB19_3 Depth=1
	ds_load_b32 v28, v47 offset:4960
	ds_load_b32 v29, v41 offset:4172
	s_wait_dscnt 0x0
	v_fmac_f32_e32 v2, v28, v29
	s_or_b32 exec_lo, exec_lo, s1
	s_and_saveexec_b32 s1, s18
	s_cbranch_execz .LBB19_363
.LBB19_1132:                            ;   in Loop: Header=BB19_3 Depth=1
	ds_load_b32 v28, v46 offset:5216
	ds_load_b32 v29, v41 offset:4176
	s_wait_dscnt 0x0
	v_fmac_f32_e32 v2, v28, v29
	s_or_b32 exec_lo, exec_lo, s1
	s_and_saveexec_b32 s1, s19
	s_cbranch_execz .LBB19_364
.LBB19_1133:                            ;   in Loop: Header=BB19_3 Depth=1
	ds_load_b32 v28, v47 offset:5472
	ds_load_b32 v29, v41 offset:4180
	s_wait_dscnt 0x0
	v_fmac_f32_e32 v2, v28, v29
	s_or_b32 exec_lo, exec_lo, s1
	s_and_saveexec_b32 s1, s3
	s_cbranch_execz .LBB19_365
.LBB19_1134:                            ;   in Loop: Header=BB19_3 Depth=1
	ds_load_b32 v28, v46 offset:5728
	ds_load_b32 v29, v41 offset:4184
	s_wait_dscnt 0x0
	v_fmac_f32_e32 v2, v28, v29
	s_or_b32 exec_lo, exec_lo, s1
	s_and_saveexec_b32 s1, s14
	s_cbranch_execnz .LBB19_366
	s_branch .LBB19_367
.LBB19_1135:                            ;   in Loop: Header=BB19_3 Depth=1
	ds_load_b32 v28, v42 offset:6512
	ds_load_b32 v29, v36 offset:6244
	s_wait_dscnt 0x0
	v_fmac_f32_e32 v2, v28, v29
	s_or_b32 exec_lo, exec_lo, s1
	s_and_saveexec_b32 s1, s14
	s_cbranch_execz .LBB19_419
.LBB19_1136:                            ;   in Loop: Header=BB19_3 Depth=1
	ds_load_b32 v28, v40 offset:6768
	ds_load_b32 v29, v36 offset:6248
	s_wait_dscnt 0x0
	v_fmac_f32_e32 v2, v28, v29
	s_or_b32 exec_lo, exec_lo, s1
	s_and_saveexec_b32 s1, s2
	s_cbranch_execnz .LBB19_420
	s_branch .LBB19_421
.LBB19_1137:                            ;   in Loop: Header=BB19_3 Depth=1
	ds_load_b32 v29, v56 offset:7552
	ds_load_b32 v30, v28 offset:116
	s_wait_dscnt 0x0
	v_fmac_f32_e32 v2, v29, v30
	s_or_b32 exec_lo, exec_lo, s1
	s_and_saveexec_b32 s1, s4
	s_cbranch_execz .LBB19_513
.LBB19_1138:                            ;   in Loop: Header=BB19_3 Depth=1
	ds_load_b32 v29, v56 offset:7808
	ds_load_b32 v28, v28 offset:120
	s_wait_dscnt 0x0
	v_fmac_f32_e32 v2, v29, v28
	s_or_b32 exec_lo, exec_lo, s1
	s_and_saveexec_b32 s1, s18
	s_cbranch_execnz .LBB19_514
	s_branch .LBB19_515
.LBB19_1139:                            ;   in Loop: Header=BB19_3 Depth=1
	ds_load_b32 v28, v42 offset:8592
	ds_load_b32 v29, v36 offset:8324
	s_wait_dscnt 0x0
	v_fmac_f32_e32 v2, v28, v29
	s_or_b32 exec_lo, exec_lo, s1
	s_and_saveexec_b32 s1, s14
	s_cbranch_execz .LBB19_663
.LBB19_1140:                            ;   in Loop: Header=BB19_3 Depth=1
	ds_load_b32 v28, v40 offset:8848
	ds_load_b32 v29, v36 offset:8328
	s_wait_dscnt 0x0
	v_fmac_f32_e32 v2, v28, v29
	s_or_b32 exec_lo, exec_lo, s1
	s_and_saveexec_b32 s1, s2
	s_cbranch_execnz .LBB19_664
	s_branch .LBB19_665
.LBB19_1141:                            ;   in Loop: Header=BB19_3 Depth=1
	ds_load_b32 v28, v47 offset:8608
	ds_load_b32 v29, v41 offset:8324
	s_wait_dscnt 0x0
	v_fmac_f32_e32 v2, v28, v29
	s_or_b32 exec_lo, exec_lo, s1
	s_and_saveexec_b32 s1, s16
	s_cbranch_execz .LBB19_701
.LBB19_1142:                            ;   in Loop: Header=BB19_3 Depth=1
	ds_load_b32 v28, v47 offset:8864
	ds_load_b32 v29, v41 offset:8328
	s_wait_dscnt 0x0
	v_fmac_f32_e32 v2, v28, v29
	s_or_b32 exec_lo, exec_lo, s1
	s_and_saveexec_b32 s1, s17
	s_cbranch_execz .LBB19_702
.LBB19_1143:                            ;   in Loop: Header=BB19_3 Depth=1
	ds_load_b32 v28, v47 offset:9120
	ds_load_b32 v29, v41 offset:8332
	s_wait_dscnt 0x0
	v_fmac_f32_e32 v2, v28, v29
	s_or_b32 exec_lo, exec_lo, s1
	s_and_saveexec_b32 s1, s18
	s_cbranch_execz .LBB19_703
.LBB19_1144:                            ;   in Loop: Header=BB19_3 Depth=1
	ds_load_b32 v28, v46 offset:9376
	ds_load_b32 v29, v41 offset:8336
	s_wait_dscnt 0x0
	v_fmac_f32_e32 v2, v28, v29
	s_or_b32 exec_lo, exec_lo, s1
	s_and_saveexec_b32 s1, s19
	s_cbranch_execz .LBB19_704
.LBB19_1145:                            ;   in Loop: Header=BB19_3 Depth=1
	ds_load_b32 v28, v47 offset:9632
	ds_load_b32 v29, v41 offset:8340
	s_wait_dscnt 0x0
	v_fmac_f32_e32 v2, v28, v29
	s_or_b32 exec_lo, exec_lo, s1
	s_and_saveexec_b32 s1, s3
	s_cbranch_execz .LBB19_705
.LBB19_1146:                            ;   in Loop: Header=BB19_3 Depth=1
	ds_load_b32 v28, v46 offset:9888
	ds_load_b32 v29, v41 offset:8344
	s_wait_dscnt 0x0
	v_fmac_f32_e32 v2, v28, v29
	s_or_b32 exec_lo, exec_lo, s1
	s_and_saveexec_b32 s1, s14
	s_cbranch_execnz .LBB19_706
	s_branch .LBB19_707
.LBB19_1147:                            ;   in Loop: Header=BB19_3 Depth=1
	ds_load_b32 v28, v42 offset:10672
	ds_load_b32 v29, v36 offset:10404
	s_wait_dscnt 0x0
	v_fmac_f32_e32 v2, v28, v29
	s_or_b32 exec_lo, exec_lo, s1
	s_and_saveexec_b32 s1, s14
	s_cbranch_execz .LBB19_759
.LBB19_1148:                            ;   in Loop: Header=BB19_3 Depth=1
	ds_load_b32 v28, v40 offset:10928
	ds_load_b32 v29, v36 offset:10408
	s_wait_dscnt 0x0
	v_fmac_f32_e32 v2, v28, v29
	s_or_b32 exec_lo, exec_lo, s1
	s_and_saveexec_b32 s1, s2
	s_cbranch_execnz .LBB19_760
	s_branch .LBB19_761
.LBB19_1149:                            ;   in Loop: Header=BB19_3 Depth=1
	ds_load_b32 v28, v54 offset:11200
	ds_load_b32 v29, v45 offset:8364
	s_wait_dscnt 0x0
	v_fmac_f32_e32 v2, v28, v29
	s_or_b32 exec_lo, exec_lo, s1
	s_and_saveexec_b32 s1, s4
	s_cbranch_execz .LBB19_817
.LBB19_1150:                            ;   in Loop: Header=BB19_3 Depth=1
	ds_load_b32 v28, v53 offset:11456
	ds_load_b32 v29, v45 offset:8368
	s_wait_dscnt 0x0
	v_fmac_f32_e32 v2, v28, v29
	s_or_b32 exec_lo, exec_lo, s1
	s_and_saveexec_b32 s1, s16
	s_cbranch_execz .LBB19_818
.LBB19_1151:                            ;   in Loop: Header=BB19_3 Depth=1
	ds_load_b32 v28, v54 offset:11712
	ds_load_b32 v29, v45 offset:8372
	s_wait_dscnt 0x0
	v_fmac_f32_e32 v2, v28, v29
	s_or_b32 exec_lo, exec_lo, s1
	s_and_saveexec_b32 s1, s18
	s_cbranch_execz .LBB19_819
.LBB19_1152:                            ;   in Loop: Header=BB19_3 Depth=1
	ds_load_b32 v28, v53 offset:11968
	ds_load_b32 v29, v45 offset:8376
	s_wait_dscnt 0x0
	v_fmac_f32_e32 v2, v28, v29
	s_or_b32 exec_lo, exec_lo, s1
	s_and_saveexec_b32 s1, s3
	s_cbranch_execnz .LBB19_820
	s_branch .LBB19_821
.LBB19_1153:                            ;   in Loop: Header=BB19_3 Depth=1
	ds_load_b32 v28, v42 offset:12752
	ds_load_b32 v29, v36 offset:12484
	s_wait_dscnt 0x0
	v_fmac_f32_e32 v2, v28, v29
	s_or_b32 exec_lo, exec_lo, s1
	s_and_saveexec_b32 s1, s14
	s_cbranch_execz .LBB19_905
.LBB19_1154:                            ;   in Loop: Header=BB19_3 Depth=1
	ds_load_b32 v28, v40 offset:13008
	ds_load_b32 v29, v36 offset:12488
	s_wait_dscnt 0x0
	v_fmac_f32_e32 v2, v28, v29
	s_or_b32 exec_lo, exec_lo, s1
	s_and_saveexec_b32 s1, s2
	s_cbranch_execnz .LBB19_906
	s_branch .LBB19_907
.LBB19_1155:                            ;   in Loop: Header=BB19_3 Depth=1
	ds_load_b32 v28, v47 offset:12768
	ds_load_b32 v29, v41 offset:12484
	s_wait_dscnt 0x0
	v_fmac_f32_e32 v2, v28, v29
	s_or_b32 exec_lo, exec_lo, s1
	s_and_saveexec_b32 s1, s16
	s_cbranch_execz .LBB19_943
.LBB19_1156:                            ;   in Loop: Header=BB19_3 Depth=1
	ds_load_b32 v28, v47 offset:13024
	ds_load_b32 v29, v41 offset:12488
	s_wait_dscnt 0x0
	v_fmac_f32_e32 v2, v28, v29
	s_or_b32 exec_lo, exec_lo, s1
	s_and_saveexec_b32 s1, s17
	s_cbranch_execz .LBB19_944
.LBB19_1157:                            ;   in Loop: Header=BB19_3 Depth=1
	ds_load_b32 v28, v47 offset:13280
	ds_load_b32 v29, v41 offset:12492
	s_wait_dscnt 0x0
	v_fmac_f32_e32 v2, v28, v29
	s_or_b32 exec_lo, exec_lo, s1
	s_and_saveexec_b32 s1, s18
	s_cbranch_execz .LBB19_945
.LBB19_1158:                            ;   in Loop: Header=BB19_3 Depth=1
	ds_load_b32 v28, v46 offset:13536
	ds_load_b32 v29, v41 offset:12496
	s_wait_dscnt 0x0
	v_fmac_f32_e32 v2, v28, v29
	s_or_b32 exec_lo, exec_lo, s1
	s_and_saveexec_b32 s1, s19
	s_cbranch_execz .LBB19_946
.LBB19_1159:                            ;   in Loop: Header=BB19_3 Depth=1
	ds_load_b32 v28, v47 offset:13792
	ds_load_b32 v29, v41 offset:12500
	s_wait_dscnt 0x0
	v_fmac_f32_e32 v2, v28, v29
	s_or_b32 exec_lo, exec_lo, s1
	s_and_saveexec_b32 s1, s3
	s_cbranch_execz .LBB19_947
.LBB19_1160:                            ;   in Loop: Header=BB19_3 Depth=1
	ds_load_b32 v28, v46 offset:14048
	ds_load_b32 v29, v41 offset:12504
	s_wait_dscnt 0x0
	v_fmac_f32_e32 v2, v28, v29
	s_or_b32 exec_lo, exec_lo, s1
	s_and_saveexec_b32 s1, s14
	s_cbranch_execnz .LBB19_948
	s_branch .LBB19_949
.LBB19_1161:                            ;   in Loop: Header=BB19_3 Depth=1
	ds_load_b32 v28, v42 offset:14832
	ds_load_b32 v29, v36 offset:14564
	s_wait_dscnt 0x0
	v_fmac_f32_e32 v2, v28, v29
	s_or_b32 exec_lo, exec_lo, s1
	s_and_saveexec_b32 s1, s14
	s_cbranch_execz .LBB19_1001
.LBB19_1162:                            ;   in Loop: Header=BB19_3 Depth=1
	ds_load_b32 v28, v40 offset:15088
	ds_load_b32 v29, v36 offset:14568
	s_wait_dscnt 0x0
	v_fmac_f32_e32 v2, v28, v29
	s_or_b32 exec_lo, exec_lo, s1
	s_and_saveexec_b32 s1, s2
	s_cbranch_execnz .LBB19_1002
	s_branch .LBB19_1003
.LBB19_1163:
	s_endpgm
	.section	.rodata,"a",@progbits
	.p2align	6, 0x0
	.amdhsa_kernel _ZL19rocblas_trsv_deviceILi64ELi16ELb1ELb0ELb0ELb1EffPKfPfEviT7_lllT6_T8_lllPii
		.amdhsa_group_segment_fixed_size 20740
		.amdhsa_private_segment_fixed_size 0
		.amdhsa_kernarg_size 352
		.amdhsa_user_sgpr_count 2
		.amdhsa_user_sgpr_dispatch_ptr 0
		.amdhsa_user_sgpr_queue_ptr 0
		.amdhsa_user_sgpr_kernarg_segment_ptr 1
		.amdhsa_user_sgpr_dispatch_id 0
		.amdhsa_user_sgpr_kernarg_preload_length 0
		.amdhsa_user_sgpr_kernarg_preload_offset 0
		.amdhsa_user_sgpr_private_segment_size 0
		.amdhsa_wavefront_size32 1
		.amdhsa_uses_dynamic_stack 0
		.amdhsa_enable_private_segment 0
		.amdhsa_system_sgpr_workgroup_id_x 1
		.amdhsa_system_sgpr_workgroup_id_y 0
		.amdhsa_system_sgpr_workgroup_id_z 1
		.amdhsa_system_sgpr_workgroup_info 0
		.amdhsa_system_vgpr_workitem_id 1
		.amdhsa_next_free_vgpr 78
		.amdhsa_next_free_sgpr 105
		.amdhsa_named_barrier_count 0
		.amdhsa_reserve_vcc 1
		.amdhsa_float_round_mode_32 0
		.amdhsa_float_round_mode_16_64 0
		.amdhsa_float_denorm_mode_32 3
		.amdhsa_float_denorm_mode_16_64 3
		.amdhsa_fp16_overflow 0
		.amdhsa_memory_ordered 1
		.amdhsa_forward_progress 1
		.amdhsa_inst_pref_size 234
		.amdhsa_round_robin_scheduling 0
		.amdhsa_exception_fp_ieee_invalid_op 0
		.amdhsa_exception_fp_denorm_src 0
		.amdhsa_exception_fp_ieee_div_zero 0
		.amdhsa_exception_fp_ieee_overflow 0
		.amdhsa_exception_fp_ieee_underflow 0
		.amdhsa_exception_fp_ieee_inexact 0
		.amdhsa_exception_int_div_zero 0
	.end_amdhsa_kernel
	.section	.text._ZL19rocblas_trsv_deviceILi64ELi16ELb1ELb0ELb0ELb1EffPKfPfEviT7_lllT6_T8_lllPii,"axG",@progbits,_ZL19rocblas_trsv_deviceILi64ELi16ELb1ELb0ELb0ELb1EffPKfPfEviT7_lllT6_T8_lllPii,comdat
.Lfunc_end19:
	.size	_ZL19rocblas_trsv_deviceILi64ELi16ELb1ELb0ELb0ELb1EffPKfPfEviT7_lllT6_T8_lllPii, .Lfunc_end19-_ZL19rocblas_trsv_deviceILi64ELi16ELb1ELb0ELb0ELb1EffPKfPfEviT7_lllT6_T8_lllPii
                                        ; -- End function
	.set _ZL19rocblas_trsv_deviceILi64ELi16ELb1ELb0ELb0ELb1EffPKfPfEviT7_lllT6_T8_lllPii.num_vgpr, 78
	.set _ZL19rocblas_trsv_deviceILi64ELi16ELb1ELb0ELb0ELb1EffPKfPfEviT7_lllT6_T8_lllPii.num_agpr, 0
	.set _ZL19rocblas_trsv_deviceILi64ELi16ELb1ELb0ELb0ELb1EffPKfPfEviT7_lllT6_T8_lllPii.numbered_sgpr, 105
	.set _ZL19rocblas_trsv_deviceILi64ELi16ELb1ELb0ELb0ELb1EffPKfPfEviT7_lllT6_T8_lllPii.num_named_barrier, 0
	.set _ZL19rocblas_trsv_deviceILi64ELi16ELb1ELb0ELb0ELb1EffPKfPfEviT7_lllT6_T8_lllPii.private_seg_size, 0
	.set _ZL19rocblas_trsv_deviceILi64ELi16ELb1ELb0ELb0ELb1EffPKfPfEviT7_lllT6_T8_lllPii.uses_vcc, 1
	.set _ZL19rocblas_trsv_deviceILi64ELi16ELb1ELb0ELb0ELb1EffPKfPfEviT7_lllT6_T8_lllPii.uses_flat_scratch, 0
	.set _ZL19rocblas_trsv_deviceILi64ELi16ELb1ELb0ELb0ELb1EffPKfPfEviT7_lllT6_T8_lllPii.has_dyn_sized_stack, 0
	.set _ZL19rocblas_trsv_deviceILi64ELi16ELb1ELb0ELb0ELb1EffPKfPfEviT7_lllT6_T8_lllPii.has_recursion, 0
	.set _ZL19rocblas_trsv_deviceILi64ELi16ELb1ELb0ELb0ELb1EffPKfPfEviT7_lllT6_T8_lllPii.has_indirect_call, 0
	.section	.AMDGPU.csdata,"",@progbits
; Kernel info:
; codeLenInByte = 29896
; TotalNumSgprs: 107
; NumVgprs: 78
; ScratchSize: 0
; MemoryBound: 0
; FloatMode: 240
; IeeeMode: 1
; LDSByteSize: 20740 bytes/workgroup (compile time only)
; SGPRBlocks: 0
; VGPRBlocks: 4
; NumSGPRsForWavesPerEU: 107
; NumVGPRsForWavesPerEU: 78
; NamedBarCnt: 0
; Occupancy: 12
; WaveLimiterHint : 0
; COMPUTE_PGM_RSRC2:SCRATCH_EN: 0
; COMPUTE_PGM_RSRC2:USER_SGPR: 2
; COMPUTE_PGM_RSRC2:TRAP_HANDLER: 0
; COMPUTE_PGM_RSRC2:TGID_X_EN: 1
; COMPUTE_PGM_RSRC2:TGID_Y_EN: 0
; COMPUTE_PGM_RSRC2:TGID_Z_EN: 1
; COMPUTE_PGM_RSRC2:TIDIG_COMP_CNT: 1
	.section	.text._ZL19rocblas_trsv_deviceILi64ELi16ELb1ELb1ELb0ELb1EffPKfPfEviT7_lllT6_T8_lllPii,"axG",@progbits,_ZL19rocblas_trsv_deviceILi64ELi16ELb1ELb1ELb0ELb1EffPKfPfEviT7_lllT6_T8_lllPii,comdat
	.globl	_ZL19rocblas_trsv_deviceILi64ELi16ELb1ELb1ELb0ELb1EffPKfPfEviT7_lllT6_T8_lllPii ; -- Begin function _ZL19rocblas_trsv_deviceILi64ELi16ELb1ELb1ELb0ELb1EffPKfPfEviT7_lllT6_T8_lllPii
	.p2align	8
	.type	_ZL19rocblas_trsv_deviceILi64ELi16ELb1ELb1ELb0ELb1EffPKfPfEviT7_lllT6_T8_lllPii,@function
_ZL19rocblas_trsv_deviceILi64ELi16ELb1ELb1ELb0ELb1EffPKfPfEviT7_lllT6_T8_lllPii: ; @_ZL19rocblas_trsv_deviceILi64ELi16ELb1ELb1ELb0ELb1EffPKfPfEviT7_lllT6_T8_lllPii
; %bb.0:
	s_load_b32 s6, s[0:1], 0x58
	s_bfe_u32 s2, ttmp6, 0x40014
	s_lshr_b32 s3, ttmp7, 16
	s_add_co_i32 s2, s2, 1
	s_bfe_u32 s5, ttmp6, 0x40008
	s_mul_i32 s2, s3, s2
	s_getreg_b32 s4, hwreg(HW_REG_IB_STS2, 6, 4)
	s_add_co_i32 s5, s5, s2
	s_cmp_eq_u32 s4, 0
	s_mov_b32 s73, 0
	s_cselect_b32 s72, s3, s5
                                        ; implicit-def: $vgpr93 : SGPR spill to VGPR lane
	s_wait_kmcnt 0x0
	s_cmp_ge_u32 s72, s6
	v_writelane_b32 v93, s6, 0
	s_cbranch_scc1 .LBB20_1225
; %bb.1:
	s_clause 0x4
	s_load_b256 s[56:63], s[0:1], 0x8
	s_load_b256 s[64:71], s[0:1], 0x30
	s_load_b32 s2, s[0:1], 0x6c
	s_load_b32 s86, s[0:1], 0x60
	;; [unrolled: 1-line block ×3, first 2 shown]
	s_bfe_u32 s3, ttmp6, 0x4000c
	s_and_b32 s5, ttmp6, 15
	s_add_co_i32 s3, s3, 1
	v_and_b32_e32 v4, 0x3ff, v0
	s_mul_i32 s3, ttmp9, s3
	v_bfe_u32 v2, v0, 10, 10
	s_add_co_i32 s3, s5, s3
	v_dual_mov_b32 v7, 0 :: v_dual_bitop2_b32 v1, 1, v0 bitop3:0x40
	s_delay_alu instid0(VALU_DEP_2) | instskip(SKIP_2) | instid1(VALU_DEP_4)
	v_dual_lshlrev_b32 v5, 6, v4 :: v_dual_add_nc_u32 v22, 16, v2
	v_lshl_add_u32 v28, v2, 6, v4
	v_and_b32_e32 v18, 3, v0
	v_cmp_eq_u32_e32 vcc_lo, 1, v1
	s_delay_alu instid0(VALU_DEP_4)
	v_add_nc_u32_e32 v8, v2, v5
	s_wait_kmcnt 0x0
	s_lshl_b64 s[12:13], s[58:59], 2
	s_lshl_b64 s[14:15], s[66:67], 2
	s_cmp_eq_u32 s4, 0
	v_lshl_add_u32 v10, v22, 6, v4
	s_cselect_b32 s85, ttmp9, s3
	s_add_co_i32 s3, s74, -1
	s_ashr_i32 s75, s74, 31
	s_ashr_i32 s4, s3, 31
	s_lshr_b32 s5, s75, 26
	s_lshr_b32 s4, s4, 26
	s_add_co_i32 s5, s74, s5
	s_add_co_i32 s86, s86, -1
	s_add_co_i32 s3, s3, s4
	s_and_not1_b32 s5, s5, 63
	s_sub_co_i32 s55, s86, s85
	s_ashr_i32 s3, s3, 6
	s_and_b32 s2, s2, 0xffff
	s_sub_co_i32 s78, s74, s5
	s_cmp_eq_u32 s3, s55
	v_mad_u32_u24 v6, v2, s2, v4
	s_cselect_b32 s3, -1, 0
	s_cmp_lg_u32 s78, 0
	v_cmp_ne_u32_e64 s6, 0, v18
	s_cselect_b32 s4, -1, 0
	v_cmp_eq_u32_e64 s8, 1, v18
	s_and_b32 s44, s4, s3
	s_add_nc_u64 s[4:5], s[60:61], 1
	s_xor_b32 s87, s44, -1
	s_cmp_lg_u32 s85, 0
	v_cmp_lt_u32_e64 s9, 1, v18
	s_cselect_b32 s2, -1, 0
	s_lshl_b32 s18, s55, 6
	s_cmp_lt_i32 s85, 5
	v_writelane_b32 v93, s2, 1
	s_cselect_b32 s2, -1, 0
	s_delay_alu instid0(SALU_CYCLE_1)
	v_dual_add_nc_u32 v9, v22, v5 :: v_dual_cndmask_b32 v17, v28, v8, s2
	s_or_b32 s7, s2, s44
	v_cmp_gt_u32_e64 s2, 4, v28
	s_ashr_i32 s19, s18, 31
	s_xor_b32 s3, vcc_lo, -1
	s_mul_u64 s[16:17], s[4:5], s[18:19]
	v_cmp_gt_u32_e64 s4, 16, v28
	s_and_b32 s90, s3, s2
	s_and_b32 s91, vcc_lo, s2
	v_cmp_eq_u32_e64 s3, 0, v2
	v_cmp_gt_u32_e32 vcc_lo, 2, v4
	v_dual_cndmask_b32 v16, v10, v9, s7 :: v_dual_bitop2_b32 v19, 7, v0 bitop3:0x40
	v_cmp_eq_u32_e64 s5, 0, v18
	s_and_b32 s94, s6, s4
	s_and_b32 s92, s3, vcc_lo
	v_cmp_eq_u32_e32 vcc_lo, 2, v18
	v_cmp_eq_u32_e64 s6, 3, v18
	s_and_b32 s93, s5, s4
	v_cmp_gt_u32_e64 s5, 64, v28
	s_and_b32 s95, s8, s4
	s_and_b32 s97, vcc_lo, s4
	s_and_b32 s98, s6, s4
	v_cmp_ne_u32_e32 vcc_lo, 0, v19
	v_cmp_eq_u32_e64 s6, 1, v19
	v_cmp_gt_u32_e64 s8, 4, v4
	s_and_b32 s96, s9, s4
	v_cmp_eq_u32_e64 s9, 0, v19
	s_and_b32 s101, vcc_lo, s5
	v_cmp_lt_u32_e32 vcc_lo, 2, v19
	s_and_b32 s102, s6, s5
	v_cmp_eq_u32_e64 s6, 3, v19
	s_and_b32 s99, s3, s8
	v_cmp_lt_u32_e64 s8, 1, v19
	s_and_b32 vcc_hi, vcc_lo, s5
	v_cmp_lt_u32_e32 vcc_lo, 3, v19
	s_and_b32 s31, s6, s5
	v_cmp_eq_u32_e64 s6, 5, v19
	s_and_b32 s100, s9, s5
	v_cmp_eq_u32_e64 s9, 2, v19
	;; [unrolled: 2-line block ×3, first 2 shown]
	s_and_b32 s33, vcc_lo, s5
	v_cmp_lt_u32_e32 vcc_lo, 5, v19
	s_and_b32 s36, s6, s5
	v_cmp_eq_u32_e64 s6, 6, v19
	v_dual_add_nc_u32 v26, 32, v2 :: v_dual_bitop2_b32 v20, 15, v0 bitop3:0x40
	s_and_b32 s104, s9, s5
	v_cmp_lt_u32_e64 s9, 4, v19
	s_and_b32 s34, s8, s5
	v_cmp_eq_u32_e64 s8, 7, v19
	s_and_b32 s37, vcc_lo, s5
	s_and_b32 s38, s6, s5
	v_cmp_gt_u32_e64 s6, 0x100, v28
	v_cmp_eq_u32_e32 vcc_lo, 0, v20
	s_and_b32 s35, s9, s5
	v_cmp_gt_u32_e64 s9, 8, v4
	s_and_b32 s39, s8, s5
	v_cmp_ne_u32_e64 s8, 0, v20
	s_and_b32 s20, vcc_lo, s6
	v_cmp_lt_u32_e64 s10, 1, v20
	v_writelane_b32 v93, s20, 2
	s_and_b32 s40, s3, s9
	v_cmp_eq_u32_e64 s9, 1, v20
	s_and_b32 s8, s8, s6
	v_cmp_eq_u32_e64 s11, 2, v20
	v_writelane_b32 v93, s8, 3
	v_cmp_lt_u32_e32 vcc_lo, 2, v20
	s_and_b32 s8, s9, s6
	v_cmp_lt_u32_e64 s9, 3, v20
	v_dual_add_nc_u32 v24, 48, v2 :: v_dual_add_nc_u32 v8, v26, v5
	v_writelane_b32 v93, s8, 4
	s_and_b32 s8, s10, s6
	s_and_b32 s20, vcc_lo, s6
	v_cmp_eq_u32_e32 vcc_lo, 5, v20
	v_lshl_add_u32 v9, v26, 6, v4
	v_writelane_b32 v93, s8, 5
	s_and_b32 s8, s11, s6
	v_cmp_lt_u32_e64 s11, 4, v20
	s_and_b32 s51, vcc_lo, s6
	v_cmp_lt_u32_e32 vcc_lo, 7, v20
	v_writelane_b32 v93, s8, 6
	v_cmp_eq_u32_e64 s8, 3, v20
	s_and_b32 s50, s11, s6
	v_cmp_eq_u32_e64 s11, 7, v20
	v_dual_add_nc_u32 v5, v24, v5 :: v_dual_cndmask_b32 v29, v9, v8, s7
	v_writelane_b32 v93, s20, 7
	s_and_b32 s8, s8, s6
	v_lshl_add_u32 v10, v24, 6, v4
	s_and_b32 s22, vcc_lo, s6
	v_cmp_eq_u32_e32 vcc_lo, 10, v20
	v_writelane_b32 v93, s8, 8
	s_and_b32 s8, s9, s6
	v_cmp_eq_u32_e64 s9, 6, v20
	s_and_b32 s20, s11, s6
	v_cmp_lt_u32_e64 s11, 9, v20
	v_writelane_b32 v93, s8, 9
	v_cmp_lt_u32_e64 s8, 5, v20
	s_and_b32 s53, s9, s6
	v_cmp_lt_u32_e64 s9, 8, v20
	v_dual_cndmask_b32 v21, v10, v5, s7 :: v_dual_bitop2_b32 v23, 31, v0 bitop3:0x40
	s_and_b32 s52, s8, s6
	v_cmp_eq_u32_e64 s8, 8, v20
	s_and_b32 s26, s9, s6
	v_cmp_eq_u32_e64 s9, 11, v20
	s_and_b32 s58, vcc_lo, s6
	v_cmp_lt_u32_e32 vcc_lo, 12, v20
	s_and_b32 s24, s8, s6
	v_cmp_lt_u32_e64 s8, 10, v20
	s_and_b32 s21, s9, s6
	v_cmp_lt_u32_e64 s9, 13, v20
	s_xor_b32 s89, s7, -1
	s_and_b32 s30, s11, s6
	s_and_b32 s59, s8, s6
	v_cmp_eq_u32_e64 s8, 13, v20
	v_cmp_eq_u32_e64 s11, 12, v20
	s_and_b32 s88, s9, s6
	v_cmp_gt_u32_e64 s7, 0x400, v28
	v_cmp_eq_u32_e64 s9, 0, v23
	s_and_b32 s29, s8, s6
	v_cmp_gt_u32_e64 s8, 16, v4
	s_and_b32 s27, vcc_lo, s6
	v_cmp_eq_u32_e32 vcc_lo, 15, v20
	s_and_b32 s25, s11, s6
	v_cmp_ne_u32_e64 s11, 0, v23
	s_and_b32 s42, s3, s8
	s_and_b32 s8, s9, s7
	s_and_b32 s41, vcc_lo, s6
	v_writelane_b32 v93, s8, 10
	v_cmp_eq_u32_e32 vcc_lo, 1, v23
	s_and_b32 s8, s11, s7
                                        ; implicit-def: $vgpr92 : SGPR spill to VGPR lane
                                        ; implicit-def: $vgpr91 : SGPR spill to VGPR lane
	v_cmp_eq_u32_e64 s10, 4, v20
	v_dual_lshrrev_b32 v25, 10, v0 :: v_dual_lshlrev_b32 v1, 2, v1
	v_writelane_b32 v93, s8, 11
	s_and_b32 s8, vcc_lo, s7
	v_cmp_lt_u32_e32 vcc_lo, 1, v23
	s_and_b32 s49, s10, s6
	v_cmp_lt_u32_e64 s10, 6, v20
	v_writelane_b32 v93, s8, 12
	v_lshrrev_b32_e32 v27, 1, v28
	s_and_b32 s8, vcc_lo, s7
	v_cmp_eq_u32_e32 vcc_lo, 2, v23
	s_and_b32 s54, s10, s6
	v_writelane_b32 v93, s8, 13
	v_cmp_eq_u32_e64 s10, 9, v20
	v_bitop3_b32 v30, v0, v25, 0x3ff bitop3:0xa8
	s_and_b32 s8, vcc_lo, s7
	v_cmp_lt_u32_e32 vcc_lo, 2, v23
	v_writelane_b32 v93, s8, 14
	s_and_b32 s28, s10, s6
	v_cmp_lt_u32_e64 s10, 11, v20
	v_lshrrev_b32_e32 v0, 2, v28
	s_and_b32 s8, vcc_lo, s7
	v_cmp_eq_u32_e32 vcc_lo, 3, v23
	v_writelane_b32 v93, s8, 15
	s_and_b32 s23, s10, s6
	v_cmp_eq_u32_e64 s10, 14, v20
	v_lshl_or_b32 v39, v27, 8, v1
	s_and_b32 s8, vcc_lo, s7
	v_cmp_lt_u32_e32 vcc_lo, 3, v23
	v_writelane_b32 v93, s8, 16
	v_dual_lshlrev_b32 v45, 2, v18 :: v_dual_bitop2_b32 v1, -4, v28 bitop3:0x40
	v_mul_u32_u24_e32 v41, 0x104, v0
	s_and_b32 s8, vcc_lo, s7
	v_cmp_eq_u32_e32 vcc_lo, 4, v23
	v_writelane_b32 v93, s8, 17
	s_load_b64 s[66:67], s[0:1], 0x50
	s_and_b32 s84, s10, s6
	s_wait_xcnt 0x0
	s_load_b32 s0, s[0:1], 0x28
	s_and_b32 s8, vcc_lo, s7
	v_cmp_lt_u32_e32 vcc_lo, 4, v23
	v_writelane_b32 v93, s8, 18
	v_dual_lshlrev_b32 v43, 8, v4 :: v_dual_sub_nc_u32 v18, v41, v1
	v_lshrrev_b32_e32 v25, 3, v28
	s_and_b32 s8, vcc_lo, s7
	v_cmp_eq_u32_e32 vcc_lo, 5, v23
	v_writelane_b32 v93, s8, 19
	v_lshl_or_b32 v48, v0, 8, v45
	v_add_nc_u32_e32 v49, v18, v45
	v_dual_lshlrev_b32 v0, 2, v25 :: v_dual_lshlrev_b32 v52, 2, v19
	s_and_b32 s8, vcc_lo, s7
	v_cmp_lt_u32_e32 vcc_lo, 5, v23
	v_writelane_b32 v93, s8, 20
	v_mul_u32_u24_e32 v51, 0x104, v25
	v_add_nc_u32_e32 v47, 0x4000, v1
	v_lshrrev_b32_e32 v1, 4, v28
	s_and_b32 s8, vcc_lo, s7
	v_cmp_eq_u32_e32 vcc_lo, 6, v23
	v_writelane_b32 v93, s8, 21
	v_sub_nc_u32_e32 v18, v51, v0
	v_dual_add_nc_u32 v14, s18, v4 :: v_dual_add_nc_u32 v3, s18, v2
	s_and_b32 s8, vcc_lo, s7
	v_cmp_lt_u32_e32 vcc_lo, 6, v23
	v_writelane_b32 v93, s8, 22
	v_add_nc_u32_e32 v54, 0x4000, v0
	v_add_nc_u32_e32 v57, v18, v52
	v_lshrrev_b32_e32 v18, 5, v28
	s_and_b32 s8, vcc_lo, s7
	v_cmp_eq_u32_e32 vcc_lo, 7, v23
	v_writelane_b32 v93, s8, 23
	v_lshlrev_b32_e32 v0, 2, v1
	v_mul_u32_u24_e32 v58, 0x104, v1
	v_add_nc_u64_e32 v[12:13], s[18:19], v[6:7]
	s_and_b32 s8, vcc_lo, s7
	v_cmp_lt_u32_e32 vcc_lo, 7, v23
	v_writelane_b32 v93, s8, 24
	v_dual_lshlrev_b32 v5, 2, v4 :: v_dual_add_nc_u32 v8, 64, v3
	v_ashrrev_i32_e32 v15, 31, v14
	s_and_b32 s8, vcc_lo, s7
	v_cmp_eq_u32_e32 vcc_lo, 8, v23
	v_writelane_b32 v93, s8, 25
	v_add_nc_u32_e32 v60, 0x4000, v0
	v_dual_lshlrev_b32 v61, 2, v20 :: v_dual_lshlrev_b32 v63, 8, v18
	s_and_b32 s8, vcc_lo, s7
	v_cmp_lt_u32_e32 vcc_lo, 8, v23
	v_writelane_b32 v93, s8, 26
	v_dual_sub_nc_u32 v0, v58, v0 :: v_dual_lshlrev_b32 v64, 2, v23
	v_ashrrev_i32_e32 v9, 31, v8
	s_and_b32 s8, vcc_lo, s7
	v_cmp_eq_u32_e32 vcc_lo, 9, v23
	v_writelane_b32 v93, s8, 27
	v_mul_u64_e32 v[10:11], s[60:61], v[14:15]
	v_lshl_or_b32 v65, v1, 8, v61
	v_dual_add_nc_u32 v66, v0, v61 :: v_dual_lshlrev_b32 v79, 2, v2
	s_and_b32 s8, vcc_lo, s7
	v_cmp_lt_u32_e32 vcc_lo, 9, v23
	v_writelane_b32 v93, s8, 28
	v_mul_u64_e32 v[0:1], s[68:69], v[14:15]
	v_add_nc_u32_e32 v15, 0x50, v3
	v_lshl_add_u32 v37, v27, 2, 0x4000
	s_and_b32 s8, vcc_lo, s7
	v_cmp_eq_u32_e32 vcc_lo, 10, v23
	v_writelane_b32 v93, s8, 29
	v_mul_u32_u24_e32 v40, 0x104, v27
	v_cmp_gt_u32_e64 s46, 0xf0, v28
                                        ; implicit-def: $vgpr90 : SGPR spill to VGPR lane
	v_mad_u32_u24 v32, 0xfc, v4, v5
	s_and_b32 s8, vcc_lo, s7
	v_cmp_lt_u32_e32 vcc_lo, 10, v23
	v_writelane_b32 v93, s8, 30
	v_lshl_or_b32 v55, v25, 8, v52
	v_mad_i32_i24 v33, 0xffffff04, v4, v32
	v_lshlrev_b32_e32 v62, 2, v18
	s_and_b32 s8, vcc_lo, s7
	v_cmp_eq_u32_e32 vcc_lo, 11, v23
	v_writelane_b32 v93, s8, 31
	v_mad_u32_u24 v34, 0xfc, v4, v33
	v_dual_lshlrev_b32 v76, 2, v17 :: v_dual_bitop2_b32 v68, v63, v64 bitop3:0x54
	s_and_b32 s8, vcc_lo, s7
	v_cmp_lt_u32_e32 vcc_lo, 11, v23
	v_writelane_b32 v92, s8, 0
	v_mad_i32_i24 v35, 0xffffff04, v4, v34
	v_mul_u64_e32 v[12:13], s[68:69], v[12:13]
	v_mul_i32_i24_e32 v31, 0xffffff04, v4
	s_and_b32 s8, vcc_lo, s7
	v_cmp_eq_u32_e32 vcc_lo, 12, v23
	v_writelane_b32 v92, s8, 1
	v_mad_u32_u24 v36, 0xfc, v4, v35
	v_or_b32_e32 v71, 0x5000, v79
	v_or_b32_e32 v86, v22, v4
	s_and_b32 s8, vcc_lo, s7
	v_cmp_lt_u32_e32 vcc_lo, 12, v23
	v_writelane_b32 v92, s8, 2
	v_mad_i32_i24 v38, 0xffffff04, v4, v36
	v_dual_add_nc_u32 v75, v71, v5 :: v_dual_bitop2_b32 v87, v26, v4 bitop3:0x54
	v_lshlrev_b32_e32 v77, 2, v29
	s_and_b32 s8, vcc_lo, s7
	v_cmp_eq_u32_e32 vcc_lo, 13, v23
	v_writelane_b32 v92, s8, 3
	v_mad_u32_u24 v42, 0xfc, v4, v38
	v_mad_i32_i24 v69, 0xffffff04, v4, v43
	s_add_nc_u64 s[76:77], s[56:57], s[12:13]
	s_and_b32 s8, vcc_lo, s7
	v_cmp_lt_u32_e32 vcc_lo, 13, v23
	v_writelane_b32 v92, s8, 4
	v_mad_i32_i24 v46, 0xffffff04, v4, v42
	s_add_nc_u64 s[64:65], s[64:65], s[14:15]
	v_mul_u32_u24_e32 v44, 0xfc, v4
	s_and_b32 s8, vcc_lo, s7
	v_cmp_eq_u32_e32 vcc_lo, 14, v23
	v_writelane_b32 v92, s8, 5
	v_mad_u32_u24 v50, 0xfc, v4, v46
	v_add_nc_u32_e32 v67, 0x4000, v62
	v_lshl_add_u32 v70, v6, 2, 0x5000
	s_and_b32 s8, vcc_lo, s7
	v_cmp_lt_u32_e32 vcc_lo, 14, v23
	v_writelane_b32 v92, s8, 6
	v_mad_i32_i24 v53, 0xffffff04, v4, v50
	v_lshl_add_u32 v72, v28, 2, 0x4000
	v_add_nc_u32_e32 v73, 0x4000, v5
	s_and_b32 s8, vcc_lo, s7
	v_cmp_eq_u32_e32 vcc_lo, 15, v23
	v_writelane_b32 v92, s8, 7
	v_mad_u32_u24 v56, 0xfc, v4, v53
	v_lshl_add_u32 v74, v2, 8, v69
	v_add_nc_u32_e32 v79, v43, v79
	s_and_b32 s8, vcc_lo, s7
	v_cmp_lt_u32_e32 vcc_lo, 15, v23
	v_writelane_b32 v92, s8, 8
	v_mad_i32_i24 v59, 0xffffff04, v4, v56
	v_subrev_nc_u32_e32 v81, 63, v4
	v_cmp_gt_u32_e64 s12, 2, v28
	s_and_b32 s8, vcc_lo, s7
	v_cmp_eq_u32_e32 vcc_lo, 16, v23
	v_writelane_b32 v92, s8, 9
	v_cmp_gt_u32_e64 s13, 12, v28
	v_cmp_gt_u32_e64 s14, 8, v28
	;; [unrolled: 1-line block ×3, first 2 shown]
	s_and_b32 s8, vcc_lo, s7
	v_cmp_lt_u32_e32 vcc_lo, 16, v23
	v_writelane_b32 v92, s8, 10
	v_cmp_gt_u32_e64 s19, 24, v28
	v_cmp_gt_u32_e64 s56, 64, v6
                                        ; implicit-def: $vgpr82
                                        ; implicit-def: $vgpr83
                                        ; implicit-def: $vgpr84
                                        ; implicit-def: $vgpr85
	v_mov_b32_e32 v27, v7
	s_and_b32 s8, vcc_lo, s7
	v_cmp_eq_u32_e32 vcc_lo, 17, v23
	v_writelane_b32 v92, s8, 11
	v_lshlrev_b32_e32 v78, 2, v21
	v_mul_u64_e32 v[18:19], s[60:61], v[26:27]
	v_or_b32_e32 v27, v24, v4
	s_and_b32 s8, vcc_lo, s7
	v_cmp_lt_u32_e32 vcc_lo, 17, v23
	v_writelane_b32 v92, s8, 12
	v_mov_b32_e32 v25, v7
	s_and_b32 s8, vcc_lo, s7
	v_cmp_eq_u32_e32 vcc_lo, 18, v23
	v_writelane_b32 v92, s8, 13
	s_delay_alu instid0(VALU_DEP_3)
	v_mul_u64_e32 v[20:21], s[60:61], v[24:25]
	v_mov_b32_e32 v25, 1.0
	s_and_b32 s8, vcc_lo, s7
	v_cmp_lt_u32_e32 vcc_lo, 18, v23
	v_writelane_b32 v92, s8, 14
	s_and_b32 s8, vcc_lo, s7
	v_cmp_eq_u32_e32 vcc_lo, 19, v23
	v_writelane_b32 v92, s8, 15
	s_and_b32 s8, vcc_lo, s7
	v_cmp_lt_u32_e32 vcc_lo, 19, v23
	v_writelane_b32 v92, s8, 16
	s_and_b32 s8, vcc_lo, s7
	v_cmp_eq_u32_e32 vcc_lo, 20, v23
	v_writelane_b32 v92, s8, 17
	;; [unrolled: 6-line block ×12, first 2 shown]
	s_and_b32 s8, vcc_lo, s7
	v_cmp_eq_u32_e32 vcc_lo, 31, v23
	v_writelane_b32 v91, s8, 6
	v_cmp_gt_u32_e64 s8, 32, v4
	v_mov_b32_e32 v23, v7
	s_and_b32 s43, vcc_lo, s7
	v_cmp_le_i32_e32 vcc_lo, s78, v4
	s_and_b32 s8, s3, s8
	s_delay_alu instid0(SALU_CYCLE_1) | instskip(SKIP_1) | instid1(SALU_CYCLE_1)
	v_writelane_b32 v91, s8, 7
	s_and_b32 s9, vcc_lo, s44
	s_xor_b32 s8, s9, -1
	v_writelane_b32 v91, s9, 8
	s_and_b32 s44, s3, s8
	v_cmp_le_i32_e64 s8, s78, v2
	s_cmp_gt_i32 s85, 0
	s_cselect_b32 s45, -1, 0
	s_wait_kmcnt 0x0
	v_writelane_b32 v91, s0, 9
	s_or_b32 s9, s8, vcc_lo
	v_cmp_le_i32_e64 s8, s78, v22
	s_add_co_i32 s57, s55, 1
	v_cmp_eq_u32_e64 s55, 0, v6
	s_or_b32 s10, s8, vcc_lo
	v_cmp_le_i32_e64 s8, s78, v26
	s_or_b32 s11, s8, vcc_lo
	v_cmp_le_i32_e64 s8, s78, v24
	s_or_b32 s18, s8, vcc_lo
	v_cmp_gt_i32_e32 vcc_lo, s78, v4
	s_lshl_b64 s[78:79], s[16:17], 2
	v_cmp_gt_u32_e64 s16, 48, v28
	v_cmp_gt_u32_e64 s17, 40, v28
	s_and_b32 s0, s3, vcc_lo
	v_cmp_gt_i32_e32 vcc_lo, s74, v8
	v_writelane_b32 v91, s0, 10
	v_cmp_gt_i32_e64 s0, s74, v14
	v_add_nc_u32_e32 v14, 0x60, v3
	s_and_b32 s1, vcc_lo, s0
	v_cmp_gt_i32_e32 vcc_lo, s74, v15
	v_writelane_b32 v91, s1, 11
	v_add_nc_u32_e32 v15, 0x70, v3
	v_mov_b32_e32 v3, v7
	s_and_b32 s1, vcc_lo, s0
	v_cmp_gt_i32_e32 vcc_lo, s74, v14
	v_writelane_b32 v91, s1, 12
	s_and_b32 s1, vcc_lo, s0
	v_cmp_gt_i32_e32 vcc_lo, s74, v15
	v_writelane_b32 v91, s1, 13
	v_mul_u64_e32 v[14:15], s[60:61], v[2:3]
	v_lshlrev_b32_e32 v3, 2, v16
	v_mul_u64_e32 v[16:17], s[60:61], v[22:23]
	s_and_b32 s1, vcc_lo, s0
	v_mad_u32_u24 v23, 0xfc, v4, v31
	v_writelane_b32 v91, s1, 14
	v_cmp_le_u32_e64 s1, v4, v2
	s_or_b32 s8, s9, s1
	s_delay_alu instid0(SALU_CYCLE_1) | instskip(SKIP_4) | instid1(SALU_CYCLE_1)
	v_writelane_b32 v91, s8, 15
	v_cmp_le_u32_e64 s8, v4, v22
	v_mul_lo_u32 v22, v23, 7
	v_mov_b32_e32 v23, v7
	s_or_b32 s9, s10, s8
	v_writelane_b32 v91, s9, 16
	v_cmp_le_u32_e64 s9, v4, v26
	s_delay_alu instid0(VALU_DEP_4)
	v_add3_u32 v80, v22, v5, 0x3c00
	s_or_b32 s10, s11, s9
	v_lshlrev_b32_e32 v22, 2, v4
	v_writelane_b32 v91, s10, 17
	v_cmp_le_u32_e64 s10, v4, v24
	s_or_b32 s11, s18, s10
	v_cmp_gt_u32_e64 s18, 32, v28
	v_writelane_b32 v91, s11, 18
	v_cmp_eq_u32_e64 s11, 0, v30
	v_writelane_b32 v91, s46, 19
	v_cmp_gt_u32_e64 s46, 0xe0, v28
	s_delay_alu instid0(VALU_DEP_1) | instskip(SKIP_1) | instid1(VALU_DEP_1)
	v_writelane_b32 v91, s46, 20
	v_cmp_gt_u32_e64 s46, 0xd0, v28
	v_writelane_b32 v91, s46, 21
	v_cmp_gt_u32_e64 s46, 0xc0, v28
	s_delay_alu instid0(VALU_DEP_1) | instskip(SKIP_1) | instid1(VALU_DEP_1)
	v_writelane_b32 v91, s46, 22
	v_cmp_gt_u32_e64 s46, 0xb0, v28
	;; [unrolled: 5-line block ×18, first 2 shown]
	v_writelane_b32 v90, s46, 23
	v_cmp_gt_u32_e64 s46, 64, v27
	s_delay_alu instid0(VALU_DEP_1)
	v_writelane_b32 v90, s46, 24
	s_branch .LBB20_3
.LBB20_2:                               ;   in Loop: Header=BB20_3 Depth=1
	s_wait_xcnt 0x0
	s_or_b32 exec_lo, exec_lo, s46
	v_readlane_b32 s46, v93, 0
	s_add_co_i32 s72, s72, 0x10000
	global_wb scope:SCOPE_DEV
	s_wait_storecnt 0x0
	global_inv scope:SCOPE_DEV
	s_cmp_lt_u32 s72, s46
	s_cbranch_scc0 .LBB20_1225
.LBB20_3:                               ; =>This Loop Header: Depth=1
                                        ;     Child Loop BB20_1094 Depth 2
                                        ;       Child Loop BB20_1096 Depth 3
                                        ;     Child Loop BB20_1131 Depth 2
	s_mul_u64 s[46:47], s[62:63], s[72:73]
	s_delay_alu instid0(SALU_CYCLE_1) | instskip(NEXT) | instid1(SALU_CYCLE_1)
	s_lshl_b64 s[46:47], s[46:47], 2
	s_add_nc_u64 s[80:81], s[76:77], s[46:47]
	v_readlane_b32 s46, v93, 1
	v_lshl_add_u64 v[26:27], v[10:11], 2, s[80:81]
	s_and_not1_b32 vcc_lo, exec_lo, s46
	s_cbranch_vccnz .LBB20_13
; %bb.4:                                ;   in Loop: Header=BB20_3 Depth=1
	s_delay_alu instid0(VALU_DEP_1)
	v_lshl_add_u64 v[28:29], v[8:9], 2, v[26:27]
	v_dual_mov_b32 v83, 0 :: v_dual_mov_b32 v82, 0
	s_barrier_signal -1
	s_barrier_wait -1
	s_mov_b32 s46, exec_lo
	v_readlane_b32 s47, v91, 11
	s_and_b32 s47, s46, s47
	s_delay_alu instid0(SALU_CYCLE_1)
	s_mov_b32 exec_lo, s47
	s_cbranch_execz .LBB20_6
; %bb.5:                                ;   in Loop: Header=BB20_3 Depth=1
	global_load_b32 v82, v[28:29], off
.LBB20_6:                               ;   in Loop: Header=BB20_3 Depth=1
	s_wait_xcnt 0x0
	s_or_b32 exec_lo, exec_lo, s46
	s_wait_loadcnt 0x0
	s_barrier_signal -1
	s_barrier_wait -1
	s_mov_b32 s46, exec_lo
	v_readlane_b32 s47, v91, 12
	s_and_b32 s47, s46, s47
	s_delay_alu instid0(SALU_CYCLE_1)
	s_mov_b32 exec_lo, s47
	s_cbranch_execz .LBB20_8
; %bb.7:                                ;   in Loop: Header=BB20_3 Depth=1
	global_load_b32 v83, v[28:29], off offset:64
.LBB20_8:                               ;   in Loop: Header=BB20_3 Depth=1
	s_wait_xcnt 0x0
	s_or_b32 exec_lo, exec_lo, s46
	v_dual_mov_b32 v85, 0 :: v_dual_mov_b32 v84, 0
	s_wait_loadcnt 0x0
	s_barrier_signal -1
	s_barrier_wait -1
	s_mov_b32 s46, exec_lo
	v_readlane_b32 s47, v91, 13
	s_and_b32 s47, s46, s47
	s_delay_alu instid0(SALU_CYCLE_1)
	s_mov_b32 exec_lo, s47
	s_cbranch_execz .LBB20_10
; %bb.9:                                ;   in Loop: Header=BB20_3 Depth=1
	global_load_b32 v84, v[28:29], off offset:128
.LBB20_10:                              ;   in Loop: Header=BB20_3 Depth=1
	s_wait_xcnt 0x0
	s_or_b32 exec_lo, exec_lo, s46
	s_wait_loadcnt 0x0
	s_barrier_signal -1
	s_barrier_wait -1
	s_mov_b32 s46, exec_lo
	v_readlane_b32 s47, v91, 14
	s_and_b32 s47, s46, s47
	s_delay_alu instid0(SALU_CYCLE_1)
	s_mov_b32 exec_lo, s47
	s_cbranch_execz .LBB20_12
; %bb.11:                               ;   in Loop: Header=BB20_3 Depth=1
	global_load_b32 v85, v[28:29], off offset:192
.LBB20_12:                              ;   in Loop: Header=BB20_3 Depth=1
	s_wait_xcnt 0x0
	s_or_b32 exec_lo, exec_lo, s46
.LBB20_13:                              ;   in Loop: Header=BB20_3 Depth=1
	s_add_nc_u64 s[46:47], s[80:81], s[78:79]
	s_and_not1_b32 vcc_lo, exec_lo, s87
	v_add_nc_u64_e32 v[28:29], s[46:47], v[22:23]
	s_mov_b32 s46, -1
	s_cbranch_vccnz .LBB20_24
; %bb.14:                               ;   in Loop: Header=BB20_3 Depth=1
	s_and_saveexec_b32 s46, s1
	s_delay_alu instid0(SALU_CYCLE_1)
	s_xor_b32 s46, exec_lo, s46
	s_cbranch_execnz .LBB20_1153
; %bb.15:                               ;   in Loop: Header=BB20_3 Depth=1
	s_and_not1_saveexec_b32 s46, s46
	s_cbranch_execnz .LBB20_1156
.LBB20_16:                              ;   in Loop: Header=BB20_3 Depth=1
	s_or_b32 exec_lo, exec_lo, s46
	s_and_saveexec_b32 s46, s8
	s_delay_alu instid0(SALU_CYCLE_1)
	s_xor_b32 s46, exec_lo, s46
	s_cbranch_execnz .LBB20_1157
.LBB20_17:                              ;   in Loop: Header=BB20_3 Depth=1
	s_and_not1_saveexec_b32 s46, s46
	s_cbranch_execnz .LBB20_1160
.LBB20_18:                              ;   in Loop: Header=BB20_3 Depth=1
	s_or_b32 exec_lo, exec_lo, s46
	s_and_saveexec_b32 s46, s9
	s_delay_alu instid0(SALU_CYCLE_1)
	s_xor_b32 s46, exec_lo, s46
	s_cbranch_execnz .LBB20_1161
.LBB20_19:                              ;   in Loop: Header=BB20_3 Depth=1
	s_and_not1_saveexec_b32 s46, s46
	s_cbranch_execnz .LBB20_1164
.LBB20_20:                              ;   in Loop: Header=BB20_3 Depth=1
	s_or_b32 exec_lo, exec_lo, s46
	s_and_saveexec_b32 s46, s10
	s_delay_alu instid0(SALU_CYCLE_1)
	s_xor_b32 s46, exec_lo, s46
	s_cbranch_execnz .LBB20_1165
.LBB20_21:                              ;   in Loop: Header=BB20_3 Depth=1
	s_and_not1_saveexec_b32 s46, s46
	s_cbranch_execz .LBB20_23
.LBB20_22:                              ;   in Loop: Header=BB20_3 Depth=1
	v_lshl_add_u64 v[30:31], v[20:21], 2, v[28:29]
	global_load_b32 v24, v[30:31], off
	s_wait_loadcnt 0x0
	v_xor_b32_e32 v24, 0x80000000, v24
	ds_store_b32 v78, v24
.LBB20_23:                              ;   in Loop: Header=BB20_3 Depth=1
	s_or_b32 exec_lo, exec_lo, s46
	s_mov_b32 s46, 0
.LBB20_24:                              ;   in Loop: Header=BB20_3 Depth=1
	s_delay_alu instid0(SALU_CYCLE_1)
	s_and_b32 vcc_lo, exec_lo, s46
	s_cbranch_vccz .LBB20_50
; %bb.25:                               ;   in Loop: Header=BB20_3 Depth=1
	s_mov_b32 s46, exec_lo
	v_readlane_b32 s47, v91, 15
	s_and_b32 s47, s46, s47
	s_delay_alu instid0(SALU_CYCLE_1)
	s_xor_b32 s46, s47, s46
	s_mov_b32 exec_lo, s47
	s_cbranch_execz .LBB20_29
; %bb.26:                               ;   in Loop: Header=BB20_3 Depth=1
	s_mov_b32 s47, exec_lo
	v_readlane_b32 s48, v90, 21
	s_and_b32 s48, s47, s48
	s_delay_alu instid0(SALU_CYCLE_1)
	s_mov_b32 exec_lo, s48
; %bb.27:                               ;   in Loop: Header=BB20_3 Depth=1
	ds_store_b32 v79, v7
; %bb.28:                               ;   in Loop: Header=BB20_3 Depth=1
	s_or_b32 exec_lo, exec_lo, s47
.LBB20_29:                              ;   in Loop: Header=BB20_3 Depth=1
	s_and_not1_saveexec_b32 s46, s46
	s_cbranch_execz .LBB20_31
; %bb.30:                               ;   in Loop: Header=BB20_3 Depth=1
	v_lshl_add_u64 v[30:31], v[14:15], 2, v[28:29]
	global_load_b32 v24, v[30:31], off
	s_wait_loadcnt 0x0
	v_xor_b32_e32 v24, 0x80000000, v24
	ds_store_b32 v79, v24
.LBB20_31:                              ;   in Loop: Header=BB20_3 Depth=1
	s_or_b32 exec_lo, exec_lo, s46
	s_delay_alu instid0(SALU_CYCLE_1) | instskip(SKIP_2) | instid1(SALU_CYCLE_1)
	s_mov_b32 s46, exec_lo
	v_readlane_b32 s47, v91, 16
	s_and_b32 s47, s46, s47
	s_xor_b32 s46, s47, s46
	s_mov_b32 exec_lo, s47
	s_cbranch_execz .LBB20_35
; %bb.32:                               ;   in Loop: Header=BB20_3 Depth=1
	s_mov_b32 s47, exec_lo
	v_readlane_b32 s48, v90, 22
	s_and_b32 s48, s47, s48
	s_delay_alu instid0(SALU_CYCLE_1)
	s_mov_b32 exec_lo, s48
; %bb.33:                               ;   in Loop: Header=BB20_3 Depth=1
	ds_store_b32 v3, v7
; %bb.34:                               ;   in Loop: Header=BB20_3 Depth=1
	s_or_b32 exec_lo, exec_lo, s47
.LBB20_35:                              ;   in Loop: Header=BB20_3 Depth=1
	s_and_not1_saveexec_b32 s46, s46
	s_cbranch_execz .LBB20_37
; %bb.36:                               ;   in Loop: Header=BB20_3 Depth=1
	v_lshl_add_u64 v[30:31], v[16:17], 2, v[28:29]
	global_load_b32 v24, v[30:31], off
	s_wait_loadcnt 0x0
	v_xor_b32_e32 v24, 0x80000000, v24
	ds_store_b32 v3, v24
.LBB20_37:                              ;   in Loop: Header=BB20_3 Depth=1
	s_or_b32 exec_lo, exec_lo, s46
	s_delay_alu instid0(SALU_CYCLE_1) | instskip(SKIP_2) | instid1(SALU_CYCLE_1)
	s_mov_b32 s46, exec_lo
	v_readlane_b32 s47, v91, 17
	s_and_b32 s47, s46, s47
	;; [unrolled: 28-line block ×3, first 2 shown]
	s_xor_b32 s46, s47, s46
	s_mov_b32 exec_lo, s47
	s_cbranch_execz .LBB20_47
; %bb.44:                               ;   in Loop: Header=BB20_3 Depth=1
	s_mov_b32 s47, exec_lo
	v_readlane_b32 s48, v90, 24
	s_and_b32 s48, s47, s48
	s_delay_alu instid0(SALU_CYCLE_1)
	s_mov_b32 exec_lo, s48
; %bb.45:                               ;   in Loop: Header=BB20_3 Depth=1
	ds_store_b32 v78, v7
; %bb.46:                               ;   in Loop: Header=BB20_3 Depth=1
	s_or_b32 exec_lo, exec_lo, s47
                                        ; implicit-def: $vgpr28_vgpr29
.LBB20_47:                              ;   in Loop: Header=BB20_3 Depth=1
	s_and_not1_saveexec_b32 s46, s46
	s_cbranch_execz .LBB20_49
; %bb.48:                               ;   in Loop: Header=BB20_3 Depth=1
	v_lshl_add_u64 v[28:29], v[20:21], 2, v[28:29]
	global_load_b32 v24, v[28:29], off
	s_wait_loadcnt 0x0
	v_xor_b32_e32 v24, 0x80000000, v24
	ds_store_b32 v78, v24
.LBB20_49:                              ;   in Loop: Header=BB20_3 Depth=1
	s_or_b32 exec_lo, exec_lo, s46
.LBB20_50:                              ;   in Loop: Header=BB20_3 Depth=1
	s_delay_alu instid0(SALU_CYCLE_1)
	s_and_not1_b32 vcc_lo, exec_lo, s89
	s_wait_loadcnt_dscnt 0x0
	s_barrier_signal -1
	s_barrier_wait -1
	s_cbranch_vccnz .LBB20_1088
; %bb.51:                               ;   in Loop: Header=BB20_3 Depth=1
	s_and_saveexec_b32 s46, s11
	s_cbranch_execz .LBB20_53
; %bb.52:                               ;   in Loop: Header=BB20_3 Depth=1
	ds_load_b32 v24, v7 offset:4
	ds_store_b32 v7, v25
	s_wait_dscnt 0x1
	ds_store_b64 v7, v[24:25] offset:256
.LBB20_53:                              ;   in Loop: Header=BB20_3 Depth=1
	s_or_b32 exec_lo, exec_lo, s46
	v_mov_b32_e32 v24, 0
	s_wait_dscnt 0x0
	s_barrier_signal -1
	s_barrier_wait -1
	s_and_saveexec_b32 s46, s2
	s_cbranch_execz .LBB20_57
; %bb.54:                               ;   in Loop: Header=BB20_3 Depth=1
	ds_load_b32 v24, v39 offset:8
	ds_load_b32 v28, v40
	s_wait_dscnt 0x0
	v_fma_f32 v24, v24, v28, 0
	s_and_saveexec_b32 s47, s12
	s_cbranch_execz .LBB20_56
; %bb.55:                               ;   in Loop: Header=BB20_3 Depth=1
	ds_load_b32 v28, v5 offset:264
	ds_load_b32 v29, v7 offset:4
	s_wait_dscnt 0x0
	v_fmac_f32_e32 v24, v28, v29
.LBB20_56:                              ;   in Loop: Header=BB20_3 Depth=1
	s_or_b32 exec_lo, exec_lo, s47
	s_delay_alu instid0(VALU_DEP_1)
	v_xor_b32_e32 v24, 0x80000000, v24
.LBB20_57:                              ;   in Loop: Header=BB20_3 Depth=1
	s_or_b32 exec_lo, exec_lo, s46
	s_and_saveexec_b32 s46, s90
; %bb.58:                               ;   in Loop: Header=BB20_3 Depth=1
	ds_store_b32 v37, v24
; %bb.59:                               ;   in Loop: Header=BB20_3 Depth=1
	s_or_b32 exec_lo, exec_lo, s46
	s_wait_dscnt 0x0
	s_barrier_signal -1
	s_barrier_wait -1
	s_and_saveexec_b32 s46, s91
	s_cbranch_execz .LBB20_61
; %bb.60:                               ;   in Loop: Header=BB20_3 Depth=1
	ds_load_b32 v28, v7 offset:524
	ds_load_b32 v29, v37
	s_wait_dscnt 0x0
	v_fmac_f32_e32 v24, v28, v29
.LBB20_61:                              ;   in Loop: Header=BB20_3 Depth=1
	s_or_b32 exec_lo, exec_lo, s46
	s_barrier_signal -1
	s_barrier_wait -1
	s_and_saveexec_b32 s46, s91
; %bb.62:                               ;   in Loop: Header=BB20_3 Depth=1
	ds_store_b32 v37, v24
; %bb.63:                               ;   in Loop: Header=BB20_3 Depth=1
	s_or_b32 exec_lo, exec_lo, s46
	s_wait_dscnt 0x0
	s_barrier_signal -1
	s_barrier_wait -1
	s_barrier_signal -1
	s_barrier_wait -1
	s_and_saveexec_b32 s46, s2
; %bb.64:                               ;   in Loop: Header=BB20_3 Depth=1
	v_xor_b32_e32 v24, 0x80000000, v24
	ds_store_b32 v39, v24 offset:8
; %bb.65:                               ;   in Loop: Header=BB20_3 Depth=1
	s_or_b32 exec_lo, exec_lo, s46
	s_wait_dscnt 0x0
	s_barrier_signal -1
	s_barrier_wait -1
	s_barrier_signal -1
	s_barrier_wait -1
	s_and_saveexec_b32 s46, s92
	s_cbranch_execz .LBB20_67
; %bb.66:                               ;   in Loop: Header=BB20_3 Depth=1
	ds_load_b32 v24, v32 offset:8
	s_wait_dscnt 0x0
	ds_store_b32 v5, v24 offset:512
	ds_load_b32 v24, v32 offset:12
	s_wait_dscnt 0x0
	ds_store_b32 v5, v24 offset:768
.LBB20_67:                              ;   in Loop: Header=BB20_3 Depth=1
	s_or_b32 exec_lo, exec_lo, s46
	s_wait_dscnt 0x0
	s_barrier_signal -1
	s_barrier_wait -1
	s_and_saveexec_b32 s46, s11
	s_cbranch_execz .LBB20_69
; %bb.68:                               ;   in Loop: Header=BB20_3 Depth=1
	ds_load_b32 v24, v7 offset:524
	ds_store_b32 v7, v25 offset:520
	s_wait_dscnt 0x1
	ds_store_b64 v7, v[24:25] offset:776
.LBB20_69:                              ;   in Loop: Header=BB20_3 Depth=1
	s_or_b32 exec_lo, exec_lo, s46
	v_mov_b32_e32 v24, 0
	s_wait_dscnt 0x0
	s_barrier_signal -1
	s_barrier_wait -1
	s_and_saveexec_b32 s61, s4
	s_cbranch_execz .LBB20_75
; %bb.70:                               ;   in Loop: Header=BB20_3 Depth=1
	ds_load_b32 v24, v48 offset:16
	ds_load_b32 v28, v41
	s_wait_dscnt 0x0
	v_fma_f32 v24, v24, v28, 0
	s_and_saveexec_b32 s46, s13
	s_cbranch_execnz .LBB20_1175
; %bb.71:                               ;   in Loop: Header=BB20_3 Depth=1
	s_or_b32 exec_lo, exec_lo, s46
	s_and_saveexec_b32 s46, s14
	s_cbranch_execnz .LBB20_1176
.LBB20_72:                              ;   in Loop: Header=BB20_3 Depth=1
	s_or_b32 exec_lo, exec_lo, s46
	s_and_saveexec_b32 s46, s2
	s_cbranch_execz .LBB20_74
.LBB20_73:                              ;   in Loop: Header=BB20_3 Depth=1
	ds_load_b32 v28, v33 offset:784
	ds_load_b32 v29, v7 offset:12
	s_wait_dscnt 0x0
	v_fmac_f32_e32 v24, v28, v29
.LBB20_74:                              ;   in Loop: Header=BB20_3 Depth=1
	s_or_b32 exec_lo, exec_lo, s46
	s_delay_alu instid0(VALU_DEP_1)
	v_xor_b32_e32 v24, 0x80000000, v24
.LBB20_75:                              ;   in Loop: Header=BB20_3 Depth=1
	s_or_b32 exec_lo, exec_lo, s61
	s_and_saveexec_b32 s46, s93
; %bb.76:                               ;   in Loop: Header=BB20_3 Depth=1
	ds_store_b32 v47, v24
; %bb.77:                               ;   in Loop: Header=BB20_3 Depth=1
	s_or_b32 exec_lo, exec_lo, s46
	s_wait_dscnt 0x0
	s_barrier_signal -1
	s_barrier_wait -1
	s_and_saveexec_b32 s46, s94
	s_cbranch_execz .LBB20_79
; %bb.78:                               ;   in Loop: Header=BB20_3 Depth=1
	ds_load_b32 v28, v45 offset:1040
	ds_load_b32 v29, v47
	s_wait_dscnt 0x0
	v_fmac_f32_e32 v24, v28, v29
.LBB20_79:                              ;   in Loop: Header=BB20_3 Depth=1
	s_or_b32 exec_lo, exec_lo, s46
	s_barrier_signal -1
	s_barrier_wait -1
	s_and_saveexec_b32 s46, s95
; %bb.80:                               ;   in Loop: Header=BB20_3 Depth=1
	ds_store_b32 v47, v24
; %bb.81:                               ;   in Loop: Header=BB20_3 Depth=1
	s_or_b32 exec_lo, exec_lo, s46
	s_wait_dscnt 0x0
	s_barrier_signal -1
	s_barrier_wait -1
	s_and_saveexec_b32 s46, s96
	s_cbranch_execz .LBB20_83
; %bb.82:                               ;   in Loop: Header=BB20_3 Depth=1
	ds_load_b32 v28, v45 offset:1296
	ds_load_b32 v29, v47
	s_wait_dscnt 0x0
	v_fmac_f32_e32 v24, v28, v29
.LBB20_83:                              ;   in Loop: Header=BB20_3 Depth=1
	s_or_b32 exec_lo, exec_lo, s46
	s_barrier_signal -1
	s_barrier_wait -1
	;; [unrolled: 19-line block ×3, first 2 shown]
	s_and_saveexec_b32 s46, s98
; %bb.88:                               ;   in Loop: Header=BB20_3 Depth=1
	ds_store_b32 v47, v24
; %bb.89:                               ;   in Loop: Header=BB20_3 Depth=1
	s_or_b32 exec_lo, exec_lo, s46
	s_wait_dscnt 0x0
	s_barrier_signal -1
	s_barrier_wait -1
	s_barrier_signal -1
	s_barrier_wait -1
	s_and_saveexec_b32 s46, s4
; %bb.90:                               ;   in Loop: Header=BB20_3 Depth=1
	v_xor_b32_e32 v24, 0x80000000, v24
	ds_store_b32 v48, v24 offset:16
; %bb.91:                               ;   in Loop: Header=BB20_3 Depth=1
	s_or_b32 exec_lo, exec_lo, s46
	s_wait_dscnt 0x0
	s_barrier_signal -1
	s_barrier_wait -1
	s_barrier_signal -1
	s_barrier_wait -1
	s_and_saveexec_b32 s46, s99
	s_cbranch_execz .LBB20_93
; %bb.92:                               ;   in Loop: Header=BB20_3 Depth=1
	ds_load_b32 v24, v34 offset:16
	s_wait_dscnt 0x0
	ds_store_b32 v35, v24 offset:1024
	ds_load_b32 v24, v34 offset:20
	s_wait_dscnt 0x0
	ds_store_b32 v35, v24 offset:1280
	;; [unrolled: 3-line block ×4, first 2 shown]
.LBB20_93:                              ;   in Loop: Header=BB20_3 Depth=1
	s_or_b32 exec_lo, exec_lo, s46
	s_wait_dscnt 0x0
	s_barrier_signal -1
	s_barrier_wait -1
	s_and_saveexec_b32 s46, s11
	s_cbranch_execz .LBB20_95
; %bb.94:                               ;   in Loop: Header=BB20_3 Depth=1
	ds_load_b32 v24, v7 offset:1044
	ds_store_b32 v7, v25 offset:1040
	s_wait_dscnt 0x1
	ds_store_b64 v7, v[24:25] offset:1296
.LBB20_95:                              ;   in Loop: Header=BB20_3 Depth=1
	s_or_b32 exec_lo, exec_lo, s46
	v_mov_b32_e32 v24, 0
	s_wait_dscnt 0x0
	s_barrier_signal -1
	s_barrier_wait -1
	s_and_saveexec_b32 s46, s2
	s_cbranch_execz .LBB20_99
; %bb.96:                               ;   in Loop: Header=BB20_3 Depth=1
	ds_load_b32 v24, v39 offset:1048
	ds_load_b32 v28, v40 offset:1040
	s_wait_dscnt 0x0
	v_fma_f32 v24, v24, v28, 0
	s_and_saveexec_b32 s47, s12
	s_cbranch_execz .LBB20_98
; %bb.97:                               ;   in Loop: Header=BB20_3 Depth=1
	ds_load_b32 v28, v35 offset:1304
	ds_load_b32 v29, v7 offset:1044
	s_wait_dscnt 0x0
	v_fmac_f32_e32 v24, v28, v29
.LBB20_98:                              ;   in Loop: Header=BB20_3 Depth=1
	s_or_b32 exec_lo, exec_lo, s47
	s_delay_alu instid0(VALU_DEP_1)
	v_xor_b32_e32 v24, 0x80000000, v24
.LBB20_99:                              ;   in Loop: Header=BB20_3 Depth=1
	s_or_b32 exec_lo, exec_lo, s46
	s_and_saveexec_b32 s46, s90
; %bb.100:                              ;   in Loop: Header=BB20_3 Depth=1
	ds_store_b32 v37, v24
; %bb.101:                              ;   in Loop: Header=BB20_3 Depth=1
	s_or_b32 exec_lo, exec_lo, s46
	s_wait_dscnt 0x0
	s_barrier_signal -1
	s_barrier_wait -1
	s_and_saveexec_b32 s46, s91
	s_cbranch_execz .LBB20_103
; %bb.102:                              ;   in Loop: Header=BB20_3 Depth=1
	ds_load_b32 v28, v7 offset:1564
	ds_load_b32 v29, v37
	s_wait_dscnt 0x0
	v_fmac_f32_e32 v24, v28, v29
.LBB20_103:                             ;   in Loop: Header=BB20_3 Depth=1
	s_or_b32 exec_lo, exec_lo, s46
	s_barrier_signal -1
	s_barrier_wait -1
	s_and_saveexec_b32 s46, s91
; %bb.104:                              ;   in Loop: Header=BB20_3 Depth=1
	ds_store_b32 v37, v24
; %bb.105:                              ;   in Loop: Header=BB20_3 Depth=1
	s_or_b32 exec_lo, exec_lo, s46
	s_wait_dscnt 0x0
	s_barrier_signal -1
	s_barrier_wait -1
	s_barrier_signal -1
	s_barrier_wait -1
	s_and_saveexec_b32 s46, s2
; %bb.106:                              ;   in Loop: Header=BB20_3 Depth=1
	v_xor_b32_e32 v24, 0x80000000, v24
	ds_store_b32 v39, v24 offset:1048
; %bb.107:                              ;   in Loop: Header=BB20_3 Depth=1
	s_or_b32 exec_lo, exec_lo, s46
	s_wait_dscnt 0x0
	s_barrier_signal -1
	s_barrier_wait -1
	s_barrier_signal -1
	s_barrier_wait -1
	s_and_saveexec_b32 s46, s92
	s_cbranch_execz .LBB20_109
; %bb.108:                              ;   in Loop: Header=BB20_3 Depth=1
	ds_load_b32 v24, v36 offset:1048
	s_wait_dscnt 0x0
	ds_store_b32 v35, v24 offset:1552
	ds_load_b32 v24, v36 offset:1052
	s_wait_dscnt 0x0
	ds_store_b32 v35, v24 offset:1808
.LBB20_109:                             ;   in Loop: Header=BB20_3 Depth=1
	s_or_b32 exec_lo, exec_lo, s46
	s_wait_dscnt 0x0
	s_barrier_signal -1
	s_barrier_wait -1
	s_and_saveexec_b32 s46, s11
	s_cbranch_execz .LBB20_111
; %bb.110:                              ;   in Loop: Header=BB20_3 Depth=1
	ds_load_b32 v24, v7 offset:1564
	ds_store_b32 v7, v25 offset:1560
	s_wait_dscnt 0x1
	ds_store_b64 v7, v[24:25] offset:1816
.LBB20_111:                             ;   in Loop: Header=BB20_3 Depth=1
	s_or_b32 exec_lo, exec_lo, s46
	v_mov_b32_e32 v24, 0
	s_wait_dscnt 0x0
	s_barrier_signal -1
	s_barrier_wait -1
	s_and_saveexec_b32 s61, s5
	s_cbranch_execz .LBB20_121
; %bb.112:                              ;   in Loop: Header=BB20_3 Depth=1
	ds_load_b32 v24, v55 offset:32
	ds_load_b32 v28, v51
	s_wait_dscnt 0x0
	v_fma_f32 v24, v24, v28, 0
	s_and_saveexec_b32 s46, s15
	s_cbranch_execnz .LBB20_1177
; %bb.113:                              ;   in Loop: Header=BB20_3 Depth=1
	s_or_b32 exec_lo, exec_lo, s46
	s_and_saveexec_b32 s46, s16
	s_cbranch_execnz .LBB20_1178
.LBB20_114:                             ;   in Loop: Header=BB20_3 Depth=1
	s_or_b32 exec_lo, exec_lo, s46
	s_and_saveexec_b32 s46, s17
	s_cbranch_execnz .LBB20_1179
.LBB20_115:                             ;   in Loop: Header=BB20_3 Depth=1
	s_or_b32 exec_lo, exec_lo, s46
	s_and_saveexec_b32 s46, s18
	s_cbranch_execnz .LBB20_1180
.LBB20_116:                             ;   in Loop: Header=BB20_3 Depth=1
	s_or_b32 exec_lo, exec_lo, s46
	s_and_saveexec_b32 s46, s19
	s_cbranch_execnz .LBB20_1181
.LBB20_117:                             ;   in Loop: Header=BB20_3 Depth=1
	s_or_b32 exec_lo, exec_lo, s46
	s_and_saveexec_b32 s46, s4
	s_cbranch_execnz .LBB20_1182
.LBB20_118:                             ;   in Loop: Header=BB20_3 Depth=1
	s_or_b32 exec_lo, exec_lo, s46
	s_and_saveexec_b32 s46, s14
	s_cbranch_execz .LBB20_120
.LBB20_119:                             ;   in Loop: Header=BB20_3 Depth=1
	ds_load_b32 v28, v38 offset:1824
	ds_load_b32 v29, v7 offset:28
	s_wait_dscnt 0x0
	v_fmac_f32_e32 v24, v28, v29
.LBB20_120:                             ;   in Loop: Header=BB20_3 Depth=1
	s_or_b32 exec_lo, exec_lo, s46
	s_delay_alu instid0(VALU_DEP_1)
	v_xor_b32_e32 v24, 0x80000000, v24
.LBB20_121:                             ;   in Loop: Header=BB20_3 Depth=1
	s_or_b32 exec_lo, exec_lo, s61
	s_and_saveexec_b32 s46, s100
; %bb.122:                              ;   in Loop: Header=BB20_3 Depth=1
	ds_store_b32 v54, v24
; %bb.123:                              ;   in Loop: Header=BB20_3 Depth=1
	s_or_b32 exec_lo, exec_lo, s46
	s_wait_dscnt 0x0
	s_barrier_signal -1
	s_barrier_wait -1
	s_and_saveexec_b32 s46, s101
	s_cbranch_execz .LBB20_125
; %bb.124:                              ;   in Loop: Header=BB20_3 Depth=1
	ds_load_b32 v28, v52 offset:2080
	ds_load_b32 v29, v54
	s_wait_dscnt 0x0
	v_fmac_f32_e32 v24, v28, v29
.LBB20_125:                             ;   in Loop: Header=BB20_3 Depth=1
	s_or_b32 exec_lo, exec_lo, s46
	s_barrier_signal -1
	s_barrier_wait -1
	s_and_saveexec_b32 s46, s102
; %bb.126:                              ;   in Loop: Header=BB20_3 Depth=1
	ds_store_b32 v54, v24
; %bb.127:                              ;   in Loop: Header=BB20_3 Depth=1
	s_or_b32 exec_lo, exec_lo, s46
	s_wait_dscnt 0x0
	s_barrier_signal -1
	s_barrier_wait -1
	s_and_saveexec_b32 s46, s103
	s_cbranch_execz .LBB20_129
; %bb.128:                              ;   in Loop: Header=BB20_3 Depth=1
	ds_load_b32 v28, v52 offset:2336
	ds_load_b32 v29, v54
	s_wait_dscnt 0x0
	v_fmac_f32_e32 v24, v28, v29
.LBB20_129:                             ;   in Loop: Header=BB20_3 Depth=1
	s_or_b32 exec_lo, exec_lo, s46
	s_barrier_signal -1
	s_barrier_wait -1
	s_and_saveexec_b32 s46, s104
; %bb.130:                              ;   in Loop: Header=BB20_3 Depth=1
	ds_store_b32 v54, v24
; %bb.131:                              ;   in Loop: Header=BB20_3 Depth=1
	s_or_b32 exec_lo, exec_lo, s46
	s_wait_dscnt 0x0
	s_barrier_signal -1
	s_barrier_wait -1
	s_and_saveexec_b32 s46, vcc_hi
	s_cbranch_execz .LBB20_133
; %bb.132:                              ;   in Loop: Header=BB20_3 Depth=1
	ds_load_b32 v28, v52 offset:2592
	ds_load_b32 v29, v54
	s_wait_dscnt 0x0
	v_fmac_f32_e32 v24, v28, v29
.LBB20_133:                             ;   in Loop: Header=BB20_3 Depth=1
	s_or_b32 exec_lo, exec_lo, s46
	s_barrier_signal -1
	s_barrier_wait -1
	s_and_saveexec_b32 s46, s31
; %bb.134:                              ;   in Loop: Header=BB20_3 Depth=1
	ds_store_b32 v54, v24
; %bb.135:                              ;   in Loop: Header=BB20_3 Depth=1
	s_or_b32 exec_lo, exec_lo, s46
	s_wait_dscnt 0x0
	s_barrier_signal -1
	s_barrier_wait -1
	s_and_saveexec_b32 s46, s33
	s_cbranch_execz .LBB20_137
; %bb.136:                              ;   in Loop: Header=BB20_3 Depth=1
	ds_load_b32 v28, v52 offset:2848
	ds_load_b32 v29, v54
	s_wait_dscnt 0x0
	v_fmac_f32_e32 v24, v28, v29
.LBB20_137:                             ;   in Loop: Header=BB20_3 Depth=1
	s_or_b32 exec_lo, exec_lo, s46
	s_barrier_signal -1
	s_barrier_wait -1
	s_and_saveexec_b32 s46, s34
; %bb.138:                              ;   in Loop: Header=BB20_3 Depth=1
	ds_store_b32 v54, v24
; %bb.139:                              ;   in Loop: Header=BB20_3 Depth=1
	s_or_b32 exec_lo, exec_lo, s46
	s_wait_dscnt 0x0
	s_barrier_signal -1
	s_barrier_wait -1
	s_and_saveexec_b32 s46, s35
	;; [unrolled: 19-line block ×4, first 2 shown]
	s_cbranch_execz .LBB20_149
; %bb.148:                              ;   in Loop: Header=BB20_3 Depth=1
	ds_load_b32 v28, v7 offset:3644
	ds_load_b32 v29, v54
	s_wait_dscnt 0x0
	v_fmac_f32_e32 v24, v28, v29
.LBB20_149:                             ;   in Loop: Header=BB20_3 Depth=1
	s_or_b32 exec_lo, exec_lo, s46
	s_barrier_signal -1
	s_barrier_wait -1
	s_and_saveexec_b32 s46, s39
; %bb.150:                              ;   in Loop: Header=BB20_3 Depth=1
	ds_store_b32 v54, v24
; %bb.151:                              ;   in Loop: Header=BB20_3 Depth=1
	s_or_b32 exec_lo, exec_lo, s46
	s_wait_dscnt 0x0
	s_barrier_signal -1
	s_barrier_wait -1
	s_barrier_signal -1
	s_barrier_wait -1
	s_and_saveexec_b32 s46, s5
; %bb.152:                              ;   in Loop: Header=BB20_3 Depth=1
	v_xor_b32_e32 v24, 0x80000000, v24
	ds_store_b32 v55, v24 offset:32
; %bb.153:                              ;   in Loop: Header=BB20_3 Depth=1
	s_or_b32 exec_lo, exec_lo, s46
	s_wait_dscnt 0x0
	s_barrier_signal -1
	s_barrier_wait -1
	s_barrier_signal -1
	s_barrier_wait -1
	s_and_saveexec_b32 s46, s40
	s_cbranch_execz .LBB20_155
; %bb.154:                              ;   in Loop: Header=BB20_3 Depth=1
	ds_load_b32 v24, v42 offset:32
	s_wait_dscnt 0x0
	ds_store_b32 v46, v24 offset:2048
	ds_load_b32 v24, v42 offset:36
	s_wait_dscnt 0x0
	ds_store_b32 v46, v24 offset:2304
	;; [unrolled: 3-line block ×8, first 2 shown]
.LBB20_155:                             ;   in Loop: Header=BB20_3 Depth=1
	s_or_b32 exec_lo, exec_lo, s46
	s_wait_dscnt 0x0
	s_barrier_signal -1
	s_barrier_wait -1
	s_and_saveexec_b32 s46, s11
	s_cbranch_execz .LBB20_157
; %bb.156:                              ;   in Loop: Header=BB20_3 Depth=1
	ds_load_b32 v24, v7 offset:2084
	ds_store_b32 v7, v25 offset:2080
	s_wait_dscnt 0x1
	ds_store_b64 v7, v[24:25] offset:2336
.LBB20_157:                             ;   in Loop: Header=BB20_3 Depth=1
	s_or_b32 exec_lo, exec_lo, s46
	v_mov_b32_e32 v24, 0
	s_wait_dscnt 0x0
	s_barrier_signal -1
	s_barrier_wait -1
	s_and_saveexec_b32 s46, s2
	s_cbranch_execz .LBB20_161
; %bb.158:                              ;   in Loop: Header=BB20_3 Depth=1
	ds_load_b32 v24, v39 offset:2088
	ds_load_b32 v28, v40 offset:2080
	s_wait_dscnt 0x0
	v_fma_f32 v24, v24, v28, 0
	s_and_saveexec_b32 s47, s12
	s_cbranch_execz .LBB20_160
; %bb.159:                              ;   in Loop: Header=BB20_3 Depth=1
	ds_load_b32 v28, v46 offset:2344
	ds_load_b32 v29, v7 offset:2084
	s_wait_dscnt 0x0
	v_fmac_f32_e32 v24, v28, v29
.LBB20_160:                             ;   in Loop: Header=BB20_3 Depth=1
	s_or_b32 exec_lo, exec_lo, s47
	s_delay_alu instid0(VALU_DEP_1)
	v_xor_b32_e32 v24, 0x80000000, v24
.LBB20_161:                             ;   in Loop: Header=BB20_3 Depth=1
	s_or_b32 exec_lo, exec_lo, s46
	s_and_saveexec_b32 s46, s90
; %bb.162:                              ;   in Loop: Header=BB20_3 Depth=1
	ds_store_b32 v37, v24
; %bb.163:                              ;   in Loop: Header=BB20_3 Depth=1
	s_or_b32 exec_lo, exec_lo, s46
	s_wait_dscnt 0x0
	s_barrier_signal -1
	s_barrier_wait -1
	s_and_saveexec_b32 s46, s91
	s_cbranch_execz .LBB20_165
; %bb.164:                              ;   in Loop: Header=BB20_3 Depth=1
	ds_load_b32 v28, v7 offset:2604
	ds_load_b32 v29, v37
	s_wait_dscnt 0x0
	v_fmac_f32_e32 v24, v28, v29
.LBB20_165:                             ;   in Loop: Header=BB20_3 Depth=1
	s_or_b32 exec_lo, exec_lo, s46
	s_barrier_signal -1
	s_barrier_wait -1
	s_and_saveexec_b32 s46, s91
; %bb.166:                              ;   in Loop: Header=BB20_3 Depth=1
	ds_store_b32 v37, v24
; %bb.167:                              ;   in Loop: Header=BB20_3 Depth=1
	s_or_b32 exec_lo, exec_lo, s46
	s_wait_dscnt 0x0
	s_barrier_signal -1
	s_barrier_wait -1
	s_barrier_signal -1
	s_barrier_wait -1
	s_and_saveexec_b32 s46, s2
; %bb.168:                              ;   in Loop: Header=BB20_3 Depth=1
	v_xor_b32_e32 v24, 0x80000000, v24
	ds_store_b32 v39, v24 offset:2088
; %bb.169:                              ;   in Loop: Header=BB20_3 Depth=1
	s_or_b32 exec_lo, exec_lo, s46
	s_wait_dscnt 0x0
	s_barrier_signal -1
	s_barrier_wait -1
	s_barrier_signal -1
	s_barrier_wait -1
	s_and_saveexec_b32 s46, s92
	s_cbranch_execz .LBB20_171
; %bb.170:                              ;   in Loop: Header=BB20_3 Depth=1
	ds_load_b32 v24, v50 offset:2088
	s_wait_dscnt 0x0
	ds_store_b32 v46, v24 offset:2592
	ds_load_b32 v24, v50 offset:2092
	s_wait_dscnt 0x0
	ds_store_b32 v46, v24 offset:2848
.LBB20_171:                             ;   in Loop: Header=BB20_3 Depth=1
	s_or_b32 exec_lo, exec_lo, s46
	s_wait_dscnt 0x0
	s_barrier_signal -1
	s_barrier_wait -1
	s_and_saveexec_b32 s46, s11
	s_cbranch_execz .LBB20_173
; %bb.172:                              ;   in Loop: Header=BB20_3 Depth=1
	ds_load_b32 v24, v7 offset:2604
	ds_store_b32 v7, v25 offset:2600
	s_wait_dscnt 0x1
	ds_store_b64 v7, v[24:25] offset:2856
.LBB20_173:                             ;   in Loop: Header=BB20_3 Depth=1
	s_or_b32 exec_lo, exec_lo, s46
	v_mov_b32_e32 v24, 0
	s_wait_dscnt 0x0
	s_barrier_signal -1
	s_barrier_wait -1
	s_and_saveexec_b32 s61, s4
	s_cbranch_execz .LBB20_179
; %bb.174:                              ;   in Loop: Header=BB20_3 Depth=1
	ds_load_b32 v24, v48 offset:2096
	ds_load_b32 v28, v41 offset:2080
	s_wait_dscnt 0x0
	v_fma_f32 v24, v24, v28, 0
	s_and_saveexec_b32 s46, s13
	s_cbranch_execnz .LBB20_1183
; %bb.175:                              ;   in Loop: Header=BB20_3 Depth=1
	s_or_b32 exec_lo, exec_lo, s46
	s_and_saveexec_b32 s46, s14
	s_cbranch_execnz .LBB20_1184
.LBB20_176:                             ;   in Loop: Header=BB20_3 Depth=1
	s_or_b32 exec_lo, exec_lo, s46
	s_and_saveexec_b32 s46, s2
	s_cbranch_execz .LBB20_178
.LBB20_177:                             ;   in Loop: Header=BB20_3 Depth=1
	ds_load_b32 v28, v53 offset:2864
	ds_load_b32 v29, v7 offset:2092
	s_wait_dscnt 0x0
	v_fmac_f32_e32 v24, v28, v29
.LBB20_178:                             ;   in Loop: Header=BB20_3 Depth=1
	s_or_b32 exec_lo, exec_lo, s46
	s_delay_alu instid0(VALU_DEP_1)
	v_xor_b32_e32 v24, 0x80000000, v24
.LBB20_179:                             ;   in Loop: Header=BB20_3 Depth=1
	s_or_b32 exec_lo, exec_lo, s61
	s_and_saveexec_b32 s46, s93
; %bb.180:                              ;   in Loop: Header=BB20_3 Depth=1
	ds_store_b32 v47, v24
; %bb.181:                              ;   in Loop: Header=BB20_3 Depth=1
	s_or_b32 exec_lo, exec_lo, s46
	s_wait_dscnt 0x0
	s_barrier_signal -1
	s_barrier_wait -1
	s_and_saveexec_b32 s46, s94
	s_cbranch_execz .LBB20_183
; %bb.182:                              ;   in Loop: Header=BB20_3 Depth=1
	ds_load_b32 v28, v45 offset:3120
	ds_load_b32 v29, v47
	s_wait_dscnt 0x0
	v_fmac_f32_e32 v24, v28, v29
.LBB20_183:                             ;   in Loop: Header=BB20_3 Depth=1
	s_or_b32 exec_lo, exec_lo, s46
	s_barrier_signal -1
	s_barrier_wait -1
	s_and_saveexec_b32 s46, s95
; %bb.184:                              ;   in Loop: Header=BB20_3 Depth=1
	ds_store_b32 v47, v24
; %bb.185:                              ;   in Loop: Header=BB20_3 Depth=1
	s_or_b32 exec_lo, exec_lo, s46
	s_wait_dscnt 0x0
	s_barrier_signal -1
	s_barrier_wait -1
	s_and_saveexec_b32 s46, s96
	s_cbranch_execz .LBB20_187
; %bb.186:                              ;   in Loop: Header=BB20_3 Depth=1
	ds_load_b32 v28, v45 offset:3376
	ds_load_b32 v29, v47
	s_wait_dscnt 0x0
	v_fmac_f32_e32 v24, v28, v29
.LBB20_187:                             ;   in Loop: Header=BB20_3 Depth=1
	s_or_b32 exec_lo, exec_lo, s46
	s_barrier_signal -1
	s_barrier_wait -1
	;; [unrolled: 19-line block ×3, first 2 shown]
	s_and_saveexec_b32 s46, s98
; %bb.192:                              ;   in Loop: Header=BB20_3 Depth=1
	ds_store_b32 v47, v24
; %bb.193:                              ;   in Loop: Header=BB20_3 Depth=1
	s_or_b32 exec_lo, exec_lo, s46
	s_wait_dscnt 0x0
	s_barrier_signal -1
	s_barrier_wait -1
	s_barrier_signal -1
	s_barrier_wait -1
	s_and_saveexec_b32 s46, s4
; %bb.194:                              ;   in Loop: Header=BB20_3 Depth=1
	v_xor_b32_e32 v24, 0x80000000, v24
	ds_store_b32 v48, v24 offset:2096
; %bb.195:                              ;   in Loop: Header=BB20_3 Depth=1
	s_or_b32 exec_lo, exec_lo, s46
	s_wait_dscnt 0x0
	s_barrier_signal -1
	s_barrier_wait -1
	s_barrier_signal -1
	s_barrier_wait -1
	s_and_saveexec_b32 s46, s99
	s_cbranch_execz .LBB20_197
; %bb.196:                              ;   in Loop: Header=BB20_3 Depth=1
	ds_load_b32 v24, v56 offset:2096
	s_wait_dscnt 0x0
	ds_store_b32 v59, v24 offset:3104
	ds_load_b32 v24, v56 offset:2100
	s_wait_dscnt 0x0
	ds_store_b32 v59, v24 offset:3360
	;; [unrolled: 3-line block ×4, first 2 shown]
.LBB20_197:                             ;   in Loop: Header=BB20_3 Depth=1
	s_or_b32 exec_lo, exec_lo, s46
	s_wait_dscnt 0x0
	s_barrier_signal -1
	s_barrier_wait -1
	s_and_saveexec_b32 s46, s11
	s_cbranch_execz .LBB20_199
; %bb.198:                              ;   in Loop: Header=BB20_3 Depth=1
	ds_load_b32 v24, v7 offset:3124
	ds_store_b32 v7, v25 offset:3120
	s_wait_dscnt 0x1
	ds_store_b64 v7, v[24:25] offset:3376
.LBB20_199:                             ;   in Loop: Header=BB20_3 Depth=1
	s_or_b32 exec_lo, exec_lo, s46
	v_mov_b32_e32 v24, 0
	s_wait_dscnt 0x0
	s_barrier_signal -1
	s_barrier_wait -1
	s_and_saveexec_b32 s46, s2
	s_cbranch_execz .LBB20_203
; %bb.200:                              ;   in Loop: Header=BB20_3 Depth=1
	ds_load_b32 v24, v39 offset:3128
	ds_load_b32 v28, v40 offset:3120
	s_wait_dscnt 0x0
	v_fma_f32 v24, v24, v28, 0
	s_and_saveexec_b32 s47, s12
	s_cbranch_execz .LBB20_202
; %bb.201:                              ;   in Loop: Header=BB20_3 Depth=1
	ds_load_b32 v28, v59 offset:3384
	ds_load_b32 v29, v7 offset:3124
	s_wait_dscnt 0x0
	v_fmac_f32_e32 v24, v28, v29
.LBB20_202:                             ;   in Loop: Header=BB20_3 Depth=1
	s_or_b32 exec_lo, exec_lo, s47
	s_delay_alu instid0(VALU_DEP_1)
	v_xor_b32_e32 v24, 0x80000000, v24
.LBB20_203:                             ;   in Loop: Header=BB20_3 Depth=1
	s_or_b32 exec_lo, exec_lo, s46
	s_and_saveexec_b32 s46, s90
; %bb.204:                              ;   in Loop: Header=BB20_3 Depth=1
	ds_store_b32 v37, v24
; %bb.205:                              ;   in Loop: Header=BB20_3 Depth=1
	s_or_b32 exec_lo, exec_lo, s46
	s_wait_dscnt 0x0
	s_barrier_signal -1
	s_barrier_wait -1
	s_and_saveexec_b32 s46, s91
	s_cbranch_execz .LBB20_207
; %bb.206:                              ;   in Loop: Header=BB20_3 Depth=1
	ds_load_b32 v28, v7 offset:3644
	ds_load_b32 v29, v37
	s_wait_dscnt 0x0
	v_fmac_f32_e32 v24, v28, v29
.LBB20_207:                             ;   in Loop: Header=BB20_3 Depth=1
	s_or_b32 exec_lo, exec_lo, s46
	s_barrier_signal -1
	s_barrier_wait -1
	s_and_saveexec_b32 s46, s91
; %bb.208:                              ;   in Loop: Header=BB20_3 Depth=1
	ds_store_b32 v37, v24
; %bb.209:                              ;   in Loop: Header=BB20_3 Depth=1
	s_or_b32 exec_lo, exec_lo, s46
	s_wait_dscnt 0x0
	s_barrier_signal -1
	s_barrier_wait -1
	s_barrier_signal -1
	s_barrier_wait -1
	s_and_saveexec_b32 s46, s2
; %bb.210:                              ;   in Loop: Header=BB20_3 Depth=1
	v_xor_b32_e32 v24, 0x80000000, v24
	ds_store_b32 v39, v24 offset:3128
; %bb.211:                              ;   in Loop: Header=BB20_3 Depth=1
	s_or_b32 exec_lo, exec_lo, s46
	s_wait_dscnt 0x0
	s_barrier_signal -1
	s_barrier_wait -1
	s_barrier_signal -1
	s_barrier_wait -1
	s_and_saveexec_b32 s46, s92
	s_cbranch_execz .LBB20_213
; %bb.212:                              ;   in Loop: Header=BB20_3 Depth=1
	v_add_nc_u32_e32 v24, v59, v44
	ds_load_b32 v28, v24 offset:3128
	s_wait_dscnt 0x0
	ds_store_b32 v59, v28 offset:3632
	ds_load_b32 v24, v24 offset:3132
	s_wait_dscnt 0x0
	ds_store_b32 v59, v24 offset:3888
.LBB20_213:                             ;   in Loop: Header=BB20_3 Depth=1
	s_or_b32 exec_lo, exec_lo, s46
	s_wait_dscnt 0x0
	s_barrier_signal -1
	s_barrier_wait -1
	s_and_saveexec_b32 s46, s11
	s_cbranch_execz .LBB20_215
; %bb.214:                              ;   in Loop: Header=BB20_3 Depth=1
	ds_load_b32 v24, v7 offset:3644
	ds_store_b32 v7, v25 offset:3640
	s_wait_dscnt 0x1
	ds_store_b64 v7, v[24:25] offset:3896
.LBB20_215:                             ;   in Loop: Header=BB20_3 Depth=1
	s_or_b32 exec_lo, exec_lo, s46
	v_mov_b32_e32 v24, 0
	s_wait_dscnt 0x0
	s_barrier_signal -1
	s_barrier_wait -1
	s_and_saveexec_b32 s61, s6
	s_cbranch_execz .LBB20_243
; %bb.216:                              ;   in Loop: Header=BB20_3 Depth=1
	ds_load_b32 v24, v65 offset:64
	ds_load_b32 v28, v58
	s_wait_dscnt 0x0
	v_fma_f32 v24, v24, v28, 0
	s_mov_b32 s46, exec_lo
	v_readlane_b32 s47, v91, 19
	s_and_b32 s47, s46, s47
	s_delay_alu instid0(SALU_CYCLE_1)
	s_mov_b32 exec_lo, s47
	s_cbranch_execz .LBB20_218
; %bb.217:                              ;   in Loop: Header=BB20_3 Depth=1
	ds_load_b32 v28, v66 offset:320
	ds_load_b32 v29, v58 offset:4
	s_wait_dscnt 0x0
	v_fmac_f32_e32 v24, v28, v29
.LBB20_218:                             ;   in Loop: Header=BB20_3 Depth=1
	s_or_b32 exec_lo, exec_lo, s46
	s_delay_alu instid0(SALU_CYCLE_1) | instskip(SKIP_2) | instid1(SALU_CYCLE_1)
	s_mov_b32 s46, exec_lo
	v_readlane_b32 s47, v91, 20
	s_and_b32 s47, s46, s47
	s_mov_b32 exec_lo, s47
	s_cbranch_execz .LBB20_220
; %bb.219:                              ;   in Loop: Header=BB20_3 Depth=1
	ds_load_b32 v28, v66 offset:576
	ds_load_b32 v29, v58 offset:8
	s_wait_dscnt 0x0
	v_fmac_f32_e32 v24, v28, v29
.LBB20_220:                             ;   in Loop: Header=BB20_3 Depth=1
	s_or_b32 exec_lo, exec_lo, s46
	s_delay_alu instid0(SALU_CYCLE_1) | instskip(SKIP_2) | instid1(SALU_CYCLE_1)
	s_mov_b32 s46, exec_lo
	v_readlane_b32 s47, v91, 21
	s_and_b32 s47, s46, s47
	;; [unrolled: 13-line block ×10, first 2 shown]
	s_mov_b32 exec_lo, s47
	s_cbranch_execnz .LBB20_1185
; %bb.237:                              ;   in Loop: Header=BB20_3 Depth=1
	s_or_b32 exec_lo, exec_lo, s46
	s_and_saveexec_b32 s46, s5
	s_cbranch_execnz .LBB20_1186
.LBB20_238:                             ;   in Loop: Header=BB20_3 Depth=1
	s_or_b32 exec_lo, exec_lo, s46
	s_and_saveexec_b32 s46, s16
	s_cbranch_execnz .LBB20_1187
.LBB20_239:                             ;   in Loop: Header=BB20_3 Depth=1
	s_or_b32 exec_lo, exec_lo, s46
	s_and_saveexec_b32 s46, s18
	s_cbranch_execnz .LBB20_1188
.LBB20_240:                             ;   in Loop: Header=BB20_3 Depth=1
	s_or_b32 exec_lo, exec_lo, s46
	s_and_saveexec_b32 s46, s4
	s_cbranch_execz .LBB20_242
.LBB20_241:                             ;   in Loop: Header=BB20_3 Depth=1
	ds_load_b32 v28, v5 offset:3904
	ds_load_b32 v29, v7 offset:60
	s_wait_dscnt 0x0
	v_fmac_f32_e32 v24, v28, v29
.LBB20_242:                             ;   in Loop: Header=BB20_3 Depth=1
	s_or_b32 exec_lo, exec_lo, s46
	s_delay_alu instid0(VALU_DEP_1)
	v_xor_b32_e32 v24, 0x80000000, v24
.LBB20_243:                             ;   in Loop: Header=BB20_3 Depth=1
	s_or_b32 exec_lo, exec_lo, s61
	s_delay_alu instid0(SALU_CYCLE_1) | instskip(SKIP_2) | instid1(SALU_CYCLE_1)
	s_mov_b32 s46, exec_lo
	v_readlane_b32 s47, v93, 2
	s_and_b32 s47, s46, s47
	s_mov_b32 exec_lo, s47
; %bb.244:                              ;   in Loop: Header=BB20_3 Depth=1
	ds_store_b32 v60, v24
; %bb.245:                              ;   in Loop: Header=BB20_3 Depth=1
	s_or_b32 exec_lo, exec_lo, s46
	s_wait_dscnt 0x0
	s_barrier_signal -1
	s_barrier_wait -1
	s_mov_b32 s46, exec_lo
	v_readlane_b32 s47, v93, 3
	s_and_b32 s47, s46, s47
	s_delay_alu instid0(SALU_CYCLE_1)
	s_mov_b32 exec_lo, s47
	s_cbranch_execz .LBB20_247
; %bb.246:                              ;   in Loop: Header=BB20_3 Depth=1
	ds_load_b32 v28, v61 offset:4160
	ds_load_b32 v29, v60
	s_wait_dscnt 0x0
	v_fmac_f32_e32 v24, v28, v29
.LBB20_247:                             ;   in Loop: Header=BB20_3 Depth=1
	s_or_b32 exec_lo, exec_lo, s46
	s_barrier_signal -1
	s_barrier_wait -1
	s_mov_b32 s46, exec_lo
	v_readlane_b32 s47, v93, 4
	s_and_b32 s47, s46, s47
	s_delay_alu instid0(SALU_CYCLE_1)
	s_mov_b32 exec_lo, s47
; %bb.248:                              ;   in Loop: Header=BB20_3 Depth=1
	ds_store_b32 v60, v24
; %bb.249:                              ;   in Loop: Header=BB20_3 Depth=1
	s_or_b32 exec_lo, exec_lo, s46
	s_wait_dscnt 0x0
	s_barrier_signal -1
	s_barrier_wait -1
	s_mov_b32 s46, exec_lo
	v_readlane_b32 s47, v93, 5
	s_and_b32 s47, s46, s47
	s_delay_alu instid0(SALU_CYCLE_1)
	s_mov_b32 exec_lo, s47
	s_cbranch_execz .LBB20_251
; %bb.250:                              ;   in Loop: Header=BB20_3 Depth=1
	ds_load_b32 v28, v61 offset:4416
	ds_load_b32 v29, v60
	s_wait_dscnt 0x0
	v_fmac_f32_e32 v24, v28, v29
.LBB20_251:                             ;   in Loop: Header=BB20_3 Depth=1
	s_or_b32 exec_lo, exec_lo, s46
	s_barrier_signal -1
	s_barrier_wait -1
	s_mov_b32 s46, exec_lo
	v_readlane_b32 s47, v93, 6
	s_and_b32 s47, s46, s47
	s_delay_alu instid0(SALU_CYCLE_1)
	;; [unrolled: 27-line block ×3, first 2 shown]
	s_mov_b32 exec_lo, s47
; %bb.256:                              ;   in Loop: Header=BB20_3 Depth=1
	ds_store_b32 v60, v24
; %bb.257:                              ;   in Loop: Header=BB20_3 Depth=1
	s_or_b32 exec_lo, exec_lo, s46
	s_wait_dscnt 0x0
	s_barrier_signal -1
	s_barrier_wait -1
	s_mov_b32 s46, exec_lo
	v_readlane_b32 s47, v93, 9
	s_and_b32 s47, s46, s47
	s_delay_alu instid0(SALU_CYCLE_1)
	s_mov_b32 exec_lo, s47
	s_cbranch_execz .LBB20_259
; %bb.258:                              ;   in Loop: Header=BB20_3 Depth=1
	ds_load_b32 v28, v61 offset:4928
	ds_load_b32 v29, v60
	s_wait_dscnt 0x0
	v_fmac_f32_e32 v24, v28, v29
.LBB20_259:                             ;   in Loop: Header=BB20_3 Depth=1
	s_or_b32 exec_lo, exec_lo, s46
	s_barrier_signal -1
	s_barrier_wait -1
	s_and_saveexec_b32 s46, s49
; %bb.260:                              ;   in Loop: Header=BB20_3 Depth=1
	ds_store_b32 v60, v24
; %bb.261:                              ;   in Loop: Header=BB20_3 Depth=1
	s_or_b32 exec_lo, exec_lo, s46
	s_wait_dscnt 0x0
	s_barrier_signal -1
	s_barrier_wait -1
	s_and_saveexec_b32 s46, s50
	s_cbranch_execz .LBB20_263
; %bb.262:                              ;   in Loop: Header=BB20_3 Depth=1
	ds_load_b32 v28, v61 offset:5184
	ds_load_b32 v29, v60
	s_wait_dscnt 0x0
	v_fmac_f32_e32 v24, v28, v29
.LBB20_263:                             ;   in Loop: Header=BB20_3 Depth=1
	s_or_b32 exec_lo, exec_lo, s46
	s_barrier_signal -1
	s_barrier_wait -1
	s_and_saveexec_b32 s46, s51
; %bb.264:                              ;   in Loop: Header=BB20_3 Depth=1
	ds_store_b32 v60, v24
; %bb.265:                              ;   in Loop: Header=BB20_3 Depth=1
	s_or_b32 exec_lo, exec_lo, s46
	s_wait_dscnt 0x0
	s_barrier_signal -1
	s_barrier_wait -1
	s_and_saveexec_b32 s46, s52
	;; [unrolled: 19-line block ×11, first 2 shown]
	s_cbranch_execz .LBB20_303
; %bb.302:                              ;   in Loop: Header=BB20_3 Depth=1
	ds_load_b32 v28, v7 offset:7804
	ds_load_b32 v29, v60
	s_wait_dscnt 0x0
	v_fmac_f32_e32 v24, v28, v29
.LBB20_303:                             ;   in Loop: Header=BB20_3 Depth=1
	s_or_b32 exec_lo, exec_lo, s46
	s_barrier_signal -1
	s_barrier_wait -1
	s_and_saveexec_b32 s46, s41
; %bb.304:                              ;   in Loop: Header=BB20_3 Depth=1
	ds_store_b32 v60, v24
; %bb.305:                              ;   in Loop: Header=BB20_3 Depth=1
	s_or_b32 exec_lo, exec_lo, s46
	s_wait_dscnt 0x0
	s_barrier_signal -1
	s_barrier_wait -1
	s_barrier_signal -1
	s_barrier_wait -1
	s_and_saveexec_b32 s46, s6
; %bb.306:                              ;   in Loop: Header=BB20_3 Depth=1
	v_xor_b32_e32 v24, 0x80000000, v24
	ds_store_b32 v65, v24 offset:64
; %bb.307:                              ;   in Loop: Header=BB20_3 Depth=1
	s_or_b32 exec_lo, exec_lo, s46
	s_wait_dscnt 0x0
	s_barrier_signal -1
	s_barrier_wait -1
	s_barrier_signal -1
	s_barrier_wait -1
	s_and_saveexec_b32 s60, s42
	s_cbranch_execz .LBB20_309
; %bb.308:                              ;   in Loop: Header=BB20_3 Depth=1
	ds_load_b32 v24, v32 offset:64
	s_wait_dscnt 0x0
	ds_store_b32 v33, v24 offset:4096
	ds_load_b32 v24, v32 offset:68
	s_wait_dscnt 0x0
	ds_store_b32 v33, v24 offset:4352
	;; [unrolled: 3-line block ×16, first 2 shown]
.LBB20_309:                             ;   in Loop: Header=BB20_3 Depth=1
	s_or_b32 exec_lo, exec_lo, s60
	s_wait_dscnt 0x0
	s_barrier_signal -1
	s_barrier_wait -1
	s_and_saveexec_b32 s46, s11
	s_cbranch_execz .LBB20_311
; %bb.310:                              ;   in Loop: Header=BB20_3 Depth=1
	ds_load_b32 v24, v7 offset:4164
	ds_store_b32 v7, v25 offset:4160
	s_wait_dscnt 0x1
	ds_store_b64 v7, v[24:25] offset:4416
.LBB20_311:                             ;   in Loop: Header=BB20_3 Depth=1
	s_or_b32 exec_lo, exec_lo, s46
	v_mov_b32_e32 v24, 0
	s_wait_dscnt 0x0
	s_barrier_signal -1
	s_barrier_wait -1
	s_and_saveexec_b32 s46, s2
	s_cbranch_execz .LBB20_315
; %bb.312:                              ;   in Loop: Header=BB20_3 Depth=1
	ds_load_b32 v24, v39 offset:4168
	ds_load_b32 v28, v40 offset:4160
	s_wait_dscnt 0x0
	v_fma_f32 v24, v24, v28, 0
	s_and_saveexec_b32 s47, s12
	s_cbranch_execz .LBB20_314
; %bb.313:                              ;   in Loop: Header=BB20_3 Depth=1
	ds_load_b32 v28, v5 offset:4424
	ds_load_b32 v29, v7 offset:4164
	s_wait_dscnt 0x0
	v_fmac_f32_e32 v24, v28, v29
.LBB20_314:                             ;   in Loop: Header=BB20_3 Depth=1
	s_or_b32 exec_lo, exec_lo, s47
	s_delay_alu instid0(VALU_DEP_1)
	v_xor_b32_e32 v24, 0x80000000, v24
.LBB20_315:                             ;   in Loop: Header=BB20_3 Depth=1
	s_or_b32 exec_lo, exec_lo, s46
	s_and_saveexec_b32 s46, s90
; %bb.316:                              ;   in Loop: Header=BB20_3 Depth=1
	ds_store_b32 v37, v24
; %bb.317:                              ;   in Loop: Header=BB20_3 Depth=1
	s_or_b32 exec_lo, exec_lo, s46
	s_wait_dscnt 0x0
	s_barrier_signal -1
	s_barrier_wait -1
	s_and_saveexec_b32 s46, s91
	s_cbranch_execz .LBB20_319
; %bb.318:                              ;   in Loop: Header=BB20_3 Depth=1
	ds_load_b32 v28, v7 offset:4684
	ds_load_b32 v29, v37
	s_wait_dscnt 0x0
	v_fmac_f32_e32 v24, v28, v29
.LBB20_319:                             ;   in Loop: Header=BB20_3 Depth=1
	s_or_b32 exec_lo, exec_lo, s46
	s_barrier_signal -1
	s_barrier_wait -1
	s_and_saveexec_b32 s46, s91
; %bb.320:                              ;   in Loop: Header=BB20_3 Depth=1
	ds_store_b32 v37, v24
; %bb.321:                              ;   in Loop: Header=BB20_3 Depth=1
	s_or_b32 exec_lo, exec_lo, s46
	s_wait_dscnt 0x0
	s_barrier_signal -1
	s_barrier_wait -1
	s_barrier_signal -1
	s_barrier_wait -1
	s_and_saveexec_b32 s46, s2
; %bb.322:                              ;   in Loop: Header=BB20_3 Depth=1
	v_xor_b32_e32 v24, 0x80000000, v24
	ds_store_b32 v39, v24 offset:4168
; %bb.323:                              ;   in Loop: Header=BB20_3 Depth=1
	s_or_b32 exec_lo, exec_lo, s46
	s_wait_dscnt 0x0
	s_barrier_signal -1
	s_barrier_wait -1
	s_barrier_signal -1
	s_barrier_wait -1
	s_and_saveexec_b32 s46, s92
	s_cbranch_execz .LBB20_325
; %bb.324:                              ;   in Loop: Header=BB20_3 Depth=1
	ds_load_b32 v24, v32 offset:4168
	s_wait_dscnt 0x0
	ds_store_b32 v5, v24 offset:4672
	ds_load_b32 v24, v32 offset:4172
	s_wait_dscnt 0x0
	ds_store_b32 v5, v24 offset:4928
.LBB20_325:                             ;   in Loop: Header=BB20_3 Depth=1
	s_or_b32 exec_lo, exec_lo, s46
	s_wait_dscnt 0x0
	s_barrier_signal -1
	s_barrier_wait -1
	s_and_saveexec_b32 s46, s11
	s_cbranch_execz .LBB20_327
; %bb.326:                              ;   in Loop: Header=BB20_3 Depth=1
	ds_load_b32 v24, v7 offset:4684
	ds_store_b32 v7, v25 offset:4680
	s_wait_dscnt 0x1
	ds_store_b64 v7, v[24:25] offset:4936
.LBB20_327:                             ;   in Loop: Header=BB20_3 Depth=1
	s_or_b32 exec_lo, exec_lo, s46
	v_mov_b32_e32 v24, 0
	s_wait_dscnt 0x0
	s_barrier_signal -1
	s_barrier_wait -1
	s_and_saveexec_b32 s61, s4
	s_cbranch_execz .LBB20_333
; %bb.328:                              ;   in Loop: Header=BB20_3 Depth=1
	ds_load_b32 v24, v48 offset:4176
	ds_load_b32 v28, v41 offset:4160
	s_wait_dscnt 0x0
	v_fma_f32 v24, v24, v28, 0
	s_and_saveexec_b32 s46, s13
	s_cbranch_execnz .LBB20_1189
; %bb.329:                              ;   in Loop: Header=BB20_3 Depth=1
	s_or_b32 exec_lo, exec_lo, s46
	s_and_saveexec_b32 s46, s14
	s_cbranch_execnz .LBB20_1190
.LBB20_330:                             ;   in Loop: Header=BB20_3 Depth=1
	s_or_b32 exec_lo, exec_lo, s46
	s_and_saveexec_b32 s46, s2
	s_cbranch_execz .LBB20_332
.LBB20_331:                             ;   in Loop: Header=BB20_3 Depth=1
	ds_load_b32 v28, v33 offset:4944
	ds_load_b32 v29, v7 offset:4172
	s_wait_dscnt 0x0
	v_fmac_f32_e32 v24, v28, v29
.LBB20_332:                             ;   in Loop: Header=BB20_3 Depth=1
	s_or_b32 exec_lo, exec_lo, s46
	s_delay_alu instid0(VALU_DEP_1)
	v_xor_b32_e32 v24, 0x80000000, v24
.LBB20_333:                             ;   in Loop: Header=BB20_3 Depth=1
	s_or_b32 exec_lo, exec_lo, s61
	s_and_saveexec_b32 s46, s93
; %bb.334:                              ;   in Loop: Header=BB20_3 Depth=1
	ds_store_b32 v47, v24
; %bb.335:                              ;   in Loop: Header=BB20_3 Depth=1
	s_or_b32 exec_lo, exec_lo, s46
	s_wait_dscnt 0x0
	s_barrier_signal -1
	s_barrier_wait -1
	s_and_saveexec_b32 s46, s94
	s_cbranch_execz .LBB20_337
; %bb.336:                              ;   in Loop: Header=BB20_3 Depth=1
	ds_load_b32 v28, v45 offset:5200
	ds_load_b32 v29, v47
	s_wait_dscnt 0x0
	v_fmac_f32_e32 v24, v28, v29
.LBB20_337:                             ;   in Loop: Header=BB20_3 Depth=1
	s_or_b32 exec_lo, exec_lo, s46
	s_barrier_signal -1
	s_barrier_wait -1
	s_and_saveexec_b32 s46, s95
; %bb.338:                              ;   in Loop: Header=BB20_3 Depth=1
	ds_store_b32 v47, v24
; %bb.339:                              ;   in Loop: Header=BB20_3 Depth=1
	s_or_b32 exec_lo, exec_lo, s46
	s_wait_dscnt 0x0
	s_barrier_signal -1
	s_barrier_wait -1
	s_and_saveexec_b32 s46, s96
	s_cbranch_execz .LBB20_341
; %bb.340:                              ;   in Loop: Header=BB20_3 Depth=1
	ds_load_b32 v28, v45 offset:5456
	ds_load_b32 v29, v47
	s_wait_dscnt 0x0
	v_fmac_f32_e32 v24, v28, v29
.LBB20_341:                             ;   in Loop: Header=BB20_3 Depth=1
	s_or_b32 exec_lo, exec_lo, s46
	s_barrier_signal -1
	s_barrier_wait -1
	;; [unrolled: 19-line block ×3, first 2 shown]
	s_and_saveexec_b32 s46, s98
; %bb.346:                              ;   in Loop: Header=BB20_3 Depth=1
	ds_store_b32 v47, v24
; %bb.347:                              ;   in Loop: Header=BB20_3 Depth=1
	s_or_b32 exec_lo, exec_lo, s46
	s_wait_dscnt 0x0
	s_barrier_signal -1
	s_barrier_wait -1
	s_barrier_signal -1
	s_barrier_wait -1
	s_and_saveexec_b32 s46, s4
; %bb.348:                              ;   in Loop: Header=BB20_3 Depth=1
	v_xor_b32_e32 v24, 0x80000000, v24
	ds_store_b32 v48, v24 offset:4176
; %bb.349:                              ;   in Loop: Header=BB20_3 Depth=1
	s_or_b32 exec_lo, exec_lo, s46
	s_wait_dscnt 0x0
	s_barrier_signal -1
	s_barrier_wait -1
	s_barrier_signal -1
	s_barrier_wait -1
	s_and_saveexec_b32 s46, s99
	s_cbranch_execz .LBB20_351
; %bb.350:                              ;   in Loop: Header=BB20_3 Depth=1
	ds_load_b32 v24, v34 offset:4176
	s_wait_dscnt 0x0
	ds_store_b32 v35, v24 offset:5184
	ds_load_b32 v24, v34 offset:4180
	s_wait_dscnt 0x0
	ds_store_b32 v35, v24 offset:5440
	;; [unrolled: 3-line block ×4, first 2 shown]
.LBB20_351:                             ;   in Loop: Header=BB20_3 Depth=1
	s_or_b32 exec_lo, exec_lo, s46
	s_wait_dscnt 0x0
	s_barrier_signal -1
	s_barrier_wait -1
	s_and_saveexec_b32 s46, s11
	s_cbranch_execz .LBB20_353
; %bb.352:                              ;   in Loop: Header=BB20_3 Depth=1
	ds_load_b32 v24, v7 offset:5204
	ds_store_b32 v7, v25 offset:5200
	s_wait_dscnt 0x1
	ds_store_b64 v7, v[24:25] offset:5456
.LBB20_353:                             ;   in Loop: Header=BB20_3 Depth=1
	s_or_b32 exec_lo, exec_lo, s46
	v_mov_b32_e32 v24, 0
	s_wait_dscnt 0x0
	s_barrier_signal -1
	s_barrier_wait -1
	s_and_saveexec_b32 s46, s2
	s_cbranch_execz .LBB20_357
; %bb.354:                              ;   in Loop: Header=BB20_3 Depth=1
	ds_load_b32 v24, v39 offset:5208
	ds_load_b32 v28, v40 offset:5200
	s_wait_dscnt 0x0
	v_fma_f32 v24, v24, v28, 0
	s_and_saveexec_b32 s47, s12
	s_cbranch_execz .LBB20_356
; %bb.355:                              ;   in Loop: Header=BB20_3 Depth=1
	ds_load_b32 v28, v35 offset:5464
	ds_load_b32 v29, v7 offset:5204
	s_wait_dscnt 0x0
	v_fmac_f32_e32 v24, v28, v29
.LBB20_356:                             ;   in Loop: Header=BB20_3 Depth=1
	s_or_b32 exec_lo, exec_lo, s47
	s_delay_alu instid0(VALU_DEP_1)
	v_xor_b32_e32 v24, 0x80000000, v24
.LBB20_357:                             ;   in Loop: Header=BB20_3 Depth=1
	s_or_b32 exec_lo, exec_lo, s46
	s_and_saveexec_b32 s46, s90
; %bb.358:                              ;   in Loop: Header=BB20_3 Depth=1
	ds_store_b32 v37, v24
; %bb.359:                              ;   in Loop: Header=BB20_3 Depth=1
	s_or_b32 exec_lo, exec_lo, s46
	s_wait_dscnt 0x0
	s_barrier_signal -1
	s_barrier_wait -1
	s_and_saveexec_b32 s46, s91
	s_cbranch_execz .LBB20_361
; %bb.360:                              ;   in Loop: Header=BB20_3 Depth=1
	ds_load_b32 v28, v7 offset:5724
	ds_load_b32 v29, v37
	s_wait_dscnt 0x0
	v_fmac_f32_e32 v24, v28, v29
.LBB20_361:                             ;   in Loop: Header=BB20_3 Depth=1
	s_or_b32 exec_lo, exec_lo, s46
	s_barrier_signal -1
	s_barrier_wait -1
	s_and_saveexec_b32 s46, s91
; %bb.362:                              ;   in Loop: Header=BB20_3 Depth=1
	ds_store_b32 v37, v24
; %bb.363:                              ;   in Loop: Header=BB20_3 Depth=1
	s_or_b32 exec_lo, exec_lo, s46
	s_wait_dscnt 0x0
	s_barrier_signal -1
	s_barrier_wait -1
	s_barrier_signal -1
	s_barrier_wait -1
	s_and_saveexec_b32 s46, s2
; %bb.364:                              ;   in Loop: Header=BB20_3 Depth=1
	v_xor_b32_e32 v24, 0x80000000, v24
	ds_store_b32 v39, v24 offset:5208
; %bb.365:                              ;   in Loop: Header=BB20_3 Depth=1
	s_or_b32 exec_lo, exec_lo, s46
	s_wait_dscnt 0x0
	s_barrier_signal -1
	s_barrier_wait -1
	s_barrier_signal -1
	s_barrier_wait -1
	s_and_saveexec_b32 s46, s92
	s_cbranch_execz .LBB20_367
; %bb.366:                              ;   in Loop: Header=BB20_3 Depth=1
	ds_load_b32 v24, v36 offset:5208
	s_wait_dscnt 0x0
	ds_store_b32 v35, v24 offset:5712
	ds_load_b32 v24, v36 offset:5212
	s_wait_dscnt 0x0
	ds_store_b32 v35, v24 offset:5968
.LBB20_367:                             ;   in Loop: Header=BB20_3 Depth=1
	s_or_b32 exec_lo, exec_lo, s46
	s_wait_dscnt 0x0
	s_barrier_signal -1
	s_barrier_wait -1
	s_and_saveexec_b32 s46, s11
	s_cbranch_execz .LBB20_369
; %bb.368:                              ;   in Loop: Header=BB20_3 Depth=1
	ds_load_b32 v24, v7 offset:5724
	ds_store_b32 v7, v25 offset:5720
	s_wait_dscnt 0x1
	ds_store_b64 v7, v[24:25] offset:5976
.LBB20_369:                             ;   in Loop: Header=BB20_3 Depth=1
	s_or_b32 exec_lo, exec_lo, s46
	v_mov_b32_e32 v24, 0
	s_wait_dscnt 0x0
	s_barrier_signal -1
	s_barrier_wait -1
	s_and_saveexec_b32 s61, s5
	s_cbranch_execz .LBB20_379
; %bb.370:                              ;   in Loop: Header=BB20_3 Depth=1
	ds_load_b32 v24, v55 offset:4192
	ds_load_b32 v28, v51 offset:4160
	s_wait_dscnt 0x0
	v_fma_f32 v24, v24, v28, 0
	s_and_saveexec_b32 s46, s15
	s_cbranch_execnz .LBB20_1191
; %bb.371:                              ;   in Loop: Header=BB20_3 Depth=1
	s_or_b32 exec_lo, exec_lo, s46
	s_and_saveexec_b32 s46, s16
	s_cbranch_execnz .LBB20_1192
.LBB20_372:                             ;   in Loop: Header=BB20_3 Depth=1
	s_or_b32 exec_lo, exec_lo, s46
	s_and_saveexec_b32 s46, s17
	s_cbranch_execnz .LBB20_1193
.LBB20_373:                             ;   in Loop: Header=BB20_3 Depth=1
	s_or_b32 exec_lo, exec_lo, s46
	s_and_saveexec_b32 s46, s18
	s_cbranch_execnz .LBB20_1194
.LBB20_374:                             ;   in Loop: Header=BB20_3 Depth=1
	s_or_b32 exec_lo, exec_lo, s46
	s_and_saveexec_b32 s46, s19
	s_cbranch_execnz .LBB20_1195
.LBB20_375:                             ;   in Loop: Header=BB20_3 Depth=1
	s_or_b32 exec_lo, exec_lo, s46
	s_and_saveexec_b32 s46, s4
	s_cbranch_execnz .LBB20_1196
.LBB20_376:                             ;   in Loop: Header=BB20_3 Depth=1
	s_or_b32 exec_lo, exec_lo, s46
	s_and_saveexec_b32 s46, s14
	s_cbranch_execz .LBB20_378
.LBB20_377:                             ;   in Loop: Header=BB20_3 Depth=1
	ds_load_b32 v28, v38 offset:5984
	ds_load_b32 v29, v7 offset:4188
	s_wait_dscnt 0x0
	v_fmac_f32_e32 v24, v28, v29
.LBB20_378:                             ;   in Loop: Header=BB20_3 Depth=1
	s_or_b32 exec_lo, exec_lo, s46
	s_delay_alu instid0(VALU_DEP_1)
	v_xor_b32_e32 v24, 0x80000000, v24
.LBB20_379:                             ;   in Loop: Header=BB20_3 Depth=1
	s_or_b32 exec_lo, exec_lo, s61
	s_and_saveexec_b32 s46, s100
; %bb.380:                              ;   in Loop: Header=BB20_3 Depth=1
	ds_store_b32 v54, v24
; %bb.381:                              ;   in Loop: Header=BB20_3 Depth=1
	s_or_b32 exec_lo, exec_lo, s46
	s_wait_dscnt 0x0
	s_barrier_signal -1
	s_barrier_wait -1
	s_and_saveexec_b32 s46, s101
	s_cbranch_execz .LBB20_383
; %bb.382:                              ;   in Loop: Header=BB20_3 Depth=1
	ds_load_b32 v28, v52 offset:6240
	ds_load_b32 v29, v54
	s_wait_dscnt 0x0
	v_fmac_f32_e32 v24, v28, v29
.LBB20_383:                             ;   in Loop: Header=BB20_3 Depth=1
	s_or_b32 exec_lo, exec_lo, s46
	s_barrier_signal -1
	s_barrier_wait -1
	s_and_saveexec_b32 s46, s102
; %bb.384:                              ;   in Loop: Header=BB20_3 Depth=1
	ds_store_b32 v54, v24
; %bb.385:                              ;   in Loop: Header=BB20_3 Depth=1
	s_or_b32 exec_lo, exec_lo, s46
	s_wait_dscnt 0x0
	s_barrier_signal -1
	s_barrier_wait -1
	s_and_saveexec_b32 s46, s103
	s_cbranch_execz .LBB20_387
; %bb.386:                              ;   in Loop: Header=BB20_3 Depth=1
	ds_load_b32 v28, v52 offset:6496
	ds_load_b32 v29, v54
	s_wait_dscnt 0x0
	v_fmac_f32_e32 v24, v28, v29
.LBB20_387:                             ;   in Loop: Header=BB20_3 Depth=1
	s_or_b32 exec_lo, exec_lo, s46
	s_barrier_signal -1
	s_barrier_wait -1
	s_and_saveexec_b32 s46, s104
; %bb.388:                              ;   in Loop: Header=BB20_3 Depth=1
	ds_store_b32 v54, v24
; %bb.389:                              ;   in Loop: Header=BB20_3 Depth=1
	s_or_b32 exec_lo, exec_lo, s46
	s_wait_dscnt 0x0
	s_barrier_signal -1
	s_barrier_wait -1
	s_and_saveexec_b32 s46, vcc_hi
	s_cbranch_execz .LBB20_391
; %bb.390:                              ;   in Loop: Header=BB20_3 Depth=1
	ds_load_b32 v28, v52 offset:6752
	ds_load_b32 v29, v54
	s_wait_dscnt 0x0
	v_fmac_f32_e32 v24, v28, v29
.LBB20_391:                             ;   in Loop: Header=BB20_3 Depth=1
	s_or_b32 exec_lo, exec_lo, s46
	s_barrier_signal -1
	s_barrier_wait -1
	s_and_saveexec_b32 s46, s31
; %bb.392:                              ;   in Loop: Header=BB20_3 Depth=1
	ds_store_b32 v54, v24
; %bb.393:                              ;   in Loop: Header=BB20_3 Depth=1
	s_or_b32 exec_lo, exec_lo, s46
	s_wait_dscnt 0x0
	s_barrier_signal -1
	s_barrier_wait -1
	s_and_saveexec_b32 s46, s33
	s_cbranch_execz .LBB20_395
; %bb.394:                              ;   in Loop: Header=BB20_3 Depth=1
	ds_load_b32 v28, v52 offset:7008
	ds_load_b32 v29, v54
	s_wait_dscnt 0x0
	v_fmac_f32_e32 v24, v28, v29
.LBB20_395:                             ;   in Loop: Header=BB20_3 Depth=1
	s_or_b32 exec_lo, exec_lo, s46
	s_barrier_signal -1
	s_barrier_wait -1
	s_and_saveexec_b32 s46, s34
; %bb.396:                              ;   in Loop: Header=BB20_3 Depth=1
	ds_store_b32 v54, v24
; %bb.397:                              ;   in Loop: Header=BB20_3 Depth=1
	s_or_b32 exec_lo, exec_lo, s46
	s_wait_dscnt 0x0
	s_barrier_signal -1
	s_barrier_wait -1
	s_and_saveexec_b32 s46, s35
	;; [unrolled: 19-line block ×4, first 2 shown]
	s_cbranch_execz .LBB20_407
; %bb.406:                              ;   in Loop: Header=BB20_3 Depth=1
	ds_load_b32 v28, v7 offset:7804
	ds_load_b32 v29, v54
	s_wait_dscnt 0x0
	v_fmac_f32_e32 v24, v28, v29
.LBB20_407:                             ;   in Loop: Header=BB20_3 Depth=1
	s_or_b32 exec_lo, exec_lo, s46
	s_barrier_signal -1
	s_barrier_wait -1
	s_and_saveexec_b32 s46, s39
; %bb.408:                              ;   in Loop: Header=BB20_3 Depth=1
	ds_store_b32 v54, v24
; %bb.409:                              ;   in Loop: Header=BB20_3 Depth=1
	s_or_b32 exec_lo, exec_lo, s46
	s_wait_dscnt 0x0
	s_barrier_signal -1
	s_barrier_wait -1
	s_barrier_signal -1
	s_barrier_wait -1
	s_and_saveexec_b32 s46, s5
; %bb.410:                              ;   in Loop: Header=BB20_3 Depth=1
	v_xor_b32_e32 v24, 0x80000000, v24
	ds_store_b32 v55, v24 offset:4192
; %bb.411:                              ;   in Loop: Header=BB20_3 Depth=1
	s_or_b32 exec_lo, exec_lo, s46
	s_wait_dscnt 0x0
	s_barrier_signal -1
	s_barrier_wait -1
	s_barrier_signal -1
	s_barrier_wait -1
	s_and_saveexec_b32 s46, s40
	s_cbranch_execz .LBB20_413
; %bb.412:                              ;   in Loop: Header=BB20_3 Depth=1
	ds_load_b32 v24, v42 offset:4192
	s_wait_dscnt 0x0
	ds_store_b32 v46, v24 offset:6208
	ds_load_b32 v24, v42 offset:4196
	s_wait_dscnt 0x0
	ds_store_b32 v46, v24 offset:6464
	;; [unrolled: 3-line block ×8, first 2 shown]
.LBB20_413:                             ;   in Loop: Header=BB20_3 Depth=1
	s_or_b32 exec_lo, exec_lo, s46
	s_wait_dscnt 0x0
	s_barrier_signal -1
	s_barrier_wait -1
	s_and_saveexec_b32 s46, s11
	s_cbranch_execz .LBB20_415
; %bb.414:                              ;   in Loop: Header=BB20_3 Depth=1
	ds_load_b32 v24, v7 offset:6244
	ds_store_b32 v7, v25 offset:6240
	s_wait_dscnt 0x1
	ds_store_b64 v7, v[24:25] offset:6496
.LBB20_415:                             ;   in Loop: Header=BB20_3 Depth=1
	s_or_b32 exec_lo, exec_lo, s46
	v_mov_b32_e32 v24, 0
	s_wait_dscnt 0x0
	s_barrier_signal -1
	s_barrier_wait -1
	s_and_saveexec_b32 s46, s2
	s_cbranch_execz .LBB20_419
; %bb.416:                              ;   in Loop: Header=BB20_3 Depth=1
	ds_load_b32 v24, v39 offset:6248
	ds_load_b32 v28, v40 offset:6240
	s_wait_dscnt 0x0
	v_fma_f32 v24, v24, v28, 0
	s_and_saveexec_b32 s47, s12
	s_cbranch_execz .LBB20_418
; %bb.417:                              ;   in Loop: Header=BB20_3 Depth=1
	ds_load_b32 v28, v46 offset:6504
	ds_load_b32 v29, v7 offset:6244
	s_wait_dscnt 0x0
	v_fmac_f32_e32 v24, v28, v29
.LBB20_418:                             ;   in Loop: Header=BB20_3 Depth=1
	s_or_b32 exec_lo, exec_lo, s47
	s_delay_alu instid0(VALU_DEP_1)
	v_xor_b32_e32 v24, 0x80000000, v24
.LBB20_419:                             ;   in Loop: Header=BB20_3 Depth=1
	s_or_b32 exec_lo, exec_lo, s46
	s_and_saveexec_b32 s46, s90
; %bb.420:                              ;   in Loop: Header=BB20_3 Depth=1
	ds_store_b32 v37, v24
; %bb.421:                              ;   in Loop: Header=BB20_3 Depth=1
	s_or_b32 exec_lo, exec_lo, s46
	s_wait_dscnt 0x0
	s_barrier_signal -1
	s_barrier_wait -1
	s_and_saveexec_b32 s46, s91
	s_cbranch_execz .LBB20_423
; %bb.422:                              ;   in Loop: Header=BB20_3 Depth=1
	ds_load_b32 v28, v7 offset:6764
	ds_load_b32 v29, v37
	s_wait_dscnt 0x0
	v_fmac_f32_e32 v24, v28, v29
.LBB20_423:                             ;   in Loop: Header=BB20_3 Depth=1
	s_or_b32 exec_lo, exec_lo, s46
	s_barrier_signal -1
	s_barrier_wait -1
	s_and_saveexec_b32 s46, s91
; %bb.424:                              ;   in Loop: Header=BB20_3 Depth=1
	ds_store_b32 v37, v24
; %bb.425:                              ;   in Loop: Header=BB20_3 Depth=1
	s_or_b32 exec_lo, exec_lo, s46
	s_wait_dscnt 0x0
	s_barrier_signal -1
	s_barrier_wait -1
	s_barrier_signal -1
	s_barrier_wait -1
	s_and_saveexec_b32 s46, s2
; %bb.426:                              ;   in Loop: Header=BB20_3 Depth=1
	v_xor_b32_e32 v24, 0x80000000, v24
	ds_store_b32 v39, v24 offset:6248
; %bb.427:                              ;   in Loop: Header=BB20_3 Depth=1
	s_or_b32 exec_lo, exec_lo, s46
	s_wait_dscnt 0x0
	s_barrier_signal -1
	s_barrier_wait -1
	s_barrier_signal -1
	s_barrier_wait -1
	s_and_saveexec_b32 s46, s92
	s_cbranch_execz .LBB20_429
; %bb.428:                              ;   in Loop: Header=BB20_3 Depth=1
	ds_load_b32 v24, v50 offset:6248
	s_wait_dscnt 0x0
	ds_store_b32 v46, v24 offset:6752
	ds_load_b32 v24, v50 offset:6252
	s_wait_dscnt 0x0
	ds_store_b32 v46, v24 offset:7008
.LBB20_429:                             ;   in Loop: Header=BB20_3 Depth=1
	s_or_b32 exec_lo, exec_lo, s46
	s_wait_dscnt 0x0
	s_barrier_signal -1
	s_barrier_wait -1
	s_and_saveexec_b32 s46, s11
	s_cbranch_execz .LBB20_431
; %bb.430:                              ;   in Loop: Header=BB20_3 Depth=1
	ds_load_b32 v24, v7 offset:6764
	ds_store_b32 v7, v25 offset:6760
	s_wait_dscnt 0x1
	ds_store_b64 v7, v[24:25] offset:7016
.LBB20_431:                             ;   in Loop: Header=BB20_3 Depth=1
	s_or_b32 exec_lo, exec_lo, s46
	v_mov_b32_e32 v24, 0
	s_wait_dscnt 0x0
	s_barrier_signal -1
	s_barrier_wait -1
	s_and_saveexec_b32 s61, s4
	s_cbranch_execz .LBB20_437
; %bb.432:                              ;   in Loop: Header=BB20_3 Depth=1
	ds_load_b32 v24, v48 offset:6256
	ds_load_b32 v28, v41 offset:6240
	s_wait_dscnt 0x0
	v_fma_f32 v24, v24, v28, 0
	s_and_saveexec_b32 s46, s13
	s_cbranch_execnz .LBB20_1197
; %bb.433:                              ;   in Loop: Header=BB20_3 Depth=1
	s_or_b32 exec_lo, exec_lo, s46
	s_and_saveexec_b32 s46, s14
	s_cbranch_execnz .LBB20_1198
.LBB20_434:                             ;   in Loop: Header=BB20_3 Depth=1
	s_or_b32 exec_lo, exec_lo, s46
	s_and_saveexec_b32 s46, s2
	s_cbranch_execz .LBB20_436
.LBB20_435:                             ;   in Loop: Header=BB20_3 Depth=1
	ds_load_b32 v28, v53 offset:7024
	ds_load_b32 v29, v7 offset:6252
	s_wait_dscnt 0x0
	v_fmac_f32_e32 v24, v28, v29
.LBB20_436:                             ;   in Loop: Header=BB20_3 Depth=1
	s_or_b32 exec_lo, exec_lo, s46
	s_delay_alu instid0(VALU_DEP_1)
	v_xor_b32_e32 v24, 0x80000000, v24
.LBB20_437:                             ;   in Loop: Header=BB20_3 Depth=1
	s_or_b32 exec_lo, exec_lo, s61
	s_and_saveexec_b32 s46, s93
; %bb.438:                              ;   in Loop: Header=BB20_3 Depth=1
	ds_store_b32 v47, v24
; %bb.439:                              ;   in Loop: Header=BB20_3 Depth=1
	s_or_b32 exec_lo, exec_lo, s46
	s_wait_dscnt 0x0
	s_barrier_signal -1
	s_barrier_wait -1
	s_and_saveexec_b32 s46, s94
	s_cbranch_execz .LBB20_441
; %bb.440:                              ;   in Loop: Header=BB20_3 Depth=1
	ds_load_b32 v28, v45 offset:7280
	ds_load_b32 v29, v47
	s_wait_dscnt 0x0
	v_fmac_f32_e32 v24, v28, v29
.LBB20_441:                             ;   in Loop: Header=BB20_3 Depth=1
	s_or_b32 exec_lo, exec_lo, s46
	s_barrier_signal -1
	s_barrier_wait -1
	s_and_saveexec_b32 s46, s95
; %bb.442:                              ;   in Loop: Header=BB20_3 Depth=1
	ds_store_b32 v47, v24
; %bb.443:                              ;   in Loop: Header=BB20_3 Depth=1
	s_or_b32 exec_lo, exec_lo, s46
	s_wait_dscnt 0x0
	s_barrier_signal -1
	s_barrier_wait -1
	s_and_saveexec_b32 s46, s96
	s_cbranch_execz .LBB20_445
; %bb.444:                              ;   in Loop: Header=BB20_3 Depth=1
	ds_load_b32 v28, v45 offset:7536
	ds_load_b32 v29, v47
	s_wait_dscnt 0x0
	v_fmac_f32_e32 v24, v28, v29
.LBB20_445:                             ;   in Loop: Header=BB20_3 Depth=1
	s_or_b32 exec_lo, exec_lo, s46
	s_barrier_signal -1
	s_barrier_wait -1
	;; [unrolled: 19-line block ×3, first 2 shown]
	s_and_saveexec_b32 s46, s98
; %bb.450:                              ;   in Loop: Header=BB20_3 Depth=1
	ds_store_b32 v47, v24
; %bb.451:                              ;   in Loop: Header=BB20_3 Depth=1
	s_or_b32 exec_lo, exec_lo, s46
	s_wait_dscnt 0x0
	s_barrier_signal -1
	s_barrier_wait -1
	s_barrier_signal -1
	s_barrier_wait -1
	s_and_saveexec_b32 s46, s4
; %bb.452:                              ;   in Loop: Header=BB20_3 Depth=1
	v_xor_b32_e32 v24, 0x80000000, v24
	ds_store_b32 v48, v24 offset:6256
; %bb.453:                              ;   in Loop: Header=BB20_3 Depth=1
	s_or_b32 exec_lo, exec_lo, s46
	s_wait_dscnt 0x0
	s_barrier_signal -1
	s_barrier_wait -1
	s_barrier_signal -1
	s_barrier_wait -1
	s_and_saveexec_b32 s46, s99
	s_cbranch_execz .LBB20_455
; %bb.454:                              ;   in Loop: Header=BB20_3 Depth=1
	ds_load_b32 v24, v56 offset:6256
	s_wait_dscnt 0x0
	ds_store_b32 v59, v24 offset:7264
	ds_load_b32 v24, v56 offset:6260
	s_wait_dscnt 0x0
	ds_store_b32 v59, v24 offset:7520
	;; [unrolled: 3-line block ×4, first 2 shown]
.LBB20_455:                             ;   in Loop: Header=BB20_3 Depth=1
	s_or_b32 exec_lo, exec_lo, s46
	s_wait_dscnt 0x0
	s_barrier_signal -1
	s_barrier_wait -1
	s_and_saveexec_b32 s46, s11
	s_cbranch_execz .LBB20_457
; %bb.456:                              ;   in Loop: Header=BB20_3 Depth=1
	ds_load_b32 v24, v7 offset:7284
	ds_store_b32 v7, v25 offset:7280
	s_wait_dscnt 0x1
	ds_store_b64 v7, v[24:25] offset:7536
.LBB20_457:                             ;   in Loop: Header=BB20_3 Depth=1
	s_or_b32 exec_lo, exec_lo, s46
	v_mov_b32_e32 v24, 0
	s_wait_dscnt 0x0
	s_barrier_signal -1
	s_barrier_wait -1
	s_and_saveexec_b32 s46, s2
	s_cbranch_execz .LBB20_461
; %bb.458:                              ;   in Loop: Header=BB20_3 Depth=1
	ds_load_b32 v24, v39 offset:7288
	ds_load_b32 v28, v40 offset:7280
	s_wait_dscnt 0x0
	v_fma_f32 v24, v24, v28, 0
	s_and_saveexec_b32 s47, s12
	s_cbranch_execz .LBB20_460
; %bb.459:                              ;   in Loop: Header=BB20_3 Depth=1
	ds_load_b32 v28, v59 offset:7544
	ds_load_b32 v29, v7 offset:7284
	s_wait_dscnt 0x0
	v_fmac_f32_e32 v24, v28, v29
.LBB20_460:                             ;   in Loop: Header=BB20_3 Depth=1
	s_or_b32 exec_lo, exec_lo, s47
	s_delay_alu instid0(VALU_DEP_1)
	v_xor_b32_e32 v24, 0x80000000, v24
.LBB20_461:                             ;   in Loop: Header=BB20_3 Depth=1
	s_or_b32 exec_lo, exec_lo, s46
	s_and_saveexec_b32 s46, s90
; %bb.462:                              ;   in Loop: Header=BB20_3 Depth=1
	ds_store_b32 v37, v24
; %bb.463:                              ;   in Loop: Header=BB20_3 Depth=1
	s_or_b32 exec_lo, exec_lo, s46
	s_wait_dscnt 0x0
	s_barrier_signal -1
	s_barrier_wait -1
	s_and_saveexec_b32 s46, s91
	s_cbranch_execz .LBB20_465
; %bb.464:                              ;   in Loop: Header=BB20_3 Depth=1
	ds_load_b32 v28, v7 offset:7804
	ds_load_b32 v29, v37
	s_wait_dscnt 0x0
	v_fmac_f32_e32 v24, v28, v29
.LBB20_465:                             ;   in Loop: Header=BB20_3 Depth=1
	s_or_b32 exec_lo, exec_lo, s46
	s_barrier_signal -1
	s_barrier_wait -1
	s_and_saveexec_b32 s46, s91
; %bb.466:                              ;   in Loop: Header=BB20_3 Depth=1
	ds_store_b32 v37, v24
; %bb.467:                              ;   in Loop: Header=BB20_3 Depth=1
	s_or_b32 exec_lo, exec_lo, s46
	s_wait_dscnt 0x0
	s_barrier_signal -1
	s_barrier_wait -1
	s_barrier_signal -1
	s_barrier_wait -1
	s_and_saveexec_b32 s46, s2
; %bb.468:                              ;   in Loop: Header=BB20_3 Depth=1
	v_xor_b32_e32 v24, 0x80000000, v24
	ds_store_b32 v39, v24 offset:7288
; %bb.469:                              ;   in Loop: Header=BB20_3 Depth=1
	s_or_b32 exec_lo, exec_lo, s46
	s_wait_dscnt 0x0
	s_barrier_signal -1
	s_barrier_wait -1
	s_barrier_signal -1
	s_barrier_wait -1
	s_and_saveexec_b32 s46, s92
	s_cbranch_execz .LBB20_471
; %bb.470:                              ;   in Loop: Header=BB20_3 Depth=1
	v_add_nc_u32_e32 v24, v59, v44
	ds_load_b32 v28, v24 offset:7288
	s_wait_dscnt 0x0
	ds_store_b32 v59, v28 offset:7792
	ds_load_b32 v24, v24 offset:7292
	s_wait_dscnt 0x0
	ds_store_b32 v59, v24 offset:8048
.LBB20_471:                             ;   in Loop: Header=BB20_3 Depth=1
	s_or_b32 exec_lo, exec_lo, s46
	s_wait_dscnt 0x0
	s_barrier_signal -1
	s_barrier_wait -1
	s_and_saveexec_b32 s46, s11
	s_cbranch_execz .LBB20_473
; %bb.472:                              ;   in Loop: Header=BB20_3 Depth=1
	ds_load_b32 v24, v7 offset:7804
	ds_store_b32 v7, v25 offset:7800
	s_wait_dscnt 0x1
	ds_store_b64 v7, v[24:25] offset:8056
.LBB20_473:                             ;   in Loop: Header=BB20_3 Depth=1
	s_or_b32 exec_lo, exec_lo, s46
	v_mov_b32_e32 v24, 0
	s_wait_dscnt 0x0
	s_barrier_signal -1
	s_barrier_wait -1
	s_and_saveexec_b32 s80, s7
	s_cbranch_execz .LBB20_535
; %bb.474:                              ;   in Loop: Header=BB20_3 Depth=1
	v_add_nc_u32_e32 v28, v63, v62
	ds_load_b32 v24, v68 offset:128
	ds_load_b32 v29, v28
	s_wait_dscnt 0x0
	v_fma_f32 v24, v24, v29, 0
	s_mov_b32 s46, exec_lo
	v_readlane_b32 s47, v91, 30
	s_and_b32 s47, s46, s47
	s_delay_alu instid0(SALU_CYCLE_1)
	s_mov_b32 exec_lo, s47
	s_cbranch_execz .LBB20_476
; %bb.475:                              ;   in Loop: Header=BB20_3 Depth=1
	ds_load_b32 v29, v68 offset:384
	ds_load_b32 v30, v28 offset:4
	s_wait_dscnt 0x0
	v_fmac_f32_e32 v24, v29, v30
.LBB20_476:                             ;   in Loop: Header=BB20_3 Depth=1
	s_or_b32 exec_lo, exec_lo, s46
	s_delay_alu instid0(SALU_CYCLE_1) | instskip(SKIP_2) | instid1(SALU_CYCLE_1)
	s_mov_b32 s46, exec_lo
	v_readlane_b32 s47, v91, 31
	s_and_b32 s47, s46, s47
	s_mov_b32 exec_lo, s47
	s_cbranch_execz .LBB20_478
; %bb.477:                              ;   in Loop: Header=BB20_3 Depth=1
	ds_load_b32 v29, v68 offset:640
	ds_load_b32 v30, v28 offset:8
	s_wait_dscnt 0x0
	v_fmac_f32_e32 v24, v29, v30
.LBB20_478:                             ;   in Loop: Header=BB20_3 Depth=1
	s_or_b32 exec_lo, exec_lo, s46
	s_delay_alu instid0(SALU_CYCLE_1) | instskip(SKIP_2) | instid1(SALU_CYCLE_1)
	s_mov_b32 s46, exec_lo
	v_readlane_b32 s47, v90, 0
	s_and_b32 s47, s46, s47
	;; [unrolled: 13-line block ×22, first 2 shown]
	s_mov_b32 exec_lo, s47
	s_cbranch_execz .LBB20_520
; %bb.519:                              ;   in Loop: Header=BB20_3 Depth=1
	ds_load_b32 v29, v68 offset:6016
	ds_load_b32 v30, v28 offset:92
	s_wait_dscnt 0x0
	v_fmac_f32_e32 v24, v29, v30
.LBB20_520:                             ;   in Loop: Header=BB20_3 Depth=1
	s_or_b32 exec_lo, exec_lo, s46
	s_and_saveexec_b32 s46, s6
	s_cbranch_execz .LBB20_522
; %bb.521:                              ;   in Loop: Header=BB20_3 Depth=1
	ds_load_b32 v29, v68 offset:6272
	ds_load_b32 v30, v28 offset:96
	s_wait_dscnt 0x0
	v_fmac_f32_e32 v24, v29, v30
.LBB20_522:                             ;   in Loop: Header=BB20_3 Depth=1
	s_or_b32 exec_lo, exec_lo, s46
	s_delay_alu instid0(SALU_CYCLE_1) | instskip(SKIP_2) | instid1(SALU_CYCLE_1)
	s_mov_b32 s46, exec_lo
	v_readlane_b32 s47, v91, 20
	s_and_b32 s47, s46, s47
	s_mov_b32 exec_lo, s47
	s_cbranch_execz .LBB20_524
; %bb.523:                              ;   in Loop: Header=BB20_3 Depth=1
	ds_load_b32 v29, v68 offset:6528
	ds_load_b32 v30, v28 offset:100
	s_wait_dscnt 0x0
	v_fmac_f32_e32 v24, v29, v30
.LBB20_524:                             ;   in Loop: Header=BB20_3 Depth=1
	s_or_b32 exec_lo, exec_lo, s46
	s_delay_alu instid0(SALU_CYCLE_1) | instskip(SKIP_2) | instid1(SALU_CYCLE_1)
	s_mov_b32 s46, exec_lo
	v_readlane_b32 s47, v91, 22
	s_and_b32 s47, s46, s47
	s_mov_b32 exec_lo, s47
	;; [unrolled: 13-line block ×5, first 2 shown]
	s_cbranch_execnz .LBB20_1199
; %bb.531:                              ;   in Loop: Header=BB20_3 Depth=1
	s_or_b32 exec_lo, exec_lo, s46
	s_and_saveexec_b32 s46, s5
	s_cbranch_execnz .LBB20_1200
.LBB20_532:                             ;   in Loop: Header=BB20_3 Depth=1
	s_or_b32 exec_lo, exec_lo, s46
	s_and_saveexec_b32 s46, s18
	s_cbranch_execz .LBB20_534
.LBB20_533:                             ;   in Loop: Header=BB20_3 Depth=1
	ds_load_b32 v28, v5 offset:8064
	ds_load_b32 v29, v7 offset:124
	s_wait_dscnt 0x0
	v_fmac_f32_e32 v24, v28, v29
.LBB20_534:                             ;   in Loop: Header=BB20_3 Depth=1
	s_or_b32 exec_lo, exec_lo, s46
	s_delay_alu instid0(VALU_DEP_1)
	v_xor_b32_e32 v24, 0x80000000, v24
.LBB20_535:                             ;   in Loop: Header=BB20_3 Depth=1
	s_or_b32 exec_lo, exec_lo, s80
	s_delay_alu instid0(SALU_CYCLE_1) | instskip(SKIP_2) | instid1(SALU_CYCLE_1)
	s_mov_b32 s46, exec_lo
	v_readlane_b32 s47, v93, 10
	s_and_b32 s47, s46, s47
	s_mov_b32 exec_lo, s47
; %bb.536:                              ;   in Loop: Header=BB20_3 Depth=1
	ds_store_b32 v67, v24
; %bb.537:                              ;   in Loop: Header=BB20_3 Depth=1
	s_or_b32 exec_lo, exec_lo, s46
	s_wait_dscnt 0x0
	s_barrier_signal -1
	s_barrier_wait -1
	s_mov_b32 s46, exec_lo
	v_readlane_b32 s47, v93, 11
	s_and_b32 s47, s46, s47
	s_delay_alu instid0(SALU_CYCLE_1)
	s_mov_b32 exec_lo, s47
	s_cbranch_execz .LBB20_539
; %bb.538:                              ;   in Loop: Header=BB20_3 Depth=1
	ds_load_b32 v28, v64 offset:8320
	ds_load_b32 v29, v67
	s_wait_dscnt 0x0
	v_fmac_f32_e32 v24, v28, v29
.LBB20_539:                             ;   in Loop: Header=BB20_3 Depth=1
	s_or_b32 exec_lo, exec_lo, s46
	s_barrier_signal -1
	s_barrier_wait -1
	s_mov_b32 s46, exec_lo
	v_readlane_b32 s47, v93, 12
	s_and_b32 s47, s46, s47
	s_delay_alu instid0(SALU_CYCLE_1)
	s_mov_b32 exec_lo, s47
; %bb.540:                              ;   in Loop: Header=BB20_3 Depth=1
	ds_store_b32 v67, v24
; %bb.541:                              ;   in Loop: Header=BB20_3 Depth=1
	s_or_b32 exec_lo, exec_lo, s46
	s_wait_dscnt 0x0
	s_barrier_signal -1
	s_barrier_wait -1
	s_mov_b32 s46, exec_lo
	v_readlane_b32 s47, v93, 13
	s_and_b32 s47, s46, s47
	s_delay_alu instid0(SALU_CYCLE_1)
	s_mov_b32 exec_lo, s47
	s_cbranch_execz .LBB20_543
; %bb.542:                              ;   in Loop: Header=BB20_3 Depth=1
	ds_load_b32 v28, v64 offset:8576
	ds_load_b32 v29, v67
	s_wait_dscnt 0x0
	v_fmac_f32_e32 v24, v28, v29
.LBB20_543:                             ;   in Loop: Header=BB20_3 Depth=1
	s_or_b32 exec_lo, exec_lo, s46
	s_barrier_signal -1
	s_barrier_wait -1
	s_mov_b32 s46, exec_lo
	v_readlane_b32 s47, v93, 14
	s_and_b32 s47, s46, s47
	s_delay_alu instid0(SALU_CYCLE_1)
	;; [unrolled: 27-line block ×30, first 2 shown]
	s_mov_b32 exec_lo, s47
; %bb.656:                              ;   in Loop: Header=BB20_3 Depth=1
	ds_store_b32 v67, v24
; %bb.657:                              ;   in Loop: Header=BB20_3 Depth=1
	s_or_b32 exec_lo, exec_lo, s46
	s_wait_dscnt 0x0
	s_barrier_signal -1
	s_barrier_wait -1
	s_and_saveexec_b32 s46, s43
	s_cbranch_execz .LBB20_659
; %bb.658:                              ;   in Loop: Header=BB20_3 Depth=1
	ds_load_b32 v28, v7 offset:16124
	ds_load_b32 v29, v67
	s_wait_dscnt 0x0
	v_fmac_f32_e32 v24, v28, v29
.LBB20_659:                             ;   in Loop: Header=BB20_3 Depth=1
	s_or_b32 exec_lo, exec_lo, s46
	s_barrier_signal -1
	s_barrier_wait -1
	s_and_saveexec_b32 s46, s43
; %bb.660:                              ;   in Loop: Header=BB20_3 Depth=1
	ds_store_b32 v67, v24
; %bb.661:                              ;   in Loop: Header=BB20_3 Depth=1
	s_or_b32 exec_lo, exec_lo, s46
	s_wait_dscnt 0x0
	s_barrier_signal -1
	s_barrier_wait -1
	s_barrier_signal -1
	s_barrier_wait -1
	s_and_saveexec_b32 s46, s7
; %bb.662:                              ;   in Loop: Header=BB20_3 Depth=1
	v_xor_b32_e32 v24, 0x80000000, v24
	ds_store_b32 v68, v24 offset:128
; %bb.663:                              ;   in Loop: Header=BB20_3 Depth=1
	s_or_b32 exec_lo, exec_lo, s46
	s_wait_dscnt 0x0
	s_barrier_signal -1
	s_barrier_wait -1
	s_barrier_signal -1
	s_barrier_wait -1
	s_mov_b32 s61, exec_lo
	v_readlane_b32 s46, v91, 7
	s_and_b32 s46, s61, s46
	s_delay_alu instid0(SALU_CYCLE_1)
	s_mov_b32 exec_lo, s46
	s_cbranch_execz .LBB20_665
; %bb.664:                              ;   in Loop: Header=BB20_3 Depth=1
	ds_load_b32 v24, v43 offset:128
	s_wait_dscnt 0x0
	ds_store_b32 v69, v24 offset:8192
	ds_load_b32 v24, v43 offset:132
	s_wait_dscnt 0x0
	ds_store_b32 v69, v24 offset:8448
	;; [unrolled: 3-line block ×32, first 2 shown]
.LBB20_665:                             ;   in Loop: Header=BB20_3 Depth=1
	s_or_b32 exec_lo, exec_lo, s61
	s_wait_dscnt 0x0
	s_barrier_signal -1
	s_barrier_wait -1
	s_and_saveexec_b32 s46, s11
	s_cbranch_execz .LBB20_667
; %bb.666:                              ;   in Loop: Header=BB20_3 Depth=1
	ds_load_b32 v24, v7 offset:8324
	ds_store_b32 v7, v25 offset:8320
	s_wait_dscnt 0x1
	ds_store_b64 v7, v[24:25] offset:8576
.LBB20_667:                             ;   in Loop: Header=BB20_3 Depth=1
	s_or_b32 exec_lo, exec_lo, s46
	v_mov_b32_e32 v24, 0
	s_wait_dscnt 0x0
	s_barrier_signal -1
	s_barrier_wait -1
	s_and_saveexec_b32 s46, s2
	s_cbranch_execz .LBB20_671
; %bb.668:                              ;   in Loop: Header=BB20_3 Depth=1
	ds_load_b32 v24, v39 offset:8328
	ds_load_b32 v28, v40 offset:8320
	s_wait_dscnt 0x0
	v_fma_f32 v24, v24, v28, 0
	s_and_saveexec_b32 s47, s12
	s_cbranch_execz .LBB20_670
; %bb.669:                              ;   in Loop: Header=BB20_3 Depth=1
	ds_load_b32 v28, v5 offset:8584
	ds_load_b32 v29, v7 offset:8324
	s_wait_dscnt 0x0
	v_fmac_f32_e32 v24, v28, v29
.LBB20_670:                             ;   in Loop: Header=BB20_3 Depth=1
	s_or_b32 exec_lo, exec_lo, s47
	s_delay_alu instid0(VALU_DEP_1)
	v_xor_b32_e32 v24, 0x80000000, v24
.LBB20_671:                             ;   in Loop: Header=BB20_3 Depth=1
	s_or_b32 exec_lo, exec_lo, s46
	s_and_saveexec_b32 s46, s90
; %bb.672:                              ;   in Loop: Header=BB20_3 Depth=1
	ds_store_b32 v37, v24
; %bb.673:                              ;   in Loop: Header=BB20_3 Depth=1
	s_or_b32 exec_lo, exec_lo, s46
	s_wait_dscnt 0x0
	s_barrier_signal -1
	s_barrier_wait -1
	s_and_saveexec_b32 s46, s91
	s_cbranch_execz .LBB20_675
; %bb.674:                              ;   in Loop: Header=BB20_3 Depth=1
	ds_load_b32 v28, v7 offset:8844
	ds_load_b32 v29, v37
	s_wait_dscnt 0x0
	v_fmac_f32_e32 v24, v28, v29
.LBB20_675:                             ;   in Loop: Header=BB20_3 Depth=1
	s_or_b32 exec_lo, exec_lo, s46
	s_barrier_signal -1
	s_barrier_wait -1
	s_and_saveexec_b32 s46, s91
; %bb.676:                              ;   in Loop: Header=BB20_3 Depth=1
	ds_store_b32 v37, v24
; %bb.677:                              ;   in Loop: Header=BB20_3 Depth=1
	s_or_b32 exec_lo, exec_lo, s46
	s_wait_dscnt 0x0
	s_barrier_signal -1
	s_barrier_wait -1
	s_barrier_signal -1
	s_barrier_wait -1
	s_and_saveexec_b32 s46, s2
; %bb.678:                              ;   in Loop: Header=BB20_3 Depth=1
	v_xor_b32_e32 v24, 0x80000000, v24
	ds_store_b32 v39, v24 offset:8328
; %bb.679:                              ;   in Loop: Header=BB20_3 Depth=1
	s_or_b32 exec_lo, exec_lo, s46
	s_wait_dscnt 0x0
	s_barrier_signal -1
	s_barrier_wait -1
	s_barrier_signal -1
	s_barrier_wait -1
	s_and_saveexec_b32 s46, s92
	s_cbranch_execz .LBB20_681
; %bb.680:                              ;   in Loop: Header=BB20_3 Depth=1
	ds_load_b32 v24, v32 offset:8328
	s_wait_dscnt 0x0
	ds_store_b32 v5, v24 offset:8832
	ds_load_b32 v24, v32 offset:8332
	s_wait_dscnt 0x0
	ds_store_b32 v5, v24 offset:9088
.LBB20_681:                             ;   in Loop: Header=BB20_3 Depth=1
	s_or_b32 exec_lo, exec_lo, s46
	s_wait_dscnt 0x0
	s_barrier_signal -1
	s_barrier_wait -1
	s_and_saveexec_b32 s46, s11
	s_cbranch_execz .LBB20_683
; %bb.682:                              ;   in Loop: Header=BB20_3 Depth=1
	ds_load_b32 v24, v7 offset:8844
	ds_store_b32 v7, v25 offset:8840
	s_wait_dscnt 0x1
	ds_store_b64 v7, v[24:25] offset:9096
.LBB20_683:                             ;   in Loop: Header=BB20_3 Depth=1
	s_or_b32 exec_lo, exec_lo, s46
	v_mov_b32_e32 v24, 0
	s_wait_dscnt 0x0
	s_barrier_signal -1
	s_barrier_wait -1
	s_and_saveexec_b32 s61, s4
	s_cbranch_execz .LBB20_689
; %bb.684:                              ;   in Loop: Header=BB20_3 Depth=1
	ds_load_b32 v24, v48 offset:8336
	ds_load_b32 v28, v41 offset:8320
	s_wait_dscnt 0x0
	v_fma_f32 v24, v24, v28, 0
	s_and_saveexec_b32 s46, s13
	s_cbranch_execnz .LBB20_1201
; %bb.685:                              ;   in Loop: Header=BB20_3 Depth=1
	s_or_b32 exec_lo, exec_lo, s46
	s_and_saveexec_b32 s46, s14
	s_cbranch_execnz .LBB20_1202
.LBB20_686:                             ;   in Loop: Header=BB20_3 Depth=1
	s_or_b32 exec_lo, exec_lo, s46
	s_and_saveexec_b32 s46, s2
	s_cbranch_execz .LBB20_688
.LBB20_687:                             ;   in Loop: Header=BB20_3 Depth=1
	ds_load_b32 v28, v33 offset:9104
	ds_load_b32 v29, v7 offset:8332
	s_wait_dscnt 0x0
	v_fmac_f32_e32 v24, v28, v29
.LBB20_688:                             ;   in Loop: Header=BB20_3 Depth=1
	s_or_b32 exec_lo, exec_lo, s46
	s_delay_alu instid0(VALU_DEP_1)
	v_xor_b32_e32 v24, 0x80000000, v24
.LBB20_689:                             ;   in Loop: Header=BB20_3 Depth=1
	s_or_b32 exec_lo, exec_lo, s61
	s_and_saveexec_b32 s46, s93
; %bb.690:                              ;   in Loop: Header=BB20_3 Depth=1
	ds_store_b32 v47, v24
; %bb.691:                              ;   in Loop: Header=BB20_3 Depth=1
	s_or_b32 exec_lo, exec_lo, s46
	s_wait_dscnt 0x0
	s_barrier_signal -1
	s_barrier_wait -1
	s_and_saveexec_b32 s46, s94
	s_cbranch_execz .LBB20_693
; %bb.692:                              ;   in Loop: Header=BB20_3 Depth=1
	ds_load_b32 v28, v45 offset:9360
	ds_load_b32 v29, v47
	s_wait_dscnt 0x0
	v_fmac_f32_e32 v24, v28, v29
.LBB20_693:                             ;   in Loop: Header=BB20_3 Depth=1
	s_or_b32 exec_lo, exec_lo, s46
	s_barrier_signal -1
	s_barrier_wait -1
	s_and_saveexec_b32 s46, s95
; %bb.694:                              ;   in Loop: Header=BB20_3 Depth=1
	ds_store_b32 v47, v24
; %bb.695:                              ;   in Loop: Header=BB20_3 Depth=1
	s_or_b32 exec_lo, exec_lo, s46
	s_wait_dscnt 0x0
	s_barrier_signal -1
	s_barrier_wait -1
	s_and_saveexec_b32 s46, s96
	s_cbranch_execz .LBB20_697
; %bb.696:                              ;   in Loop: Header=BB20_3 Depth=1
	ds_load_b32 v28, v45 offset:9616
	ds_load_b32 v29, v47
	s_wait_dscnt 0x0
	v_fmac_f32_e32 v24, v28, v29
.LBB20_697:                             ;   in Loop: Header=BB20_3 Depth=1
	s_or_b32 exec_lo, exec_lo, s46
	s_barrier_signal -1
	s_barrier_wait -1
	;; [unrolled: 19-line block ×3, first 2 shown]
	s_and_saveexec_b32 s46, s98
; %bb.702:                              ;   in Loop: Header=BB20_3 Depth=1
	ds_store_b32 v47, v24
; %bb.703:                              ;   in Loop: Header=BB20_3 Depth=1
	s_or_b32 exec_lo, exec_lo, s46
	s_wait_dscnt 0x0
	s_barrier_signal -1
	s_barrier_wait -1
	s_barrier_signal -1
	s_barrier_wait -1
	s_and_saveexec_b32 s46, s4
; %bb.704:                              ;   in Loop: Header=BB20_3 Depth=1
	v_xor_b32_e32 v24, 0x80000000, v24
	ds_store_b32 v48, v24 offset:8336
; %bb.705:                              ;   in Loop: Header=BB20_3 Depth=1
	s_or_b32 exec_lo, exec_lo, s46
	s_wait_dscnt 0x0
	s_barrier_signal -1
	s_barrier_wait -1
	s_barrier_signal -1
	s_barrier_wait -1
	s_and_saveexec_b32 s46, s99
	s_cbranch_execz .LBB20_707
; %bb.706:                              ;   in Loop: Header=BB20_3 Depth=1
	ds_load_b32 v24, v34 offset:8336
	s_wait_dscnt 0x0
	ds_store_b32 v35, v24 offset:9344
	ds_load_b32 v24, v34 offset:8340
	s_wait_dscnt 0x0
	ds_store_b32 v35, v24 offset:9600
	;; [unrolled: 3-line block ×4, first 2 shown]
.LBB20_707:                             ;   in Loop: Header=BB20_3 Depth=1
	s_or_b32 exec_lo, exec_lo, s46
	s_wait_dscnt 0x0
	s_barrier_signal -1
	s_barrier_wait -1
	s_and_saveexec_b32 s46, s11
	s_cbranch_execz .LBB20_709
; %bb.708:                              ;   in Loop: Header=BB20_3 Depth=1
	ds_load_b32 v24, v7 offset:9364
	ds_store_b32 v7, v25 offset:9360
	s_wait_dscnt 0x1
	ds_store_b64 v7, v[24:25] offset:9616
.LBB20_709:                             ;   in Loop: Header=BB20_3 Depth=1
	s_or_b32 exec_lo, exec_lo, s46
	v_mov_b32_e32 v24, 0
	s_wait_dscnt 0x0
	s_barrier_signal -1
	s_barrier_wait -1
	s_and_saveexec_b32 s46, s2
	s_cbranch_execz .LBB20_713
; %bb.710:                              ;   in Loop: Header=BB20_3 Depth=1
	ds_load_b32 v24, v39 offset:9368
	ds_load_b32 v28, v40 offset:9360
	s_wait_dscnt 0x0
	v_fma_f32 v24, v24, v28, 0
	s_and_saveexec_b32 s47, s12
	s_cbranch_execz .LBB20_712
; %bb.711:                              ;   in Loop: Header=BB20_3 Depth=1
	ds_load_b32 v28, v35 offset:9624
	ds_load_b32 v29, v7 offset:9364
	s_wait_dscnt 0x0
	v_fmac_f32_e32 v24, v28, v29
.LBB20_712:                             ;   in Loop: Header=BB20_3 Depth=1
	s_or_b32 exec_lo, exec_lo, s47
	s_delay_alu instid0(VALU_DEP_1)
	v_xor_b32_e32 v24, 0x80000000, v24
.LBB20_713:                             ;   in Loop: Header=BB20_3 Depth=1
	s_or_b32 exec_lo, exec_lo, s46
	s_and_saveexec_b32 s46, s90
; %bb.714:                              ;   in Loop: Header=BB20_3 Depth=1
	ds_store_b32 v37, v24
; %bb.715:                              ;   in Loop: Header=BB20_3 Depth=1
	s_or_b32 exec_lo, exec_lo, s46
	s_wait_dscnt 0x0
	s_barrier_signal -1
	s_barrier_wait -1
	s_and_saveexec_b32 s46, s91
	s_cbranch_execz .LBB20_717
; %bb.716:                              ;   in Loop: Header=BB20_3 Depth=1
	ds_load_b32 v28, v7 offset:9884
	ds_load_b32 v29, v37
	s_wait_dscnt 0x0
	v_fmac_f32_e32 v24, v28, v29
.LBB20_717:                             ;   in Loop: Header=BB20_3 Depth=1
	s_or_b32 exec_lo, exec_lo, s46
	s_barrier_signal -1
	s_barrier_wait -1
	s_and_saveexec_b32 s46, s91
; %bb.718:                              ;   in Loop: Header=BB20_3 Depth=1
	ds_store_b32 v37, v24
; %bb.719:                              ;   in Loop: Header=BB20_3 Depth=1
	s_or_b32 exec_lo, exec_lo, s46
	s_wait_dscnt 0x0
	s_barrier_signal -1
	s_barrier_wait -1
	s_barrier_signal -1
	s_barrier_wait -1
	s_and_saveexec_b32 s46, s2
; %bb.720:                              ;   in Loop: Header=BB20_3 Depth=1
	v_xor_b32_e32 v24, 0x80000000, v24
	ds_store_b32 v39, v24 offset:9368
; %bb.721:                              ;   in Loop: Header=BB20_3 Depth=1
	s_or_b32 exec_lo, exec_lo, s46
	s_wait_dscnt 0x0
	s_barrier_signal -1
	s_barrier_wait -1
	s_barrier_signal -1
	s_barrier_wait -1
	s_and_saveexec_b32 s46, s92
	s_cbranch_execz .LBB20_723
; %bb.722:                              ;   in Loop: Header=BB20_3 Depth=1
	ds_load_b32 v24, v36 offset:9368
	s_wait_dscnt 0x0
	ds_store_b32 v35, v24 offset:9872
	ds_load_b32 v24, v36 offset:9372
	s_wait_dscnt 0x0
	ds_store_b32 v35, v24 offset:10128
.LBB20_723:                             ;   in Loop: Header=BB20_3 Depth=1
	s_or_b32 exec_lo, exec_lo, s46
	s_wait_dscnt 0x0
	s_barrier_signal -1
	s_barrier_wait -1
	s_and_saveexec_b32 s46, s11
	s_cbranch_execz .LBB20_725
; %bb.724:                              ;   in Loop: Header=BB20_3 Depth=1
	ds_load_b32 v24, v7 offset:9884
	ds_store_b32 v7, v25 offset:9880
	s_wait_dscnt 0x1
	ds_store_b64 v7, v[24:25] offset:10136
.LBB20_725:                             ;   in Loop: Header=BB20_3 Depth=1
	s_or_b32 exec_lo, exec_lo, s46
	v_mov_b32_e32 v24, 0
	s_wait_dscnt 0x0
	s_barrier_signal -1
	s_barrier_wait -1
	s_and_saveexec_b32 s61, s5
	s_cbranch_execz .LBB20_735
; %bb.726:                              ;   in Loop: Header=BB20_3 Depth=1
	ds_load_b32 v24, v55 offset:8352
	ds_load_b32 v28, v51 offset:8320
	s_wait_dscnt 0x0
	v_fma_f32 v24, v24, v28, 0
	s_and_saveexec_b32 s46, s15
	s_cbranch_execnz .LBB20_1203
; %bb.727:                              ;   in Loop: Header=BB20_3 Depth=1
	s_or_b32 exec_lo, exec_lo, s46
	s_and_saveexec_b32 s46, s16
	s_cbranch_execnz .LBB20_1204
.LBB20_728:                             ;   in Loop: Header=BB20_3 Depth=1
	s_or_b32 exec_lo, exec_lo, s46
	s_and_saveexec_b32 s46, s17
	s_cbranch_execnz .LBB20_1205
.LBB20_729:                             ;   in Loop: Header=BB20_3 Depth=1
	s_or_b32 exec_lo, exec_lo, s46
	s_and_saveexec_b32 s46, s18
	s_cbranch_execnz .LBB20_1206
.LBB20_730:                             ;   in Loop: Header=BB20_3 Depth=1
	s_or_b32 exec_lo, exec_lo, s46
	s_and_saveexec_b32 s46, s19
	s_cbranch_execnz .LBB20_1207
.LBB20_731:                             ;   in Loop: Header=BB20_3 Depth=1
	s_or_b32 exec_lo, exec_lo, s46
	s_and_saveexec_b32 s46, s4
	s_cbranch_execnz .LBB20_1208
.LBB20_732:                             ;   in Loop: Header=BB20_3 Depth=1
	s_or_b32 exec_lo, exec_lo, s46
	s_and_saveexec_b32 s46, s14
	s_cbranch_execz .LBB20_734
.LBB20_733:                             ;   in Loop: Header=BB20_3 Depth=1
	ds_load_b32 v28, v38 offset:10144
	ds_load_b32 v29, v7 offset:8348
	s_wait_dscnt 0x0
	v_fmac_f32_e32 v24, v28, v29
.LBB20_734:                             ;   in Loop: Header=BB20_3 Depth=1
	s_or_b32 exec_lo, exec_lo, s46
	s_delay_alu instid0(VALU_DEP_1)
	v_xor_b32_e32 v24, 0x80000000, v24
.LBB20_735:                             ;   in Loop: Header=BB20_3 Depth=1
	s_or_b32 exec_lo, exec_lo, s61
	s_and_saveexec_b32 s46, s100
; %bb.736:                              ;   in Loop: Header=BB20_3 Depth=1
	ds_store_b32 v54, v24
; %bb.737:                              ;   in Loop: Header=BB20_3 Depth=1
	s_or_b32 exec_lo, exec_lo, s46
	s_wait_dscnt 0x0
	s_barrier_signal -1
	s_barrier_wait -1
	s_and_saveexec_b32 s46, s101
	s_cbranch_execz .LBB20_739
; %bb.738:                              ;   in Loop: Header=BB20_3 Depth=1
	ds_load_b32 v28, v52 offset:10400
	ds_load_b32 v29, v54
	s_wait_dscnt 0x0
	v_fmac_f32_e32 v24, v28, v29
.LBB20_739:                             ;   in Loop: Header=BB20_3 Depth=1
	s_or_b32 exec_lo, exec_lo, s46
	s_barrier_signal -1
	s_barrier_wait -1
	s_and_saveexec_b32 s46, s102
; %bb.740:                              ;   in Loop: Header=BB20_3 Depth=1
	ds_store_b32 v54, v24
; %bb.741:                              ;   in Loop: Header=BB20_3 Depth=1
	s_or_b32 exec_lo, exec_lo, s46
	s_wait_dscnt 0x0
	s_barrier_signal -1
	s_barrier_wait -1
	s_and_saveexec_b32 s46, s103
	s_cbranch_execz .LBB20_743
; %bb.742:                              ;   in Loop: Header=BB20_3 Depth=1
	ds_load_b32 v28, v52 offset:10656
	ds_load_b32 v29, v54
	s_wait_dscnt 0x0
	v_fmac_f32_e32 v24, v28, v29
.LBB20_743:                             ;   in Loop: Header=BB20_3 Depth=1
	s_or_b32 exec_lo, exec_lo, s46
	s_barrier_signal -1
	s_barrier_wait -1
	s_and_saveexec_b32 s46, s104
; %bb.744:                              ;   in Loop: Header=BB20_3 Depth=1
	ds_store_b32 v54, v24
; %bb.745:                              ;   in Loop: Header=BB20_3 Depth=1
	s_or_b32 exec_lo, exec_lo, s46
	s_wait_dscnt 0x0
	s_barrier_signal -1
	s_barrier_wait -1
	s_and_saveexec_b32 s46, vcc_hi
	s_cbranch_execz .LBB20_747
; %bb.746:                              ;   in Loop: Header=BB20_3 Depth=1
	ds_load_b32 v28, v52 offset:10912
	ds_load_b32 v29, v54
	s_wait_dscnt 0x0
	v_fmac_f32_e32 v24, v28, v29
.LBB20_747:                             ;   in Loop: Header=BB20_3 Depth=1
	s_or_b32 exec_lo, exec_lo, s46
	s_barrier_signal -1
	s_barrier_wait -1
	s_and_saveexec_b32 s46, s31
; %bb.748:                              ;   in Loop: Header=BB20_3 Depth=1
	ds_store_b32 v54, v24
; %bb.749:                              ;   in Loop: Header=BB20_3 Depth=1
	s_or_b32 exec_lo, exec_lo, s46
	s_wait_dscnt 0x0
	s_barrier_signal -1
	s_barrier_wait -1
	s_and_saveexec_b32 s46, s33
	s_cbranch_execz .LBB20_751
; %bb.750:                              ;   in Loop: Header=BB20_3 Depth=1
	ds_load_b32 v28, v52 offset:11168
	ds_load_b32 v29, v54
	s_wait_dscnt 0x0
	v_fmac_f32_e32 v24, v28, v29
.LBB20_751:                             ;   in Loop: Header=BB20_3 Depth=1
	s_or_b32 exec_lo, exec_lo, s46
	s_barrier_signal -1
	s_barrier_wait -1
	s_and_saveexec_b32 s46, s34
; %bb.752:                              ;   in Loop: Header=BB20_3 Depth=1
	ds_store_b32 v54, v24
; %bb.753:                              ;   in Loop: Header=BB20_3 Depth=1
	s_or_b32 exec_lo, exec_lo, s46
	s_wait_dscnt 0x0
	s_barrier_signal -1
	s_barrier_wait -1
	s_and_saveexec_b32 s46, s35
	s_cbranch_execz .LBB20_755
; %bb.754:                              ;   in Loop: Header=BB20_3 Depth=1
	ds_load_b32 v28, v52 offset:11424
	ds_load_b32 v29, v54
	s_wait_dscnt 0x0
	v_fmac_f32_e32 v24, v28, v29
.LBB20_755:                             ;   in Loop: Header=BB20_3 Depth=1
	s_or_b32 exec_lo, exec_lo, s46
	s_barrier_signal -1
	s_barrier_wait -1
	s_and_saveexec_b32 s46, s36
; %bb.756:                              ;   in Loop: Header=BB20_3 Depth=1
	ds_store_b32 v54, v24
; %bb.757:                              ;   in Loop: Header=BB20_3 Depth=1
	s_or_b32 exec_lo, exec_lo, s46
	s_wait_dscnt 0x0
	s_barrier_signal -1
	s_barrier_wait -1
	s_and_saveexec_b32 s46, s37
	s_cbranch_execz .LBB20_759
; %bb.758:                              ;   in Loop: Header=BB20_3 Depth=1
	ds_load_b32 v28, v52 offset:11680
	ds_load_b32 v29, v54
	s_wait_dscnt 0x0
	v_fmac_f32_e32 v24, v28, v29
.LBB20_759:                             ;   in Loop: Header=BB20_3 Depth=1
	s_or_b32 exec_lo, exec_lo, s46
	s_barrier_signal -1
	s_barrier_wait -1
	s_and_saveexec_b32 s46, s38
; %bb.760:                              ;   in Loop: Header=BB20_3 Depth=1
	ds_store_b32 v54, v24
; %bb.761:                              ;   in Loop: Header=BB20_3 Depth=1
	s_or_b32 exec_lo, exec_lo, s46
	s_wait_dscnt 0x0
	s_barrier_signal -1
	s_barrier_wait -1
	s_and_saveexec_b32 s46, s39
	s_cbranch_execz .LBB20_763
; %bb.762:                              ;   in Loop: Header=BB20_3 Depth=1
	ds_load_b32 v28, v7 offset:11964
	ds_load_b32 v29, v54
	s_wait_dscnt 0x0
	v_fmac_f32_e32 v24, v28, v29
.LBB20_763:                             ;   in Loop: Header=BB20_3 Depth=1
	s_or_b32 exec_lo, exec_lo, s46
	s_barrier_signal -1
	s_barrier_wait -1
	s_and_saveexec_b32 s46, s39
; %bb.764:                              ;   in Loop: Header=BB20_3 Depth=1
	ds_store_b32 v54, v24
; %bb.765:                              ;   in Loop: Header=BB20_3 Depth=1
	s_or_b32 exec_lo, exec_lo, s46
	s_wait_dscnt 0x0
	s_barrier_signal -1
	s_barrier_wait -1
	s_barrier_signal -1
	s_barrier_wait -1
	s_and_saveexec_b32 s46, s5
; %bb.766:                              ;   in Loop: Header=BB20_3 Depth=1
	v_xor_b32_e32 v24, 0x80000000, v24
	ds_store_b32 v55, v24 offset:8352
; %bb.767:                              ;   in Loop: Header=BB20_3 Depth=1
	s_or_b32 exec_lo, exec_lo, s46
	s_wait_dscnt 0x0
	s_barrier_signal -1
	s_barrier_wait -1
	s_barrier_signal -1
	s_barrier_wait -1
	s_and_saveexec_b32 s46, s40
	s_cbranch_execz .LBB20_769
; %bb.768:                              ;   in Loop: Header=BB20_3 Depth=1
	ds_load_b32 v24, v42 offset:8352
	s_wait_dscnt 0x0
	ds_store_b32 v46, v24 offset:10368
	ds_load_b32 v24, v42 offset:8356
	s_wait_dscnt 0x0
	ds_store_b32 v46, v24 offset:10624
	;; [unrolled: 3-line block ×8, first 2 shown]
.LBB20_769:                             ;   in Loop: Header=BB20_3 Depth=1
	s_or_b32 exec_lo, exec_lo, s46
	s_wait_dscnt 0x0
	s_barrier_signal -1
	s_barrier_wait -1
	s_and_saveexec_b32 s46, s11
	s_cbranch_execz .LBB20_771
; %bb.770:                              ;   in Loop: Header=BB20_3 Depth=1
	ds_load_b32 v24, v7 offset:10404
	ds_store_b32 v7, v25 offset:10400
	s_wait_dscnt 0x1
	ds_store_b64 v7, v[24:25] offset:10656
.LBB20_771:                             ;   in Loop: Header=BB20_3 Depth=1
	s_or_b32 exec_lo, exec_lo, s46
	v_mov_b32_e32 v24, 0
	s_wait_dscnt 0x0
	s_barrier_signal -1
	s_barrier_wait -1
	s_and_saveexec_b32 s46, s2
	s_cbranch_execz .LBB20_775
; %bb.772:                              ;   in Loop: Header=BB20_3 Depth=1
	ds_load_b32 v24, v39 offset:10408
	ds_load_b32 v28, v40 offset:10400
	s_wait_dscnt 0x0
	v_fma_f32 v24, v24, v28, 0
	s_and_saveexec_b32 s47, s12
	s_cbranch_execz .LBB20_774
; %bb.773:                              ;   in Loop: Header=BB20_3 Depth=1
	ds_load_b32 v28, v46 offset:10664
	ds_load_b32 v29, v7 offset:10404
	s_wait_dscnt 0x0
	v_fmac_f32_e32 v24, v28, v29
.LBB20_774:                             ;   in Loop: Header=BB20_3 Depth=1
	s_or_b32 exec_lo, exec_lo, s47
	s_delay_alu instid0(VALU_DEP_1)
	v_xor_b32_e32 v24, 0x80000000, v24
.LBB20_775:                             ;   in Loop: Header=BB20_3 Depth=1
	s_or_b32 exec_lo, exec_lo, s46
	s_and_saveexec_b32 s46, s90
; %bb.776:                              ;   in Loop: Header=BB20_3 Depth=1
	ds_store_b32 v37, v24
; %bb.777:                              ;   in Loop: Header=BB20_3 Depth=1
	s_or_b32 exec_lo, exec_lo, s46
	s_wait_dscnt 0x0
	s_barrier_signal -1
	s_barrier_wait -1
	s_and_saveexec_b32 s46, s91
	s_cbranch_execz .LBB20_779
; %bb.778:                              ;   in Loop: Header=BB20_3 Depth=1
	ds_load_b32 v28, v7 offset:10924
	ds_load_b32 v29, v37
	s_wait_dscnt 0x0
	v_fmac_f32_e32 v24, v28, v29
.LBB20_779:                             ;   in Loop: Header=BB20_3 Depth=1
	s_or_b32 exec_lo, exec_lo, s46
	s_barrier_signal -1
	s_barrier_wait -1
	s_and_saveexec_b32 s46, s91
; %bb.780:                              ;   in Loop: Header=BB20_3 Depth=1
	ds_store_b32 v37, v24
; %bb.781:                              ;   in Loop: Header=BB20_3 Depth=1
	s_or_b32 exec_lo, exec_lo, s46
	s_wait_dscnt 0x0
	s_barrier_signal -1
	s_barrier_wait -1
	s_barrier_signal -1
	s_barrier_wait -1
	s_and_saveexec_b32 s46, s2
; %bb.782:                              ;   in Loop: Header=BB20_3 Depth=1
	v_xor_b32_e32 v24, 0x80000000, v24
	ds_store_b32 v39, v24 offset:10408
; %bb.783:                              ;   in Loop: Header=BB20_3 Depth=1
	s_or_b32 exec_lo, exec_lo, s46
	s_wait_dscnt 0x0
	s_barrier_signal -1
	s_barrier_wait -1
	s_barrier_signal -1
	s_barrier_wait -1
	s_and_saveexec_b32 s46, s92
	s_cbranch_execz .LBB20_785
; %bb.784:                              ;   in Loop: Header=BB20_3 Depth=1
	ds_load_b32 v24, v50 offset:10408
	s_wait_dscnt 0x0
	ds_store_b32 v46, v24 offset:10912
	ds_load_b32 v24, v50 offset:10412
	s_wait_dscnt 0x0
	ds_store_b32 v46, v24 offset:11168
.LBB20_785:                             ;   in Loop: Header=BB20_3 Depth=1
	s_or_b32 exec_lo, exec_lo, s46
	s_wait_dscnt 0x0
	s_barrier_signal -1
	s_barrier_wait -1
	s_and_saveexec_b32 s46, s11
	s_cbranch_execz .LBB20_787
; %bb.786:                              ;   in Loop: Header=BB20_3 Depth=1
	ds_load_b32 v24, v7 offset:10924
	ds_store_b32 v7, v25 offset:10920
	s_wait_dscnt 0x1
	ds_store_b64 v7, v[24:25] offset:11176
.LBB20_787:                             ;   in Loop: Header=BB20_3 Depth=1
	s_or_b32 exec_lo, exec_lo, s46
	v_mov_b32_e32 v24, 0
	s_wait_dscnt 0x0
	s_barrier_signal -1
	s_barrier_wait -1
	s_and_saveexec_b32 s61, s4
	s_cbranch_execz .LBB20_793
; %bb.788:                              ;   in Loop: Header=BB20_3 Depth=1
	ds_load_b32 v24, v48 offset:10416
	ds_load_b32 v28, v41 offset:10400
	s_wait_dscnt 0x0
	v_fma_f32 v24, v24, v28, 0
	s_and_saveexec_b32 s46, s13
	s_cbranch_execnz .LBB20_1209
; %bb.789:                              ;   in Loop: Header=BB20_3 Depth=1
	s_or_b32 exec_lo, exec_lo, s46
	s_and_saveexec_b32 s46, s14
	s_cbranch_execnz .LBB20_1210
.LBB20_790:                             ;   in Loop: Header=BB20_3 Depth=1
	s_or_b32 exec_lo, exec_lo, s46
	s_and_saveexec_b32 s46, s2
	s_cbranch_execz .LBB20_792
.LBB20_791:                             ;   in Loop: Header=BB20_3 Depth=1
	ds_load_b32 v28, v53 offset:11184
	ds_load_b32 v29, v7 offset:10412
	s_wait_dscnt 0x0
	v_fmac_f32_e32 v24, v28, v29
.LBB20_792:                             ;   in Loop: Header=BB20_3 Depth=1
	s_or_b32 exec_lo, exec_lo, s46
	s_delay_alu instid0(VALU_DEP_1)
	v_xor_b32_e32 v24, 0x80000000, v24
.LBB20_793:                             ;   in Loop: Header=BB20_3 Depth=1
	s_or_b32 exec_lo, exec_lo, s61
	s_and_saveexec_b32 s46, s93
; %bb.794:                              ;   in Loop: Header=BB20_3 Depth=1
	ds_store_b32 v47, v24
; %bb.795:                              ;   in Loop: Header=BB20_3 Depth=1
	s_or_b32 exec_lo, exec_lo, s46
	s_wait_dscnt 0x0
	s_barrier_signal -1
	s_barrier_wait -1
	s_and_saveexec_b32 s46, s94
	s_cbranch_execz .LBB20_797
; %bb.796:                              ;   in Loop: Header=BB20_3 Depth=1
	ds_load_b32 v28, v45 offset:11440
	ds_load_b32 v29, v47
	s_wait_dscnt 0x0
	v_fmac_f32_e32 v24, v28, v29
.LBB20_797:                             ;   in Loop: Header=BB20_3 Depth=1
	s_or_b32 exec_lo, exec_lo, s46
	s_barrier_signal -1
	s_barrier_wait -1
	s_and_saveexec_b32 s46, s95
; %bb.798:                              ;   in Loop: Header=BB20_3 Depth=1
	ds_store_b32 v47, v24
; %bb.799:                              ;   in Loop: Header=BB20_3 Depth=1
	s_or_b32 exec_lo, exec_lo, s46
	s_wait_dscnt 0x0
	s_barrier_signal -1
	s_barrier_wait -1
	s_and_saveexec_b32 s46, s96
	s_cbranch_execz .LBB20_801
; %bb.800:                              ;   in Loop: Header=BB20_3 Depth=1
	ds_load_b32 v28, v45 offset:11696
	ds_load_b32 v29, v47
	s_wait_dscnt 0x0
	v_fmac_f32_e32 v24, v28, v29
.LBB20_801:                             ;   in Loop: Header=BB20_3 Depth=1
	s_or_b32 exec_lo, exec_lo, s46
	s_barrier_signal -1
	s_barrier_wait -1
	;; [unrolled: 19-line block ×3, first 2 shown]
	s_and_saveexec_b32 s46, s98
; %bb.806:                              ;   in Loop: Header=BB20_3 Depth=1
	ds_store_b32 v47, v24
; %bb.807:                              ;   in Loop: Header=BB20_3 Depth=1
	s_or_b32 exec_lo, exec_lo, s46
	s_wait_dscnt 0x0
	s_barrier_signal -1
	s_barrier_wait -1
	s_barrier_signal -1
	s_barrier_wait -1
	s_and_saveexec_b32 s46, s4
; %bb.808:                              ;   in Loop: Header=BB20_3 Depth=1
	v_xor_b32_e32 v24, 0x80000000, v24
	ds_store_b32 v48, v24 offset:10416
; %bb.809:                              ;   in Loop: Header=BB20_3 Depth=1
	s_or_b32 exec_lo, exec_lo, s46
	s_wait_dscnt 0x0
	s_barrier_signal -1
	s_barrier_wait -1
	s_barrier_signal -1
	s_barrier_wait -1
	s_and_saveexec_b32 s46, s99
	s_cbranch_execz .LBB20_811
; %bb.810:                              ;   in Loop: Header=BB20_3 Depth=1
	ds_load_b32 v24, v56 offset:10416
	s_wait_dscnt 0x0
	ds_store_b32 v59, v24 offset:11424
	ds_load_b32 v24, v56 offset:10420
	s_wait_dscnt 0x0
	ds_store_b32 v59, v24 offset:11680
	;; [unrolled: 3-line block ×4, first 2 shown]
.LBB20_811:                             ;   in Loop: Header=BB20_3 Depth=1
	s_or_b32 exec_lo, exec_lo, s46
	s_wait_dscnt 0x0
	s_barrier_signal -1
	s_barrier_wait -1
	s_and_saveexec_b32 s46, s11
	s_cbranch_execz .LBB20_813
; %bb.812:                              ;   in Loop: Header=BB20_3 Depth=1
	ds_load_b32 v24, v7 offset:11444
	ds_store_b32 v7, v25 offset:11440
	s_wait_dscnt 0x1
	ds_store_b64 v7, v[24:25] offset:11696
.LBB20_813:                             ;   in Loop: Header=BB20_3 Depth=1
	s_or_b32 exec_lo, exec_lo, s46
	v_mov_b32_e32 v24, 0
	s_wait_dscnt 0x0
	s_barrier_signal -1
	s_barrier_wait -1
	s_and_saveexec_b32 s46, s2
	s_cbranch_execz .LBB20_817
; %bb.814:                              ;   in Loop: Header=BB20_3 Depth=1
	ds_load_b32 v24, v39 offset:11448
	ds_load_b32 v28, v40 offset:11440
	s_wait_dscnt 0x0
	v_fma_f32 v24, v24, v28, 0
	s_and_saveexec_b32 s47, s12
	s_cbranch_execz .LBB20_816
; %bb.815:                              ;   in Loop: Header=BB20_3 Depth=1
	ds_load_b32 v28, v59 offset:11704
	ds_load_b32 v29, v7 offset:11444
	s_wait_dscnt 0x0
	v_fmac_f32_e32 v24, v28, v29
.LBB20_816:                             ;   in Loop: Header=BB20_3 Depth=1
	s_or_b32 exec_lo, exec_lo, s47
	s_delay_alu instid0(VALU_DEP_1)
	v_xor_b32_e32 v24, 0x80000000, v24
.LBB20_817:                             ;   in Loop: Header=BB20_3 Depth=1
	s_or_b32 exec_lo, exec_lo, s46
	s_and_saveexec_b32 s46, s90
; %bb.818:                              ;   in Loop: Header=BB20_3 Depth=1
	ds_store_b32 v37, v24
; %bb.819:                              ;   in Loop: Header=BB20_3 Depth=1
	s_or_b32 exec_lo, exec_lo, s46
	s_wait_dscnt 0x0
	s_barrier_signal -1
	s_barrier_wait -1
	s_and_saveexec_b32 s46, s91
	s_cbranch_execz .LBB20_821
; %bb.820:                              ;   in Loop: Header=BB20_3 Depth=1
	ds_load_b32 v28, v7 offset:11964
	ds_load_b32 v29, v37
	s_wait_dscnt 0x0
	v_fmac_f32_e32 v24, v28, v29
.LBB20_821:                             ;   in Loop: Header=BB20_3 Depth=1
	s_or_b32 exec_lo, exec_lo, s46
	s_barrier_signal -1
	s_barrier_wait -1
	s_and_saveexec_b32 s46, s91
; %bb.822:                              ;   in Loop: Header=BB20_3 Depth=1
	ds_store_b32 v37, v24
; %bb.823:                              ;   in Loop: Header=BB20_3 Depth=1
	s_or_b32 exec_lo, exec_lo, s46
	s_wait_dscnt 0x0
	s_barrier_signal -1
	s_barrier_wait -1
	s_barrier_signal -1
	s_barrier_wait -1
	s_and_saveexec_b32 s46, s2
; %bb.824:                              ;   in Loop: Header=BB20_3 Depth=1
	v_xor_b32_e32 v24, 0x80000000, v24
	ds_store_b32 v39, v24 offset:11448
; %bb.825:                              ;   in Loop: Header=BB20_3 Depth=1
	s_or_b32 exec_lo, exec_lo, s46
	s_wait_dscnt 0x0
	s_barrier_signal -1
	s_barrier_wait -1
	s_barrier_signal -1
	s_barrier_wait -1
	s_and_saveexec_b32 s46, s92
	s_cbranch_execz .LBB20_827
; %bb.826:                              ;   in Loop: Header=BB20_3 Depth=1
	v_add_nc_u32_e32 v24, v59, v44
	ds_load_b32 v28, v24 offset:11448
	s_wait_dscnt 0x0
	ds_store_b32 v59, v28 offset:11952
	ds_load_b32 v24, v24 offset:11452
	s_wait_dscnt 0x0
	ds_store_b32 v59, v24 offset:12208
.LBB20_827:                             ;   in Loop: Header=BB20_3 Depth=1
	s_or_b32 exec_lo, exec_lo, s46
	s_wait_dscnt 0x0
	s_barrier_signal -1
	s_barrier_wait -1
	s_and_saveexec_b32 s46, s11
	s_cbranch_execz .LBB20_829
; %bb.828:                              ;   in Loop: Header=BB20_3 Depth=1
	ds_load_b32 v24, v7 offset:11964
	ds_store_b32 v7, v25 offset:11960
	s_wait_dscnt 0x1
	ds_store_b64 v7, v[24:25] offset:12216
.LBB20_829:                             ;   in Loop: Header=BB20_3 Depth=1
	s_or_b32 exec_lo, exec_lo, s46
	v_mov_b32_e32 v24, 0
	s_wait_dscnt 0x0
	s_barrier_signal -1
	s_barrier_wait -1
	s_and_saveexec_b32 s61, s6
	s_cbranch_execz .LBB20_857
; %bb.830:                              ;   in Loop: Header=BB20_3 Depth=1
	ds_load_b32 v24, v65 offset:8384
	ds_load_b32 v28, v58 offset:8320
	s_wait_dscnt 0x0
	v_fma_f32 v24, v24, v28, 0
	s_mov_b32 s46, exec_lo
	v_readlane_b32 s47, v91, 19
	s_and_b32 s47, s46, s47
	s_delay_alu instid0(SALU_CYCLE_1)
	s_mov_b32 exec_lo, s47
	s_cbranch_execz .LBB20_832
; %bb.831:                              ;   in Loop: Header=BB20_3 Depth=1
	ds_load_b32 v28, v66 offset:8640
	ds_load_b32 v29, v58 offset:8324
	s_wait_dscnt 0x0
	v_fmac_f32_e32 v24, v28, v29
.LBB20_832:                             ;   in Loop: Header=BB20_3 Depth=1
	s_or_b32 exec_lo, exec_lo, s46
	s_delay_alu instid0(SALU_CYCLE_1) | instskip(SKIP_2) | instid1(SALU_CYCLE_1)
	s_mov_b32 s46, exec_lo
	v_readlane_b32 s47, v91, 20
	s_and_b32 s47, s46, s47
	s_mov_b32 exec_lo, s47
	s_cbranch_execz .LBB20_834
; %bb.833:                              ;   in Loop: Header=BB20_3 Depth=1
	ds_load_b32 v28, v66 offset:8896
	ds_load_b32 v29, v58 offset:8328
	s_wait_dscnt 0x0
	v_fmac_f32_e32 v24, v28, v29
.LBB20_834:                             ;   in Loop: Header=BB20_3 Depth=1
	s_or_b32 exec_lo, exec_lo, s46
	s_delay_alu instid0(SALU_CYCLE_1) | instskip(SKIP_2) | instid1(SALU_CYCLE_1)
	s_mov_b32 s46, exec_lo
	v_readlane_b32 s47, v91, 21
	s_and_b32 s47, s46, s47
	;; [unrolled: 13-line block ×10, first 2 shown]
	s_mov_b32 exec_lo, s47
	s_cbranch_execnz .LBB20_1211
; %bb.851:                              ;   in Loop: Header=BB20_3 Depth=1
	s_or_b32 exec_lo, exec_lo, s46
	s_and_saveexec_b32 s46, s5
	s_cbranch_execnz .LBB20_1212
.LBB20_852:                             ;   in Loop: Header=BB20_3 Depth=1
	s_or_b32 exec_lo, exec_lo, s46
	s_and_saveexec_b32 s46, s16
	s_cbranch_execnz .LBB20_1213
.LBB20_853:                             ;   in Loop: Header=BB20_3 Depth=1
	s_or_b32 exec_lo, exec_lo, s46
	s_and_saveexec_b32 s46, s18
	s_cbranch_execnz .LBB20_1214
.LBB20_854:                             ;   in Loop: Header=BB20_3 Depth=1
	s_or_b32 exec_lo, exec_lo, s46
	s_and_saveexec_b32 s46, s4
	s_cbranch_execz .LBB20_856
.LBB20_855:                             ;   in Loop: Header=BB20_3 Depth=1
	ds_load_b32 v28, v5 offset:12224
	ds_load_b32 v29, v7 offset:8380
	s_wait_dscnt 0x0
	v_fmac_f32_e32 v24, v28, v29
.LBB20_856:                             ;   in Loop: Header=BB20_3 Depth=1
	s_or_b32 exec_lo, exec_lo, s46
	s_delay_alu instid0(VALU_DEP_1)
	v_xor_b32_e32 v24, 0x80000000, v24
.LBB20_857:                             ;   in Loop: Header=BB20_3 Depth=1
	s_or_b32 exec_lo, exec_lo, s61
	s_delay_alu instid0(SALU_CYCLE_1) | instskip(SKIP_2) | instid1(SALU_CYCLE_1)
	s_mov_b32 s46, exec_lo
	v_readlane_b32 s47, v93, 2
	s_and_b32 s47, s46, s47
	s_mov_b32 exec_lo, s47
; %bb.858:                              ;   in Loop: Header=BB20_3 Depth=1
	ds_store_b32 v60, v24
; %bb.859:                              ;   in Loop: Header=BB20_3 Depth=1
	s_or_b32 exec_lo, exec_lo, s46
	s_wait_dscnt 0x0
	s_barrier_signal -1
	s_barrier_wait -1
	s_mov_b32 s46, exec_lo
	v_readlane_b32 s47, v93, 3
	s_and_b32 s47, s46, s47
	s_delay_alu instid0(SALU_CYCLE_1)
	s_mov_b32 exec_lo, s47
	s_cbranch_execz .LBB20_861
; %bb.860:                              ;   in Loop: Header=BB20_3 Depth=1
	ds_load_b32 v28, v61 offset:12480
	ds_load_b32 v29, v60
	s_wait_dscnt 0x0
	v_fmac_f32_e32 v24, v28, v29
.LBB20_861:                             ;   in Loop: Header=BB20_3 Depth=1
	s_or_b32 exec_lo, exec_lo, s46
	s_barrier_signal -1
	s_barrier_wait -1
	s_mov_b32 s46, exec_lo
	v_readlane_b32 s47, v93, 4
	s_and_b32 s47, s46, s47
	s_delay_alu instid0(SALU_CYCLE_1)
	s_mov_b32 exec_lo, s47
; %bb.862:                              ;   in Loop: Header=BB20_3 Depth=1
	ds_store_b32 v60, v24
; %bb.863:                              ;   in Loop: Header=BB20_3 Depth=1
	s_or_b32 exec_lo, exec_lo, s46
	s_wait_dscnt 0x0
	s_barrier_signal -1
	s_barrier_wait -1
	s_mov_b32 s46, exec_lo
	v_readlane_b32 s47, v93, 5
	s_and_b32 s47, s46, s47
	s_delay_alu instid0(SALU_CYCLE_1)
	s_mov_b32 exec_lo, s47
	s_cbranch_execz .LBB20_865
; %bb.864:                              ;   in Loop: Header=BB20_3 Depth=1
	ds_load_b32 v28, v61 offset:12736
	ds_load_b32 v29, v60
	s_wait_dscnt 0x0
	v_fmac_f32_e32 v24, v28, v29
.LBB20_865:                             ;   in Loop: Header=BB20_3 Depth=1
	s_or_b32 exec_lo, exec_lo, s46
	s_barrier_signal -1
	s_barrier_wait -1
	s_mov_b32 s46, exec_lo
	v_readlane_b32 s47, v93, 6
	s_and_b32 s47, s46, s47
	s_delay_alu instid0(SALU_CYCLE_1)
	;; [unrolled: 27-line block ×3, first 2 shown]
	s_mov_b32 exec_lo, s47
; %bb.870:                              ;   in Loop: Header=BB20_3 Depth=1
	ds_store_b32 v60, v24
; %bb.871:                              ;   in Loop: Header=BB20_3 Depth=1
	s_or_b32 exec_lo, exec_lo, s46
	s_wait_dscnt 0x0
	s_barrier_signal -1
	s_barrier_wait -1
	s_mov_b32 s46, exec_lo
	v_readlane_b32 s47, v93, 9
	s_and_b32 s47, s46, s47
	s_delay_alu instid0(SALU_CYCLE_1)
	s_mov_b32 exec_lo, s47
	s_cbranch_execz .LBB20_873
; %bb.872:                              ;   in Loop: Header=BB20_3 Depth=1
	ds_load_b32 v28, v61 offset:13248
	ds_load_b32 v29, v60
	s_wait_dscnt 0x0
	v_fmac_f32_e32 v24, v28, v29
.LBB20_873:                             ;   in Loop: Header=BB20_3 Depth=1
	s_or_b32 exec_lo, exec_lo, s46
	s_barrier_signal -1
	s_barrier_wait -1
	s_and_saveexec_b32 s46, s49
; %bb.874:                              ;   in Loop: Header=BB20_3 Depth=1
	ds_store_b32 v60, v24
; %bb.875:                              ;   in Loop: Header=BB20_3 Depth=1
	s_or_b32 exec_lo, exec_lo, s46
	s_wait_dscnt 0x0
	s_barrier_signal -1
	s_barrier_wait -1
	s_and_saveexec_b32 s46, s50
	s_cbranch_execz .LBB20_877
; %bb.876:                              ;   in Loop: Header=BB20_3 Depth=1
	ds_load_b32 v28, v61 offset:13504
	ds_load_b32 v29, v60
	s_wait_dscnt 0x0
	v_fmac_f32_e32 v24, v28, v29
.LBB20_877:                             ;   in Loop: Header=BB20_3 Depth=1
	s_or_b32 exec_lo, exec_lo, s46
	s_barrier_signal -1
	s_barrier_wait -1
	s_and_saveexec_b32 s46, s51
; %bb.878:                              ;   in Loop: Header=BB20_3 Depth=1
	ds_store_b32 v60, v24
; %bb.879:                              ;   in Loop: Header=BB20_3 Depth=1
	s_or_b32 exec_lo, exec_lo, s46
	s_wait_dscnt 0x0
	s_barrier_signal -1
	s_barrier_wait -1
	s_and_saveexec_b32 s46, s52
	s_cbranch_execz .LBB20_881
; %bb.880:                              ;   in Loop: Header=BB20_3 Depth=1
	ds_load_b32 v28, v61 offset:13760
	ds_load_b32 v29, v60
	s_wait_dscnt 0x0
	v_fmac_f32_e32 v24, v28, v29
.LBB20_881:                             ;   in Loop: Header=BB20_3 Depth=1
	s_or_b32 exec_lo, exec_lo, s46
	s_barrier_signal -1
	s_barrier_wait -1
	s_and_saveexec_b32 s46, s53
; %bb.882:                              ;   in Loop: Header=BB20_3 Depth=1
	ds_store_b32 v60, v24
; %bb.883:                              ;   in Loop: Header=BB20_3 Depth=1
	s_or_b32 exec_lo, exec_lo, s46
	s_wait_dscnt 0x0
	s_barrier_signal -1
	s_barrier_wait -1
	s_and_saveexec_b32 s46, s54
	s_cbranch_execz .LBB20_885
; %bb.884:                              ;   in Loop: Header=BB20_3 Depth=1
	ds_load_b32 v28, v61 offset:14016
	ds_load_b32 v29, v60
	s_wait_dscnt 0x0
	v_fmac_f32_e32 v24, v28, v29
.LBB20_885:                             ;   in Loop: Header=BB20_3 Depth=1
	s_or_b32 exec_lo, exec_lo, s46
	s_barrier_signal -1
	s_barrier_wait -1
	s_and_saveexec_b32 s46, s20
; %bb.886:                              ;   in Loop: Header=BB20_3 Depth=1
	ds_store_b32 v60, v24
; %bb.887:                              ;   in Loop: Header=BB20_3 Depth=1
	s_or_b32 exec_lo, exec_lo, s46
	s_wait_dscnt 0x0
	s_barrier_signal -1
	s_barrier_wait -1
	s_and_saveexec_b32 s46, s22
	s_cbranch_execz .LBB20_889
; %bb.888:                              ;   in Loop: Header=BB20_3 Depth=1
	ds_load_b32 v28, v61 offset:14272
	ds_load_b32 v29, v60
	s_wait_dscnt 0x0
	v_fmac_f32_e32 v24, v28, v29
.LBB20_889:                             ;   in Loop: Header=BB20_3 Depth=1
	s_or_b32 exec_lo, exec_lo, s46
	s_barrier_signal -1
	s_barrier_wait -1
	s_and_saveexec_b32 s46, s24
; %bb.890:                              ;   in Loop: Header=BB20_3 Depth=1
	ds_store_b32 v60, v24
; %bb.891:                              ;   in Loop: Header=BB20_3 Depth=1
	s_or_b32 exec_lo, exec_lo, s46
	s_wait_dscnt 0x0
	s_barrier_signal -1
	s_barrier_wait -1
	s_and_saveexec_b32 s46, s26
	s_cbranch_execz .LBB20_893
; %bb.892:                              ;   in Loop: Header=BB20_3 Depth=1
	ds_load_b32 v28, v61 offset:14528
	ds_load_b32 v29, v60
	s_wait_dscnt 0x0
	v_fmac_f32_e32 v24, v28, v29
.LBB20_893:                             ;   in Loop: Header=BB20_3 Depth=1
	s_or_b32 exec_lo, exec_lo, s46
	s_barrier_signal -1
	s_barrier_wait -1
	s_and_saveexec_b32 s46, s28
; %bb.894:                              ;   in Loop: Header=BB20_3 Depth=1
	ds_store_b32 v60, v24
; %bb.895:                              ;   in Loop: Header=BB20_3 Depth=1
	s_or_b32 exec_lo, exec_lo, s46
	s_wait_dscnt 0x0
	s_barrier_signal -1
	s_barrier_wait -1
	s_and_saveexec_b32 s46, s30
	s_cbranch_execz .LBB20_897
; %bb.896:                              ;   in Loop: Header=BB20_3 Depth=1
	ds_load_b32 v28, v61 offset:14784
	ds_load_b32 v29, v60
	s_wait_dscnt 0x0
	v_fmac_f32_e32 v24, v28, v29
.LBB20_897:                             ;   in Loop: Header=BB20_3 Depth=1
	s_or_b32 exec_lo, exec_lo, s46
	s_barrier_signal -1
	s_barrier_wait -1
	s_and_saveexec_b32 s46, s58
; %bb.898:                              ;   in Loop: Header=BB20_3 Depth=1
	ds_store_b32 v60, v24
; %bb.899:                              ;   in Loop: Header=BB20_3 Depth=1
	s_or_b32 exec_lo, exec_lo, s46
	s_wait_dscnt 0x0
	s_barrier_signal -1
	s_barrier_wait -1
	s_and_saveexec_b32 s46, s59
	s_cbranch_execz .LBB20_901
; %bb.900:                              ;   in Loop: Header=BB20_3 Depth=1
	ds_load_b32 v28, v61 offset:15040
	ds_load_b32 v29, v60
	s_wait_dscnt 0x0
	v_fmac_f32_e32 v24, v28, v29
.LBB20_901:                             ;   in Loop: Header=BB20_3 Depth=1
	s_or_b32 exec_lo, exec_lo, s46
	s_barrier_signal -1
	s_barrier_wait -1
	s_and_saveexec_b32 s46, s21
; %bb.902:                              ;   in Loop: Header=BB20_3 Depth=1
	ds_store_b32 v60, v24
; %bb.903:                              ;   in Loop: Header=BB20_3 Depth=1
	s_or_b32 exec_lo, exec_lo, s46
	s_wait_dscnt 0x0
	s_barrier_signal -1
	s_barrier_wait -1
	s_and_saveexec_b32 s46, s23
	s_cbranch_execz .LBB20_905
; %bb.904:                              ;   in Loop: Header=BB20_3 Depth=1
	ds_load_b32 v28, v61 offset:15296
	ds_load_b32 v29, v60
	s_wait_dscnt 0x0
	v_fmac_f32_e32 v24, v28, v29
.LBB20_905:                             ;   in Loop: Header=BB20_3 Depth=1
	s_or_b32 exec_lo, exec_lo, s46
	s_barrier_signal -1
	s_barrier_wait -1
	s_and_saveexec_b32 s46, s25
; %bb.906:                              ;   in Loop: Header=BB20_3 Depth=1
	ds_store_b32 v60, v24
; %bb.907:                              ;   in Loop: Header=BB20_3 Depth=1
	s_or_b32 exec_lo, exec_lo, s46
	s_wait_dscnt 0x0
	s_barrier_signal -1
	s_barrier_wait -1
	s_and_saveexec_b32 s46, s27
	s_cbranch_execz .LBB20_909
; %bb.908:                              ;   in Loop: Header=BB20_3 Depth=1
	ds_load_b32 v28, v61 offset:15552
	ds_load_b32 v29, v60
	s_wait_dscnt 0x0
	v_fmac_f32_e32 v24, v28, v29
.LBB20_909:                             ;   in Loop: Header=BB20_3 Depth=1
	s_or_b32 exec_lo, exec_lo, s46
	s_barrier_signal -1
	s_barrier_wait -1
	s_and_saveexec_b32 s46, s29
; %bb.910:                              ;   in Loop: Header=BB20_3 Depth=1
	ds_store_b32 v60, v24
; %bb.911:                              ;   in Loop: Header=BB20_3 Depth=1
	s_or_b32 exec_lo, exec_lo, s46
	s_wait_dscnt 0x0
	s_barrier_signal -1
	s_barrier_wait -1
	s_and_saveexec_b32 s46, s88
	s_cbranch_execz .LBB20_913
; %bb.912:                              ;   in Loop: Header=BB20_3 Depth=1
	ds_load_b32 v28, v61 offset:15808
	ds_load_b32 v29, v60
	s_wait_dscnt 0x0
	v_fmac_f32_e32 v24, v28, v29
.LBB20_913:                             ;   in Loop: Header=BB20_3 Depth=1
	s_or_b32 exec_lo, exec_lo, s46
	s_barrier_signal -1
	s_barrier_wait -1
	s_and_saveexec_b32 s46, s84
; %bb.914:                              ;   in Loop: Header=BB20_3 Depth=1
	ds_store_b32 v60, v24
; %bb.915:                              ;   in Loop: Header=BB20_3 Depth=1
	s_or_b32 exec_lo, exec_lo, s46
	s_wait_dscnt 0x0
	s_barrier_signal -1
	s_barrier_wait -1
	s_and_saveexec_b32 s46, s41
	s_cbranch_execz .LBB20_917
; %bb.916:                              ;   in Loop: Header=BB20_3 Depth=1
	ds_load_b32 v28, v7 offset:16124
	ds_load_b32 v29, v60
	s_wait_dscnt 0x0
	v_fmac_f32_e32 v24, v28, v29
.LBB20_917:                             ;   in Loop: Header=BB20_3 Depth=1
	s_or_b32 exec_lo, exec_lo, s46
	s_barrier_signal -1
	s_barrier_wait -1
	s_and_saveexec_b32 s46, s41
; %bb.918:                              ;   in Loop: Header=BB20_3 Depth=1
	ds_store_b32 v60, v24
; %bb.919:                              ;   in Loop: Header=BB20_3 Depth=1
	s_or_b32 exec_lo, exec_lo, s46
	s_wait_dscnt 0x0
	s_barrier_signal -1
	s_barrier_wait -1
	s_barrier_signal -1
	s_barrier_wait -1
	s_and_saveexec_b32 s46, s6
; %bb.920:                              ;   in Loop: Header=BB20_3 Depth=1
	v_xor_b32_e32 v24, 0x80000000, v24
	ds_store_b32 v65, v24 offset:8384
; %bb.921:                              ;   in Loop: Header=BB20_3 Depth=1
	s_or_b32 exec_lo, exec_lo, s46
	s_wait_dscnt 0x0
	s_barrier_signal -1
	s_barrier_wait -1
	s_barrier_signal -1
	s_barrier_wait -1
	s_and_saveexec_b32 s60, s42
	s_cbranch_execz .LBB20_923
; %bb.922:                              ;   in Loop: Header=BB20_3 Depth=1
	ds_load_b32 v24, v32 offset:8384
	s_wait_dscnt 0x0
	ds_store_b32 v33, v24 offset:12416
	ds_load_b32 v24, v32 offset:8388
	s_wait_dscnt 0x0
	ds_store_b32 v33, v24 offset:12672
	ds_load_b32 v24, v32 offset:8392
	s_wait_dscnt 0x0
	ds_store_b32 v33, v24 offset:12928
	ds_load_b32 v24, v32 offset:8396
	s_wait_dscnt 0x0
	ds_store_b32 v33, v24 offset:13184
	ds_load_b32 v24, v32 offset:8400
	s_wait_dscnt 0x0
	ds_store_b32 v33, v24 offset:13440
	ds_load_b32 v24, v32 offset:8404
	s_wait_dscnt 0x0
	ds_store_b32 v33, v24 offset:13696
	ds_load_b32 v24, v32 offset:8408
	s_wait_dscnt 0x0
	ds_store_b32 v33, v24 offset:13952
	ds_load_b32 v24, v32 offset:8412
	s_wait_dscnt 0x0
	ds_store_b32 v33, v24 offset:14208
	ds_load_b32 v24, v32 offset:8416
	s_wait_dscnt 0x0
	ds_store_b32 v33, v24 offset:14464
	ds_load_b32 v24, v32 offset:8420
	s_wait_dscnt 0x0
	ds_store_b32 v33, v24 offset:14720
	ds_load_b32 v24, v32 offset:8424
	s_wait_dscnt 0x0
	ds_store_b32 v33, v24 offset:14976
	ds_load_b32 v24, v32 offset:8428
	s_wait_dscnt 0x0
	ds_store_b32 v33, v24 offset:15232
	ds_load_b32 v24, v32 offset:8432
	s_wait_dscnt 0x0
	ds_store_b32 v33, v24 offset:15488
	ds_load_b32 v24, v32 offset:8436
	s_wait_dscnt 0x0
	ds_store_b32 v33, v24 offset:15744
	ds_load_b32 v24, v32 offset:8440
	s_wait_dscnt 0x0
	ds_store_b32 v33, v24 offset:16000
	ds_load_b32 v24, v32 offset:8444
	s_wait_dscnt 0x0
	ds_store_b32 v33, v24 offset:16256
.LBB20_923:                             ;   in Loop: Header=BB20_3 Depth=1
	s_or_b32 exec_lo, exec_lo, s60
	s_wait_dscnt 0x0
	s_barrier_signal -1
	s_barrier_wait -1
	s_and_saveexec_b32 s46, s11
	s_cbranch_execz .LBB20_925
; %bb.924:                              ;   in Loop: Header=BB20_3 Depth=1
	ds_load_b32 v24, v7 offset:12484
	ds_store_b32 v7, v25 offset:12480
	s_wait_dscnt 0x1
	ds_store_b64 v7, v[24:25] offset:12736
.LBB20_925:                             ;   in Loop: Header=BB20_3 Depth=1
	s_or_b32 exec_lo, exec_lo, s46
	v_mov_b32_e32 v24, 0
	s_wait_dscnt 0x0
	s_barrier_signal -1
	s_barrier_wait -1
	s_and_saveexec_b32 s46, s2
	s_cbranch_execz .LBB20_929
; %bb.926:                              ;   in Loop: Header=BB20_3 Depth=1
	ds_load_b32 v24, v39 offset:12488
	ds_load_b32 v28, v40 offset:12480
	s_wait_dscnt 0x0
	v_fma_f32 v24, v24, v28, 0
	s_and_saveexec_b32 s47, s12
	s_cbranch_execz .LBB20_928
; %bb.927:                              ;   in Loop: Header=BB20_3 Depth=1
	ds_load_b32 v28, v5 offset:12744
	ds_load_b32 v29, v7 offset:12484
	s_wait_dscnt 0x0
	v_fmac_f32_e32 v24, v28, v29
.LBB20_928:                             ;   in Loop: Header=BB20_3 Depth=1
	s_or_b32 exec_lo, exec_lo, s47
	s_delay_alu instid0(VALU_DEP_1)
	v_xor_b32_e32 v24, 0x80000000, v24
.LBB20_929:                             ;   in Loop: Header=BB20_3 Depth=1
	s_or_b32 exec_lo, exec_lo, s46
	s_and_saveexec_b32 s46, s90
; %bb.930:                              ;   in Loop: Header=BB20_3 Depth=1
	ds_store_b32 v37, v24
; %bb.931:                              ;   in Loop: Header=BB20_3 Depth=1
	s_or_b32 exec_lo, exec_lo, s46
	s_wait_dscnt 0x0
	s_barrier_signal -1
	s_barrier_wait -1
	s_and_saveexec_b32 s46, s91
	s_cbranch_execz .LBB20_933
; %bb.932:                              ;   in Loop: Header=BB20_3 Depth=1
	ds_load_b32 v28, v7 offset:13004
	ds_load_b32 v29, v37
	s_wait_dscnt 0x0
	v_fmac_f32_e32 v24, v28, v29
.LBB20_933:                             ;   in Loop: Header=BB20_3 Depth=1
	s_or_b32 exec_lo, exec_lo, s46
	s_barrier_signal -1
	s_barrier_wait -1
	s_and_saveexec_b32 s46, s91
; %bb.934:                              ;   in Loop: Header=BB20_3 Depth=1
	ds_store_b32 v37, v24
; %bb.935:                              ;   in Loop: Header=BB20_3 Depth=1
	s_or_b32 exec_lo, exec_lo, s46
	s_wait_dscnt 0x0
	s_barrier_signal -1
	s_barrier_wait -1
	s_barrier_signal -1
	s_barrier_wait -1
	s_and_saveexec_b32 s46, s2
; %bb.936:                              ;   in Loop: Header=BB20_3 Depth=1
	v_xor_b32_e32 v24, 0x80000000, v24
	ds_store_b32 v39, v24 offset:12488
; %bb.937:                              ;   in Loop: Header=BB20_3 Depth=1
	s_or_b32 exec_lo, exec_lo, s46
	s_wait_dscnt 0x0
	s_barrier_signal -1
	s_barrier_wait -1
	s_barrier_signal -1
	s_barrier_wait -1
	s_and_saveexec_b32 s46, s92
	s_cbranch_execz .LBB20_939
; %bb.938:                              ;   in Loop: Header=BB20_3 Depth=1
	ds_load_b32 v24, v32 offset:12488
	s_wait_dscnt 0x0
	ds_store_b32 v5, v24 offset:12992
	ds_load_b32 v24, v32 offset:12492
	s_wait_dscnt 0x0
	ds_store_b32 v5, v24 offset:13248
.LBB20_939:                             ;   in Loop: Header=BB20_3 Depth=1
	s_or_b32 exec_lo, exec_lo, s46
	s_wait_dscnt 0x0
	s_barrier_signal -1
	s_barrier_wait -1
	s_and_saveexec_b32 s46, s11
	s_cbranch_execz .LBB20_941
; %bb.940:                              ;   in Loop: Header=BB20_3 Depth=1
	ds_load_b32 v24, v7 offset:13004
	ds_store_b32 v7, v25 offset:13000
	s_wait_dscnt 0x1
	ds_store_b64 v7, v[24:25] offset:13256
.LBB20_941:                             ;   in Loop: Header=BB20_3 Depth=1
	s_or_b32 exec_lo, exec_lo, s46
	v_mov_b32_e32 v24, 0
	s_wait_dscnt 0x0
	s_barrier_signal -1
	s_barrier_wait -1
	s_and_saveexec_b32 s61, s4
	s_cbranch_execz .LBB20_947
; %bb.942:                              ;   in Loop: Header=BB20_3 Depth=1
	ds_load_b32 v24, v48 offset:12496
	ds_load_b32 v28, v41 offset:12480
	s_wait_dscnt 0x0
	v_fma_f32 v24, v24, v28, 0
	s_and_saveexec_b32 s46, s13
	s_cbranch_execnz .LBB20_1215
; %bb.943:                              ;   in Loop: Header=BB20_3 Depth=1
	s_or_b32 exec_lo, exec_lo, s46
	s_and_saveexec_b32 s46, s14
	s_cbranch_execnz .LBB20_1216
.LBB20_944:                             ;   in Loop: Header=BB20_3 Depth=1
	s_or_b32 exec_lo, exec_lo, s46
	s_and_saveexec_b32 s46, s2
	s_cbranch_execz .LBB20_946
.LBB20_945:                             ;   in Loop: Header=BB20_3 Depth=1
	ds_load_b32 v28, v33 offset:13264
	ds_load_b32 v29, v7 offset:12492
	s_wait_dscnt 0x0
	v_fmac_f32_e32 v24, v28, v29
.LBB20_946:                             ;   in Loop: Header=BB20_3 Depth=1
	s_or_b32 exec_lo, exec_lo, s46
	s_delay_alu instid0(VALU_DEP_1)
	v_xor_b32_e32 v24, 0x80000000, v24
.LBB20_947:                             ;   in Loop: Header=BB20_3 Depth=1
	s_or_b32 exec_lo, exec_lo, s61
	s_and_saveexec_b32 s46, s93
; %bb.948:                              ;   in Loop: Header=BB20_3 Depth=1
	ds_store_b32 v47, v24
; %bb.949:                              ;   in Loop: Header=BB20_3 Depth=1
	s_or_b32 exec_lo, exec_lo, s46
	s_wait_dscnt 0x0
	s_barrier_signal -1
	s_barrier_wait -1
	s_and_saveexec_b32 s46, s94
	s_cbranch_execz .LBB20_951
; %bb.950:                              ;   in Loop: Header=BB20_3 Depth=1
	ds_load_b32 v28, v45 offset:13520
	ds_load_b32 v29, v47
	s_wait_dscnt 0x0
	v_fmac_f32_e32 v24, v28, v29
.LBB20_951:                             ;   in Loop: Header=BB20_3 Depth=1
	s_or_b32 exec_lo, exec_lo, s46
	s_barrier_signal -1
	s_barrier_wait -1
	s_and_saveexec_b32 s46, s95
; %bb.952:                              ;   in Loop: Header=BB20_3 Depth=1
	ds_store_b32 v47, v24
; %bb.953:                              ;   in Loop: Header=BB20_3 Depth=1
	s_or_b32 exec_lo, exec_lo, s46
	s_wait_dscnt 0x0
	s_barrier_signal -1
	s_barrier_wait -1
	s_and_saveexec_b32 s46, s96
	s_cbranch_execz .LBB20_955
; %bb.954:                              ;   in Loop: Header=BB20_3 Depth=1
	ds_load_b32 v28, v45 offset:13776
	ds_load_b32 v29, v47
	s_wait_dscnt 0x0
	v_fmac_f32_e32 v24, v28, v29
.LBB20_955:                             ;   in Loop: Header=BB20_3 Depth=1
	s_or_b32 exec_lo, exec_lo, s46
	s_barrier_signal -1
	s_barrier_wait -1
	;; [unrolled: 19-line block ×3, first 2 shown]
	s_and_saveexec_b32 s46, s98
; %bb.960:                              ;   in Loop: Header=BB20_3 Depth=1
	ds_store_b32 v47, v24
; %bb.961:                              ;   in Loop: Header=BB20_3 Depth=1
	s_or_b32 exec_lo, exec_lo, s46
	s_wait_dscnt 0x0
	s_barrier_signal -1
	s_barrier_wait -1
	s_barrier_signal -1
	s_barrier_wait -1
	s_and_saveexec_b32 s46, s4
; %bb.962:                              ;   in Loop: Header=BB20_3 Depth=1
	v_xor_b32_e32 v24, 0x80000000, v24
	ds_store_b32 v48, v24 offset:12496
; %bb.963:                              ;   in Loop: Header=BB20_3 Depth=1
	s_or_b32 exec_lo, exec_lo, s46
	s_wait_dscnt 0x0
	s_barrier_signal -1
	s_barrier_wait -1
	s_barrier_signal -1
	s_barrier_wait -1
	s_and_saveexec_b32 s46, s99
	s_cbranch_execz .LBB20_965
; %bb.964:                              ;   in Loop: Header=BB20_3 Depth=1
	ds_load_b32 v24, v34 offset:12496
	s_wait_dscnt 0x0
	ds_store_b32 v35, v24 offset:13504
	ds_load_b32 v24, v34 offset:12500
	s_wait_dscnt 0x0
	ds_store_b32 v35, v24 offset:13760
	;; [unrolled: 3-line block ×4, first 2 shown]
.LBB20_965:                             ;   in Loop: Header=BB20_3 Depth=1
	s_or_b32 exec_lo, exec_lo, s46
	s_wait_dscnt 0x0
	s_barrier_signal -1
	s_barrier_wait -1
	s_and_saveexec_b32 s46, s11
	s_cbranch_execz .LBB20_967
; %bb.966:                              ;   in Loop: Header=BB20_3 Depth=1
	ds_load_b32 v24, v7 offset:13524
	ds_store_b32 v7, v25 offset:13520
	s_wait_dscnt 0x1
	ds_store_b64 v7, v[24:25] offset:13776
.LBB20_967:                             ;   in Loop: Header=BB20_3 Depth=1
	s_or_b32 exec_lo, exec_lo, s46
	v_mov_b32_e32 v24, 0
	s_wait_dscnt 0x0
	s_barrier_signal -1
	s_barrier_wait -1
	s_and_saveexec_b32 s46, s2
	s_cbranch_execz .LBB20_971
; %bb.968:                              ;   in Loop: Header=BB20_3 Depth=1
	ds_load_b32 v24, v39 offset:13528
	ds_load_b32 v28, v40 offset:13520
	s_wait_dscnt 0x0
	v_fma_f32 v24, v24, v28, 0
	s_and_saveexec_b32 s47, s12
	s_cbranch_execz .LBB20_970
; %bb.969:                              ;   in Loop: Header=BB20_3 Depth=1
	ds_load_b32 v28, v35 offset:13784
	ds_load_b32 v29, v7 offset:13524
	s_wait_dscnt 0x0
	v_fmac_f32_e32 v24, v28, v29
.LBB20_970:                             ;   in Loop: Header=BB20_3 Depth=1
	s_or_b32 exec_lo, exec_lo, s47
	s_delay_alu instid0(VALU_DEP_1)
	v_xor_b32_e32 v24, 0x80000000, v24
.LBB20_971:                             ;   in Loop: Header=BB20_3 Depth=1
	s_or_b32 exec_lo, exec_lo, s46
	s_and_saveexec_b32 s46, s90
; %bb.972:                              ;   in Loop: Header=BB20_3 Depth=1
	ds_store_b32 v37, v24
; %bb.973:                              ;   in Loop: Header=BB20_3 Depth=1
	s_or_b32 exec_lo, exec_lo, s46
	s_wait_dscnt 0x0
	s_barrier_signal -1
	s_barrier_wait -1
	s_and_saveexec_b32 s46, s91
	s_cbranch_execz .LBB20_975
; %bb.974:                              ;   in Loop: Header=BB20_3 Depth=1
	ds_load_b32 v28, v7 offset:14044
	ds_load_b32 v29, v37
	s_wait_dscnt 0x0
	v_fmac_f32_e32 v24, v28, v29
.LBB20_975:                             ;   in Loop: Header=BB20_3 Depth=1
	s_or_b32 exec_lo, exec_lo, s46
	s_barrier_signal -1
	s_barrier_wait -1
	s_and_saveexec_b32 s46, s91
; %bb.976:                              ;   in Loop: Header=BB20_3 Depth=1
	ds_store_b32 v37, v24
; %bb.977:                              ;   in Loop: Header=BB20_3 Depth=1
	s_or_b32 exec_lo, exec_lo, s46
	s_wait_dscnt 0x0
	s_barrier_signal -1
	s_barrier_wait -1
	s_barrier_signal -1
	s_barrier_wait -1
	s_and_saveexec_b32 s46, s2
; %bb.978:                              ;   in Loop: Header=BB20_3 Depth=1
	v_xor_b32_e32 v24, 0x80000000, v24
	ds_store_b32 v39, v24 offset:13528
; %bb.979:                              ;   in Loop: Header=BB20_3 Depth=1
	s_or_b32 exec_lo, exec_lo, s46
	s_wait_dscnt 0x0
	s_barrier_signal -1
	s_barrier_wait -1
	s_barrier_signal -1
	s_barrier_wait -1
	s_and_saveexec_b32 s46, s92
	s_cbranch_execz .LBB20_981
; %bb.980:                              ;   in Loop: Header=BB20_3 Depth=1
	ds_load_b32 v24, v36 offset:13528
	s_wait_dscnt 0x0
	ds_store_b32 v35, v24 offset:14032
	ds_load_b32 v24, v36 offset:13532
	s_wait_dscnt 0x0
	ds_store_b32 v35, v24 offset:14288
.LBB20_981:                             ;   in Loop: Header=BB20_3 Depth=1
	s_or_b32 exec_lo, exec_lo, s46
	s_wait_dscnt 0x0
	s_barrier_signal -1
	s_barrier_wait -1
	s_and_saveexec_b32 s46, s11
	s_cbranch_execz .LBB20_983
; %bb.982:                              ;   in Loop: Header=BB20_3 Depth=1
	ds_load_b32 v24, v7 offset:14044
	ds_store_b32 v7, v25 offset:14040
	s_wait_dscnt 0x1
	ds_store_b64 v7, v[24:25] offset:14296
.LBB20_983:                             ;   in Loop: Header=BB20_3 Depth=1
	s_or_b32 exec_lo, exec_lo, s46
	v_mov_b32_e32 v24, 0
	s_wait_dscnt 0x0
	s_barrier_signal -1
	s_barrier_wait -1
	s_and_saveexec_b32 s61, s5
	s_cbranch_execz .LBB20_993
; %bb.984:                              ;   in Loop: Header=BB20_3 Depth=1
	ds_load_b32 v24, v55 offset:12512
	ds_load_b32 v28, v51 offset:12480
	s_wait_dscnt 0x0
	v_fma_f32 v24, v24, v28, 0
	s_and_saveexec_b32 s46, s15
	s_cbranch_execnz .LBB20_1217
; %bb.985:                              ;   in Loop: Header=BB20_3 Depth=1
	s_or_b32 exec_lo, exec_lo, s46
	s_and_saveexec_b32 s46, s16
	s_cbranch_execnz .LBB20_1218
.LBB20_986:                             ;   in Loop: Header=BB20_3 Depth=1
	s_or_b32 exec_lo, exec_lo, s46
	s_and_saveexec_b32 s46, s17
	s_cbranch_execnz .LBB20_1219
.LBB20_987:                             ;   in Loop: Header=BB20_3 Depth=1
	s_or_b32 exec_lo, exec_lo, s46
	s_and_saveexec_b32 s46, s18
	s_cbranch_execnz .LBB20_1220
.LBB20_988:                             ;   in Loop: Header=BB20_3 Depth=1
	s_or_b32 exec_lo, exec_lo, s46
	s_and_saveexec_b32 s46, s19
	s_cbranch_execnz .LBB20_1221
.LBB20_989:                             ;   in Loop: Header=BB20_3 Depth=1
	s_or_b32 exec_lo, exec_lo, s46
	s_and_saveexec_b32 s46, s4
	s_cbranch_execnz .LBB20_1222
.LBB20_990:                             ;   in Loop: Header=BB20_3 Depth=1
	s_or_b32 exec_lo, exec_lo, s46
	s_and_saveexec_b32 s46, s14
	s_cbranch_execz .LBB20_992
.LBB20_991:                             ;   in Loop: Header=BB20_3 Depth=1
	ds_load_b32 v28, v38 offset:14304
	ds_load_b32 v29, v7 offset:12508
	s_wait_dscnt 0x0
	v_fmac_f32_e32 v24, v28, v29
.LBB20_992:                             ;   in Loop: Header=BB20_3 Depth=1
	s_or_b32 exec_lo, exec_lo, s46
	s_delay_alu instid0(VALU_DEP_1)
	v_xor_b32_e32 v24, 0x80000000, v24
.LBB20_993:                             ;   in Loop: Header=BB20_3 Depth=1
	s_or_b32 exec_lo, exec_lo, s61
	s_and_saveexec_b32 s46, s100
; %bb.994:                              ;   in Loop: Header=BB20_3 Depth=1
	ds_store_b32 v54, v24
; %bb.995:                              ;   in Loop: Header=BB20_3 Depth=1
	s_or_b32 exec_lo, exec_lo, s46
	s_wait_dscnt 0x0
	s_barrier_signal -1
	s_barrier_wait -1
	s_and_saveexec_b32 s46, s101
	s_cbranch_execz .LBB20_997
; %bb.996:                              ;   in Loop: Header=BB20_3 Depth=1
	ds_load_b32 v28, v52 offset:14560
	ds_load_b32 v29, v54
	s_wait_dscnt 0x0
	v_fmac_f32_e32 v24, v28, v29
.LBB20_997:                             ;   in Loop: Header=BB20_3 Depth=1
	s_or_b32 exec_lo, exec_lo, s46
	s_barrier_signal -1
	s_barrier_wait -1
	s_and_saveexec_b32 s46, s102
; %bb.998:                              ;   in Loop: Header=BB20_3 Depth=1
	ds_store_b32 v54, v24
; %bb.999:                              ;   in Loop: Header=BB20_3 Depth=1
	s_or_b32 exec_lo, exec_lo, s46
	s_wait_dscnt 0x0
	s_barrier_signal -1
	s_barrier_wait -1
	s_and_saveexec_b32 s46, s103
	s_cbranch_execz .LBB20_1001
; %bb.1000:                             ;   in Loop: Header=BB20_3 Depth=1
	ds_load_b32 v28, v52 offset:14816
	ds_load_b32 v29, v54
	s_wait_dscnt 0x0
	v_fmac_f32_e32 v24, v28, v29
.LBB20_1001:                            ;   in Loop: Header=BB20_3 Depth=1
	s_or_b32 exec_lo, exec_lo, s46
	s_barrier_signal -1
	s_barrier_wait -1
	s_and_saveexec_b32 s46, s104
; %bb.1002:                             ;   in Loop: Header=BB20_3 Depth=1
	ds_store_b32 v54, v24
; %bb.1003:                             ;   in Loop: Header=BB20_3 Depth=1
	s_or_b32 exec_lo, exec_lo, s46
	s_wait_dscnt 0x0
	s_barrier_signal -1
	s_barrier_wait -1
	s_and_saveexec_b32 s46, vcc_hi
	s_cbranch_execz .LBB20_1005
; %bb.1004:                             ;   in Loop: Header=BB20_3 Depth=1
	ds_load_b32 v28, v52 offset:15072
	ds_load_b32 v29, v54
	s_wait_dscnt 0x0
	v_fmac_f32_e32 v24, v28, v29
.LBB20_1005:                            ;   in Loop: Header=BB20_3 Depth=1
	s_or_b32 exec_lo, exec_lo, s46
	s_barrier_signal -1
	s_barrier_wait -1
	s_and_saveexec_b32 s46, s31
; %bb.1006:                             ;   in Loop: Header=BB20_3 Depth=1
	ds_store_b32 v54, v24
; %bb.1007:                             ;   in Loop: Header=BB20_3 Depth=1
	s_or_b32 exec_lo, exec_lo, s46
	s_wait_dscnt 0x0
	s_barrier_signal -1
	s_barrier_wait -1
	s_and_saveexec_b32 s46, s33
	s_cbranch_execz .LBB20_1009
; %bb.1008:                             ;   in Loop: Header=BB20_3 Depth=1
	ds_load_b32 v28, v52 offset:15328
	ds_load_b32 v29, v54
	s_wait_dscnt 0x0
	v_fmac_f32_e32 v24, v28, v29
.LBB20_1009:                            ;   in Loop: Header=BB20_3 Depth=1
	s_or_b32 exec_lo, exec_lo, s46
	s_barrier_signal -1
	s_barrier_wait -1
	s_and_saveexec_b32 s46, s34
; %bb.1010:                             ;   in Loop: Header=BB20_3 Depth=1
	ds_store_b32 v54, v24
; %bb.1011:                             ;   in Loop: Header=BB20_3 Depth=1
	s_or_b32 exec_lo, exec_lo, s46
	s_wait_dscnt 0x0
	s_barrier_signal -1
	s_barrier_wait -1
	s_and_saveexec_b32 s46, s35
	;; [unrolled: 19-line block ×4, first 2 shown]
	s_cbranch_execz .LBB20_1021
; %bb.1020:                             ;   in Loop: Header=BB20_3 Depth=1
	ds_load_b32 v28, v7 offset:16124
	ds_load_b32 v29, v54
	s_wait_dscnt 0x0
	v_fmac_f32_e32 v24, v28, v29
.LBB20_1021:                            ;   in Loop: Header=BB20_3 Depth=1
	s_or_b32 exec_lo, exec_lo, s46
	s_barrier_signal -1
	s_barrier_wait -1
	s_and_saveexec_b32 s46, s39
; %bb.1022:                             ;   in Loop: Header=BB20_3 Depth=1
	ds_store_b32 v54, v24
; %bb.1023:                             ;   in Loop: Header=BB20_3 Depth=1
	s_or_b32 exec_lo, exec_lo, s46
	s_wait_dscnt 0x0
	s_barrier_signal -1
	s_barrier_wait -1
	s_barrier_signal -1
	s_barrier_wait -1
	s_and_saveexec_b32 s46, s5
; %bb.1024:                             ;   in Loop: Header=BB20_3 Depth=1
	v_xor_b32_e32 v24, 0x80000000, v24
	ds_store_b32 v55, v24 offset:12512
; %bb.1025:                             ;   in Loop: Header=BB20_3 Depth=1
	s_or_b32 exec_lo, exec_lo, s46
	s_wait_dscnt 0x0
	s_barrier_signal -1
	s_barrier_wait -1
	s_barrier_signal -1
	s_barrier_wait -1
	s_and_saveexec_b32 s46, s40
	s_cbranch_execz .LBB20_1027
; %bb.1026:                             ;   in Loop: Header=BB20_3 Depth=1
	ds_load_b32 v24, v42 offset:12512
	s_wait_dscnt 0x0
	ds_store_b32 v46, v24 offset:14528
	ds_load_b32 v24, v42 offset:12516
	s_wait_dscnt 0x0
	ds_store_b32 v46, v24 offset:14784
	;; [unrolled: 3-line block ×8, first 2 shown]
.LBB20_1027:                            ;   in Loop: Header=BB20_3 Depth=1
	s_or_b32 exec_lo, exec_lo, s46
	s_wait_dscnt 0x0
	s_barrier_signal -1
	s_barrier_wait -1
	s_and_saveexec_b32 s46, s11
	s_cbranch_execz .LBB20_1029
; %bb.1028:                             ;   in Loop: Header=BB20_3 Depth=1
	ds_load_b32 v24, v7 offset:14564
	ds_store_b32 v7, v25 offset:14560
	s_wait_dscnt 0x1
	ds_store_b64 v7, v[24:25] offset:14816
.LBB20_1029:                            ;   in Loop: Header=BB20_3 Depth=1
	s_or_b32 exec_lo, exec_lo, s46
	v_mov_b32_e32 v24, 0
	s_wait_dscnt 0x0
	s_barrier_signal -1
	s_barrier_wait -1
	s_and_saveexec_b32 s46, s2
	s_cbranch_execz .LBB20_1033
; %bb.1030:                             ;   in Loop: Header=BB20_3 Depth=1
	ds_load_b32 v24, v39 offset:14568
	ds_load_b32 v28, v40 offset:14560
	s_wait_dscnt 0x0
	v_fma_f32 v24, v24, v28, 0
	s_and_saveexec_b32 s47, s12
	s_cbranch_execz .LBB20_1032
; %bb.1031:                             ;   in Loop: Header=BB20_3 Depth=1
	ds_load_b32 v28, v46 offset:14824
	ds_load_b32 v29, v7 offset:14564
	s_wait_dscnt 0x0
	v_fmac_f32_e32 v24, v28, v29
.LBB20_1032:                            ;   in Loop: Header=BB20_3 Depth=1
	s_or_b32 exec_lo, exec_lo, s47
	s_delay_alu instid0(VALU_DEP_1)
	v_xor_b32_e32 v24, 0x80000000, v24
.LBB20_1033:                            ;   in Loop: Header=BB20_3 Depth=1
	s_or_b32 exec_lo, exec_lo, s46
	s_and_saveexec_b32 s46, s90
; %bb.1034:                             ;   in Loop: Header=BB20_3 Depth=1
	ds_store_b32 v37, v24
; %bb.1035:                             ;   in Loop: Header=BB20_3 Depth=1
	s_or_b32 exec_lo, exec_lo, s46
	s_wait_dscnt 0x0
	s_barrier_signal -1
	s_barrier_wait -1
	s_and_saveexec_b32 s46, s91
	s_cbranch_execz .LBB20_1037
; %bb.1036:                             ;   in Loop: Header=BB20_3 Depth=1
	ds_load_b32 v28, v7 offset:15084
	ds_load_b32 v29, v37
	s_wait_dscnt 0x0
	v_fmac_f32_e32 v24, v28, v29
.LBB20_1037:                            ;   in Loop: Header=BB20_3 Depth=1
	s_or_b32 exec_lo, exec_lo, s46
	s_barrier_signal -1
	s_barrier_wait -1
	s_and_saveexec_b32 s46, s91
; %bb.1038:                             ;   in Loop: Header=BB20_3 Depth=1
	ds_store_b32 v37, v24
; %bb.1039:                             ;   in Loop: Header=BB20_3 Depth=1
	s_or_b32 exec_lo, exec_lo, s46
	s_wait_dscnt 0x0
	s_barrier_signal -1
	s_barrier_wait -1
	s_barrier_signal -1
	s_barrier_wait -1
	s_and_saveexec_b32 s46, s2
; %bb.1040:                             ;   in Loop: Header=BB20_3 Depth=1
	v_xor_b32_e32 v24, 0x80000000, v24
	ds_store_b32 v39, v24 offset:14568
; %bb.1041:                             ;   in Loop: Header=BB20_3 Depth=1
	s_or_b32 exec_lo, exec_lo, s46
	s_wait_dscnt 0x0
	s_barrier_signal -1
	s_barrier_wait -1
	s_barrier_signal -1
	s_barrier_wait -1
	s_and_saveexec_b32 s46, s92
	s_cbranch_execz .LBB20_1043
; %bb.1042:                             ;   in Loop: Header=BB20_3 Depth=1
	ds_load_b32 v24, v50 offset:14568
	s_wait_dscnt 0x0
	ds_store_b32 v46, v24 offset:15072
	ds_load_b32 v24, v50 offset:14572
	s_wait_dscnt 0x0
	ds_store_b32 v46, v24 offset:15328
.LBB20_1043:                            ;   in Loop: Header=BB20_3 Depth=1
	s_or_b32 exec_lo, exec_lo, s46
	s_wait_dscnt 0x0
	s_barrier_signal -1
	s_barrier_wait -1
	s_and_saveexec_b32 s46, s11
	s_cbranch_execz .LBB20_1045
; %bb.1044:                             ;   in Loop: Header=BB20_3 Depth=1
	ds_load_b32 v24, v7 offset:15084
	ds_store_b32 v7, v25 offset:15080
	s_wait_dscnt 0x1
	ds_store_b64 v7, v[24:25] offset:15336
.LBB20_1045:                            ;   in Loop: Header=BB20_3 Depth=1
	s_or_b32 exec_lo, exec_lo, s46
	v_mov_b32_e32 v24, 0
	s_wait_dscnt 0x0
	s_barrier_signal -1
	s_barrier_wait -1
	s_and_saveexec_b32 s61, s4
	s_cbranch_execz .LBB20_1051
; %bb.1046:                             ;   in Loop: Header=BB20_3 Depth=1
	ds_load_b32 v24, v48 offset:14576
	ds_load_b32 v28, v41 offset:14560
	s_wait_dscnt 0x0
	v_fma_f32 v24, v24, v28, 0
	s_and_saveexec_b32 s46, s13
	s_cbranch_execnz .LBB20_1223
; %bb.1047:                             ;   in Loop: Header=BB20_3 Depth=1
	s_or_b32 exec_lo, exec_lo, s46
	s_and_saveexec_b32 s46, s14
	s_cbranch_execnz .LBB20_1224
.LBB20_1048:                            ;   in Loop: Header=BB20_3 Depth=1
	s_or_b32 exec_lo, exec_lo, s46
	s_and_saveexec_b32 s46, s2
	s_cbranch_execz .LBB20_1050
.LBB20_1049:                            ;   in Loop: Header=BB20_3 Depth=1
	ds_load_b32 v28, v53 offset:15344
	ds_load_b32 v29, v7 offset:14572
	s_wait_dscnt 0x0
	v_fmac_f32_e32 v24, v28, v29
.LBB20_1050:                            ;   in Loop: Header=BB20_3 Depth=1
	s_or_b32 exec_lo, exec_lo, s46
	s_delay_alu instid0(VALU_DEP_1)
	v_xor_b32_e32 v24, 0x80000000, v24
.LBB20_1051:                            ;   in Loop: Header=BB20_3 Depth=1
	s_or_b32 exec_lo, exec_lo, s61
	s_and_saveexec_b32 s46, s93
; %bb.1052:                             ;   in Loop: Header=BB20_3 Depth=1
	ds_store_b32 v47, v24
; %bb.1053:                             ;   in Loop: Header=BB20_3 Depth=1
	s_or_b32 exec_lo, exec_lo, s46
	s_wait_dscnt 0x0
	s_barrier_signal -1
	s_barrier_wait -1
	s_and_saveexec_b32 s46, s94
	s_cbranch_execz .LBB20_1055
; %bb.1054:                             ;   in Loop: Header=BB20_3 Depth=1
	ds_load_b32 v28, v45 offset:15600
	ds_load_b32 v29, v47
	s_wait_dscnt 0x0
	v_fmac_f32_e32 v24, v28, v29
.LBB20_1055:                            ;   in Loop: Header=BB20_3 Depth=1
	s_or_b32 exec_lo, exec_lo, s46
	s_barrier_signal -1
	s_barrier_wait -1
	s_and_saveexec_b32 s46, s95
; %bb.1056:                             ;   in Loop: Header=BB20_3 Depth=1
	ds_store_b32 v47, v24
; %bb.1057:                             ;   in Loop: Header=BB20_3 Depth=1
	s_or_b32 exec_lo, exec_lo, s46
	s_wait_dscnt 0x0
	s_barrier_signal -1
	s_barrier_wait -1
	s_and_saveexec_b32 s46, s96
	s_cbranch_execz .LBB20_1059
; %bb.1058:                             ;   in Loop: Header=BB20_3 Depth=1
	ds_load_b32 v28, v45 offset:15856
	ds_load_b32 v29, v47
	s_wait_dscnt 0x0
	v_fmac_f32_e32 v24, v28, v29
.LBB20_1059:                            ;   in Loop: Header=BB20_3 Depth=1
	s_or_b32 exec_lo, exec_lo, s46
	s_barrier_signal -1
	s_barrier_wait -1
	;; [unrolled: 19-line block ×3, first 2 shown]
	s_and_saveexec_b32 s46, s98
; %bb.1064:                             ;   in Loop: Header=BB20_3 Depth=1
	ds_store_b32 v47, v24
; %bb.1065:                             ;   in Loop: Header=BB20_3 Depth=1
	s_or_b32 exec_lo, exec_lo, s46
	s_wait_dscnt 0x0
	s_barrier_signal -1
	s_barrier_wait -1
	s_barrier_signal -1
	s_barrier_wait -1
	s_and_saveexec_b32 s46, s4
; %bb.1066:                             ;   in Loop: Header=BB20_3 Depth=1
	v_xor_b32_e32 v24, 0x80000000, v24
	ds_store_b32 v48, v24 offset:14576
; %bb.1067:                             ;   in Loop: Header=BB20_3 Depth=1
	s_or_b32 exec_lo, exec_lo, s46
	s_wait_dscnt 0x0
	s_barrier_signal -1
	s_barrier_wait -1
	s_barrier_signal -1
	s_barrier_wait -1
	s_and_saveexec_b32 s46, s99
	s_cbranch_execz .LBB20_1069
; %bb.1068:                             ;   in Loop: Header=BB20_3 Depth=1
	ds_load_b32 v24, v56 offset:14576
	s_wait_dscnt 0x0
	ds_store_b32 v59, v24 offset:15584
	ds_load_b32 v24, v56 offset:14580
	s_wait_dscnt 0x0
	ds_store_b32 v59, v24 offset:15840
	;; [unrolled: 3-line block ×4, first 2 shown]
.LBB20_1069:                            ;   in Loop: Header=BB20_3 Depth=1
	s_or_b32 exec_lo, exec_lo, s46
	s_wait_dscnt 0x0
	s_barrier_signal -1
	s_barrier_wait -1
	s_and_saveexec_b32 s46, s11
	s_cbranch_execz .LBB20_1071
; %bb.1070:                             ;   in Loop: Header=BB20_3 Depth=1
	ds_load_b32 v24, v7 offset:15604
	ds_store_b32 v7, v25 offset:15600
	s_wait_dscnt 0x1
	ds_store_b64 v7, v[24:25] offset:15856
.LBB20_1071:                            ;   in Loop: Header=BB20_3 Depth=1
	s_or_b32 exec_lo, exec_lo, s46
	v_mov_b32_e32 v24, 0
	s_wait_dscnt 0x0
	s_barrier_signal -1
	s_barrier_wait -1
	s_and_saveexec_b32 s46, s2
	s_cbranch_execz .LBB20_1075
; %bb.1072:                             ;   in Loop: Header=BB20_3 Depth=1
	ds_load_b32 v24, v39 offset:15608
	ds_load_b32 v28, v40 offset:15600
	s_wait_dscnt 0x0
	v_fma_f32 v24, v24, v28, 0
	s_and_saveexec_b32 s47, s12
	s_cbranch_execz .LBB20_1074
; %bb.1073:                             ;   in Loop: Header=BB20_3 Depth=1
	ds_load_b32 v28, v59 offset:15864
	ds_load_b32 v29, v7 offset:15604
	s_wait_dscnt 0x0
	v_fmac_f32_e32 v24, v28, v29
.LBB20_1074:                            ;   in Loop: Header=BB20_3 Depth=1
	s_or_b32 exec_lo, exec_lo, s47
	s_delay_alu instid0(VALU_DEP_1)
	v_xor_b32_e32 v24, 0x80000000, v24
.LBB20_1075:                            ;   in Loop: Header=BB20_3 Depth=1
	s_or_b32 exec_lo, exec_lo, s46
	s_and_saveexec_b32 s46, s90
; %bb.1076:                             ;   in Loop: Header=BB20_3 Depth=1
	ds_store_b32 v37, v24
; %bb.1077:                             ;   in Loop: Header=BB20_3 Depth=1
	s_or_b32 exec_lo, exec_lo, s46
	s_wait_dscnt 0x0
	s_barrier_signal -1
	s_barrier_wait -1
	s_and_saveexec_b32 s46, s91
	s_cbranch_execz .LBB20_1079
; %bb.1078:                             ;   in Loop: Header=BB20_3 Depth=1
	ds_load_b32 v28, v7 offset:16124
	ds_load_b32 v29, v37
	s_wait_dscnt 0x0
	v_fmac_f32_e32 v24, v28, v29
.LBB20_1079:                            ;   in Loop: Header=BB20_3 Depth=1
	s_or_b32 exec_lo, exec_lo, s46
	s_barrier_signal -1
	s_barrier_wait -1
	s_and_saveexec_b32 s46, s91
; %bb.1080:                             ;   in Loop: Header=BB20_3 Depth=1
	ds_store_b32 v37, v24
; %bb.1081:                             ;   in Loop: Header=BB20_3 Depth=1
	s_or_b32 exec_lo, exec_lo, s46
	s_wait_dscnt 0x0
	s_barrier_signal -1
	s_barrier_wait -1
	s_barrier_signal -1
	s_barrier_wait -1
	s_and_saveexec_b32 s46, s2
; %bb.1082:                             ;   in Loop: Header=BB20_3 Depth=1
	v_xor_b32_e32 v24, 0x80000000, v24
	ds_store_b32 v39, v24 offset:15608
; %bb.1083:                             ;   in Loop: Header=BB20_3 Depth=1
	s_or_b32 exec_lo, exec_lo, s46
	s_wait_dscnt 0x0
	s_barrier_signal -1
	s_barrier_wait -1
	s_barrier_signal -1
	s_barrier_wait -1
	s_and_saveexec_b32 s46, s92
	s_cbranch_execz .LBB20_1085
; %bb.1084:                             ;   in Loop: Header=BB20_3 Depth=1
	v_add_nc_u32_e32 v24, v59, v44
	ds_load_b32 v28, v24 offset:15608
	s_wait_dscnt 0x0
	ds_store_b32 v59, v28 offset:16112
	ds_load_b32 v24, v24 offset:15612
	s_wait_dscnt 0x0
	ds_store_b32 v59, v24 offset:16368
.LBB20_1085:                            ;   in Loop: Header=BB20_3 Depth=1
	s_or_b32 exec_lo, exec_lo, s46
	s_wait_dscnt 0x0
	s_barrier_signal -1
	s_barrier_wait -1
	s_and_saveexec_b32 s46, s11
	s_cbranch_execz .LBB20_1087
; %bb.1086:                             ;   in Loop: Header=BB20_3 Depth=1
	ds_load_b32 v24, v7 offset:16124
	ds_store_b32 v7, v25 offset:16120
	s_wait_dscnt 0x1
	ds_store_b64 v7, v[24:25] offset:16376
.LBB20_1087:                            ;   in Loop: Header=BB20_3 Depth=1
	s_or_b32 exec_lo, exec_lo, s46
.LBB20_1088:                            ;   in Loop: Header=BB20_3 Depth=1
	s_mul_u64 s[46:47], s[70:71], s[72:73]
	v_mov_b32_e32 v24, 0
	s_lshl_b64 s[46:47], s[46:47], 2
	s_wait_dscnt 0x0
	s_add_nc_u64 s[80:81], s[64:65], s[46:47]
	s_barrier_signal -1
	s_barrier_wait -1
	s_and_saveexec_b32 s46, s44
	s_cbranch_execz .LBB20_1090
; %bb.1089:                             ;   in Loop: Header=BB20_3 Depth=1
	v_lshl_add_u64 v[28:29], v[0:1], 2, s[80:81]
	v_readlane_b32 s47, v91, 9
	global_load_b32 v24, v[28:29], off
	s_wait_loadcnt 0x0
	v_mul_f32_e64 v24, v24, -s47
.LBB20_1090:                            ;   in Loop: Header=BB20_3 Depth=1
	s_or_b32 exec_lo, exec_lo, s46
	s_delay_alu instid0(SALU_CYCLE_1)
	s_and_not1_b32 vcc_lo, exec_lo, s45
	s_cbranch_vccnz .LBB20_1116
; %bb.1091:                             ;   in Loop: Header=BB20_3 Depth=1
	v_mov_b32_e32 v86, -1
	s_lshl_b64 s[46:47], s[72:73], 2
	s_mov_b32 s61, 0
	s_add_nc_u64 s[82:83], s[66:67], s[46:47]
	s_branch .LBB20_1094
.LBB20_1092:                            ;   in Loop: Header=BB20_1094 Depth=2
	s_wait_xcnt 0x0
	ds_load_b32 v28, v71 offset:192
	s_wait_loadcnt_dscnt 0x0
	v_fmac_f32_e32 v24, v30, v28
.LBB20_1093:                            ;   in Loop: Header=BB20_1094 Depth=2
	s_or_b32 exec_lo, exec_lo, s46
	s_add_co_i32 s61, s61, 1
	s_delay_alu instid0(SALU_CYCLE_1)
	s_cmp_eq_u32 s61, s85
	s_cbranch_scc1 .LBB20_1116
.LBB20_1094:                            ;   Parent Loop BB20_3 Depth=1
                                        ; =>  This Loop Header: Depth=2
                                        ;       Child Loop BB20_1096 Depth 3
	v_cmp_gt_i32_e32 vcc_lo, s61, v86
	s_and_b32 s47, s55, vcc_lo
	s_delay_alu instid0(SALU_CYCLE_1)
	s_and_saveexec_b32 s46, s47
	s_cbranch_execz .LBB20_1097
; %bb.1095:                             ;   in Loop: Header=BB20_1094 Depth=2
	global_load_b32 v86, v7, s[82:83]
	s_wait_loadcnt 0x0
	v_cmp_le_i32_e32 vcc_lo, s61, v86
	s_cbranch_vccnz .LBB20_1097
.LBB20_1096:                            ;   Parent Loop BB20_3 Depth=1
                                        ;     Parent Loop BB20_1094 Depth=2
                                        ; =>    This Inner Loop Header: Depth=3
	global_wb scope:SCOPE_DEV
	s_wait_storecnt 0x0
	global_inv scope:SCOPE_DEV
	global_load_b32 v86, v7, s[82:83]
	s_wait_loadcnt 0x0
	v_cmp_gt_i32_e32 vcc_lo, s61, v86
	s_cbranch_vccnz .LBB20_1096
.LBB20_1097:                            ;   in Loop: Header=BB20_1094 Depth=2
	s_or_b32 exec_lo, exec_lo, s46
	s_sub_co_i32 s60, s86, s61
	global_wb scope:SCOPE_DEV
	s_wait_storecnt 0x0
	global_inv scope:SCOPE_DEV
	s_lshl_b32 s46, s60, 6
	s_wait_loadcnt 0x0
	s_barrier_signal -1
	s_barrier_wait -1
	s_and_saveexec_b32 s47, s56
	s_cbranch_execz .LBB20_1101
; %bb.1098:                             ;   in Loop: Header=BB20_1094 Depth=2
	s_ashr_i32 s48, s46, 31
	s_delay_alu instid0(SALU_CYCLE_1) | instskip(SKIP_2) | instid1(VALU_DEP_1)
	v_dual_mov_b32 v30, 0 :: v_dual_mov_b32 v29, s48
	v_or_b32_e32 v28, s46, v6
	s_mov_b32 s48, exec_lo
	v_cmpx_gt_i64_e64 s[74:75], v[28:29]
	s_cbranch_execz .LBB20_1100
; %bb.1099:                             ;   in Loop: Header=BB20_1094 Depth=2
	v_mul_u64_e32 v[28:29], s[68:69], v[28:29]
	s_delay_alu instid0(VALU_DEP_1)
	v_lshl_add_u64 v[28:29], v[28:29], 2, s[80:81]
	global_load_b32 v30, v[28:29], off
.LBB20_1100:                            ;   in Loop: Header=BB20_1094 Depth=2
	s_wait_xcnt 0x0
	s_or_b32 exec_lo, exec_lo, s48
	s_wait_loadcnt 0x0
	ds_store_b32 v70, v30
.LBB20_1101:                            ;   in Loop: Header=BB20_1094 Depth=2
	s_or_b32 exec_lo, exec_lo, s47
	v_add_nc_u32_e32 v30, s46, v2
	s_cmp_lg_u32 s60, s57
	s_wait_dscnt 0x0
	s_cselect_b32 s47, -1, 0
	s_barrier_signal -1
	v_ashrrev_i32_e32 v31, 31, v30
	v_cmp_gt_i32_e32 vcc_lo, s74, v30
	s_barrier_wait -1
	s_delay_alu instid0(VALU_DEP_2) | instskip(SKIP_2) | instid1(SALU_CYCLE_1)
	v_lshl_add_u64 v[28:29], v[30:31], 2, v[26:27]
	v_cndmask_b32_e64 v31, 0, 1, s47
	s_and_b32 s48, vcc_lo, s0
	s_and_saveexec_b32 s46, s48
	s_cbranch_execz .LBB20_1105
; %bb.1102:                             ;   in Loop: Header=BB20_1094 Depth=2
	v_mov_b32_e32 v87, v82
	s_and_not1_b32 vcc_lo, exec_lo, s47
	s_cbranch_vccnz .LBB20_1104
; %bb.1103:                             ;   in Loop: Header=BB20_1094 Depth=2
	global_load_b32 v87, v[28:29], off
.LBB20_1104:                            ;   in Loop: Header=BB20_1094 Depth=2
	ds_load_b32 v88, v71
	s_wait_loadcnt_dscnt 0x0
	v_fmac_f32_e32 v24, v87, v88
.LBB20_1105:                            ;   in Loop: Header=BB20_1094 Depth=2
	s_or_b32 exec_lo, exec_lo, s46
	v_add_nc_u32_e32 v87, 16, v30
	s_delay_alu instid0(VALU_DEP_1) | instskip(SKIP_1) | instid1(SALU_CYCLE_1)
	v_cmp_gt_i32_e32 vcc_lo, s74, v87
	s_and_b32 s47, vcc_lo, s0
	s_and_saveexec_b32 s46, s47
	s_cbranch_execz .LBB20_1109
; %bb.1106:                             ;   in Loop: Header=BB20_1094 Depth=2
	v_cmp_ne_u32_e32 vcc_lo, 1, v31
	v_mov_b32_e32 v87, v83
	s_cbranch_vccnz .LBB20_1108
; %bb.1107:                             ;   in Loop: Header=BB20_1094 Depth=2
	global_load_b32 v87, v[28:29], off offset:64
.LBB20_1108:                            ;   in Loop: Header=BB20_1094 Depth=2
	ds_load_b32 v88, v71 offset:64
	s_wait_loadcnt_dscnt 0x0
	v_fmac_f32_e32 v24, v87, v88
.LBB20_1109:                            ;   in Loop: Header=BB20_1094 Depth=2
	s_or_b32 exec_lo, exec_lo, s46
	v_add_nc_u32_e32 v87, 32, v30
	s_delay_alu instid0(VALU_DEP_1) | instskip(SKIP_1) | instid1(SALU_CYCLE_1)
	v_cmp_gt_i32_e32 vcc_lo, s74, v87
	s_and_b32 s47, vcc_lo, s0
	s_and_saveexec_b32 s46, s47
	s_cbranch_execz .LBB20_1113
; %bb.1110:                             ;   in Loop: Header=BB20_1094 Depth=2
	v_cmp_ne_u32_e32 vcc_lo, 1, v31
	v_mov_b32_e32 v87, v84
	s_cbranch_vccnz .LBB20_1112
; %bb.1111:                             ;   in Loop: Header=BB20_1094 Depth=2
	global_load_b32 v87, v[28:29], off offset:128
.LBB20_1112:                            ;   in Loop: Header=BB20_1094 Depth=2
	ds_load_b32 v88, v71 offset:128
	s_wait_loadcnt_dscnt 0x0
	v_fmac_f32_e32 v24, v87, v88
.LBB20_1113:                            ;   in Loop: Header=BB20_1094 Depth=2
	s_or_b32 exec_lo, exec_lo, s46
	v_add_nc_u32_e32 v30, 48, v30
	s_delay_alu instid0(VALU_DEP_1) | instskip(SKIP_1) | instid1(SALU_CYCLE_1)
	v_cmp_gt_i32_e32 vcc_lo, s74, v30
	s_and_b32 s47, vcc_lo, s0
	s_and_saveexec_b32 s46, s47
	s_cbranch_execz .LBB20_1093
; %bb.1114:                             ;   in Loop: Header=BB20_1094 Depth=2
	v_cmp_ne_u32_e32 vcc_lo, 1, v31
	v_mov_b32_e32 v30, v85
	s_cbranch_vccnz .LBB20_1092
; %bb.1115:                             ;   in Loop: Header=BB20_1094 Depth=2
	global_load_b32 v30, v[28:29], off offset:192
	s_branch .LBB20_1092
.LBB20_1116:                            ;   in Loop: Header=BB20_3 Depth=1
	ds_store_b32 v72, v24
	s_wait_dscnt 0x0
	s_barrier_signal -1
	s_barrier_wait -1
	s_and_saveexec_b32 s61, s3
	s_cbranch_execz .LBB20_1118
; %bb.1117:                             ;   in Loop: Header=BB20_3 Depth=1
	ds_load_2addr_stride64_b32 v[26:27], v73 offset0:1 offset1:2
	ds_load_2addr_stride64_b32 v[28:29], v73 offset0:3 offset1:4
	;; [unrolled: 1-line block ×4, first 2 shown]
	v_readlane_b32 s46, v91, 8
	s_wait_dscnt 0x3
	v_add_f32_e32 v24, v24, v26
	s_delay_alu instid0(VALU_DEP_1) | instskip(SKIP_3) | instid1(VALU_DEP_1)
	v_add_f32_e32 v24, v24, v27
	ds_load_2addr_stride64_b32 v[26:27], v73 offset0:9 offset1:10
	s_wait_dscnt 0x3
	v_add_f32_e32 v24, v24, v28
	v_add_f32_e32 v24, v24, v29
	ds_load_2addr_stride64_b32 v[28:29], v73 offset0:11 offset1:12
	s_wait_dscnt 0x3
	v_add_f32_e32 v24, v24, v30
	s_delay_alu instid0(VALU_DEP_1) | instskip(SKIP_1) | instid1(VALU_DEP_1)
	v_add_f32_e32 v24, v24, v31
	s_wait_dscnt 0x2
	v_add_f32_e32 v24, v24, v86
	ds_load_2addr_stride64_b32 v[30:31], v73 offset0:13 offset1:14
	ds_load_b32 v86, v73 offset:3840
	v_add_f32_e32 v24, v24, v87
	s_wait_dscnt 0x3
	s_delay_alu instid0(VALU_DEP_1) | instskip(NEXT) | instid1(VALU_DEP_1)
	v_add_f32_e32 v24, v24, v26
	v_add_f32_e32 v24, v24, v27
	s_wait_dscnt 0x2
	s_delay_alu instid0(VALU_DEP_1) | instskip(NEXT) | instid1(VALU_DEP_1)
	v_add_f32_e32 v24, v24, v28
	;; [unrolled: 4-line block ×4, first 2 shown]
	v_cndmask_b32_e64 v24, -v24, 0, s46
.LBB20_1118:                            ;   in Loop: Header=BB20_3 Depth=1
	s_or_b32 exec_lo, exec_lo, s61
	s_delay_alu instid0(SALU_CYCLE_1)
	s_and_not1_b32 vcc_lo, exec_lo, s89
	s_cbranch_vccnz .LBB20_1128
; %bb.1119:                             ;   in Loop: Header=BB20_3 Depth=1
	s_and_saveexec_b32 s46, s3
; %bb.1120:                             ;   in Loop: Header=BB20_3 Depth=1
	ds_store_b32 v75, v24
; %bb.1121:                             ;   in Loop: Header=BB20_3 Depth=1
	s_or_b32 exec_lo, exec_lo, s46
	v_mov_b32_e32 v26, 0
	s_wait_dscnt 0x0
	s_barrier_signal -1
	s_barrier_wait -1
	s_and_saveexec_b32 s46, s1
	s_cbranch_execnz .LBB20_1168
; %bb.1122:                             ;   in Loop: Header=BB20_3 Depth=1
	s_or_b32 exec_lo, exec_lo, s46
	s_and_saveexec_b32 s46, s8
	s_cbranch_execnz .LBB20_1169
.LBB20_1123:                            ;   in Loop: Header=BB20_3 Depth=1
	s_or_b32 exec_lo, exec_lo, s46
	s_and_saveexec_b32 s46, s9
	s_cbranch_execnz .LBB20_1170
.LBB20_1124:                            ;   in Loop: Header=BB20_3 Depth=1
	s_or_b32 exec_lo, exec_lo, s46
	s_and_saveexec_b32 s46, s10
	s_cbranch_execz .LBB20_1126
.LBB20_1125:                            ;   in Loop: Header=BB20_3 Depth=1
	ds_load_b32 v27, v74 offset:12288
	ds_load_b32 v28, v71 offset:192
	s_wait_dscnt 0x0
	v_fmac_f32_e32 v26, v27, v28
.LBB20_1126:                            ;   in Loop: Header=BB20_3 Depth=1
	s_or_b32 exec_lo, exec_lo, s46
	s_mov_b32 s61, 0
	s_mov_b32 s82, 0
	ds_store_b32 v72, v26
	s_wait_dscnt 0x0
	s_barrier_signal -1
	s_barrier_wait -1
                                        ; implicit-def: $vgpr27
	s_and_saveexec_b32 s83, s3
	s_cbranch_execz .LBB20_1171
; %bb.1127:                             ;   in Loop: Header=BB20_3 Depth=1
	ds_load_2addr_stride64_b32 v[28:29], v73 offset0:1 offset1:2
	ds_load_2addr_stride64_b32 v[30:31], v73 offset0:3 offset1:4
	;; [unrolled: 1-line block ×4, first 2 shown]
	s_mov_b32 s82, exec_lo
	s_wait_dscnt 0x3
	v_add_f32_e32 v26, v26, v28
	s_delay_alu instid0(VALU_DEP_1) | instskip(SKIP_1) | instid1(VALU_DEP_1)
	v_add_f32_e32 v26, v29, v26
	s_wait_dscnt 0x2
	v_add_f32_e32 v26, v30, v26
	s_delay_alu instid0(VALU_DEP_1) | instskip(SKIP_1) | instid1(VALU_DEP_1)
	v_add_f32_e32 v26, v31, v26
	s_wait_dscnt 0x1
	v_add_f32_e32 v28, v86, v26
	ds_load_2addr_stride64_b32 v[26:27], v73 offset0:9 offset1:10
	v_add_f32_e32 v28, v87, v28
	s_wait_dscnt 0x1
	s_delay_alu instid0(VALU_DEP_1)
	v_add_f32_e32 v30, v88, v28
	ds_load_2addr_stride64_b32 v[28:29], v73 offset0:11 offset1:12
	v_add_f32_e32 v86, v89, v30
	ds_load_2addr_stride64_b32 v[30:31], v73 offset0:13 offset1:14
	ds_load_b32 v87, v73 offset:3840
	s_wait_dscnt 0x3
	v_add_f32_e32 v26, v26, v86
	s_delay_alu instid0(VALU_DEP_1) | instskip(SKIP_1) | instid1(VALU_DEP_1)
	v_add_f32_e32 v26, v27, v26
	s_wait_dscnt 0x2
	v_add_f32_e32 v26, v28, v26
	s_delay_alu instid0(VALU_DEP_1) | instskip(SKIP_1) | instid1(VALU_DEP_1)
	v_add_f32_e32 v26, v29, v26
	;; [unrolled: 4-line block ×3, first 2 shown]
	s_wait_dscnt 0x0
	v_add_f32_e32 v27, v87, v26
	s_or_b32 exec_lo, exec_lo, s83
	s_delay_alu instid0(SALU_CYCLE_1)
	s_and_b32 vcc_lo, exec_lo, s61
	s_cbranch_vccnz .LBB20_1129
	s_branch .LBB20_1172
.LBB20_1128:                            ;   in Loop: Header=BB20_3 Depth=1
	s_mov_b32 s82, 0
                                        ; implicit-def: $vgpr27
	s_cbranch_execz .LBB20_1172
.LBB20_1129:                            ;   in Loop: Header=BB20_3 Depth=1
	v_dual_mov_b32 v26, v81 :: v_dual_mov_b32 v27, v80
	s_mov_b32 s61, 63
	s_branch .LBB20_1131
.LBB20_1130:                            ;   in Loop: Header=BB20_1131 Depth=2
	s_or_b32 exec_lo, exec_lo, s46
	v_add_nc_u32_e32 v27, 0xfffffc00, v27
	v_add_nc_u32_e32 v26, 4, v26
	s_add_co_i32 s61, s61, -4
	s_cmp_lg_u32 s60, 0
	s_barrier_signal -1
	s_barrier_wait -1
	s_cbranch_scc0 .LBB20_1147
.LBB20_1131:                            ;   Parent Loop BB20_3 Depth=1
                                        ; =>  This Inner Loop Header: Depth=2
	s_delay_alu instid0(VALU_DEP_1) | instskip(SKIP_1) | instid1(SALU_CYCLE_1)
	v_cmp_eq_u32_e32 vcc_lo, 0, v26
	s_and_b32 s47, s3, vcc_lo
	s_and_saveexec_b32 s46, s47
; %bb.1132:                             ;   in Loop: Header=BB20_1131 Depth=2
	ds_store_b32 v7, v24 offset:20736
; %bb.1133:                             ;   in Loop: Header=BB20_1131 Depth=2
	s_or_b32 exec_lo, exec_lo, s46
	v_cmp_gt_u32_e32 vcc_lo, s61, v4
	s_wait_dscnt 0x0
	s_barrier_signal -1
	s_barrier_wait -1
	s_and_b32 s47, s3, vcc_lo
	s_delay_alu instid0(SALU_CYCLE_1)
	s_and_saveexec_b32 s46, s47
	s_cbranch_execz .LBB20_1135
; %bb.1134:                             ;   in Loop: Header=BB20_1131 Depth=2
	ds_load_b32 v28, v27 offset:768
	ds_load_b32 v29, v7 offset:20736
	s_wait_dscnt 0x0
	v_fmac_f32_e32 v24, v28, v29
.LBB20_1135:                            ;   in Loop: Header=BB20_1131 Depth=2
	s_or_b32 exec_lo, exec_lo, s46
	s_add_co_i32 s46, s61, -1
	s_delay_alu instid0(SALU_CYCLE_1) | instskip(SKIP_3) | instid1(SALU_CYCLE_1)
	v_cmp_eq_u32_e32 vcc_lo, s46, v4
	s_barrier_signal -1
	s_barrier_wait -1
	s_and_b32 s48, s3, vcc_lo
	s_and_saveexec_b32 s47, s48
; %bb.1136:                             ;   in Loop: Header=BB20_1131 Depth=2
	ds_store_b32 v7, v24 offset:20736
; %bb.1137:                             ;   in Loop: Header=BB20_1131 Depth=2
	s_or_b32 exec_lo, exec_lo, s47
	v_cmp_gt_u32_e32 vcc_lo, s46, v4
	s_wait_dscnt 0x0
	s_barrier_signal -1
	s_barrier_wait -1
	s_and_b32 s47, s3, vcc_lo
	s_delay_alu instid0(SALU_CYCLE_1)
	s_and_saveexec_b32 s46, s47
	s_cbranch_execz .LBB20_1139
; %bb.1138:                             ;   in Loop: Header=BB20_1131 Depth=2
	ds_load_b32 v28, v27 offset:512
	ds_load_b32 v29, v7 offset:20736
	s_wait_dscnt 0x0
	v_fmac_f32_e32 v24, v28, v29
.LBB20_1139:                            ;   in Loop: Header=BB20_1131 Depth=2
	s_or_b32 exec_lo, exec_lo, s46
	s_add_co_i32 s46, s61, -2
	s_delay_alu instid0(SALU_CYCLE_1) | instskip(SKIP_3) | instid1(SALU_CYCLE_1)
	v_cmp_eq_u32_e32 vcc_lo, s46, v4
	s_barrier_signal -1
	s_barrier_wait -1
	;; [unrolled: 26-line block ×3, first 2 shown]
	s_and_b32 s47, s3, vcc_lo
	s_and_saveexec_b32 s46, s47
; %bb.1144:                             ;   in Loop: Header=BB20_1131 Depth=2
	ds_store_b32 v7, v24 offset:20736
; %bb.1145:                             ;   in Loop: Header=BB20_1131 Depth=2
	s_or_b32 exec_lo, exec_lo, s46
	v_cmp_gt_u32_e32 vcc_lo, s60, v4
	s_wait_dscnt 0x0
	s_barrier_signal -1
	s_barrier_wait -1
	s_and_b32 s47, s3, vcc_lo
	s_delay_alu instid0(SALU_CYCLE_1)
	s_and_saveexec_b32 s46, s47
	s_cbranch_execz .LBB20_1130
; %bb.1146:                             ;   in Loop: Header=BB20_1131 Depth=2
	ds_load_b32 v28, v27
	ds_load_b32 v29, v7 offset:20736
	s_wait_dscnt 0x0
	v_fmac_f32_e32 v24, v28, v29
	s_branch .LBB20_1130
.LBB20_1147:                            ;   in Loop: Header=BB20_3 Depth=1
	s_and_b32 vcc_lo, exec_lo, s87
	s_mov_b32 s46, -1
	s_cbranch_vccnz .LBB20_1173
; %bb.1148:                             ;   in Loop: Header=BB20_3 Depth=1
	s_and_not1_b32 vcc_lo, exec_lo, s46
	s_cbranch_vccz .LBB20_1174
.LBB20_1149:                            ;   in Loop: Header=BB20_3 Depth=1
	s_and_saveexec_b32 s46, s82
	s_cbranch_execz .LBB20_1151
.LBB20_1150:                            ;   in Loop: Header=BB20_3 Depth=1
	v_lshl_add_u64 v[26:27], v[12:13], 2, s[80:81]
	global_store_b32 v[26:27], v24, off
.LBB20_1151:                            ;   in Loop: Header=BB20_3 Depth=1
	s_wait_xcnt 0x0
	s_or_b32 exec_lo, exec_lo, s46
	global_wb scope:SCOPE_DEV
	s_wait_storecnt 0x0
	global_inv scope:SCOPE_DEV
	s_wait_loadcnt 0x0
	s_barrier_signal -1
	s_barrier_wait -1
	s_and_saveexec_b32 s46, s55
	s_cbranch_execz .LBB20_2
; %bb.1152:                             ;   in Loop: Header=BB20_3 Depth=1
	s_lshl_b64 s[60:61], s[72:73], 2
	s_delay_alu instid0(SALU_CYCLE_1)
	s_add_nc_u64 s[60:61], s[66:67], s[60:61]
	global_load_b32 v24, v7, s[60:61]
	s_wait_loadcnt 0x0
	v_add_nc_u32_e32 v24, 1, v24
	global_store_b32 v7, v24, s[60:61]
	s_branch .LBB20_2
.LBB20_1153:                            ;   in Loop: Header=BB20_3 Depth=1
	s_mov_b32 s47, exec_lo
	v_readlane_b32 s48, v90, 21
	s_and_b32 s48, s47, s48
	s_delay_alu instid0(SALU_CYCLE_1)
	s_mov_b32 exec_lo, s48
; %bb.1154:                             ;   in Loop: Header=BB20_3 Depth=1
	ds_store_b32 v76, v7
; %bb.1155:                             ;   in Loop: Header=BB20_3 Depth=1
	s_or_b32 exec_lo, exec_lo, s47
	s_and_not1_saveexec_b32 s46, s46
	s_cbranch_execz .LBB20_16
.LBB20_1156:                            ;   in Loop: Header=BB20_3 Depth=1
	v_lshl_add_u64 v[30:31], v[14:15], 2, v[28:29]
	global_load_b32 v24, v[30:31], off
	s_wait_loadcnt 0x0
	v_xor_b32_e32 v24, 0x80000000, v24
	ds_store_b32 v76, v24
	s_or_b32 exec_lo, exec_lo, s46
	s_and_saveexec_b32 s46, s8
	s_delay_alu instid0(SALU_CYCLE_1)
	s_xor_b32 s46, exec_lo, s46
	s_cbranch_execz .LBB20_17
.LBB20_1157:                            ;   in Loop: Header=BB20_3 Depth=1
	s_mov_b32 s47, exec_lo
	v_readlane_b32 s48, v90, 22
	s_and_b32 s48, s47, s48
	s_delay_alu instid0(SALU_CYCLE_1)
	s_mov_b32 exec_lo, s48
; %bb.1158:                             ;   in Loop: Header=BB20_3 Depth=1
	ds_store_b32 v3, v7
; %bb.1159:                             ;   in Loop: Header=BB20_3 Depth=1
	s_or_b32 exec_lo, exec_lo, s47
	s_and_not1_saveexec_b32 s46, s46
	s_cbranch_execz .LBB20_18
.LBB20_1160:                            ;   in Loop: Header=BB20_3 Depth=1
	v_lshl_add_u64 v[30:31], v[16:17], 2, v[28:29]
	global_load_b32 v24, v[30:31], off
	s_wait_loadcnt 0x0
	v_xor_b32_e32 v24, 0x80000000, v24
	ds_store_b32 v3, v24
	s_or_b32 exec_lo, exec_lo, s46
	s_and_saveexec_b32 s46, s9
	s_delay_alu instid0(SALU_CYCLE_1)
	s_xor_b32 s46, exec_lo, s46
	s_cbranch_execz .LBB20_19
.LBB20_1161:                            ;   in Loop: Header=BB20_3 Depth=1
	s_mov_b32 s47, exec_lo
	v_readlane_b32 s48, v90, 23
	s_and_b32 s48, s47, s48
	s_delay_alu instid0(SALU_CYCLE_1)
	s_mov_b32 exec_lo, s48
; %bb.1162:                             ;   in Loop: Header=BB20_3 Depth=1
	ds_store_b32 v77, v7
; %bb.1163:                             ;   in Loop: Header=BB20_3 Depth=1
	s_or_b32 exec_lo, exec_lo, s47
	s_and_not1_saveexec_b32 s46, s46
	s_cbranch_execz .LBB20_20
.LBB20_1164:                            ;   in Loop: Header=BB20_3 Depth=1
	v_lshl_add_u64 v[30:31], v[18:19], 2, v[28:29]
	global_load_b32 v24, v[30:31], off
	s_wait_loadcnt 0x0
	v_xor_b32_e32 v24, 0x80000000, v24
	ds_store_b32 v77, v24
	s_or_b32 exec_lo, exec_lo, s46
	s_and_saveexec_b32 s46, s10
	s_delay_alu instid0(SALU_CYCLE_1)
	s_xor_b32 s46, exec_lo, s46
	s_cbranch_execz .LBB20_21
.LBB20_1165:                            ;   in Loop: Header=BB20_3 Depth=1
	s_mov_b32 s47, exec_lo
	v_readlane_b32 s48, v90, 24
	s_and_b32 s48, s47, s48
	s_delay_alu instid0(SALU_CYCLE_1)
	s_mov_b32 exec_lo, s48
; %bb.1166:                             ;   in Loop: Header=BB20_3 Depth=1
	ds_store_b32 v78, v7
; %bb.1167:                             ;   in Loop: Header=BB20_3 Depth=1
	s_or_b32 exec_lo, exec_lo, s47
	s_and_not1_saveexec_b32 s46, s46
	s_cbranch_execnz .LBB20_22
	s_branch .LBB20_23
.LBB20_1168:                            ;   in Loop: Header=BB20_3 Depth=1
	ds_load_b32 v26, v74
	ds_load_b32 v27, v71
	s_wait_dscnt 0x0
	v_fma_f32 v26, v26, v27, 0
	s_or_b32 exec_lo, exec_lo, s46
	s_and_saveexec_b32 s46, s8
	s_cbranch_execz .LBB20_1123
.LBB20_1169:                            ;   in Loop: Header=BB20_3 Depth=1
	ds_load_b32 v27, v74 offset:4096
	ds_load_b32 v28, v71 offset:64
	s_wait_dscnt 0x0
	v_fmac_f32_e32 v26, v27, v28
	s_or_b32 exec_lo, exec_lo, s46
	s_and_saveexec_b32 s46, s9
	s_cbranch_execz .LBB20_1124
.LBB20_1170:                            ;   in Loop: Header=BB20_3 Depth=1
	ds_load_b32 v27, v74 offset:8192
	ds_load_b32 v28, v71 offset:128
	s_wait_dscnt 0x0
	v_fmac_f32_e32 v26, v27, v28
	s_or_b32 exec_lo, exec_lo, s46
	s_and_saveexec_b32 s46, s10
	s_cbranch_execnz .LBB20_1125
	s_branch .LBB20_1126
.LBB20_1171:                            ;   in Loop: Header=BB20_3 Depth=1
	s_or_b32 exec_lo, exec_lo, s83
	s_delay_alu instid0(SALU_CYCLE_1)
	s_and_b32 vcc_lo, exec_lo, s61
	s_cbranch_vccnz .LBB20_1129
.LBB20_1172:                            ;   in Loop: Header=BB20_3 Depth=1
	v_mov_b32_e32 v24, v27
	s_and_saveexec_b32 s46, s82
	s_cbranch_execnz .LBB20_1150
	s_branch .LBB20_1151
.LBB20_1173:                            ;   in Loop: Header=BB20_3 Depth=1
	s_and_not1_b32 s47, s82, exec_lo
	s_and_b32 s48, s3, exec_lo
	s_delay_alu instid0(SALU_CYCLE_1)
	s_or_b32 s82, s47, s48
	s_cbranch_execnz .LBB20_1149
.LBB20_1174:                            ;   in Loop: Header=BB20_3 Depth=1
	v_readlane_b32 s47, v91, 10
	s_and_not1_b32 s46, s82, exec_lo
	s_and_b32 s47, s47, exec_lo
	s_delay_alu instid0(SALU_CYCLE_1) | instskip(NEXT) | instid1(SALU_CYCLE_1)
	s_or_b32 s82, s46, s47
	s_and_saveexec_b32 s46, s82
	s_cbranch_execnz .LBB20_1150
	s_branch .LBB20_1151
.LBB20_1175:                            ;   in Loop: Header=BB20_3 Depth=1
	ds_load_b32 v28, v49 offset:272
	ds_load_b32 v29, v41 offset:4
	s_wait_dscnt 0x0
	v_fmac_f32_e32 v24, v28, v29
	s_or_b32 exec_lo, exec_lo, s46
	s_and_saveexec_b32 s46, s14
	s_cbranch_execz .LBB20_72
.LBB20_1176:                            ;   in Loop: Header=BB20_3 Depth=1
	ds_load_b32 v28, v48 offset:528
	ds_load_b32 v29, v41 offset:8
	s_wait_dscnt 0x0
	v_fmac_f32_e32 v24, v28, v29
	s_or_b32 exec_lo, exec_lo, s46
	s_and_saveexec_b32 s46, s2
	s_cbranch_execnz .LBB20_73
	s_branch .LBB20_74
.LBB20_1177:                            ;   in Loop: Header=BB20_3 Depth=1
	ds_load_b32 v28, v57 offset:288
	ds_load_b32 v29, v51 offset:4
	s_wait_dscnt 0x0
	v_fmac_f32_e32 v24, v28, v29
	s_or_b32 exec_lo, exec_lo, s46
	s_and_saveexec_b32 s46, s16
	s_cbranch_execz .LBB20_114
.LBB20_1178:                            ;   in Loop: Header=BB20_3 Depth=1
	ds_load_b32 v28, v57 offset:544
	ds_load_b32 v29, v51 offset:8
	s_wait_dscnt 0x0
	v_fmac_f32_e32 v24, v28, v29
	s_or_b32 exec_lo, exec_lo, s46
	s_and_saveexec_b32 s46, s17
	s_cbranch_execz .LBB20_115
.LBB20_1179:                            ;   in Loop: Header=BB20_3 Depth=1
	ds_load_b32 v28, v57 offset:800
	ds_load_b32 v29, v51 offset:12
	s_wait_dscnt 0x0
	v_fmac_f32_e32 v24, v28, v29
	s_or_b32 exec_lo, exec_lo, s46
	s_and_saveexec_b32 s46, s18
	s_cbranch_execz .LBB20_116
.LBB20_1180:                            ;   in Loop: Header=BB20_3 Depth=1
	ds_load_b32 v28, v55 offset:1056
	ds_load_b32 v29, v51 offset:16
	s_wait_dscnt 0x0
	v_fmac_f32_e32 v24, v28, v29
	s_or_b32 exec_lo, exec_lo, s46
	s_and_saveexec_b32 s46, s19
	s_cbranch_execz .LBB20_117
.LBB20_1181:                            ;   in Loop: Header=BB20_3 Depth=1
	ds_load_b32 v28, v57 offset:1312
	ds_load_b32 v29, v51 offset:20
	s_wait_dscnt 0x0
	v_fmac_f32_e32 v24, v28, v29
	s_or_b32 exec_lo, exec_lo, s46
	s_and_saveexec_b32 s46, s4
	s_cbranch_execz .LBB20_118
.LBB20_1182:                            ;   in Loop: Header=BB20_3 Depth=1
	ds_load_b32 v28, v55 offset:1568
	ds_load_b32 v29, v51 offset:24
	s_wait_dscnt 0x0
	v_fmac_f32_e32 v24, v28, v29
	s_or_b32 exec_lo, exec_lo, s46
	s_and_saveexec_b32 s46, s14
	s_cbranch_execnz .LBB20_119
	s_branch .LBB20_120
.LBB20_1183:                            ;   in Loop: Header=BB20_3 Depth=1
	ds_load_b32 v28, v49 offset:2352
	ds_load_b32 v29, v41 offset:2084
	s_wait_dscnt 0x0
	v_fmac_f32_e32 v24, v28, v29
	s_or_b32 exec_lo, exec_lo, s46
	s_and_saveexec_b32 s46, s14
	s_cbranch_execz .LBB20_176
.LBB20_1184:                            ;   in Loop: Header=BB20_3 Depth=1
	ds_load_b32 v28, v48 offset:2608
	ds_load_b32 v29, v41 offset:2088
	s_wait_dscnt 0x0
	v_fmac_f32_e32 v24, v28, v29
	s_or_b32 exec_lo, exec_lo, s46
	s_and_saveexec_b32 s46, s2
	s_cbranch_execnz .LBB20_177
	s_branch .LBB20_178
.LBB20_1185:                            ;   in Loop: Header=BB20_3 Depth=1
	ds_load_b32 v28, v66 offset:2880
	ds_load_b32 v29, v58 offset:44
	s_wait_dscnt 0x0
	v_fmac_f32_e32 v24, v28, v29
	s_or_b32 exec_lo, exec_lo, s46
	s_and_saveexec_b32 s46, s5
	s_cbranch_execz .LBB20_238
.LBB20_1186:                            ;   in Loop: Header=BB20_3 Depth=1
	ds_load_b32 v28, v65 offset:3136
	ds_load_b32 v29, v58 offset:48
	s_wait_dscnt 0x0
	v_fmac_f32_e32 v24, v28, v29
	s_or_b32 exec_lo, exec_lo, s46
	s_and_saveexec_b32 s46, s16
	s_cbranch_execz .LBB20_239
.LBB20_1187:                            ;   in Loop: Header=BB20_3 Depth=1
	ds_load_b32 v28, v66 offset:3392
	ds_load_b32 v29, v58 offset:52
	s_wait_dscnt 0x0
	v_fmac_f32_e32 v24, v28, v29
	s_or_b32 exec_lo, exec_lo, s46
	s_and_saveexec_b32 s46, s18
	s_cbranch_execz .LBB20_240
.LBB20_1188:                            ;   in Loop: Header=BB20_3 Depth=1
	ds_load_b32 v28, v65 offset:3648
	ds_load_b32 v29, v58 offset:56
	s_wait_dscnt 0x0
	v_fmac_f32_e32 v24, v28, v29
	s_or_b32 exec_lo, exec_lo, s46
	s_and_saveexec_b32 s46, s4
	s_cbranch_execnz .LBB20_241
	s_branch .LBB20_242
.LBB20_1189:                            ;   in Loop: Header=BB20_3 Depth=1
	ds_load_b32 v28, v49 offset:4432
	ds_load_b32 v29, v41 offset:4164
	s_wait_dscnt 0x0
	v_fmac_f32_e32 v24, v28, v29
	s_or_b32 exec_lo, exec_lo, s46
	s_and_saveexec_b32 s46, s14
	s_cbranch_execz .LBB20_330
.LBB20_1190:                            ;   in Loop: Header=BB20_3 Depth=1
	ds_load_b32 v28, v48 offset:4688
	ds_load_b32 v29, v41 offset:4168
	s_wait_dscnt 0x0
	v_fmac_f32_e32 v24, v28, v29
	s_or_b32 exec_lo, exec_lo, s46
	s_and_saveexec_b32 s46, s2
	s_cbranch_execnz .LBB20_331
	s_branch .LBB20_332
.LBB20_1191:                            ;   in Loop: Header=BB20_3 Depth=1
	ds_load_b32 v28, v57 offset:4448
	ds_load_b32 v29, v51 offset:4164
	s_wait_dscnt 0x0
	v_fmac_f32_e32 v24, v28, v29
	s_or_b32 exec_lo, exec_lo, s46
	s_and_saveexec_b32 s46, s16
	s_cbranch_execz .LBB20_372
.LBB20_1192:                            ;   in Loop: Header=BB20_3 Depth=1
	ds_load_b32 v28, v57 offset:4704
	ds_load_b32 v29, v51 offset:4168
	s_wait_dscnt 0x0
	v_fmac_f32_e32 v24, v28, v29
	s_or_b32 exec_lo, exec_lo, s46
	s_and_saveexec_b32 s46, s17
	s_cbranch_execz .LBB20_373
.LBB20_1193:                            ;   in Loop: Header=BB20_3 Depth=1
	ds_load_b32 v28, v57 offset:4960
	ds_load_b32 v29, v51 offset:4172
	s_wait_dscnt 0x0
	v_fmac_f32_e32 v24, v28, v29
	s_or_b32 exec_lo, exec_lo, s46
	s_and_saveexec_b32 s46, s18
	s_cbranch_execz .LBB20_374
.LBB20_1194:                            ;   in Loop: Header=BB20_3 Depth=1
	ds_load_b32 v28, v55 offset:5216
	ds_load_b32 v29, v51 offset:4176
	s_wait_dscnt 0x0
	v_fmac_f32_e32 v24, v28, v29
	s_or_b32 exec_lo, exec_lo, s46
	s_and_saveexec_b32 s46, s19
	s_cbranch_execz .LBB20_375
.LBB20_1195:                            ;   in Loop: Header=BB20_3 Depth=1
	ds_load_b32 v28, v57 offset:5472
	ds_load_b32 v29, v51 offset:4180
	s_wait_dscnt 0x0
	v_fmac_f32_e32 v24, v28, v29
	s_or_b32 exec_lo, exec_lo, s46
	s_and_saveexec_b32 s46, s4
	s_cbranch_execz .LBB20_376
.LBB20_1196:                            ;   in Loop: Header=BB20_3 Depth=1
	ds_load_b32 v28, v55 offset:5728
	ds_load_b32 v29, v51 offset:4184
	s_wait_dscnt 0x0
	v_fmac_f32_e32 v24, v28, v29
	s_or_b32 exec_lo, exec_lo, s46
	s_and_saveexec_b32 s46, s14
	s_cbranch_execnz .LBB20_377
	s_branch .LBB20_378
.LBB20_1197:                            ;   in Loop: Header=BB20_3 Depth=1
	ds_load_b32 v28, v49 offset:6512
	ds_load_b32 v29, v41 offset:6244
	s_wait_dscnt 0x0
	v_fmac_f32_e32 v24, v28, v29
	s_or_b32 exec_lo, exec_lo, s46
	s_and_saveexec_b32 s46, s14
	s_cbranch_execz .LBB20_434
.LBB20_1198:                            ;   in Loop: Header=BB20_3 Depth=1
	ds_load_b32 v28, v48 offset:6768
	ds_load_b32 v29, v41 offset:6248
	s_wait_dscnt 0x0
	v_fmac_f32_e32 v24, v28, v29
	s_or_b32 exec_lo, exec_lo, s46
	s_and_saveexec_b32 s46, s2
	s_cbranch_execnz .LBB20_435
	s_branch .LBB20_436
.LBB20_1199:                            ;   in Loop: Header=BB20_3 Depth=1
	ds_load_b32 v29, v68 offset:7552
	ds_load_b32 v30, v28 offset:116
	s_wait_dscnt 0x0
	v_fmac_f32_e32 v24, v29, v30
	s_or_b32 exec_lo, exec_lo, s46
	s_and_saveexec_b32 s46, s5
	s_cbranch_execz .LBB20_532
.LBB20_1200:                            ;   in Loop: Header=BB20_3 Depth=1
	ds_load_b32 v29, v68 offset:7808
	ds_load_b32 v28, v28 offset:120
	s_wait_dscnt 0x0
	v_fmac_f32_e32 v24, v29, v28
	s_or_b32 exec_lo, exec_lo, s46
	s_and_saveexec_b32 s46, s18
	s_cbranch_execnz .LBB20_533
	s_branch .LBB20_534
.LBB20_1201:                            ;   in Loop: Header=BB20_3 Depth=1
	ds_load_b32 v28, v49 offset:8592
	ds_load_b32 v29, v41 offset:8324
	s_wait_dscnt 0x0
	v_fmac_f32_e32 v24, v28, v29
	s_or_b32 exec_lo, exec_lo, s46
	s_and_saveexec_b32 s46, s14
	s_cbranch_execz .LBB20_686
.LBB20_1202:                            ;   in Loop: Header=BB20_3 Depth=1
	ds_load_b32 v28, v48 offset:8848
	ds_load_b32 v29, v41 offset:8328
	s_wait_dscnt 0x0
	v_fmac_f32_e32 v24, v28, v29
	s_or_b32 exec_lo, exec_lo, s46
	s_and_saveexec_b32 s46, s2
	s_cbranch_execnz .LBB20_687
	s_branch .LBB20_688
.LBB20_1203:                            ;   in Loop: Header=BB20_3 Depth=1
	ds_load_b32 v28, v57 offset:8608
	ds_load_b32 v29, v51 offset:8324
	s_wait_dscnt 0x0
	v_fmac_f32_e32 v24, v28, v29
	s_or_b32 exec_lo, exec_lo, s46
	s_and_saveexec_b32 s46, s16
	s_cbranch_execz .LBB20_728
.LBB20_1204:                            ;   in Loop: Header=BB20_3 Depth=1
	ds_load_b32 v28, v57 offset:8864
	ds_load_b32 v29, v51 offset:8328
	s_wait_dscnt 0x0
	v_fmac_f32_e32 v24, v28, v29
	s_or_b32 exec_lo, exec_lo, s46
	s_and_saveexec_b32 s46, s17
	s_cbranch_execz .LBB20_729
.LBB20_1205:                            ;   in Loop: Header=BB20_3 Depth=1
	ds_load_b32 v28, v57 offset:9120
	ds_load_b32 v29, v51 offset:8332
	s_wait_dscnt 0x0
	v_fmac_f32_e32 v24, v28, v29
	s_or_b32 exec_lo, exec_lo, s46
	s_and_saveexec_b32 s46, s18
	s_cbranch_execz .LBB20_730
.LBB20_1206:                            ;   in Loop: Header=BB20_3 Depth=1
	ds_load_b32 v28, v55 offset:9376
	ds_load_b32 v29, v51 offset:8336
	s_wait_dscnt 0x0
	v_fmac_f32_e32 v24, v28, v29
	s_or_b32 exec_lo, exec_lo, s46
	s_and_saveexec_b32 s46, s19
	s_cbranch_execz .LBB20_731
.LBB20_1207:                            ;   in Loop: Header=BB20_3 Depth=1
	ds_load_b32 v28, v57 offset:9632
	ds_load_b32 v29, v51 offset:8340
	s_wait_dscnt 0x0
	v_fmac_f32_e32 v24, v28, v29
	s_or_b32 exec_lo, exec_lo, s46
	s_and_saveexec_b32 s46, s4
	s_cbranch_execz .LBB20_732
.LBB20_1208:                            ;   in Loop: Header=BB20_3 Depth=1
	ds_load_b32 v28, v55 offset:9888
	ds_load_b32 v29, v51 offset:8344
	s_wait_dscnt 0x0
	v_fmac_f32_e32 v24, v28, v29
	s_or_b32 exec_lo, exec_lo, s46
	s_and_saveexec_b32 s46, s14
	s_cbranch_execnz .LBB20_733
	s_branch .LBB20_734
.LBB20_1209:                            ;   in Loop: Header=BB20_3 Depth=1
	ds_load_b32 v28, v49 offset:10672
	ds_load_b32 v29, v41 offset:10404
	s_wait_dscnt 0x0
	v_fmac_f32_e32 v24, v28, v29
	s_or_b32 exec_lo, exec_lo, s46
	s_and_saveexec_b32 s46, s14
	s_cbranch_execz .LBB20_790
.LBB20_1210:                            ;   in Loop: Header=BB20_3 Depth=1
	ds_load_b32 v28, v48 offset:10928
	ds_load_b32 v29, v41 offset:10408
	s_wait_dscnt 0x0
	v_fmac_f32_e32 v24, v28, v29
	s_or_b32 exec_lo, exec_lo, s46
	s_and_saveexec_b32 s46, s2
	s_cbranch_execnz .LBB20_791
	s_branch .LBB20_792
.LBB20_1211:                            ;   in Loop: Header=BB20_3 Depth=1
	ds_load_b32 v28, v66 offset:11200
	ds_load_b32 v29, v58 offset:8364
	s_wait_dscnt 0x0
	v_fmac_f32_e32 v24, v28, v29
	s_or_b32 exec_lo, exec_lo, s46
	s_and_saveexec_b32 s46, s5
	s_cbranch_execz .LBB20_852
.LBB20_1212:                            ;   in Loop: Header=BB20_3 Depth=1
	ds_load_b32 v28, v65 offset:11456
	ds_load_b32 v29, v58 offset:8368
	s_wait_dscnt 0x0
	v_fmac_f32_e32 v24, v28, v29
	s_or_b32 exec_lo, exec_lo, s46
	s_and_saveexec_b32 s46, s16
	s_cbranch_execz .LBB20_853
.LBB20_1213:                            ;   in Loop: Header=BB20_3 Depth=1
	ds_load_b32 v28, v66 offset:11712
	ds_load_b32 v29, v58 offset:8372
	s_wait_dscnt 0x0
	v_fmac_f32_e32 v24, v28, v29
	s_or_b32 exec_lo, exec_lo, s46
	s_and_saveexec_b32 s46, s18
	s_cbranch_execz .LBB20_854
.LBB20_1214:                            ;   in Loop: Header=BB20_3 Depth=1
	ds_load_b32 v28, v65 offset:11968
	ds_load_b32 v29, v58 offset:8376
	s_wait_dscnt 0x0
	v_fmac_f32_e32 v24, v28, v29
	s_or_b32 exec_lo, exec_lo, s46
	s_and_saveexec_b32 s46, s4
	s_cbranch_execnz .LBB20_855
	s_branch .LBB20_856
.LBB20_1215:                            ;   in Loop: Header=BB20_3 Depth=1
	ds_load_b32 v28, v49 offset:12752
	ds_load_b32 v29, v41 offset:12484
	s_wait_dscnt 0x0
	v_fmac_f32_e32 v24, v28, v29
	s_or_b32 exec_lo, exec_lo, s46
	s_and_saveexec_b32 s46, s14
	s_cbranch_execz .LBB20_944
.LBB20_1216:                            ;   in Loop: Header=BB20_3 Depth=1
	ds_load_b32 v28, v48 offset:13008
	ds_load_b32 v29, v41 offset:12488
	s_wait_dscnt 0x0
	v_fmac_f32_e32 v24, v28, v29
	s_or_b32 exec_lo, exec_lo, s46
	s_and_saveexec_b32 s46, s2
	s_cbranch_execnz .LBB20_945
	s_branch .LBB20_946
.LBB20_1217:                            ;   in Loop: Header=BB20_3 Depth=1
	ds_load_b32 v28, v57 offset:12768
	ds_load_b32 v29, v51 offset:12484
	s_wait_dscnt 0x0
	v_fmac_f32_e32 v24, v28, v29
	s_or_b32 exec_lo, exec_lo, s46
	s_and_saveexec_b32 s46, s16
	s_cbranch_execz .LBB20_986
.LBB20_1218:                            ;   in Loop: Header=BB20_3 Depth=1
	ds_load_b32 v28, v57 offset:13024
	ds_load_b32 v29, v51 offset:12488
	s_wait_dscnt 0x0
	v_fmac_f32_e32 v24, v28, v29
	s_or_b32 exec_lo, exec_lo, s46
	s_and_saveexec_b32 s46, s17
	s_cbranch_execz .LBB20_987
.LBB20_1219:                            ;   in Loop: Header=BB20_3 Depth=1
	ds_load_b32 v28, v57 offset:13280
	ds_load_b32 v29, v51 offset:12492
	s_wait_dscnt 0x0
	v_fmac_f32_e32 v24, v28, v29
	s_or_b32 exec_lo, exec_lo, s46
	s_and_saveexec_b32 s46, s18
	s_cbranch_execz .LBB20_988
.LBB20_1220:                            ;   in Loop: Header=BB20_3 Depth=1
	ds_load_b32 v28, v55 offset:13536
	ds_load_b32 v29, v51 offset:12496
	s_wait_dscnt 0x0
	v_fmac_f32_e32 v24, v28, v29
	s_or_b32 exec_lo, exec_lo, s46
	s_and_saveexec_b32 s46, s19
	s_cbranch_execz .LBB20_989
.LBB20_1221:                            ;   in Loop: Header=BB20_3 Depth=1
	ds_load_b32 v28, v57 offset:13792
	ds_load_b32 v29, v51 offset:12500
	s_wait_dscnt 0x0
	v_fmac_f32_e32 v24, v28, v29
	s_or_b32 exec_lo, exec_lo, s46
	s_and_saveexec_b32 s46, s4
	s_cbranch_execz .LBB20_990
.LBB20_1222:                            ;   in Loop: Header=BB20_3 Depth=1
	ds_load_b32 v28, v55 offset:14048
	ds_load_b32 v29, v51 offset:12504
	s_wait_dscnt 0x0
	v_fmac_f32_e32 v24, v28, v29
	s_or_b32 exec_lo, exec_lo, s46
	s_and_saveexec_b32 s46, s14
	s_cbranch_execnz .LBB20_991
	s_branch .LBB20_992
.LBB20_1223:                            ;   in Loop: Header=BB20_3 Depth=1
	ds_load_b32 v28, v49 offset:14832
	ds_load_b32 v29, v41 offset:14564
	s_wait_dscnt 0x0
	v_fmac_f32_e32 v24, v28, v29
	s_or_b32 exec_lo, exec_lo, s46
	s_and_saveexec_b32 s46, s14
	s_cbranch_execz .LBB20_1048
.LBB20_1224:                            ;   in Loop: Header=BB20_3 Depth=1
	ds_load_b32 v28, v48 offset:15088
	ds_load_b32 v29, v41 offset:14568
	s_wait_dscnt 0x0
	v_fmac_f32_e32 v24, v28, v29
	s_or_b32 exec_lo, exec_lo, s46
	s_and_saveexec_b32 s46, s2
	s_cbranch_execnz .LBB20_1049
	s_branch .LBB20_1050
.LBB20_1225:
	s_endpgm
	.section	.rodata,"a",@progbits
	.p2align	6, 0x0
	.amdhsa_kernel _ZL19rocblas_trsv_deviceILi64ELi16ELb1ELb1ELb0ELb1EffPKfPfEviT7_lllT6_T8_lllPii
		.amdhsa_group_segment_fixed_size 20740
		.amdhsa_private_segment_fixed_size 0
		.amdhsa_kernarg_size 352
		.amdhsa_user_sgpr_count 2
		.amdhsa_user_sgpr_dispatch_ptr 0
		.amdhsa_user_sgpr_queue_ptr 0
		.amdhsa_user_sgpr_kernarg_segment_ptr 1
		.amdhsa_user_sgpr_dispatch_id 0
		.amdhsa_user_sgpr_kernarg_preload_length 0
		.amdhsa_user_sgpr_kernarg_preload_offset 0
		.amdhsa_user_sgpr_private_segment_size 0
		.amdhsa_wavefront_size32 1
		.amdhsa_uses_dynamic_stack 0
		.amdhsa_enable_private_segment 0
		.amdhsa_system_sgpr_workgroup_id_x 1
		.amdhsa_system_sgpr_workgroup_id_y 0
		.amdhsa_system_sgpr_workgroup_id_z 1
		.amdhsa_system_sgpr_workgroup_info 0
		.amdhsa_system_vgpr_workitem_id 1
		.amdhsa_next_free_vgpr 94
		.amdhsa_next_free_sgpr 105
		.amdhsa_named_barrier_count 0
		.amdhsa_reserve_vcc 1
		.amdhsa_float_round_mode_32 0
		.amdhsa_float_round_mode_16_64 0
		.amdhsa_float_denorm_mode_32 3
		.amdhsa_float_denorm_mode_16_64 3
		.amdhsa_fp16_overflow 0
		.amdhsa_memory_ordered 1
		.amdhsa_forward_progress 1
		.amdhsa_inst_pref_size 255
		.amdhsa_round_robin_scheduling 0
		.amdhsa_exception_fp_ieee_invalid_op 0
		.amdhsa_exception_fp_denorm_src 0
		.amdhsa_exception_fp_ieee_div_zero 0
		.amdhsa_exception_fp_ieee_overflow 0
		.amdhsa_exception_fp_ieee_underflow 0
		.amdhsa_exception_fp_ieee_inexact 0
		.amdhsa_exception_int_div_zero 0
	.end_amdhsa_kernel
	.section	.text._ZL19rocblas_trsv_deviceILi64ELi16ELb1ELb1ELb0ELb1EffPKfPfEviT7_lllT6_T8_lllPii,"axG",@progbits,_ZL19rocblas_trsv_deviceILi64ELi16ELb1ELb1ELb0ELb1EffPKfPfEviT7_lllT6_T8_lllPii,comdat
.Lfunc_end20:
	.size	_ZL19rocblas_trsv_deviceILi64ELi16ELb1ELb1ELb0ELb1EffPKfPfEviT7_lllT6_T8_lllPii, .Lfunc_end20-_ZL19rocblas_trsv_deviceILi64ELi16ELb1ELb1ELb0ELb1EffPKfPfEviT7_lllT6_T8_lllPii
                                        ; -- End function
	.set _ZL19rocblas_trsv_deviceILi64ELi16ELb1ELb1ELb0ELb1EffPKfPfEviT7_lllT6_T8_lllPii.num_vgpr, 94
	.set _ZL19rocblas_trsv_deviceILi64ELi16ELb1ELb1ELb0ELb1EffPKfPfEviT7_lllT6_T8_lllPii.num_agpr, 0
	.set _ZL19rocblas_trsv_deviceILi64ELi16ELb1ELb1ELb0ELb1EffPKfPfEviT7_lllT6_T8_lllPii.numbered_sgpr, 105
	.set _ZL19rocblas_trsv_deviceILi64ELi16ELb1ELb1ELb0ELb1EffPKfPfEviT7_lllT6_T8_lllPii.num_named_barrier, 0
	.set _ZL19rocblas_trsv_deviceILi64ELi16ELb1ELb1ELb0ELb1EffPKfPfEviT7_lllT6_T8_lllPii.private_seg_size, 0
	.set _ZL19rocblas_trsv_deviceILi64ELi16ELb1ELb1ELb0ELb1EffPKfPfEviT7_lllT6_T8_lllPii.uses_vcc, 1
	.set _ZL19rocblas_trsv_deviceILi64ELi16ELb1ELb1ELb0ELb1EffPKfPfEviT7_lllT6_T8_lllPii.uses_flat_scratch, 0
	.set _ZL19rocblas_trsv_deviceILi64ELi16ELb1ELb1ELb0ELb1EffPKfPfEviT7_lllT6_T8_lllPii.has_dyn_sized_stack, 0
	.set _ZL19rocblas_trsv_deviceILi64ELi16ELb1ELb1ELb0ELb1EffPKfPfEviT7_lllT6_T8_lllPii.has_recursion, 0
	.set _ZL19rocblas_trsv_deviceILi64ELi16ELb1ELb1ELb0ELb1EffPKfPfEviT7_lllT6_T8_lllPii.has_indirect_call, 0
	.section	.AMDGPU.csdata,"",@progbits
; Kernel info:
; codeLenInByte = 34580
; TotalNumSgprs: 107
; NumVgprs: 94
; ScratchSize: 0
; MemoryBound: 0
; FloatMode: 240
; IeeeMode: 1
; LDSByteSize: 20740 bytes/workgroup (compile time only)
; SGPRBlocks: 0
; VGPRBlocks: 5
; NumSGPRsForWavesPerEU: 107
; NumVGPRsForWavesPerEU: 94
; NamedBarCnt: 0
; Occupancy: 10
; WaveLimiterHint : 0
; COMPUTE_PGM_RSRC2:SCRATCH_EN: 0
; COMPUTE_PGM_RSRC2:USER_SGPR: 2
; COMPUTE_PGM_RSRC2:TRAP_HANDLER: 0
; COMPUTE_PGM_RSRC2:TGID_X_EN: 1
; COMPUTE_PGM_RSRC2:TGID_Y_EN: 0
; COMPUTE_PGM_RSRC2:TGID_Z_EN: 1
; COMPUTE_PGM_RSRC2:TIDIG_COMP_CNT: 1
	.section	.text._ZL19rocblas_trsv_deviceILi64ELi16ELb1ELb1ELb1ELb1EffPKfPfEviT7_lllT6_T8_lllPii,"axG",@progbits,_ZL19rocblas_trsv_deviceILi64ELi16ELb1ELb1ELb1ELb1EffPKfPfEviT7_lllT6_T8_lllPii,comdat
	.globl	_ZL19rocblas_trsv_deviceILi64ELi16ELb1ELb1ELb1ELb1EffPKfPfEviT7_lllT6_T8_lllPii ; -- Begin function _ZL19rocblas_trsv_deviceILi64ELi16ELb1ELb1ELb1ELb1EffPKfPfEviT7_lllT6_T8_lllPii
	.p2align	8
	.type	_ZL19rocblas_trsv_deviceILi64ELi16ELb1ELb1ELb1ELb1EffPKfPfEviT7_lllT6_T8_lllPii,@function
_ZL19rocblas_trsv_deviceILi64ELi16ELb1ELb1ELb1ELb1EffPKfPfEviT7_lllT6_T8_lllPii: ; @_ZL19rocblas_trsv_deviceILi64ELi16ELb1ELb1ELb1ELb1EffPKfPfEviT7_lllT6_T8_lllPii
; %bb.0:
	s_load_b32 s6, s[0:1], 0x58
	s_bfe_u32 s2, ttmp6, 0x40014
	s_lshr_b32 s3, ttmp7, 16
	s_add_co_i32 s2, s2, 1
	s_bfe_u32 s5, ttmp6, 0x40008
	s_mul_i32 s2, s3, s2
	s_getreg_b32 s4, hwreg(HW_REG_IB_STS2, 6, 4)
	s_add_co_i32 s5, s5, s2
	s_cmp_eq_u32 s4, 0
	s_mov_b32 s73, 0
	s_cselect_b32 s72, s3, s5
                                        ; implicit-def: $vgpr93 : SGPR spill to VGPR lane
	s_wait_kmcnt 0x0
	s_cmp_ge_u32 s72, s6
	v_writelane_b32 v93, s6, 0
	s_cbranch_scc1 .LBB21_1225
; %bb.1:
	s_clause 0x4
	s_load_b256 s[56:63], s[0:1], 0x8
	s_load_b256 s[64:71], s[0:1], 0x30
	s_load_b32 s2, s[0:1], 0x6c
	s_load_b32 s86, s[0:1], 0x60
	;; [unrolled: 1-line block ×3, first 2 shown]
	s_bfe_u32 s3, ttmp6, 0x4000c
	s_and_b32 s5, ttmp6, 15
	s_add_co_i32 s3, s3, 1
	v_and_b32_e32 v4, 0x3ff, v0
	s_mul_i32 s3, ttmp9, s3
	v_bfe_u32 v2, v0, 10, 10
	s_add_co_i32 s3, s5, s3
	v_dual_mov_b32 v7, 0 :: v_dual_bitop2_b32 v1, 1, v0 bitop3:0x40
	s_delay_alu instid0(VALU_DEP_2) | instskip(SKIP_2) | instid1(VALU_DEP_4)
	v_dual_lshlrev_b32 v5, 6, v4 :: v_dual_add_nc_u32 v22, 16, v2
	v_lshl_add_u32 v28, v2, 6, v4
	v_and_b32_e32 v18, 3, v0
	v_cmp_eq_u32_e32 vcc_lo, 1, v1
	s_delay_alu instid0(VALU_DEP_4)
	v_add_nc_u32_e32 v8, v2, v5
	s_wait_kmcnt 0x0
	s_lshl_b64 s[12:13], s[58:59], 2
	s_lshl_b64 s[14:15], s[66:67], 2
	s_cmp_eq_u32 s4, 0
	v_lshl_add_u32 v10, v22, 6, v4
	s_cselect_b32 s85, ttmp9, s3
	s_add_co_i32 s3, s74, -1
	s_ashr_i32 s75, s74, 31
	s_ashr_i32 s4, s3, 31
	s_lshr_b32 s5, s75, 26
	s_lshr_b32 s4, s4, 26
	s_add_co_i32 s5, s74, s5
	s_add_co_i32 s86, s86, -1
	s_add_co_i32 s3, s3, s4
	s_and_not1_b32 s5, s5, 63
	s_sub_co_i32 s55, s86, s85
	s_ashr_i32 s3, s3, 6
	s_and_b32 s2, s2, 0xffff
	s_sub_co_i32 s78, s74, s5
	s_cmp_eq_u32 s3, s55
	v_mad_u32_u24 v6, v2, s2, v4
	s_cselect_b32 s3, -1, 0
	s_cmp_lg_u32 s78, 0
	v_cmp_ne_u32_e64 s6, 0, v18
	s_cselect_b32 s4, -1, 0
	v_cmp_eq_u32_e64 s8, 1, v18
	s_and_b32 s44, s4, s3
	s_add_nc_u64 s[4:5], s[60:61], 1
	s_xor_b32 s87, s44, -1
	s_cmp_lg_u32 s85, 0
	v_cmp_lt_u32_e64 s9, 1, v18
	s_cselect_b32 s2, -1, 0
	s_lshl_b32 s18, s55, 6
	s_cmp_lt_i32 s85, 5
	v_writelane_b32 v93, s2, 1
	s_cselect_b32 s2, -1, 0
	s_delay_alu instid0(SALU_CYCLE_1)
	v_dual_add_nc_u32 v9, v22, v5 :: v_dual_cndmask_b32 v17, v28, v8, s2
	s_or_b32 s7, s2, s44
	v_cmp_gt_u32_e64 s2, 4, v28
	s_ashr_i32 s19, s18, 31
	s_xor_b32 s3, vcc_lo, -1
	s_mul_u64 s[16:17], s[4:5], s[18:19]
	v_cmp_gt_u32_e64 s4, 16, v28
	s_and_b32 s90, s3, s2
	s_and_b32 s91, vcc_lo, s2
	v_cmp_eq_u32_e64 s3, 0, v2
	v_cmp_gt_u32_e32 vcc_lo, 2, v4
	v_dual_cndmask_b32 v16, v10, v9, s7 :: v_dual_bitop2_b32 v19, 7, v0 bitop3:0x40
	v_cmp_eq_u32_e64 s5, 0, v18
	s_and_b32 s94, s6, s4
	s_and_b32 s92, s3, vcc_lo
	v_cmp_eq_u32_e32 vcc_lo, 2, v18
	v_cmp_eq_u32_e64 s6, 3, v18
	s_and_b32 s93, s5, s4
	v_cmp_gt_u32_e64 s5, 64, v28
	s_and_b32 s95, s8, s4
	s_and_b32 s97, vcc_lo, s4
	s_and_b32 s98, s6, s4
	v_cmp_ne_u32_e32 vcc_lo, 0, v19
	v_cmp_eq_u32_e64 s6, 1, v19
	v_cmp_gt_u32_e64 s8, 4, v4
	s_and_b32 s96, s9, s4
	v_cmp_eq_u32_e64 s9, 0, v19
	s_and_b32 s101, vcc_lo, s5
	v_cmp_lt_u32_e32 vcc_lo, 2, v19
	s_and_b32 s102, s6, s5
	v_cmp_eq_u32_e64 s6, 3, v19
	s_and_b32 s99, s3, s8
	v_cmp_lt_u32_e64 s8, 1, v19
	s_and_b32 vcc_hi, vcc_lo, s5
	v_cmp_lt_u32_e32 vcc_lo, 3, v19
	s_and_b32 s31, s6, s5
	v_cmp_eq_u32_e64 s6, 5, v19
	s_and_b32 s100, s9, s5
	v_cmp_eq_u32_e64 s9, 2, v19
	;; [unrolled: 2-line block ×3, first 2 shown]
	s_and_b32 s33, vcc_lo, s5
	v_cmp_lt_u32_e32 vcc_lo, 5, v19
	s_and_b32 s36, s6, s5
	v_cmp_eq_u32_e64 s6, 6, v19
	v_dual_add_nc_u32 v26, 32, v2 :: v_dual_bitop2_b32 v20, 15, v0 bitop3:0x40
	s_and_b32 s104, s9, s5
	v_cmp_lt_u32_e64 s9, 4, v19
	s_and_b32 s34, s8, s5
	v_cmp_eq_u32_e64 s8, 7, v19
	s_and_b32 s37, vcc_lo, s5
	s_and_b32 s38, s6, s5
	v_cmp_gt_u32_e64 s6, 0x100, v28
	v_cmp_eq_u32_e32 vcc_lo, 0, v20
	s_and_b32 s35, s9, s5
	v_cmp_gt_u32_e64 s9, 8, v4
	s_and_b32 s39, s8, s5
	v_cmp_ne_u32_e64 s8, 0, v20
	s_and_b32 s20, vcc_lo, s6
	v_cmp_lt_u32_e64 s10, 1, v20
	v_writelane_b32 v93, s20, 2
	s_and_b32 s40, s3, s9
	v_cmp_eq_u32_e64 s9, 1, v20
	s_and_b32 s8, s8, s6
	v_cmp_eq_u32_e64 s11, 2, v20
	v_writelane_b32 v93, s8, 3
	v_cmp_lt_u32_e32 vcc_lo, 2, v20
	s_and_b32 s8, s9, s6
	v_cmp_lt_u32_e64 s9, 3, v20
	v_dual_add_nc_u32 v24, 48, v2 :: v_dual_add_nc_u32 v8, v26, v5
	v_writelane_b32 v93, s8, 4
	s_and_b32 s8, s10, s6
	s_and_b32 s20, vcc_lo, s6
	v_cmp_eq_u32_e32 vcc_lo, 5, v20
	v_lshl_add_u32 v9, v26, 6, v4
	v_writelane_b32 v93, s8, 5
	s_and_b32 s8, s11, s6
	v_cmp_lt_u32_e64 s11, 4, v20
	s_and_b32 s51, vcc_lo, s6
	v_cmp_lt_u32_e32 vcc_lo, 7, v20
	v_writelane_b32 v93, s8, 6
	v_cmp_eq_u32_e64 s8, 3, v20
	s_and_b32 s50, s11, s6
	v_cmp_eq_u32_e64 s11, 7, v20
	v_dual_add_nc_u32 v5, v24, v5 :: v_dual_cndmask_b32 v29, v9, v8, s7
	v_writelane_b32 v93, s20, 7
	s_and_b32 s8, s8, s6
	v_lshl_add_u32 v10, v24, 6, v4
	s_and_b32 s22, vcc_lo, s6
	v_cmp_eq_u32_e32 vcc_lo, 10, v20
	v_writelane_b32 v93, s8, 8
	s_and_b32 s8, s9, s6
	v_cmp_eq_u32_e64 s9, 6, v20
	s_and_b32 s20, s11, s6
	v_cmp_lt_u32_e64 s11, 9, v20
	v_writelane_b32 v93, s8, 9
	v_cmp_lt_u32_e64 s8, 5, v20
	s_and_b32 s53, s9, s6
	v_cmp_lt_u32_e64 s9, 8, v20
	v_dual_cndmask_b32 v21, v10, v5, s7 :: v_dual_bitop2_b32 v23, 31, v0 bitop3:0x40
	s_and_b32 s52, s8, s6
	v_cmp_eq_u32_e64 s8, 8, v20
	s_and_b32 s26, s9, s6
	v_cmp_eq_u32_e64 s9, 11, v20
	s_and_b32 s58, vcc_lo, s6
	v_cmp_lt_u32_e32 vcc_lo, 12, v20
	s_and_b32 s24, s8, s6
	v_cmp_lt_u32_e64 s8, 10, v20
	s_and_b32 s21, s9, s6
	v_cmp_lt_u32_e64 s9, 13, v20
	s_xor_b32 s89, s7, -1
	s_and_b32 s30, s11, s6
	s_and_b32 s59, s8, s6
	v_cmp_eq_u32_e64 s8, 13, v20
	v_cmp_eq_u32_e64 s11, 12, v20
	s_and_b32 s88, s9, s6
	v_cmp_gt_u32_e64 s7, 0x400, v28
	v_cmp_eq_u32_e64 s9, 0, v23
	s_and_b32 s29, s8, s6
	v_cmp_gt_u32_e64 s8, 16, v4
	s_and_b32 s27, vcc_lo, s6
	v_cmp_eq_u32_e32 vcc_lo, 15, v20
	s_and_b32 s25, s11, s6
	v_cmp_ne_u32_e64 s11, 0, v23
	s_and_b32 s42, s3, s8
	s_and_b32 s8, s9, s7
	s_and_b32 s41, vcc_lo, s6
	v_writelane_b32 v93, s8, 10
	v_cmp_eq_u32_e32 vcc_lo, 1, v23
	s_and_b32 s8, s11, s7
                                        ; implicit-def: $vgpr92 : SGPR spill to VGPR lane
                                        ; implicit-def: $vgpr91 : SGPR spill to VGPR lane
	v_cmp_eq_u32_e64 s10, 4, v20
	v_dual_lshrrev_b32 v25, 10, v0 :: v_dual_lshlrev_b32 v1, 2, v1
	v_writelane_b32 v93, s8, 11
	s_and_b32 s8, vcc_lo, s7
	v_cmp_lt_u32_e32 vcc_lo, 1, v23
	s_and_b32 s49, s10, s6
	v_cmp_lt_u32_e64 s10, 6, v20
	v_writelane_b32 v93, s8, 12
	v_lshrrev_b32_e32 v27, 1, v28
	s_and_b32 s8, vcc_lo, s7
	v_cmp_eq_u32_e32 vcc_lo, 2, v23
	s_and_b32 s54, s10, s6
	v_writelane_b32 v93, s8, 13
	v_cmp_eq_u32_e64 s10, 9, v20
	v_bitop3_b32 v30, v0, v25, 0x3ff bitop3:0xa8
	s_and_b32 s8, vcc_lo, s7
	v_cmp_lt_u32_e32 vcc_lo, 2, v23
	v_writelane_b32 v93, s8, 14
	s_and_b32 s28, s10, s6
	v_cmp_lt_u32_e64 s10, 11, v20
	v_lshrrev_b32_e32 v0, 2, v28
	s_and_b32 s8, vcc_lo, s7
	v_cmp_eq_u32_e32 vcc_lo, 3, v23
	v_writelane_b32 v93, s8, 15
	s_and_b32 s23, s10, s6
	v_cmp_eq_u32_e64 s10, 14, v20
	v_lshl_or_b32 v39, v27, 8, v1
	s_and_b32 s8, vcc_lo, s7
	v_cmp_lt_u32_e32 vcc_lo, 3, v23
	v_writelane_b32 v93, s8, 16
	v_dual_lshlrev_b32 v45, 2, v18 :: v_dual_bitop2_b32 v1, -4, v28 bitop3:0x40
	v_mul_u32_u24_e32 v41, 0x104, v0
	s_and_b32 s8, vcc_lo, s7
	v_cmp_eq_u32_e32 vcc_lo, 4, v23
	v_writelane_b32 v93, s8, 17
	s_load_b64 s[66:67], s[0:1], 0x50
	s_and_b32 s84, s10, s6
	s_wait_xcnt 0x0
	s_load_b32 s0, s[0:1], 0x28
	s_and_b32 s8, vcc_lo, s7
	v_cmp_lt_u32_e32 vcc_lo, 4, v23
	v_writelane_b32 v93, s8, 18
	v_dual_lshlrev_b32 v43, 8, v4 :: v_dual_sub_nc_u32 v18, v41, v1
	v_lshrrev_b32_e32 v25, 3, v28
	s_and_b32 s8, vcc_lo, s7
	v_cmp_eq_u32_e32 vcc_lo, 5, v23
	v_writelane_b32 v93, s8, 19
	v_lshl_or_b32 v48, v0, 8, v45
	v_add_nc_u32_e32 v49, v18, v45
	v_dual_lshlrev_b32 v0, 2, v25 :: v_dual_lshlrev_b32 v52, 2, v19
	s_and_b32 s8, vcc_lo, s7
	v_cmp_lt_u32_e32 vcc_lo, 5, v23
	v_writelane_b32 v93, s8, 20
	v_mul_u32_u24_e32 v51, 0x104, v25
	v_add_nc_u32_e32 v47, 0x4000, v1
	v_lshrrev_b32_e32 v1, 4, v28
	s_and_b32 s8, vcc_lo, s7
	v_cmp_eq_u32_e32 vcc_lo, 6, v23
	v_writelane_b32 v93, s8, 21
	v_sub_nc_u32_e32 v18, v51, v0
	v_dual_add_nc_u32 v14, s18, v4 :: v_dual_add_nc_u32 v3, s18, v2
	s_and_b32 s8, vcc_lo, s7
	v_cmp_lt_u32_e32 vcc_lo, 6, v23
	v_writelane_b32 v93, s8, 22
	v_add_nc_u32_e32 v54, 0x4000, v0
	v_add_nc_u32_e32 v57, v18, v52
	v_lshrrev_b32_e32 v18, 5, v28
	s_and_b32 s8, vcc_lo, s7
	v_cmp_eq_u32_e32 vcc_lo, 7, v23
	v_writelane_b32 v93, s8, 23
	v_lshlrev_b32_e32 v0, 2, v1
	v_mul_u32_u24_e32 v58, 0x104, v1
	v_add_nc_u64_e32 v[12:13], s[18:19], v[6:7]
	s_and_b32 s8, vcc_lo, s7
	v_cmp_lt_u32_e32 vcc_lo, 7, v23
	v_writelane_b32 v93, s8, 24
	v_dual_lshlrev_b32 v5, 2, v4 :: v_dual_add_nc_u32 v8, 64, v3
	v_ashrrev_i32_e32 v15, 31, v14
	s_and_b32 s8, vcc_lo, s7
	v_cmp_eq_u32_e32 vcc_lo, 8, v23
	v_writelane_b32 v93, s8, 25
	v_add_nc_u32_e32 v60, 0x4000, v0
	v_dual_lshlrev_b32 v61, 2, v20 :: v_dual_lshlrev_b32 v63, 8, v18
	s_and_b32 s8, vcc_lo, s7
	v_cmp_lt_u32_e32 vcc_lo, 8, v23
	v_writelane_b32 v93, s8, 26
	v_dual_sub_nc_u32 v0, v58, v0 :: v_dual_lshlrev_b32 v64, 2, v23
	v_ashrrev_i32_e32 v9, 31, v8
	s_and_b32 s8, vcc_lo, s7
	v_cmp_eq_u32_e32 vcc_lo, 9, v23
	v_writelane_b32 v93, s8, 27
	v_mul_u64_e32 v[10:11], s[60:61], v[14:15]
	v_lshl_or_b32 v65, v1, 8, v61
	v_dual_add_nc_u32 v66, v0, v61 :: v_dual_lshlrev_b32 v79, 2, v2
	s_and_b32 s8, vcc_lo, s7
	v_cmp_lt_u32_e32 vcc_lo, 9, v23
	v_writelane_b32 v93, s8, 28
	v_mul_u64_e32 v[0:1], s[68:69], v[14:15]
	v_add_nc_u32_e32 v15, 0x50, v3
	v_lshl_add_u32 v37, v27, 2, 0x4000
	s_and_b32 s8, vcc_lo, s7
	v_cmp_eq_u32_e32 vcc_lo, 10, v23
	v_writelane_b32 v93, s8, 29
	v_mul_u32_u24_e32 v40, 0x104, v27
	v_cmp_gt_u32_e64 s46, 0xf0, v28
                                        ; implicit-def: $vgpr90 : SGPR spill to VGPR lane
	v_mad_u32_u24 v32, 0xfc, v4, v5
	s_and_b32 s8, vcc_lo, s7
	v_cmp_lt_u32_e32 vcc_lo, 10, v23
	v_writelane_b32 v93, s8, 30
	v_lshl_or_b32 v55, v25, 8, v52
	v_mad_i32_i24 v33, 0xffffff04, v4, v32
	v_lshlrev_b32_e32 v62, 2, v18
	s_and_b32 s8, vcc_lo, s7
	v_cmp_eq_u32_e32 vcc_lo, 11, v23
	v_writelane_b32 v93, s8, 31
	v_mad_u32_u24 v34, 0xfc, v4, v33
	v_dual_lshlrev_b32 v76, 2, v17 :: v_dual_bitop2_b32 v68, v63, v64 bitop3:0x54
	s_and_b32 s8, vcc_lo, s7
	v_cmp_lt_u32_e32 vcc_lo, 11, v23
	v_writelane_b32 v92, s8, 0
	v_mad_i32_i24 v35, 0xffffff04, v4, v34
	v_mul_u64_e32 v[12:13], s[68:69], v[12:13]
	v_mul_i32_i24_e32 v31, 0xffffff04, v4
	s_and_b32 s8, vcc_lo, s7
	v_cmp_eq_u32_e32 vcc_lo, 12, v23
	v_writelane_b32 v92, s8, 1
	v_mad_u32_u24 v36, 0xfc, v4, v35
	v_or_b32_e32 v71, 0x5000, v79
	v_or_b32_e32 v86, v22, v4
	s_and_b32 s8, vcc_lo, s7
	v_cmp_lt_u32_e32 vcc_lo, 12, v23
	v_writelane_b32 v92, s8, 2
	v_mad_i32_i24 v38, 0xffffff04, v4, v36
	v_dual_add_nc_u32 v75, v71, v5 :: v_dual_bitop2_b32 v87, v26, v4 bitop3:0x54
	v_lshlrev_b32_e32 v77, 2, v29
	s_and_b32 s8, vcc_lo, s7
	v_cmp_eq_u32_e32 vcc_lo, 13, v23
	v_writelane_b32 v92, s8, 3
	v_mad_u32_u24 v42, 0xfc, v4, v38
	v_mad_i32_i24 v69, 0xffffff04, v4, v43
	s_add_nc_u64 s[76:77], s[56:57], s[12:13]
	s_and_b32 s8, vcc_lo, s7
	v_cmp_lt_u32_e32 vcc_lo, 13, v23
	v_writelane_b32 v92, s8, 4
	v_mad_i32_i24 v46, 0xffffff04, v4, v42
	s_add_nc_u64 s[64:65], s[64:65], s[14:15]
	v_mul_u32_u24_e32 v44, 0xfc, v4
	s_and_b32 s8, vcc_lo, s7
	v_cmp_eq_u32_e32 vcc_lo, 14, v23
	v_writelane_b32 v92, s8, 5
	v_mad_u32_u24 v50, 0xfc, v4, v46
	v_add_nc_u32_e32 v67, 0x4000, v62
	v_lshl_add_u32 v70, v6, 2, 0x5000
	s_and_b32 s8, vcc_lo, s7
	v_cmp_lt_u32_e32 vcc_lo, 14, v23
	v_writelane_b32 v92, s8, 6
	v_mad_i32_i24 v53, 0xffffff04, v4, v50
	v_lshl_add_u32 v72, v28, 2, 0x4000
	v_add_nc_u32_e32 v73, 0x4000, v5
	s_and_b32 s8, vcc_lo, s7
	v_cmp_eq_u32_e32 vcc_lo, 15, v23
	v_writelane_b32 v92, s8, 7
	v_mad_u32_u24 v56, 0xfc, v4, v53
	v_lshl_add_u32 v74, v2, 8, v69
	v_add_nc_u32_e32 v79, v43, v79
	s_and_b32 s8, vcc_lo, s7
	v_cmp_lt_u32_e32 vcc_lo, 15, v23
	v_writelane_b32 v92, s8, 8
	v_mad_i32_i24 v59, 0xffffff04, v4, v56
	v_subrev_nc_u32_e32 v81, 63, v4
	v_cmp_gt_u32_e64 s12, 2, v28
	s_and_b32 s8, vcc_lo, s7
	v_cmp_eq_u32_e32 vcc_lo, 16, v23
	v_writelane_b32 v92, s8, 9
	v_cmp_gt_u32_e64 s13, 12, v28
	v_cmp_gt_u32_e64 s14, 8, v28
	;; [unrolled: 1-line block ×3, first 2 shown]
	s_and_b32 s8, vcc_lo, s7
	v_cmp_lt_u32_e32 vcc_lo, 16, v23
	v_writelane_b32 v92, s8, 10
	v_cmp_gt_u32_e64 s19, 24, v28
	v_cmp_gt_u32_e64 s56, 64, v6
                                        ; implicit-def: $vgpr82
                                        ; implicit-def: $vgpr83
                                        ; implicit-def: $vgpr84
                                        ; implicit-def: $vgpr85
	v_mov_b32_e32 v27, v7
	s_and_b32 s8, vcc_lo, s7
	v_cmp_eq_u32_e32 vcc_lo, 17, v23
	v_writelane_b32 v92, s8, 11
	v_lshlrev_b32_e32 v78, 2, v21
	v_mul_u64_e32 v[18:19], s[60:61], v[26:27]
	v_or_b32_e32 v27, v24, v4
	s_and_b32 s8, vcc_lo, s7
	v_cmp_lt_u32_e32 vcc_lo, 17, v23
	v_writelane_b32 v92, s8, 12
	v_mov_b32_e32 v25, v7
	s_and_b32 s8, vcc_lo, s7
	v_cmp_eq_u32_e32 vcc_lo, 18, v23
	v_writelane_b32 v92, s8, 13
	s_delay_alu instid0(VALU_DEP_3)
	v_mul_u64_e32 v[20:21], s[60:61], v[24:25]
	v_mov_b32_e32 v25, 1.0
	s_and_b32 s8, vcc_lo, s7
	v_cmp_lt_u32_e32 vcc_lo, 18, v23
	v_writelane_b32 v92, s8, 14
	s_and_b32 s8, vcc_lo, s7
	v_cmp_eq_u32_e32 vcc_lo, 19, v23
	v_writelane_b32 v92, s8, 15
	s_and_b32 s8, vcc_lo, s7
	v_cmp_lt_u32_e32 vcc_lo, 19, v23
	v_writelane_b32 v92, s8, 16
	s_and_b32 s8, vcc_lo, s7
	v_cmp_eq_u32_e32 vcc_lo, 20, v23
	v_writelane_b32 v92, s8, 17
	s_and_b32 s8, vcc_lo, s7
	v_cmp_lt_u32_e32 vcc_lo, 20, v23
	v_writelane_b32 v92, s8, 18
	s_and_b32 s8, vcc_lo, s7
	v_cmp_eq_u32_e32 vcc_lo, 21, v23
	v_writelane_b32 v92, s8, 19
	s_and_b32 s8, vcc_lo, s7
	v_cmp_lt_u32_e32 vcc_lo, 21, v23
	v_writelane_b32 v92, s8, 20
	s_and_b32 s8, vcc_lo, s7
	v_cmp_eq_u32_e32 vcc_lo, 22, v23
	v_writelane_b32 v92, s8, 21
	s_and_b32 s8, vcc_lo, s7
	v_cmp_lt_u32_e32 vcc_lo, 22, v23
	v_writelane_b32 v92, s8, 22
	s_and_b32 s8, vcc_lo, s7
	v_cmp_eq_u32_e32 vcc_lo, 23, v23
	v_writelane_b32 v92, s8, 23
	s_and_b32 s8, vcc_lo, s7
	v_cmp_lt_u32_e32 vcc_lo, 23, v23
	v_writelane_b32 v92, s8, 24
	s_and_b32 s8, vcc_lo, s7
	v_cmp_eq_u32_e32 vcc_lo, 24, v23
	v_writelane_b32 v92, s8, 25
	s_and_b32 s8, vcc_lo, s7
	v_cmp_lt_u32_e32 vcc_lo, 24, v23
	v_writelane_b32 v92, s8, 26
	s_and_b32 s8, vcc_lo, s7
	v_cmp_eq_u32_e32 vcc_lo, 25, v23
	v_writelane_b32 v92, s8, 27
	s_and_b32 s8, vcc_lo, s7
	v_cmp_lt_u32_e32 vcc_lo, 25, v23
	v_writelane_b32 v92, s8, 28
	s_and_b32 s8, vcc_lo, s7
	v_cmp_eq_u32_e32 vcc_lo, 26, v23
	v_writelane_b32 v92, s8, 29
	s_and_b32 s8, vcc_lo, s7
	v_cmp_lt_u32_e32 vcc_lo, 26, v23
	v_writelane_b32 v92, s8, 30
	s_and_b32 s8, vcc_lo, s7
	v_cmp_eq_u32_e32 vcc_lo, 27, v23
	v_writelane_b32 v92, s8, 31
	s_and_b32 s8, vcc_lo, s7
	v_cmp_lt_u32_e32 vcc_lo, 27, v23
	v_writelane_b32 v91, s8, 0
	s_and_b32 s8, vcc_lo, s7
	v_cmp_eq_u32_e32 vcc_lo, 28, v23
	v_writelane_b32 v91, s8, 1
	s_and_b32 s8, vcc_lo, s7
	v_cmp_lt_u32_e32 vcc_lo, 28, v23
	v_writelane_b32 v91, s8, 2
	s_and_b32 s8, vcc_lo, s7
	v_cmp_eq_u32_e32 vcc_lo, 29, v23
	v_writelane_b32 v91, s8, 3
	s_and_b32 s8, vcc_lo, s7
	v_cmp_lt_u32_e32 vcc_lo, 29, v23
	v_writelane_b32 v91, s8, 4
	s_and_b32 s8, vcc_lo, s7
	v_cmp_eq_u32_e32 vcc_lo, 30, v23
	v_writelane_b32 v91, s8, 5
	s_and_b32 s8, vcc_lo, s7
	v_cmp_eq_u32_e32 vcc_lo, 31, v23
	v_writelane_b32 v91, s8, 6
	v_cmp_gt_u32_e64 s8, 32, v4
	v_mov_b32_e32 v23, v7
	s_and_b32 s43, vcc_lo, s7
	v_cmp_le_i32_e32 vcc_lo, s78, v4
	s_and_b32 s8, s3, s8
	s_delay_alu instid0(SALU_CYCLE_1) | instskip(SKIP_1) | instid1(SALU_CYCLE_1)
	v_writelane_b32 v91, s8, 7
	s_and_b32 s9, vcc_lo, s44
	s_xor_b32 s8, s9, -1
	v_writelane_b32 v91, s9, 8
	s_and_b32 s44, s3, s8
	v_cmp_le_i32_e64 s8, s78, v2
	s_cmp_gt_i32 s85, 0
	s_cselect_b32 s45, -1, 0
	s_wait_kmcnt 0x0
	v_writelane_b32 v91, s0, 9
	s_or_b32 s9, s8, vcc_lo
	v_cmp_le_i32_e64 s8, s78, v22
	s_add_co_i32 s57, s55, 1
	v_cmp_eq_u32_e64 s55, 0, v6
	s_or_b32 s10, s8, vcc_lo
	v_cmp_le_i32_e64 s8, s78, v26
	s_or_b32 s11, s8, vcc_lo
	v_cmp_le_i32_e64 s8, s78, v24
	s_or_b32 s18, s8, vcc_lo
	v_cmp_gt_i32_e32 vcc_lo, s78, v4
	s_lshl_b64 s[78:79], s[16:17], 2
	v_cmp_gt_u32_e64 s16, 48, v28
	v_cmp_gt_u32_e64 s17, 40, v28
	s_and_b32 s0, s3, vcc_lo
	v_cmp_gt_i32_e32 vcc_lo, s74, v8
	v_writelane_b32 v91, s0, 10
	v_cmp_gt_i32_e64 s0, s74, v14
	v_add_nc_u32_e32 v14, 0x60, v3
	s_and_b32 s1, vcc_lo, s0
	v_cmp_gt_i32_e32 vcc_lo, s74, v15
	v_writelane_b32 v91, s1, 11
	v_add_nc_u32_e32 v15, 0x70, v3
	v_mov_b32_e32 v3, v7
	s_and_b32 s1, vcc_lo, s0
	v_cmp_gt_i32_e32 vcc_lo, s74, v14
	v_writelane_b32 v91, s1, 12
	s_and_b32 s1, vcc_lo, s0
	v_cmp_gt_i32_e32 vcc_lo, s74, v15
	v_writelane_b32 v91, s1, 13
	v_mul_u64_e32 v[14:15], s[60:61], v[2:3]
	v_lshlrev_b32_e32 v3, 2, v16
	v_mul_u64_e32 v[16:17], s[60:61], v[22:23]
	s_and_b32 s1, vcc_lo, s0
	v_mad_u32_u24 v23, 0xfc, v4, v31
	v_writelane_b32 v91, s1, 14
	v_cmp_le_u32_e64 s1, v4, v2
	s_or_b32 s8, s9, s1
	s_delay_alu instid0(SALU_CYCLE_1) | instskip(SKIP_4) | instid1(SALU_CYCLE_1)
	v_writelane_b32 v91, s8, 15
	v_cmp_le_u32_e64 s8, v4, v22
	v_mul_lo_u32 v22, v23, 7
	v_mov_b32_e32 v23, v7
	s_or_b32 s9, s10, s8
	v_writelane_b32 v91, s9, 16
	v_cmp_le_u32_e64 s9, v4, v26
	s_delay_alu instid0(VALU_DEP_4)
	v_add3_u32 v80, v22, v5, 0x3c00
	s_or_b32 s10, s11, s9
	v_lshlrev_b32_e32 v22, 2, v4
	v_writelane_b32 v91, s10, 17
	v_cmp_le_u32_e64 s10, v4, v24
	s_or_b32 s11, s18, s10
	v_cmp_gt_u32_e64 s18, 32, v28
	v_writelane_b32 v91, s11, 18
	v_cmp_eq_u32_e64 s11, 0, v30
	v_writelane_b32 v91, s46, 19
	v_cmp_gt_u32_e64 s46, 0xe0, v28
	s_delay_alu instid0(VALU_DEP_1) | instskip(SKIP_1) | instid1(VALU_DEP_1)
	v_writelane_b32 v91, s46, 20
	v_cmp_gt_u32_e64 s46, 0xd0, v28
	v_writelane_b32 v91, s46, 21
	v_cmp_gt_u32_e64 s46, 0xc0, v28
	s_delay_alu instid0(VALU_DEP_1) | instskip(SKIP_1) | instid1(VALU_DEP_1)
	v_writelane_b32 v91, s46, 22
	v_cmp_gt_u32_e64 s46, 0xb0, v28
	;; [unrolled: 5-line block ×18, first 2 shown]
	v_writelane_b32 v90, s46, 23
	v_cmp_gt_u32_e64 s46, 64, v27
	s_delay_alu instid0(VALU_DEP_1)
	v_writelane_b32 v90, s46, 24
	s_branch .LBB21_3
.LBB21_2:                               ;   in Loop: Header=BB21_3 Depth=1
	s_wait_xcnt 0x0
	s_or_b32 exec_lo, exec_lo, s46
	v_readlane_b32 s46, v93, 0
	s_add_co_i32 s72, s72, 0x10000
	global_wb scope:SCOPE_DEV
	s_wait_storecnt 0x0
	global_inv scope:SCOPE_DEV
	s_cmp_lt_u32 s72, s46
	s_cbranch_scc0 .LBB21_1225
.LBB21_3:                               ; =>This Loop Header: Depth=1
                                        ;     Child Loop BB21_1094 Depth 2
                                        ;       Child Loop BB21_1096 Depth 3
                                        ;     Child Loop BB21_1131 Depth 2
	s_mul_u64 s[46:47], s[62:63], s[72:73]
	s_delay_alu instid0(SALU_CYCLE_1) | instskip(NEXT) | instid1(SALU_CYCLE_1)
	s_lshl_b64 s[46:47], s[46:47], 2
	s_add_nc_u64 s[80:81], s[76:77], s[46:47]
	v_readlane_b32 s46, v93, 1
	v_lshl_add_u64 v[26:27], v[10:11], 2, s[80:81]
	s_and_not1_b32 vcc_lo, exec_lo, s46
	s_cbranch_vccnz .LBB21_13
; %bb.4:                                ;   in Loop: Header=BB21_3 Depth=1
	s_delay_alu instid0(VALU_DEP_1)
	v_lshl_add_u64 v[28:29], v[8:9], 2, v[26:27]
	v_dual_mov_b32 v83, 0 :: v_dual_mov_b32 v82, 0
	s_barrier_signal -1
	s_barrier_wait -1
	s_mov_b32 s46, exec_lo
	v_readlane_b32 s47, v91, 11
	s_and_b32 s47, s46, s47
	s_delay_alu instid0(SALU_CYCLE_1)
	s_mov_b32 exec_lo, s47
	s_cbranch_execz .LBB21_6
; %bb.5:                                ;   in Loop: Header=BB21_3 Depth=1
	global_load_b32 v82, v[28:29], off
.LBB21_6:                               ;   in Loop: Header=BB21_3 Depth=1
	s_wait_xcnt 0x0
	s_or_b32 exec_lo, exec_lo, s46
	s_wait_loadcnt 0x0
	s_barrier_signal -1
	s_barrier_wait -1
	s_mov_b32 s46, exec_lo
	v_readlane_b32 s47, v91, 12
	s_and_b32 s47, s46, s47
	s_delay_alu instid0(SALU_CYCLE_1)
	s_mov_b32 exec_lo, s47
	s_cbranch_execz .LBB21_8
; %bb.7:                                ;   in Loop: Header=BB21_3 Depth=1
	global_load_b32 v83, v[28:29], off offset:64
.LBB21_8:                               ;   in Loop: Header=BB21_3 Depth=1
	s_wait_xcnt 0x0
	s_or_b32 exec_lo, exec_lo, s46
	v_dual_mov_b32 v85, 0 :: v_dual_mov_b32 v84, 0
	s_wait_loadcnt 0x0
	s_barrier_signal -1
	s_barrier_wait -1
	s_mov_b32 s46, exec_lo
	v_readlane_b32 s47, v91, 13
	s_and_b32 s47, s46, s47
	s_delay_alu instid0(SALU_CYCLE_1)
	s_mov_b32 exec_lo, s47
	s_cbranch_execz .LBB21_10
; %bb.9:                                ;   in Loop: Header=BB21_3 Depth=1
	global_load_b32 v84, v[28:29], off offset:128
.LBB21_10:                              ;   in Loop: Header=BB21_3 Depth=1
	s_wait_xcnt 0x0
	s_or_b32 exec_lo, exec_lo, s46
	s_wait_loadcnt 0x0
	s_barrier_signal -1
	s_barrier_wait -1
	s_mov_b32 s46, exec_lo
	v_readlane_b32 s47, v91, 14
	s_and_b32 s47, s46, s47
	s_delay_alu instid0(SALU_CYCLE_1)
	s_mov_b32 exec_lo, s47
	s_cbranch_execz .LBB21_12
; %bb.11:                               ;   in Loop: Header=BB21_3 Depth=1
	global_load_b32 v85, v[28:29], off offset:192
.LBB21_12:                              ;   in Loop: Header=BB21_3 Depth=1
	s_wait_xcnt 0x0
	s_or_b32 exec_lo, exec_lo, s46
.LBB21_13:                              ;   in Loop: Header=BB21_3 Depth=1
	s_add_nc_u64 s[46:47], s[80:81], s[78:79]
	s_and_not1_b32 vcc_lo, exec_lo, s87
	v_add_nc_u64_e32 v[28:29], s[46:47], v[22:23]
	s_mov_b32 s46, -1
	s_cbranch_vccnz .LBB21_24
; %bb.14:                               ;   in Loop: Header=BB21_3 Depth=1
	s_and_saveexec_b32 s46, s1
	s_delay_alu instid0(SALU_CYCLE_1)
	s_xor_b32 s46, exec_lo, s46
	s_cbranch_execnz .LBB21_1153
; %bb.15:                               ;   in Loop: Header=BB21_3 Depth=1
	s_and_not1_saveexec_b32 s46, s46
	s_cbranch_execnz .LBB21_1156
.LBB21_16:                              ;   in Loop: Header=BB21_3 Depth=1
	s_or_b32 exec_lo, exec_lo, s46
	s_and_saveexec_b32 s46, s8
	s_delay_alu instid0(SALU_CYCLE_1)
	s_xor_b32 s46, exec_lo, s46
	s_cbranch_execnz .LBB21_1157
.LBB21_17:                              ;   in Loop: Header=BB21_3 Depth=1
	s_and_not1_saveexec_b32 s46, s46
	s_cbranch_execnz .LBB21_1160
.LBB21_18:                              ;   in Loop: Header=BB21_3 Depth=1
	s_or_b32 exec_lo, exec_lo, s46
	s_and_saveexec_b32 s46, s9
	s_delay_alu instid0(SALU_CYCLE_1)
	s_xor_b32 s46, exec_lo, s46
	s_cbranch_execnz .LBB21_1161
.LBB21_19:                              ;   in Loop: Header=BB21_3 Depth=1
	s_and_not1_saveexec_b32 s46, s46
	s_cbranch_execnz .LBB21_1164
.LBB21_20:                              ;   in Loop: Header=BB21_3 Depth=1
	s_or_b32 exec_lo, exec_lo, s46
	s_and_saveexec_b32 s46, s10
	s_delay_alu instid0(SALU_CYCLE_1)
	s_xor_b32 s46, exec_lo, s46
	s_cbranch_execnz .LBB21_1165
.LBB21_21:                              ;   in Loop: Header=BB21_3 Depth=1
	s_and_not1_saveexec_b32 s46, s46
	s_cbranch_execz .LBB21_23
.LBB21_22:                              ;   in Loop: Header=BB21_3 Depth=1
	v_lshl_add_u64 v[30:31], v[20:21], 2, v[28:29]
	global_load_b32 v24, v[30:31], off
	s_wait_loadcnt 0x0
	v_xor_b32_e32 v24, 0x80000000, v24
	ds_store_b32 v78, v24
.LBB21_23:                              ;   in Loop: Header=BB21_3 Depth=1
	s_or_b32 exec_lo, exec_lo, s46
	s_mov_b32 s46, 0
.LBB21_24:                              ;   in Loop: Header=BB21_3 Depth=1
	s_delay_alu instid0(SALU_CYCLE_1)
	s_and_b32 vcc_lo, exec_lo, s46
	s_cbranch_vccz .LBB21_50
; %bb.25:                               ;   in Loop: Header=BB21_3 Depth=1
	s_mov_b32 s46, exec_lo
	v_readlane_b32 s47, v91, 15
	s_and_b32 s47, s46, s47
	s_delay_alu instid0(SALU_CYCLE_1)
	s_xor_b32 s46, s47, s46
	s_mov_b32 exec_lo, s47
	s_cbranch_execz .LBB21_29
; %bb.26:                               ;   in Loop: Header=BB21_3 Depth=1
	s_mov_b32 s47, exec_lo
	v_readlane_b32 s48, v90, 21
	s_and_b32 s48, s47, s48
	s_delay_alu instid0(SALU_CYCLE_1)
	s_mov_b32 exec_lo, s48
; %bb.27:                               ;   in Loop: Header=BB21_3 Depth=1
	ds_store_b32 v79, v7
; %bb.28:                               ;   in Loop: Header=BB21_3 Depth=1
	s_or_b32 exec_lo, exec_lo, s47
.LBB21_29:                              ;   in Loop: Header=BB21_3 Depth=1
	s_and_not1_saveexec_b32 s46, s46
	s_cbranch_execz .LBB21_31
; %bb.30:                               ;   in Loop: Header=BB21_3 Depth=1
	v_lshl_add_u64 v[30:31], v[14:15], 2, v[28:29]
	global_load_b32 v24, v[30:31], off
	s_wait_loadcnt 0x0
	v_xor_b32_e32 v24, 0x80000000, v24
	ds_store_b32 v79, v24
.LBB21_31:                              ;   in Loop: Header=BB21_3 Depth=1
	s_or_b32 exec_lo, exec_lo, s46
	s_delay_alu instid0(SALU_CYCLE_1) | instskip(SKIP_2) | instid1(SALU_CYCLE_1)
	s_mov_b32 s46, exec_lo
	v_readlane_b32 s47, v91, 16
	s_and_b32 s47, s46, s47
	s_xor_b32 s46, s47, s46
	s_mov_b32 exec_lo, s47
	s_cbranch_execz .LBB21_35
; %bb.32:                               ;   in Loop: Header=BB21_3 Depth=1
	s_mov_b32 s47, exec_lo
	v_readlane_b32 s48, v90, 22
	s_and_b32 s48, s47, s48
	s_delay_alu instid0(SALU_CYCLE_1)
	s_mov_b32 exec_lo, s48
; %bb.33:                               ;   in Loop: Header=BB21_3 Depth=1
	ds_store_b32 v3, v7
; %bb.34:                               ;   in Loop: Header=BB21_3 Depth=1
	s_or_b32 exec_lo, exec_lo, s47
.LBB21_35:                              ;   in Loop: Header=BB21_3 Depth=1
	s_and_not1_saveexec_b32 s46, s46
	s_cbranch_execz .LBB21_37
; %bb.36:                               ;   in Loop: Header=BB21_3 Depth=1
	v_lshl_add_u64 v[30:31], v[16:17], 2, v[28:29]
	global_load_b32 v24, v[30:31], off
	s_wait_loadcnt 0x0
	v_xor_b32_e32 v24, 0x80000000, v24
	ds_store_b32 v3, v24
.LBB21_37:                              ;   in Loop: Header=BB21_3 Depth=1
	s_or_b32 exec_lo, exec_lo, s46
	s_delay_alu instid0(SALU_CYCLE_1) | instskip(SKIP_2) | instid1(SALU_CYCLE_1)
	s_mov_b32 s46, exec_lo
	v_readlane_b32 s47, v91, 17
	s_and_b32 s47, s46, s47
	s_xor_b32 s46, s47, s46
	s_mov_b32 exec_lo, s47
	s_cbranch_execz .LBB21_41
; %bb.38:                               ;   in Loop: Header=BB21_3 Depth=1
	s_mov_b32 s47, exec_lo
	v_readlane_b32 s48, v90, 23
	s_and_b32 s48, s47, s48
	s_delay_alu instid0(SALU_CYCLE_1)
	s_mov_b32 exec_lo, s48
; %bb.39:                               ;   in Loop: Header=BB21_3 Depth=1
	ds_store_b32 v77, v7
; %bb.40:                               ;   in Loop: Header=BB21_3 Depth=1
	s_or_b32 exec_lo, exec_lo, s47
.LBB21_41:                              ;   in Loop: Header=BB21_3 Depth=1
	s_and_not1_saveexec_b32 s46, s46
	s_cbranch_execz .LBB21_43
; %bb.42:                               ;   in Loop: Header=BB21_3 Depth=1
	v_lshl_add_u64 v[30:31], v[18:19], 2, v[28:29]
	global_load_b32 v24, v[30:31], off
	s_wait_loadcnt 0x0
	v_xor_b32_e32 v24, 0x80000000, v24
	ds_store_b32 v77, v24
.LBB21_43:                              ;   in Loop: Header=BB21_3 Depth=1
	s_or_b32 exec_lo, exec_lo, s46
	s_delay_alu instid0(SALU_CYCLE_1) | instskip(SKIP_2) | instid1(SALU_CYCLE_1)
	s_mov_b32 s46, exec_lo
	v_readlane_b32 s47, v91, 18
	s_and_b32 s47, s46, s47
	s_xor_b32 s46, s47, s46
	s_mov_b32 exec_lo, s47
	s_cbranch_execz .LBB21_47
; %bb.44:                               ;   in Loop: Header=BB21_3 Depth=1
	s_mov_b32 s47, exec_lo
	v_readlane_b32 s48, v90, 24
	s_and_b32 s48, s47, s48
	s_delay_alu instid0(SALU_CYCLE_1)
	s_mov_b32 exec_lo, s48
; %bb.45:                               ;   in Loop: Header=BB21_3 Depth=1
	ds_store_b32 v78, v7
; %bb.46:                               ;   in Loop: Header=BB21_3 Depth=1
	s_or_b32 exec_lo, exec_lo, s47
                                        ; implicit-def: $vgpr28_vgpr29
.LBB21_47:                              ;   in Loop: Header=BB21_3 Depth=1
	s_and_not1_saveexec_b32 s46, s46
	s_cbranch_execz .LBB21_49
; %bb.48:                               ;   in Loop: Header=BB21_3 Depth=1
	v_lshl_add_u64 v[28:29], v[20:21], 2, v[28:29]
	global_load_b32 v24, v[28:29], off
	s_wait_loadcnt 0x0
	v_xor_b32_e32 v24, 0x80000000, v24
	ds_store_b32 v78, v24
.LBB21_49:                              ;   in Loop: Header=BB21_3 Depth=1
	s_or_b32 exec_lo, exec_lo, s46
.LBB21_50:                              ;   in Loop: Header=BB21_3 Depth=1
	s_delay_alu instid0(SALU_CYCLE_1)
	s_and_not1_b32 vcc_lo, exec_lo, s89
	s_wait_loadcnt_dscnt 0x0
	s_barrier_signal -1
	s_barrier_wait -1
	s_cbranch_vccnz .LBB21_1088
; %bb.51:                               ;   in Loop: Header=BB21_3 Depth=1
	s_and_saveexec_b32 s46, s11
	s_cbranch_execz .LBB21_53
; %bb.52:                               ;   in Loop: Header=BB21_3 Depth=1
	ds_load_b32 v24, v7 offset:4
	ds_store_b32 v7, v25
	s_wait_dscnt 0x1
	ds_store_b64 v7, v[24:25] offset:256
.LBB21_53:                              ;   in Loop: Header=BB21_3 Depth=1
	s_or_b32 exec_lo, exec_lo, s46
	v_mov_b32_e32 v24, 0
	s_wait_dscnt 0x0
	s_barrier_signal -1
	s_barrier_wait -1
	s_and_saveexec_b32 s46, s2
	s_cbranch_execz .LBB21_57
; %bb.54:                               ;   in Loop: Header=BB21_3 Depth=1
	ds_load_b32 v24, v39 offset:8
	ds_load_b32 v28, v40
	s_wait_dscnt 0x0
	v_fma_f32 v24, v24, v28, 0
	s_and_saveexec_b32 s47, s12
	s_cbranch_execz .LBB21_56
; %bb.55:                               ;   in Loop: Header=BB21_3 Depth=1
	ds_load_b32 v28, v5 offset:264
	ds_load_b32 v29, v7 offset:4
	s_wait_dscnt 0x0
	v_fmac_f32_e32 v24, v28, v29
.LBB21_56:                              ;   in Loop: Header=BB21_3 Depth=1
	s_or_b32 exec_lo, exec_lo, s47
	s_delay_alu instid0(VALU_DEP_1)
	v_xor_b32_e32 v24, 0x80000000, v24
.LBB21_57:                              ;   in Loop: Header=BB21_3 Depth=1
	s_or_b32 exec_lo, exec_lo, s46
	s_and_saveexec_b32 s46, s90
; %bb.58:                               ;   in Loop: Header=BB21_3 Depth=1
	ds_store_b32 v37, v24
; %bb.59:                               ;   in Loop: Header=BB21_3 Depth=1
	s_or_b32 exec_lo, exec_lo, s46
	s_wait_dscnt 0x0
	s_barrier_signal -1
	s_barrier_wait -1
	s_and_saveexec_b32 s46, s91
	s_cbranch_execz .LBB21_61
; %bb.60:                               ;   in Loop: Header=BB21_3 Depth=1
	ds_load_b32 v28, v7 offset:524
	ds_load_b32 v29, v37
	s_wait_dscnt 0x0
	v_fmac_f32_e32 v24, v28, v29
.LBB21_61:                              ;   in Loop: Header=BB21_3 Depth=1
	s_or_b32 exec_lo, exec_lo, s46
	s_barrier_signal -1
	s_barrier_wait -1
	s_and_saveexec_b32 s46, s91
; %bb.62:                               ;   in Loop: Header=BB21_3 Depth=1
	ds_store_b32 v37, v24
; %bb.63:                               ;   in Loop: Header=BB21_3 Depth=1
	s_or_b32 exec_lo, exec_lo, s46
	s_wait_dscnt 0x0
	s_barrier_signal -1
	s_barrier_wait -1
	s_barrier_signal -1
	s_barrier_wait -1
	s_and_saveexec_b32 s46, s2
; %bb.64:                               ;   in Loop: Header=BB21_3 Depth=1
	v_xor_b32_e32 v24, 0x80000000, v24
	ds_store_b32 v39, v24 offset:8
; %bb.65:                               ;   in Loop: Header=BB21_3 Depth=1
	s_or_b32 exec_lo, exec_lo, s46
	s_wait_dscnt 0x0
	s_barrier_signal -1
	s_barrier_wait -1
	s_barrier_signal -1
	s_barrier_wait -1
	s_and_saveexec_b32 s46, s92
	s_cbranch_execz .LBB21_67
; %bb.66:                               ;   in Loop: Header=BB21_3 Depth=1
	ds_load_b32 v24, v32 offset:8
	s_wait_dscnt 0x0
	ds_store_b32 v5, v24 offset:512
	ds_load_b32 v24, v32 offset:12
	s_wait_dscnt 0x0
	ds_store_b32 v5, v24 offset:768
.LBB21_67:                              ;   in Loop: Header=BB21_3 Depth=1
	s_or_b32 exec_lo, exec_lo, s46
	s_wait_dscnt 0x0
	s_barrier_signal -1
	s_barrier_wait -1
	s_and_saveexec_b32 s46, s11
	s_cbranch_execz .LBB21_69
; %bb.68:                               ;   in Loop: Header=BB21_3 Depth=1
	ds_load_b32 v24, v7 offset:524
	ds_store_b32 v7, v25 offset:520
	s_wait_dscnt 0x1
	ds_store_b64 v7, v[24:25] offset:776
.LBB21_69:                              ;   in Loop: Header=BB21_3 Depth=1
	s_or_b32 exec_lo, exec_lo, s46
	v_mov_b32_e32 v24, 0
	s_wait_dscnt 0x0
	s_barrier_signal -1
	s_barrier_wait -1
	s_and_saveexec_b32 s61, s4
	s_cbranch_execz .LBB21_75
; %bb.70:                               ;   in Loop: Header=BB21_3 Depth=1
	ds_load_b32 v24, v48 offset:16
	ds_load_b32 v28, v41
	s_wait_dscnt 0x0
	v_fma_f32 v24, v24, v28, 0
	s_and_saveexec_b32 s46, s13
	s_cbranch_execnz .LBB21_1175
; %bb.71:                               ;   in Loop: Header=BB21_3 Depth=1
	s_or_b32 exec_lo, exec_lo, s46
	s_and_saveexec_b32 s46, s14
	s_cbranch_execnz .LBB21_1176
.LBB21_72:                              ;   in Loop: Header=BB21_3 Depth=1
	s_or_b32 exec_lo, exec_lo, s46
	s_and_saveexec_b32 s46, s2
	s_cbranch_execz .LBB21_74
.LBB21_73:                              ;   in Loop: Header=BB21_3 Depth=1
	ds_load_b32 v28, v33 offset:784
	ds_load_b32 v29, v7 offset:12
	s_wait_dscnt 0x0
	v_fmac_f32_e32 v24, v28, v29
.LBB21_74:                              ;   in Loop: Header=BB21_3 Depth=1
	s_or_b32 exec_lo, exec_lo, s46
	s_delay_alu instid0(VALU_DEP_1)
	v_xor_b32_e32 v24, 0x80000000, v24
.LBB21_75:                              ;   in Loop: Header=BB21_3 Depth=1
	s_or_b32 exec_lo, exec_lo, s61
	s_and_saveexec_b32 s46, s93
; %bb.76:                               ;   in Loop: Header=BB21_3 Depth=1
	ds_store_b32 v47, v24
; %bb.77:                               ;   in Loop: Header=BB21_3 Depth=1
	s_or_b32 exec_lo, exec_lo, s46
	s_wait_dscnt 0x0
	s_barrier_signal -1
	s_barrier_wait -1
	s_and_saveexec_b32 s46, s94
	s_cbranch_execz .LBB21_79
; %bb.78:                               ;   in Loop: Header=BB21_3 Depth=1
	ds_load_b32 v28, v45 offset:1040
	ds_load_b32 v29, v47
	s_wait_dscnt 0x0
	v_fmac_f32_e32 v24, v28, v29
.LBB21_79:                              ;   in Loop: Header=BB21_3 Depth=1
	s_or_b32 exec_lo, exec_lo, s46
	s_barrier_signal -1
	s_barrier_wait -1
	s_and_saveexec_b32 s46, s95
; %bb.80:                               ;   in Loop: Header=BB21_3 Depth=1
	ds_store_b32 v47, v24
; %bb.81:                               ;   in Loop: Header=BB21_3 Depth=1
	s_or_b32 exec_lo, exec_lo, s46
	s_wait_dscnt 0x0
	s_barrier_signal -1
	s_barrier_wait -1
	s_and_saveexec_b32 s46, s96
	s_cbranch_execz .LBB21_83
; %bb.82:                               ;   in Loop: Header=BB21_3 Depth=1
	ds_load_b32 v28, v45 offset:1296
	ds_load_b32 v29, v47
	s_wait_dscnt 0x0
	v_fmac_f32_e32 v24, v28, v29
.LBB21_83:                              ;   in Loop: Header=BB21_3 Depth=1
	s_or_b32 exec_lo, exec_lo, s46
	s_barrier_signal -1
	s_barrier_wait -1
	;; [unrolled: 19-line block ×3, first 2 shown]
	s_and_saveexec_b32 s46, s98
; %bb.88:                               ;   in Loop: Header=BB21_3 Depth=1
	ds_store_b32 v47, v24
; %bb.89:                               ;   in Loop: Header=BB21_3 Depth=1
	s_or_b32 exec_lo, exec_lo, s46
	s_wait_dscnt 0x0
	s_barrier_signal -1
	s_barrier_wait -1
	s_barrier_signal -1
	s_barrier_wait -1
	s_and_saveexec_b32 s46, s4
; %bb.90:                               ;   in Loop: Header=BB21_3 Depth=1
	v_xor_b32_e32 v24, 0x80000000, v24
	ds_store_b32 v48, v24 offset:16
; %bb.91:                               ;   in Loop: Header=BB21_3 Depth=1
	s_or_b32 exec_lo, exec_lo, s46
	s_wait_dscnt 0x0
	s_barrier_signal -1
	s_barrier_wait -1
	s_barrier_signal -1
	s_barrier_wait -1
	s_and_saveexec_b32 s46, s99
	s_cbranch_execz .LBB21_93
; %bb.92:                               ;   in Loop: Header=BB21_3 Depth=1
	ds_load_b32 v24, v34 offset:16
	s_wait_dscnt 0x0
	ds_store_b32 v35, v24 offset:1024
	ds_load_b32 v24, v34 offset:20
	s_wait_dscnt 0x0
	ds_store_b32 v35, v24 offset:1280
	;; [unrolled: 3-line block ×4, first 2 shown]
.LBB21_93:                              ;   in Loop: Header=BB21_3 Depth=1
	s_or_b32 exec_lo, exec_lo, s46
	s_wait_dscnt 0x0
	s_barrier_signal -1
	s_barrier_wait -1
	s_and_saveexec_b32 s46, s11
	s_cbranch_execz .LBB21_95
; %bb.94:                               ;   in Loop: Header=BB21_3 Depth=1
	ds_load_b32 v24, v7 offset:1044
	ds_store_b32 v7, v25 offset:1040
	s_wait_dscnt 0x1
	ds_store_b64 v7, v[24:25] offset:1296
.LBB21_95:                              ;   in Loop: Header=BB21_3 Depth=1
	s_or_b32 exec_lo, exec_lo, s46
	v_mov_b32_e32 v24, 0
	s_wait_dscnt 0x0
	s_barrier_signal -1
	s_barrier_wait -1
	s_and_saveexec_b32 s46, s2
	s_cbranch_execz .LBB21_99
; %bb.96:                               ;   in Loop: Header=BB21_3 Depth=1
	ds_load_b32 v24, v39 offset:1048
	ds_load_b32 v28, v40 offset:1040
	s_wait_dscnt 0x0
	v_fma_f32 v24, v24, v28, 0
	s_and_saveexec_b32 s47, s12
	s_cbranch_execz .LBB21_98
; %bb.97:                               ;   in Loop: Header=BB21_3 Depth=1
	ds_load_b32 v28, v35 offset:1304
	ds_load_b32 v29, v7 offset:1044
	s_wait_dscnt 0x0
	v_fmac_f32_e32 v24, v28, v29
.LBB21_98:                              ;   in Loop: Header=BB21_3 Depth=1
	s_or_b32 exec_lo, exec_lo, s47
	s_delay_alu instid0(VALU_DEP_1)
	v_xor_b32_e32 v24, 0x80000000, v24
.LBB21_99:                              ;   in Loop: Header=BB21_3 Depth=1
	s_or_b32 exec_lo, exec_lo, s46
	s_and_saveexec_b32 s46, s90
; %bb.100:                              ;   in Loop: Header=BB21_3 Depth=1
	ds_store_b32 v37, v24
; %bb.101:                              ;   in Loop: Header=BB21_3 Depth=1
	s_or_b32 exec_lo, exec_lo, s46
	s_wait_dscnt 0x0
	s_barrier_signal -1
	s_barrier_wait -1
	s_and_saveexec_b32 s46, s91
	s_cbranch_execz .LBB21_103
; %bb.102:                              ;   in Loop: Header=BB21_3 Depth=1
	ds_load_b32 v28, v7 offset:1564
	ds_load_b32 v29, v37
	s_wait_dscnt 0x0
	v_fmac_f32_e32 v24, v28, v29
.LBB21_103:                             ;   in Loop: Header=BB21_3 Depth=1
	s_or_b32 exec_lo, exec_lo, s46
	s_barrier_signal -1
	s_barrier_wait -1
	s_and_saveexec_b32 s46, s91
; %bb.104:                              ;   in Loop: Header=BB21_3 Depth=1
	ds_store_b32 v37, v24
; %bb.105:                              ;   in Loop: Header=BB21_3 Depth=1
	s_or_b32 exec_lo, exec_lo, s46
	s_wait_dscnt 0x0
	s_barrier_signal -1
	s_barrier_wait -1
	s_barrier_signal -1
	s_barrier_wait -1
	s_and_saveexec_b32 s46, s2
; %bb.106:                              ;   in Loop: Header=BB21_3 Depth=1
	v_xor_b32_e32 v24, 0x80000000, v24
	ds_store_b32 v39, v24 offset:1048
; %bb.107:                              ;   in Loop: Header=BB21_3 Depth=1
	s_or_b32 exec_lo, exec_lo, s46
	s_wait_dscnt 0x0
	s_barrier_signal -1
	s_barrier_wait -1
	s_barrier_signal -1
	s_barrier_wait -1
	s_and_saveexec_b32 s46, s92
	s_cbranch_execz .LBB21_109
; %bb.108:                              ;   in Loop: Header=BB21_3 Depth=1
	ds_load_b32 v24, v36 offset:1048
	s_wait_dscnt 0x0
	ds_store_b32 v35, v24 offset:1552
	ds_load_b32 v24, v36 offset:1052
	s_wait_dscnt 0x0
	ds_store_b32 v35, v24 offset:1808
.LBB21_109:                             ;   in Loop: Header=BB21_3 Depth=1
	s_or_b32 exec_lo, exec_lo, s46
	s_wait_dscnt 0x0
	s_barrier_signal -1
	s_barrier_wait -1
	s_and_saveexec_b32 s46, s11
	s_cbranch_execz .LBB21_111
; %bb.110:                              ;   in Loop: Header=BB21_3 Depth=1
	ds_load_b32 v24, v7 offset:1564
	ds_store_b32 v7, v25 offset:1560
	s_wait_dscnt 0x1
	ds_store_b64 v7, v[24:25] offset:1816
.LBB21_111:                             ;   in Loop: Header=BB21_3 Depth=1
	s_or_b32 exec_lo, exec_lo, s46
	v_mov_b32_e32 v24, 0
	s_wait_dscnt 0x0
	s_barrier_signal -1
	s_barrier_wait -1
	s_and_saveexec_b32 s61, s5
	s_cbranch_execz .LBB21_121
; %bb.112:                              ;   in Loop: Header=BB21_3 Depth=1
	ds_load_b32 v24, v55 offset:32
	ds_load_b32 v28, v51
	s_wait_dscnt 0x0
	v_fma_f32 v24, v24, v28, 0
	s_and_saveexec_b32 s46, s15
	s_cbranch_execnz .LBB21_1177
; %bb.113:                              ;   in Loop: Header=BB21_3 Depth=1
	s_or_b32 exec_lo, exec_lo, s46
	s_and_saveexec_b32 s46, s16
	s_cbranch_execnz .LBB21_1178
.LBB21_114:                             ;   in Loop: Header=BB21_3 Depth=1
	s_or_b32 exec_lo, exec_lo, s46
	s_and_saveexec_b32 s46, s17
	s_cbranch_execnz .LBB21_1179
.LBB21_115:                             ;   in Loop: Header=BB21_3 Depth=1
	s_or_b32 exec_lo, exec_lo, s46
	s_and_saveexec_b32 s46, s18
	s_cbranch_execnz .LBB21_1180
.LBB21_116:                             ;   in Loop: Header=BB21_3 Depth=1
	s_or_b32 exec_lo, exec_lo, s46
	s_and_saveexec_b32 s46, s19
	s_cbranch_execnz .LBB21_1181
.LBB21_117:                             ;   in Loop: Header=BB21_3 Depth=1
	s_or_b32 exec_lo, exec_lo, s46
	s_and_saveexec_b32 s46, s4
	s_cbranch_execnz .LBB21_1182
.LBB21_118:                             ;   in Loop: Header=BB21_3 Depth=1
	s_or_b32 exec_lo, exec_lo, s46
	s_and_saveexec_b32 s46, s14
	s_cbranch_execz .LBB21_120
.LBB21_119:                             ;   in Loop: Header=BB21_3 Depth=1
	ds_load_b32 v28, v38 offset:1824
	ds_load_b32 v29, v7 offset:28
	s_wait_dscnt 0x0
	v_fmac_f32_e32 v24, v28, v29
.LBB21_120:                             ;   in Loop: Header=BB21_3 Depth=1
	s_or_b32 exec_lo, exec_lo, s46
	s_delay_alu instid0(VALU_DEP_1)
	v_xor_b32_e32 v24, 0x80000000, v24
.LBB21_121:                             ;   in Loop: Header=BB21_3 Depth=1
	s_or_b32 exec_lo, exec_lo, s61
	s_and_saveexec_b32 s46, s100
; %bb.122:                              ;   in Loop: Header=BB21_3 Depth=1
	ds_store_b32 v54, v24
; %bb.123:                              ;   in Loop: Header=BB21_3 Depth=1
	s_or_b32 exec_lo, exec_lo, s46
	s_wait_dscnt 0x0
	s_barrier_signal -1
	s_barrier_wait -1
	s_and_saveexec_b32 s46, s101
	s_cbranch_execz .LBB21_125
; %bb.124:                              ;   in Loop: Header=BB21_3 Depth=1
	ds_load_b32 v28, v52 offset:2080
	ds_load_b32 v29, v54
	s_wait_dscnt 0x0
	v_fmac_f32_e32 v24, v28, v29
.LBB21_125:                             ;   in Loop: Header=BB21_3 Depth=1
	s_or_b32 exec_lo, exec_lo, s46
	s_barrier_signal -1
	s_barrier_wait -1
	s_and_saveexec_b32 s46, s102
; %bb.126:                              ;   in Loop: Header=BB21_3 Depth=1
	ds_store_b32 v54, v24
; %bb.127:                              ;   in Loop: Header=BB21_3 Depth=1
	s_or_b32 exec_lo, exec_lo, s46
	s_wait_dscnt 0x0
	s_barrier_signal -1
	s_barrier_wait -1
	s_and_saveexec_b32 s46, s103
	s_cbranch_execz .LBB21_129
; %bb.128:                              ;   in Loop: Header=BB21_3 Depth=1
	ds_load_b32 v28, v52 offset:2336
	ds_load_b32 v29, v54
	s_wait_dscnt 0x0
	v_fmac_f32_e32 v24, v28, v29
.LBB21_129:                             ;   in Loop: Header=BB21_3 Depth=1
	s_or_b32 exec_lo, exec_lo, s46
	s_barrier_signal -1
	s_barrier_wait -1
	s_and_saveexec_b32 s46, s104
; %bb.130:                              ;   in Loop: Header=BB21_3 Depth=1
	ds_store_b32 v54, v24
; %bb.131:                              ;   in Loop: Header=BB21_3 Depth=1
	s_or_b32 exec_lo, exec_lo, s46
	s_wait_dscnt 0x0
	s_barrier_signal -1
	s_barrier_wait -1
	s_and_saveexec_b32 s46, vcc_hi
	s_cbranch_execz .LBB21_133
; %bb.132:                              ;   in Loop: Header=BB21_3 Depth=1
	ds_load_b32 v28, v52 offset:2592
	ds_load_b32 v29, v54
	s_wait_dscnt 0x0
	v_fmac_f32_e32 v24, v28, v29
.LBB21_133:                             ;   in Loop: Header=BB21_3 Depth=1
	s_or_b32 exec_lo, exec_lo, s46
	s_barrier_signal -1
	s_barrier_wait -1
	s_and_saveexec_b32 s46, s31
; %bb.134:                              ;   in Loop: Header=BB21_3 Depth=1
	ds_store_b32 v54, v24
; %bb.135:                              ;   in Loop: Header=BB21_3 Depth=1
	s_or_b32 exec_lo, exec_lo, s46
	s_wait_dscnt 0x0
	s_barrier_signal -1
	s_barrier_wait -1
	s_and_saveexec_b32 s46, s33
	s_cbranch_execz .LBB21_137
; %bb.136:                              ;   in Loop: Header=BB21_3 Depth=1
	ds_load_b32 v28, v52 offset:2848
	ds_load_b32 v29, v54
	s_wait_dscnt 0x0
	v_fmac_f32_e32 v24, v28, v29
.LBB21_137:                             ;   in Loop: Header=BB21_3 Depth=1
	s_or_b32 exec_lo, exec_lo, s46
	s_barrier_signal -1
	s_barrier_wait -1
	s_and_saveexec_b32 s46, s34
; %bb.138:                              ;   in Loop: Header=BB21_3 Depth=1
	ds_store_b32 v54, v24
; %bb.139:                              ;   in Loop: Header=BB21_3 Depth=1
	s_or_b32 exec_lo, exec_lo, s46
	s_wait_dscnt 0x0
	s_barrier_signal -1
	s_barrier_wait -1
	s_and_saveexec_b32 s46, s35
	;; [unrolled: 19-line block ×4, first 2 shown]
	s_cbranch_execz .LBB21_149
; %bb.148:                              ;   in Loop: Header=BB21_3 Depth=1
	ds_load_b32 v28, v7 offset:3644
	ds_load_b32 v29, v54
	s_wait_dscnt 0x0
	v_fmac_f32_e32 v24, v28, v29
.LBB21_149:                             ;   in Loop: Header=BB21_3 Depth=1
	s_or_b32 exec_lo, exec_lo, s46
	s_barrier_signal -1
	s_barrier_wait -1
	s_and_saveexec_b32 s46, s39
; %bb.150:                              ;   in Loop: Header=BB21_3 Depth=1
	ds_store_b32 v54, v24
; %bb.151:                              ;   in Loop: Header=BB21_3 Depth=1
	s_or_b32 exec_lo, exec_lo, s46
	s_wait_dscnt 0x0
	s_barrier_signal -1
	s_barrier_wait -1
	s_barrier_signal -1
	s_barrier_wait -1
	s_and_saveexec_b32 s46, s5
; %bb.152:                              ;   in Loop: Header=BB21_3 Depth=1
	v_xor_b32_e32 v24, 0x80000000, v24
	ds_store_b32 v55, v24 offset:32
; %bb.153:                              ;   in Loop: Header=BB21_3 Depth=1
	s_or_b32 exec_lo, exec_lo, s46
	s_wait_dscnt 0x0
	s_barrier_signal -1
	s_barrier_wait -1
	s_barrier_signal -1
	s_barrier_wait -1
	s_and_saveexec_b32 s46, s40
	s_cbranch_execz .LBB21_155
; %bb.154:                              ;   in Loop: Header=BB21_3 Depth=1
	ds_load_b32 v24, v42 offset:32
	s_wait_dscnt 0x0
	ds_store_b32 v46, v24 offset:2048
	ds_load_b32 v24, v42 offset:36
	s_wait_dscnt 0x0
	ds_store_b32 v46, v24 offset:2304
	;; [unrolled: 3-line block ×8, first 2 shown]
.LBB21_155:                             ;   in Loop: Header=BB21_3 Depth=1
	s_or_b32 exec_lo, exec_lo, s46
	s_wait_dscnt 0x0
	s_barrier_signal -1
	s_barrier_wait -1
	s_and_saveexec_b32 s46, s11
	s_cbranch_execz .LBB21_157
; %bb.156:                              ;   in Loop: Header=BB21_3 Depth=1
	ds_load_b32 v24, v7 offset:2084
	ds_store_b32 v7, v25 offset:2080
	s_wait_dscnt 0x1
	ds_store_b64 v7, v[24:25] offset:2336
.LBB21_157:                             ;   in Loop: Header=BB21_3 Depth=1
	s_or_b32 exec_lo, exec_lo, s46
	v_mov_b32_e32 v24, 0
	s_wait_dscnt 0x0
	s_barrier_signal -1
	s_barrier_wait -1
	s_and_saveexec_b32 s46, s2
	s_cbranch_execz .LBB21_161
; %bb.158:                              ;   in Loop: Header=BB21_3 Depth=1
	ds_load_b32 v24, v39 offset:2088
	ds_load_b32 v28, v40 offset:2080
	s_wait_dscnt 0x0
	v_fma_f32 v24, v24, v28, 0
	s_and_saveexec_b32 s47, s12
	s_cbranch_execz .LBB21_160
; %bb.159:                              ;   in Loop: Header=BB21_3 Depth=1
	ds_load_b32 v28, v46 offset:2344
	ds_load_b32 v29, v7 offset:2084
	s_wait_dscnt 0x0
	v_fmac_f32_e32 v24, v28, v29
.LBB21_160:                             ;   in Loop: Header=BB21_3 Depth=1
	s_or_b32 exec_lo, exec_lo, s47
	s_delay_alu instid0(VALU_DEP_1)
	v_xor_b32_e32 v24, 0x80000000, v24
.LBB21_161:                             ;   in Loop: Header=BB21_3 Depth=1
	s_or_b32 exec_lo, exec_lo, s46
	s_and_saveexec_b32 s46, s90
; %bb.162:                              ;   in Loop: Header=BB21_3 Depth=1
	ds_store_b32 v37, v24
; %bb.163:                              ;   in Loop: Header=BB21_3 Depth=1
	s_or_b32 exec_lo, exec_lo, s46
	s_wait_dscnt 0x0
	s_barrier_signal -1
	s_barrier_wait -1
	s_and_saveexec_b32 s46, s91
	s_cbranch_execz .LBB21_165
; %bb.164:                              ;   in Loop: Header=BB21_3 Depth=1
	ds_load_b32 v28, v7 offset:2604
	ds_load_b32 v29, v37
	s_wait_dscnt 0x0
	v_fmac_f32_e32 v24, v28, v29
.LBB21_165:                             ;   in Loop: Header=BB21_3 Depth=1
	s_or_b32 exec_lo, exec_lo, s46
	s_barrier_signal -1
	s_barrier_wait -1
	s_and_saveexec_b32 s46, s91
; %bb.166:                              ;   in Loop: Header=BB21_3 Depth=1
	ds_store_b32 v37, v24
; %bb.167:                              ;   in Loop: Header=BB21_3 Depth=1
	s_or_b32 exec_lo, exec_lo, s46
	s_wait_dscnt 0x0
	s_barrier_signal -1
	s_barrier_wait -1
	s_barrier_signal -1
	s_barrier_wait -1
	s_and_saveexec_b32 s46, s2
; %bb.168:                              ;   in Loop: Header=BB21_3 Depth=1
	v_xor_b32_e32 v24, 0x80000000, v24
	ds_store_b32 v39, v24 offset:2088
; %bb.169:                              ;   in Loop: Header=BB21_3 Depth=1
	s_or_b32 exec_lo, exec_lo, s46
	s_wait_dscnt 0x0
	s_barrier_signal -1
	s_barrier_wait -1
	s_barrier_signal -1
	s_barrier_wait -1
	s_and_saveexec_b32 s46, s92
	s_cbranch_execz .LBB21_171
; %bb.170:                              ;   in Loop: Header=BB21_3 Depth=1
	ds_load_b32 v24, v50 offset:2088
	s_wait_dscnt 0x0
	ds_store_b32 v46, v24 offset:2592
	ds_load_b32 v24, v50 offset:2092
	s_wait_dscnt 0x0
	ds_store_b32 v46, v24 offset:2848
.LBB21_171:                             ;   in Loop: Header=BB21_3 Depth=1
	s_or_b32 exec_lo, exec_lo, s46
	s_wait_dscnt 0x0
	s_barrier_signal -1
	s_barrier_wait -1
	s_and_saveexec_b32 s46, s11
	s_cbranch_execz .LBB21_173
; %bb.172:                              ;   in Loop: Header=BB21_3 Depth=1
	ds_load_b32 v24, v7 offset:2604
	ds_store_b32 v7, v25 offset:2600
	s_wait_dscnt 0x1
	ds_store_b64 v7, v[24:25] offset:2856
.LBB21_173:                             ;   in Loop: Header=BB21_3 Depth=1
	s_or_b32 exec_lo, exec_lo, s46
	v_mov_b32_e32 v24, 0
	s_wait_dscnt 0x0
	s_barrier_signal -1
	s_barrier_wait -1
	s_and_saveexec_b32 s61, s4
	s_cbranch_execz .LBB21_179
; %bb.174:                              ;   in Loop: Header=BB21_3 Depth=1
	ds_load_b32 v24, v48 offset:2096
	ds_load_b32 v28, v41 offset:2080
	s_wait_dscnt 0x0
	v_fma_f32 v24, v24, v28, 0
	s_and_saveexec_b32 s46, s13
	s_cbranch_execnz .LBB21_1183
; %bb.175:                              ;   in Loop: Header=BB21_3 Depth=1
	s_or_b32 exec_lo, exec_lo, s46
	s_and_saveexec_b32 s46, s14
	s_cbranch_execnz .LBB21_1184
.LBB21_176:                             ;   in Loop: Header=BB21_3 Depth=1
	s_or_b32 exec_lo, exec_lo, s46
	s_and_saveexec_b32 s46, s2
	s_cbranch_execz .LBB21_178
.LBB21_177:                             ;   in Loop: Header=BB21_3 Depth=1
	ds_load_b32 v28, v53 offset:2864
	ds_load_b32 v29, v7 offset:2092
	s_wait_dscnt 0x0
	v_fmac_f32_e32 v24, v28, v29
.LBB21_178:                             ;   in Loop: Header=BB21_3 Depth=1
	s_or_b32 exec_lo, exec_lo, s46
	s_delay_alu instid0(VALU_DEP_1)
	v_xor_b32_e32 v24, 0x80000000, v24
.LBB21_179:                             ;   in Loop: Header=BB21_3 Depth=1
	s_or_b32 exec_lo, exec_lo, s61
	s_and_saveexec_b32 s46, s93
; %bb.180:                              ;   in Loop: Header=BB21_3 Depth=1
	ds_store_b32 v47, v24
; %bb.181:                              ;   in Loop: Header=BB21_3 Depth=1
	s_or_b32 exec_lo, exec_lo, s46
	s_wait_dscnt 0x0
	s_barrier_signal -1
	s_barrier_wait -1
	s_and_saveexec_b32 s46, s94
	s_cbranch_execz .LBB21_183
; %bb.182:                              ;   in Loop: Header=BB21_3 Depth=1
	ds_load_b32 v28, v45 offset:3120
	ds_load_b32 v29, v47
	s_wait_dscnt 0x0
	v_fmac_f32_e32 v24, v28, v29
.LBB21_183:                             ;   in Loop: Header=BB21_3 Depth=1
	s_or_b32 exec_lo, exec_lo, s46
	s_barrier_signal -1
	s_barrier_wait -1
	s_and_saveexec_b32 s46, s95
; %bb.184:                              ;   in Loop: Header=BB21_3 Depth=1
	ds_store_b32 v47, v24
; %bb.185:                              ;   in Loop: Header=BB21_3 Depth=1
	s_or_b32 exec_lo, exec_lo, s46
	s_wait_dscnt 0x0
	s_barrier_signal -1
	s_barrier_wait -1
	s_and_saveexec_b32 s46, s96
	s_cbranch_execz .LBB21_187
; %bb.186:                              ;   in Loop: Header=BB21_3 Depth=1
	ds_load_b32 v28, v45 offset:3376
	ds_load_b32 v29, v47
	s_wait_dscnt 0x0
	v_fmac_f32_e32 v24, v28, v29
.LBB21_187:                             ;   in Loop: Header=BB21_3 Depth=1
	s_or_b32 exec_lo, exec_lo, s46
	s_barrier_signal -1
	s_barrier_wait -1
	;; [unrolled: 19-line block ×3, first 2 shown]
	s_and_saveexec_b32 s46, s98
; %bb.192:                              ;   in Loop: Header=BB21_3 Depth=1
	ds_store_b32 v47, v24
; %bb.193:                              ;   in Loop: Header=BB21_3 Depth=1
	s_or_b32 exec_lo, exec_lo, s46
	s_wait_dscnt 0x0
	s_barrier_signal -1
	s_barrier_wait -1
	s_barrier_signal -1
	s_barrier_wait -1
	s_and_saveexec_b32 s46, s4
; %bb.194:                              ;   in Loop: Header=BB21_3 Depth=1
	v_xor_b32_e32 v24, 0x80000000, v24
	ds_store_b32 v48, v24 offset:2096
; %bb.195:                              ;   in Loop: Header=BB21_3 Depth=1
	s_or_b32 exec_lo, exec_lo, s46
	s_wait_dscnt 0x0
	s_barrier_signal -1
	s_barrier_wait -1
	s_barrier_signal -1
	s_barrier_wait -1
	s_and_saveexec_b32 s46, s99
	s_cbranch_execz .LBB21_197
; %bb.196:                              ;   in Loop: Header=BB21_3 Depth=1
	ds_load_b32 v24, v56 offset:2096
	s_wait_dscnt 0x0
	ds_store_b32 v59, v24 offset:3104
	ds_load_b32 v24, v56 offset:2100
	s_wait_dscnt 0x0
	ds_store_b32 v59, v24 offset:3360
	;; [unrolled: 3-line block ×4, first 2 shown]
.LBB21_197:                             ;   in Loop: Header=BB21_3 Depth=1
	s_or_b32 exec_lo, exec_lo, s46
	s_wait_dscnt 0x0
	s_barrier_signal -1
	s_barrier_wait -1
	s_and_saveexec_b32 s46, s11
	s_cbranch_execz .LBB21_199
; %bb.198:                              ;   in Loop: Header=BB21_3 Depth=1
	ds_load_b32 v24, v7 offset:3124
	ds_store_b32 v7, v25 offset:3120
	s_wait_dscnt 0x1
	ds_store_b64 v7, v[24:25] offset:3376
.LBB21_199:                             ;   in Loop: Header=BB21_3 Depth=1
	s_or_b32 exec_lo, exec_lo, s46
	v_mov_b32_e32 v24, 0
	s_wait_dscnt 0x0
	s_barrier_signal -1
	s_barrier_wait -1
	s_and_saveexec_b32 s46, s2
	s_cbranch_execz .LBB21_203
; %bb.200:                              ;   in Loop: Header=BB21_3 Depth=1
	ds_load_b32 v24, v39 offset:3128
	ds_load_b32 v28, v40 offset:3120
	s_wait_dscnt 0x0
	v_fma_f32 v24, v24, v28, 0
	s_and_saveexec_b32 s47, s12
	s_cbranch_execz .LBB21_202
; %bb.201:                              ;   in Loop: Header=BB21_3 Depth=1
	ds_load_b32 v28, v59 offset:3384
	ds_load_b32 v29, v7 offset:3124
	s_wait_dscnt 0x0
	v_fmac_f32_e32 v24, v28, v29
.LBB21_202:                             ;   in Loop: Header=BB21_3 Depth=1
	s_or_b32 exec_lo, exec_lo, s47
	s_delay_alu instid0(VALU_DEP_1)
	v_xor_b32_e32 v24, 0x80000000, v24
.LBB21_203:                             ;   in Loop: Header=BB21_3 Depth=1
	s_or_b32 exec_lo, exec_lo, s46
	s_and_saveexec_b32 s46, s90
; %bb.204:                              ;   in Loop: Header=BB21_3 Depth=1
	ds_store_b32 v37, v24
; %bb.205:                              ;   in Loop: Header=BB21_3 Depth=1
	s_or_b32 exec_lo, exec_lo, s46
	s_wait_dscnt 0x0
	s_barrier_signal -1
	s_barrier_wait -1
	s_and_saveexec_b32 s46, s91
	s_cbranch_execz .LBB21_207
; %bb.206:                              ;   in Loop: Header=BB21_3 Depth=1
	ds_load_b32 v28, v7 offset:3644
	ds_load_b32 v29, v37
	s_wait_dscnt 0x0
	v_fmac_f32_e32 v24, v28, v29
.LBB21_207:                             ;   in Loop: Header=BB21_3 Depth=1
	s_or_b32 exec_lo, exec_lo, s46
	s_barrier_signal -1
	s_barrier_wait -1
	s_and_saveexec_b32 s46, s91
; %bb.208:                              ;   in Loop: Header=BB21_3 Depth=1
	ds_store_b32 v37, v24
; %bb.209:                              ;   in Loop: Header=BB21_3 Depth=1
	s_or_b32 exec_lo, exec_lo, s46
	s_wait_dscnt 0x0
	s_barrier_signal -1
	s_barrier_wait -1
	s_barrier_signal -1
	s_barrier_wait -1
	s_and_saveexec_b32 s46, s2
; %bb.210:                              ;   in Loop: Header=BB21_3 Depth=1
	v_xor_b32_e32 v24, 0x80000000, v24
	ds_store_b32 v39, v24 offset:3128
; %bb.211:                              ;   in Loop: Header=BB21_3 Depth=1
	s_or_b32 exec_lo, exec_lo, s46
	s_wait_dscnt 0x0
	s_barrier_signal -1
	s_barrier_wait -1
	s_barrier_signal -1
	s_barrier_wait -1
	s_and_saveexec_b32 s46, s92
	s_cbranch_execz .LBB21_213
; %bb.212:                              ;   in Loop: Header=BB21_3 Depth=1
	v_add_nc_u32_e32 v24, v59, v44
	ds_load_b32 v28, v24 offset:3128
	s_wait_dscnt 0x0
	ds_store_b32 v59, v28 offset:3632
	ds_load_b32 v24, v24 offset:3132
	s_wait_dscnt 0x0
	ds_store_b32 v59, v24 offset:3888
.LBB21_213:                             ;   in Loop: Header=BB21_3 Depth=1
	s_or_b32 exec_lo, exec_lo, s46
	s_wait_dscnt 0x0
	s_barrier_signal -1
	s_barrier_wait -1
	s_and_saveexec_b32 s46, s11
	s_cbranch_execz .LBB21_215
; %bb.214:                              ;   in Loop: Header=BB21_3 Depth=1
	ds_load_b32 v24, v7 offset:3644
	ds_store_b32 v7, v25 offset:3640
	s_wait_dscnt 0x1
	ds_store_b64 v7, v[24:25] offset:3896
.LBB21_215:                             ;   in Loop: Header=BB21_3 Depth=1
	s_or_b32 exec_lo, exec_lo, s46
	v_mov_b32_e32 v24, 0
	s_wait_dscnt 0x0
	s_barrier_signal -1
	s_barrier_wait -1
	s_and_saveexec_b32 s61, s6
	s_cbranch_execz .LBB21_243
; %bb.216:                              ;   in Loop: Header=BB21_3 Depth=1
	ds_load_b32 v24, v65 offset:64
	ds_load_b32 v28, v58
	s_wait_dscnt 0x0
	v_fma_f32 v24, v24, v28, 0
	s_mov_b32 s46, exec_lo
	v_readlane_b32 s47, v91, 19
	s_and_b32 s47, s46, s47
	s_delay_alu instid0(SALU_CYCLE_1)
	s_mov_b32 exec_lo, s47
	s_cbranch_execz .LBB21_218
; %bb.217:                              ;   in Loop: Header=BB21_3 Depth=1
	ds_load_b32 v28, v66 offset:320
	ds_load_b32 v29, v58 offset:4
	s_wait_dscnt 0x0
	v_fmac_f32_e32 v24, v28, v29
.LBB21_218:                             ;   in Loop: Header=BB21_3 Depth=1
	s_or_b32 exec_lo, exec_lo, s46
	s_delay_alu instid0(SALU_CYCLE_1) | instskip(SKIP_2) | instid1(SALU_CYCLE_1)
	s_mov_b32 s46, exec_lo
	v_readlane_b32 s47, v91, 20
	s_and_b32 s47, s46, s47
	s_mov_b32 exec_lo, s47
	s_cbranch_execz .LBB21_220
; %bb.219:                              ;   in Loop: Header=BB21_3 Depth=1
	ds_load_b32 v28, v66 offset:576
	ds_load_b32 v29, v58 offset:8
	s_wait_dscnt 0x0
	v_fmac_f32_e32 v24, v28, v29
.LBB21_220:                             ;   in Loop: Header=BB21_3 Depth=1
	s_or_b32 exec_lo, exec_lo, s46
	s_delay_alu instid0(SALU_CYCLE_1) | instskip(SKIP_2) | instid1(SALU_CYCLE_1)
	s_mov_b32 s46, exec_lo
	v_readlane_b32 s47, v91, 21
	s_and_b32 s47, s46, s47
	;; [unrolled: 13-line block ×10, first 2 shown]
	s_mov_b32 exec_lo, s47
	s_cbranch_execnz .LBB21_1185
; %bb.237:                              ;   in Loop: Header=BB21_3 Depth=1
	s_or_b32 exec_lo, exec_lo, s46
	s_and_saveexec_b32 s46, s5
	s_cbranch_execnz .LBB21_1186
.LBB21_238:                             ;   in Loop: Header=BB21_3 Depth=1
	s_or_b32 exec_lo, exec_lo, s46
	s_and_saveexec_b32 s46, s16
	s_cbranch_execnz .LBB21_1187
.LBB21_239:                             ;   in Loop: Header=BB21_3 Depth=1
	s_or_b32 exec_lo, exec_lo, s46
	s_and_saveexec_b32 s46, s18
	s_cbranch_execnz .LBB21_1188
.LBB21_240:                             ;   in Loop: Header=BB21_3 Depth=1
	s_or_b32 exec_lo, exec_lo, s46
	s_and_saveexec_b32 s46, s4
	s_cbranch_execz .LBB21_242
.LBB21_241:                             ;   in Loop: Header=BB21_3 Depth=1
	ds_load_b32 v28, v5 offset:3904
	ds_load_b32 v29, v7 offset:60
	s_wait_dscnt 0x0
	v_fmac_f32_e32 v24, v28, v29
.LBB21_242:                             ;   in Loop: Header=BB21_3 Depth=1
	s_or_b32 exec_lo, exec_lo, s46
	s_delay_alu instid0(VALU_DEP_1)
	v_xor_b32_e32 v24, 0x80000000, v24
.LBB21_243:                             ;   in Loop: Header=BB21_3 Depth=1
	s_or_b32 exec_lo, exec_lo, s61
	s_delay_alu instid0(SALU_CYCLE_1) | instskip(SKIP_2) | instid1(SALU_CYCLE_1)
	s_mov_b32 s46, exec_lo
	v_readlane_b32 s47, v93, 2
	s_and_b32 s47, s46, s47
	s_mov_b32 exec_lo, s47
; %bb.244:                              ;   in Loop: Header=BB21_3 Depth=1
	ds_store_b32 v60, v24
; %bb.245:                              ;   in Loop: Header=BB21_3 Depth=1
	s_or_b32 exec_lo, exec_lo, s46
	s_wait_dscnt 0x0
	s_barrier_signal -1
	s_barrier_wait -1
	s_mov_b32 s46, exec_lo
	v_readlane_b32 s47, v93, 3
	s_and_b32 s47, s46, s47
	s_delay_alu instid0(SALU_CYCLE_1)
	s_mov_b32 exec_lo, s47
	s_cbranch_execz .LBB21_247
; %bb.246:                              ;   in Loop: Header=BB21_3 Depth=1
	ds_load_b32 v28, v61 offset:4160
	ds_load_b32 v29, v60
	s_wait_dscnt 0x0
	v_fmac_f32_e32 v24, v28, v29
.LBB21_247:                             ;   in Loop: Header=BB21_3 Depth=1
	s_or_b32 exec_lo, exec_lo, s46
	s_barrier_signal -1
	s_barrier_wait -1
	s_mov_b32 s46, exec_lo
	v_readlane_b32 s47, v93, 4
	s_and_b32 s47, s46, s47
	s_delay_alu instid0(SALU_CYCLE_1)
	s_mov_b32 exec_lo, s47
; %bb.248:                              ;   in Loop: Header=BB21_3 Depth=1
	ds_store_b32 v60, v24
; %bb.249:                              ;   in Loop: Header=BB21_3 Depth=1
	s_or_b32 exec_lo, exec_lo, s46
	s_wait_dscnt 0x0
	s_barrier_signal -1
	s_barrier_wait -1
	s_mov_b32 s46, exec_lo
	v_readlane_b32 s47, v93, 5
	s_and_b32 s47, s46, s47
	s_delay_alu instid0(SALU_CYCLE_1)
	s_mov_b32 exec_lo, s47
	s_cbranch_execz .LBB21_251
; %bb.250:                              ;   in Loop: Header=BB21_3 Depth=1
	ds_load_b32 v28, v61 offset:4416
	ds_load_b32 v29, v60
	s_wait_dscnt 0x0
	v_fmac_f32_e32 v24, v28, v29
.LBB21_251:                             ;   in Loop: Header=BB21_3 Depth=1
	s_or_b32 exec_lo, exec_lo, s46
	s_barrier_signal -1
	s_barrier_wait -1
	s_mov_b32 s46, exec_lo
	v_readlane_b32 s47, v93, 6
	s_and_b32 s47, s46, s47
	s_delay_alu instid0(SALU_CYCLE_1)
	;; [unrolled: 27-line block ×3, first 2 shown]
	s_mov_b32 exec_lo, s47
; %bb.256:                              ;   in Loop: Header=BB21_3 Depth=1
	ds_store_b32 v60, v24
; %bb.257:                              ;   in Loop: Header=BB21_3 Depth=1
	s_or_b32 exec_lo, exec_lo, s46
	s_wait_dscnt 0x0
	s_barrier_signal -1
	s_barrier_wait -1
	s_mov_b32 s46, exec_lo
	v_readlane_b32 s47, v93, 9
	s_and_b32 s47, s46, s47
	s_delay_alu instid0(SALU_CYCLE_1)
	s_mov_b32 exec_lo, s47
	s_cbranch_execz .LBB21_259
; %bb.258:                              ;   in Loop: Header=BB21_3 Depth=1
	ds_load_b32 v28, v61 offset:4928
	ds_load_b32 v29, v60
	s_wait_dscnt 0x0
	v_fmac_f32_e32 v24, v28, v29
.LBB21_259:                             ;   in Loop: Header=BB21_3 Depth=1
	s_or_b32 exec_lo, exec_lo, s46
	s_barrier_signal -1
	s_barrier_wait -1
	s_and_saveexec_b32 s46, s49
; %bb.260:                              ;   in Loop: Header=BB21_3 Depth=1
	ds_store_b32 v60, v24
; %bb.261:                              ;   in Loop: Header=BB21_3 Depth=1
	s_or_b32 exec_lo, exec_lo, s46
	s_wait_dscnt 0x0
	s_barrier_signal -1
	s_barrier_wait -1
	s_and_saveexec_b32 s46, s50
	s_cbranch_execz .LBB21_263
; %bb.262:                              ;   in Loop: Header=BB21_3 Depth=1
	ds_load_b32 v28, v61 offset:5184
	ds_load_b32 v29, v60
	s_wait_dscnt 0x0
	v_fmac_f32_e32 v24, v28, v29
.LBB21_263:                             ;   in Loop: Header=BB21_3 Depth=1
	s_or_b32 exec_lo, exec_lo, s46
	s_barrier_signal -1
	s_barrier_wait -1
	s_and_saveexec_b32 s46, s51
; %bb.264:                              ;   in Loop: Header=BB21_3 Depth=1
	ds_store_b32 v60, v24
; %bb.265:                              ;   in Loop: Header=BB21_3 Depth=1
	s_or_b32 exec_lo, exec_lo, s46
	s_wait_dscnt 0x0
	s_barrier_signal -1
	s_barrier_wait -1
	s_and_saveexec_b32 s46, s52
	;; [unrolled: 19-line block ×11, first 2 shown]
	s_cbranch_execz .LBB21_303
; %bb.302:                              ;   in Loop: Header=BB21_3 Depth=1
	ds_load_b32 v28, v7 offset:7804
	ds_load_b32 v29, v60
	s_wait_dscnt 0x0
	v_fmac_f32_e32 v24, v28, v29
.LBB21_303:                             ;   in Loop: Header=BB21_3 Depth=1
	s_or_b32 exec_lo, exec_lo, s46
	s_barrier_signal -1
	s_barrier_wait -1
	s_and_saveexec_b32 s46, s41
; %bb.304:                              ;   in Loop: Header=BB21_3 Depth=1
	ds_store_b32 v60, v24
; %bb.305:                              ;   in Loop: Header=BB21_3 Depth=1
	s_or_b32 exec_lo, exec_lo, s46
	s_wait_dscnt 0x0
	s_barrier_signal -1
	s_barrier_wait -1
	s_barrier_signal -1
	s_barrier_wait -1
	s_and_saveexec_b32 s46, s6
; %bb.306:                              ;   in Loop: Header=BB21_3 Depth=1
	v_xor_b32_e32 v24, 0x80000000, v24
	ds_store_b32 v65, v24 offset:64
; %bb.307:                              ;   in Loop: Header=BB21_3 Depth=1
	s_or_b32 exec_lo, exec_lo, s46
	s_wait_dscnt 0x0
	s_barrier_signal -1
	s_barrier_wait -1
	s_barrier_signal -1
	s_barrier_wait -1
	s_and_saveexec_b32 s60, s42
	s_cbranch_execz .LBB21_309
; %bb.308:                              ;   in Loop: Header=BB21_3 Depth=1
	ds_load_b32 v24, v32 offset:64
	s_wait_dscnt 0x0
	ds_store_b32 v33, v24 offset:4096
	ds_load_b32 v24, v32 offset:68
	s_wait_dscnt 0x0
	ds_store_b32 v33, v24 offset:4352
	;; [unrolled: 3-line block ×16, first 2 shown]
.LBB21_309:                             ;   in Loop: Header=BB21_3 Depth=1
	s_or_b32 exec_lo, exec_lo, s60
	s_wait_dscnt 0x0
	s_barrier_signal -1
	s_barrier_wait -1
	s_and_saveexec_b32 s46, s11
	s_cbranch_execz .LBB21_311
; %bb.310:                              ;   in Loop: Header=BB21_3 Depth=1
	ds_load_b32 v24, v7 offset:4164
	ds_store_b32 v7, v25 offset:4160
	s_wait_dscnt 0x1
	ds_store_b64 v7, v[24:25] offset:4416
.LBB21_311:                             ;   in Loop: Header=BB21_3 Depth=1
	s_or_b32 exec_lo, exec_lo, s46
	v_mov_b32_e32 v24, 0
	s_wait_dscnt 0x0
	s_barrier_signal -1
	s_barrier_wait -1
	s_and_saveexec_b32 s46, s2
	s_cbranch_execz .LBB21_315
; %bb.312:                              ;   in Loop: Header=BB21_3 Depth=1
	ds_load_b32 v24, v39 offset:4168
	ds_load_b32 v28, v40 offset:4160
	s_wait_dscnt 0x0
	v_fma_f32 v24, v24, v28, 0
	s_and_saveexec_b32 s47, s12
	s_cbranch_execz .LBB21_314
; %bb.313:                              ;   in Loop: Header=BB21_3 Depth=1
	ds_load_b32 v28, v5 offset:4424
	ds_load_b32 v29, v7 offset:4164
	s_wait_dscnt 0x0
	v_fmac_f32_e32 v24, v28, v29
.LBB21_314:                             ;   in Loop: Header=BB21_3 Depth=1
	s_or_b32 exec_lo, exec_lo, s47
	s_delay_alu instid0(VALU_DEP_1)
	v_xor_b32_e32 v24, 0x80000000, v24
.LBB21_315:                             ;   in Loop: Header=BB21_3 Depth=1
	s_or_b32 exec_lo, exec_lo, s46
	s_and_saveexec_b32 s46, s90
; %bb.316:                              ;   in Loop: Header=BB21_3 Depth=1
	ds_store_b32 v37, v24
; %bb.317:                              ;   in Loop: Header=BB21_3 Depth=1
	s_or_b32 exec_lo, exec_lo, s46
	s_wait_dscnt 0x0
	s_barrier_signal -1
	s_barrier_wait -1
	s_and_saveexec_b32 s46, s91
	s_cbranch_execz .LBB21_319
; %bb.318:                              ;   in Loop: Header=BB21_3 Depth=1
	ds_load_b32 v28, v7 offset:4684
	ds_load_b32 v29, v37
	s_wait_dscnt 0x0
	v_fmac_f32_e32 v24, v28, v29
.LBB21_319:                             ;   in Loop: Header=BB21_3 Depth=1
	s_or_b32 exec_lo, exec_lo, s46
	s_barrier_signal -1
	s_barrier_wait -1
	s_and_saveexec_b32 s46, s91
; %bb.320:                              ;   in Loop: Header=BB21_3 Depth=1
	ds_store_b32 v37, v24
; %bb.321:                              ;   in Loop: Header=BB21_3 Depth=1
	s_or_b32 exec_lo, exec_lo, s46
	s_wait_dscnt 0x0
	s_barrier_signal -1
	s_barrier_wait -1
	s_barrier_signal -1
	s_barrier_wait -1
	s_and_saveexec_b32 s46, s2
; %bb.322:                              ;   in Loop: Header=BB21_3 Depth=1
	v_xor_b32_e32 v24, 0x80000000, v24
	ds_store_b32 v39, v24 offset:4168
; %bb.323:                              ;   in Loop: Header=BB21_3 Depth=1
	s_or_b32 exec_lo, exec_lo, s46
	s_wait_dscnt 0x0
	s_barrier_signal -1
	s_barrier_wait -1
	s_barrier_signal -1
	s_barrier_wait -1
	s_and_saveexec_b32 s46, s92
	s_cbranch_execz .LBB21_325
; %bb.324:                              ;   in Loop: Header=BB21_3 Depth=1
	ds_load_b32 v24, v32 offset:4168
	s_wait_dscnt 0x0
	ds_store_b32 v5, v24 offset:4672
	ds_load_b32 v24, v32 offset:4172
	s_wait_dscnt 0x0
	ds_store_b32 v5, v24 offset:4928
.LBB21_325:                             ;   in Loop: Header=BB21_3 Depth=1
	s_or_b32 exec_lo, exec_lo, s46
	s_wait_dscnt 0x0
	s_barrier_signal -1
	s_barrier_wait -1
	s_and_saveexec_b32 s46, s11
	s_cbranch_execz .LBB21_327
; %bb.326:                              ;   in Loop: Header=BB21_3 Depth=1
	ds_load_b32 v24, v7 offset:4684
	ds_store_b32 v7, v25 offset:4680
	s_wait_dscnt 0x1
	ds_store_b64 v7, v[24:25] offset:4936
.LBB21_327:                             ;   in Loop: Header=BB21_3 Depth=1
	s_or_b32 exec_lo, exec_lo, s46
	v_mov_b32_e32 v24, 0
	s_wait_dscnt 0x0
	s_barrier_signal -1
	s_barrier_wait -1
	s_and_saveexec_b32 s61, s4
	s_cbranch_execz .LBB21_333
; %bb.328:                              ;   in Loop: Header=BB21_3 Depth=1
	ds_load_b32 v24, v48 offset:4176
	ds_load_b32 v28, v41 offset:4160
	s_wait_dscnt 0x0
	v_fma_f32 v24, v24, v28, 0
	s_and_saveexec_b32 s46, s13
	s_cbranch_execnz .LBB21_1189
; %bb.329:                              ;   in Loop: Header=BB21_3 Depth=1
	s_or_b32 exec_lo, exec_lo, s46
	s_and_saveexec_b32 s46, s14
	s_cbranch_execnz .LBB21_1190
.LBB21_330:                             ;   in Loop: Header=BB21_3 Depth=1
	s_or_b32 exec_lo, exec_lo, s46
	s_and_saveexec_b32 s46, s2
	s_cbranch_execz .LBB21_332
.LBB21_331:                             ;   in Loop: Header=BB21_3 Depth=1
	ds_load_b32 v28, v33 offset:4944
	ds_load_b32 v29, v7 offset:4172
	s_wait_dscnt 0x0
	v_fmac_f32_e32 v24, v28, v29
.LBB21_332:                             ;   in Loop: Header=BB21_3 Depth=1
	s_or_b32 exec_lo, exec_lo, s46
	s_delay_alu instid0(VALU_DEP_1)
	v_xor_b32_e32 v24, 0x80000000, v24
.LBB21_333:                             ;   in Loop: Header=BB21_3 Depth=1
	s_or_b32 exec_lo, exec_lo, s61
	s_and_saveexec_b32 s46, s93
; %bb.334:                              ;   in Loop: Header=BB21_3 Depth=1
	ds_store_b32 v47, v24
; %bb.335:                              ;   in Loop: Header=BB21_3 Depth=1
	s_or_b32 exec_lo, exec_lo, s46
	s_wait_dscnt 0x0
	s_barrier_signal -1
	s_barrier_wait -1
	s_and_saveexec_b32 s46, s94
	s_cbranch_execz .LBB21_337
; %bb.336:                              ;   in Loop: Header=BB21_3 Depth=1
	ds_load_b32 v28, v45 offset:5200
	ds_load_b32 v29, v47
	s_wait_dscnt 0x0
	v_fmac_f32_e32 v24, v28, v29
.LBB21_337:                             ;   in Loop: Header=BB21_3 Depth=1
	s_or_b32 exec_lo, exec_lo, s46
	s_barrier_signal -1
	s_barrier_wait -1
	s_and_saveexec_b32 s46, s95
; %bb.338:                              ;   in Loop: Header=BB21_3 Depth=1
	ds_store_b32 v47, v24
; %bb.339:                              ;   in Loop: Header=BB21_3 Depth=1
	s_or_b32 exec_lo, exec_lo, s46
	s_wait_dscnt 0x0
	s_barrier_signal -1
	s_barrier_wait -1
	s_and_saveexec_b32 s46, s96
	s_cbranch_execz .LBB21_341
; %bb.340:                              ;   in Loop: Header=BB21_3 Depth=1
	ds_load_b32 v28, v45 offset:5456
	ds_load_b32 v29, v47
	s_wait_dscnt 0x0
	v_fmac_f32_e32 v24, v28, v29
.LBB21_341:                             ;   in Loop: Header=BB21_3 Depth=1
	s_or_b32 exec_lo, exec_lo, s46
	s_barrier_signal -1
	s_barrier_wait -1
	;; [unrolled: 19-line block ×3, first 2 shown]
	s_and_saveexec_b32 s46, s98
; %bb.346:                              ;   in Loop: Header=BB21_3 Depth=1
	ds_store_b32 v47, v24
; %bb.347:                              ;   in Loop: Header=BB21_3 Depth=1
	s_or_b32 exec_lo, exec_lo, s46
	s_wait_dscnt 0x0
	s_barrier_signal -1
	s_barrier_wait -1
	s_barrier_signal -1
	s_barrier_wait -1
	s_and_saveexec_b32 s46, s4
; %bb.348:                              ;   in Loop: Header=BB21_3 Depth=1
	v_xor_b32_e32 v24, 0x80000000, v24
	ds_store_b32 v48, v24 offset:4176
; %bb.349:                              ;   in Loop: Header=BB21_3 Depth=1
	s_or_b32 exec_lo, exec_lo, s46
	s_wait_dscnt 0x0
	s_barrier_signal -1
	s_barrier_wait -1
	s_barrier_signal -1
	s_barrier_wait -1
	s_and_saveexec_b32 s46, s99
	s_cbranch_execz .LBB21_351
; %bb.350:                              ;   in Loop: Header=BB21_3 Depth=1
	ds_load_b32 v24, v34 offset:4176
	s_wait_dscnt 0x0
	ds_store_b32 v35, v24 offset:5184
	ds_load_b32 v24, v34 offset:4180
	s_wait_dscnt 0x0
	ds_store_b32 v35, v24 offset:5440
	;; [unrolled: 3-line block ×4, first 2 shown]
.LBB21_351:                             ;   in Loop: Header=BB21_3 Depth=1
	s_or_b32 exec_lo, exec_lo, s46
	s_wait_dscnt 0x0
	s_barrier_signal -1
	s_barrier_wait -1
	s_and_saveexec_b32 s46, s11
	s_cbranch_execz .LBB21_353
; %bb.352:                              ;   in Loop: Header=BB21_3 Depth=1
	ds_load_b32 v24, v7 offset:5204
	ds_store_b32 v7, v25 offset:5200
	s_wait_dscnt 0x1
	ds_store_b64 v7, v[24:25] offset:5456
.LBB21_353:                             ;   in Loop: Header=BB21_3 Depth=1
	s_or_b32 exec_lo, exec_lo, s46
	v_mov_b32_e32 v24, 0
	s_wait_dscnt 0x0
	s_barrier_signal -1
	s_barrier_wait -1
	s_and_saveexec_b32 s46, s2
	s_cbranch_execz .LBB21_357
; %bb.354:                              ;   in Loop: Header=BB21_3 Depth=1
	ds_load_b32 v24, v39 offset:5208
	ds_load_b32 v28, v40 offset:5200
	s_wait_dscnt 0x0
	v_fma_f32 v24, v24, v28, 0
	s_and_saveexec_b32 s47, s12
	s_cbranch_execz .LBB21_356
; %bb.355:                              ;   in Loop: Header=BB21_3 Depth=1
	ds_load_b32 v28, v35 offset:5464
	ds_load_b32 v29, v7 offset:5204
	s_wait_dscnt 0x0
	v_fmac_f32_e32 v24, v28, v29
.LBB21_356:                             ;   in Loop: Header=BB21_3 Depth=1
	s_or_b32 exec_lo, exec_lo, s47
	s_delay_alu instid0(VALU_DEP_1)
	v_xor_b32_e32 v24, 0x80000000, v24
.LBB21_357:                             ;   in Loop: Header=BB21_3 Depth=1
	s_or_b32 exec_lo, exec_lo, s46
	s_and_saveexec_b32 s46, s90
; %bb.358:                              ;   in Loop: Header=BB21_3 Depth=1
	ds_store_b32 v37, v24
; %bb.359:                              ;   in Loop: Header=BB21_3 Depth=1
	s_or_b32 exec_lo, exec_lo, s46
	s_wait_dscnt 0x0
	s_barrier_signal -1
	s_barrier_wait -1
	s_and_saveexec_b32 s46, s91
	s_cbranch_execz .LBB21_361
; %bb.360:                              ;   in Loop: Header=BB21_3 Depth=1
	ds_load_b32 v28, v7 offset:5724
	ds_load_b32 v29, v37
	s_wait_dscnt 0x0
	v_fmac_f32_e32 v24, v28, v29
.LBB21_361:                             ;   in Loop: Header=BB21_3 Depth=1
	s_or_b32 exec_lo, exec_lo, s46
	s_barrier_signal -1
	s_barrier_wait -1
	s_and_saveexec_b32 s46, s91
; %bb.362:                              ;   in Loop: Header=BB21_3 Depth=1
	ds_store_b32 v37, v24
; %bb.363:                              ;   in Loop: Header=BB21_3 Depth=1
	s_or_b32 exec_lo, exec_lo, s46
	s_wait_dscnt 0x0
	s_barrier_signal -1
	s_barrier_wait -1
	s_barrier_signal -1
	s_barrier_wait -1
	s_and_saveexec_b32 s46, s2
; %bb.364:                              ;   in Loop: Header=BB21_3 Depth=1
	v_xor_b32_e32 v24, 0x80000000, v24
	ds_store_b32 v39, v24 offset:5208
; %bb.365:                              ;   in Loop: Header=BB21_3 Depth=1
	s_or_b32 exec_lo, exec_lo, s46
	s_wait_dscnt 0x0
	s_barrier_signal -1
	s_barrier_wait -1
	s_barrier_signal -1
	s_barrier_wait -1
	s_and_saveexec_b32 s46, s92
	s_cbranch_execz .LBB21_367
; %bb.366:                              ;   in Loop: Header=BB21_3 Depth=1
	ds_load_b32 v24, v36 offset:5208
	s_wait_dscnt 0x0
	ds_store_b32 v35, v24 offset:5712
	ds_load_b32 v24, v36 offset:5212
	s_wait_dscnt 0x0
	ds_store_b32 v35, v24 offset:5968
.LBB21_367:                             ;   in Loop: Header=BB21_3 Depth=1
	s_or_b32 exec_lo, exec_lo, s46
	s_wait_dscnt 0x0
	s_barrier_signal -1
	s_barrier_wait -1
	s_and_saveexec_b32 s46, s11
	s_cbranch_execz .LBB21_369
; %bb.368:                              ;   in Loop: Header=BB21_3 Depth=1
	ds_load_b32 v24, v7 offset:5724
	ds_store_b32 v7, v25 offset:5720
	s_wait_dscnt 0x1
	ds_store_b64 v7, v[24:25] offset:5976
.LBB21_369:                             ;   in Loop: Header=BB21_3 Depth=1
	s_or_b32 exec_lo, exec_lo, s46
	v_mov_b32_e32 v24, 0
	s_wait_dscnt 0x0
	s_barrier_signal -1
	s_barrier_wait -1
	s_and_saveexec_b32 s61, s5
	s_cbranch_execz .LBB21_379
; %bb.370:                              ;   in Loop: Header=BB21_3 Depth=1
	ds_load_b32 v24, v55 offset:4192
	ds_load_b32 v28, v51 offset:4160
	s_wait_dscnt 0x0
	v_fma_f32 v24, v24, v28, 0
	s_and_saveexec_b32 s46, s15
	s_cbranch_execnz .LBB21_1191
; %bb.371:                              ;   in Loop: Header=BB21_3 Depth=1
	s_or_b32 exec_lo, exec_lo, s46
	s_and_saveexec_b32 s46, s16
	s_cbranch_execnz .LBB21_1192
.LBB21_372:                             ;   in Loop: Header=BB21_3 Depth=1
	s_or_b32 exec_lo, exec_lo, s46
	s_and_saveexec_b32 s46, s17
	s_cbranch_execnz .LBB21_1193
.LBB21_373:                             ;   in Loop: Header=BB21_3 Depth=1
	s_or_b32 exec_lo, exec_lo, s46
	s_and_saveexec_b32 s46, s18
	s_cbranch_execnz .LBB21_1194
.LBB21_374:                             ;   in Loop: Header=BB21_3 Depth=1
	s_or_b32 exec_lo, exec_lo, s46
	s_and_saveexec_b32 s46, s19
	s_cbranch_execnz .LBB21_1195
.LBB21_375:                             ;   in Loop: Header=BB21_3 Depth=1
	s_or_b32 exec_lo, exec_lo, s46
	s_and_saveexec_b32 s46, s4
	s_cbranch_execnz .LBB21_1196
.LBB21_376:                             ;   in Loop: Header=BB21_3 Depth=1
	s_or_b32 exec_lo, exec_lo, s46
	s_and_saveexec_b32 s46, s14
	s_cbranch_execz .LBB21_378
.LBB21_377:                             ;   in Loop: Header=BB21_3 Depth=1
	ds_load_b32 v28, v38 offset:5984
	ds_load_b32 v29, v7 offset:4188
	s_wait_dscnt 0x0
	v_fmac_f32_e32 v24, v28, v29
.LBB21_378:                             ;   in Loop: Header=BB21_3 Depth=1
	s_or_b32 exec_lo, exec_lo, s46
	s_delay_alu instid0(VALU_DEP_1)
	v_xor_b32_e32 v24, 0x80000000, v24
.LBB21_379:                             ;   in Loop: Header=BB21_3 Depth=1
	s_or_b32 exec_lo, exec_lo, s61
	s_and_saveexec_b32 s46, s100
; %bb.380:                              ;   in Loop: Header=BB21_3 Depth=1
	ds_store_b32 v54, v24
; %bb.381:                              ;   in Loop: Header=BB21_3 Depth=1
	s_or_b32 exec_lo, exec_lo, s46
	s_wait_dscnt 0x0
	s_barrier_signal -1
	s_barrier_wait -1
	s_and_saveexec_b32 s46, s101
	s_cbranch_execz .LBB21_383
; %bb.382:                              ;   in Loop: Header=BB21_3 Depth=1
	ds_load_b32 v28, v52 offset:6240
	ds_load_b32 v29, v54
	s_wait_dscnt 0x0
	v_fmac_f32_e32 v24, v28, v29
.LBB21_383:                             ;   in Loop: Header=BB21_3 Depth=1
	s_or_b32 exec_lo, exec_lo, s46
	s_barrier_signal -1
	s_barrier_wait -1
	s_and_saveexec_b32 s46, s102
; %bb.384:                              ;   in Loop: Header=BB21_3 Depth=1
	ds_store_b32 v54, v24
; %bb.385:                              ;   in Loop: Header=BB21_3 Depth=1
	s_or_b32 exec_lo, exec_lo, s46
	s_wait_dscnt 0x0
	s_barrier_signal -1
	s_barrier_wait -1
	s_and_saveexec_b32 s46, s103
	s_cbranch_execz .LBB21_387
; %bb.386:                              ;   in Loop: Header=BB21_3 Depth=1
	ds_load_b32 v28, v52 offset:6496
	ds_load_b32 v29, v54
	s_wait_dscnt 0x0
	v_fmac_f32_e32 v24, v28, v29
.LBB21_387:                             ;   in Loop: Header=BB21_3 Depth=1
	s_or_b32 exec_lo, exec_lo, s46
	s_barrier_signal -1
	s_barrier_wait -1
	s_and_saveexec_b32 s46, s104
; %bb.388:                              ;   in Loop: Header=BB21_3 Depth=1
	ds_store_b32 v54, v24
; %bb.389:                              ;   in Loop: Header=BB21_3 Depth=1
	s_or_b32 exec_lo, exec_lo, s46
	s_wait_dscnt 0x0
	s_barrier_signal -1
	s_barrier_wait -1
	s_and_saveexec_b32 s46, vcc_hi
	s_cbranch_execz .LBB21_391
; %bb.390:                              ;   in Loop: Header=BB21_3 Depth=1
	ds_load_b32 v28, v52 offset:6752
	ds_load_b32 v29, v54
	s_wait_dscnt 0x0
	v_fmac_f32_e32 v24, v28, v29
.LBB21_391:                             ;   in Loop: Header=BB21_3 Depth=1
	s_or_b32 exec_lo, exec_lo, s46
	s_barrier_signal -1
	s_barrier_wait -1
	s_and_saveexec_b32 s46, s31
; %bb.392:                              ;   in Loop: Header=BB21_3 Depth=1
	ds_store_b32 v54, v24
; %bb.393:                              ;   in Loop: Header=BB21_3 Depth=1
	s_or_b32 exec_lo, exec_lo, s46
	s_wait_dscnt 0x0
	s_barrier_signal -1
	s_barrier_wait -1
	s_and_saveexec_b32 s46, s33
	s_cbranch_execz .LBB21_395
; %bb.394:                              ;   in Loop: Header=BB21_3 Depth=1
	ds_load_b32 v28, v52 offset:7008
	ds_load_b32 v29, v54
	s_wait_dscnt 0x0
	v_fmac_f32_e32 v24, v28, v29
.LBB21_395:                             ;   in Loop: Header=BB21_3 Depth=1
	s_or_b32 exec_lo, exec_lo, s46
	s_barrier_signal -1
	s_barrier_wait -1
	s_and_saveexec_b32 s46, s34
; %bb.396:                              ;   in Loop: Header=BB21_3 Depth=1
	ds_store_b32 v54, v24
; %bb.397:                              ;   in Loop: Header=BB21_3 Depth=1
	s_or_b32 exec_lo, exec_lo, s46
	s_wait_dscnt 0x0
	s_barrier_signal -1
	s_barrier_wait -1
	s_and_saveexec_b32 s46, s35
	;; [unrolled: 19-line block ×4, first 2 shown]
	s_cbranch_execz .LBB21_407
; %bb.406:                              ;   in Loop: Header=BB21_3 Depth=1
	ds_load_b32 v28, v7 offset:7804
	ds_load_b32 v29, v54
	s_wait_dscnt 0x0
	v_fmac_f32_e32 v24, v28, v29
.LBB21_407:                             ;   in Loop: Header=BB21_3 Depth=1
	s_or_b32 exec_lo, exec_lo, s46
	s_barrier_signal -1
	s_barrier_wait -1
	s_and_saveexec_b32 s46, s39
; %bb.408:                              ;   in Loop: Header=BB21_3 Depth=1
	ds_store_b32 v54, v24
; %bb.409:                              ;   in Loop: Header=BB21_3 Depth=1
	s_or_b32 exec_lo, exec_lo, s46
	s_wait_dscnt 0x0
	s_barrier_signal -1
	s_barrier_wait -1
	s_barrier_signal -1
	s_barrier_wait -1
	s_and_saveexec_b32 s46, s5
; %bb.410:                              ;   in Loop: Header=BB21_3 Depth=1
	v_xor_b32_e32 v24, 0x80000000, v24
	ds_store_b32 v55, v24 offset:4192
; %bb.411:                              ;   in Loop: Header=BB21_3 Depth=1
	s_or_b32 exec_lo, exec_lo, s46
	s_wait_dscnt 0x0
	s_barrier_signal -1
	s_barrier_wait -1
	s_barrier_signal -1
	s_barrier_wait -1
	s_and_saveexec_b32 s46, s40
	s_cbranch_execz .LBB21_413
; %bb.412:                              ;   in Loop: Header=BB21_3 Depth=1
	ds_load_b32 v24, v42 offset:4192
	s_wait_dscnt 0x0
	ds_store_b32 v46, v24 offset:6208
	ds_load_b32 v24, v42 offset:4196
	s_wait_dscnt 0x0
	ds_store_b32 v46, v24 offset:6464
	;; [unrolled: 3-line block ×8, first 2 shown]
.LBB21_413:                             ;   in Loop: Header=BB21_3 Depth=1
	s_or_b32 exec_lo, exec_lo, s46
	s_wait_dscnt 0x0
	s_barrier_signal -1
	s_barrier_wait -1
	s_and_saveexec_b32 s46, s11
	s_cbranch_execz .LBB21_415
; %bb.414:                              ;   in Loop: Header=BB21_3 Depth=1
	ds_load_b32 v24, v7 offset:6244
	ds_store_b32 v7, v25 offset:6240
	s_wait_dscnt 0x1
	ds_store_b64 v7, v[24:25] offset:6496
.LBB21_415:                             ;   in Loop: Header=BB21_3 Depth=1
	s_or_b32 exec_lo, exec_lo, s46
	v_mov_b32_e32 v24, 0
	s_wait_dscnt 0x0
	s_barrier_signal -1
	s_barrier_wait -1
	s_and_saveexec_b32 s46, s2
	s_cbranch_execz .LBB21_419
; %bb.416:                              ;   in Loop: Header=BB21_3 Depth=1
	ds_load_b32 v24, v39 offset:6248
	ds_load_b32 v28, v40 offset:6240
	s_wait_dscnt 0x0
	v_fma_f32 v24, v24, v28, 0
	s_and_saveexec_b32 s47, s12
	s_cbranch_execz .LBB21_418
; %bb.417:                              ;   in Loop: Header=BB21_3 Depth=1
	ds_load_b32 v28, v46 offset:6504
	ds_load_b32 v29, v7 offset:6244
	s_wait_dscnt 0x0
	v_fmac_f32_e32 v24, v28, v29
.LBB21_418:                             ;   in Loop: Header=BB21_3 Depth=1
	s_or_b32 exec_lo, exec_lo, s47
	s_delay_alu instid0(VALU_DEP_1)
	v_xor_b32_e32 v24, 0x80000000, v24
.LBB21_419:                             ;   in Loop: Header=BB21_3 Depth=1
	s_or_b32 exec_lo, exec_lo, s46
	s_and_saveexec_b32 s46, s90
; %bb.420:                              ;   in Loop: Header=BB21_3 Depth=1
	ds_store_b32 v37, v24
; %bb.421:                              ;   in Loop: Header=BB21_3 Depth=1
	s_or_b32 exec_lo, exec_lo, s46
	s_wait_dscnt 0x0
	s_barrier_signal -1
	s_barrier_wait -1
	s_and_saveexec_b32 s46, s91
	s_cbranch_execz .LBB21_423
; %bb.422:                              ;   in Loop: Header=BB21_3 Depth=1
	ds_load_b32 v28, v7 offset:6764
	ds_load_b32 v29, v37
	s_wait_dscnt 0x0
	v_fmac_f32_e32 v24, v28, v29
.LBB21_423:                             ;   in Loop: Header=BB21_3 Depth=1
	s_or_b32 exec_lo, exec_lo, s46
	s_barrier_signal -1
	s_barrier_wait -1
	s_and_saveexec_b32 s46, s91
; %bb.424:                              ;   in Loop: Header=BB21_3 Depth=1
	ds_store_b32 v37, v24
; %bb.425:                              ;   in Loop: Header=BB21_3 Depth=1
	s_or_b32 exec_lo, exec_lo, s46
	s_wait_dscnt 0x0
	s_barrier_signal -1
	s_barrier_wait -1
	s_barrier_signal -1
	s_barrier_wait -1
	s_and_saveexec_b32 s46, s2
; %bb.426:                              ;   in Loop: Header=BB21_3 Depth=1
	v_xor_b32_e32 v24, 0x80000000, v24
	ds_store_b32 v39, v24 offset:6248
; %bb.427:                              ;   in Loop: Header=BB21_3 Depth=1
	s_or_b32 exec_lo, exec_lo, s46
	s_wait_dscnt 0x0
	s_barrier_signal -1
	s_barrier_wait -1
	s_barrier_signal -1
	s_barrier_wait -1
	s_and_saveexec_b32 s46, s92
	s_cbranch_execz .LBB21_429
; %bb.428:                              ;   in Loop: Header=BB21_3 Depth=1
	ds_load_b32 v24, v50 offset:6248
	s_wait_dscnt 0x0
	ds_store_b32 v46, v24 offset:6752
	ds_load_b32 v24, v50 offset:6252
	s_wait_dscnt 0x0
	ds_store_b32 v46, v24 offset:7008
.LBB21_429:                             ;   in Loop: Header=BB21_3 Depth=1
	s_or_b32 exec_lo, exec_lo, s46
	s_wait_dscnt 0x0
	s_barrier_signal -1
	s_barrier_wait -1
	s_and_saveexec_b32 s46, s11
	s_cbranch_execz .LBB21_431
; %bb.430:                              ;   in Loop: Header=BB21_3 Depth=1
	ds_load_b32 v24, v7 offset:6764
	ds_store_b32 v7, v25 offset:6760
	s_wait_dscnt 0x1
	ds_store_b64 v7, v[24:25] offset:7016
.LBB21_431:                             ;   in Loop: Header=BB21_3 Depth=1
	s_or_b32 exec_lo, exec_lo, s46
	v_mov_b32_e32 v24, 0
	s_wait_dscnt 0x0
	s_barrier_signal -1
	s_barrier_wait -1
	s_and_saveexec_b32 s61, s4
	s_cbranch_execz .LBB21_437
; %bb.432:                              ;   in Loop: Header=BB21_3 Depth=1
	ds_load_b32 v24, v48 offset:6256
	ds_load_b32 v28, v41 offset:6240
	s_wait_dscnt 0x0
	v_fma_f32 v24, v24, v28, 0
	s_and_saveexec_b32 s46, s13
	s_cbranch_execnz .LBB21_1197
; %bb.433:                              ;   in Loop: Header=BB21_3 Depth=1
	s_or_b32 exec_lo, exec_lo, s46
	s_and_saveexec_b32 s46, s14
	s_cbranch_execnz .LBB21_1198
.LBB21_434:                             ;   in Loop: Header=BB21_3 Depth=1
	s_or_b32 exec_lo, exec_lo, s46
	s_and_saveexec_b32 s46, s2
	s_cbranch_execz .LBB21_436
.LBB21_435:                             ;   in Loop: Header=BB21_3 Depth=1
	ds_load_b32 v28, v53 offset:7024
	ds_load_b32 v29, v7 offset:6252
	s_wait_dscnt 0x0
	v_fmac_f32_e32 v24, v28, v29
.LBB21_436:                             ;   in Loop: Header=BB21_3 Depth=1
	s_or_b32 exec_lo, exec_lo, s46
	s_delay_alu instid0(VALU_DEP_1)
	v_xor_b32_e32 v24, 0x80000000, v24
.LBB21_437:                             ;   in Loop: Header=BB21_3 Depth=1
	s_or_b32 exec_lo, exec_lo, s61
	s_and_saveexec_b32 s46, s93
; %bb.438:                              ;   in Loop: Header=BB21_3 Depth=1
	ds_store_b32 v47, v24
; %bb.439:                              ;   in Loop: Header=BB21_3 Depth=1
	s_or_b32 exec_lo, exec_lo, s46
	s_wait_dscnt 0x0
	s_barrier_signal -1
	s_barrier_wait -1
	s_and_saveexec_b32 s46, s94
	s_cbranch_execz .LBB21_441
; %bb.440:                              ;   in Loop: Header=BB21_3 Depth=1
	ds_load_b32 v28, v45 offset:7280
	ds_load_b32 v29, v47
	s_wait_dscnt 0x0
	v_fmac_f32_e32 v24, v28, v29
.LBB21_441:                             ;   in Loop: Header=BB21_3 Depth=1
	s_or_b32 exec_lo, exec_lo, s46
	s_barrier_signal -1
	s_barrier_wait -1
	s_and_saveexec_b32 s46, s95
; %bb.442:                              ;   in Loop: Header=BB21_3 Depth=1
	ds_store_b32 v47, v24
; %bb.443:                              ;   in Loop: Header=BB21_3 Depth=1
	s_or_b32 exec_lo, exec_lo, s46
	s_wait_dscnt 0x0
	s_barrier_signal -1
	s_barrier_wait -1
	s_and_saveexec_b32 s46, s96
	s_cbranch_execz .LBB21_445
; %bb.444:                              ;   in Loop: Header=BB21_3 Depth=1
	ds_load_b32 v28, v45 offset:7536
	ds_load_b32 v29, v47
	s_wait_dscnt 0x0
	v_fmac_f32_e32 v24, v28, v29
.LBB21_445:                             ;   in Loop: Header=BB21_3 Depth=1
	s_or_b32 exec_lo, exec_lo, s46
	s_barrier_signal -1
	s_barrier_wait -1
	;; [unrolled: 19-line block ×3, first 2 shown]
	s_and_saveexec_b32 s46, s98
; %bb.450:                              ;   in Loop: Header=BB21_3 Depth=1
	ds_store_b32 v47, v24
; %bb.451:                              ;   in Loop: Header=BB21_3 Depth=1
	s_or_b32 exec_lo, exec_lo, s46
	s_wait_dscnt 0x0
	s_barrier_signal -1
	s_barrier_wait -1
	s_barrier_signal -1
	s_barrier_wait -1
	s_and_saveexec_b32 s46, s4
; %bb.452:                              ;   in Loop: Header=BB21_3 Depth=1
	v_xor_b32_e32 v24, 0x80000000, v24
	ds_store_b32 v48, v24 offset:6256
; %bb.453:                              ;   in Loop: Header=BB21_3 Depth=1
	s_or_b32 exec_lo, exec_lo, s46
	s_wait_dscnt 0x0
	s_barrier_signal -1
	s_barrier_wait -1
	s_barrier_signal -1
	s_barrier_wait -1
	s_and_saveexec_b32 s46, s99
	s_cbranch_execz .LBB21_455
; %bb.454:                              ;   in Loop: Header=BB21_3 Depth=1
	ds_load_b32 v24, v56 offset:6256
	s_wait_dscnt 0x0
	ds_store_b32 v59, v24 offset:7264
	ds_load_b32 v24, v56 offset:6260
	s_wait_dscnt 0x0
	ds_store_b32 v59, v24 offset:7520
	;; [unrolled: 3-line block ×4, first 2 shown]
.LBB21_455:                             ;   in Loop: Header=BB21_3 Depth=1
	s_or_b32 exec_lo, exec_lo, s46
	s_wait_dscnt 0x0
	s_barrier_signal -1
	s_barrier_wait -1
	s_and_saveexec_b32 s46, s11
	s_cbranch_execz .LBB21_457
; %bb.456:                              ;   in Loop: Header=BB21_3 Depth=1
	ds_load_b32 v24, v7 offset:7284
	ds_store_b32 v7, v25 offset:7280
	s_wait_dscnt 0x1
	ds_store_b64 v7, v[24:25] offset:7536
.LBB21_457:                             ;   in Loop: Header=BB21_3 Depth=1
	s_or_b32 exec_lo, exec_lo, s46
	v_mov_b32_e32 v24, 0
	s_wait_dscnt 0x0
	s_barrier_signal -1
	s_barrier_wait -1
	s_and_saveexec_b32 s46, s2
	s_cbranch_execz .LBB21_461
; %bb.458:                              ;   in Loop: Header=BB21_3 Depth=1
	ds_load_b32 v24, v39 offset:7288
	ds_load_b32 v28, v40 offset:7280
	s_wait_dscnt 0x0
	v_fma_f32 v24, v24, v28, 0
	s_and_saveexec_b32 s47, s12
	s_cbranch_execz .LBB21_460
; %bb.459:                              ;   in Loop: Header=BB21_3 Depth=1
	ds_load_b32 v28, v59 offset:7544
	ds_load_b32 v29, v7 offset:7284
	s_wait_dscnt 0x0
	v_fmac_f32_e32 v24, v28, v29
.LBB21_460:                             ;   in Loop: Header=BB21_3 Depth=1
	s_or_b32 exec_lo, exec_lo, s47
	s_delay_alu instid0(VALU_DEP_1)
	v_xor_b32_e32 v24, 0x80000000, v24
.LBB21_461:                             ;   in Loop: Header=BB21_3 Depth=1
	s_or_b32 exec_lo, exec_lo, s46
	s_and_saveexec_b32 s46, s90
; %bb.462:                              ;   in Loop: Header=BB21_3 Depth=1
	ds_store_b32 v37, v24
; %bb.463:                              ;   in Loop: Header=BB21_3 Depth=1
	s_or_b32 exec_lo, exec_lo, s46
	s_wait_dscnt 0x0
	s_barrier_signal -1
	s_barrier_wait -1
	s_and_saveexec_b32 s46, s91
	s_cbranch_execz .LBB21_465
; %bb.464:                              ;   in Loop: Header=BB21_3 Depth=1
	ds_load_b32 v28, v7 offset:7804
	ds_load_b32 v29, v37
	s_wait_dscnt 0x0
	v_fmac_f32_e32 v24, v28, v29
.LBB21_465:                             ;   in Loop: Header=BB21_3 Depth=1
	s_or_b32 exec_lo, exec_lo, s46
	s_barrier_signal -1
	s_barrier_wait -1
	s_and_saveexec_b32 s46, s91
; %bb.466:                              ;   in Loop: Header=BB21_3 Depth=1
	ds_store_b32 v37, v24
; %bb.467:                              ;   in Loop: Header=BB21_3 Depth=1
	s_or_b32 exec_lo, exec_lo, s46
	s_wait_dscnt 0x0
	s_barrier_signal -1
	s_barrier_wait -1
	s_barrier_signal -1
	s_barrier_wait -1
	s_and_saveexec_b32 s46, s2
; %bb.468:                              ;   in Loop: Header=BB21_3 Depth=1
	v_xor_b32_e32 v24, 0x80000000, v24
	ds_store_b32 v39, v24 offset:7288
; %bb.469:                              ;   in Loop: Header=BB21_3 Depth=1
	s_or_b32 exec_lo, exec_lo, s46
	s_wait_dscnt 0x0
	s_barrier_signal -1
	s_barrier_wait -1
	s_barrier_signal -1
	s_barrier_wait -1
	s_and_saveexec_b32 s46, s92
	s_cbranch_execz .LBB21_471
; %bb.470:                              ;   in Loop: Header=BB21_3 Depth=1
	v_add_nc_u32_e32 v24, v59, v44
	ds_load_b32 v28, v24 offset:7288
	s_wait_dscnt 0x0
	ds_store_b32 v59, v28 offset:7792
	ds_load_b32 v24, v24 offset:7292
	s_wait_dscnt 0x0
	ds_store_b32 v59, v24 offset:8048
.LBB21_471:                             ;   in Loop: Header=BB21_3 Depth=1
	s_or_b32 exec_lo, exec_lo, s46
	s_wait_dscnt 0x0
	s_barrier_signal -1
	s_barrier_wait -1
	s_and_saveexec_b32 s46, s11
	s_cbranch_execz .LBB21_473
; %bb.472:                              ;   in Loop: Header=BB21_3 Depth=1
	ds_load_b32 v24, v7 offset:7804
	ds_store_b32 v7, v25 offset:7800
	s_wait_dscnt 0x1
	ds_store_b64 v7, v[24:25] offset:8056
.LBB21_473:                             ;   in Loop: Header=BB21_3 Depth=1
	s_or_b32 exec_lo, exec_lo, s46
	v_mov_b32_e32 v24, 0
	s_wait_dscnt 0x0
	s_barrier_signal -1
	s_barrier_wait -1
	s_and_saveexec_b32 s80, s7
	s_cbranch_execz .LBB21_535
; %bb.474:                              ;   in Loop: Header=BB21_3 Depth=1
	v_add_nc_u32_e32 v28, v63, v62
	ds_load_b32 v24, v68 offset:128
	ds_load_b32 v29, v28
	s_wait_dscnt 0x0
	v_fma_f32 v24, v24, v29, 0
	s_mov_b32 s46, exec_lo
	v_readlane_b32 s47, v91, 30
	s_and_b32 s47, s46, s47
	s_delay_alu instid0(SALU_CYCLE_1)
	s_mov_b32 exec_lo, s47
	s_cbranch_execz .LBB21_476
; %bb.475:                              ;   in Loop: Header=BB21_3 Depth=1
	ds_load_b32 v29, v68 offset:384
	ds_load_b32 v30, v28 offset:4
	s_wait_dscnt 0x0
	v_fmac_f32_e32 v24, v29, v30
.LBB21_476:                             ;   in Loop: Header=BB21_3 Depth=1
	s_or_b32 exec_lo, exec_lo, s46
	s_delay_alu instid0(SALU_CYCLE_1) | instskip(SKIP_2) | instid1(SALU_CYCLE_1)
	s_mov_b32 s46, exec_lo
	v_readlane_b32 s47, v91, 31
	s_and_b32 s47, s46, s47
	s_mov_b32 exec_lo, s47
	s_cbranch_execz .LBB21_478
; %bb.477:                              ;   in Loop: Header=BB21_3 Depth=1
	ds_load_b32 v29, v68 offset:640
	ds_load_b32 v30, v28 offset:8
	s_wait_dscnt 0x0
	v_fmac_f32_e32 v24, v29, v30
.LBB21_478:                             ;   in Loop: Header=BB21_3 Depth=1
	s_or_b32 exec_lo, exec_lo, s46
	s_delay_alu instid0(SALU_CYCLE_1) | instskip(SKIP_2) | instid1(SALU_CYCLE_1)
	s_mov_b32 s46, exec_lo
	v_readlane_b32 s47, v90, 0
	s_and_b32 s47, s46, s47
	;; [unrolled: 13-line block ×22, first 2 shown]
	s_mov_b32 exec_lo, s47
	s_cbranch_execz .LBB21_520
; %bb.519:                              ;   in Loop: Header=BB21_3 Depth=1
	ds_load_b32 v29, v68 offset:6016
	ds_load_b32 v30, v28 offset:92
	s_wait_dscnt 0x0
	v_fmac_f32_e32 v24, v29, v30
.LBB21_520:                             ;   in Loop: Header=BB21_3 Depth=1
	s_or_b32 exec_lo, exec_lo, s46
	s_and_saveexec_b32 s46, s6
	s_cbranch_execz .LBB21_522
; %bb.521:                              ;   in Loop: Header=BB21_3 Depth=1
	ds_load_b32 v29, v68 offset:6272
	ds_load_b32 v30, v28 offset:96
	s_wait_dscnt 0x0
	v_fmac_f32_e32 v24, v29, v30
.LBB21_522:                             ;   in Loop: Header=BB21_3 Depth=1
	s_or_b32 exec_lo, exec_lo, s46
	s_delay_alu instid0(SALU_CYCLE_1) | instskip(SKIP_2) | instid1(SALU_CYCLE_1)
	s_mov_b32 s46, exec_lo
	v_readlane_b32 s47, v91, 20
	s_and_b32 s47, s46, s47
	s_mov_b32 exec_lo, s47
	s_cbranch_execz .LBB21_524
; %bb.523:                              ;   in Loop: Header=BB21_3 Depth=1
	ds_load_b32 v29, v68 offset:6528
	ds_load_b32 v30, v28 offset:100
	s_wait_dscnt 0x0
	v_fmac_f32_e32 v24, v29, v30
.LBB21_524:                             ;   in Loop: Header=BB21_3 Depth=1
	s_or_b32 exec_lo, exec_lo, s46
	s_delay_alu instid0(SALU_CYCLE_1) | instskip(SKIP_2) | instid1(SALU_CYCLE_1)
	s_mov_b32 s46, exec_lo
	v_readlane_b32 s47, v91, 22
	s_and_b32 s47, s46, s47
	s_mov_b32 exec_lo, s47
	;; [unrolled: 13-line block ×5, first 2 shown]
	s_cbranch_execnz .LBB21_1199
; %bb.531:                              ;   in Loop: Header=BB21_3 Depth=1
	s_or_b32 exec_lo, exec_lo, s46
	s_and_saveexec_b32 s46, s5
	s_cbranch_execnz .LBB21_1200
.LBB21_532:                             ;   in Loop: Header=BB21_3 Depth=1
	s_or_b32 exec_lo, exec_lo, s46
	s_and_saveexec_b32 s46, s18
	s_cbranch_execz .LBB21_534
.LBB21_533:                             ;   in Loop: Header=BB21_3 Depth=1
	ds_load_b32 v28, v5 offset:8064
	ds_load_b32 v29, v7 offset:124
	s_wait_dscnt 0x0
	v_fmac_f32_e32 v24, v28, v29
.LBB21_534:                             ;   in Loop: Header=BB21_3 Depth=1
	s_or_b32 exec_lo, exec_lo, s46
	s_delay_alu instid0(VALU_DEP_1)
	v_xor_b32_e32 v24, 0x80000000, v24
.LBB21_535:                             ;   in Loop: Header=BB21_3 Depth=1
	s_or_b32 exec_lo, exec_lo, s80
	s_delay_alu instid0(SALU_CYCLE_1) | instskip(SKIP_2) | instid1(SALU_CYCLE_1)
	s_mov_b32 s46, exec_lo
	v_readlane_b32 s47, v93, 10
	s_and_b32 s47, s46, s47
	s_mov_b32 exec_lo, s47
; %bb.536:                              ;   in Loop: Header=BB21_3 Depth=1
	ds_store_b32 v67, v24
; %bb.537:                              ;   in Loop: Header=BB21_3 Depth=1
	s_or_b32 exec_lo, exec_lo, s46
	s_wait_dscnt 0x0
	s_barrier_signal -1
	s_barrier_wait -1
	s_mov_b32 s46, exec_lo
	v_readlane_b32 s47, v93, 11
	s_and_b32 s47, s46, s47
	s_delay_alu instid0(SALU_CYCLE_1)
	s_mov_b32 exec_lo, s47
	s_cbranch_execz .LBB21_539
; %bb.538:                              ;   in Loop: Header=BB21_3 Depth=1
	ds_load_b32 v28, v64 offset:8320
	ds_load_b32 v29, v67
	s_wait_dscnt 0x0
	v_fmac_f32_e32 v24, v28, v29
.LBB21_539:                             ;   in Loop: Header=BB21_3 Depth=1
	s_or_b32 exec_lo, exec_lo, s46
	s_barrier_signal -1
	s_barrier_wait -1
	s_mov_b32 s46, exec_lo
	v_readlane_b32 s47, v93, 12
	s_and_b32 s47, s46, s47
	s_delay_alu instid0(SALU_CYCLE_1)
	s_mov_b32 exec_lo, s47
; %bb.540:                              ;   in Loop: Header=BB21_3 Depth=1
	ds_store_b32 v67, v24
; %bb.541:                              ;   in Loop: Header=BB21_3 Depth=1
	s_or_b32 exec_lo, exec_lo, s46
	s_wait_dscnt 0x0
	s_barrier_signal -1
	s_barrier_wait -1
	s_mov_b32 s46, exec_lo
	v_readlane_b32 s47, v93, 13
	s_and_b32 s47, s46, s47
	s_delay_alu instid0(SALU_CYCLE_1)
	s_mov_b32 exec_lo, s47
	s_cbranch_execz .LBB21_543
; %bb.542:                              ;   in Loop: Header=BB21_3 Depth=1
	ds_load_b32 v28, v64 offset:8576
	ds_load_b32 v29, v67
	s_wait_dscnt 0x0
	v_fmac_f32_e32 v24, v28, v29
.LBB21_543:                             ;   in Loop: Header=BB21_3 Depth=1
	s_or_b32 exec_lo, exec_lo, s46
	s_barrier_signal -1
	s_barrier_wait -1
	s_mov_b32 s46, exec_lo
	v_readlane_b32 s47, v93, 14
	s_and_b32 s47, s46, s47
	s_delay_alu instid0(SALU_CYCLE_1)
	s_mov_b32 exec_lo, s47
; %bb.544:                              ;   in Loop: Header=BB21_3 Depth=1
	ds_store_b32 v67, v24
; %bb.545:                              ;   in Loop: Header=BB21_3 Depth=1
	s_or_b32 exec_lo, exec_lo, s46
	s_wait_dscnt 0x0
	s_barrier_signal -1
	s_barrier_wait -1
	s_mov_b32 s46, exec_lo
	v_readlane_b32 s47, v93, 15
	s_and_b32 s47, s46, s47
	s_delay_alu instid0(SALU_CYCLE_1)
	s_mov_b32 exec_lo, s47
	s_cbranch_execz .LBB21_547
; %bb.546:                              ;   in Loop: Header=BB21_3 Depth=1
	ds_load_b32 v28, v64 offset:8832
	ds_load_b32 v29, v67
	s_wait_dscnt 0x0
	v_fmac_f32_e32 v24, v28, v29
.LBB21_547:                             ;   in Loop: Header=BB21_3 Depth=1
	s_or_b32 exec_lo, exec_lo, s46
	s_barrier_signal -1
	s_barrier_wait -1
	s_mov_b32 s46, exec_lo
	v_readlane_b32 s47, v93, 16
	s_and_b32 s47, s46, s47
	s_delay_alu instid0(SALU_CYCLE_1)
	s_mov_b32 exec_lo, s47
; %bb.548:                              ;   in Loop: Header=BB21_3 Depth=1
	ds_store_b32 v67, v24
; %bb.549:                              ;   in Loop: Header=BB21_3 Depth=1
	s_or_b32 exec_lo, exec_lo, s46
	s_wait_dscnt 0x0
	s_barrier_signal -1
	s_barrier_wait -1
	s_mov_b32 s46, exec_lo
	v_readlane_b32 s47, v93, 17
	s_and_b32 s47, s46, s47
	s_delay_alu instid0(SALU_CYCLE_1)
	s_mov_b32 exec_lo, s47
	s_cbranch_execz .LBB21_551
; %bb.550:                              ;   in Loop: Header=BB21_3 Depth=1
	ds_load_b32 v28, v64 offset:9088
	ds_load_b32 v29, v67
	s_wait_dscnt 0x0
	v_fmac_f32_e32 v24, v28, v29
.LBB21_551:                             ;   in Loop: Header=BB21_3 Depth=1
	s_or_b32 exec_lo, exec_lo, s46
	s_barrier_signal -1
	s_barrier_wait -1
	s_mov_b32 s46, exec_lo
	v_readlane_b32 s47, v93, 18
	s_and_b32 s47, s46, s47
	s_delay_alu instid0(SALU_CYCLE_1)
	s_mov_b32 exec_lo, s47
; %bb.552:                              ;   in Loop: Header=BB21_3 Depth=1
	ds_store_b32 v67, v24
; %bb.553:                              ;   in Loop: Header=BB21_3 Depth=1
	s_or_b32 exec_lo, exec_lo, s46
	s_wait_dscnt 0x0
	s_barrier_signal -1
	s_barrier_wait -1
	s_mov_b32 s46, exec_lo
	v_readlane_b32 s47, v93, 19
	s_and_b32 s47, s46, s47
	s_delay_alu instid0(SALU_CYCLE_1)
	s_mov_b32 exec_lo, s47
	s_cbranch_execz .LBB21_555
; %bb.554:                              ;   in Loop: Header=BB21_3 Depth=1
	ds_load_b32 v28, v64 offset:9344
	ds_load_b32 v29, v67
	s_wait_dscnt 0x0
	v_fmac_f32_e32 v24, v28, v29
.LBB21_555:                             ;   in Loop: Header=BB21_3 Depth=1
	s_or_b32 exec_lo, exec_lo, s46
	s_barrier_signal -1
	s_barrier_wait -1
	s_mov_b32 s46, exec_lo
	v_readlane_b32 s47, v93, 20
	s_and_b32 s47, s46, s47
	s_delay_alu instid0(SALU_CYCLE_1)
	s_mov_b32 exec_lo, s47
; %bb.556:                              ;   in Loop: Header=BB21_3 Depth=1
	ds_store_b32 v67, v24
; %bb.557:                              ;   in Loop: Header=BB21_3 Depth=1
	s_or_b32 exec_lo, exec_lo, s46
	s_wait_dscnt 0x0
	s_barrier_signal -1
	s_barrier_wait -1
	s_mov_b32 s46, exec_lo
	v_readlane_b32 s47, v93, 21
	s_and_b32 s47, s46, s47
	s_delay_alu instid0(SALU_CYCLE_1)
	s_mov_b32 exec_lo, s47
	s_cbranch_execz .LBB21_559
; %bb.558:                              ;   in Loop: Header=BB21_3 Depth=1
	ds_load_b32 v28, v64 offset:9600
	ds_load_b32 v29, v67
	s_wait_dscnt 0x0
	v_fmac_f32_e32 v24, v28, v29
.LBB21_559:                             ;   in Loop: Header=BB21_3 Depth=1
	s_or_b32 exec_lo, exec_lo, s46
	s_barrier_signal -1
	s_barrier_wait -1
	s_mov_b32 s46, exec_lo
	v_readlane_b32 s47, v93, 22
	s_and_b32 s47, s46, s47
	s_delay_alu instid0(SALU_CYCLE_1)
	s_mov_b32 exec_lo, s47
; %bb.560:                              ;   in Loop: Header=BB21_3 Depth=1
	ds_store_b32 v67, v24
; %bb.561:                              ;   in Loop: Header=BB21_3 Depth=1
	s_or_b32 exec_lo, exec_lo, s46
	s_wait_dscnt 0x0
	s_barrier_signal -1
	s_barrier_wait -1
	s_mov_b32 s46, exec_lo
	v_readlane_b32 s47, v93, 23
	s_and_b32 s47, s46, s47
	s_delay_alu instid0(SALU_CYCLE_1)
	s_mov_b32 exec_lo, s47
	s_cbranch_execz .LBB21_563
; %bb.562:                              ;   in Loop: Header=BB21_3 Depth=1
	ds_load_b32 v28, v64 offset:9856
	ds_load_b32 v29, v67
	s_wait_dscnt 0x0
	v_fmac_f32_e32 v24, v28, v29
.LBB21_563:                             ;   in Loop: Header=BB21_3 Depth=1
	s_or_b32 exec_lo, exec_lo, s46
	s_barrier_signal -1
	s_barrier_wait -1
	s_mov_b32 s46, exec_lo
	v_readlane_b32 s47, v93, 24
	s_and_b32 s47, s46, s47
	s_delay_alu instid0(SALU_CYCLE_1)
	s_mov_b32 exec_lo, s47
; %bb.564:                              ;   in Loop: Header=BB21_3 Depth=1
	ds_store_b32 v67, v24
; %bb.565:                              ;   in Loop: Header=BB21_3 Depth=1
	s_or_b32 exec_lo, exec_lo, s46
	s_wait_dscnt 0x0
	s_barrier_signal -1
	s_barrier_wait -1
	s_mov_b32 s46, exec_lo
	v_readlane_b32 s47, v93, 25
	s_and_b32 s47, s46, s47
	s_delay_alu instid0(SALU_CYCLE_1)
	s_mov_b32 exec_lo, s47
	s_cbranch_execz .LBB21_567
; %bb.566:                              ;   in Loop: Header=BB21_3 Depth=1
	ds_load_b32 v28, v64 offset:10112
	ds_load_b32 v29, v67
	s_wait_dscnt 0x0
	v_fmac_f32_e32 v24, v28, v29
.LBB21_567:                             ;   in Loop: Header=BB21_3 Depth=1
	s_or_b32 exec_lo, exec_lo, s46
	s_barrier_signal -1
	s_barrier_wait -1
	s_mov_b32 s46, exec_lo
	v_readlane_b32 s47, v93, 26
	s_and_b32 s47, s46, s47
	s_delay_alu instid0(SALU_CYCLE_1)
	s_mov_b32 exec_lo, s47
; %bb.568:                              ;   in Loop: Header=BB21_3 Depth=1
	ds_store_b32 v67, v24
; %bb.569:                              ;   in Loop: Header=BB21_3 Depth=1
	s_or_b32 exec_lo, exec_lo, s46
	s_wait_dscnt 0x0
	s_barrier_signal -1
	s_barrier_wait -1
	s_mov_b32 s46, exec_lo
	v_readlane_b32 s47, v93, 27
	s_and_b32 s47, s46, s47
	s_delay_alu instid0(SALU_CYCLE_1)
	s_mov_b32 exec_lo, s47
	s_cbranch_execz .LBB21_571
; %bb.570:                              ;   in Loop: Header=BB21_3 Depth=1
	ds_load_b32 v28, v64 offset:10368
	ds_load_b32 v29, v67
	s_wait_dscnt 0x0
	v_fmac_f32_e32 v24, v28, v29
.LBB21_571:                             ;   in Loop: Header=BB21_3 Depth=1
	s_or_b32 exec_lo, exec_lo, s46
	s_barrier_signal -1
	s_barrier_wait -1
	s_mov_b32 s46, exec_lo
	v_readlane_b32 s47, v93, 28
	s_and_b32 s47, s46, s47
	s_delay_alu instid0(SALU_CYCLE_1)
	s_mov_b32 exec_lo, s47
; %bb.572:                              ;   in Loop: Header=BB21_3 Depth=1
	ds_store_b32 v67, v24
; %bb.573:                              ;   in Loop: Header=BB21_3 Depth=1
	s_or_b32 exec_lo, exec_lo, s46
	s_wait_dscnt 0x0
	s_barrier_signal -1
	s_barrier_wait -1
	s_mov_b32 s46, exec_lo
	v_readlane_b32 s47, v93, 29
	s_and_b32 s47, s46, s47
	s_delay_alu instid0(SALU_CYCLE_1)
	s_mov_b32 exec_lo, s47
	s_cbranch_execz .LBB21_575
; %bb.574:                              ;   in Loop: Header=BB21_3 Depth=1
	ds_load_b32 v28, v64 offset:10624
	ds_load_b32 v29, v67
	s_wait_dscnt 0x0
	v_fmac_f32_e32 v24, v28, v29
.LBB21_575:                             ;   in Loop: Header=BB21_3 Depth=1
	s_or_b32 exec_lo, exec_lo, s46
	s_barrier_signal -1
	s_barrier_wait -1
	s_mov_b32 s46, exec_lo
	v_readlane_b32 s47, v93, 30
	s_and_b32 s47, s46, s47
	s_delay_alu instid0(SALU_CYCLE_1)
	s_mov_b32 exec_lo, s47
; %bb.576:                              ;   in Loop: Header=BB21_3 Depth=1
	ds_store_b32 v67, v24
; %bb.577:                              ;   in Loop: Header=BB21_3 Depth=1
	s_or_b32 exec_lo, exec_lo, s46
	s_wait_dscnt 0x0
	s_barrier_signal -1
	s_barrier_wait -1
	s_mov_b32 s46, exec_lo
	v_readlane_b32 s47, v93, 31
	s_and_b32 s47, s46, s47
	s_delay_alu instid0(SALU_CYCLE_1)
	s_mov_b32 exec_lo, s47
	s_cbranch_execz .LBB21_579
; %bb.578:                              ;   in Loop: Header=BB21_3 Depth=1
	ds_load_b32 v28, v64 offset:10880
	ds_load_b32 v29, v67
	s_wait_dscnt 0x0
	v_fmac_f32_e32 v24, v28, v29
.LBB21_579:                             ;   in Loop: Header=BB21_3 Depth=1
	s_or_b32 exec_lo, exec_lo, s46
	s_barrier_signal -1
	s_barrier_wait -1
	s_mov_b32 s46, exec_lo
	v_readlane_b32 s47, v92, 0
	s_and_b32 s47, s46, s47
	s_delay_alu instid0(SALU_CYCLE_1)
	s_mov_b32 exec_lo, s47
; %bb.580:                              ;   in Loop: Header=BB21_3 Depth=1
	ds_store_b32 v67, v24
; %bb.581:                              ;   in Loop: Header=BB21_3 Depth=1
	s_or_b32 exec_lo, exec_lo, s46
	s_wait_dscnt 0x0
	s_barrier_signal -1
	s_barrier_wait -1
	s_mov_b32 s46, exec_lo
	v_readlane_b32 s47, v92, 1
	s_and_b32 s47, s46, s47
	s_delay_alu instid0(SALU_CYCLE_1)
	s_mov_b32 exec_lo, s47
	s_cbranch_execz .LBB21_583
; %bb.582:                              ;   in Loop: Header=BB21_3 Depth=1
	ds_load_b32 v28, v64 offset:11136
	ds_load_b32 v29, v67
	s_wait_dscnt 0x0
	v_fmac_f32_e32 v24, v28, v29
.LBB21_583:                             ;   in Loop: Header=BB21_3 Depth=1
	s_or_b32 exec_lo, exec_lo, s46
	s_barrier_signal -1
	s_barrier_wait -1
	s_mov_b32 s46, exec_lo
	v_readlane_b32 s47, v92, 2
	s_and_b32 s47, s46, s47
	s_delay_alu instid0(SALU_CYCLE_1)
	s_mov_b32 exec_lo, s47
; %bb.584:                              ;   in Loop: Header=BB21_3 Depth=1
	ds_store_b32 v67, v24
; %bb.585:                              ;   in Loop: Header=BB21_3 Depth=1
	s_or_b32 exec_lo, exec_lo, s46
	s_wait_dscnt 0x0
	s_barrier_signal -1
	s_barrier_wait -1
	s_mov_b32 s46, exec_lo
	v_readlane_b32 s47, v92, 3
	s_and_b32 s47, s46, s47
	s_delay_alu instid0(SALU_CYCLE_1)
	s_mov_b32 exec_lo, s47
	s_cbranch_execz .LBB21_587
; %bb.586:                              ;   in Loop: Header=BB21_3 Depth=1
	ds_load_b32 v28, v64 offset:11392
	ds_load_b32 v29, v67
	s_wait_dscnt 0x0
	v_fmac_f32_e32 v24, v28, v29
.LBB21_587:                             ;   in Loop: Header=BB21_3 Depth=1
	s_or_b32 exec_lo, exec_lo, s46
	s_barrier_signal -1
	s_barrier_wait -1
	s_mov_b32 s46, exec_lo
	v_readlane_b32 s47, v92, 4
	s_and_b32 s47, s46, s47
	s_delay_alu instid0(SALU_CYCLE_1)
	s_mov_b32 exec_lo, s47
; %bb.588:                              ;   in Loop: Header=BB21_3 Depth=1
	ds_store_b32 v67, v24
; %bb.589:                              ;   in Loop: Header=BB21_3 Depth=1
	s_or_b32 exec_lo, exec_lo, s46
	s_wait_dscnt 0x0
	s_barrier_signal -1
	s_barrier_wait -1
	s_mov_b32 s46, exec_lo
	v_readlane_b32 s47, v92, 5
	s_and_b32 s47, s46, s47
	s_delay_alu instid0(SALU_CYCLE_1)
	s_mov_b32 exec_lo, s47
	s_cbranch_execz .LBB21_591
; %bb.590:                              ;   in Loop: Header=BB21_3 Depth=1
	ds_load_b32 v28, v64 offset:11648
	ds_load_b32 v29, v67
	s_wait_dscnt 0x0
	v_fmac_f32_e32 v24, v28, v29
.LBB21_591:                             ;   in Loop: Header=BB21_3 Depth=1
	s_or_b32 exec_lo, exec_lo, s46
	s_barrier_signal -1
	s_barrier_wait -1
	s_mov_b32 s46, exec_lo
	v_readlane_b32 s47, v92, 6
	s_and_b32 s47, s46, s47
	s_delay_alu instid0(SALU_CYCLE_1)
	s_mov_b32 exec_lo, s47
; %bb.592:                              ;   in Loop: Header=BB21_3 Depth=1
	ds_store_b32 v67, v24
; %bb.593:                              ;   in Loop: Header=BB21_3 Depth=1
	s_or_b32 exec_lo, exec_lo, s46
	s_wait_dscnt 0x0
	s_barrier_signal -1
	s_barrier_wait -1
	s_mov_b32 s46, exec_lo
	v_readlane_b32 s47, v92, 7
	s_and_b32 s47, s46, s47
	s_delay_alu instid0(SALU_CYCLE_1)
	s_mov_b32 exec_lo, s47
	s_cbranch_execz .LBB21_595
; %bb.594:                              ;   in Loop: Header=BB21_3 Depth=1
	ds_load_b32 v28, v64 offset:11904
	ds_load_b32 v29, v67
	s_wait_dscnt 0x0
	v_fmac_f32_e32 v24, v28, v29
.LBB21_595:                             ;   in Loop: Header=BB21_3 Depth=1
	s_or_b32 exec_lo, exec_lo, s46
	s_barrier_signal -1
	s_barrier_wait -1
	s_mov_b32 s46, exec_lo
	v_readlane_b32 s47, v92, 8
	s_and_b32 s47, s46, s47
	s_delay_alu instid0(SALU_CYCLE_1)
	s_mov_b32 exec_lo, s47
; %bb.596:                              ;   in Loop: Header=BB21_3 Depth=1
	ds_store_b32 v67, v24
; %bb.597:                              ;   in Loop: Header=BB21_3 Depth=1
	s_or_b32 exec_lo, exec_lo, s46
	s_wait_dscnt 0x0
	s_barrier_signal -1
	s_barrier_wait -1
	s_mov_b32 s46, exec_lo
	v_readlane_b32 s47, v92, 9
	s_and_b32 s47, s46, s47
	s_delay_alu instid0(SALU_CYCLE_1)
	s_mov_b32 exec_lo, s47
	s_cbranch_execz .LBB21_599
; %bb.598:                              ;   in Loop: Header=BB21_3 Depth=1
	ds_load_b32 v28, v64 offset:12160
	ds_load_b32 v29, v67
	s_wait_dscnt 0x0
	v_fmac_f32_e32 v24, v28, v29
.LBB21_599:                             ;   in Loop: Header=BB21_3 Depth=1
	s_or_b32 exec_lo, exec_lo, s46
	s_barrier_signal -1
	s_barrier_wait -1
	s_mov_b32 s46, exec_lo
	v_readlane_b32 s47, v92, 10
	s_and_b32 s47, s46, s47
	s_delay_alu instid0(SALU_CYCLE_1)
	s_mov_b32 exec_lo, s47
; %bb.600:                              ;   in Loop: Header=BB21_3 Depth=1
	ds_store_b32 v67, v24
; %bb.601:                              ;   in Loop: Header=BB21_3 Depth=1
	s_or_b32 exec_lo, exec_lo, s46
	s_wait_dscnt 0x0
	s_barrier_signal -1
	s_barrier_wait -1
	s_mov_b32 s46, exec_lo
	v_readlane_b32 s47, v92, 11
	s_and_b32 s47, s46, s47
	s_delay_alu instid0(SALU_CYCLE_1)
	s_mov_b32 exec_lo, s47
	s_cbranch_execz .LBB21_603
; %bb.602:                              ;   in Loop: Header=BB21_3 Depth=1
	ds_load_b32 v28, v64 offset:12416
	ds_load_b32 v29, v67
	s_wait_dscnt 0x0
	v_fmac_f32_e32 v24, v28, v29
.LBB21_603:                             ;   in Loop: Header=BB21_3 Depth=1
	s_or_b32 exec_lo, exec_lo, s46
	s_barrier_signal -1
	s_barrier_wait -1
	s_mov_b32 s46, exec_lo
	v_readlane_b32 s47, v92, 12
	s_and_b32 s47, s46, s47
	s_delay_alu instid0(SALU_CYCLE_1)
	s_mov_b32 exec_lo, s47
; %bb.604:                              ;   in Loop: Header=BB21_3 Depth=1
	ds_store_b32 v67, v24
; %bb.605:                              ;   in Loop: Header=BB21_3 Depth=1
	s_or_b32 exec_lo, exec_lo, s46
	s_wait_dscnt 0x0
	s_barrier_signal -1
	s_barrier_wait -1
	s_mov_b32 s46, exec_lo
	v_readlane_b32 s47, v92, 13
	s_and_b32 s47, s46, s47
	s_delay_alu instid0(SALU_CYCLE_1)
	s_mov_b32 exec_lo, s47
	s_cbranch_execz .LBB21_607
; %bb.606:                              ;   in Loop: Header=BB21_3 Depth=1
	ds_load_b32 v28, v64 offset:12672
	ds_load_b32 v29, v67
	s_wait_dscnt 0x0
	v_fmac_f32_e32 v24, v28, v29
.LBB21_607:                             ;   in Loop: Header=BB21_3 Depth=1
	s_or_b32 exec_lo, exec_lo, s46
	s_barrier_signal -1
	s_barrier_wait -1
	s_mov_b32 s46, exec_lo
	v_readlane_b32 s47, v92, 14
	s_and_b32 s47, s46, s47
	s_delay_alu instid0(SALU_CYCLE_1)
	s_mov_b32 exec_lo, s47
; %bb.608:                              ;   in Loop: Header=BB21_3 Depth=1
	ds_store_b32 v67, v24
; %bb.609:                              ;   in Loop: Header=BB21_3 Depth=1
	s_or_b32 exec_lo, exec_lo, s46
	s_wait_dscnt 0x0
	s_barrier_signal -1
	s_barrier_wait -1
	s_mov_b32 s46, exec_lo
	v_readlane_b32 s47, v92, 15
	s_and_b32 s47, s46, s47
	s_delay_alu instid0(SALU_CYCLE_1)
	s_mov_b32 exec_lo, s47
	s_cbranch_execz .LBB21_611
; %bb.610:                              ;   in Loop: Header=BB21_3 Depth=1
	ds_load_b32 v28, v64 offset:12928
	ds_load_b32 v29, v67
	s_wait_dscnt 0x0
	v_fmac_f32_e32 v24, v28, v29
.LBB21_611:                             ;   in Loop: Header=BB21_3 Depth=1
	s_or_b32 exec_lo, exec_lo, s46
	s_barrier_signal -1
	s_barrier_wait -1
	s_mov_b32 s46, exec_lo
	v_readlane_b32 s47, v92, 16
	s_and_b32 s47, s46, s47
	s_delay_alu instid0(SALU_CYCLE_1)
	s_mov_b32 exec_lo, s47
; %bb.612:                              ;   in Loop: Header=BB21_3 Depth=1
	ds_store_b32 v67, v24
; %bb.613:                              ;   in Loop: Header=BB21_3 Depth=1
	s_or_b32 exec_lo, exec_lo, s46
	s_wait_dscnt 0x0
	s_barrier_signal -1
	s_barrier_wait -1
	s_mov_b32 s46, exec_lo
	v_readlane_b32 s47, v92, 17
	s_and_b32 s47, s46, s47
	s_delay_alu instid0(SALU_CYCLE_1)
	s_mov_b32 exec_lo, s47
	s_cbranch_execz .LBB21_615
; %bb.614:                              ;   in Loop: Header=BB21_3 Depth=1
	ds_load_b32 v28, v64 offset:13184
	ds_load_b32 v29, v67
	s_wait_dscnt 0x0
	v_fmac_f32_e32 v24, v28, v29
.LBB21_615:                             ;   in Loop: Header=BB21_3 Depth=1
	s_or_b32 exec_lo, exec_lo, s46
	s_barrier_signal -1
	s_barrier_wait -1
	s_mov_b32 s46, exec_lo
	v_readlane_b32 s47, v92, 18
	s_and_b32 s47, s46, s47
	s_delay_alu instid0(SALU_CYCLE_1)
	s_mov_b32 exec_lo, s47
; %bb.616:                              ;   in Loop: Header=BB21_3 Depth=1
	ds_store_b32 v67, v24
; %bb.617:                              ;   in Loop: Header=BB21_3 Depth=1
	s_or_b32 exec_lo, exec_lo, s46
	s_wait_dscnt 0x0
	s_barrier_signal -1
	s_barrier_wait -1
	s_mov_b32 s46, exec_lo
	v_readlane_b32 s47, v92, 19
	s_and_b32 s47, s46, s47
	s_delay_alu instid0(SALU_CYCLE_1)
	s_mov_b32 exec_lo, s47
	s_cbranch_execz .LBB21_619
; %bb.618:                              ;   in Loop: Header=BB21_3 Depth=1
	ds_load_b32 v28, v64 offset:13440
	ds_load_b32 v29, v67
	s_wait_dscnt 0x0
	v_fmac_f32_e32 v24, v28, v29
.LBB21_619:                             ;   in Loop: Header=BB21_3 Depth=1
	s_or_b32 exec_lo, exec_lo, s46
	s_barrier_signal -1
	s_barrier_wait -1
	s_mov_b32 s46, exec_lo
	v_readlane_b32 s47, v92, 20
	s_and_b32 s47, s46, s47
	s_delay_alu instid0(SALU_CYCLE_1)
	s_mov_b32 exec_lo, s47
; %bb.620:                              ;   in Loop: Header=BB21_3 Depth=1
	ds_store_b32 v67, v24
; %bb.621:                              ;   in Loop: Header=BB21_3 Depth=1
	s_or_b32 exec_lo, exec_lo, s46
	s_wait_dscnt 0x0
	s_barrier_signal -1
	s_barrier_wait -1
	s_mov_b32 s46, exec_lo
	v_readlane_b32 s47, v92, 21
	s_and_b32 s47, s46, s47
	s_delay_alu instid0(SALU_CYCLE_1)
	s_mov_b32 exec_lo, s47
	s_cbranch_execz .LBB21_623
; %bb.622:                              ;   in Loop: Header=BB21_3 Depth=1
	ds_load_b32 v28, v64 offset:13696
	ds_load_b32 v29, v67
	s_wait_dscnt 0x0
	v_fmac_f32_e32 v24, v28, v29
.LBB21_623:                             ;   in Loop: Header=BB21_3 Depth=1
	s_or_b32 exec_lo, exec_lo, s46
	s_barrier_signal -1
	s_barrier_wait -1
	s_mov_b32 s46, exec_lo
	v_readlane_b32 s47, v92, 22
	s_and_b32 s47, s46, s47
	s_delay_alu instid0(SALU_CYCLE_1)
	s_mov_b32 exec_lo, s47
; %bb.624:                              ;   in Loop: Header=BB21_3 Depth=1
	ds_store_b32 v67, v24
; %bb.625:                              ;   in Loop: Header=BB21_3 Depth=1
	s_or_b32 exec_lo, exec_lo, s46
	s_wait_dscnt 0x0
	s_barrier_signal -1
	s_barrier_wait -1
	s_mov_b32 s46, exec_lo
	v_readlane_b32 s47, v92, 23
	s_and_b32 s47, s46, s47
	s_delay_alu instid0(SALU_CYCLE_1)
	s_mov_b32 exec_lo, s47
	s_cbranch_execz .LBB21_627
; %bb.626:                              ;   in Loop: Header=BB21_3 Depth=1
	ds_load_b32 v28, v64 offset:13952
	ds_load_b32 v29, v67
	s_wait_dscnt 0x0
	v_fmac_f32_e32 v24, v28, v29
.LBB21_627:                             ;   in Loop: Header=BB21_3 Depth=1
	s_or_b32 exec_lo, exec_lo, s46
	s_barrier_signal -1
	s_barrier_wait -1
	s_mov_b32 s46, exec_lo
	v_readlane_b32 s47, v92, 24
	s_and_b32 s47, s46, s47
	s_delay_alu instid0(SALU_CYCLE_1)
	s_mov_b32 exec_lo, s47
; %bb.628:                              ;   in Loop: Header=BB21_3 Depth=1
	ds_store_b32 v67, v24
; %bb.629:                              ;   in Loop: Header=BB21_3 Depth=1
	s_or_b32 exec_lo, exec_lo, s46
	s_wait_dscnt 0x0
	s_barrier_signal -1
	s_barrier_wait -1
	s_mov_b32 s46, exec_lo
	v_readlane_b32 s47, v92, 25
	s_and_b32 s47, s46, s47
	s_delay_alu instid0(SALU_CYCLE_1)
	s_mov_b32 exec_lo, s47
	s_cbranch_execz .LBB21_631
; %bb.630:                              ;   in Loop: Header=BB21_3 Depth=1
	ds_load_b32 v28, v64 offset:14208
	ds_load_b32 v29, v67
	s_wait_dscnt 0x0
	v_fmac_f32_e32 v24, v28, v29
.LBB21_631:                             ;   in Loop: Header=BB21_3 Depth=1
	s_or_b32 exec_lo, exec_lo, s46
	s_barrier_signal -1
	s_barrier_wait -1
	s_mov_b32 s46, exec_lo
	v_readlane_b32 s47, v92, 26
	s_and_b32 s47, s46, s47
	s_delay_alu instid0(SALU_CYCLE_1)
	s_mov_b32 exec_lo, s47
; %bb.632:                              ;   in Loop: Header=BB21_3 Depth=1
	ds_store_b32 v67, v24
; %bb.633:                              ;   in Loop: Header=BB21_3 Depth=1
	s_or_b32 exec_lo, exec_lo, s46
	s_wait_dscnt 0x0
	s_barrier_signal -1
	s_barrier_wait -1
	s_mov_b32 s46, exec_lo
	v_readlane_b32 s47, v92, 27
	s_and_b32 s47, s46, s47
	s_delay_alu instid0(SALU_CYCLE_1)
	s_mov_b32 exec_lo, s47
	s_cbranch_execz .LBB21_635
; %bb.634:                              ;   in Loop: Header=BB21_3 Depth=1
	ds_load_b32 v28, v64 offset:14464
	ds_load_b32 v29, v67
	s_wait_dscnt 0x0
	v_fmac_f32_e32 v24, v28, v29
.LBB21_635:                             ;   in Loop: Header=BB21_3 Depth=1
	s_or_b32 exec_lo, exec_lo, s46
	s_barrier_signal -1
	s_barrier_wait -1
	s_mov_b32 s46, exec_lo
	v_readlane_b32 s47, v92, 28
	s_and_b32 s47, s46, s47
	s_delay_alu instid0(SALU_CYCLE_1)
	s_mov_b32 exec_lo, s47
; %bb.636:                              ;   in Loop: Header=BB21_3 Depth=1
	ds_store_b32 v67, v24
; %bb.637:                              ;   in Loop: Header=BB21_3 Depth=1
	s_or_b32 exec_lo, exec_lo, s46
	s_wait_dscnt 0x0
	s_barrier_signal -1
	s_barrier_wait -1
	s_mov_b32 s46, exec_lo
	v_readlane_b32 s47, v92, 29
	s_and_b32 s47, s46, s47
	s_delay_alu instid0(SALU_CYCLE_1)
	s_mov_b32 exec_lo, s47
	s_cbranch_execz .LBB21_639
; %bb.638:                              ;   in Loop: Header=BB21_3 Depth=1
	ds_load_b32 v28, v64 offset:14720
	ds_load_b32 v29, v67
	s_wait_dscnt 0x0
	v_fmac_f32_e32 v24, v28, v29
.LBB21_639:                             ;   in Loop: Header=BB21_3 Depth=1
	s_or_b32 exec_lo, exec_lo, s46
	s_barrier_signal -1
	s_barrier_wait -1
	s_mov_b32 s46, exec_lo
	v_readlane_b32 s47, v92, 30
	s_and_b32 s47, s46, s47
	s_delay_alu instid0(SALU_CYCLE_1)
	s_mov_b32 exec_lo, s47
; %bb.640:                              ;   in Loop: Header=BB21_3 Depth=1
	ds_store_b32 v67, v24
; %bb.641:                              ;   in Loop: Header=BB21_3 Depth=1
	s_or_b32 exec_lo, exec_lo, s46
	s_wait_dscnt 0x0
	s_barrier_signal -1
	s_barrier_wait -1
	s_mov_b32 s46, exec_lo
	v_readlane_b32 s47, v92, 31
	s_and_b32 s47, s46, s47
	s_delay_alu instid0(SALU_CYCLE_1)
	s_mov_b32 exec_lo, s47
	s_cbranch_execz .LBB21_643
; %bb.642:                              ;   in Loop: Header=BB21_3 Depth=1
	ds_load_b32 v28, v64 offset:14976
	ds_load_b32 v29, v67
	s_wait_dscnt 0x0
	v_fmac_f32_e32 v24, v28, v29
.LBB21_643:                             ;   in Loop: Header=BB21_3 Depth=1
	s_or_b32 exec_lo, exec_lo, s46
	s_barrier_signal -1
	s_barrier_wait -1
	s_mov_b32 s46, exec_lo
	v_readlane_b32 s47, v91, 0
	s_and_b32 s47, s46, s47
	s_delay_alu instid0(SALU_CYCLE_1)
	s_mov_b32 exec_lo, s47
; %bb.644:                              ;   in Loop: Header=BB21_3 Depth=1
	ds_store_b32 v67, v24
; %bb.645:                              ;   in Loop: Header=BB21_3 Depth=1
	s_or_b32 exec_lo, exec_lo, s46
	s_wait_dscnt 0x0
	s_barrier_signal -1
	s_barrier_wait -1
	s_mov_b32 s46, exec_lo
	v_readlane_b32 s47, v91, 1
	s_and_b32 s47, s46, s47
	s_delay_alu instid0(SALU_CYCLE_1)
	s_mov_b32 exec_lo, s47
	s_cbranch_execz .LBB21_647
; %bb.646:                              ;   in Loop: Header=BB21_3 Depth=1
	ds_load_b32 v28, v64 offset:15232
	ds_load_b32 v29, v67
	s_wait_dscnt 0x0
	v_fmac_f32_e32 v24, v28, v29
.LBB21_647:                             ;   in Loop: Header=BB21_3 Depth=1
	s_or_b32 exec_lo, exec_lo, s46
	s_barrier_signal -1
	s_barrier_wait -1
	s_mov_b32 s46, exec_lo
	v_readlane_b32 s47, v91, 2
	s_and_b32 s47, s46, s47
	s_delay_alu instid0(SALU_CYCLE_1)
	s_mov_b32 exec_lo, s47
; %bb.648:                              ;   in Loop: Header=BB21_3 Depth=1
	ds_store_b32 v67, v24
; %bb.649:                              ;   in Loop: Header=BB21_3 Depth=1
	s_or_b32 exec_lo, exec_lo, s46
	s_wait_dscnt 0x0
	s_barrier_signal -1
	s_barrier_wait -1
	s_mov_b32 s46, exec_lo
	v_readlane_b32 s47, v91, 3
	s_and_b32 s47, s46, s47
	s_delay_alu instid0(SALU_CYCLE_1)
	s_mov_b32 exec_lo, s47
	s_cbranch_execz .LBB21_651
; %bb.650:                              ;   in Loop: Header=BB21_3 Depth=1
	ds_load_b32 v28, v64 offset:15488
	ds_load_b32 v29, v67
	s_wait_dscnt 0x0
	v_fmac_f32_e32 v24, v28, v29
.LBB21_651:                             ;   in Loop: Header=BB21_3 Depth=1
	s_or_b32 exec_lo, exec_lo, s46
	s_barrier_signal -1
	s_barrier_wait -1
	s_mov_b32 s46, exec_lo
	v_readlane_b32 s47, v91, 4
	s_and_b32 s47, s46, s47
	s_delay_alu instid0(SALU_CYCLE_1)
	s_mov_b32 exec_lo, s47
; %bb.652:                              ;   in Loop: Header=BB21_3 Depth=1
	ds_store_b32 v67, v24
; %bb.653:                              ;   in Loop: Header=BB21_3 Depth=1
	s_or_b32 exec_lo, exec_lo, s46
	s_wait_dscnt 0x0
	s_barrier_signal -1
	s_barrier_wait -1
	s_mov_b32 s46, exec_lo
	v_readlane_b32 s47, v91, 5
	s_and_b32 s47, s46, s47
	s_delay_alu instid0(SALU_CYCLE_1)
	s_mov_b32 exec_lo, s47
	s_cbranch_execz .LBB21_655
; %bb.654:                              ;   in Loop: Header=BB21_3 Depth=1
	ds_load_b32 v28, v64 offset:15744
	ds_load_b32 v29, v67
	s_wait_dscnt 0x0
	v_fmac_f32_e32 v24, v28, v29
.LBB21_655:                             ;   in Loop: Header=BB21_3 Depth=1
	s_or_b32 exec_lo, exec_lo, s46
	s_barrier_signal -1
	s_barrier_wait -1
	s_mov_b32 s46, exec_lo
	v_readlane_b32 s47, v91, 6
	s_and_b32 s47, s46, s47
	s_delay_alu instid0(SALU_CYCLE_1)
	s_mov_b32 exec_lo, s47
; %bb.656:                              ;   in Loop: Header=BB21_3 Depth=1
	ds_store_b32 v67, v24
; %bb.657:                              ;   in Loop: Header=BB21_3 Depth=1
	s_or_b32 exec_lo, exec_lo, s46
	s_wait_dscnt 0x0
	s_barrier_signal -1
	s_barrier_wait -1
	s_and_saveexec_b32 s46, s43
	s_cbranch_execz .LBB21_659
; %bb.658:                              ;   in Loop: Header=BB21_3 Depth=1
	ds_load_b32 v28, v7 offset:16124
	ds_load_b32 v29, v67
	s_wait_dscnt 0x0
	v_fmac_f32_e32 v24, v28, v29
.LBB21_659:                             ;   in Loop: Header=BB21_3 Depth=1
	s_or_b32 exec_lo, exec_lo, s46
	s_barrier_signal -1
	s_barrier_wait -1
	s_and_saveexec_b32 s46, s43
; %bb.660:                              ;   in Loop: Header=BB21_3 Depth=1
	ds_store_b32 v67, v24
; %bb.661:                              ;   in Loop: Header=BB21_3 Depth=1
	s_or_b32 exec_lo, exec_lo, s46
	s_wait_dscnt 0x0
	s_barrier_signal -1
	s_barrier_wait -1
	s_barrier_signal -1
	s_barrier_wait -1
	s_and_saveexec_b32 s46, s7
; %bb.662:                              ;   in Loop: Header=BB21_3 Depth=1
	v_xor_b32_e32 v24, 0x80000000, v24
	ds_store_b32 v68, v24 offset:128
; %bb.663:                              ;   in Loop: Header=BB21_3 Depth=1
	s_or_b32 exec_lo, exec_lo, s46
	s_wait_dscnt 0x0
	s_barrier_signal -1
	s_barrier_wait -1
	s_barrier_signal -1
	s_barrier_wait -1
	s_mov_b32 s61, exec_lo
	v_readlane_b32 s46, v91, 7
	s_and_b32 s46, s61, s46
	s_delay_alu instid0(SALU_CYCLE_1)
	s_mov_b32 exec_lo, s46
	s_cbranch_execz .LBB21_665
; %bb.664:                              ;   in Loop: Header=BB21_3 Depth=1
	ds_load_b32 v24, v43 offset:128
	s_wait_dscnt 0x0
	ds_store_b32 v69, v24 offset:8192
	ds_load_b32 v24, v43 offset:132
	s_wait_dscnt 0x0
	ds_store_b32 v69, v24 offset:8448
	;; [unrolled: 3-line block ×32, first 2 shown]
.LBB21_665:                             ;   in Loop: Header=BB21_3 Depth=1
	s_or_b32 exec_lo, exec_lo, s61
	s_wait_dscnt 0x0
	s_barrier_signal -1
	s_barrier_wait -1
	s_and_saveexec_b32 s46, s11
	s_cbranch_execz .LBB21_667
; %bb.666:                              ;   in Loop: Header=BB21_3 Depth=1
	ds_load_b32 v24, v7 offset:8324
	ds_store_b32 v7, v25 offset:8320
	s_wait_dscnt 0x1
	ds_store_b64 v7, v[24:25] offset:8576
.LBB21_667:                             ;   in Loop: Header=BB21_3 Depth=1
	s_or_b32 exec_lo, exec_lo, s46
	v_mov_b32_e32 v24, 0
	s_wait_dscnt 0x0
	s_barrier_signal -1
	s_barrier_wait -1
	s_and_saveexec_b32 s46, s2
	s_cbranch_execz .LBB21_671
; %bb.668:                              ;   in Loop: Header=BB21_3 Depth=1
	ds_load_b32 v24, v39 offset:8328
	ds_load_b32 v28, v40 offset:8320
	s_wait_dscnt 0x0
	v_fma_f32 v24, v24, v28, 0
	s_and_saveexec_b32 s47, s12
	s_cbranch_execz .LBB21_670
; %bb.669:                              ;   in Loop: Header=BB21_3 Depth=1
	ds_load_b32 v28, v5 offset:8584
	ds_load_b32 v29, v7 offset:8324
	s_wait_dscnt 0x0
	v_fmac_f32_e32 v24, v28, v29
.LBB21_670:                             ;   in Loop: Header=BB21_3 Depth=1
	s_or_b32 exec_lo, exec_lo, s47
	s_delay_alu instid0(VALU_DEP_1)
	v_xor_b32_e32 v24, 0x80000000, v24
.LBB21_671:                             ;   in Loop: Header=BB21_3 Depth=1
	s_or_b32 exec_lo, exec_lo, s46
	s_and_saveexec_b32 s46, s90
; %bb.672:                              ;   in Loop: Header=BB21_3 Depth=1
	ds_store_b32 v37, v24
; %bb.673:                              ;   in Loop: Header=BB21_3 Depth=1
	s_or_b32 exec_lo, exec_lo, s46
	s_wait_dscnt 0x0
	s_barrier_signal -1
	s_barrier_wait -1
	s_and_saveexec_b32 s46, s91
	s_cbranch_execz .LBB21_675
; %bb.674:                              ;   in Loop: Header=BB21_3 Depth=1
	ds_load_b32 v28, v7 offset:8844
	ds_load_b32 v29, v37
	s_wait_dscnt 0x0
	v_fmac_f32_e32 v24, v28, v29
.LBB21_675:                             ;   in Loop: Header=BB21_3 Depth=1
	s_or_b32 exec_lo, exec_lo, s46
	s_barrier_signal -1
	s_barrier_wait -1
	s_and_saveexec_b32 s46, s91
; %bb.676:                              ;   in Loop: Header=BB21_3 Depth=1
	ds_store_b32 v37, v24
; %bb.677:                              ;   in Loop: Header=BB21_3 Depth=1
	s_or_b32 exec_lo, exec_lo, s46
	s_wait_dscnt 0x0
	s_barrier_signal -1
	s_barrier_wait -1
	s_barrier_signal -1
	s_barrier_wait -1
	s_and_saveexec_b32 s46, s2
; %bb.678:                              ;   in Loop: Header=BB21_3 Depth=1
	v_xor_b32_e32 v24, 0x80000000, v24
	ds_store_b32 v39, v24 offset:8328
; %bb.679:                              ;   in Loop: Header=BB21_3 Depth=1
	s_or_b32 exec_lo, exec_lo, s46
	s_wait_dscnt 0x0
	s_barrier_signal -1
	s_barrier_wait -1
	s_barrier_signal -1
	s_barrier_wait -1
	s_and_saveexec_b32 s46, s92
	s_cbranch_execz .LBB21_681
; %bb.680:                              ;   in Loop: Header=BB21_3 Depth=1
	ds_load_b32 v24, v32 offset:8328
	s_wait_dscnt 0x0
	ds_store_b32 v5, v24 offset:8832
	ds_load_b32 v24, v32 offset:8332
	s_wait_dscnt 0x0
	ds_store_b32 v5, v24 offset:9088
.LBB21_681:                             ;   in Loop: Header=BB21_3 Depth=1
	s_or_b32 exec_lo, exec_lo, s46
	s_wait_dscnt 0x0
	s_barrier_signal -1
	s_barrier_wait -1
	s_and_saveexec_b32 s46, s11
	s_cbranch_execz .LBB21_683
; %bb.682:                              ;   in Loop: Header=BB21_3 Depth=1
	ds_load_b32 v24, v7 offset:8844
	ds_store_b32 v7, v25 offset:8840
	s_wait_dscnt 0x1
	ds_store_b64 v7, v[24:25] offset:9096
.LBB21_683:                             ;   in Loop: Header=BB21_3 Depth=1
	s_or_b32 exec_lo, exec_lo, s46
	v_mov_b32_e32 v24, 0
	s_wait_dscnt 0x0
	s_barrier_signal -1
	s_barrier_wait -1
	s_and_saveexec_b32 s61, s4
	s_cbranch_execz .LBB21_689
; %bb.684:                              ;   in Loop: Header=BB21_3 Depth=1
	ds_load_b32 v24, v48 offset:8336
	ds_load_b32 v28, v41 offset:8320
	s_wait_dscnt 0x0
	v_fma_f32 v24, v24, v28, 0
	s_and_saveexec_b32 s46, s13
	s_cbranch_execnz .LBB21_1201
; %bb.685:                              ;   in Loop: Header=BB21_3 Depth=1
	s_or_b32 exec_lo, exec_lo, s46
	s_and_saveexec_b32 s46, s14
	s_cbranch_execnz .LBB21_1202
.LBB21_686:                             ;   in Loop: Header=BB21_3 Depth=1
	s_or_b32 exec_lo, exec_lo, s46
	s_and_saveexec_b32 s46, s2
	s_cbranch_execz .LBB21_688
.LBB21_687:                             ;   in Loop: Header=BB21_3 Depth=1
	ds_load_b32 v28, v33 offset:9104
	ds_load_b32 v29, v7 offset:8332
	s_wait_dscnt 0x0
	v_fmac_f32_e32 v24, v28, v29
.LBB21_688:                             ;   in Loop: Header=BB21_3 Depth=1
	s_or_b32 exec_lo, exec_lo, s46
	s_delay_alu instid0(VALU_DEP_1)
	v_xor_b32_e32 v24, 0x80000000, v24
.LBB21_689:                             ;   in Loop: Header=BB21_3 Depth=1
	s_or_b32 exec_lo, exec_lo, s61
	s_and_saveexec_b32 s46, s93
; %bb.690:                              ;   in Loop: Header=BB21_3 Depth=1
	ds_store_b32 v47, v24
; %bb.691:                              ;   in Loop: Header=BB21_3 Depth=1
	s_or_b32 exec_lo, exec_lo, s46
	s_wait_dscnt 0x0
	s_barrier_signal -1
	s_barrier_wait -1
	s_and_saveexec_b32 s46, s94
	s_cbranch_execz .LBB21_693
; %bb.692:                              ;   in Loop: Header=BB21_3 Depth=1
	ds_load_b32 v28, v45 offset:9360
	ds_load_b32 v29, v47
	s_wait_dscnt 0x0
	v_fmac_f32_e32 v24, v28, v29
.LBB21_693:                             ;   in Loop: Header=BB21_3 Depth=1
	s_or_b32 exec_lo, exec_lo, s46
	s_barrier_signal -1
	s_barrier_wait -1
	s_and_saveexec_b32 s46, s95
; %bb.694:                              ;   in Loop: Header=BB21_3 Depth=1
	ds_store_b32 v47, v24
; %bb.695:                              ;   in Loop: Header=BB21_3 Depth=1
	s_or_b32 exec_lo, exec_lo, s46
	s_wait_dscnt 0x0
	s_barrier_signal -1
	s_barrier_wait -1
	s_and_saveexec_b32 s46, s96
	s_cbranch_execz .LBB21_697
; %bb.696:                              ;   in Loop: Header=BB21_3 Depth=1
	ds_load_b32 v28, v45 offset:9616
	ds_load_b32 v29, v47
	s_wait_dscnt 0x0
	v_fmac_f32_e32 v24, v28, v29
.LBB21_697:                             ;   in Loop: Header=BB21_3 Depth=1
	s_or_b32 exec_lo, exec_lo, s46
	s_barrier_signal -1
	s_barrier_wait -1
	s_and_saveexec_b32 s46, s97
; %bb.698:                              ;   in Loop: Header=BB21_3 Depth=1
	ds_store_b32 v47, v24
; %bb.699:                              ;   in Loop: Header=BB21_3 Depth=1
	s_or_b32 exec_lo, exec_lo, s46
	s_wait_dscnt 0x0
	s_barrier_signal -1
	s_barrier_wait -1
	s_and_saveexec_b32 s46, s98
	s_cbranch_execz .LBB21_701
; %bb.700:                              ;   in Loop: Header=BB21_3 Depth=1
	ds_load_b32 v28, v7 offset:9884
	ds_load_b32 v29, v47
	s_wait_dscnt 0x0
	v_fmac_f32_e32 v24, v28, v29
.LBB21_701:                             ;   in Loop: Header=BB21_3 Depth=1
	s_or_b32 exec_lo, exec_lo, s46
	s_barrier_signal -1
	s_barrier_wait -1
	s_and_saveexec_b32 s46, s98
; %bb.702:                              ;   in Loop: Header=BB21_3 Depth=1
	ds_store_b32 v47, v24
; %bb.703:                              ;   in Loop: Header=BB21_3 Depth=1
	s_or_b32 exec_lo, exec_lo, s46
	s_wait_dscnt 0x0
	s_barrier_signal -1
	s_barrier_wait -1
	s_barrier_signal -1
	s_barrier_wait -1
	s_and_saveexec_b32 s46, s4
; %bb.704:                              ;   in Loop: Header=BB21_3 Depth=1
	v_xor_b32_e32 v24, 0x80000000, v24
	ds_store_b32 v48, v24 offset:8336
; %bb.705:                              ;   in Loop: Header=BB21_3 Depth=1
	s_or_b32 exec_lo, exec_lo, s46
	s_wait_dscnt 0x0
	s_barrier_signal -1
	s_barrier_wait -1
	s_barrier_signal -1
	s_barrier_wait -1
	s_and_saveexec_b32 s46, s99
	s_cbranch_execz .LBB21_707
; %bb.706:                              ;   in Loop: Header=BB21_3 Depth=1
	ds_load_b32 v24, v34 offset:8336
	s_wait_dscnt 0x0
	ds_store_b32 v35, v24 offset:9344
	ds_load_b32 v24, v34 offset:8340
	s_wait_dscnt 0x0
	ds_store_b32 v35, v24 offset:9600
	;; [unrolled: 3-line block ×4, first 2 shown]
.LBB21_707:                             ;   in Loop: Header=BB21_3 Depth=1
	s_or_b32 exec_lo, exec_lo, s46
	s_wait_dscnt 0x0
	s_barrier_signal -1
	s_barrier_wait -1
	s_and_saveexec_b32 s46, s11
	s_cbranch_execz .LBB21_709
; %bb.708:                              ;   in Loop: Header=BB21_3 Depth=1
	ds_load_b32 v24, v7 offset:9364
	ds_store_b32 v7, v25 offset:9360
	s_wait_dscnt 0x1
	ds_store_b64 v7, v[24:25] offset:9616
.LBB21_709:                             ;   in Loop: Header=BB21_3 Depth=1
	s_or_b32 exec_lo, exec_lo, s46
	v_mov_b32_e32 v24, 0
	s_wait_dscnt 0x0
	s_barrier_signal -1
	s_barrier_wait -1
	s_and_saveexec_b32 s46, s2
	s_cbranch_execz .LBB21_713
; %bb.710:                              ;   in Loop: Header=BB21_3 Depth=1
	ds_load_b32 v24, v39 offset:9368
	ds_load_b32 v28, v40 offset:9360
	s_wait_dscnt 0x0
	v_fma_f32 v24, v24, v28, 0
	s_and_saveexec_b32 s47, s12
	s_cbranch_execz .LBB21_712
; %bb.711:                              ;   in Loop: Header=BB21_3 Depth=1
	ds_load_b32 v28, v35 offset:9624
	ds_load_b32 v29, v7 offset:9364
	s_wait_dscnt 0x0
	v_fmac_f32_e32 v24, v28, v29
.LBB21_712:                             ;   in Loop: Header=BB21_3 Depth=1
	s_or_b32 exec_lo, exec_lo, s47
	s_delay_alu instid0(VALU_DEP_1)
	v_xor_b32_e32 v24, 0x80000000, v24
.LBB21_713:                             ;   in Loop: Header=BB21_3 Depth=1
	s_or_b32 exec_lo, exec_lo, s46
	s_and_saveexec_b32 s46, s90
; %bb.714:                              ;   in Loop: Header=BB21_3 Depth=1
	ds_store_b32 v37, v24
; %bb.715:                              ;   in Loop: Header=BB21_3 Depth=1
	s_or_b32 exec_lo, exec_lo, s46
	s_wait_dscnt 0x0
	s_barrier_signal -1
	s_barrier_wait -1
	s_and_saveexec_b32 s46, s91
	s_cbranch_execz .LBB21_717
; %bb.716:                              ;   in Loop: Header=BB21_3 Depth=1
	ds_load_b32 v28, v7 offset:9884
	ds_load_b32 v29, v37
	s_wait_dscnt 0x0
	v_fmac_f32_e32 v24, v28, v29
.LBB21_717:                             ;   in Loop: Header=BB21_3 Depth=1
	s_or_b32 exec_lo, exec_lo, s46
	s_barrier_signal -1
	s_barrier_wait -1
	s_and_saveexec_b32 s46, s91
; %bb.718:                              ;   in Loop: Header=BB21_3 Depth=1
	ds_store_b32 v37, v24
; %bb.719:                              ;   in Loop: Header=BB21_3 Depth=1
	s_or_b32 exec_lo, exec_lo, s46
	s_wait_dscnt 0x0
	s_barrier_signal -1
	s_barrier_wait -1
	s_barrier_signal -1
	s_barrier_wait -1
	s_and_saveexec_b32 s46, s2
; %bb.720:                              ;   in Loop: Header=BB21_3 Depth=1
	v_xor_b32_e32 v24, 0x80000000, v24
	ds_store_b32 v39, v24 offset:9368
; %bb.721:                              ;   in Loop: Header=BB21_3 Depth=1
	s_or_b32 exec_lo, exec_lo, s46
	s_wait_dscnt 0x0
	s_barrier_signal -1
	s_barrier_wait -1
	s_barrier_signal -1
	s_barrier_wait -1
	s_and_saveexec_b32 s46, s92
	s_cbranch_execz .LBB21_723
; %bb.722:                              ;   in Loop: Header=BB21_3 Depth=1
	ds_load_b32 v24, v36 offset:9368
	s_wait_dscnt 0x0
	ds_store_b32 v35, v24 offset:9872
	ds_load_b32 v24, v36 offset:9372
	s_wait_dscnt 0x0
	ds_store_b32 v35, v24 offset:10128
.LBB21_723:                             ;   in Loop: Header=BB21_3 Depth=1
	s_or_b32 exec_lo, exec_lo, s46
	s_wait_dscnt 0x0
	s_barrier_signal -1
	s_barrier_wait -1
	s_and_saveexec_b32 s46, s11
	s_cbranch_execz .LBB21_725
; %bb.724:                              ;   in Loop: Header=BB21_3 Depth=1
	ds_load_b32 v24, v7 offset:9884
	ds_store_b32 v7, v25 offset:9880
	s_wait_dscnt 0x1
	ds_store_b64 v7, v[24:25] offset:10136
.LBB21_725:                             ;   in Loop: Header=BB21_3 Depth=1
	s_or_b32 exec_lo, exec_lo, s46
	v_mov_b32_e32 v24, 0
	s_wait_dscnt 0x0
	s_barrier_signal -1
	s_barrier_wait -1
	s_and_saveexec_b32 s61, s5
	s_cbranch_execz .LBB21_735
; %bb.726:                              ;   in Loop: Header=BB21_3 Depth=1
	ds_load_b32 v24, v55 offset:8352
	ds_load_b32 v28, v51 offset:8320
	s_wait_dscnt 0x0
	v_fma_f32 v24, v24, v28, 0
	s_and_saveexec_b32 s46, s15
	s_cbranch_execnz .LBB21_1203
; %bb.727:                              ;   in Loop: Header=BB21_3 Depth=1
	s_or_b32 exec_lo, exec_lo, s46
	s_and_saveexec_b32 s46, s16
	s_cbranch_execnz .LBB21_1204
.LBB21_728:                             ;   in Loop: Header=BB21_3 Depth=1
	s_or_b32 exec_lo, exec_lo, s46
	s_and_saveexec_b32 s46, s17
	s_cbranch_execnz .LBB21_1205
.LBB21_729:                             ;   in Loop: Header=BB21_3 Depth=1
	s_or_b32 exec_lo, exec_lo, s46
	s_and_saveexec_b32 s46, s18
	s_cbranch_execnz .LBB21_1206
.LBB21_730:                             ;   in Loop: Header=BB21_3 Depth=1
	s_or_b32 exec_lo, exec_lo, s46
	s_and_saveexec_b32 s46, s19
	s_cbranch_execnz .LBB21_1207
.LBB21_731:                             ;   in Loop: Header=BB21_3 Depth=1
	s_or_b32 exec_lo, exec_lo, s46
	s_and_saveexec_b32 s46, s4
	s_cbranch_execnz .LBB21_1208
.LBB21_732:                             ;   in Loop: Header=BB21_3 Depth=1
	s_or_b32 exec_lo, exec_lo, s46
	s_and_saveexec_b32 s46, s14
	s_cbranch_execz .LBB21_734
.LBB21_733:                             ;   in Loop: Header=BB21_3 Depth=1
	ds_load_b32 v28, v38 offset:10144
	ds_load_b32 v29, v7 offset:8348
	s_wait_dscnt 0x0
	v_fmac_f32_e32 v24, v28, v29
.LBB21_734:                             ;   in Loop: Header=BB21_3 Depth=1
	s_or_b32 exec_lo, exec_lo, s46
	s_delay_alu instid0(VALU_DEP_1)
	v_xor_b32_e32 v24, 0x80000000, v24
.LBB21_735:                             ;   in Loop: Header=BB21_3 Depth=1
	s_or_b32 exec_lo, exec_lo, s61
	s_and_saveexec_b32 s46, s100
; %bb.736:                              ;   in Loop: Header=BB21_3 Depth=1
	ds_store_b32 v54, v24
; %bb.737:                              ;   in Loop: Header=BB21_3 Depth=1
	s_or_b32 exec_lo, exec_lo, s46
	s_wait_dscnt 0x0
	s_barrier_signal -1
	s_barrier_wait -1
	s_and_saveexec_b32 s46, s101
	s_cbranch_execz .LBB21_739
; %bb.738:                              ;   in Loop: Header=BB21_3 Depth=1
	ds_load_b32 v28, v52 offset:10400
	ds_load_b32 v29, v54
	s_wait_dscnt 0x0
	v_fmac_f32_e32 v24, v28, v29
.LBB21_739:                             ;   in Loop: Header=BB21_3 Depth=1
	s_or_b32 exec_lo, exec_lo, s46
	s_barrier_signal -1
	s_barrier_wait -1
	s_and_saveexec_b32 s46, s102
; %bb.740:                              ;   in Loop: Header=BB21_3 Depth=1
	ds_store_b32 v54, v24
; %bb.741:                              ;   in Loop: Header=BB21_3 Depth=1
	s_or_b32 exec_lo, exec_lo, s46
	s_wait_dscnt 0x0
	s_barrier_signal -1
	s_barrier_wait -1
	s_and_saveexec_b32 s46, s103
	s_cbranch_execz .LBB21_743
; %bb.742:                              ;   in Loop: Header=BB21_3 Depth=1
	ds_load_b32 v28, v52 offset:10656
	ds_load_b32 v29, v54
	s_wait_dscnt 0x0
	v_fmac_f32_e32 v24, v28, v29
.LBB21_743:                             ;   in Loop: Header=BB21_3 Depth=1
	s_or_b32 exec_lo, exec_lo, s46
	s_barrier_signal -1
	s_barrier_wait -1
	s_and_saveexec_b32 s46, s104
; %bb.744:                              ;   in Loop: Header=BB21_3 Depth=1
	ds_store_b32 v54, v24
; %bb.745:                              ;   in Loop: Header=BB21_3 Depth=1
	s_or_b32 exec_lo, exec_lo, s46
	s_wait_dscnt 0x0
	s_barrier_signal -1
	s_barrier_wait -1
	s_and_saveexec_b32 s46, vcc_hi
	s_cbranch_execz .LBB21_747
; %bb.746:                              ;   in Loop: Header=BB21_3 Depth=1
	ds_load_b32 v28, v52 offset:10912
	ds_load_b32 v29, v54
	s_wait_dscnt 0x0
	v_fmac_f32_e32 v24, v28, v29
.LBB21_747:                             ;   in Loop: Header=BB21_3 Depth=1
	s_or_b32 exec_lo, exec_lo, s46
	s_barrier_signal -1
	s_barrier_wait -1
	s_and_saveexec_b32 s46, s31
; %bb.748:                              ;   in Loop: Header=BB21_3 Depth=1
	ds_store_b32 v54, v24
; %bb.749:                              ;   in Loop: Header=BB21_3 Depth=1
	s_or_b32 exec_lo, exec_lo, s46
	s_wait_dscnt 0x0
	s_barrier_signal -1
	s_barrier_wait -1
	s_and_saveexec_b32 s46, s33
	s_cbranch_execz .LBB21_751
; %bb.750:                              ;   in Loop: Header=BB21_3 Depth=1
	ds_load_b32 v28, v52 offset:11168
	ds_load_b32 v29, v54
	s_wait_dscnt 0x0
	v_fmac_f32_e32 v24, v28, v29
.LBB21_751:                             ;   in Loop: Header=BB21_3 Depth=1
	s_or_b32 exec_lo, exec_lo, s46
	s_barrier_signal -1
	s_barrier_wait -1
	s_and_saveexec_b32 s46, s34
; %bb.752:                              ;   in Loop: Header=BB21_3 Depth=1
	ds_store_b32 v54, v24
; %bb.753:                              ;   in Loop: Header=BB21_3 Depth=1
	s_or_b32 exec_lo, exec_lo, s46
	s_wait_dscnt 0x0
	s_barrier_signal -1
	s_barrier_wait -1
	s_and_saveexec_b32 s46, s35
	;; [unrolled: 19-line block ×4, first 2 shown]
	s_cbranch_execz .LBB21_763
; %bb.762:                              ;   in Loop: Header=BB21_3 Depth=1
	ds_load_b32 v28, v7 offset:11964
	ds_load_b32 v29, v54
	s_wait_dscnt 0x0
	v_fmac_f32_e32 v24, v28, v29
.LBB21_763:                             ;   in Loop: Header=BB21_3 Depth=1
	s_or_b32 exec_lo, exec_lo, s46
	s_barrier_signal -1
	s_barrier_wait -1
	s_and_saveexec_b32 s46, s39
; %bb.764:                              ;   in Loop: Header=BB21_3 Depth=1
	ds_store_b32 v54, v24
; %bb.765:                              ;   in Loop: Header=BB21_3 Depth=1
	s_or_b32 exec_lo, exec_lo, s46
	s_wait_dscnt 0x0
	s_barrier_signal -1
	s_barrier_wait -1
	s_barrier_signal -1
	s_barrier_wait -1
	s_and_saveexec_b32 s46, s5
; %bb.766:                              ;   in Loop: Header=BB21_3 Depth=1
	v_xor_b32_e32 v24, 0x80000000, v24
	ds_store_b32 v55, v24 offset:8352
; %bb.767:                              ;   in Loop: Header=BB21_3 Depth=1
	s_or_b32 exec_lo, exec_lo, s46
	s_wait_dscnt 0x0
	s_barrier_signal -1
	s_barrier_wait -1
	s_barrier_signal -1
	s_barrier_wait -1
	s_and_saveexec_b32 s46, s40
	s_cbranch_execz .LBB21_769
; %bb.768:                              ;   in Loop: Header=BB21_3 Depth=1
	ds_load_b32 v24, v42 offset:8352
	s_wait_dscnt 0x0
	ds_store_b32 v46, v24 offset:10368
	ds_load_b32 v24, v42 offset:8356
	s_wait_dscnt 0x0
	ds_store_b32 v46, v24 offset:10624
	;; [unrolled: 3-line block ×8, first 2 shown]
.LBB21_769:                             ;   in Loop: Header=BB21_3 Depth=1
	s_or_b32 exec_lo, exec_lo, s46
	s_wait_dscnt 0x0
	s_barrier_signal -1
	s_barrier_wait -1
	s_and_saveexec_b32 s46, s11
	s_cbranch_execz .LBB21_771
; %bb.770:                              ;   in Loop: Header=BB21_3 Depth=1
	ds_load_b32 v24, v7 offset:10404
	ds_store_b32 v7, v25 offset:10400
	s_wait_dscnt 0x1
	ds_store_b64 v7, v[24:25] offset:10656
.LBB21_771:                             ;   in Loop: Header=BB21_3 Depth=1
	s_or_b32 exec_lo, exec_lo, s46
	v_mov_b32_e32 v24, 0
	s_wait_dscnt 0x0
	s_barrier_signal -1
	s_barrier_wait -1
	s_and_saveexec_b32 s46, s2
	s_cbranch_execz .LBB21_775
; %bb.772:                              ;   in Loop: Header=BB21_3 Depth=1
	ds_load_b32 v24, v39 offset:10408
	ds_load_b32 v28, v40 offset:10400
	s_wait_dscnt 0x0
	v_fma_f32 v24, v24, v28, 0
	s_and_saveexec_b32 s47, s12
	s_cbranch_execz .LBB21_774
; %bb.773:                              ;   in Loop: Header=BB21_3 Depth=1
	ds_load_b32 v28, v46 offset:10664
	ds_load_b32 v29, v7 offset:10404
	s_wait_dscnt 0x0
	v_fmac_f32_e32 v24, v28, v29
.LBB21_774:                             ;   in Loop: Header=BB21_3 Depth=1
	s_or_b32 exec_lo, exec_lo, s47
	s_delay_alu instid0(VALU_DEP_1)
	v_xor_b32_e32 v24, 0x80000000, v24
.LBB21_775:                             ;   in Loop: Header=BB21_3 Depth=1
	s_or_b32 exec_lo, exec_lo, s46
	s_and_saveexec_b32 s46, s90
; %bb.776:                              ;   in Loop: Header=BB21_3 Depth=1
	ds_store_b32 v37, v24
; %bb.777:                              ;   in Loop: Header=BB21_3 Depth=1
	s_or_b32 exec_lo, exec_lo, s46
	s_wait_dscnt 0x0
	s_barrier_signal -1
	s_barrier_wait -1
	s_and_saveexec_b32 s46, s91
	s_cbranch_execz .LBB21_779
; %bb.778:                              ;   in Loop: Header=BB21_3 Depth=1
	ds_load_b32 v28, v7 offset:10924
	ds_load_b32 v29, v37
	s_wait_dscnt 0x0
	v_fmac_f32_e32 v24, v28, v29
.LBB21_779:                             ;   in Loop: Header=BB21_3 Depth=1
	s_or_b32 exec_lo, exec_lo, s46
	s_barrier_signal -1
	s_barrier_wait -1
	s_and_saveexec_b32 s46, s91
; %bb.780:                              ;   in Loop: Header=BB21_3 Depth=1
	ds_store_b32 v37, v24
; %bb.781:                              ;   in Loop: Header=BB21_3 Depth=1
	s_or_b32 exec_lo, exec_lo, s46
	s_wait_dscnt 0x0
	s_barrier_signal -1
	s_barrier_wait -1
	s_barrier_signal -1
	s_barrier_wait -1
	s_and_saveexec_b32 s46, s2
; %bb.782:                              ;   in Loop: Header=BB21_3 Depth=1
	v_xor_b32_e32 v24, 0x80000000, v24
	ds_store_b32 v39, v24 offset:10408
; %bb.783:                              ;   in Loop: Header=BB21_3 Depth=1
	s_or_b32 exec_lo, exec_lo, s46
	s_wait_dscnt 0x0
	s_barrier_signal -1
	s_barrier_wait -1
	s_barrier_signal -1
	s_barrier_wait -1
	s_and_saveexec_b32 s46, s92
	s_cbranch_execz .LBB21_785
; %bb.784:                              ;   in Loop: Header=BB21_3 Depth=1
	ds_load_b32 v24, v50 offset:10408
	s_wait_dscnt 0x0
	ds_store_b32 v46, v24 offset:10912
	ds_load_b32 v24, v50 offset:10412
	s_wait_dscnt 0x0
	ds_store_b32 v46, v24 offset:11168
.LBB21_785:                             ;   in Loop: Header=BB21_3 Depth=1
	s_or_b32 exec_lo, exec_lo, s46
	s_wait_dscnt 0x0
	s_barrier_signal -1
	s_barrier_wait -1
	s_and_saveexec_b32 s46, s11
	s_cbranch_execz .LBB21_787
; %bb.786:                              ;   in Loop: Header=BB21_3 Depth=1
	ds_load_b32 v24, v7 offset:10924
	ds_store_b32 v7, v25 offset:10920
	s_wait_dscnt 0x1
	ds_store_b64 v7, v[24:25] offset:11176
.LBB21_787:                             ;   in Loop: Header=BB21_3 Depth=1
	s_or_b32 exec_lo, exec_lo, s46
	v_mov_b32_e32 v24, 0
	s_wait_dscnt 0x0
	s_barrier_signal -1
	s_barrier_wait -1
	s_and_saveexec_b32 s61, s4
	s_cbranch_execz .LBB21_793
; %bb.788:                              ;   in Loop: Header=BB21_3 Depth=1
	ds_load_b32 v24, v48 offset:10416
	ds_load_b32 v28, v41 offset:10400
	s_wait_dscnt 0x0
	v_fma_f32 v24, v24, v28, 0
	s_and_saveexec_b32 s46, s13
	s_cbranch_execnz .LBB21_1209
; %bb.789:                              ;   in Loop: Header=BB21_3 Depth=1
	s_or_b32 exec_lo, exec_lo, s46
	s_and_saveexec_b32 s46, s14
	s_cbranch_execnz .LBB21_1210
.LBB21_790:                             ;   in Loop: Header=BB21_3 Depth=1
	s_or_b32 exec_lo, exec_lo, s46
	s_and_saveexec_b32 s46, s2
	s_cbranch_execz .LBB21_792
.LBB21_791:                             ;   in Loop: Header=BB21_3 Depth=1
	ds_load_b32 v28, v53 offset:11184
	ds_load_b32 v29, v7 offset:10412
	s_wait_dscnt 0x0
	v_fmac_f32_e32 v24, v28, v29
.LBB21_792:                             ;   in Loop: Header=BB21_3 Depth=1
	s_or_b32 exec_lo, exec_lo, s46
	s_delay_alu instid0(VALU_DEP_1)
	v_xor_b32_e32 v24, 0x80000000, v24
.LBB21_793:                             ;   in Loop: Header=BB21_3 Depth=1
	s_or_b32 exec_lo, exec_lo, s61
	s_and_saveexec_b32 s46, s93
; %bb.794:                              ;   in Loop: Header=BB21_3 Depth=1
	ds_store_b32 v47, v24
; %bb.795:                              ;   in Loop: Header=BB21_3 Depth=1
	s_or_b32 exec_lo, exec_lo, s46
	s_wait_dscnt 0x0
	s_barrier_signal -1
	s_barrier_wait -1
	s_and_saveexec_b32 s46, s94
	s_cbranch_execz .LBB21_797
; %bb.796:                              ;   in Loop: Header=BB21_3 Depth=1
	ds_load_b32 v28, v45 offset:11440
	ds_load_b32 v29, v47
	s_wait_dscnt 0x0
	v_fmac_f32_e32 v24, v28, v29
.LBB21_797:                             ;   in Loop: Header=BB21_3 Depth=1
	s_or_b32 exec_lo, exec_lo, s46
	s_barrier_signal -1
	s_barrier_wait -1
	s_and_saveexec_b32 s46, s95
; %bb.798:                              ;   in Loop: Header=BB21_3 Depth=1
	ds_store_b32 v47, v24
; %bb.799:                              ;   in Loop: Header=BB21_3 Depth=1
	s_or_b32 exec_lo, exec_lo, s46
	s_wait_dscnt 0x0
	s_barrier_signal -1
	s_barrier_wait -1
	s_and_saveexec_b32 s46, s96
	s_cbranch_execz .LBB21_801
; %bb.800:                              ;   in Loop: Header=BB21_3 Depth=1
	ds_load_b32 v28, v45 offset:11696
	ds_load_b32 v29, v47
	s_wait_dscnt 0x0
	v_fmac_f32_e32 v24, v28, v29
.LBB21_801:                             ;   in Loop: Header=BB21_3 Depth=1
	s_or_b32 exec_lo, exec_lo, s46
	s_barrier_signal -1
	s_barrier_wait -1
	;; [unrolled: 19-line block ×3, first 2 shown]
	s_and_saveexec_b32 s46, s98
; %bb.806:                              ;   in Loop: Header=BB21_3 Depth=1
	ds_store_b32 v47, v24
; %bb.807:                              ;   in Loop: Header=BB21_3 Depth=1
	s_or_b32 exec_lo, exec_lo, s46
	s_wait_dscnt 0x0
	s_barrier_signal -1
	s_barrier_wait -1
	s_barrier_signal -1
	s_barrier_wait -1
	s_and_saveexec_b32 s46, s4
; %bb.808:                              ;   in Loop: Header=BB21_3 Depth=1
	v_xor_b32_e32 v24, 0x80000000, v24
	ds_store_b32 v48, v24 offset:10416
; %bb.809:                              ;   in Loop: Header=BB21_3 Depth=1
	s_or_b32 exec_lo, exec_lo, s46
	s_wait_dscnt 0x0
	s_barrier_signal -1
	s_barrier_wait -1
	s_barrier_signal -1
	s_barrier_wait -1
	s_and_saveexec_b32 s46, s99
	s_cbranch_execz .LBB21_811
; %bb.810:                              ;   in Loop: Header=BB21_3 Depth=1
	ds_load_b32 v24, v56 offset:10416
	s_wait_dscnt 0x0
	ds_store_b32 v59, v24 offset:11424
	ds_load_b32 v24, v56 offset:10420
	s_wait_dscnt 0x0
	ds_store_b32 v59, v24 offset:11680
	;; [unrolled: 3-line block ×4, first 2 shown]
.LBB21_811:                             ;   in Loop: Header=BB21_3 Depth=1
	s_or_b32 exec_lo, exec_lo, s46
	s_wait_dscnt 0x0
	s_barrier_signal -1
	s_barrier_wait -1
	s_and_saveexec_b32 s46, s11
	s_cbranch_execz .LBB21_813
; %bb.812:                              ;   in Loop: Header=BB21_3 Depth=1
	ds_load_b32 v24, v7 offset:11444
	ds_store_b32 v7, v25 offset:11440
	s_wait_dscnt 0x1
	ds_store_b64 v7, v[24:25] offset:11696
.LBB21_813:                             ;   in Loop: Header=BB21_3 Depth=1
	s_or_b32 exec_lo, exec_lo, s46
	v_mov_b32_e32 v24, 0
	s_wait_dscnt 0x0
	s_barrier_signal -1
	s_barrier_wait -1
	s_and_saveexec_b32 s46, s2
	s_cbranch_execz .LBB21_817
; %bb.814:                              ;   in Loop: Header=BB21_3 Depth=1
	ds_load_b32 v24, v39 offset:11448
	ds_load_b32 v28, v40 offset:11440
	s_wait_dscnt 0x0
	v_fma_f32 v24, v24, v28, 0
	s_and_saveexec_b32 s47, s12
	s_cbranch_execz .LBB21_816
; %bb.815:                              ;   in Loop: Header=BB21_3 Depth=1
	ds_load_b32 v28, v59 offset:11704
	ds_load_b32 v29, v7 offset:11444
	s_wait_dscnt 0x0
	v_fmac_f32_e32 v24, v28, v29
.LBB21_816:                             ;   in Loop: Header=BB21_3 Depth=1
	s_or_b32 exec_lo, exec_lo, s47
	s_delay_alu instid0(VALU_DEP_1)
	v_xor_b32_e32 v24, 0x80000000, v24
.LBB21_817:                             ;   in Loop: Header=BB21_3 Depth=1
	s_or_b32 exec_lo, exec_lo, s46
	s_and_saveexec_b32 s46, s90
; %bb.818:                              ;   in Loop: Header=BB21_3 Depth=1
	ds_store_b32 v37, v24
; %bb.819:                              ;   in Loop: Header=BB21_3 Depth=1
	s_or_b32 exec_lo, exec_lo, s46
	s_wait_dscnt 0x0
	s_barrier_signal -1
	s_barrier_wait -1
	s_and_saveexec_b32 s46, s91
	s_cbranch_execz .LBB21_821
; %bb.820:                              ;   in Loop: Header=BB21_3 Depth=1
	ds_load_b32 v28, v7 offset:11964
	ds_load_b32 v29, v37
	s_wait_dscnt 0x0
	v_fmac_f32_e32 v24, v28, v29
.LBB21_821:                             ;   in Loop: Header=BB21_3 Depth=1
	s_or_b32 exec_lo, exec_lo, s46
	s_barrier_signal -1
	s_barrier_wait -1
	s_and_saveexec_b32 s46, s91
; %bb.822:                              ;   in Loop: Header=BB21_3 Depth=1
	ds_store_b32 v37, v24
; %bb.823:                              ;   in Loop: Header=BB21_3 Depth=1
	s_or_b32 exec_lo, exec_lo, s46
	s_wait_dscnt 0x0
	s_barrier_signal -1
	s_barrier_wait -1
	s_barrier_signal -1
	s_barrier_wait -1
	s_and_saveexec_b32 s46, s2
; %bb.824:                              ;   in Loop: Header=BB21_3 Depth=1
	v_xor_b32_e32 v24, 0x80000000, v24
	ds_store_b32 v39, v24 offset:11448
; %bb.825:                              ;   in Loop: Header=BB21_3 Depth=1
	s_or_b32 exec_lo, exec_lo, s46
	s_wait_dscnt 0x0
	s_barrier_signal -1
	s_barrier_wait -1
	s_barrier_signal -1
	s_barrier_wait -1
	s_and_saveexec_b32 s46, s92
	s_cbranch_execz .LBB21_827
; %bb.826:                              ;   in Loop: Header=BB21_3 Depth=1
	v_add_nc_u32_e32 v24, v59, v44
	ds_load_b32 v28, v24 offset:11448
	s_wait_dscnt 0x0
	ds_store_b32 v59, v28 offset:11952
	ds_load_b32 v24, v24 offset:11452
	s_wait_dscnt 0x0
	ds_store_b32 v59, v24 offset:12208
.LBB21_827:                             ;   in Loop: Header=BB21_3 Depth=1
	s_or_b32 exec_lo, exec_lo, s46
	s_wait_dscnt 0x0
	s_barrier_signal -1
	s_barrier_wait -1
	s_and_saveexec_b32 s46, s11
	s_cbranch_execz .LBB21_829
; %bb.828:                              ;   in Loop: Header=BB21_3 Depth=1
	ds_load_b32 v24, v7 offset:11964
	ds_store_b32 v7, v25 offset:11960
	s_wait_dscnt 0x1
	ds_store_b64 v7, v[24:25] offset:12216
.LBB21_829:                             ;   in Loop: Header=BB21_3 Depth=1
	s_or_b32 exec_lo, exec_lo, s46
	v_mov_b32_e32 v24, 0
	s_wait_dscnt 0x0
	s_barrier_signal -1
	s_barrier_wait -1
	s_and_saveexec_b32 s61, s6
	s_cbranch_execz .LBB21_857
; %bb.830:                              ;   in Loop: Header=BB21_3 Depth=1
	ds_load_b32 v24, v65 offset:8384
	ds_load_b32 v28, v58 offset:8320
	s_wait_dscnt 0x0
	v_fma_f32 v24, v24, v28, 0
	s_mov_b32 s46, exec_lo
	v_readlane_b32 s47, v91, 19
	s_and_b32 s47, s46, s47
	s_delay_alu instid0(SALU_CYCLE_1)
	s_mov_b32 exec_lo, s47
	s_cbranch_execz .LBB21_832
; %bb.831:                              ;   in Loop: Header=BB21_3 Depth=1
	ds_load_b32 v28, v66 offset:8640
	ds_load_b32 v29, v58 offset:8324
	s_wait_dscnt 0x0
	v_fmac_f32_e32 v24, v28, v29
.LBB21_832:                             ;   in Loop: Header=BB21_3 Depth=1
	s_or_b32 exec_lo, exec_lo, s46
	s_delay_alu instid0(SALU_CYCLE_1) | instskip(SKIP_2) | instid1(SALU_CYCLE_1)
	s_mov_b32 s46, exec_lo
	v_readlane_b32 s47, v91, 20
	s_and_b32 s47, s46, s47
	s_mov_b32 exec_lo, s47
	s_cbranch_execz .LBB21_834
; %bb.833:                              ;   in Loop: Header=BB21_3 Depth=1
	ds_load_b32 v28, v66 offset:8896
	ds_load_b32 v29, v58 offset:8328
	s_wait_dscnt 0x0
	v_fmac_f32_e32 v24, v28, v29
.LBB21_834:                             ;   in Loop: Header=BB21_3 Depth=1
	s_or_b32 exec_lo, exec_lo, s46
	s_delay_alu instid0(SALU_CYCLE_1) | instskip(SKIP_2) | instid1(SALU_CYCLE_1)
	s_mov_b32 s46, exec_lo
	v_readlane_b32 s47, v91, 21
	s_and_b32 s47, s46, s47
	;; [unrolled: 13-line block ×10, first 2 shown]
	s_mov_b32 exec_lo, s47
	s_cbranch_execnz .LBB21_1211
; %bb.851:                              ;   in Loop: Header=BB21_3 Depth=1
	s_or_b32 exec_lo, exec_lo, s46
	s_and_saveexec_b32 s46, s5
	s_cbranch_execnz .LBB21_1212
.LBB21_852:                             ;   in Loop: Header=BB21_3 Depth=1
	s_or_b32 exec_lo, exec_lo, s46
	s_and_saveexec_b32 s46, s16
	s_cbranch_execnz .LBB21_1213
.LBB21_853:                             ;   in Loop: Header=BB21_3 Depth=1
	s_or_b32 exec_lo, exec_lo, s46
	s_and_saveexec_b32 s46, s18
	s_cbranch_execnz .LBB21_1214
.LBB21_854:                             ;   in Loop: Header=BB21_3 Depth=1
	s_or_b32 exec_lo, exec_lo, s46
	s_and_saveexec_b32 s46, s4
	s_cbranch_execz .LBB21_856
.LBB21_855:                             ;   in Loop: Header=BB21_3 Depth=1
	ds_load_b32 v28, v5 offset:12224
	ds_load_b32 v29, v7 offset:8380
	s_wait_dscnt 0x0
	v_fmac_f32_e32 v24, v28, v29
.LBB21_856:                             ;   in Loop: Header=BB21_3 Depth=1
	s_or_b32 exec_lo, exec_lo, s46
	s_delay_alu instid0(VALU_DEP_1)
	v_xor_b32_e32 v24, 0x80000000, v24
.LBB21_857:                             ;   in Loop: Header=BB21_3 Depth=1
	s_or_b32 exec_lo, exec_lo, s61
	s_delay_alu instid0(SALU_CYCLE_1) | instskip(SKIP_2) | instid1(SALU_CYCLE_1)
	s_mov_b32 s46, exec_lo
	v_readlane_b32 s47, v93, 2
	s_and_b32 s47, s46, s47
	s_mov_b32 exec_lo, s47
; %bb.858:                              ;   in Loop: Header=BB21_3 Depth=1
	ds_store_b32 v60, v24
; %bb.859:                              ;   in Loop: Header=BB21_3 Depth=1
	s_or_b32 exec_lo, exec_lo, s46
	s_wait_dscnt 0x0
	s_barrier_signal -1
	s_barrier_wait -1
	s_mov_b32 s46, exec_lo
	v_readlane_b32 s47, v93, 3
	s_and_b32 s47, s46, s47
	s_delay_alu instid0(SALU_CYCLE_1)
	s_mov_b32 exec_lo, s47
	s_cbranch_execz .LBB21_861
; %bb.860:                              ;   in Loop: Header=BB21_3 Depth=1
	ds_load_b32 v28, v61 offset:12480
	ds_load_b32 v29, v60
	s_wait_dscnt 0x0
	v_fmac_f32_e32 v24, v28, v29
.LBB21_861:                             ;   in Loop: Header=BB21_3 Depth=1
	s_or_b32 exec_lo, exec_lo, s46
	s_barrier_signal -1
	s_barrier_wait -1
	s_mov_b32 s46, exec_lo
	v_readlane_b32 s47, v93, 4
	s_and_b32 s47, s46, s47
	s_delay_alu instid0(SALU_CYCLE_1)
	s_mov_b32 exec_lo, s47
; %bb.862:                              ;   in Loop: Header=BB21_3 Depth=1
	ds_store_b32 v60, v24
; %bb.863:                              ;   in Loop: Header=BB21_3 Depth=1
	s_or_b32 exec_lo, exec_lo, s46
	s_wait_dscnt 0x0
	s_barrier_signal -1
	s_barrier_wait -1
	s_mov_b32 s46, exec_lo
	v_readlane_b32 s47, v93, 5
	s_and_b32 s47, s46, s47
	s_delay_alu instid0(SALU_CYCLE_1)
	s_mov_b32 exec_lo, s47
	s_cbranch_execz .LBB21_865
; %bb.864:                              ;   in Loop: Header=BB21_3 Depth=1
	ds_load_b32 v28, v61 offset:12736
	ds_load_b32 v29, v60
	s_wait_dscnt 0x0
	v_fmac_f32_e32 v24, v28, v29
.LBB21_865:                             ;   in Loop: Header=BB21_3 Depth=1
	s_or_b32 exec_lo, exec_lo, s46
	s_barrier_signal -1
	s_barrier_wait -1
	s_mov_b32 s46, exec_lo
	v_readlane_b32 s47, v93, 6
	s_and_b32 s47, s46, s47
	s_delay_alu instid0(SALU_CYCLE_1)
	;; [unrolled: 27-line block ×3, first 2 shown]
	s_mov_b32 exec_lo, s47
; %bb.870:                              ;   in Loop: Header=BB21_3 Depth=1
	ds_store_b32 v60, v24
; %bb.871:                              ;   in Loop: Header=BB21_3 Depth=1
	s_or_b32 exec_lo, exec_lo, s46
	s_wait_dscnt 0x0
	s_barrier_signal -1
	s_barrier_wait -1
	s_mov_b32 s46, exec_lo
	v_readlane_b32 s47, v93, 9
	s_and_b32 s47, s46, s47
	s_delay_alu instid0(SALU_CYCLE_1)
	s_mov_b32 exec_lo, s47
	s_cbranch_execz .LBB21_873
; %bb.872:                              ;   in Loop: Header=BB21_3 Depth=1
	ds_load_b32 v28, v61 offset:13248
	ds_load_b32 v29, v60
	s_wait_dscnt 0x0
	v_fmac_f32_e32 v24, v28, v29
.LBB21_873:                             ;   in Loop: Header=BB21_3 Depth=1
	s_or_b32 exec_lo, exec_lo, s46
	s_barrier_signal -1
	s_barrier_wait -1
	s_and_saveexec_b32 s46, s49
; %bb.874:                              ;   in Loop: Header=BB21_3 Depth=1
	ds_store_b32 v60, v24
; %bb.875:                              ;   in Loop: Header=BB21_3 Depth=1
	s_or_b32 exec_lo, exec_lo, s46
	s_wait_dscnt 0x0
	s_barrier_signal -1
	s_barrier_wait -1
	s_and_saveexec_b32 s46, s50
	s_cbranch_execz .LBB21_877
; %bb.876:                              ;   in Loop: Header=BB21_3 Depth=1
	ds_load_b32 v28, v61 offset:13504
	ds_load_b32 v29, v60
	s_wait_dscnt 0x0
	v_fmac_f32_e32 v24, v28, v29
.LBB21_877:                             ;   in Loop: Header=BB21_3 Depth=1
	s_or_b32 exec_lo, exec_lo, s46
	s_barrier_signal -1
	s_barrier_wait -1
	s_and_saveexec_b32 s46, s51
; %bb.878:                              ;   in Loop: Header=BB21_3 Depth=1
	ds_store_b32 v60, v24
; %bb.879:                              ;   in Loop: Header=BB21_3 Depth=1
	s_or_b32 exec_lo, exec_lo, s46
	s_wait_dscnt 0x0
	s_barrier_signal -1
	s_barrier_wait -1
	s_and_saveexec_b32 s46, s52
	s_cbranch_execz .LBB21_881
; %bb.880:                              ;   in Loop: Header=BB21_3 Depth=1
	ds_load_b32 v28, v61 offset:13760
	ds_load_b32 v29, v60
	s_wait_dscnt 0x0
	v_fmac_f32_e32 v24, v28, v29
.LBB21_881:                             ;   in Loop: Header=BB21_3 Depth=1
	s_or_b32 exec_lo, exec_lo, s46
	s_barrier_signal -1
	s_barrier_wait -1
	s_and_saveexec_b32 s46, s53
; %bb.882:                              ;   in Loop: Header=BB21_3 Depth=1
	ds_store_b32 v60, v24
; %bb.883:                              ;   in Loop: Header=BB21_3 Depth=1
	s_or_b32 exec_lo, exec_lo, s46
	s_wait_dscnt 0x0
	s_barrier_signal -1
	s_barrier_wait -1
	s_and_saveexec_b32 s46, s54
	s_cbranch_execz .LBB21_885
; %bb.884:                              ;   in Loop: Header=BB21_3 Depth=1
	ds_load_b32 v28, v61 offset:14016
	ds_load_b32 v29, v60
	s_wait_dscnt 0x0
	v_fmac_f32_e32 v24, v28, v29
.LBB21_885:                             ;   in Loop: Header=BB21_3 Depth=1
	s_or_b32 exec_lo, exec_lo, s46
	s_barrier_signal -1
	s_barrier_wait -1
	s_and_saveexec_b32 s46, s20
; %bb.886:                              ;   in Loop: Header=BB21_3 Depth=1
	ds_store_b32 v60, v24
; %bb.887:                              ;   in Loop: Header=BB21_3 Depth=1
	s_or_b32 exec_lo, exec_lo, s46
	s_wait_dscnt 0x0
	s_barrier_signal -1
	s_barrier_wait -1
	s_and_saveexec_b32 s46, s22
	s_cbranch_execz .LBB21_889
; %bb.888:                              ;   in Loop: Header=BB21_3 Depth=1
	ds_load_b32 v28, v61 offset:14272
	ds_load_b32 v29, v60
	s_wait_dscnt 0x0
	v_fmac_f32_e32 v24, v28, v29
.LBB21_889:                             ;   in Loop: Header=BB21_3 Depth=1
	s_or_b32 exec_lo, exec_lo, s46
	s_barrier_signal -1
	s_barrier_wait -1
	s_and_saveexec_b32 s46, s24
; %bb.890:                              ;   in Loop: Header=BB21_3 Depth=1
	ds_store_b32 v60, v24
; %bb.891:                              ;   in Loop: Header=BB21_3 Depth=1
	s_or_b32 exec_lo, exec_lo, s46
	s_wait_dscnt 0x0
	s_barrier_signal -1
	s_barrier_wait -1
	s_and_saveexec_b32 s46, s26
	s_cbranch_execz .LBB21_893
; %bb.892:                              ;   in Loop: Header=BB21_3 Depth=1
	ds_load_b32 v28, v61 offset:14528
	ds_load_b32 v29, v60
	s_wait_dscnt 0x0
	v_fmac_f32_e32 v24, v28, v29
.LBB21_893:                             ;   in Loop: Header=BB21_3 Depth=1
	s_or_b32 exec_lo, exec_lo, s46
	s_barrier_signal -1
	s_barrier_wait -1
	s_and_saveexec_b32 s46, s28
; %bb.894:                              ;   in Loop: Header=BB21_3 Depth=1
	ds_store_b32 v60, v24
; %bb.895:                              ;   in Loop: Header=BB21_3 Depth=1
	s_or_b32 exec_lo, exec_lo, s46
	s_wait_dscnt 0x0
	s_barrier_signal -1
	s_barrier_wait -1
	s_and_saveexec_b32 s46, s30
	s_cbranch_execz .LBB21_897
; %bb.896:                              ;   in Loop: Header=BB21_3 Depth=1
	ds_load_b32 v28, v61 offset:14784
	ds_load_b32 v29, v60
	s_wait_dscnt 0x0
	v_fmac_f32_e32 v24, v28, v29
.LBB21_897:                             ;   in Loop: Header=BB21_3 Depth=1
	s_or_b32 exec_lo, exec_lo, s46
	s_barrier_signal -1
	s_barrier_wait -1
	s_and_saveexec_b32 s46, s58
; %bb.898:                              ;   in Loop: Header=BB21_3 Depth=1
	ds_store_b32 v60, v24
; %bb.899:                              ;   in Loop: Header=BB21_3 Depth=1
	s_or_b32 exec_lo, exec_lo, s46
	s_wait_dscnt 0x0
	s_barrier_signal -1
	s_barrier_wait -1
	s_and_saveexec_b32 s46, s59
	s_cbranch_execz .LBB21_901
; %bb.900:                              ;   in Loop: Header=BB21_3 Depth=1
	ds_load_b32 v28, v61 offset:15040
	ds_load_b32 v29, v60
	s_wait_dscnt 0x0
	v_fmac_f32_e32 v24, v28, v29
.LBB21_901:                             ;   in Loop: Header=BB21_3 Depth=1
	s_or_b32 exec_lo, exec_lo, s46
	s_barrier_signal -1
	s_barrier_wait -1
	s_and_saveexec_b32 s46, s21
; %bb.902:                              ;   in Loop: Header=BB21_3 Depth=1
	ds_store_b32 v60, v24
; %bb.903:                              ;   in Loop: Header=BB21_3 Depth=1
	s_or_b32 exec_lo, exec_lo, s46
	s_wait_dscnt 0x0
	s_barrier_signal -1
	s_barrier_wait -1
	s_and_saveexec_b32 s46, s23
	s_cbranch_execz .LBB21_905
; %bb.904:                              ;   in Loop: Header=BB21_3 Depth=1
	ds_load_b32 v28, v61 offset:15296
	ds_load_b32 v29, v60
	s_wait_dscnt 0x0
	v_fmac_f32_e32 v24, v28, v29
.LBB21_905:                             ;   in Loop: Header=BB21_3 Depth=1
	s_or_b32 exec_lo, exec_lo, s46
	s_barrier_signal -1
	s_barrier_wait -1
	s_and_saveexec_b32 s46, s25
; %bb.906:                              ;   in Loop: Header=BB21_3 Depth=1
	ds_store_b32 v60, v24
; %bb.907:                              ;   in Loop: Header=BB21_3 Depth=1
	s_or_b32 exec_lo, exec_lo, s46
	s_wait_dscnt 0x0
	s_barrier_signal -1
	s_barrier_wait -1
	s_and_saveexec_b32 s46, s27
	s_cbranch_execz .LBB21_909
; %bb.908:                              ;   in Loop: Header=BB21_3 Depth=1
	ds_load_b32 v28, v61 offset:15552
	ds_load_b32 v29, v60
	s_wait_dscnt 0x0
	v_fmac_f32_e32 v24, v28, v29
.LBB21_909:                             ;   in Loop: Header=BB21_3 Depth=1
	s_or_b32 exec_lo, exec_lo, s46
	s_barrier_signal -1
	s_barrier_wait -1
	s_and_saveexec_b32 s46, s29
; %bb.910:                              ;   in Loop: Header=BB21_3 Depth=1
	ds_store_b32 v60, v24
; %bb.911:                              ;   in Loop: Header=BB21_3 Depth=1
	s_or_b32 exec_lo, exec_lo, s46
	s_wait_dscnt 0x0
	s_barrier_signal -1
	s_barrier_wait -1
	s_and_saveexec_b32 s46, s88
	s_cbranch_execz .LBB21_913
; %bb.912:                              ;   in Loop: Header=BB21_3 Depth=1
	ds_load_b32 v28, v61 offset:15808
	ds_load_b32 v29, v60
	s_wait_dscnt 0x0
	v_fmac_f32_e32 v24, v28, v29
.LBB21_913:                             ;   in Loop: Header=BB21_3 Depth=1
	s_or_b32 exec_lo, exec_lo, s46
	s_barrier_signal -1
	s_barrier_wait -1
	s_and_saveexec_b32 s46, s84
; %bb.914:                              ;   in Loop: Header=BB21_3 Depth=1
	ds_store_b32 v60, v24
; %bb.915:                              ;   in Loop: Header=BB21_3 Depth=1
	s_or_b32 exec_lo, exec_lo, s46
	s_wait_dscnt 0x0
	s_barrier_signal -1
	s_barrier_wait -1
	s_and_saveexec_b32 s46, s41
	s_cbranch_execz .LBB21_917
; %bb.916:                              ;   in Loop: Header=BB21_3 Depth=1
	ds_load_b32 v28, v7 offset:16124
	ds_load_b32 v29, v60
	s_wait_dscnt 0x0
	v_fmac_f32_e32 v24, v28, v29
.LBB21_917:                             ;   in Loop: Header=BB21_3 Depth=1
	s_or_b32 exec_lo, exec_lo, s46
	s_barrier_signal -1
	s_barrier_wait -1
	s_and_saveexec_b32 s46, s41
; %bb.918:                              ;   in Loop: Header=BB21_3 Depth=1
	ds_store_b32 v60, v24
; %bb.919:                              ;   in Loop: Header=BB21_3 Depth=1
	s_or_b32 exec_lo, exec_lo, s46
	s_wait_dscnt 0x0
	s_barrier_signal -1
	s_barrier_wait -1
	s_barrier_signal -1
	s_barrier_wait -1
	s_and_saveexec_b32 s46, s6
; %bb.920:                              ;   in Loop: Header=BB21_3 Depth=1
	v_xor_b32_e32 v24, 0x80000000, v24
	ds_store_b32 v65, v24 offset:8384
; %bb.921:                              ;   in Loop: Header=BB21_3 Depth=1
	s_or_b32 exec_lo, exec_lo, s46
	s_wait_dscnt 0x0
	s_barrier_signal -1
	s_barrier_wait -1
	s_barrier_signal -1
	s_barrier_wait -1
	s_and_saveexec_b32 s60, s42
	s_cbranch_execz .LBB21_923
; %bb.922:                              ;   in Loop: Header=BB21_3 Depth=1
	ds_load_b32 v24, v32 offset:8384
	s_wait_dscnt 0x0
	ds_store_b32 v33, v24 offset:12416
	ds_load_b32 v24, v32 offset:8388
	s_wait_dscnt 0x0
	ds_store_b32 v33, v24 offset:12672
	;; [unrolled: 3-line block ×16, first 2 shown]
.LBB21_923:                             ;   in Loop: Header=BB21_3 Depth=1
	s_or_b32 exec_lo, exec_lo, s60
	s_wait_dscnt 0x0
	s_barrier_signal -1
	s_barrier_wait -1
	s_and_saveexec_b32 s46, s11
	s_cbranch_execz .LBB21_925
; %bb.924:                              ;   in Loop: Header=BB21_3 Depth=1
	ds_load_b32 v24, v7 offset:12484
	ds_store_b32 v7, v25 offset:12480
	s_wait_dscnt 0x1
	ds_store_b64 v7, v[24:25] offset:12736
.LBB21_925:                             ;   in Loop: Header=BB21_3 Depth=1
	s_or_b32 exec_lo, exec_lo, s46
	v_mov_b32_e32 v24, 0
	s_wait_dscnt 0x0
	s_barrier_signal -1
	s_barrier_wait -1
	s_and_saveexec_b32 s46, s2
	s_cbranch_execz .LBB21_929
; %bb.926:                              ;   in Loop: Header=BB21_3 Depth=1
	ds_load_b32 v24, v39 offset:12488
	ds_load_b32 v28, v40 offset:12480
	s_wait_dscnt 0x0
	v_fma_f32 v24, v24, v28, 0
	s_and_saveexec_b32 s47, s12
	s_cbranch_execz .LBB21_928
; %bb.927:                              ;   in Loop: Header=BB21_3 Depth=1
	ds_load_b32 v28, v5 offset:12744
	ds_load_b32 v29, v7 offset:12484
	s_wait_dscnt 0x0
	v_fmac_f32_e32 v24, v28, v29
.LBB21_928:                             ;   in Loop: Header=BB21_3 Depth=1
	s_or_b32 exec_lo, exec_lo, s47
	s_delay_alu instid0(VALU_DEP_1)
	v_xor_b32_e32 v24, 0x80000000, v24
.LBB21_929:                             ;   in Loop: Header=BB21_3 Depth=1
	s_or_b32 exec_lo, exec_lo, s46
	s_and_saveexec_b32 s46, s90
; %bb.930:                              ;   in Loop: Header=BB21_3 Depth=1
	ds_store_b32 v37, v24
; %bb.931:                              ;   in Loop: Header=BB21_3 Depth=1
	s_or_b32 exec_lo, exec_lo, s46
	s_wait_dscnt 0x0
	s_barrier_signal -1
	s_barrier_wait -1
	s_and_saveexec_b32 s46, s91
	s_cbranch_execz .LBB21_933
; %bb.932:                              ;   in Loop: Header=BB21_3 Depth=1
	ds_load_b32 v28, v7 offset:13004
	ds_load_b32 v29, v37
	s_wait_dscnt 0x0
	v_fmac_f32_e32 v24, v28, v29
.LBB21_933:                             ;   in Loop: Header=BB21_3 Depth=1
	s_or_b32 exec_lo, exec_lo, s46
	s_barrier_signal -1
	s_barrier_wait -1
	s_and_saveexec_b32 s46, s91
; %bb.934:                              ;   in Loop: Header=BB21_3 Depth=1
	ds_store_b32 v37, v24
; %bb.935:                              ;   in Loop: Header=BB21_3 Depth=1
	s_or_b32 exec_lo, exec_lo, s46
	s_wait_dscnt 0x0
	s_barrier_signal -1
	s_barrier_wait -1
	s_barrier_signal -1
	s_barrier_wait -1
	s_and_saveexec_b32 s46, s2
; %bb.936:                              ;   in Loop: Header=BB21_3 Depth=1
	v_xor_b32_e32 v24, 0x80000000, v24
	ds_store_b32 v39, v24 offset:12488
; %bb.937:                              ;   in Loop: Header=BB21_3 Depth=1
	s_or_b32 exec_lo, exec_lo, s46
	s_wait_dscnt 0x0
	s_barrier_signal -1
	s_barrier_wait -1
	s_barrier_signal -1
	s_barrier_wait -1
	s_and_saveexec_b32 s46, s92
	s_cbranch_execz .LBB21_939
; %bb.938:                              ;   in Loop: Header=BB21_3 Depth=1
	ds_load_b32 v24, v32 offset:12488
	s_wait_dscnt 0x0
	ds_store_b32 v5, v24 offset:12992
	ds_load_b32 v24, v32 offset:12492
	s_wait_dscnt 0x0
	ds_store_b32 v5, v24 offset:13248
.LBB21_939:                             ;   in Loop: Header=BB21_3 Depth=1
	s_or_b32 exec_lo, exec_lo, s46
	s_wait_dscnt 0x0
	s_barrier_signal -1
	s_barrier_wait -1
	s_and_saveexec_b32 s46, s11
	s_cbranch_execz .LBB21_941
; %bb.940:                              ;   in Loop: Header=BB21_3 Depth=1
	ds_load_b32 v24, v7 offset:13004
	ds_store_b32 v7, v25 offset:13000
	s_wait_dscnt 0x1
	ds_store_b64 v7, v[24:25] offset:13256
.LBB21_941:                             ;   in Loop: Header=BB21_3 Depth=1
	s_or_b32 exec_lo, exec_lo, s46
	v_mov_b32_e32 v24, 0
	s_wait_dscnt 0x0
	s_barrier_signal -1
	s_barrier_wait -1
	s_and_saveexec_b32 s61, s4
	s_cbranch_execz .LBB21_947
; %bb.942:                              ;   in Loop: Header=BB21_3 Depth=1
	ds_load_b32 v24, v48 offset:12496
	ds_load_b32 v28, v41 offset:12480
	s_wait_dscnt 0x0
	v_fma_f32 v24, v24, v28, 0
	s_and_saveexec_b32 s46, s13
	s_cbranch_execnz .LBB21_1215
; %bb.943:                              ;   in Loop: Header=BB21_3 Depth=1
	s_or_b32 exec_lo, exec_lo, s46
	s_and_saveexec_b32 s46, s14
	s_cbranch_execnz .LBB21_1216
.LBB21_944:                             ;   in Loop: Header=BB21_3 Depth=1
	s_or_b32 exec_lo, exec_lo, s46
	s_and_saveexec_b32 s46, s2
	s_cbranch_execz .LBB21_946
.LBB21_945:                             ;   in Loop: Header=BB21_3 Depth=1
	ds_load_b32 v28, v33 offset:13264
	ds_load_b32 v29, v7 offset:12492
	s_wait_dscnt 0x0
	v_fmac_f32_e32 v24, v28, v29
.LBB21_946:                             ;   in Loop: Header=BB21_3 Depth=1
	s_or_b32 exec_lo, exec_lo, s46
	s_delay_alu instid0(VALU_DEP_1)
	v_xor_b32_e32 v24, 0x80000000, v24
.LBB21_947:                             ;   in Loop: Header=BB21_3 Depth=1
	s_or_b32 exec_lo, exec_lo, s61
	s_and_saveexec_b32 s46, s93
; %bb.948:                              ;   in Loop: Header=BB21_3 Depth=1
	ds_store_b32 v47, v24
; %bb.949:                              ;   in Loop: Header=BB21_3 Depth=1
	s_or_b32 exec_lo, exec_lo, s46
	s_wait_dscnt 0x0
	s_barrier_signal -1
	s_barrier_wait -1
	s_and_saveexec_b32 s46, s94
	s_cbranch_execz .LBB21_951
; %bb.950:                              ;   in Loop: Header=BB21_3 Depth=1
	ds_load_b32 v28, v45 offset:13520
	ds_load_b32 v29, v47
	s_wait_dscnt 0x0
	v_fmac_f32_e32 v24, v28, v29
.LBB21_951:                             ;   in Loop: Header=BB21_3 Depth=1
	s_or_b32 exec_lo, exec_lo, s46
	s_barrier_signal -1
	s_barrier_wait -1
	s_and_saveexec_b32 s46, s95
; %bb.952:                              ;   in Loop: Header=BB21_3 Depth=1
	ds_store_b32 v47, v24
; %bb.953:                              ;   in Loop: Header=BB21_3 Depth=1
	s_or_b32 exec_lo, exec_lo, s46
	s_wait_dscnt 0x0
	s_barrier_signal -1
	s_barrier_wait -1
	s_and_saveexec_b32 s46, s96
	s_cbranch_execz .LBB21_955
; %bb.954:                              ;   in Loop: Header=BB21_3 Depth=1
	ds_load_b32 v28, v45 offset:13776
	ds_load_b32 v29, v47
	s_wait_dscnt 0x0
	v_fmac_f32_e32 v24, v28, v29
.LBB21_955:                             ;   in Loop: Header=BB21_3 Depth=1
	s_or_b32 exec_lo, exec_lo, s46
	s_barrier_signal -1
	s_barrier_wait -1
	;; [unrolled: 19-line block ×3, first 2 shown]
	s_and_saveexec_b32 s46, s98
; %bb.960:                              ;   in Loop: Header=BB21_3 Depth=1
	ds_store_b32 v47, v24
; %bb.961:                              ;   in Loop: Header=BB21_3 Depth=1
	s_or_b32 exec_lo, exec_lo, s46
	s_wait_dscnt 0x0
	s_barrier_signal -1
	s_barrier_wait -1
	s_barrier_signal -1
	s_barrier_wait -1
	s_and_saveexec_b32 s46, s4
; %bb.962:                              ;   in Loop: Header=BB21_3 Depth=1
	v_xor_b32_e32 v24, 0x80000000, v24
	ds_store_b32 v48, v24 offset:12496
; %bb.963:                              ;   in Loop: Header=BB21_3 Depth=1
	s_or_b32 exec_lo, exec_lo, s46
	s_wait_dscnt 0x0
	s_barrier_signal -1
	s_barrier_wait -1
	s_barrier_signal -1
	s_barrier_wait -1
	s_and_saveexec_b32 s46, s99
	s_cbranch_execz .LBB21_965
; %bb.964:                              ;   in Loop: Header=BB21_3 Depth=1
	ds_load_b32 v24, v34 offset:12496
	s_wait_dscnt 0x0
	ds_store_b32 v35, v24 offset:13504
	ds_load_b32 v24, v34 offset:12500
	s_wait_dscnt 0x0
	ds_store_b32 v35, v24 offset:13760
	;; [unrolled: 3-line block ×4, first 2 shown]
.LBB21_965:                             ;   in Loop: Header=BB21_3 Depth=1
	s_or_b32 exec_lo, exec_lo, s46
	s_wait_dscnt 0x0
	s_barrier_signal -1
	s_barrier_wait -1
	s_and_saveexec_b32 s46, s11
	s_cbranch_execz .LBB21_967
; %bb.966:                              ;   in Loop: Header=BB21_3 Depth=1
	ds_load_b32 v24, v7 offset:13524
	ds_store_b32 v7, v25 offset:13520
	s_wait_dscnt 0x1
	ds_store_b64 v7, v[24:25] offset:13776
.LBB21_967:                             ;   in Loop: Header=BB21_3 Depth=1
	s_or_b32 exec_lo, exec_lo, s46
	v_mov_b32_e32 v24, 0
	s_wait_dscnt 0x0
	s_barrier_signal -1
	s_barrier_wait -1
	s_and_saveexec_b32 s46, s2
	s_cbranch_execz .LBB21_971
; %bb.968:                              ;   in Loop: Header=BB21_3 Depth=1
	ds_load_b32 v24, v39 offset:13528
	ds_load_b32 v28, v40 offset:13520
	s_wait_dscnt 0x0
	v_fma_f32 v24, v24, v28, 0
	s_and_saveexec_b32 s47, s12
	s_cbranch_execz .LBB21_970
; %bb.969:                              ;   in Loop: Header=BB21_3 Depth=1
	ds_load_b32 v28, v35 offset:13784
	ds_load_b32 v29, v7 offset:13524
	s_wait_dscnt 0x0
	v_fmac_f32_e32 v24, v28, v29
.LBB21_970:                             ;   in Loop: Header=BB21_3 Depth=1
	s_or_b32 exec_lo, exec_lo, s47
	s_delay_alu instid0(VALU_DEP_1)
	v_xor_b32_e32 v24, 0x80000000, v24
.LBB21_971:                             ;   in Loop: Header=BB21_3 Depth=1
	s_or_b32 exec_lo, exec_lo, s46
	s_and_saveexec_b32 s46, s90
; %bb.972:                              ;   in Loop: Header=BB21_3 Depth=1
	ds_store_b32 v37, v24
; %bb.973:                              ;   in Loop: Header=BB21_3 Depth=1
	s_or_b32 exec_lo, exec_lo, s46
	s_wait_dscnt 0x0
	s_barrier_signal -1
	s_barrier_wait -1
	s_and_saveexec_b32 s46, s91
	s_cbranch_execz .LBB21_975
; %bb.974:                              ;   in Loop: Header=BB21_3 Depth=1
	ds_load_b32 v28, v7 offset:14044
	ds_load_b32 v29, v37
	s_wait_dscnt 0x0
	v_fmac_f32_e32 v24, v28, v29
.LBB21_975:                             ;   in Loop: Header=BB21_3 Depth=1
	s_or_b32 exec_lo, exec_lo, s46
	s_barrier_signal -1
	s_barrier_wait -1
	s_and_saveexec_b32 s46, s91
; %bb.976:                              ;   in Loop: Header=BB21_3 Depth=1
	ds_store_b32 v37, v24
; %bb.977:                              ;   in Loop: Header=BB21_3 Depth=1
	s_or_b32 exec_lo, exec_lo, s46
	s_wait_dscnt 0x0
	s_barrier_signal -1
	s_barrier_wait -1
	s_barrier_signal -1
	s_barrier_wait -1
	s_and_saveexec_b32 s46, s2
; %bb.978:                              ;   in Loop: Header=BB21_3 Depth=1
	v_xor_b32_e32 v24, 0x80000000, v24
	ds_store_b32 v39, v24 offset:13528
; %bb.979:                              ;   in Loop: Header=BB21_3 Depth=1
	s_or_b32 exec_lo, exec_lo, s46
	s_wait_dscnt 0x0
	s_barrier_signal -1
	s_barrier_wait -1
	s_barrier_signal -1
	s_barrier_wait -1
	s_and_saveexec_b32 s46, s92
	s_cbranch_execz .LBB21_981
; %bb.980:                              ;   in Loop: Header=BB21_3 Depth=1
	ds_load_b32 v24, v36 offset:13528
	s_wait_dscnt 0x0
	ds_store_b32 v35, v24 offset:14032
	ds_load_b32 v24, v36 offset:13532
	s_wait_dscnt 0x0
	ds_store_b32 v35, v24 offset:14288
.LBB21_981:                             ;   in Loop: Header=BB21_3 Depth=1
	s_or_b32 exec_lo, exec_lo, s46
	s_wait_dscnt 0x0
	s_barrier_signal -1
	s_barrier_wait -1
	s_and_saveexec_b32 s46, s11
	s_cbranch_execz .LBB21_983
; %bb.982:                              ;   in Loop: Header=BB21_3 Depth=1
	ds_load_b32 v24, v7 offset:14044
	ds_store_b32 v7, v25 offset:14040
	s_wait_dscnt 0x1
	ds_store_b64 v7, v[24:25] offset:14296
.LBB21_983:                             ;   in Loop: Header=BB21_3 Depth=1
	s_or_b32 exec_lo, exec_lo, s46
	v_mov_b32_e32 v24, 0
	s_wait_dscnt 0x0
	s_barrier_signal -1
	s_barrier_wait -1
	s_and_saveexec_b32 s61, s5
	s_cbranch_execz .LBB21_993
; %bb.984:                              ;   in Loop: Header=BB21_3 Depth=1
	ds_load_b32 v24, v55 offset:12512
	ds_load_b32 v28, v51 offset:12480
	s_wait_dscnt 0x0
	v_fma_f32 v24, v24, v28, 0
	s_and_saveexec_b32 s46, s15
	s_cbranch_execnz .LBB21_1217
; %bb.985:                              ;   in Loop: Header=BB21_3 Depth=1
	s_or_b32 exec_lo, exec_lo, s46
	s_and_saveexec_b32 s46, s16
	s_cbranch_execnz .LBB21_1218
.LBB21_986:                             ;   in Loop: Header=BB21_3 Depth=1
	s_or_b32 exec_lo, exec_lo, s46
	s_and_saveexec_b32 s46, s17
	s_cbranch_execnz .LBB21_1219
.LBB21_987:                             ;   in Loop: Header=BB21_3 Depth=1
	s_or_b32 exec_lo, exec_lo, s46
	s_and_saveexec_b32 s46, s18
	s_cbranch_execnz .LBB21_1220
.LBB21_988:                             ;   in Loop: Header=BB21_3 Depth=1
	s_or_b32 exec_lo, exec_lo, s46
	s_and_saveexec_b32 s46, s19
	s_cbranch_execnz .LBB21_1221
.LBB21_989:                             ;   in Loop: Header=BB21_3 Depth=1
	s_or_b32 exec_lo, exec_lo, s46
	s_and_saveexec_b32 s46, s4
	s_cbranch_execnz .LBB21_1222
.LBB21_990:                             ;   in Loop: Header=BB21_3 Depth=1
	s_or_b32 exec_lo, exec_lo, s46
	s_and_saveexec_b32 s46, s14
	s_cbranch_execz .LBB21_992
.LBB21_991:                             ;   in Loop: Header=BB21_3 Depth=1
	ds_load_b32 v28, v38 offset:14304
	ds_load_b32 v29, v7 offset:12508
	s_wait_dscnt 0x0
	v_fmac_f32_e32 v24, v28, v29
.LBB21_992:                             ;   in Loop: Header=BB21_3 Depth=1
	s_or_b32 exec_lo, exec_lo, s46
	s_delay_alu instid0(VALU_DEP_1)
	v_xor_b32_e32 v24, 0x80000000, v24
.LBB21_993:                             ;   in Loop: Header=BB21_3 Depth=1
	s_or_b32 exec_lo, exec_lo, s61
	s_and_saveexec_b32 s46, s100
; %bb.994:                              ;   in Loop: Header=BB21_3 Depth=1
	ds_store_b32 v54, v24
; %bb.995:                              ;   in Loop: Header=BB21_3 Depth=1
	s_or_b32 exec_lo, exec_lo, s46
	s_wait_dscnt 0x0
	s_barrier_signal -1
	s_barrier_wait -1
	s_and_saveexec_b32 s46, s101
	s_cbranch_execz .LBB21_997
; %bb.996:                              ;   in Loop: Header=BB21_3 Depth=1
	ds_load_b32 v28, v52 offset:14560
	ds_load_b32 v29, v54
	s_wait_dscnt 0x0
	v_fmac_f32_e32 v24, v28, v29
.LBB21_997:                             ;   in Loop: Header=BB21_3 Depth=1
	s_or_b32 exec_lo, exec_lo, s46
	s_barrier_signal -1
	s_barrier_wait -1
	s_and_saveexec_b32 s46, s102
; %bb.998:                              ;   in Loop: Header=BB21_3 Depth=1
	ds_store_b32 v54, v24
; %bb.999:                              ;   in Loop: Header=BB21_3 Depth=1
	s_or_b32 exec_lo, exec_lo, s46
	s_wait_dscnt 0x0
	s_barrier_signal -1
	s_barrier_wait -1
	s_and_saveexec_b32 s46, s103
	s_cbranch_execz .LBB21_1001
; %bb.1000:                             ;   in Loop: Header=BB21_3 Depth=1
	ds_load_b32 v28, v52 offset:14816
	ds_load_b32 v29, v54
	s_wait_dscnt 0x0
	v_fmac_f32_e32 v24, v28, v29
.LBB21_1001:                            ;   in Loop: Header=BB21_3 Depth=1
	s_or_b32 exec_lo, exec_lo, s46
	s_barrier_signal -1
	s_barrier_wait -1
	s_and_saveexec_b32 s46, s104
; %bb.1002:                             ;   in Loop: Header=BB21_3 Depth=1
	ds_store_b32 v54, v24
; %bb.1003:                             ;   in Loop: Header=BB21_3 Depth=1
	s_or_b32 exec_lo, exec_lo, s46
	s_wait_dscnt 0x0
	s_barrier_signal -1
	s_barrier_wait -1
	s_and_saveexec_b32 s46, vcc_hi
	s_cbranch_execz .LBB21_1005
; %bb.1004:                             ;   in Loop: Header=BB21_3 Depth=1
	ds_load_b32 v28, v52 offset:15072
	ds_load_b32 v29, v54
	s_wait_dscnt 0x0
	v_fmac_f32_e32 v24, v28, v29
.LBB21_1005:                            ;   in Loop: Header=BB21_3 Depth=1
	s_or_b32 exec_lo, exec_lo, s46
	s_barrier_signal -1
	s_barrier_wait -1
	s_and_saveexec_b32 s46, s31
; %bb.1006:                             ;   in Loop: Header=BB21_3 Depth=1
	ds_store_b32 v54, v24
; %bb.1007:                             ;   in Loop: Header=BB21_3 Depth=1
	s_or_b32 exec_lo, exec_lo, s46
	s_wait_dscnt 0x0
	s_barrier_signal -1
	s_barrier_wait -1
	s_and_saveexec_b32 s46, s33
	s_cbranch_execz .LBB21_1009
; %bb.1008:                             ;   in Loop: Header=BB21_3 Depth=1
	ds_load_b32 v28, v52 offset:15328
	ds_load_b32 v29, v54
	s_wait_dscnt 0x0
	v_fmac_f32_e32 v24, v28, v29
.LBB21_1009:                            ;   in Loop: Header=BB21_3 Depth=1
	s_or_b32 exec_lo, exec_lo, s46
	s_barrier_signal -1
	s_barrier_wait -1
	s_and_saveexec_b32 s46, s34
; %bb.1010:                             ;   in Loop: Header=BB21_3 Depth=1
	ds_store_b32 v54, v24
; %bb.1011:                             ;   in Loop: Header=BB21_3 Depth=1
	s_or_b32 exec_lo, exec_lo, s46
	s_wait_dscnt 0x0
	s_barrier_signal -1
	s_barrier_wait -1
	s_and_saveexec_b32 s46, s35
	;; [unrolled: 19-line block ×4, first 2 shown]
	s_cbranch_execz .LBB21_1021
; %bb.1020:                             ;   in Loop: Header=BB21_3 Depth=1
	ds_load_b32 v28, v7 offset:16124
	ds_load_b32 v29, v54
	s_wait_dscnt 0x0
	v_fmac_f32_e32 v24, v28, v29
.LBB21_1021:                            ;   in Loop: Header=BB21_3 Depth=1
	s_or_b32 exec_lo, exec_lo, s46
	s_barrier_signal -1
	s_barrier_wait -1
	s_and_saveexec_b32 s46, s39
; %bb.1022:                             ;   in Loop: Header=BB21_3 Depth=1
	ds_store_b32 v54, v24
; %bb.1023:                             ;   in Loop: Header=BB21_3 Depth=1
	s_or_b32 exec_lo, exec_lo, s46
	s_wait_dscnt 0x0
	s_barrier_signal -1
	s_barrier_wait -1
	s_barrier_signal -1
	s_barrier_wait -1
	s_and_saveexec_b32 s46, s5
; %bb.1024:                             ;   in Loop: Header=BB21_3 Depth=1
	v_xor_b32_e32 v24, 0x80000000, v24
	ds_store_b32 v55, v24 offset:12512
; %bb.1025:                             ;   in Loop: Header=BB21_3 Depth=1
	s_or_b32 exec_lo, exec_lo, s46
	s_wait_dscnt 0x0
	s_barrier_signal -1
	s_barrier_wait -1
	s_barrier_signal -1
	s_barrier_wait -1
	s_and_saveexec_b32 s46, s40
	s_cbranch_execz .LBB21_1027
; %bb.1026:                             ;   in Loop: Header=BB21_3 Depth=1
	ds_load_b32 v24, v42 offset:12512
	s_wait_dscnt 0x0
	ds_store_b32 v46, v24 offset:14528
	ds_load_b32 v24, v42 offset:12516
	s_wait_dscnt 0x0
	ds_store_b32 v46, v24 offset:14784
	;; [unrolled: 3-line block ×8, first 2 shown]
.LBB21_1027:                            ;   in Loop: Header=BB21_3 Depth=1
	s_or_b32 exec_lo, exec_lo, s46
	s_wait_dscnt 0x0
	s_barrier_signal -1
	s_barrier_wait -1
	s_and_saveexec_b32 s46, s11
	s_cbranch_execz .LBB21_1029
; %bb.1028:                             ;   in Loop: Header=BB21_3 Depth=1
	ds_load_b32 v24, v7 offset:14564
	ds_store_b32 v7, v25 offset:14560
	s_wait_dscnt 0x1
	ds_store_b64 v7, v[24:25] offset:14816
.LBB21_1029:                            ;   in Loop: Header=BB21_3 Depth=1
	s_or_b32 exec_lo, exec_lo, s46
	v_mov_b32_e32 v24, 0
	s_wait_dscnt 0x0
	s_barrier_signal -1
	s_barrier_wait -1
	s_and_saveexec_b32 s46, s2
	s_cbranch_execz .LBB21_1033
; %bb.1030:                             ;   in Loop: Header=BB21_3 Depth=1
	ds_load_b32 v24, v39 offset:14568
	ds_load_b32 v28, v40 offset:14560
	s_wait_dscnt 0x0
	v_fma_f32 v24, v24, v28, 0
	s_and_saveexec_b32 s47, s12
	s_cbranch_execz .LBB21_1032
; %bb.1031:                             ;   in Loop: Header=BB21_3 Depth=1
	ds_load_b32 v28, v46 offset:14824
	ds_load_b32 v29, v7 offset:14564
	s_wait_dscnt 0x0
	v_fmac_f32_e32 v24, v28, v29
.LBB21_1032:                            ;   in Loop: Header=BB21_3 Depth=1
	s_or_b32 exec_lo, exec_lo, s47
	s_delay_alu instid0(VALU_DEP_1)
	v_xor_b32_e32 v24, 0x80000000, v24
.LBB21_1033:                            ;   in Loop: Header=BB21_3 Depth=1
	s_or_b32 exec_lo, exec_lo, s46
	s_and_saveexec_b32 s46, s90
; %bb.1034:                             ;   in Loop: Header=BB21_3 Depth=1
	ds_store_b32 v37, v24
; %bb.1035:                             ;   in Loop: Header=BB21_3 Depth=1
	s_or_b32 exec_lo, exec_lo, s46
	s_wait_dscnt 0x0
	s_barrier_signal -1
	s_barrier_wait -1
	s_and_saveexec_b32 s46, s91
	s_cbranch_execz .LBB21_1037
; %bb.1036:                             ;   in Loop: Header=BB21_3 Depth=1
	ds_load_b32 v28, v7 offset:15084
	ds_load_b32 v29, v37
	s_wait_dscnt 0x0
	v_fmac_f32_e32 v24, v28, v29
.LBB21_1037:                            ;   in Loop: Header=BB21_3 Depth=1
	s_or_b32 exec_lo, exec_lo, s46
	s_barrier_signal -1
	s_barrier_wait -1
	s_and_saveexec_b32 s46, s91
; %bb.1038:                             ;   in Loop: Header=BB21_3 Depth=1
	ds_store_b32 v37, v24
; %bb.1039:                             ;   in Loop: Header=BB21_3 Depth=1
	s_or_b32 exec_lo, exec_lo, s46
	s_wait_dscnt 0x0
	s_barrier_signal -1
	s_barrier_wait -1
	s_barrier_signal -1
	s_barrier_wait -1
	s_and_saveexec_b32 s46, s2
; %bb.1040:                             ;   in Loop: Header=BB21_3 Depth=1
	v_xor_b32_e32 v24, 0x80000000, v24
	ds_store_b32 v39, v24 offset:14568
; %bb.1041:                             ;   in Loop: Header=BB21_3 Depth=1
	s_or_b32 exec_lo, exec_lo, s46
	s_wait_dscnt 0x0
	s_barrier_signal -1
	s_barrier_wait -1
	s_barrier_signal -1
	s_barrier_wait -1
	s_and_saveexec_b32 s46, s92
	s_cbranch_execz .LBB21_1043
; %bb.1042:                             ;   in Loop: Header=BB21_3 Depth=1
	ds_load_b32 v24, v50 offset:14568
	s_wait_dscnt 0x0
	ds_store_b32 v46, v24 offset:15072
	ds_load_b32 v24, v50 offset:14572
	s_wait_dscnt 0x0
	ds_store_b32 v46, v24 offset:15328
.LBB21_1043:                            ;   in Loop: Header=BB21_3 Depth=1
	s_or_b32 exec_lo, exec_lo, s46
	s_wait_dscnt 0x0
	s_barrier_signal -1
	s_barrier_wait -1
	s_and_saveexec_b32 s46, s11
	s_cbranch_execz .LBB21_1045
; %bb.1044:                             ;   in Loop: Header=BB21_3 Depth=1
	ds_load_b32 v24, v7 offset:15084
	ds_store_b32 v7, v25 offset:15080
	s_wait_dscnt 0x1
	ds_store_b64 v7, v[24:25] offset:15336
.LBB21_1045:                            ;   in Loop: Header=BB21_3 Depth=1
	s_or_b32 exec_lo, exec_lo, s46
	v_mov_b32_e32 v24, 0
	s_wait_dscnt 0x0
	s_barrier_signal -1
	s_barrier_wait -1
	s_and_saveexec_b32 s61, s4
	s_cbranch_execz .LBB21_1051
; %bb.1046:                             ;   in Loop: Header=BB21_3 Depth=1
	ds_load_b32 v24, v48 offset:14576
	ds_load_b32 v28, v41 offset:14560
	s_wait_dscnt 0x0
	v_fma_f32 v24, v24, v28, 0
	s_and_saveexec_b32 s46, s13
	s_cbranch_execnz .LBB21_1223
; %bb.1047:                             ;   in Loop: Header=BB21_3 Depth=1
	s_or_b32 exec_lo, exec_lo, s46
	s_and_saveexec_b32 s46, s14
	s_cbranch_execnz .LBB21_1224
.LBB21_1048:                            ;   in Loop: Header=BB21_3 Depth=1
	s_or_b32 exec_lo, exec_lo, s46
	s_and_saveexec_b32 s46, s2
	s_cbranch_execz .LBB21_1050
.LBB21_1049:                            ;   in Loop: Header=BB21_3 Depth=1
	ds_load_b32 v28, v53 offset:15344
	ds_load_b32 v29, v7 offset:14572
	s_wait_dscnt 0x0
	v_fmac_f32_e32 v24, v28, v29
.LBB21_1050:                            ;   in Loop: Header=BB21_3 Depth=1
	s_or_b32 exec_lo, exec_lo, s46
	s_delay_alu instid0(VALU_DEP_1)
	v_xor_b32_e32 v24, 0x80000000, v24
.LBB21_1051:                            ;   in Loop: Header=BB21_3 Depth=1
	s_or_b32 exec_lo, exec_lo, s61
	s_and_saveexec_b32 s46, s93
; %bb.1052:                             ;   in Loop: Header=BB21_3 Depth=1
	ds_store_b32 v47, v24
; %bb.1053:                             ;   in Loop: Header=BB21_3 Depth=1
	s_or_b32 exec_lo, exec_lo, s46
	s_wait_dscnt 0x0
	s_barrier_signal -1
	s_barrier_wait -1
	s_and_saveexec_b32 s46, s94
	s_cbranch_execz .LBB21_1055
; %bb.1054:                             ;   in Loop: Header=BB21_3 Depth=1
	ds_load_b32 v28, v45 offset:15600
	ds_load_b32 v29, v47
	s_wait_dscnt 0x0
	v_fmac_f32_e32 v24, v28, v29
.LBB21_1055:                            ;   in Loop: Header=BB21_3 Depth=1
	s_or_b32 exec_lo, exec_lo, s46
	s_barrier_signal -1
	s_barrier_wait -1
	s_and_saveexec_b32 s46, s95
; %bb.1056:                             ;   in Loop: Header=BB21_3 Depth=1
	ds_store_b32 v47, v24
; %bb.1057:                             ;   in Loop: Header=BB21_3 Depth=1
	s_or_b32 exec_lo, exec_lo, s46
	s_wait_dscnt 0x0
	s_barrier_signal -1
	s_barrier_wait -1
	s_and_saveexec_b32 s46, s96
	s_cbranch_execz .LBB21_1059
; %bb.1058:                             ;   in Loop: Header=BB21_3 Depth=1
	ds_load_b32 v28, v45 offset:15856
	ds_load_b32 v29, v47
	s_wait_dscnt 0x0
	v_fmac_f32_e32 v24, v28, v29
.LBB21_1059:                            ;   in Loop: Header=BB21_3 Depth=1
	s_or_b32 exec_lo, exec_lo, s46
	s_barrier_signal -1
	s_barrier_wait -1
	;; [unrolled: 19-line block ×3, first 2 shown]
	s_and_saveexec_b32 s46, s98
; %bb.1064:                             ;   in Loop: Header=BB21_3 Depth=1
	ds_store_b32 v47, v24
; %bb.1065:                             ;   in Loop: Header=BB21_3 Depth=1
	s_or_b32 exec_lo, exec_lo, s46
	s_wait_dscnt 0x0
	s_barrier_signal -1
	s_barrier_wait -1
	s_barrier_signal -1
	s_barrier_wait -1
	s_and_saveexec_b32 s46, s4
; %bb.1066:                             ;   in Loop: Header=BB21_3 Depth=1
	v_xor_b32_e32 v24, 0x80000000, v24
	ds_store_b32 v48, v24 offset:14576
; %bb.1067:                             ;   in Loop: Header=BB21_3 Depth=1
	s_or_b32 exec_lo, exec_lo, s46
	s_wait_dscnt 0x0
	s_barrier_signal -1
	s_barrier_wait -1
	s_barrier_signal -1
	s_barrier_wait -1
	s_and_saveexec_b32 s46, s99
	s_cbranch_execz .LBB21_1069
; %bb.1068:                             ;   in Loop: Header=BB21_3 Depth=1
	ds_load_b32 v24, v56 offset:14576
	s_wait_dscnt 0x0
	ds_store_b32 v59, v24 offset:15584
	ds_load_b32 v24, v56 offset:14580
	s_wait_dscnt 0x0
	ds_store_b32 v59, v24 offset:15840
	;; [unrolled: 3-line block ×4, first 2 shown]
.LBB21_1069:                            ;   in Loop: Header=BB21_3 Depth=1
	s_or_b32 exec_lo, exec_lo, s46
	s_wait_dscnt 0x0
	s_barrier_signal -1
	s_barrier_wait -1
	s_and_saveexec_b32 s46, s11
	s_cbranch_execz .LBB21_1071
; %bb.1070:                             ;   in Loop: Header=BB21_3 Depth=1
	ds_load_b32 v24, v7 offset:15604
	ds_store_b32 v7, v25 offset:15600
	s_wait_dscnt 0x1
	ds_store_b64 v7, v[24:25] offset:15856
.LBB21_1071:                            ;   in Loop: Header=BB21_3 Depth=1
	s_or_b32 exec_lo, exec_lo, s46
	v_mov_b32_e32 v24, 0
	s_wait_dscnt 0x0
	s_barrier_signal -1
	s_barrier_wait -1
	s_and_saveexec_b32 s46, s2
	s_cbranch_execz .LBB21_1075
; %bb.1072:                             ;   in Loop: Header=BB21_3 Depth=1
	ds_load_b32 v24, v39 offset:15608
	ds_load_b32 v28, v40 offset:15600
	s_wait_dscnt 0x0
	v_fma_f32 v24, v24, v28, 0
	s_and_saveexec_b32 s47, s12
	s_cbranch_execz .LBB21_1074
; %bb.1073:                             ;   in Loop: Header=BB21_3 Depth=1
	ds_load_b32 v28, v59 offset:15864
	ds_load_b32 v29, v7 offset:15604
	s_wait_dscnt 0x0
	v_fmac_f32_e32 v24, v28, v29
.LBB21_1074:                            ;   in Loop: Header=BB21_3 Depth=1
	s_or_b32 exec_lo, exec_lo, s47
	s_delay_alu instid0(VALU_DEP_1)
	v_xor_b32_e32 v24, 0x80000000, v24
.LBB21_1075:                            ;   in Loop: Header=BB21_3 Depth=1
	s_or_b32 exec_lo, exec_lo, s46
	s_and_saveexec_b32 s46, s90
; %bb.1076:                             ;   in Loop: Header=BB21_3 Depth=1
	ds_store_b32 v37, v24
; %bb.1077:                             ;   in Loop: Header=BB21_3 Depth=1
	s_or_b32 exec_lo, exec_lo, s46
	s_wait_dscnt 0x0
	s_barrier_signal -1
	s_barrier_wait -1
	s_and_saveexec_b32 s46, s91
	s_cbranch_execz .LBB21_1079
; %bb.1078:                             ;   in Loop: Header=BB21_3 Depth=1
	ds_load_b32 v28, v7 offset:16124
	ds_load_b32 v29, v37
	s_wait_dscnt 0x0
	v_fmac_f32_e32 v24, v28, v29
.LBB21_1079:                            ;   in Loop: Header=BB21_3 Depth=1
	s_or_b32 exec_lo, exec_lo, s46
	s_barrier_signal -1
	s_barrier_wait -1
	s_and_saveexec_b32 s46, s91
; %bb.1080:                             ;   in Loop: Header=BB21_3 Depth=1
	ds_store_b32 v37, v24
; %bb.1081:                             ;   in Loop: Header=BB21_3 Depth=1
	s_or_b32 exec_lo, exec_lo, s46
	s_wait_dscnt 0x0
	s_barrier_signal -1
	s_barrier_wait -1
	s_barrier_signal -1
	s_barrier_wait -1
	s_and_saveexec_b32 s46, s2
; %bb.1082:                             ;   in Loop: Header=BB21_3 Depth=1
	v_xor_b32_e32 v24, 0x80000000, v24
	ds_store_b32 v39, v24 offset:15608
; %bb.1083:                             ;   in Loop: Header=BB21_3 Depth=1
	s_or_b32 exec_lo, exec_lo, s46
	s_wait_dscnt 0x0
	s_barrier_signal -1
	s_barrier_wait -1
	s_barrier_signal -1
	s_barrier_wait -1
	s_and_saveexec_b32 s46, s92
	s_cbranch_execz .LBB21_1085
; %bb.1084:                             ;   in Loop: Header=BB21_3 Depth=1
	v_add_nc_u32_e32 v24, v59, v44
	ds_load_b32 v28, v24 offset:15608
	s_wait_dscnt 0x0
	ds_store_b32 v59, v28 offset:16112
	ds_load_b32 v24, v24 offset:15612
	s_wait_dscnt 0x0
	ds_store_b32 v59, v24 offset:16368
.LBB21_1085:                            ;   in Loop: Header=BB21_3 Depth=1
	s_or_b32 exec_lo, exec_lo, s46
	s_wait_dscnt 0x0
	s_barrier_signal -1
	s_barrier_wait -1
	s_and_saveexec_b32 s46, s11
	s_cbranch_execz .LBB21_1087
; %bb.1086:                             ;   in Loop: Header=BB21_3 Depth=1
	ds_load_b32 v24, v7 offset:16124
	ds_store_b32 v7, v25 offset:16120
	s_wait_dscnt 0x1
	ds_store_b64 v7, v[24:25] offset:16376
.LBB21_1087:                            ;   in Loop: Header=BB21_3 Depth=1
	s_or_b32 exec_lo, exec_lo, s46
.LBB21_1088:                            ;   in Loop: Header=BB21_3 Depth=1
	s_mul_u64 s[46:47], s[70:71], s[72:73]
	v_mov_b32_e32 v24, 0
	s_lshl_b64 s[46:47], s[46:47], 2
	s_wait_dscnt 0x0
	s_add_nc_u64 s[80:81], s[64:65], s[46:47]
	s_barrier_signal -1
	s_barrier_wait -1
	s_and_saveexec_b32 s46, s44
	s_cbranch_execz .LBB21_1090
; %bb.1089:                             ;   in Loop: Header=BB21_3 Depth=1
	v_lshl_add_u64 v[28:29], v[0:1], 2, s[80:81]
	v_readlane_b32 s47, v91, 9
	global_load_b32 v24, v[28:29], off
	s_wait_loadcnt 0x0
	v_mul_f32_e64 v24, v24, -s47
.LBB21_1090:                            ;   in Loop: Header=BB21_3 Depth=1
	s_or_b32 exec_lo, exec_lo, s46
	s_delay_alu instid0(SALU_CYCLE_1)
	s_and_not1_b32 vcc_lo, exec_lo, s45
	s_cbranch_vccnz .LBB21_1116
; %bb.1091:                             ;   in Loop: Header=BB21_3 Depth=1
	v_mov_b32_e32 v86, -1
	s_lshl_b64 s[46:47], s[72:73], 2
	s_mov_b32 s61, 0
	s_add_nc_u64 s[82:83], s[66:67], s[46:47]
	s_branch .LBB21_1094
.LBB21_1092:                            ;   in Loop: Header=BB21_1094 Depth=2
	s_wait_xcnt 0x0
	ds_load_b32 v28, v71 offset:192
	s_wait_loadcnt_dscnt 0x0
	v_fmac_f32_e32 v24, v30, v28
.LBB21_1093:                            ;   in Loop: Header=BB21_1094 Depth=2
	s_or_b32 exec_lo, exec_lo, s46
	s_add_co_i32 s61, s61, 1
	s_delay_alu instid0(SALU_CYCLE_1)
	s_cmp_eq_u32 s61, s85
	s_cbranch_scc1 .LBB21_1116
.LBB21_1094:                            ;   Parent Loop BB21_3 Depth=1
                                        ; =>  This Loop Header: Depth=2
                                        ;       Child Loop BB21_1096 Depth 3
	v_cmp_gt_i32_e32 vcc_lo, s61, v86
	s_and_b32 s47, s55, vcc_lo
	s_delay_alu instid0(SALU_CYCLE_1)
	s_and_saveexec_b32 s46, s47
	s_cbranch_execz .LBB21_1097
; %bb.1095:                             ;   in Loop: Header=BB21_1094 Depth=2
	global_load_b32 v86, v7, s[82:83]
	s_wait_loadcnt 0x0
	v_cmp_le_i32_e32 vcc_lo, s61, v86
	s_cbranch_vccnz .LBB21_1097
.LBB21_1096:                            ;   Parent Loop BB21_3 Depth=1
                                        ;     Parent Loop BB21_1094 Depth=2
                                        ; =>    This Inner Loop Header: Depth=3
	global_wb scope:SCOPE_DEV
	s_wait_storecnt 0x0
	global_inv scope:SCOPE_DEV
	global_load_b32 v86, v7, s[82:83]
	s_wait_loadcnt 0x0
	v_cmp_gt_i32_e32 vcc_lo, s61, v86
	s_cbranch_vccnz .LBB21_1096
.LBB21_1097:                            ;   in Loop: Header=BB21_1094 Depth=2
	s_or_b32 exec_lo, exec_lo, s46
	s_sub_co_i32 s60, s86, s61
	global_wb scope:SCOPE_DEV
	s_wait_storecnt 0x0
	global_inv scope:SCOPE_DEV
	s_lshl_b32 s46, s60, 6
	s_wait_loadcnt 0x0
	s_barrier_signal -1
	s_barrier_wait -1
	s_and_saveexec_b32 s47, s56
	s_cbranch_execz .LBB21_1101
; %bb.1098:                             ;   in Loop: Header=BB21_1094 Depth=2
	s_ashr_i32 s48, s46, 31
	s_delay_alu instid0(SALU_CYCLE_1) | instskip(SKIP_2) | instid1(VALU_DEP_1)
	v_dual_mov_b32 v30, 0 :: v_dual_mov_b32 v29, s48
	v_or_b32_e32 v28, s46, v6
	s_mov_b32 s48, exec_lo
	v_cmpx_gt_i64_e64 s[74:75], v[28:29]
	s_cbranch_execz .LBB21_1100
; %bb.1099:                             ;   in Loop: Header=BB21_1094 Depth=2
	v_mul_u64_e32 v[28:29], s[68:69], v[28:29]
	s_delay_alu instid0(VALU_DEP_1)
	v_lshl_add_u64 v[28:29], v[28:29], 2, s[80:81]
	global_load_b32 v30, v[28:29], off
.LBB21_1100:                            ;   in Loop: Header=BB21_1094 Depth=2
	s_wait_xcnt 0x0
	s_or_b32 exec_lo, exec_lo, s48
	s_wait_loadcnt 0x0
	ds_store_b32 v70, v30
.LBB21_1101:                            ;   in Loop: Header=BB21_1094 Depth=2
	s_or_b32 exec_lo, exec_lo, s47
	v_add_nc_u32_e32 v30, s46, v2
	s_cmp_lg_u32 s60, s57
	s_wait_dscnt 0x0
	s_cselect_b32 s47, -1, 0
	s_barrier_signal -1
	v_ashrrev_i32_e32 v31, 31, v30
	v_cmp_gt_i32_e32 vcc_lo, s74, v30
	s_barrier_wait -1
	s_delay_alu instid0(VALU_DEP_2) | instskip(SKIP_2) | instid1(SALU_CYCLE_1)
	v_lshl_add_u64 v[28:29], v[30:31], 2, v[26:27]
	v_cndmask_b32_e64 v31, 0, 1, s47
	s_and_b32 s48, vcc_lo, s0
	s_and_saveexec_b32 s46, s48
	s_cbranch_execz .LBB21_1105
; %bb.1102:                             ;   in Loop: Header=BB21_1094 Depth=2
	v_mov_b32_e32 v87, v82
	s_and_not1_b32 vcc_lo, exec_lo, s47
	s_cbranch_vccnz .LBB21_1104
; %bb.1103:                             ;   in Loop: Header=BB21_1094 Depth=2
	global_load_b32 v87, v[28:29], off
.LBB21_1104:                            ;   in Loop: Header=BB21_1094 Depth=2
	ds_load_b32 v88, v71
	s_wait_loadcnt_dscnt 0x0
	v_fmac_f32_e32 v24, v87, v88
.LBB21_1105:                            ;   in Loop: Header=BB21_1094 Depth=2
	s_or_b32 exec_lo, exec_lo, s46
	v_add_nc_u32_e32 v87, 16, v30
	s_delay_alu instid0(VALU_DEP_1) | instskip(SKIP_1) | instid1(SALU_CYCLE_1)
	v_cmp_gt_i32_e32 vcc_lo, s74, v87
	s_and_b32 s47, vcc_lo, s0
	s_and_saveexec_b32 s46, s47
	s_cbranch_execz .LBB21_1109
; %bb.1106:                             ;   in Loop: Header=BB21_1094 Depth=2
	v_cmp_ne_u32_e32 vcc_lo, 1, v31
	v_mov_b32_e32 v87, v83
	s_cbranch_vccnz .LBB21_1108
; %bb.1107:                             ;   in Loop: Header=BB21_1094 Depth=2
	global_load_b32 v87, v[28:29], off offset:64
.LBB21_1108:                            ;   in Loop: Header=BB21_1094 Depth=2
	ds_load_b32 v88, v71 offset:64
	s_wait_loadcnt_dscnt 0x0
	v_fmac_f32_e32 v24, v87, v88
.LBB21_1109:                            ;   in Loop: Header=BB21_1094 Depth=2
	s_or_b32 exec_lo, exec_lo, s46
	v_add_nc_u32_e32 v87, 32, v30
	s_delay_alu instid0(VALU_DEP_1) | instskip(SKIP_1) | instid1(SALU_CYCLE_1)
	v_cmp_gt_i32_e32 vcc_lo, s74, v87
	s_and_b32 s47, vcc_lo, s0
	s_and_saveexec_b32 s46, s47
	s_cbranch_execz .LBB21_1113
; %bb.1110:                             ;   in Loop: Header=BB21_1094 Depth=2
	v_cmp_ne_u32_e32 vcc_lo, 1, v31
	v_mov_b32_e32 v87, v84
	s_cbranch_vccnz .LBB21_1112
; %bb.1111:                             ;   in Loop: Header=BB21_1094 Depth=2
	global_load_b32 v87, v[28:29], off offset:128
.LBB21_1112:                            ;   in Loop: Header=BB21_1094 Depth=2
	ds_load_b32 v88, v71 offset:128
	s_wait_loadcnt_dscnt 0x0
	v_fmac_f32_e32 v24, v87, v88
.LBB21_1113:                            ;   in Loop: Header=BB21_1094 Depth=2
	s_or_b32 exec_lo, exec_lo, s46
	v_add_nc_u32_e32 v30, 48, v30
	s_delay_alu instid0(VALU_DEP_1) | instskip(SKIP_1) | instid1(SALU_CYCLE_1)
	v_cmp_gt_i32_e32 vcc_lo, s74, v30
	s_and_b32 s47, vcc_lo, s0
	s_and_saveexec_b32 s46, s47
	s_cbranch_execz .LBB21_1093
; %bb.1114:                             ;   in Loop: Header=BB21_1094 Depth=2
	v_cmp_ne_u32_e32 vcc_lo, 1, v31
	v_mov_b32_e32 v30, v85
	s_cbranch_vccnz .LBB21_1092
; %bb.1115:                             ;   in Loop: Header=BB21_1094 Depth=2
	global_load_b32 v30, v[28:29], off offset:192
	s_branch .LBB21_1092
.LBB21_1116:                            ;   in Loop: Header=BB21_3 Depth=1
	ds_store_b32 v72, v24
	s_wait_dscnt 0x0
	s_barrier_signal -1
	s_barrier_wait -1
	s_and_saveexec_b32 s61, s3
	s_cbranch_execz .LBB21_1118
; %bb.1117:                             ;   in Loop: Header=BB21_3 Depth=1
	ds_load_2addr_stride64_b32 v[26:27], v73 offset0:1 offset1:2
	ds_load_2addr_stride64_b32 v[28:29], v73 offset0:3 offset1:4
	;; [unrolled: 1-line block ×4, first 2 shown]
	v_readlane_b32 s46, v91, 8
	s_wait_dscnt 0x3
	v_add_f32_e32 v24, v24, v26
	s_delay_alu instid0(VALU_DEP_1) | instskip(SKIP_3) | instid1(VALU_DEP_1)
	v_add_f32_e32 v24, v24, v27
	ds_load_2addr_stride64_b32 v[26:27], v73 offset0:9 offset1:10
	s_wait_dscnt 0x3
	v_add_f32_e32 v24, v24, v28
	v_add_f32_e32 v24, v24, v29
	ds_load_2addr_stride64_b32 v[28:29], v73 offset0:11 offset1:12
	s_wait_dscnt 0x3
	v_add_f32_e32 v24, v24, v30
	s_delay_alu instid0(VALU_DEP_1) | instskip(SKIP_1) | instid1(VALU_DEP_1)
	v_add_f32_e32 v24, v24, v31
	s_wait_dscnt 0x2
	v_add_f32_e32 v24, v24, v86
	ds_load_2addr_stride64_b32 v[30:31], v73 offset0:13 offset1:14
	ds_load_b32 v86, v73 offset:3840
	v_add_f32_e32 v24, v24, v87
	s_wait_dscnt 0x3
	s_delay_alu instid0(VALU_DEP_1) | instskip(NEXT) | instid1(VALU_DEP_1)
	v_add_f32_e32 v24, v24, v26
	v_add_f32_e32 v24, v24, v27
	s_wait_dscnt 0x2
	s_delay_alu instid0(VALU_DEP_1) | instskip(NEXT) | instid1(VALU_DEP_1)
	v_add_f32_e32 v24, v24, v28
	;; [unrolled: 4-line block ×4, first 2 shown]
	v_cndmask_b32_e64 v24, -v24, 0, s46
.LBB21_1118:                            ;   in Loop: Header=BB21_3 Depth=1
	s_or_b32 exec_lo, exec_lo, s61
	s_delay_alu instid0(SALU_CYCLE_1)
	s_and_not1_b32 vcc_lo, exec_lo, s89
	s_cbranch_vccnz .LBB21_1128
; %bb.1119:                             ;   in Loop: Header=BB21_3 Depth=1
	s_and_saveexec_b32 s46, s3
; %bb.1120:                             ;   in Loop: Header=BB21_3 Depth=1
	ds_store_b32 v75, v24
; %bb.1121:                             ;   in Loop: Header=BB21_3 Depth=1
	s_or_b32 exec_lo, exec_lo, s46
	v_mov_b32_e32 v26, 0
	s_wait_dscnt 0x0
	s_barrier_signal -1
	s_barrier_wait -1
	s_and_saveexec_b32 s46, s1
	s_cbranch_execnz .LBB21_1168
; %bb.1122:                             ;   in Loop: Header=BB21_3 Depth=1
	s_or_b32 exec_lo, exec_lo, s46
	s_and_saveexec_b32 s46, s8
	s_cbranch_execnz .LBB21_1169
.LBB21_1123:                            ;   in Loop: Header=BB21_3 Depth=1
	s_or_b32 exec_lo, exec_lo, s46
	s_and_saveexec_b32 s46, s9
	s_cbranch_execnz .LBB21_1170
.LBB21_1124:                            ;   in Loop: Header=BB21_3 Depth=1
	s_or_b32 exec_lo, exec_lo, s46
	s_and_saveexec_b32 s46, s10
	s_cbranch_execz .LBB21_1126
.LBB21_1125:                            ;   in Loop: Header=BB21_3 Depth=1
	ds_load_b32 v27, v74 offset:12288
	ds_load_b32 v28, v71 offset:192
	s_wait_dscnt 0x0
	v_fmac_f32_e32 v26, v27, v28
.LBB21_1126:                            ;   in Loop: Header=BB21_3 Depth=1
	s_or_b32 exec_lo, exec_lo, s46
	s_mov_b32 s61, 0
	s_mov_b32 s82, 0
	ds_store_b32 v72, v26
	s_wait_dscnt 0x0
	s_barrier_signal -1
	s_barrier_wait -1
                                        ; implicit-def: $vgpr27
	s_and_saveexec_b32 s83, s3
	s_cbranch_execz .LBB21_1171
; %bb.1127:                             ;   in Loop: Header=BB21_3 Depth=1
	ds_load_2addr_stride64_b32 v[28:29], v73 offset0:1 offset1:2
	ds_load_2addr_stride64_b32 v[30:31], v73 offset0:3 offset1:4
	;; [unrolled: 1-line block ×4, first 2 shown]
	s_mov_b32 s82, exec_lo
	s_wait_dscnt 0x3
	v_add_f32_e32 v26, v26, v28
	s_delay_alu instid0(VALU_DEP_1) | instskip(SKIP_1) | instid1(VALU_DEP_1)
	v_add_f32_e32 v26, v29, v26
	s_wait_dscnt 0x2
	v_add_f32_e32 v26, v30, v26
	s_delay_alu instid0(VALU_DEP_1) | instskip(SKIP_1) | instid1(VALU_DEP_1)
	v_add_f32_e32 v26, v31, v26
	s_wait_dscnt 0x1
	v_add_f32_e32 v28, v86, v26
	ds_load_2addr_stride64_b32 v[26:27], v73 offset0:9 offset1:10
	v_add_f32_e32 v28, v87, v28
	s_wait_dscnt 0x1
	s_delay_alu instid0(VALU_DEP_1)
	v_add_f32_e32 v30, v88, v28
	ds_load_2addr_stride64_b32 v[28:29], v73 offset0:11 offset1:12
	v_add_f32_e32 v86, v89, v30
	ds_load_2addr_stride64_b32 v[30:31], v73 offset0:13 offset1:14
	ds_load_b32 v87, v73 offset:3840
	s_wait_dscnt 0x3
	v_add_f32_e32 v26, v26, v86
	s_delay_alu instid0(VALU_DEP_1) | instskip(SKIP_1) | instid1(VALU_DEP_1)
	v_add_f32_e32 v26, v27, v26
	s_wait_dscnt 0x2
	v_add_f32_e32 v26, v28, v26
	s_delay_alu instid0(VALU_DEP_1) | instskip(SKIP_1) | instid1(VALU_DEP_1)
	v_add_f32_e32 v26, v29, v26
	;; [unrolled: 4-line block ×3, first 2 shown]
	s_wait_dscnt 0x0
	v_add_f32_e32 v27, v87, v26
	s_or_b32 exec_lo, exec_lo, s83
	s_delay_alu instid0(SALU_CYCLE_1)
	s_and_b32 vcc_lo, exec_lo, s61
	s_cbranch_vccnz .LBB21_1129
	s_branch .LBB21_1172
.LBB21_1128:                            ;   in Loop: Header=BB21_3 Depth=1
	s_mov_b32 s82, 0
                                        ; implicit-def: $vgpr27
	s_cbranch_execz .LBB21_1172
.LBB21_1129:                            ;   in Loop: Header=BB21_3 Depth=1
	v_dual_mov_b32 v26, v81 :: v_dual_mov_b32 v27, v80
	s_mov_b32 s61, 63
	s_branch .LBB21_1131
.LBB21_1130:                            ;   in Loop: Header=BB21_1131 Depth=2
	s_or_b32 exec_lo, exec_lo, s46
	v_add_nc_u32_e32 v27, 0xfffffc00, v27
	v_add_nc_u32_e32 v26, 4, v26
	s_add_co_i32 s61, s61, -4
	s_cmp_lg_u32 s60, 0
	s_barrier_signal -1
	s_barrier_wait -1
	s_cbranch_scc0 .LBB21_1147
.LBB21_1131:                            ;   Parent Loop BB21_3 Depth=1
                                        ; =>  This Inner Loop Header: Depth=2
	s_delay_alu instid0(VALU_DEP_1) | instskip(SKIP_1) | instid1(SALU_CYCLE_1)
	v_cmp_eq_u32_e32 vcc_lo, 0, v26
	s_and_b32 s47, s3, vcc_lo
	s_and_saveexec_b32 s46, s47
; %bb.1132:                             ;   in Loop: Header=BB21_1131 Depth=2
	ds_store_b32 v7, v24 offset:20736
; %bb.1133:                             ;   in Loop: Header=BB21_1131 Depth=2
	s_or_b32 exec_lo, exec_lo, s46
	v_cmp_gt_u32_e32 vcc_lo, s61, v4
	s_wait_dscnt 0x0
	s_barrier_signal -1
	s_barrier_wait -1
	s_and_b32 s47, s3, vcc_lo
	s_delay_alu instid0(SALU_CYCLE_1)
	s_and_saveexec_b32 s46, s47
	s_cbranch_execz .LBB21_1135
; %bb.1134:                             ;   in Loop: Header=BB21_1131 Depth=2
	ds_load_b32 v28, v27 offset:768
	ds_load_b32 v29, v7 offset:20736
	s_wait_dscnt 0x0
	v_fmac_f32_e32 v24, v28, v29
.LBB21_1135:                            ;   in Loop: Header=BB21_1131 Depth=2
	s_or_b32 exec_lo, exec_lo, s46
	s_add_co_i32 s46, s61, -1
	s_delay_alu instid0(SALU_CYCLE_1) | instskip(SKIP_3) | instid1(SALU_CYCLE_1)
	v_cmp_eq_u32_e32 vcc_lo, s46, v4
	s_barrier_signal -1
	s_barrier_wait -1
	s_and_b32 s48, s3, vcc_lo
	s_and_saveexec_b32 s47, s48
; %bb.1136:                             ;   in Loop: Header=BB21_1131 Depth=2
	ds_store_b32 v7, v24 offset:20736
; %bb.1137:                             ;   in Loop: Header=BB21_1131 Depth=2
	s_or_b32 exec_lo, exec_lo, s47
	v_cmp_gt_u32_e32 vcc_lo, s46, v4
	s_wait_dscnt 0x0
	s_barrier_signal -1
	s_barrier_wait -1
	s_and_b32 s47, s3, vcc_lo
	s_delay_alu instid0(SALU_CYCLE_1)
	s_and_saveexec_b32 s46, s47
	s_cbranch_execz .LBB21_1139
; %bb.1138:                             ;   in Loop: Header=BB21_1131 Depth=2
	ds_load_b32 v28, v27 offset:512
	ds_load_b32 v29, v7 offset:20736
	s_wait_dscnt 0x0
	v_fmac_f32_e32 v24, v28, v29
.LBB21_1139:                            ;   in Loop: Header=BB21_1131 Depth=2
	s_or_b32 exec_lo, exec_lo, s46
	s_add_co_i32 s46, s61, -2
	s_delay_alu instid0(SALU_CYCLE_1) | instskip(SKIP_3) | instid1(SALU_CYCLE_1)
	v_cmp_eq_u32_e32 vcc_lo, s46, v4
	s_barrier_signal -1
	s_barrier_wait -1
	s_and_b32 s48, s3, vcc_lo
	s_and_saveexec_b32 s47, s48
; %bb.1140:                             ;   in Loop: Header=BB21_1131 Depth=2
	ds_store_b32 v7, v24 offset:20736
; %bb.1141:                             ;   in Loop: Header=BB21_1131 Depth=2
	s_or_b32 exec_lo, exec_lo, s47
	v_cmp_gt_u32_e32 vcc_lo, s46, v4
	s_wait_dscnt 0x0
	s_barrier_signal -1
	s_barrier_wait -1
	s_and_b32 s47, s3, vcc_lo
	s_delay_alu instid0(SALU_CYCLE_1)
	s_and_saveexec_b32 s46, s47
	s_cbranch_execz .LBB21_1143
; %bb.1142:                             ;   in Loop: Header=BB21_1131 Depth=2
	ds_load_b32 v28, v27 offset:256
	ds_load_b32 v29, v7 offset:20736
	s_wait_dscnt 0x0
	v_fmac_f32_e32 v24, v28, v29
.LBB21_1143:                            ;   in Loop: Header=BB21_1131 Depth=2
	s_or_b32 exec_lo, exec_lo, s46
	s_add_co_i32 s60, s61, -3
	s_delay_alu instid0(SALU_CYCLE_1) | instskip(SKIP_3) | instid1(SALU_CYCLE_1)
	v_cmp_eq_u32_e32 vcc_lo, s60, v4
	s_barrier_signal -1
	s_barrier_wait -1
	s_and_b32 s47, s3, vcc_lo
	s_and_saveexec_b32 s46, s47
; %bb.1144:                             ;   in Loop: Header=BB21_1131 Depth=2
	ds_store_b32 v7, v24 offset:20736
; %bb.1145:                             ;   in Loop: Header=BB21_1131 Depth=2
	s_or_b32 exec_lo, exec_lo, s46
	v_cmp_gt_u32_e32 vcc_lo, s60, v4
	s_wait_dscnt 0x0
	s_barrier_signal -1
	s_barrier_wait -1
	s_and_b32 s47, s3, vcc_lo
	s_delay_alu instid0(SALU_CYCLE_1)
	s_and_saveexec_b32 s46, s47
	s_cbranch_execz .LBB21_1130
; %bb.1146:                             ;   in Loop: Header=BB21_1131 Depth=2
	ds_load_b32 v28, v27
	ds_load_b32 v29, v7 offset:20736
	s_wait_dscnt 0x0
	v_fmac_f32_e32 v24, v28, v29
	s_branch .LBB21_1130
.LBB21_1147:                            ;   in Loop: Header=BB21_3 Depth=1
	s_and_b32 vcc_lo, exec_lo, s87
	s_mov_b32 s46, -1
	s_cbranch_vccnz .LBB21_1173
; %bb.1148:                             ;   in Loop: Header=BB21_3 Depth=1
	s_and_not1_b32 vcc_lo, exec_lo, s46
	s_cbranch_vccz .LBB21_1174
.LBB21_1149:                            ;   in Loop: Header=BB21_3 Depth=1
	s_and_saveexec_b32 s46, s82
	s_cbranch_execz .LBB21_1151
.LBB21_1150:                            ;   in Loop: Header=BB21_3 Depth=1
	v_lshl_add_u64 v[26:27], v[12:13], 2, s[80:81]
	global_store_b32 v[26:27], v24, off
.LBB21_1151:                            ;   in Loop: Header=BB21_3 Depth=1
	s_wait_xcnt 0x0
	s_or_b32 exec_lo, exec_lo, s46
	global_wb scope:SCOPE_DEV
	s_wait_storecnt 0x0
	global_inv scope:SCOPE_DEV
	s_wait_loadcnt 0x0
	s_barrier_signal -1
	s_barrier_wait -1
	s_and_saveexec_b32 s46, s55
	s_cbranch_execz .LBB21_2
; %bb.1152:                             ;   in Loop: Header=BB21_3 Depth=1
	s_lshl_b64 s[60:61], s[72:73], 2
	s_delay_alu instid0(SALU_CYCLE_1)
	s_add_nc_u64 s[60:61], s[66:67], s[60:61]
	global_load_b32 v24, v7, s[60:61]
	s_wait_loadcnt 0x0
	v_add_nc_u32_e32 v24, 1, v24
	global_store_b32 v7, v24, s[60:61]
	s_branch .LBB21_2
.LBB21_1153:                            ;   in Loop: Header=BB21_3 Depth=1
	s_mov_b32 s47, exec_lo
	v_readlane_b32 s48, v90, 21
	s_and_b32 s48, s47, s48
	s_delay_alu instid0(SALU_CYCLE_1)
	s_mov_b32 exec_lo, s48
; %bb.1154:                             ;   in Loop: Header=BB21_3 Depth=1
	ds_store_b32 v76, v7
; %bb.1155:                             ;   in Loop: Header=BB21_3 Depth=1
	s_or_b32 exec_lo, exec_lo, s47
	s_and_not1_saveexec_b32 s46, s46
	s_cbranch_execz .LBB21_16
.LBB21_1156:                            ;   in Loop: Header=BB21_3 Depth=1
	v_lshl_add_u64 v[30:31], v[14:15], 2, v[28:29]
	global_load_b32 v24, v[30:31], off
	s_wait_loadcnt 0x0
	v_xor_b32_e32 v24, 0x80000000, v24
	ds_store_b32 v76, v24
	s_or_b32 exec_lo, exec_lo, s46
	s_and_saveexec_b32 s46, s8
	s_delay_alu instid0(SALU_CYCLE_1)
	s_xor_b32 s46, exec_lo, s46
	s_cbranch_execz .LBB21_17
.LBB21_1157:                            ;   in Loop: Header=BB21_3 Depth=1
	s_mov_b32 s47, exec_lo
	v_readlane_b32 s48, v90, 22
	s_and_b32 s48, s47, s48
	s_delay_alu instid0(SALU_CYCLE_1)
	s_mov_b32 exec_lo, s48
; %bb.1158:                             ;   in Loop: Header=BB21_3 Depth=1
	ds_store_b32 v3, v7
; %bb.1159:                             ;   in Loop: Header=BB21_3 Depth=1
	s_or_b32 exec_lo, exec_lo, s47
	s_and_not1_saveexec_b32 s46, s46
	s_cbranch_execz .LBB21_18
.LBB21_1160:                            ;   in Loop: Header=BB21_3 Depth=1
	v_lshl_add_u64 v[30:31], v[16:17], 2, v[28:29]
	global_load_b32 v24, v[30:31], off
	s_wait_loadcnt 0x0
	v_xor_b32_e32 v24, 0x80000000, v24
	ds_store_b32 v3, v24
	s_or_b32 exec_lo, exec_lo, s46
	s_and_saveexec_b32 s46, s9
	s_delay_alu instid0(SALU_CYCLE_1)
	s_xor_b32 s46, exec_lo, s46
	s_cbranch_execz .LBB21_19
.LBB21_1161:                            ;   in Loop: Header=BB21_3 Depth=1
	s_mov_b32 s47, exec_lo
	v_readlane_b32 s48, v90, 23
	s_and_b32 s48, s47, s48
	s_delay_alu instid0(SALU_CYCLE_1)
	s_mov_b32 exec_lo, s48
; %bb.1162:                             ;   in Loop: Header=BB21_3 Depth=1
	ds_store_b32 v77, v7
; %bb.1163:                             ;   in Loop: Header=BB21_3 Depth=1
	s_or_b32 exec_lo, exec_lo, s47
	s_and_not1_saveexec_b32 s46, s46
	s_cbranch_execz .LBB21_20
.LBB21_1164:                            ;   in Loop: Header=BB21_3 Depth=1
	v_lshl_add_u64 v[30:31], v[18:19], 2, v[28:29]
	global_load_b32 v24, v[30:31], off
	s_wait_loadcnt 0x0
	v_xor_b32_e32 v24, 0x80000000, v24
	ds_store_b32 v77, v24
	s_or_b32 exec_lo, exec_lo, s46
	s_and_saveexec_b32 s46, s10
	s_delay_alu instid0(SALU_CYCLE_1)
	s_xor_b32 s46, exec_lo, s46
	s_cbranch_execz .LBB21_21
.LBB21_1165:                            ;   in Loop: Header=BB21_3 Depth=1
	s_mov_b32 s47, exec_lo
	v_readlane_b32 s48, v90, 24
	s_and_b32 s48, s47, s48
	s_delay_alu instid0(SALU_CYCLE_1)
	s_mov_b32 exec_lo, s48
; %bb.1166:                             ;   in Loop: Header=BB21_3 Depth=1
	ds_store_b32 v78, v7
; %bb.1167:                             ;   in Loop: Header=BB21_3 Depth=1
	s_or_b32 exec_lo, exec_lo, s47
	s_and_not1_saveexec_b32 s46, s46
	s_cbranch_execnz .LBB21_22
	s_branch .LBB21_23
.LBB21_1168:                            ;   in Loop: Header=BB21_3 Depth=1
	ds_load_b32 v26, v74
	ds_load_b32 v27, v71
	s_wait_dscnt 0x0
	v_fma_f32 v26, v26, v27, 0
	s_or_b32 exec_lo, exec_lo, s46
	s_and_saveexec_b32 s46, s8
	s_cbranch_execz .LBB21_1123
.LBB21_1169:                            ;   in Loop: Header=BB21_3 Depth=1
	ds_load_b32 v27, v74 offset:4096
	ds_load_b32 v28, v71 offset:64
	s_wait_dscnt 0x0
	v_fmac_f32_e32 v26, v27, v28
	s_or_b32 exec_lo, exec_lo, s46
	s_and_saveexec_b32 s46, s9
	s_cbranch_execz .LBB21_1124
.LBB21_1170:                            ;   in Loop: Header=BB21_3 Depth=1
	ds_load_b32 v27, v74 offset:8192
	ds_load_b32 v28, v71 offset:128
	s_wait_dscnt 0x0
	v_fmac_f32_e32 v26, v27, v28
	s_or_b32 exec_lo, exec_lo, s46
	s_and_saveexec_b32 s46, s10
	s_cbranch_execnz .LBB21_1125
	s_branch .LBB21_1126
.LBB21_1171:                            ;   in Loop: Header=BB21_3 Depth=1
	s_or_b32 exec_lo, exec_lo, s83
	s_delay_alu instid0(SALU_CYCLE_1)
	s_and_b32 vcc_lo, exec_lo, s61
	s_cbranch_vccnz .LBB21_1129
.LBB21_1172:                            ;   in Loop: Header=BB21_3 Depth=1
	v_mov_b32_e32 v24, v27
	s_and_saveexec_b32 s46, s82
	s_cbranch_execnz .LBB21_1150
	s_branch .LBB21_1151
.LBB21_1173:                            ;   in Loop: Header=BB21_3 Depth=1
	s_and_not1_b32 s47, s82, exec_lo
	s_and_b32 s48, s3, exec_lo
	s_delay_alu instid0(SALU_CYCLE_1)
	s_or_b32 s82, s47, s48
	s_cbranch_execnz .LBB21_1149
.LBB21_1174:                            ;   in Loop: Header=BB21_3 Depth=1
	v_readlane_b32 s47, v91, 10
	s_and_not1_b32 s46, s82, exec_lo
	s_and_b32 s47, s47, exec_lo
	s_delay_alu instid0(SALU_CYCLE_1) | instskip(NEXT) | instid1(SALU_CYCLE_1)
	s_or_b32 s82, s46, s47
	s_and_saveexec_b32 s46, s82
	s_cbranch_execnz .LBB21_1150
	s_branch .LBB21_1151
.LBB21_1175:                            ;   in Loop: Header=BB21_3 Depth=1
	ds_load_b32 v28, v49 offset:272
	ds_load_b32 v29, v41 offset:4
	s_wait_dscnt 0x0
	v_fmac_f32_e32 v24, v28, v29
	s_or_b32 exec_lo, exec_lo, s46
	s_and_saveexec_b32 s46, s14
	s_cbranch_execz .LBB21_72
.LBB21_1176:                            ;   in Loop: Header=BB21_3 Depth=1
	ds_load_b32 v28, v48 offset:528
	ds_load_b32 v29, v41 offset:8
	s_wait_dscnt 0x0
	v_fmac_f32_e32 v24, v28, v29
	s_or_b32 exec_lo, exec_lo, s46
	s_and_saveexec_b32 s46, s2
	s_cbranch_execnz .LBB21_73
	s_branch .LBB21_74
.LBB21_1177:                            ;   in Loop: Header=BB21_3 Depth=1
	ds_load_b32 v28, v57 offset:288
	ds_load_b32 v29, v51 offset:4
	s_wait_dscnt 0x0
	v_fmac_f32_e32 v24, v28, v29
	s_or_b32 exec_lo, exec_lo, s46
	s_and_saveexec_b32 s46, s16
	s_cbranch_execz .LBB21_114
.LBB21_1178:                            ;   in Loop: Header=BB21_3 Depth=1
	ds_load_b32 v28, v57 offset:544
	ds_load_b32 v29, v51 offset:8
	s_wait_dscnt 0x0
	v_fmac_f32_e32 v24, v28, v29
	s_or_b32 exec_lo, exec_lo, s46
	s_and_saveexec_b32 s46, s17
	s_cbranch_execz .LBB21_115
.LBB21_1179:                            ;   in Loop: Header=BB21_3 Depth=1
	ds_load_b32 v28, v57 offset:800
	ds_load_b32 v29, v51 offset:12
	s_wait_dscnt 0x0
	v_fmac_f32_e32 v24, v28, v29
	s_or_b32 exec_lo, exec_lo, s46
	s_and_saveexec_b32 s46, s18
	s_cbranch_execz .LBB21_116
.LBB21_1180:                            ;   in Loop: Header=BB21_3 Depth=1
	ds_load_b32 v28, v55 offset:1056
	ds_load_b32 v29, v51 offset:16
	s_wait_dscnt 0x0
	v_fmac_f32_e32 v24, v28, v29
	s_or_b32 exec_lo, exec_lo, s46
	s_and_saveexec_b32 s46, s19
	s_cbranch_execz .LBB21_117
.LBB21_1181:                            ;   in Loop: Header=BB21_3 Depth=1
	ds_load_b32 v28, v57 offset:1312
	ds_load_b32 v29, v51 offset:20
	s_wait_dscnt 0x0
	v_fmac_f32_e32 v24, v28, v29
	s_or_b32 exec_lo, exec_lo, s46
	s_and_saveexec_b32 s46, s4
	s_cbranch_execz .LBB21_118
.LBB21_1182:                            ;   in Loop: Header=BB21_3 Depth=1
	ds_load_b32 v28, v55 offset:1568
	ds_load_b32 v29, v51 offset:24
	s_wait_dscnt 0x0
	v_fmac_f32_e32 v24, v28, v29
	s_or_b32 exec_lo, exec_lo, s46
	s_and_saveexec_b32 s46, s14
	s_cbranch_execnz .LBB21_119
	s_branch .LBB21_120
.LBB21_1183:                            ;   in Loop: Header=BB21_3 Depth=1
	ds_load_b32 v28, v49 offset:2352
	ds_load_b32 v29, v41 offset:2084
	s_wait_dscnt 0x0
	v_fmac_f32_e32 v24, v28, v29
	s_or_b32 exec_lo, exec_lo, s46
	s_and_saveexec_b32 s46, s14
	s_cbranch_execz .LBB21_176
.LBB21_1184:                            ;   in Loop: Header=BB21_3 Depth=1
	ds_load_b32 v28, v48 offset:2608
	ds_load_b32 v29, v41 offset:2088
	s_wait_dscnt 0x0
	v_fmac_f32_e32 v24, v28, v29
	s_or_b32 exec_lo, exec_lo, s46
	s_and_saveexec_b32 s46, s2
	s_cbranch_execnz .LBB21_177
	s_branch .LBB21_178
.LBB21_1185:                            ;   in Loop: Header=BB21_3 Depth=1
	ds_load_b32 v28, v66 offset:2880
	ds_load_b32 v29, v58 offset:44
	s_wait_dscnt 0x0
	v_fmac_f32_e32 v24, v28, v29
	s_or_b32 exec_lo, exec_lo, s46
	s_and_saveexec_b32 s46, s5
	s_cbranch_execz .LBB21_238
.LBB21_1186:                            ;   in Loop: Header=BB21_3 Depth=1
	ds_load_b32 v28, v65 offset:3136
	ds_load_b32 v29, v58 offset:48
	s_wait_dscnt 0x0
	v_fmac_f32_e32 v24, v28, v29
	s_or_b32 exec_lo, exec_lo, s46
	s_and_saveexec_b32 s46, s16
	s_cbranch_execz .LBB21_239
.LBB21_1187:                            ;   in Loop: Header=BB21_3 Depth=1
	ds_load_b32 v28, v66 offset:3392
	ds_load_b32 v29, v58 offset:52
	s_wait_dscnt 0x0
	v_fmac_f32_e32 v24, v28, v29
	s_or_b32 exec_lo, exec_lo, s46
	s_and_saveexec_b32 s46, s18
	s_cbranch_execz .LBB21_240
.LBB21_1188:                            ;   in Loop: Header=BB21_3 Depth=1
	ds_load_b32 v28, v65 offset:3648
	ds_load_b32 v29, v58 offset:56
	s_wait_dscnt 0x0
	v_fmac_f32_e32 v24, v28, v29
	s_or_b32 exec_lo, exec_lo, s46
	s_and_saveexec_b32 s46, s4
	s_cbranch_execnz .LBB21_241
	s_branch .LBB21_242
.LBB21_1189:                            ;   in Loop: Header=BB21_3 Depth=1
	ds_load_b32 v28, v49 offset:4432
	ds_load_b32 v29, v41 offset:4164
	s_wait_dscnt 0x0
	v_fmac_f32_e32 v24, v28, v29
	s_or_b32 exec_lo, exec_lo, s46
	s_and_saveexec_b32 s46, s14
	s_cbranch_execz .LBB21_330
.LBB21_1190:                            ;   in Loop: Header=BB21_3 Depth=1
	ds_load_b32 v28, v48 offset:4688
	ds_load_b32 v29, v41 offset:4168
	s_wait_dscnt 0x0
	v_fmac_f32_e32 v24, v28, v29
	s_or_b32 exec_lo, exec_lo, s46
	s_and_saveexec_b32 s46, s2
	s_cbranch_execnz .LBB21_331
	s_branch .LBB21_332
.LBB21_1191:                            ;   in Loop: Header=BB21_3 Depth=1
	ds_load_b32 v28, v57 offset:4448
	ds_load_b32 v29, v51 offset:4164
	s_wait_dscnt 0x0
	v_fmac_f32_e32 v24, v28, v29
	s_or_b32 exec_lo, exec_lo, s46
	s_and_saveexec_b32 s46, s16
	s_cbranch_execz .LBB21_372
.LBB21_1192:                            ;   in Loop: Header=BB21_3 Depth=1
	ds_load_b32 v28, v57 offset:4704
	ds_load_b32 v29, v51 offset:4168
	s_wait_dscnt 0x0
	v_fmac_f32_e32 v24, v28, v29
	s_or_b32 exec_lo, exec_lo, s46
	s_and_saveexec_b32 s46, s17
	s_cbranch_execz .LBB21_373
.LBB21_1193:                            ;   in Loop: Header=BB21_3 Depth=1
	ds_load_b32 v28, v57 offset:4960
	ds_load_b32 v29, v51 offset:4172
	s_wait_dscnt 0x0
	v_fmac_f32_e32 v24, v28, v29
	s_or_b32 exec_lo, exec_lo, s46
	s_and_saveexec_b32 s46, s18
	s_cbranch_execz .LBB21_374
.LBB21_1194:                            ;   in Loop: Header=BB21_3 Depth=1
	ds_load_b32 v28, v55 offset:5216
	ds_load_b32 v29, v51 offset:4176
	s_wait_dscnt 0x0
	v_fmac_f32_e32 v24, v28, v29
	s_or_b32 exec_lo, exec_lo, s46
	s_and_saveexec_b32 s46, s19
	s_cbranch_execz .LBB21_375
.LBB21_1195:                            ;   in Loop: Header=BB21_3 Depth=1
	ds_load_b32 v28, v57 offset:5472
	ds_load_b32 v29, v51 offset:4180
	s_wait_dscnt 0x0
	v_fmac_f32_e32 v24, v28, v29
	s_or_b32 exec_lo, exec_lo, s46
	s_and_saveexec_b32 s46, s4
	s_cbranch_execz .LBB21_376
.LBB21_1196:                            ;   in Loop: Header=BB21_3 Depth=1
	ds_load_b32 v28, v55 offset:5728
	ds_load_b32 v29, v51 offset:4184
	s_wait_dscnt 0x0
	v_fmac_f32_e32 v24, v28, v29
	s_or_b32 exec_lo, exec_lo, s46
	s_and_saveexec_b32 s46, s14
	s_cbranch_execnz .LBB21_377
	s_branch .LBB21_378
.LBB21_1197:                            ;   in Loop: Header=BB21_3 Depth=1
	ds_load_b32 v28, v49 offset:6512
	ds_load_b32 v29, v41 offset:6244
	s_wait_dscnt 0x0
	v_fmac_f32_e32 v24, v28, v29
	s_or_b32 exec_lo, exec_lo, s46
	s_and_saveexec_b32 s46, s14
	s_cbranch_execz .LBB21_434
.LBB21_1198:                            ;   in Loop: Header=BB21_3 Depth=1
	ds_load_b32 v28, v48 offset:6768
	ds_load_b32 v29, v41 offset:6248
	s_wait_dscnt 0x0
	v_fmac_f32_e32 v24, v28, v29
	s_or_b32 exec_lo, exec_lo, s46
	s_and_saveexec_b32 s46, s2
	s_cbranch_execnz .LBB21_435
	s_branch .LBB21_436
.LBB21_1199:                            ;   in Loop: Header=BB21_3 Depth=1
	ds_load_b32 v29, v68 offset:7552
	ds_load_b32 v30, v28 offset:116
	s_wait_dscnt 0x0
	v_fmac_f32_e32 v24, v29, v30
	s_or_b32 exec_lo, exec_lo, s46
	s_and_saveexec_b32 s46, s5
	s_cbranch_execz .LBB21_532
.LBB21_1200:                            ;   in Loop: Header=BB21_3 Depth=1
	ds_load_b32 v29, v68 offset:7808
	ds_load_b32 v28, v28 offset:120
	s_wait_dscnt 0x0
	v_fmac_f32_e32 v24, v29, v28
	s_or_b32 exec_lo, exec_lo, s46
	s_and_saveexec_b32 s46, s18
	s_cbranch_execnz .LBB21_533
	s_branch .LBB21_534
.LBB21_1201:                            ;   in Loop: Header=BB21_3 Depth=1
	ds_load_b32 v28, v49 offset:8592
	ds_load_b32 v29, v41 offset:8324
	s_wait_dscnt 0x0
	v_fmac_f32_e32 v24, v28, v29
	s_or_b32 exec_lo, exec_lo, s46
	s_and_saveexec_b32 s46, s14
	s_cbranch_execz .LBB21_686
.LBB21_1202:                            ;   in Loop: Header=BB21_3 Depth=1
	ds_load_b32 v28, v48 offset:8848
	ds_load_b32 v29, v41 offset:8328
	s_wait_dscnt 0x0
	v_fmac_f32_e32 v24, v28, v29
	s_or_b32 exec_lo, exec_lo, s46
	s_and_saveexec_b32 s46, s2
	s_cbranch_execnz .LBB21_687
	s_branch .LBB21_688
.LBB21_1203:                            ;   in Loop: Header=BB21_3 Depth=1
	ds_load_b32 v28, v57 offset:8608
	ds_load_b32 v29, v51 offset:8324
	s_wait_dscnt 0x0
	v_fmac_f32_e32 v24, v28, v29
	s_or_b32 exec_lo, exec_lo, s46
	s_and_saveexec_b32 s46, s16
	s_cbranch_execz .LBB21_728
.LBB21_1204:                            ;   in Loop: Header=BB21_3 Depth=1
	ds_load_b32 v28, v57 offset:8864
	ds_load_b32 v29, v51 offset:8328
	s_wait_dscnt 0x0
	v_fmac_f32_e32 v24, v28, v29
	s_or_b32 exec_lo, exec_lo, s46
	s_and_saveexec_b32 s46, s17
	s_cbranch_execz .LBB21_729
.LBB21_1205:                            ;   in Loop: Header=BB21_3 Depth=1
	ds_load_b32 v28, v57 offset:9120
	ds_load_b32 v29, v51 offset:8332
	s_wait_dscnt 0x0
	v_fmac_f32_e32 v24, v28, v29
	s_or_b32 exec_lo, exec_lo, s46
	s_and_saveexec_b32 s46, s18
	s_cbranch_execz .LBB21_730
.LBB21_1206:                            ;   in Loop: Header=BB21_3 Depth=1
	ds_load_b32 v28, v55 offset:9376
	ds_load_b32 v29, v51 offset:8336
	s_wait_dscnt 0x0
	v_fmac_f32_e32 v24, v28, v29
	s_or_b32 exec_lo, exec_lo, s46
	s_and_saveexec_b32 s46, s19
	s_cbranch_execz .LBB21_731
.LBB21_1207:                            ;   in Loop: Header=BB21_3 Depth=1
	ds_load_b32 v28, v57 offset:9632
	ds_load_b32 v29, v51 offset:8340
	s_wait_dscnt 0x0
	v_fmac_f32_e32 v24, v28, v29
	s_or_b32 exec_lo, exec_lo, s46
	s_and_saveexec_b32 s46, s4
	s_cbranch_execz .LBB21_732
.LBB21_1208:                            ;   in Loop: Header=BB21_3 Depth=1
	ds_load_b32 v28, v55 offset:9888
	ds_load_b32 v29, v51 offset:8344
	s_wait_dscnt 0x0
	v_fmac_f32_e32 v24, v28, v29
	s_or_b32 exec_lo, exec_lo, s46
	s_and_saveexec_b32 s46, s14
	s_cbranch_execnz .LBB21_733
	s_branch .LBB21_734
.LBB21_1209:                            ;   in Loop: Header=BB21_3 Depth=1
	ds_load_b32 v28, v49 offset:10672
	ds_load_b32 v29, v41 offset:10404
	s_wait_dscnt 0x0
	v_fmac_f32_e32 v24, v28, v29
	s_or_b32 exec_lo, exec_lo, s46
	s_and_saveexec_b32 s46, s14
	s_cbranch_execz .LBB21_790
.LBB21_1210:                            ;   in Loop: Header=BB21_3 Depth=1
	ds_load_b32 v28, v48 offset:10928
	ds_load_b32 v29, v41 offset:10408
	s_wait_dscnt 0x0
	v_fmac_f32_e32 v24, v28, v29
	s_or_b32 exec_lo, exec_lo, s46
	s_and_saveexec_b32 s46, s2
	s_cbranch_execnz .LBB21_791
	s_branch .LBB21_792
.LBB21_1211:                            ;   in Loop: Header=BB21_3 Depth=1
	ds_load_b32 v28, v66 offset:11200
	ds_load_b32 v29, v58 offset:8364
	s_wait_dscnt 0x0
	v_fmac_f32_e32 v24, v28, v29
	s_or_b32 exec_lo, exec_lo, s46
	s_and_saveexec_b32 s46, s5
	s_cbranch_execz .LBB21_852
.LBB21_1212:                            ;   in Loop: Header=BB21_3 Depth=1
	ds_load_b32 v28, v65 offset:11456
	ds_load_b32 v29, v58 offset:8368
	s_wait_dscnt 0x0
	v_fmac_f32_e32 v24, v28, v29
	s_or_b32 exec_lo, exec_lo, s46
	s_and_saveexec_b32 s46, s16
	s_cbranch_execz .LBB21_853
.LBB21_1213:                            ;   in Loop: Header=BB21_3 Depth=1
	ds_load_b32 v28, v66 offset:11712
	ds_load_b32 v29, v58 offset:8372
	s_wait_dscnt 0x0
	v_fmac_f32_e32 v24, v28, v29
	s_or_b32 exec_lo, exec_lo, s46
	s_and_saveexec_b32 s46, s18
	s_cbranch_execz .LBB21_854
.LBB21_1214:                            ;   in Loop: Header=BB21_3 Depth=1
	ds_load_b32 v28, v65 offset:11968
	ds_load_b32 v29, v58 offset:8376
	s_wait_dscnt 0x0
	v_fmac_f32_e32 v24, v28, v29
	s_or_b32 exec_lo, exec_lo, s46
	s_and_saveexec_b32 s46, s4
	s_cbranch_execnz .LBB21_855
	s_branch .LBB21_856
.LBB21_1215:                            ;   in Loop: Header=BB21_3 Depth=1
	ds_load_b32 v28, v49 offset:12752
	ds_load_b32 v29, v41 offset:12484
	s_wait_dscnt 0x0
	v_fmac_f32_e32 v24, v28, v29
	s_or_b32 exec_lo, exec_lo, s46
	s_and_saveexec_b32 s46, s14
	s_cbranch_execz .LBB21_944
.LBB21_1216:                            ;   in Loop: Header=BB21_3 Depth=1
	ds_load_b32 v28, v48 offset:13008
	ds_load_b32 v29, v41 offset:12488
	s_wait_dscnt 0x0
	v_fmac_f32_e32 v24, v28, v29
	s_or_b32 exec_lo, exec_lo, s46
	s_and_saveexec_b32 s46, s2
	s_cbranch_execnz .LBB21_945
	s_branch .LBB21_946
.LBB21_1217:                            ;   in Loop: Header=BB21_3 Depth=1
	ds_load_b32 v28, v57 offset:12768
	ds_load_b32 v29, v51 offset:12484
	s_wait_dscnt 0x0
	v_fmac_f32_e32 v24, v28, v29
	s_or_b32 exec_lo, exec_lo, s46
	s_and_saveexec_b32 s46, s16
	s_cbranch_execz .LBB21_986
.LBB21_1218:                            ;   in Loop: Header=BB21_3 Depth=1
	ds_load_b32 v28, v57 offset:13024
	ds_load_b32 v29, v51 offset:12488
	s_wait_dscnt 0x0
	v_fmac_f32_e32 v24, v28, v29
	s_or_b32 exec_lo, exec_lo, s46
	s_and_saveexec_b32 s46, s17
	s_cbranch_execz .LBB21_987
.LBB21_1219:                            ;   in Loop: Header=BB21_3 Depth=1
	ds_load_b32 v28, v57 offset:13280
	ds_load_b32 v29, v51 offset:12492
	s_wait_dscnt 0x0
	v_fmac_f32_e32 v24, v28, v29
	s_or_b32 exec_lo, exec_lo, s46
	s_and_saveexec_b32 s46, s18
	s_cbranch_execz .LBB21_988
.LBB21_1220:                            ;   in Loop: Header=BB21_3 Depth=1
	ds_load_b32 v28, v55 offset:13536
	ds_load_b32 v29, v51 offset:12496
	s_wait_dscnt 0x0
	v_fmac_f32_e32 v24, v28, v29
	s_or_b32 exec_lo, exec_lo, s46
	s_and_saveexec_b32 s46, s19
	s_cbranch_execz .LBB21_989
.LBB21_1221:                            ;   in Loop: Header=BB21_3 Depth=1
	ds_load_b32 v28, v57 offset:13792
	ds_load_b32 v29, v51 offset:12500
	s_wait_dscnt 0x0
	v_fmac_f32_e32 v24, v28, v29
	s_or_b32 exec_lo, exec_lo, s46
	s_and_saveexec_b32 s46, s4
	s_cbranch_execz .LBB21_990
.LBB21_1222:                            ;   in Loop: Header=BB21_3 Depth=1
	ds_load_b32 v28, v55 offset:14048
	ds_load_b32 v29, v51 offset:12504
	s_wait_dscnt 0x0
	v_fmac_f32_e32 v24, v28, v29
	s_or_b32 exec_lo, exec_lo, s46
	s_and_saveexec_b32 s46, s14
	s_cbranch_execnz .LBB21_991
	s_branch .LBB21_992
.LBB21_1223:                            ;   in Loop: Header=BB21_3 Depth=1
	ds_load_b32 v28, v49 offset:14832
	ds_load_b32 v29, v41 offset:14564
	s_wait_dscnt 0x0
	v_fmac_f32_e32 v24, v28, v29
	s_or_b32 exec_lo, exec_lo, s46
	s_and_saveexec_b32 s46, s14
	s_cbranch_execz .LBB21_1048
.LBB21_1224:                            ;   in Loop: Header=BB21_3 Depth=1
	ds_load_b32 v28, v48 offset:15088
	ds_load_b32 v29, v41 offset:14568
	s_wait_dscnt 0x0
	v_fmac_f32_e32 v24, v28, v29
	s_or_b32 exec_lo, exec_lo, s46
	s_and_saveexec_b32 s46, s2
	s_cbranch_execnz .LBB21_1049
	s_branch .LBB21_1050
.LBB21_1225:
	s_endpgm
	.section	.rodata,"a",@progbits
	.p2align	6, 0x0
	.amdhsa_kernel _ZL19rocblas_trsv_deviceILi64ELi16ELb1ELb1ELb1ELb1EffPKfPfEviT7_lllT6_T8_lllPii
		.amdhsa_group_segment_fixed_size 20740
		.amdhsa_private_segment_fixed_size 0
		.amdhsa_kernarg_size 352
		.amdhsa_user_sgpr_count 2
		.amdhsa_user_sgpr_dispatch_ptr 0
		.amdhsa_user_sgpr_queue_ptr 0
		.amdhsa_user_sgpr_kernarg_segment_ptr 1
		.amdhsa_user_sgpr_dispatch_id 0
		.amdhsa_user_sgpr_kernarg_preload_length 0
		.amdhsa_user_sgpr_kernarg_preload_offset 0
		.amdhsa_user_sgpr_private_segment_size 0
		.amdhsa_wavefront_size32 1
		.amdhsa_uses_dynamic_stack 0
		.amdhsa_enable_private_segment 0
		.amdhsa_system_sgpr_workgroup_id_x 1
		.amdhsa_system_sgpr_workgroup_id_y 0
		.amdhsa_system_sgpr_workgroup_id_z 1
		.amdhsa_system_sgpr_workgroup_info 0
		.amdhsa_system_vgpr_workitem_id 1
		.amdhsa_next_free_vgpr 94
		.amdhsa_next_free_sgpr 105
		.amdhsa_named_barrier_count 0
		.amdhsa_reserve_vcc 1
		.amdhsa_float_round_mode_32 0
		.amdhsa_float_round_mode_16_64 0
		.amdhsa_float_denorm_mode_32 3
		.amdhsa_float_denorm_mode_16_64 3
		.amdhsa_fp16_overflow 0
		.amdhsa_memory_ordered 1
		.amdhsa_forward_progress 1
		.amdhsa_inst_pref_size 255
		.amdhsa_round_robin_scheduling 0
		.amdhsa_exception_fp_ieee_invalid_op 0
		.amdhsa_exception_fp_denorm_src 0
		.amdhsa_exception_fp_ieee_div_zero 0
		.amdhsa_exception_fp_ieee_overflow 0
		.amdhsa_exception_fp_ieee_underflow 0
		.amdhsa_exception_fp_ieee_inexact 0
		.amdhsa_exception_int_div_zero 0
	.end_amdhsa_kernel
	.section	.text._ZL19rocblas_trsv_deviceILi64ELi16ELb1ELb1ELb1ELb1EffPKfPfEviT7_lllT6_T8_lllPii,"axG",@progbits,_ZL19rocblas_trsv_deviceILi64ELi16ELb1ELb1ELb1ELb1EffPKfPfEviT7_lllT6_T8_lllPii,comdat
.Lfunc_end21:
	.size	_ZL19rocblas_trsv_deviceILi64ELi16ELb1ELb1ELb1ELb1EffPKfPfEviT7_lllT6_T8_lllPii, .Lfunc_end21-_ZL19rocblas_trsv_deviceILi64ELi16ELb1ELb1ELb1ELb1EffPKfPfEviT7_lllT6_T8_lllPii
                                        ; -- End function
	.set _ZL19rocblas_trsv_deviceILi64ELi16ELb1ELb1ELb1ELb1EffPKfPfEviT7_lllT6_T8_lllPii.num_vgpr, 94
	.set _ZL19rocblas_trsv_deviceILi64ELi16ELb1ELb1ELb1ELb1EffPKfPfEviT7_lllT6_T8_lllPii.num_agpr, 0
	.set _ZL19rocblas_trsv_deviceILi64ELi16ELb1ELb1ELb1ELb1EffPKfPfEviT7_lllT6_T8_lllPii.numbered_sgpr, 105
	.set _ZL19rocblas_trsv_deviceILi64ELi16ELb1ELb1ELb1ELb1EffPKfPfEviT7_lllT6_T8_lllPii.num_named_barrier, 0
	.set _ZL19rocblas_trsv_deviceILi64ELi16ELb1ELb1ELb1ELb1EffPKfPfEviT7_lllT6_T8_lllPii.private_seg_size, 0
	.set _ZL19rocblas_trsv_deviceILi64ELi16ELb1ELb1ELb1ELb1EffPKfPfEviT7_lllT6_T8_lllPii.uses_vcc, 1
	.set _ZL19rocblas_trsv_deviceILi64ELi16ELb1ELb1ELb1ELb1EffPKfPfEviT7_lllT6_T8_lllPii.uses_flat_scratch, 0
	.set _ZL19rocblas_trsv_deviceILi64ELi16ELb1ELb1ELb1ELb1EffPKfPfEviT7_lllT6_T8_lllPii.has_dyn_sized_stack, 0
	.set _ZL19rocblas_trsv_deviceILi64ELi16ELb1ELb1ELb1ELb1EffPKfPfEviT7_lllT6_T8_lllPii.has_recursion, 0
	.set _ZL19rocblas_trsv_deviceILi64ELi16ELb1ELb1ELb1ELb1EffPKfPfEviT7_lllT6_T8_lllPii.has_indirect_call, 0
	.section	.AMDGPU.csdata,"",@progbits
; Kernel info:
; codeLenInByte = 34580
; TotalNumSgprs: 107
; NumVgprs: 94
; ScratchSize: 0
; MemoryBound: 0
; FloatMode: 240
; IeeeMode: 1
; LDSByteSize: 20740 bytes/workgroup (compile time only)
; SGPRBlocks: 0
; VGPRBlocks: 5
; NumSGPRsForWavesPerEU: 107
; NumVGPRsForWavesPerEU: 94
; NamedBarCnt: 0
; Occupancy: 10
; WaveLimiterHint : 0
; COMPUTE_PGM_RSRC2:SCRATCH_EN: 0
; COMPUTE_PGM_RSRC2:USER_SGPR: 2
; COMPUTE_PGM_RSRC2:TRAP_HANDLER: 0
; COMPUTE_PGM_RSRC2:TGID_X_EN: 1
; COMPUTE_PGM_RSRC2:TGID_Y_EN: 0
; COMPUTE_PGM_RSRC2:TGID_Z_EN: 1
; COMPUTE_PGM_RSRC2:TIDIG_COMP_CNT: 1
	.section	.text._ZL19rocblas_trsv_deviceILi64ELi16ELb1ELb0ELb0ELb0EffPKfPfEviT7_lllT6_T8_lllPii,"axG",@progbits,_ZL19rocblas_trsv_deviceILi64ELi16ELb1ELb0ELb0ELb0EffPKfPfEviT7_lllT6_T8_lllPii,comdat
	.globl	_ZL19rocblas_trsv_deviceILi64ELi16ELb1ELb0ELb0ELb0EffPKfPfEviT7_lllT6_T8_lllPii ; -- Begin function _ZL19rocblas_trsv_deviceILi64ELi16ELb1ELb0ELb0ELb0EffPKfPfEviT7_lllT6_T8_lllPii
	.p2align	8
	.type	_ZL19rocblas_trsv_deviceILi64ELi16ELb1ELb0ELb0ELb0EffPKfPfEviT7_lllT6_T8_lllPii,@function
_ZL19rocblas_trsv_deviceILi64ELi16ELb1ELb0ELb0ELb0EffPKfPfEviT7_lllT6_T8_lllPii: ; @_ZL19rocblas_trsv_deviceILi64ELi16ELb1ELb0ELb0ELb0EffPKfPfEviT7_lllT6_T8_lllPii
; %bb.0:
	s_load_b32 s96, s[0:1], 0x58
	s_bfe_u32 s2, ttmp6, 0x40014
	s_lshr_b32 s3, ttmp7, 16
	s_add_co_i32 s2, s2, 1
	s_bfe_u32 s5, ttmp6, 0x40008
	s_mul_i32 s2, s3, s2
	s_getreg_b32 s4, hwreg(HW_REG_IB_STS2, 6, 4)
	s_add_co_i32 s5, s5, s2
	s_cmp_eq_u32 s4, 0
	s_mov_b32 s85, 0
	s_cselect_b32 s84, s3, s5
	s_wait_kmcnt 0x0
	s_cmp_ge_u32 s84, s96
	s_cbranch_scc1 .LBB22_1195
; %bb.1:
	s_clause 0x5
	s_load_b256 s[68:75], s[0:1], 0x8
	s_load_b256 s[76:83], s[0:1], 0x30
	s_load_b32 s5, s[0:1], 0x6c
	s_load_b32 s97, s[0:1], 0x0
	s_load_b64 s[86:87], s[0:1], 0x50
	s_load_b32 s2, s[0:1], 0x28
                                        ; kill: killed $sgpr0_sgpr1
	s_wait_xcnt 0x0
	s_bfe_u32 s1, ttmp6, 0x4000c
	s_and_b32 s0, ttmp6, 15
	s_add_co_i32 s1, s1, 1
                                        ; implicit-def: $vgpr76 : SGPR spill to VGPR lane
	v_bfe_u32 v28, v0, 10, 10
	s_mul_i32 s1, ttmp9, s1
	v_mov_b32_e32 v1, 0
	s_add_co_i32 s6, s0, s1
	v_and_b32_e32 v2, 0x3ff, v0
	v_lshlrev_b32_e32 v10, 6, v28
                                        ; implicit-def: $vgpr75 : SGPR spill to VGPR lane
                                        ; implicit-def: $vgpr74 : SGPR spill to VGPR lane
	v_dual_add_nc_u32 v66, 16, v28 :: v_dual_add_nc_u32 v27, 32, v28
	v_dual_mov_b32 v5, v1 :: v_dual_mov_b32 v3, v1
	s_delay_alu instid0(VALU_DEP_3)
	v_dual_add_nc_u32 v25, v10, v2 :: v_dual_bitop2_b32 v12, v10, v2 bitop3:0x40
	s_wait_kmcnt 0x0
	s_lshl_b64 s[0:1], s[70:71], 2
                                        ; implicit-def: $vgpr73 : SGPR spill to VGPR lane
	v_or_b32_e32 v67, v27, v2
	s_add_nc_u64 s[0:1], s[68:69], s[0:1]
                                        ; implicit-def: $vgpr72 : SGPR spill to VGPR lane
	s_mul_u64 s[90:91], s[72:73], 0xc0
	v_writelane_b32 v76, s2, 0
	s_lshl_b64 s[2:3], s[78:79], 2
	s_cmp_eq_u32 s4, 0
	v_lshl_add_u32 v54, v25, 2, 0x4000
	s_cselect_b32 s99, ttmp9, s6
	s_add_co_i32 s4, s97, -1
	s_and_b32 s6, s5, 0xffff
	s_ashr_i32 s5, s97, 31
	s_ashr_i32 s7, s4, 31
	s_lshr_b32 s5, s5, 26
	s_lshr_b32 s7, s7, 26
	s_add_co_i32 s5, s97, s5
	s_add_co_i32 s4, s4, s7
	s_and_not1_b32 s5, s5, 63
	s_ashr_i32 s4, s4, 6
	s_sub_co_i32 s15, s97, s5
	s_cmp_eq_u32 s4, s99
	v_writelane_b32 v76, s0, 1
	s_cselect_b32 s7, -1, 0
	s_cmp_lg_u32 s15, 0
	s_add_nc_u64 s[4:5], s[72:73], 1
	s_cselect_b32 s8, -1, 0
	s_lshl_b32 s10, s99, 6
	s_delay_alu instid0(SALU_CYCLE_1) | instskip(SKIP_3) | instid1(VALU_DEP_3)
	v_dual_add_nc_u32 v18, s10, v28 :: v_dual_bitop2_b32 v11, v10, v2 bitop3:0x14
	v_writelane_b32 v76, s1, 2
	s_add_nc_u64 s[0:1], s[76:77], s[2:3]
	v_mad_nc_u64_u32 v[22:23], s4, s10, v[2:3]
	v_lshrrev_b16 v11, 1, v11
	v_subrev_nc_u32_e32 v16, 64, v18
	v_add_nc_u32_e32 v6, s10, v2
	v_writelane_b32 v76, s0, 3
	v_lshrrev_b32_e32 v3, 10, v0
	v_add_nc_u16 v12, v12, v11
	v_and_b32_e32 v11, 1, v0
	v_dual_ashrrev_i32 v17, 31, v16 :: v_dual_ashrrev_i32 v7, 31, v6
	v_writelane_b32 v76, s1, 4
	s_delay_alu instid0(VALU_DEP_4) | instskip(NEXT) | instid1(VALU_DEP_4)
	v_and_b32_e32 v10, 0xffff, v12
	v_dual_lshlrev_b32 v12, 2, v11 :: v_dual_lshlrev_b32 v32, 2, v2
	v_sub_co_u32 v29, s0, s99, 1
	s_and_b32 s9, s8, s7
	s_xor_b32 s0, s0, -1
	s_ashr_i32 s11, s10, 31
	s_xor_b32 s101, s9, -1
	v_bitop3_b32 v24, v0, v3, 0x3ff bitop3:0xa8
	v_lshl_add_u32 v3, v10, 2, 0x4000
	v_lshl_or_b32 v30, v10, 8, v12
	v_mul_u32_u24_e32 v31, 0x104, v10
	v_lshrrev_b32_e32 v10, 2, v25
	v_writelane_b32 v76, s0, 5
	s_mul_i32 s0, s4, s11
	s_mul_i32 s1, s5, s10
	s_cmp_gt_i32 s99, 4
	v_add3_u32 v23, s0, s1, v23
	s_cselect_b32 s0, -1, 0
	v_cmp_eq_u32_e32 vcc_lo, 1, v11
	s_and_b32 s102, s0, s101
	v_cmp_gt_u32_e64 s0, 4, v25
	v_and_b32_e32 v11, 0x1fffc, v25
	v_mul_u32_u24_e32 v33, 0x104, v10
	v_and_b32_e32 v12, 3, v0
	s_xor_b32 s1, vcc_lo, -1
	s_and_b32 s104, vcc_lo, s0
	s_and_b32 s103, s1, s0
	v_cmp_gt_u32_e64 s1, 16, v25
	v_add_nc_u32_e32 v34, 0x4000, v11
	v_dual_sub_nc_u32 v11, v33, v11 :: v_dual_lshlrev_b32 v35, 2, v12
	v_cmp_eq_u32_e32 vcc_lo, 0, v12
	v_cmp_ne_u32_e64 s2, 0, v12
	v_cmp_eq_u32_e64 s3, 1, v12
	v_mad_u32_u24 v4, v28, s6, v2
	v_lshl_or_b32 v36, v10, 8, v35
	s_and_b32 vcc_hi, vcc_lo, s1
	s_and_b32 s36, s2, s1
	v_dual_lshrrev_b32 v10, 3, v25 :: v_dual_add_nc_u32 v37, v11, v35
	v_and_b32_e32 v11, 7, v0
	v_cmp_lt_u32_e32 vcc_lo, 1, v12
	v_cmp_eq_u32_e64 s2, 2, v12
	s_and_b32 s37, s3, s1
	v_cmp_eq_u32_e64 s3, 3, v12
	v_dual_lshlrev_b32 v12, 2, v10 :: v_dual_lshlrev_b32 v39, 2, v11
	s_and_b32 s38, vcc_lo, s1
	s_and_b32 s39, s2, s1
	v_cmp_gt_u32_e64 s2, 64, v25
	v_cmp_eq_u32_e32 vcc_lo, 0, v11
	v_mul_u32_u24_e32 v38, 0x104, v10
	s_and_b32 s40, s3, s1
	v_cmp_ne_u32_e64 s3, 0, v11
	v_cmp_lt_u32_e64 s4, 1, v11
	s_and_b32 s41, vcc_lo, s2
	v_cmp_eq_u32_e32 vcc_lo, 1, v11
	v_sub_nc_u32_e32 v13, v38, v12
	v_cmp_eq_u32_e64 s5, 2, v11
	v_cmp_lt_u32_e64 s6, 2, v11
	s_and_b32 s42, s3, s2
	s_and_b32 s43, vcc_lo, s2
	s_and_b32 s44, s4, s2
	v_cmp_eq_u32_e32 vcc_lo, 3, v11
	v_cmp_lt_u32_e64 s3, 3, v11
	v_cmp_eq_u32_e64 s4, 4, v11
	v_lshl_or_b32 v41, v10, 8, v39
	s_and_b32 s45, s5, s2
	s_and_b32 s46, s6, s2
	v_cmp_lt_u32_e64 s5, 4, v11
	v_cmp_eq_u32_e64 s6, 5, v11
	s_and_b32 s47, vcc_lo, s2
	s_and_b32 s48, s3, s2
	s_and_b32 s49, s4, s2
	v_dual_lshrrev_b32 v10, 4, v25 :: v_dual_add_nc_u32 v42, v13, v39
	v_cmp_lt_u32_e32 vcc_lo, 5, v11
	v_cmp_eq_u32_e64 s3, 6, v11
	v_cmp_eq_u32_e64 s4, 7, v11
	v_and_b32_e32 v11, 15, v0
	s_and_b32 s50, s5, s2
	s_and_b32 s52, vcc_lo, s2
	s_and_b32 s53, s3, s2
	v_cmp_gt_u32_e64 s3, 0x100, v25
	v_cmp_eq_u32_e32 vcc_lo, 0, v11
	s_and_b32 s54, s4, s2
	v_cmp_ne_u32_e64 s4, 0, v11
	v_cmp_lt_u32_e64 s5, 1, v11
	s_and_b32 s51, s6, s2
	s_and_b32 s55, vcc_lo, s3
	v_cmp_eq_u32_e32 vcc_lo, 1, v11
	s_and_b32 s56, s4, s3
	v_cmp_lt_u32_e64 s4, 2, v11
	v_cmp_eq_u32_e64 s6, 2, v11
	s_and_b32 s58, s5, s3
	s_and_b32 s57, vcc_lo, s3
	v_cmp_eq_u32_e32 vcc_lo, 3, v11
	s_and_b32 s66, s4, s3
	v_cmp_lt_u32_e64 s4, 3, v11
	v_cmp_eq_u32_e64 s5, 4, v11
	s_and_b32 s65, s6, s3
	s_and_b32 s67, vcc_lo, s3
	v_cmp_eq_u32_e32 vcc_lo, 5, v11
	s_and_b32 s68, s4, s3
	v_cmp_lt_u32_e64 s4, 5, v11
	v_cmp_lt_u32_e64 s6, 4, v11
	s_and_b32 s12, s5, s3
	s_and_b32 s14, vcc_lo, s3
	v_cmp_eq_u32_e32 vcc_lo, 6, v11
	s_and_b32 s98, s4, s3
	v_cmp_lt_u32_e64 s4, 7, v11
	v_cmp_lt_u32_e64 s5, 6, v11
	s_and_b32 s13, s6, s3
	s_and_b32 s24, vcc_lo, s3
	v_cmp_eq_u32_e32 vcc_lo, 8, v11
	s_and_b32 s30, s4, s3
	v_cmp_lt_u32_e64 s4, 8, v11
	v_cmp_eq_u32_e64 s6, 7, v11
	s_and_b32 s26, s5, s3
	s_and_b32 s33, vcc_lo, s3
	v_cmp_eq_u32_e32 vcc_lo, 10, v11
	v_cmp_eq_u32_e64 s5, 9, v11
	s_and_b32 s35, s4, s3
	v_cmp_lt_u32_e64 s4, 10, v11
	v_add_nc_u32_e32 v40, 0x4000, v12
	s_and_b32 s63, vcc_lo, s3
	v_cmp_eq_u32_e32 vcc_lo, 11, v11
	v_dual_lshlrev_b32 v12, 2, v10 :: v_dual_lshlrev_b32 v44, 2, v11
	v_mul_u32_u24_e32 v43, 0x104, v10
	s_and_b32 s28, s6, s3
	v_cmp_lt_u32_e64 s6, 9, v11
	s_and_b32 s61, s5, s3
	v_cmp_lt_u32_e64 s5, 11, v11
	;; [unrolled: 2-line block ×3, first 2 shown]
	s_and_b32 s25, vcc_lo, s3
	v_cmp_eq_u32_e32 vcc_lo, 13, v11
	v_sub_nc_u32_e32 v13, v43, v12
	v_lshl_or_b32 v46, v10, 8, v44
	s_and_b32 s62, s6, s3
	v_cmp_eq_u32_e64 s6, 12, v11
	s_and_b32 s27, s5, s3
	s_and_b32 s31, s4, s3
	v_cmp_lt_u32_e64 s4, 13, v11
	v_lshrrev_b32_e32 v10, 5, v25
	v_cmp_eq_u32_e64 s5, 14, v11
	s_and_b32 s34, vcc_lo, s3
	v_cmp_eq_u32_e32 vcc_lo, 15, v11
	v_dual_lshlrev_b32 v50, 8, v10 :: v_dual_bitop2_b32 v11, 31, v0 bitop3:0x40
	s_and_b32 s70, s4, s3
	v_cmp_gt_u32_e64 s4, 0x400, v25
	s_and_b32 s76, vcc_lo, s3
	v_cmp_eq_u32_e32 vcc_lo, 0, v11
	s_and_b32 s71, s5, s3
	v_cmp_ne_u32_e64 s5, 0, v11
	s_and_b32 s29, s6, s3
	v_cmp_eq_u32_e64 s6, 1, v11
	s_and_b32 s8, vcc_lo, s4
	v_cmp_lt_u32_e64 s7, 1, v11
	v_writelane_b32 v76, s8, 6
	s_and_b32 s5, s5, s4
	v_cmp_eq_u32_e32 vcc_lo, 2, v11
	v_cmp_eq_u32_e64 s8, 4, v11
	v_dual_lshlrev_b32 v51, 2, v11 :: v_dual_add_nc_u32 v0, s10, v4
	v_writelane_b32 v76, s5, 7
	s_and_b32 s5, s6, s4
	s_and_b32 s16, vcc_lo, s4
	v_cmp_eq_u32_e64 s6, 3, v11
	v_cmp_lt_u32_e32 vcc_lo, 4, v11
	v_writelane_b32 v76, s5, 8
	s_and_b32 s5, s7, s4
	v_cmp_lt_u32_e64 s7, 3, v11
	v_add_nc_u64_e32 v[14:15], s[10:11], v[4:5]
	s_and_b32 s10, vcc_lo, s4
	v_writelane_b32 v76, s5, 9
	v_cmp_lt_u32_e64 s5, 2, v11
	v_cmp_eq_u32_e32 vcc_lo, 7, v11
	v_add_nc_u32_e32 v45, 0x4000, v12
	v_dual_add_nc_u32 v47, v13, v44 :: v_dual_lshlrev_b32 v48, 2, v10
	v_writelane_b32 v76, s16, 10
	s_and_b32 s5, s5, s4
	v_mul_u64_e32 v[12:13], s[80:81], v[0:1]
	v_subrev_nc_u32_e32 v0, 48, v18
	v_subrev_nc_u32_e32 v20, 32, v18
	v_writelane_b32 v76, s5, 11
	s_and_b32 s5, s6, s4
	v_cmp_lt_u32_e64 s6, 5, v11
	v_add_nc_u32_e32 v26, 48, v28
	v_mul_u64_e32 v[8:9], s[72:73], v[16:17]
	v_writelane_b32 v76, s5, 12
	s_and_b32 s5, s7, s4
	v_cmp_eq_u32_e64 s7, 6, v11
	v_mul_u64_e32 v[14:15], s[80:81], v[14:15]
	v_lshl_add_u32 v5, v28, 2, 0x5000
	v_writelane_b32 v76, s5, 13
	s_and_b32 s5, s8, s4
	v_cmp_lt_u32_e64 s8, 6, v11
	v_add_nc_u32_e32 v49, 0x4000, v48
	v_dual_add_nc_u32 v57, v5, v32 :: v_dual_bitop2_b32 v52, v50, v51 bitop3:0x54
	v_writelane_b32 v76, s5, 14
	v_cmp_eq_u32_e64 s5, 5, v11
	v_lshl_add_u32 v53, v4, 2, 0x5000
	v_add_nc_u32_e32 v55, 0x4000, v32
	v_lshl_add_u32 v56, v28, 8, v32
	v_writelane_b32 v76, s10, 15
	s_and_b32 s5, s5, s4
	v_lshl_add_u32 v58, v2, 8, v32
	v_lshl_add_u32 v59, v66, 8, v32
	;; [unrolled: 1-line block ×3, first 2 shown]
	v_writelane_b32 v76, s5, 16
	s_and_b32 s5, s6, s4
	v_cmp_gt_u32_e64 s16, 2, v25
	v_cmp_gt_u32_e64 s17, 12, v25
	;; [unrolled: 1-line block ×3, first 2 shown]
	v_writelane_b32 v76, s5, 17
	s_and_b32 s5, s7, s4
	v_cmp_gt_i32_e64 s7, s97, v16
	v_mad_nc_u64_u32 v[16:17], s72, v28, v[22:23]
	v_cmp_gt_u32_e64 s19, 56, v25
	v_writelane_b32 v76, s5, 18
	s_and_b32 s5, s8, s4
	v_cmp_le_u32_e64 s8, v2, v28
	v_cmp_gt_u32_e64 s20, 48, v25
	v_cmp_gt_u32_e64 s21, 40, v25
	v_writelane_b32 v76, s5, 19
	s_and_b32 s5, vcc_lo, s4
	v_cmp_lt_u32_e32 vcc_lo, 7, v11
	v_cmp_gt_u32_e64 s22, 32, v25
	v_mad_u32 v17, s73, v28, v17
	v_writelane_b32 v76, s5, 20
	v_cmp_gt_u32_e64 s23, 24, v25
	s_and_b32 s5, vcc_lo, s4
	v_cmp_eq_u32_e32 vcc_lo, 8, v11
	v_cmp_eq_u32_e64 s59, 0, v4
	v_writelane_b32 v76, s5, 21
	v_cmp_gt_u32_e64 s60, 64, v4
                                        ; implicit-def: $vgpr62
                                        ; implicit-def: $vgpr63
                                        ; implicit-def: $vgpr64
                                        ; implicit-def: $vgpr65
	s_and_b32 s5, vcc_lo, s4
	v_cmp_lt_u32_e32 vcc_lo, 8, v11
	v_writelane_b32 v76, s5, 22
	s_and_b32 s5, vcc_lo, s4
	v_cmp_eq_u32_e32 vcc_lo, 9, v11
	v_writelane_b32 v76, s5, 23
	s_and_b32 s5, vcc_lo, s4
	v_cmp_lt_u32_e32 vcc_lo, 9, v11
	v_writelane_b32 v76, s5, 24
	s_and_b32 s5, vcc_lo, s4
	v_cmp_eq_u32_e32 vcc_lo, 10, v11
	v_writelane_b32 v76, s5, 25
	;; [unrolled: 6-line block ×22, first 2 shown]
	s_and_b32 s5, vcc_lo, s4
	v_cmp_eq_u32_e32 vcc_lo, 31, v11
	v_writelane_b32 v74, s5, 2
	v_cmp_eq_u32_e64 s5, 0, v28
	v_mul_u64_e32 v[10:11], s[80:81], v[6:7]
	s_and_b32 s77, vcc_lo, s4
	v_cmp_le_i32_e32 vcc_lo, s15, v2
	s_and_b32 s6, vcc_lo, s9
	v_cmp_le_i32_e64 s9, s15, v27
	v_writelane_b32 v74, s6, 3
	s_xor_b32 s6, s6, -1
	s_delay_alu instid0(SALU_CYCLE_1)
	s_and_b32 s11, s5, s6
	v_cmp_gt_i32_e64 s6, s15, v2
	s_cmp_gt_i32 s99, 0
	s_cselect_b32 s100, -1, 0
	s_lshl_b64 s[78:79], s[72:73], 6
	s_and_b32 s6, s5, s6
	s_lshl_b64 s[88:89], s[72:73], 7
	v_writelane_b32 v74, s6, 4
	v_cmp_gt_i32_e64 s6, s97, v6
	s_and_b32 s7, s6, s7
	s_delay_alu instid0(SALU_CYCLE_1)
	v_writelane_b32 v74, s7, 5
	v_cmp_gt_i32_e64 s7, s97, v0
	v_add_nc_u32_e32 v0, -16, v18
	v_cmp_le_i32_e64 s10, s15, v26
	v_mad_nc_u64_u32 v[18:19], s72, v66, v[22:23]
	v_or_b32_e32 v68, v26, v2
	s_and_b32 s7, s6, s7
	v_lshl_add_u32 v61, v26, 8, v32
	v_writelane_b32 v74, s7, 6
	v_cmp_gt_i32_e64 s7, s97, v20
	v_mad_nc_u64_u32 v[20:21], s72, v27, v[22:23]
	v_mad_nc_u64_u32 v[22:23], s72, v26, v[22:23]
	s_and_b32 s7, s6, s7
	v_mad_u32 v19, s73, v66, v19
	v_writelane_b32 v74, s7, 7
	v_cmp_gt_i32_e64 s7, s97, v0
	v_or_b32_e32 v0, v66, v2
	v_mad_u32 v21, s73, v27, v21
	s_and_b32 s7, s6, s7
	v_mad_u32 v23, s73, v26, v23
	v_writelane_b32 v74, s7, 8
	v_cmp_le_i32_e64 s7, s15, v28
	v_writelane_b32 v74, s8, 9
	s_or_b32 s7, s7, vcc_lo
	s_delay_alu instid0(SALU_CYCLE_1)
	s_or_b32 s7, s7, s8
	v_cmp_le_i32_e64 s8, s15, v66
	v_writelane_b32 v74, s7, 10
	v_cmp_eq_u32_e64 s15, 0, v24
	s_or_b32 s7, s8, vcc_lo
	v_cmp_le_u32_e64 s8, v2, v66
	s_delay_alu instid0(VALU_DEP_1)
	v_writelane_b32 v74, s8, 11
	s_or_b32 s7, s7, s8
	v_cmp_le_u32_e64 s8, v2, v27
	v_writelane_b32 v74, s7, 12
	s_or_b32 s7, s9, vcc_lo
	v_cmp_ne_u32_e64 s9, v2, v27
	s_or_b32 s7, s7, s8
	v_writelane_b32 v74, s8, 13
	v_cmp_le_u32_e64 s8, v2, v26
	v_writelane_b32 v74, s7, 14
	s_or_b32 s7, s10, vcc_lo
	v_cmp_ne_u32_e64 s10, v2, v26
	s_or_b32 s7, s7, s8
	v_writelane_b32 v74, s8, 15
	v_cmp_ne_u32_e64 s8, v2, v66
	v_writelane_b32 v74, s7, 16
	v_cmp_ne_u32_e64 s7, v2, v28
	s_delay_alu instid0(VALU_DEP_1) | instskip(SKIP_1) | instid1(SALU_CYCLE_1)
	v_writelane_b32 v74, s7, 17
	s_or_b32 s7, vcc_lo, s7
	v_writelane_b32 v74, s7, 18
	s_or_b32 s7, vcc_lo, s8
	v_writelane_b32 v74, s8, 19
	v_writelane_b32 v74, s7, 20
	s_or_b32 s7, vcc_lo, s9
	v_writelane_b32 v74, s9, 21
	;; [unrolled: 3-line block ×3, first 2 shown]
	v_cmp_gt_u32_e64 s10, 0x60, v25
	v_writelane_b32 v74, s7, 24
	v_cmp_gt_u32_e64 s7, 0xf0, v25
	s_delay_alu instid0(VALU_DEP_1) | instskip(SKIP_1) | instid1(VALU_DEP_1)
	v_writelane_b32 v74, s7, 25
	v_cmp_gt_u32_e64 s7, 0xe0, v25
	v_writelane_b32 v74, s7, 26
	v_cmp_gt_u32_e64 s7, 0xd0, v25
	s_delay_alu instid0(VALU_DEP_1) | instskip(SKIP_1) | instid1(VALU_DEP_1)
	v_writelane_b32 v74, s7, 27
	v_cmp_gt_u32_e64 s7, 0xc0, v25
	v_writelane_b32 v74, s7, 28
	v_cmp_gt_u32_e64 s7, 0xb0, v25
	s_delay_alu instid0(VALU_DEP_1) | instskip(SKIP_1) | instid1(VALU_DEP_1)
	v_writelane_b32 v74, s7, 29
	v_cmp_gt_u32_e64 s7, 0xa0, v25
	v_writelane_b32 v74, s7, 30
	v_cmp_gt_u32_e64 s7, 0x90, v25
	s_delay_alu instid0(VALU_DEP_1) | instskip(SKIP_1) | instid1(VALU_DEP_1)
	v_writelane_b32 v74, s7, 31
	v_cmp_gt_u32_e64 s7, 0x80, v25
	v_writelane_b32 v73, s7, 0
	v_cmp_gt_u32_e64 s7, 0x70, v25
	s_delay_alu instid0(VALU_DEP_1) | instskip(SKIP_1) | instid1(VALU_DEP_1)
	v_writelane_b32 v73, s7, 1
	v_cmp_gt_u32_e64 s7, 0x50, v25
	v_writelane_b32 v73, s7, 2
	v_cmp_gt_u32_e64 s7, 0x3e0, v25
	s_delay_alu instid0(VALU_DEP_1) | instskip(SKIP_1) | instid1(VALU_DEP_1)
	v_writelane_b32 v73, s7, 3
	v_cmp_gt_u32_e64 s7, 0x3c0, v25
	v_writelane_b32 v73, s7, 4
	v_cmp_gt_u32_e64 s7, 0x3a0, v25
	s_delay_alu instid0(VALU_DEP_1) | instskip(SKIP_1) | instid1(VALU_DEP_1)
	v_writelane_b32 v73, s7, 5
	v_cmp_gt_u32_e64 s7, 0x380, v25
	v_writelane_b32 v73, s7, 6
	v_cmp_gt_u32_e64 s7, 0x360, v25
	s_delay_alu instid0(VALU_DEP_1) | instskip(SKIP_1) | instid1(VALU_DEP_1)
	v_writelane_b32 v73, s7, 7
	v_cmp_gt_u32_e64 s7, 0x340, v25
	v_writelane_b32 v73, s7, 8
	v_cmp_gt_u32_e64 s7, 0x320, v25
	s_delay_alu instid0(VALU_DEP_1) | instskip(SKIP_1) | instid1(VALU_DEP_1)
	v_writelane_b32 v73, s7, 9
	v_cmp_gt_u32_e64 s7, 0x300, v25
	v_writelane_b32 v73, s7, 10
	v_cmp_gt_u32_e64 s7, 0x2e0, v25
	s_delay_alu instid0(VALU_DEP_1) | instskip(SKIP_1) | instid1(VALU_DEP_1)
	v_writelane_b32 v73, s7, 11
	v_cmp_gt_u32_e64 s7, 0x2c0, v25
	v_writelane_b32 v73, s7, 12
	v_cmp_gt_u32_e64 s7, 0x2a0, v25
	s_delay_alu instid0(VALU_DEP_1) | instskip(SKIP_1) | instid1(VALU_DEP_1)
	v_writelane_b32 v73, s7, 13
	v_cmp_gt_u32_e64 s7, 0x280, v25
	v_writelane_b32 v73, s7, 14
	v_cmp_gt_u32_e64 s7, 0x260, v25
	s_delay_alu instid0(VALU_DEP_1) | instskip(SKIP_1) | instid1(VALU_DEP_1)
	v_writelane_b32 v73, s7, 15
	v_cmp_gt_u32_e64 s7, 0x240, v25
	v_writelane_b32 v73, s7, 16
	v_cmp_gt_u32_e64 s7, 0x220, v25
	s_delay_alu instid0(VALU_DEP_1) | instskip(SKIP_1) | instid1(VALU_DEP_1)
	v_writelane_b32 v73, s7, 17
	v_cmp_gt_u32_e64 s7, 0x200, v25
	v_writelane_b32 v73, s7, 18
	v_cmp_gt_u32_e64 s7, 0x1e0, v25
	s_delay_alu instid0(VALU_DEP_1) | instskip(SKIP_1) | instid1(VALU_DEP_1)
	v_writelane_b32 v73, s7, 19
	v_cmp_gt_u32_e64 s7, 0x1c0, v25
	v_writelane_b32 v73, s7, 20
	v_cmp_gt_u32_e64 s7, 0x1a0, v25
	s_delay_alu instid0(VALU_DEP_1) | instskip(SKIP_1) | instid1(VALU_DEP_1)
	v_writelane_b32 v73, s7, 21
	v_cmp_gt_u32_e64 s7, 0x180, v25
	v_writelane_b32 v73, s7, 22
	v_cmp_gt_u32_e64 s7, 0x160, v25
	s_delay_alu instid0(VALU_DEP_1) | instskip(SKIP_1) | instid1(VALU_DEP_1)
	v_writelane_b32 v73, s7, 23
	v_cmp_gt_u32_e64 s7, 0x140, v25
	v_writelane_b32 v73, s7, 24
	v_cmp_gt_u32_e64 s7, 0x120, v25
	s_delay_alu instid0(VALU_DEP_1) | instskip(SKIP_1) | instid1(VALU_DEP_1)
	v_writelane_b32 v73, s7, 25
	v_cmp_ge_u32_e64 s7, v2, v28
	v_writelane_b32 v73, s7, 26
	v_cmp_ge_u32_e64 s7, v2, v66
	s_delay_alu instid0(VALU_DEP_1) | instskip(SKIP_1) | instid1(VALU_DEP_1)
	v_writelane_b32 v73, s7, 27
	v_cmp_ge_u32_e64 s7, v2, v27
	v_writelane_b32 v73, s7, 28
	v_cmp_ge_u32_e64 s7, v2, v26
	s_delay_alu instid0(VALU_DEP_1) | instskip(SKIP_1) | instid1(VALU_DEP_1)
	v_writelane_b32 v73, s7, 29
	v_cmp_gt_u32_e64 s7, 64, v24
	v_writelane_b32 v73, s7, 30
	v_cmp_gt_u32_e64 s7, 64, v0
	s_delay_alu instid0(VALU_DEP_1) | instskip(SKIP_1) | instid1(VALU_DEP_1)
	v_writelane_b32 v73, s7, 31
	v_cmp_gt_u32_e64 s7, 64, v67
	v_writelane_b32 v72, s7, 0
	v_cmp_gt_u32_e64 s7, 64, v68
	s_delay_alu instid0(VALU_DEP_1)
	v_writelane_b32 v72, s7, 1
	s_branch .LBB22_3
.LBB22_2:                               ;   in Loop: Header=BB22_3 Depth=1
	s_wait_xcnt 0x0
	s_or_b32 exec_lo, exec_lo, s7
	s_add_co_i32 s84, s84, 0x10000
	global_wb scope:SCOPE_DEV
	s_wait_storecnt 0x0
	global_inv scope:SCOPE_DEV
	s_cmp_lt_u32 s84, s96
	s_cbranch_scc0 .LBB22_1195
.LBB22_3:                               ; =>This Loop Header: Depth=1
                                        ;     Child Loop BB22_1066 Depth 2
                                        ;       Child Loop BB22_1068 Depth 3
                                        ;     Child Loop BB22_1106 Depth 2
	v_readlane_b32 s92, v76, 1
	v_readlane_b32 s7, v76, 5
	;; [unrolled: 1-line block ×3, first 2 shown]
	s_mul_u64 s[8:9], s[74:75], s[84:85]
	s_delay_alu instid0(SALU_CYCLE_1)
	s_lshl_b64 s[8:9], s[8:9], 2
	s_and_not1_b32 vcc_lo, exec_lo, s7
	s_add_nc_u64 s[92:93], s[92:93], s[8:9]
	s_cbranch_vccz .LBB22_6
; %bb.4:                                ;   in Loop: Header=BB22_3 Depth=1
	s_and_not1_b32 vcc_lo, exec_lo, s101
	s_mov_b32 s7, -1
	s_cbranch_vccz .LBB22_15
.LBB22_5:                               ;   in Loop: Header=BB22_3 Depth=1
	s_and_b32 vcc_lo, exec_lo, s7
	s_cbranch_vccnz .LBB22_50
	s_branch .LBB22_85
.LBB22_6:                               ;   in Loop: Header=BB22_3 Depth=1
	v_lshl_add_u64 v[24:25], v[8:9], 2, s[92:93]
	v_dual_mov_b32 v63, 0 :: v_dual_mov_b32 v62, 0
	s_barrier_signal -1
	s_delay_alu instid0(VALU_DEP_2) | instskip(SKIP_4) | instid1(SALU_CYCLE_1)
	v_lshl_add_u64 v[24:25], v[6:7], 2, v[24:25]
	s_barrier_wait -1
	s_mov_b32 s7, exec_lo
	v_readlane_b32 s8, v74, 5
	s_and_b32 s8, s7, s8
	s_mov_b32 exec_lo, s8
	s_cbranch_execz .LBB22_8
; %bb.7:                                ;   in Loop: Header=BB22_3 Depth=1
	global_load_b32 v62, v[24:25], off
.LBB22_8:                               ;   in Loop: Header=BB22_3 Depth=1
	s_wait_xcnt 0x0
	s_or_b32 exec_lo, exec_lo, s7
	s_wait_loadcnt 0x0
	s_barrier_signal -1
	s_barrier_wait -1
	s_mov_b32 s7, exec_lo
	v_readlane_b32 s8, v74, 6
	s_and_b32 s8, s7, s8
	s_delay_alu instid0(SALU_CYCLE_1)
	s_mov_b32 exec_lo, s8
	s_cbranch_execz .LBB22_10
; %bb.9:                                ;   in Loop: Header=BB22_3 Depth=1
	v_add_nc_u64_e32 v[26:27], s[78:79], v[24:25]
	global_load_b32 v63, v[26:27], off
.LBB22_10:                              ;   in Loop: Header=BB22_3 Depth=1
	s_wait_xcnt 0x0
	s_or_b32 exec_lo, exec_lo, s7
	v_dual_mov_b32 v65, 0 :: v_dual_mov_b32 v64, 0
	s_wait_loadcnt 0x0
	s_barrier_signal -1
	s_barrier_wait -1
	s_mov_b32 s7, exec_lo
	v_readlane_b32 s8, v74, 7
	s_and_b32 s8, s7, s8
	s_delay_alu instid0(SALU_CYCLE_1)
	s_mov_b32 exec_lo, s8
	s_cbranch_execz .LBB22_12
; %bb.11:                               ;   in Loop: Header=BB22_3 Depth=1
	v_add_nc_u64_e32 v[26:27], s[88:89], v[24:25]
	global_load_b32 v64, v[26:27], off
.LBB22_12:                              ;   in Loop: Header=BB22_3 Depth=1
	s_wait_xcnt 0x0
	s_or_b32 exec_lo, exec_lo, s7
	s_wait_loadcnt 0x0
	s_barrier_signal -1
	s_barrier_wait -1
	s_mov_b32 s7, exec_lo
	v_readlane_b32 s8, v74, 8
	s_and_b32 s8, s7, s8
	s_delay_alu instid0(SALU_CYCLE_1)
	s_mov_b32 exec_lo, s8
	s_cbranch_execz .LBB22_14
; %bb.13:                               ;   in Loop: Header=BB22_3 Depth=1
	v_add_nc_u64_e32 v[24:25], s[90:91], v[24:25]
	global_load_b32 v65, v[24:25], off
.LBB22_14:                              ;   in Loop: Header=BB22_3 Depth=1
	s_wait_xcnt 0x0
	s_or_b32 exec_lo, exec_lo, s7
	s_delay_alu instid0(SALU_CYCLE_1)
	s_and_not1_b32 vcc_lo, exec_lo, s101
	s_mov_b32 s7, -1
	s_cbranch_vccnz .LBB22_5
.LBB22_15:                              ;   in Loop: Header=BB22_3 Depth=1
	s_mov_b32 s69, 0
                                        ; implicit-def: $vgpr0
	s_mov_b32 s7, exec_lo
	v_readlane_b32 s8, v74, 9
	s_and_b32 s8, s7, s8
	s_delay_alu instid0(SALU_CYCLE_1)
	s_xor_b32 s7, s8, s7
	s_mov_b32 exec_lo, s8
	s_cbranch_execnz .LBB22_1127
; %bb.16:                               ;   in Loop: Header=BB22_3 Depth=1
	s_and_not1_saveexec_b32 s7, s7
	s_cbranch_execnz .LBB22_1132
.LBB22_17:                              ;   in Loop: Header=BB22_3 Depth=1
	s_or_b32 exec_lo, exec_lo, s7
	s_and_saveexec_b32 s7, s69
.LBB22_18:                              ;   in Loop: Header=BB22_3 Depth=1
	ds_store_b32 v56, v0
.LBB22_19:                              ;   in Loop: Header=BB22_3 Depth=1
	s_or_b32 exec_lo, exec_lo, s7
	s_delay_alu instid0(SALU_CYCLE_1) | instskip(SKIP_2) | instid1(SALU_CYCLE_1)
	s_mov_b32 s7, exec_lo
	v_readlane_b32 s8, v74, 11
	s_and_b32 s8, s7, s8
	s_xor_b32 s7, s8, s7
	s_mov_b32 exec_lo, s8
	s_cbranch_execz .LBB22_27
; %bb.20:                               ;   in Loop: Header=BB22_3 Depth=1
	s_mov_b32 s8, exec_lo
	v_readlane_b32 s9, v74, 19
	s_and_b32 s9, s8, s9
	s_delay_alu instid0(SALU_CYCLE_1)
	s_xor_b32 s8, s9, s8
	s_mov_b32 exec_lo, s9
	s_cbranch_execz .LBB22_24
; %bb.21:                               ;   in Loop: Header=BB22_3 Depth=1
	s_mov_b32 s9, exec_lo
	v_readlane_b32 s69, v73, 31
	s_and_b32 s69, s9, s69
	s_delay_alu instid0(SALU_CYCLE_1)
	s_mov_b32 exec_lo, s69
; %bb.22:                               ;   in Loop: Header=BB22_3 Depth=1
	ds_store_b32 v59, v1
; %bb.23:                               ;   in Loop: Header=BB22_3 Depth=1
	s_or_b32 exec_lo, exec_lo, s9
.LBB22_24:                              ;   in Loop: Header=BB22_3 Depth=1
	s_and_not1_saveexec_b32 s8, s8
	s_cbranch_execz .LBB22_26
; %bb.25:                               ;   in Loop: Header=BB22_3 Depth=1
	v_lshl_add_u64 v[24:25], v[18:19], 2, s[92:93]
	global_load_b32 v0, v[24:25], off
	s_wait_loadcnt 0x0
	v_div_scale_f32 v24, null, v0, v0, 1.0
	s_delay_alu instid0(VALU_DEP_1) | instskip(SKIP_1) | instid1(TRANS32_DEP_1)
	v_rcp_f32_e32 v25, v24
	v_nop
	v_fma_f32 v26, -v24, v25, 1.0
	s_delay_alu instid0(VALU_DEP_1) | instskip(SKIP_1) | instid1(VALU_DEP_1)
	v_fmac_f32_e32 v25, v26, v25
	v_div_scale_f32 v26, vcc_lo, 1.0, v0, 1.0
	v_mul_f32_e32 v27, v26, v25
	s_delay_alu instid0(VALU_DEP_1) | instskip(NEXT) | instid1(VALU_DEP_1)
	v_fma_f32 v66, -v24, v27, v26
	v_fmac_f32_e32 v27, v66, v25
	s_delay_alu instid0(VALU_DEP_1) | instskip(NEXT) | instid1(VALU_DEP_1)
	v_fma_f32 v24, -v24, v27, v26
	v_div_fmas_f32 v24, v24, v25, v27
	s_delay_alu instid0(VALU_DEP_1)
	v_div_fixup_f32 v0, v24, v0, 1.0
	ds_store_b32 v59, v0
.LBB22_26:                              ;   in Loop: Header=BB22_3 Depth=1
	s_or_b32 exec_lo, exec_lo, s8
.LBB22_27:                              ;   in Loop: Header=BB22_3 Depth=1
	s_and_not1_saveexec_b32 s7, s7
	s_cbranch_execz .LBB22_29
; %bb.28:                               ;   in Loop: Header=BB22_3 Depth=1
	v_lshl_add_u64 v[24:25], v[18:19], 2, s[92:93]
	global_load_b32 v0, v[24:25], off
	s_wait_loadcnt 0x0
	v_xor_b32_e32 v0, 0x80000000, v0
	ds_store_b32 v59, v0
.LBB22_29:                              ;   in Loop: Header=BB22_3 Depth=1
	s_or_b32 exec_lo, exec_lo, s7
	s_delay_alu instid0(SALU_CYCLE_1) | instskip(SKIP_2) | instid1(SALU_CYCLE_1)
	s_mov_b32 s7, exec_lo
	v_readlane_b32 s8, v74, 13
	s_and_b32 s8, s7, s8
	s_xor_b32 s7, s8, s7
	s_mov_b32 exec_lo, s8
	s_cbranch_execz .LBB22_37
; %bb.30:                               ;   in Loop: Header=BB22_3 Depth=1
	s_mov_b32 s8, exec_lo
	v_readlane_b32 s9, v74, 21
	s_and_b32 s9, s8, s9
	s_delay_alu instid0(SALU_CYCLE_1)
	s_xor_b32 s8, s9, s8
	s_mov_b32 exec_lo, s9
	s_cbranch_execz .LBB22_34
; %bb.31:                               ;   in Loop: Header=BB22_3 Depth=1
	s_mov_b32 s9, exec_lo
	v_readlane_b32 s69, v72, 0
	s_and_b32 s69, s9, s69
	s_delay_alu instid0(SALU_CYCLE_1)
	s_mov_b32 exec_lo, s69
; %bb.32:                               ;   in Loop: Header=BB22_3 Depth=1
	ds_store_b32 v60, v1
; %bb.33:                               ;   in Loop: Header=BB22_3 Depth=1
	s_or_b32 exec_lo, exec_lo, s9
.LBB22_34:                              ;   in Loop: Header=BB22_3 Depth=1
	s_and_not1_saveexec_b32 s8, s8
	s_cbranch_execz .LBB22_36
; %bb.35:                               ;   in Loop: Header=BB22_3 Depth=1
	v_lshl_add_u64 v[24:25], v[20:21], 2, s[92:93]
	global_load_b32 v0, v[24:25], off
	s_wait_loadcnt 0x0
	v_div_scale_f32 v24, null, v0, v0, 1.0
	s_delay_alu instid0(VALU_DEP_1) | instskip(SKIP_1) | instid1(TRANS32_DEP_1)
	v_rcp_f32_e32 v25, v24
	v_nop
	v_fma_f32 v26, -v24, v25, 1.0
	s_delay_alu instid0(VALU_DEP_1) | instskip(SKIP_1) | instid1(VALU_DEP_1)
	v_fmac_f32_e32 v25, v26, v25
	v_div_scale_f32 v26, vcc_lo, 1.0, v0, 1.0
	v_mul_f32_e32 v27, v26, v25
	s_delay_alu instid0(VALU_DEP_1) | instskip(NEXT) | instid1(VALU_DEP_1)
	v_fma_f32 v66, -v24, v27, v26
	v_fmac_f32_e32 v27, v66, v25
	s_delay_alu instid0(VALU_DEP_1) | instskip(NEXT) | instid1(VALU_DEP_1)
	v_fma_f32 v24, -v24, v27, v26
	v_div_fmas_f32 v24, v24, v25, v27
	s_delay_alu instid0(VALU_DEP_1)
	v_div_fixup_f32 v0, v24, v0, 1.0
	ds_store_b32 v60, v0
.LBB22_36:                              ;   in Loop: Header=BB22_3 Depth=1
	s_or_b32 exec_lo, exec_lo, s8
.LBB22_37:                              ;   in Loop: Header=BB22_3 Depth=1
	s_and_not1_saveexec_b32 s7, s7
	s_cbranch_execz .LBB22_39
; %bb.38:                               ;   in Loop: Header=BB22_3 Depth=1
	v_lshl_add_u64 v[24:25], v[20:21], 2, s[92:93]
	global_load_b32 v0, v[24:25], off
	s_wait_loadcnt 0x0
	v_xor_b32_e32 v0, 0x80000000, v0
	ds_store_b32 v60, v0
.LBB22_39:                              ;   in Loop: Header=BB22_3 Depth=1
	;; [unrolled: 63-line block ×3, first 2 shown]
	s_or_b32 exec_lo, exec_lo, s7
	s_branch .LBB22_85
.LBB22_50:                              ;   in Loop: Header=BB22_3 Depth=1
	s_mov_b32 s69, 0
                                        ; implicit-def: $vgpr0
	s_mov_b32 s7, exec_lo
	v_readlane_b32 s8, v74, 10
	s_and_b32 s8, s7, s8
	s_delay_alu instid0(SALU_CYCLE_1)
	s_xor_b32 s7, s8, s7
	s_mov_b32 exec_lo, s8
	s_cbranch_execnz .LBB22_1133
; %bb.51:                               ;   in Loop: Header=BB22_3 Depth=1
	s_and_not1_saveexec_b32 s7, s7
	s_cbranch_execnz .LBB22_1138
.LBB22_52:                              ;   in Loop: Header=BB22_3 Depth=1
	s_or_b32 exec_lo, exec_lo, s7
	s_and_saveexec_b32 s7, s69
.LBB22_53:                              ;   in Loop: Header=BB22_3 Depth=1
	ds_store_b32 v56, v0
.LBB22_54:                              ;   in Loop: Header=BB22_3 Depth=1
	s_or_b32 exec_lo, exec_lo, s7
	s_delay_alu instid0(SALU_CYCLE_1) | instskip(SKIP_2) | instid1(SALU_CYCLE_1)
	s_mov_b32 s7, exec_lo
	v_readlane_b32 s8, v74, 12
	s_and_b32 s8, s7, s8
	s_xor_b32 s7, s8, s7
	s_mov_b32 exec_lo, s8
	s_cbranch_execz .LBB22_62
; %bb.55:                               ;   in Loop: Header=BB22_3 Depth=1
	s_mov_b32 s8, exec_lo
	v_readlane_b32 s9, v74, 20
	s_and_b32 s9, s8, s9
	s_delay_alu instid0(SALU_CYCLE_1)
	s_xor_b32 s8, s9, s8
	s_mov_b32 exec_lo, s9
	s_cbranch_execz .LBB22_59
; %bb.56:                               ;   in Loop: Header=BB22_3 Depth=1
	s_mov_b32 s9, exec_lo
	v_readlane_b32 s69, v73, 31
	s_and_b32 s69, s9, s69
	s_delay_alu instid0(SALU_CYCLE_1)
	s_mov_b32 exec_lo, s69
; %bb.57:                               ;   in Loop: Header=BB22_3 Depth=1
	ds_store_b32 v59, v1
; %bb.58:                               ;   in Loop: Header=BB22_3 Depth=1
	s_or_b32 exec_lo, exec_lo, s9
.LBB22_59:                              ;   in Loop: Header=BB22_3 Depth=1
	s_and_not1_saveexec_b32 s8, s8
	s_cbranch_execz .LBB22_61
; %bb.60:                               ;   in Loop: Header=BB22_3 Depth=1
	v_lshl_add_u64 v[24:25], v[18:19], 2, s[92:93]
	global_load_b32 v0, v[24:25], off
	s_wait_loadcnt 0x0
	v_div_scale_f32 v24, null, v0, v0, 1.0
	s_delay_alu instid0(VALU_DEP_1) | instskip(SKIP_1) | instid1(TRANS32_DEP_1)
	v_rcp_f32_e32 v25, v24
	v_nop
	v_fma_f32 v26, -v24, v25, 1.0
	s_delay_alu instid0(VALU_DEP_1) | instskip(SKIP_1) | instid1(VALU_DEP_1)
	v_fmac_f32_e32 v25, v26, v25
	v_div_scale_f32 v26, vcc_lo, 1.0, v0, 1.0
	v_mul_f32_e32 v27, v26, v25
	s_delay_alu instid0(VALU_DEP_1) | instskip(NEXT) | instid1(VALU_DEP_1)
	v_fma_f32 v66, -v24, v27, v26
	v_fmac_f32_e32 v27, v66, v25
	s_delay_alu instid0(VALU_DEP_1) | instskip(NEXT) | instid1(VALU_DEP_1)
	v_fma_f32 v24, -v24, v27, v26
	v_div_fmas_f32 v24, v24, v25, v27
	s_delay_alu instid0(VALU_DEP_1)
	v_div_fixup_f32 v0, v24, v0, 1.0
	ds_store_b32 v59, v0
.LBB22_61:                              ;   in Loop: Header=BB22_3 Depth=1
	s_or_b32 exec_lo, exec_lo, s8
.LBB22_62:                              ;   in Loop: Header=BB22_3 Depth=1
	s_and_not1_saveexec_b32 s7, s7
	s_cbranch_execz .LBB22_64
; %bb.63:                               ;   in Loop: Header=BB22_3 Depth=1
	v_lshl_add_u64 v[24:25], v[18:19], 2, s[92:93]
	global_load_b32 v0, v[24:25], off
	s_wait_loadcnt 0x0
	v_xor_b32_e32 v0, 0x80000000, v0
	ds_store_b32 v59, v0
.LBB22_64:                              ;   in Loop: Header=BB22_3 Depth=1
	s_or_b32 exec_lo, exec_lo, s7
	s_delay_alu instid0(SALU_CYCLE_1) | instskip(SKIP_2) | instid1(SALU_CYCLE_1)
	s_mov_b32 s7, exec_lo
	v_readlane_b32 s8, v74, 14
	s_and_b32 s8, s7, s8
	s_xor_b32 s7, s8, s7
	s_mov_b32 exec_lo, s8
	s_cbranch_execz .LBB22_72
; %bb.65:                               ;   in Loop: Header=BB22_3 Depth=1
	s_mov_b32 s8, exec_lo
	v_readlane_b32 s9, v74, 22
	s_and_b32 s9, s8, s9
	s_delay_alu instid0(SALU_CYCLE_1)
	s_xor_b32 s8, s9, s8
	s_mov_b32 exec_lo, s9
	s_cbranch_execz .LBB22_69
; %bb.66:                               ;   in Loop: Header=BB22_3 Depth=1
	s_mov_b32 s9, exec_lo
	v_readlane_b32 s69, v72, 0
	s_and_b32 s69, s9, s69
	s_delay_alu instid0(SALU_CYCLE_1)
	s_mov_b32 exec_lo, s69
; %bb.67:                               ;   in Loop: Header=BB22_3 Depth=1
	ds_store_b32 v60, v1
; %bb.68:                               ;   in Loop: Header=BB22_3 Depth=1
	s_or_b32 exec_lo, exec_lo, s9
.LBB22_69:                              ;   in Loop: Header=BB22_3 Depth=1
	s_and_not1_saveexec_b32 s8, s8
	s_cbranch_execz .LBB22_71
; %bb.70:                               ;   in Loop: Header=BB22_3 Depth=1
	v_lshl_add_u64 v[24:25], v[20:21], 2, s[92:93]
	global_load_b32 v0, v[24:25], off
	s_wait_loadcnt 0x0
	v_div_scale_f32 v24, null, v0, v0, 1.0
	s_delay_alu instid0(VALU_DEP_1) | instskip(SKIP_1) | instid1(TRANS32_DEP_1)
	v_rcp_f32_e32 v25, v24
	v_nop
	v_fma_f32 v26, -v24, v25, 1.0
	s_delay_alu instid0(VALU_DEP_1) | instskip(SKIP_1) | instid1(VALU_DEP_1)
	v_fmac_f32_e32 v25, v26, v25
	v_div_scale_f32 v26, vcc_lo, 1.0, v0, 1.0
	v_mul_f32_e32 v27, v26, v25
	s_delay_alu instid0(VALU_DEP_1) | instskip(NEXT) | instid1(VALU_DEP_1)
	v_fma_f32 v66, -v24, v27, v26
	v_fmac_f32_e32 v27, v66, v25
	s_delay_alu instid0(VALU_DEP_1) | instskip(NEXT) | instid1(VALU_DEP_1)
	v_fma_f32 v24, -v24, v27, v26
	v_div_fmas_f32 v24, v24, v25, v27
	s_delay_alu instid0(VALU_DEP_1)
	v_div_fixup_f32 v0, v24, v0, 1.0
	ds_store_b32 v60, v0
.LBB22_71:                              ;   in Loop: Header=BB22_3 Depth=1
	s_or_b32 exec_lo, exec_lo, s8
.LBB22_72:                              ;   in Loop: Header=BB22_3 Depth=1
	s_and_not1_saveexec_b32 s7, s7
	s_cbranch_execz .LBB22_74
; %bb.73:                               ;   in Loop: Header=BB22_3 Depth=1
	v_lshl_add_u64 v[24:25], v[20:21], 2, s[92:93]
	global_load_b32 v0, v[24:25], off
	s_wait_loadcnt 0x0
	v_xor_b32_e32 v0, 0x80000000, v0
	ds_store_b32 v60, v0
.LBB22_74:                              ;   in Loop: Header=BB22_3 Depth=1
	;; [unrolled: 63-line block ×3, first 2 shown]
	s_or_b32 exec_lo, exec_lo, s7
.LBB22_85:                              ;   in Loop: Header=BB22_3 Depth=1
	s_delay_alu instid0(SALU_CYCLE_1)
	s_and_not1_b32 vcc_lo, exec_lo, s102
	s_wait_loadcnt_dscnt 0x0
	s_barrier_signal -1
	s_barrier_wait -1
	s_cbranch_vccnz .LBB22_1060
; %bb.86:                               ;   in Loop: Header=BB22_3 Depth=1
	s_and_saveexec_b32 s7, s15
	s_cbranch_execz .LBB22_88
; %bb.87:                               ;   in Loop: Header=BB22_3 Depth=1
	ds_load_b64 v[24:25], v1
	ds_load_b32 v0, v1 offset:260
	s_wait_dscnt 0x0
	v_mul_f32_e32 v0, v24, v0
	s_delay_alu instid0(VALU_DEP_1)
	v_mul_f32_e32 v0, v25, v0
	ds_store_b32 v1, v0 offset:4
.LBB22_88:                              ;   in Loop: Header=BB22_3 Depth=1
	s_or_b32 exec_lo, exec_lo, s7
	v_mov_b32_e32 v0, 0
	s_wait_dscnt 0x0
	s_barrier_signal -1
	s_barrier_wait -1
	s_and_saveexec_b32 s7, s0
	s_cbranch_execz .LBB22_92
; %bb.89:                               ;   in Loop: Header=BB22_3 Depth=1
	ds_load_b32 v0, v30 offset:8
	ds_load_b32 v24, v31
	s_wait_dscnt 0x0
	v_fma_f32 v0, v0, v24, 0
	s_and_saveexec_b32 s8, s16
	s_cbranch_execz .LBB22_91
; %bb.90:                               ;   in Loop: Header=BB22_3 Depth=1
	ds_load_b32 v24, v32 offset:264
	ds_load_b32 v25, v1 offset:4
	s_wait_dscnt 0x0
	v_fmac_f32_e32 v0, v24, v25
.LBB22_91:                              ;   in Loop: Header=BB22_3 Depth=1
	s_or_b32 exec_lo, exec_lo, s8
	s_delay_alu instid0(VALU_DEP_1)
	v_xor_b32_e32 v0, 0x80000000, v0
.LBB22_92:                              ;   in Loop: Header=BB22_3 Depth=1
	s_or_b32 exec_lo, exec_lo, s7
	s_and_saveexec_b32 s7, s103
	s_cbranch_execz .LBB22_94
; %bb.93:                               ;   in Loop: Header=BB22_3 Depth=1
	ds_load_b32 v24, v1 offset:520
	s_wait_dscnt 0x0
	v_mul_f32_e32 v0, v0, v24
	ds_store_b32 v3, v0
.LBB22_94:                              ;   in Loop: Header=BB22_3 Depth=1
	s_or_b32 exec_lo, exec_lo, s7
	s_wait_dscnt 0x0
	s_barrier_signal -1
	s_barrier_wait -1
	s_and_saveexec_b32 s7, s104
	s_cbranch_execz .LBB22_96
; %bb.95:                               ;   in Loop: Header=BB22_3 Depth=1
	ds_load_b32 v24, v1 offset:524
	ds_load_b32 v25, v3
	s_wait_dscnt 0x0
	v_fmac_f32_e32 v0, v24, v25
.LBB22_96:                              ;   in Loop: Header=BB22_3 Depth=1
	s_or_b32 exec_lo, exec_lo, s7
	s_barrier_signal -1
	s_barrier_wait -1
	s_and_saveexec_b32 s7, s104
	s_cbranch_execz .LBB22_98
; %bb.97:                               ;   in Loop: Header=BB22_3 Depth=1
	ds_load_b32 v24, v1 offset:780
	s_wait_dscnt 0x0
	v_mul_f32_e32 v0, v0, v24
	ds_store_b32 v3, v0
.LBB22_98:                              ;   in Loop: Header=BB22_3 Depth=1
	s_or_b32 exec_lo, exec_lo, s7
	s_wait_dscnt 0x0
	s_barrier_signal -1
	s_barrier_wait -1
	s_barrier_signal -1
	s_barrier_wait -1
	s_and_saveexec_b32 s7, s0
; %bb.99:                               ;   in Loop: Header=BB22_3 Depth=1
	v_xor_b32_e32 v0, 0x80000000, v0
	ds_store_b32 v30, v0 offset:8
; %bb.100:                              ;   in Loop: Header=BB22_3 Depth=1
	s_or_b32 exec_lo, exec_lo, s7
	s_wait_dscnt 0x0
	s_barrier_signal -1
	s_barrier_wait -1
	s_barrier_signal -1
	s_barrier_wait -1
	s_and_saveexec_b32 s7, s15
	s_cbranch_execz .LBB22_102
; %bb.101:                              ;   in Loop: Header=BB22_3 Depth=1
	ds_load_b64 v[24:25], v1 offset:520
	ds_load_b32 v0, v1 offset:780
	s_wait_dscnt 0x0
	v_mul_f32_e32 v0, v24, v0
	s_delay_alu instid0(VALU_DEP_1)
	v_mul_f32_e32 v0, v25, v0
	ds_store_b32 v1, v0 offset:524
.LBB22_102:                             ;   in Loop: Header=BB22_3 Depth=1
	s_or_b32 exec_lo, exec_lo, s7
	v_mov_b32_e32 v0, 0
	s_wait_dscnt 0x0
	s_barrier_signal -1
	s_barrier_wait -1
	s_and_saveexec_b32 s7, s1
	s_cbranch_execz .LBB22_108
; %bb.103:                              ;   in Loop: Header=BB22_3 Depth=1
	ds_load_b32 v0, v36 offset:16
	ds_load_b32 v24, v33
	s_wait_dscnt 0x0
	v_fma_f32 v0, v0, v24, 0
	s_and_saveexec_b32 s8, s17
	s_cbranch_execnz .LBB22_1144
; %bb.104:                              ;   in Loop: Header=BB22_3 Depth=1
	s_or_b32 exec_lo, exec_lo, s8
	s_and_saveexec_b32 s8, s18
	s_cbranch_execnz .LBB22_1145
.LBB22_105:                             ;   in Loop: Header=BB22_3 Depth=1
	s_or_b32 exec_lo, exec_lo, s8
	s_and_saveexec_b32 s8, s0
	s_cbranch_execz .LBB22_107
.LBB22_106:                             ;   in Loop: Header=BB22_3 Depth=1
	ds_load_b32 v24, v32 offset:784
	ds_load_b32 v25, v1 offset:12
	s_wait_dscnt 0x0
	v_fmac_f32_e32 v0, v24, v25
.LBB22_107:                             ;   in Loop: Header=BB22_3 Depth=1
	s_or_b32 exec_lo, exec_lo, s8
	s_delay_alu instid0(VALU_DEP_1)
	v_xor_b32_e32 v0, 0x80000000, v0
.LBB22_108:                             ;   in Loop: Header=BB22_3 Depth=1
	s_or_b32 exec_lo, exec_lo, s7
	s_and_saveexec_b32 s7, vcc_hi
	s_cbranch_execz .LBB22_110
; %bb.109:                              ;   in Loop: Header=BB22_3 Depth=1
	ds_load_b32 v24, v1 offset:1040
	s_wait_dscnt 0x0
	v_mul_f32_e32 v0, v0, v24
	ds_store_b32 v34, v0
.LBB22_110:                             ;   in Loop: Header=BB22_3 Depth=1
	s_or_b32 exec_lo, exec_lo, s7
	s_wait_dscnt 0x0
	s_barrier_signal -1
	s_barrier_wait -1
	s_and_saveexec_b32 s7, s36
	s_cbranch_execz .LBB22_112
; %bb.111:                              ;   in Loop: Header=BB22_3 Depth=1
	ds_load_b32 v24, v35 offset:1040
	ds_load_b32 v25, v34
	s_wait_dscnt 0x0
	v_fmac_f32_e32 v0, v24, v25
.LBB22_112:                             ;   in Loop: Header=BB22_3 Depth=1
	s_or_b32 exec_lo, exec_lo, s7
	s_barrier_signal -1
	s_barrier_wait -1
	s_and_saveexec_b32 s7, s37
	s_cbranch_execz .LBB22_114
; %bb.113:                              ;   in Loop: Header=BB22_3 Depth=1
	ds_load_b32 v24, v1 offset:1300
	s_wait_dscnt 0x0
	v_mul_f32_e32 v0, v0, v24
	ds_store_b32 v34, v0
.LBB22_114:                             ;   in Loop: Header=BB22_3 Depth=1
	s_or_b32 exec_lo, exec_lo, s7
	s_wait_dscnt 0x0
	s_barrier_signal -1
	s_barrier_wait -1
	s_and_saveexec_b32 s7, s38
	s_cbranch_execz .LBB22_116
; %bb.115:                              ;   in Loop: Header=BB22_3 Depth=1
	ds_load_b32 v24, v35 offset:1296
	ds_load_b32 v25, v34
	s_wait_dscnt 0x0
	v_fmac_f32_e32 v0, v24, v25
.LBB22_116:                             ;   in Loop: Header=BB22_3 Depth=1
	s_or_b32 exec_lo, exec_lo, s7
	s_barrier_signal -1
	s_barrier_wait -1
	s_and_saveexec_b32 s7, s39
	;; [unrolled: 23-line block ×3, first 2 shown]
	s_cbranch_execz .LBB22_122
; %bb.121:                              ;   in Loop: Header=BB22_3 Depth=1
	ds_load_b32 v24, v1 offset:1820
	s_wait_dscnt 0x0
	v_mul_f32_e32 v0, v0, v24
	ds_store_b32 v34, v0
.LBB22_122:                             ;   in Loop: Header=BB22_3 Depth=1
	s_or_b32 exec_lo, exec_lo, s7
	s_wait_dscnt 0x0
	s_barrier_signal -1
	s_barrier_wait -1
	s_barrier_signal -1
	s_barrier_wait -1
	s_and_saveexec_b32 s7, s1
; %bb.123:                              ;   in Loop: Header=BB22_3 Depth=1
	v_xor_b32_e32 v0, 0x80000000, v0
	ds_store_b32 v36, v0 offset:16
; %bb.124:                              ;   in Loop: Header=BB22_3 Depth=1
	s_or_b32 exec_lo, exec_lo, s7
	s_wait_dscnt 0x0
	s_barrier_signal -1
	s_barrier_wait -1
	s_barrier_signal -1
	s_barrier_wait -1
	s_and_saveexec_b32 s7, s15
	s_cbranch_execz .LBB22_126
; %bb.125:                              ;   in Loop: Header=BB22_3 Depth=1
	ds_load_b64 v[24:25], v1 offset:1040
	ds_load_b32 v0, v1 offset:1300
	s_wait_dscnt 0x0
	v_mul_f32_e32 v0, v24, v0
	s_delay_alu instid0(VALU_DEP_1)
	v_mul_f32_e32 v0, v25, v0
	ds_store_b32 v1, v0 offset:1044
.LBB22_126:                             ;   in Loop: Header=BB22_3 Depth=1
	s_or_b32 exec_lo, exec_lo, s7
	v_mov_b32_e32 v0, 0
	s_wait_dscnt 0x0
	s_barrier_signal -1
	s_barrier_wait -1
	s_and_saveexec_b32 s7, s0
	s_cbranch_execz .LBB22_130
; %bb.127:                              ;   in Loop: Header=BB22_3 Depth=1
	ds_load_b32 v0, v30 offset:1048
	ds_load_b32 v24, v31 offset:1040
	s_wait_dscnt 0x0
	v_fma_f32 v0, v0, v24, 0
	s_and_saveexec_b32 s8, s16
	s_cbranch_execz .LBB22_129
; %bb.128:                              ;   in Loop: Header=BB22_3 Depth=1
	ds_load_b32 v24, v32 offset:1304
	ds_load_b32 v25, v1 offset:1044
	s_wait_dscnt 0x0
	v_fmac_f32_e32 v0, v24, v25
.LBB22_129:                             ;   in Loop: Header=BB22_3 Depth=1
	s_or_b32 exec_lo, exec_lo, s8
	s_delay_alu instid0(VALU_DEP_1)
	v_xor_b32_e32 v0, 0x80000000, v0
.LBB22_130:                             ;   in Loop: Header=BB22_3 Depth=1
	s_or_b32 exec_lo, exec_lo, s7
	s_and_saveexec_b32 s7, s103
	s_cbranch_execz .LBB22_132
; %bb.131:                              ;   in Loop: Header=BB22_3 Depth=1
	ds_load_b32 v24, v1 offset:1560
	s_wait_dscnt 0x0
	v_mul_f32_e32 v0, v0, v24
	ds_store_b32 v3, v0
.LBB22_132:                             ;   in Loop: Header=BB22_3 Depth=1
	s_or_b32 exec_lo, exec_lo, s7
	s_wait_dscnt 0x0
	s_barrier_signal -1
	s_barrier_wait -1
	s_and_saveexec_b32 s7, s104
	s_cbranch_execz .LBB22_134
; %bb.133:                              ;   in Loop: Header=BB22_3 Depth=1
	ds_load_b32 v24, v1 offset:1564
	ds_load_b32 v25, v3
	s_wait_dscnt 0x0
	v_fmac_f32_e32 v0, v24, v25
.LBB22_134:                             ;   in Loop: Header=BB22_3 Depth=1
	s_or_b32 exec_lo, exec_lo, s7
	s_barrier_signal -1
	s_barrier_wait -1
	s_and_saveexec_b32 s7, s104
	s_cbranch_execz .LBB22_136
; %bb.135:                              ;   in Loop: Header=BB22_3 Depth=1
	ds_load_b32 v24, v1 offset:1820
	s_wait_dscnt 0x0
	v_mul_f32_e32 v0, v0, v24
	ds_store_b32 v3, v0
.LBB22_136:                             ;   in Loop: Header=BB22_3 Depth=1
	s_or_b32 exec_lo, exec_lo, s7
	s_wait_dscnt 0x0
	s_barrier_signal -1
	s_barrier_wait -1
	s_barrier_signal -1
	s_barrier_wait -1
	s_and_saveexec_b32 s7, s0
; %bb.137:                              ;   in Loop: Header=BB22_3 Depth=1
	v_xor_b32_e32 v0, 0x80000000, v0
	ds_store_b32 v30, v0 offset:1048
; %bb.138:                              ;   in Loop: Header=BB22_3 Depth=1
	s_or_b32 exec_lo, exec_lo, s7
	s_wait_dscnt 0x0
	s_barrier_signal -1
	s_barrier_wait -1
	s_barrier_signal -1
	s_barrier_wait -1
	s_and_saveexec_b32 s7, s15
	s_cbranch_execz .LBB22_140
; %bb.139:                              ;   in Loop: Header=BB22_3 Depth=1
	ds_load_b64 v[24:25], v1 offset:1560
	ds_load_b32 v0, v1 offset:1820
	s_wait_dscnt 0x0
	v_mul_f32_e32 v0, v24, v0
	s_delay_alu instid0(VALU_DEP_1)
	v_mul_f32_e32 v0, v25, v0
	ds_store_b32 v1, v0 offset:1564
.LBB22_140:                             ;   in Loop: Header=BB22_3 Depth=1
	s_or_b32 exec_lo, exec_lo, s7
	v_mov_b32_e32 v0, 0
	s_wait_dscnt 0x0
	s_barrier_signal -1
	s_barrier_wait -1
	s_and_saveexec_b32 s7, s2
	s_cbranch_execz .LBB22_150
; %bb.141:                              ;   in Loop: Header=BB22_3 Depth=1
	ds_load_b32 v0, v41 offset:32
	ds_load_b32 v24, v38
	s_wait_dscnt 0x0
	v_fma_f32 v0, v0, v24, 0
	s_and_saveexec_b32 s8, s19
	s_cbranch_execnz .LBB22_1146
; %bb.142:                              ;   in Loop: Header=BB22_3 Depth=1
	s_or_b32 exec_lo, exec_lo, s8
	s_and_saveexec_b32 s8, s20
	s_cbranch_execnz .LBB22_1147
.LBB22_143:                             ;   in Loop: Header=BB22_3 Depth=1
	s_or_b32 exec_lo, exec_lo, s8
	s_and_saveexec_b32 s8, s21
	s_cbranch_execnz .LBB22_1148
.LBB22_144:                             ;   in Loop: Header=BB22_3 Depth=1
	s_or_b32 exec_lo, exec_lo, s8
	s_and_saveexec_b32 s8, s22
	s_cbranch_execnz .LBB22_1149
.LBB22_145:                             ;   in Loop: Header=BB22_3 Depth=1
	s_or_b32 exec_lo, exec_lo, s8
	s_and_saveexec_b32 s8, s23
	s_cbranch_execnz .LBB22_1150
.LBB22_146:                             ;   in Loop: Header=BB22_3 Depth=1
	s_or_b32 exec_lo, exec_lo, s8
	s_and_saveexec_b32 s8, s1
	s_cbranch_execnz .LBB22_1151
.LBB22_147:                             ;   in Loop: Header=BB22_3 Depth=1
	s_or_b32 exec_lo, exec_lo, s8
	s_and_saveexec_b32 s8, s18
	s_cbranch_execz .LBB22_149
.LBB22_148:                             ;   in Loop: Header=BB22_3 Depth=1
	ds_load_b32 v24, v32 offset:1824
	ds_load_b32 v25, v1 offset:28
	s_wait_dscnt 0x0
	v_fmac_f32_e32 v0, v24, v25
.LBB22_149:                             ;   in Loop: Header=BB22_3 Depth=1
	s_or_b32 exec_lo, exec_lo, s8
	s_delay_alu instid0(VALU_DEP_1)
	v_xor_b32_e32 v0, 0x80000000, v0
.LBB22_150:                             ;   in Loop: Header=BB22_3 Depth=1
	s_or_b32 exec_lo, exec_lo, s7
	s_and_saveexec_b32 s7, s41
	s_cbranch_execz .LBB22_152
; %bb.151:                              ;   in Loop: Header=BB22_3 Depth=1
	ds_load_b32 v24, v1 offset:2080
	s_wait_dscnt 0x0
	v_mul_f32_e32 v0, v0, v24
	ds_store_b32 v40, v0
.LBB22_152:                             ;   in Loop: Header=BB22_3 Depth=1
	s_or_b32 exec_lo, exec_lo, s7
	s_wait_dscnt 0x0
	s_barrier_signal -1
	s_barrier_wait -1
	s_and_saveexec_b32 s7, s42
	s_cbranch_execz .LBB22_154
; %bb.153:                              ;   in Loop: Header=BB22_3 Depth=1
	ds_load_b32 v24, v39 offset:2080
	ds_load_b32 v25, v40
	s_wait_dscnt 0x0
	v_fmac_f32_e32 v0, v24, v25
.LBB22_154:                             ;   in Loop: Header=BB22_3 Depth=1
	s_or_b32 exec_lo, exec_lo, s7
	s_barrier_signal -1
	s_barrier_wait -1
	s_and_saveexec_b32 s7, s43
	s_cbranch_execz .LBB22_156
; %bb.155:                              ;   in Loop: Header=BB22_3 Depth=1
	ds_load_b32 v24, v1 offset:2340
	s_wait_dscnt 0x0
	v_mul_f32_e32 v0, v0, v24
	ds_store_b32 v40, v0
.LBB22_156:                             ;   in Loop: Header=BB22_3 Depth=1
	s_or_b32 exec_lo, exec_lo, s7
	s_wait_dscnt 0x0
	s_barrier_signal -1
	s_barrier_wait -1
	s_and_saveexec_b32 s7, s44
	s_cbranch_execz .LBB22_158
; %bb.157:                              ;   in Loop: Header=BB22_3 Depth=1
	ds_load_b32 v24, v39 offset:2336
	ds_load_b32 v25, v40
	s_wait_dscnt 0x0
	v_fmac_f32_e32 v0, v24, v25
.LBB22_158:                             ;   in Loop: Header=BB22_3 Depth=1
	s_or_b32 exec_lo, exec_lo, s7
	s_barrier_signal -1
	s_barrier_wait -1
	;; [unrolled: 23-line block ×7, first 2 shown]
	s_and_saveexec_b32 s7, s54
	s_cbranch_execz .LBB22_180
; %bb.179:                              ;   in Loop: Header=BB22_3 Depth=1
	ds_load_b32 v24, v1 offset:3900
	s_wait_dscnt 0x0
	v_mul_f32_e32 v0, v0, v24
	ds_store_b32 v40, v0
.LBB22_180:                             ;   in Loop: Header=BB22_3 Depth=1
	s_or_b32 exec_lo, exec_lo, s7
	s_wait_dscnt 0x0
	s_barrier_signal -1
	s_barrier_wait -1
	s_barrier_signal -1
	s_barrier_wait -1
	s_and_saveexec_b32 s7, s2
; %bb.181:                              ;   in Loop: Header=BB22_3 Depth=1
	v_xor_b32_e32 v0, 0x80000000, v0
	ds_store_b32 v41, v0 offset:32
; %bb.182:                              ;   in Loop: Header=BB22_3 Depth=1
	s_or_b32 exec_lo, exec_lo, s7
	s_wait_dscnt 0x0
	s_barrier_signal -1
	s_barrier_wait -1
	s_barrier_signal -1
	s_barrier_wait -1
	s_and_saveexec_b32 s7, s15
	s_cbranch_execz .LBB22_184
; %bb.183:                              ;   in Loop: Header=BB22_3 Depth=1
	ds_load_b64 v[24:25], v1 offset:2080
	ds_load_b32 v0, v1 offset:2340
	s_wait_dscnt 0x0
	v_mul_f32_e32 v0, v24, v0
	s_delay_alu instid0(VALU_DEP_1)
	v_mul_f32_e32 v0, v25, v0
	ds_store_b32 v1, v0 offset:2084
.LBB22_184:                             ;   in Loop: Header=BB22_3 Depth=1
	s_or_b32 exec_lo, exec_lo, s7
	v_mov_b32_e32 v0, 0
	s_wait_dscnt 0x0
	s_barrier_signal -1
	s_barrier_wait -1
	s_and_saveexec_b32 s7, s0
	s_cbranch_execz .LBB22_188
; %bb.185:                              ;   in Loop: Header=BB22_3 Depth=1
	ds_load_b32 v0, v30 offset:2088
	ds_load_b32 v24, v31 offset:2080
	s_wait_dscnt 0x0
	v_fma_f32 v0, v0, v24, 0
	s_and_saveexec_b32 s8, s16
	s_cbranch_execz .LBB22_187
; %bb.186:                              ;   in Loop: Header=BB22_3 Depth=1
	ds_load_b32 v24, v32 offset:2344
	ds_load_b32 v25, v1 offset:2084
	s_wait_dscnt 0x0
	v_fmac_f32_e32 v0, v24, v25
.LBB22_187:                             ;   in Loop: Header=BB22_3 Depth=1
	s_or_b32 exec_lo, exec_lo, s8
	s_delay_alu instid0(VALU_DEP_1)
	v_xor_b32_e32 v0, 0x80000000, v0
.LBB22_188:                             ;   in Loop: Header=BB22_3 Depth=1
	s_or_b32 exec_lo, exec_lo, s7
	s_and_saveexec_b32 s7, s103
	s_cbranch_execz .LBB22_190
; %bb.189:                              ;   in Loop: Header=BB22_3 Depth=1
	ds_load_b32 v24, v1 offset:2600
	s_wait_dscnt 0x0
	v_mul_f32_e32 v0, v0, v24
	ds_store_b32 v3, v0
.LBB22_190:                             ;   in Loop: Header=BB22_3 Depth=1
	s_or_b32 exec_lo, exec_lo, s7
	s_wait_dscnt 0x0
	s_barrier_signal -1
	s_barrier_wait -1
	s_and_saveexec_b32 s7, s104
	s_cbranch_execz .LBB22_192
; %bb.191:                              ;   in Loop: Header=BB22_3 Depth=1
	ds_load_b32 v24, v1 offset:2604
	ds_load_b32 v25, v3
	s_wait_dscnt 0x0
	v_fmac_f32_e32 v0, v24, v25
.LBB22_192:                             ;   in Loop: Header=BB22_3 Depth=1
	s_or_b32 exec_lo, exec_lo, s7
	s_barrier_signal -1
	s_barrier_wait -1
	s_and_saveexec_b32 s7, s104
	s_cbranch_execz .LBB22_194
; %bb.193:                              ;   in Loop: Header=BB22_3 Depth=1
	ds_load_b32 v24, v1 offset:2860
	s_wait_dscnt 0x0
	v_mul_f32_e32 v0, v0, v24
	ds_store_b32 v3, v0
.LBB22_194:                             ;   in Loop: Header=BB22_3 Depth=1
	s_or_b32 exec_lo, exec_lo, s7
	s_wait_dscnt 0x0
	s_barrier_signal -1
	s_barrier_wait -1
	s_barrier_signal -1
	s_barrier_wait -1
	s_and_saveexec_b32 s7, s0
; %bb.195:                              ;   in Loop: Header=BB22_3 Depth=1
	v_xor_b32_e32 v0, 0x80000000, v0
	ds_store_b32 v30, v0 offset:2088
; %bb.196:                              ;   in Loop: Header=BB22_3 Depth=1
	s_or_b32 exec_lo, exec_lo, s7
	s_wait_dscnt 0x0
	s_barrier_signal -1
	s_barrier_wait -1
	s_barrier_signal -1
	s_barrier_wait -1
	s_and_saveexec_b32 s7, s15
	s_cbranch_execz .LBB22_198
; %bb.197:                              ;   in Loop: Header=BB22_3 Depth=1
	ds_load_b64 v[24:25], v1 offset:2600
	ds_load_b32 v0, v1 offset:2860
	s_wait_dscnt 0x0
	v_mul_f32_e32 v0, v24, v0
	s_delay_alu instid0(VALU_DEP_1)
	v_mul_f32_e32 v0, v25, v0
	ds_store_b32 v1, v0 offset:2604
.LBB22_198:                             ;   in Loop: Header=BB22_3 Depth=1
	s_or_b32 exec_lo, exec_lo, s7
	v_mov_b32_e32 v0, 0
	s_wait_dscnt 0x0
	s_barrier_signal -1
	s_barrier_wait -1
	s_and_saveexec_b32 s7, s1
	s_cbranch_execz .LBB22_204
; %bb.199:                              ;   in Loop: Header=BB22_3 Depth=1
	ds_load_b32 v0, v36 offset:2096
	ds_load_b32 v24, v33 offset:2080
	s_wait_dscnt 0x0
	v_fma_f32 v0, v0, v24, 0
	s_and_saveexec_b32 s8, s17
	s_cbranch_execnz .LBB22_1152
; %bb.200:                              ;   in Loop: Header=BB22_3 Depth=1
	s_or_b32 exec_lo, exec_lo, s8
	s_and_saveexec_b32 s8, s18
	s_cbranch_execnz .LBB22_1153
.LBB22_201:                             ;   in Loop: Header=BB22_3 Depth=1
	s_or_b32 exec_lo, exec_lo, s8
	s_and_saveexec_b32 s8, s0
	s_cbranch_execz .LBB22_203
.LBB22_202:                             ;   in Loop: Header=BB22_3 Depth=1
	ds_load_b32 v24, v32 offset:2864
	ds_load_b32 v25, v1 offset:2092
	s_wait_dscnt 0x0
	v_fmac_f32_e32 v0, v24, v25
.LBB22_203:                             ;   in Loop: Header=BB22_3 Depth=1
	s_or_b32 exec_lo, exec_lo, s8
	s_delay_alu instid0(VALU_DEP_1)
	v_xor_b32_e32 v0, 0x80000000, v0
.LBB22_204:                             ;   in Loop: Header=BB22_3 Depth=1
	s_or_b32 exec_lo, exec_lo, s7
	s_and_saveexec_b32 s7, vcc_hi
	s_cbranch_execz .LBB22_206
; %bb.205:                              ;   in Loop: Header=BB22_3 Depth=1
	ds_load_b32 v24, v1 offset:3120
	s_wait_dscnt 0x0
	v_mul_f32_e32 v0, v0, v24
	ds_store_b32 v34, v0
.LBB22_206:                             ;   in Loop: Header=BB22_3 Depth=1
	s_or_b32 exec_lo, exec_lo, s7
	s_wait_dscnt 0x0
	s_barrier_signal -1
	s_barrier_wait -1
	s_and_saveexec_b32 s7, s36
	s_cbranch_execz .LBB22_208
; %bb.207:                              ;   in Loop: Header=BB22_3 Depth=1
	ds_load_b32 v24, v35 offset:3120
	ds_load_b32 v25, v34
	s_wait_dscnt 0x0
	v_fmac_f32_e32 v0, v24, v25
.LBB22_208:                             ;   in Loop: Header=BB22_3 Depth=1
	s_or_b32 exec_lo, exec_lo, s7
	s_barrier_signal -1
	s_barrier_wait -1
	s_and_saveexec_b32 s7, s37
	s_cbranch_execz .LBB22_210
; %bb.209:                              ;   in Loop: Header=BB22_3 Depth=1
	ds_load_b32 v24, v1 offset:3380
	s_wait_dscnt 0x0
	v_mul_f32_e32 v0, v0, v24
	ds_store_b32 v34, v0
.LBB22_210:                             ;   in Loop: Header=BB22_3 Depth=1
	s_or_b32 exec_lo, exec_lo, s7
	s_wait_dscnt 0x0
	s_barrier_signal -1
	s_barrier_wait -1
	s_and_saveexec_b32 s7, s38
	s_cbranch_execz .LBB22_212
; %bb.211:                              ;   in Loop: Header=BB22_3 Depth=1
	ds_load_b32 v24, v35 offset:3376
	ds_load_b32 v25, v34
	s_wait_dscnt 0x0
	v_fmac_f32_e32 v0, v24, v25
.LBB22_212:                             ;   in Loop: Header=BB22_3 Depth=1
	s_or_b32 exec_lo, exec_lo, s7
	s_barrier_signal -1
	s_barrier_wait -1
	s_and_saveexec_b32 s7, s39
	;; [unrolled: 23-line block ×3, first 2 shown]
	s_cbranch_execz .LBB22_218
; %bb.217:                              ;   in Loop: Header=BB22_3 Depth=1
	ds_load_b32 v24, v1 offset:3900
	s_wait_dscnt 0x0
	v_mul_f32_e32 v0, v0, v24
	ds_store_b32 v34, v0
.LBB22_218:                             ;   in Loop: Header=BB22_3 Depth=1
	s_or_b32 exec_lo, exec_lo, s7
	s_wait_dscnt 0x0
	s_barrier_signal -1
	s_barrier_wait -1
	s_barrier_signal -1
	s_barrier_wait -1
	s_and_saveexec_b32 s7, s1
; %bb.219:                              ;   in Loop: Header=BB22_3 Depth=1
	v_xor_b32_e32 v0, 0x80000000, v0
	ds_store_b32 v36, v0 offset:2096
; %bb.220:                              ;   in Loop: Header=BB22_3 Depth=1
	s_or_b32 exec_lo, exec_lo, s7
	s_wait_dscnt 0x0
	s_barrier_signal -1
	s_barrier_wait -1
	s_barrier_signal -1
	s_barrier_wait -1
	s_and_saveexec_b32 s7, s15
	s_cbranch_execz .LBB22_222
; %bb.221:                              ;   in Loop: Header=BB22_3 Depth=1
	ds_load_b64 v[24:25], v1 offset:3120
	ds_load_b32 v0, v1 offset:3380
	s_wait_dscnt 0x0
	v_mul_f32_e32 v0, v24, v0
	s_delay_alu instid0(VALU_DEP_1)
	v_mul_f32_e32 v0, v25, v0
	ds_store_b32 v1, v0 offset:3124
.LBB22_222:                             ;   in Loop: Header=BB22_3 Depth=1
	s_or_b32 exec_lo, exec_lo, s7
	v_mov_b32_e32 v0, 0
	s_wait_dscnt 0x0
	s_barrier_signal -1
	s_barrier_wait -1
	s_and_saveexec_b32 s7, s0
	s_cbranch_execz .LBB22_226
; %bb.223:                              ;   in Loop: Header=BB22_3 Depth=1
	ds_load_b32 v0, v30 offset:3128
	ds_load_b32 v24, v31 offset:3120
	s_wait_dscnt 0x0
	v_fma_f32 v0, v0, v24, 0
	s_and_saveexec_b32 s8, s16
	s_cbranch_execz .LBB22_225
; %bb.224:                              ;   in Loop: Header=BB22_3 Depth=1
	ds_load_b32 v24, v32 offset:3384
	ds_load_b32 v25, v1 offset:3124
	s_wait_dscnt 0x0
	v_fmac_f32_e32 v0, v24, v25
.LBB22_225:                             ;   in Loop: Header=BB22_3 Depth=1
	s_or_b32 exec_lo, exec_lo, s8
	s_delay_alu instid0(VALU_DEP_1)
	v_xor_b32_e32 v0, 0x80000000, v0
.LBB22_226:                             ;   in Loop: Header=BB22_3 Depth=1
	s_or_b32 exec_lo, exec_lo, s7
	s_and_saveexec_b32 s7, s103
	s_cbranch_execz .LBB22_228
; %bb.227:                              ;   in Loop: Header=BB22_3 Depth=1
	ds_load_b32 v24, v1 offset:3640
	s_wait_dscnt 0x0
	v_mul_f32_e32 v0, v0, v24
	ds_store_b32 v3, v0
.LBB22_228:                             ;   in Loop: Header=BB22_3 Depth=1
	s_or_b32 exec_lo, exec_lo, s7
	s_wait_dscnt 0x0
	s_barrier_signal -1
	s_barrier_wait -1
	s_and_saveexec_b32 s7, s104
	s_cbranch_execz .LBB22_230
; %bb.229:                              ;   in Loop: Header=BB22_3 Depth=1
	ds_load_b32 v24, v1 offset:3644
	ds_load_b32 v25, v3
	s_wait_dscnt 0x0
	v_fmac_f32_e32 v0, v24, v25
.LBB22_230:                             ;   in Loop: Header=BB22_3 Depth=1
	s_or_b32 exec_lo, exec_lo, s7
	s_barrier_signal -1
	s_barrier_wait -1
	s_and_saveexec_b32 s7, s104
	s_cbranch_execz .LBB22_232
; %bb.231:                              ;   in Loop: Header=BB22_3 Depth=1
	ds_load_b32 v24, v1 offset:3900
	s_wait_dscnt 0x0
	v_mul_f32_e32 v0, v0, v24
	ds_store_b32 v3, v0
.LBB22_232:                             ;   in Loop: Header=BB22_3 Depth=1
	s_or_b32 exec_lo, exec_lo, s7
	s_wait_dscnt 0x0
	s_barrier_signal -1
	s_barrier_wait -1
	s_barrier_signal -1
	s_barrier_wait -1
	s_and_saveexec_b32 s7, s0
; %bb.233:                              ;   in Loop: Header=BB22_3 Depth=1
	v_xor_b32_e32 v0, 0x80000000, v0
	ds_store_b32 v30, v0 offset:3128
; %bb.234:                              ;   in Loop: Header=BB22_3 Depth=1
	s_or_b32 exec_lo, exec_lo, s7
	s_wait_dscnt 0x0
	s_barrier_signal -1
	s_barrier_wait -1
	s_barrier_signal -1
	s_barrier_wait -1
	s_and_saveexec_b32 s7, s15
	s_cbranch_execz .LBB22_236
; %bb.235:                              ;   in Loop: Header=BB22_3 Depth=1
	ds_load_b64 v[24:25], v1 offset:3640
	ds_load_b32 v0, v1 offset:3900
	s_wait_dscnt 0x0
	v_mul_f32_e32 v0, v24, v0
	s_delay_alu instid0(VALU_DEP_1)
	v_mul_f32_e32 v0, v25, v0
	ds_store_b32 v1, v0 offset:3644
.LBB22_236:                             ;   in Loop: Header=BB22_3 Depth=1
	s_or_b32 exec_lo, exec_lo, s7
	v_mov_b32_e32 v0, 0
	s_wait_dscnt 0x0
	s_barrier_signal -1
	s_barrier_wait -1
	s_and_saveexec_b32 s69, s3
	s_cbranch_execz .LBB22_264
; %bb.237:                              ;   in Loop: Header=BB22_3 Depth=1
	ds_load_b32 v0, v46 offset:64
	ds_load_b32 v24, v43
	s_wait_dscnt 0x0
	v_fma_f32 v0, v0, v24, 0
	s_mov_b32 s7, exec_lo
	v_readlane_b32 s8, v74, 25
	s_and_b32 s8, s7, s8
	s_delay_alu instid0(SALU_CYCLE_1)
	s_mov_b32 exec_lo, s8
	s_cbranch_execz .LBB22_239
; %bb.238:                              ;   in Loop: Header=BB22_3 Depth=1
	ds_load_b32 v24, v47 offset:320
	ds_load_b32 v25, v43 offset:4
	s_wait_dscnt 0x0
	v_fmac_f32_e32 v0, v24, v25
.LBB22_239:                             ;   in Loop: Header=BB22_3 Depth=1
	s_or_b32 exec_lo, exec_lo, s7
	s_delay_alu instid0(SALU_CYCLE_1) | instskip(SKIP_2) | instid1(SALU_CYCLE_1)
	s_mov_b32 s7, exec_lo
	v_readlane_b32 s8, v74, 26
	s_and_b32 s8, s7, s8
	s_mov_b32 exec_lo, s8
	s_cbranch_execz .LBB22_241
; %bb.240:                              ;   in Loop: Header=BB22_3 Depth=1
	ds_load_b32 v24, v47 offset:576
	ds_load_b32 v25, v43 offset:8
	s_wait_dscnt 0x0
	v_fmac_f32_e32 v0, v24, v25
.LBB22_241:                             ;   in Loop: Header=BB22_3 Depth=1
	s_or_b32 exec_lo, exec_lo, s7
	s_delay_alu instid0(SALU_CYCLE_1) | instskip(SKIP_2) | instid1(SALU_CYCLE_1)
	s_mov_b32 s7, exec_lo
	v_readlane_b32 s8, v74, 27
	s_and_b32 s8, s7, s8
	;; [unrolled: 13-line block ×8, first 2 shown]
	s_mov_b32 exec_lo, s8
	s_cbranch_execz .LBB22_255
; %bb.254:                              ;   in Loop: Header=BB22_3 Depth=1
	ds_load_b32 v24, v47 offset:2368
	ds_load_b32 v25, v43 offset:36
	s_wait_dscnt 0x0
	v_fmac_f32_e32 v0, v24, v25
.LBB22_255:                             ;   in Loop: Header=BB22_3 Depth=1
	s_or_b32 exec_lo, exec_lo, s7
	s_and_saveexec_b32 s7, s10
	s_cbranch_execz .LBB22_257
; %bb.256:                              ;   in Loop: Header=BB22_3 Depth=1
	ds_load_b32 v24, v47 offset:2624
	ds_load_b32 v25, v43 offset:40
	s_wait_dscnt 0x0
	v_fmac_f32_e32 v0, v24, v25
.LBB22_257:                             ;   in Loop: Header=BB22_3 Depth=1
	s_or_b32 exec_lo, exec_lo, s7
	s_delay_alu instid0(SALU_CYCLE_1) | instskip(SKIP_2) | instid1(SALU_CYCLE_1)
	s_mov_b32 s7, exec_lo
	v_readlane_b32 s8, v73, 2
	s_and_b32 s8, s7, s8
	s_mov_b32 exec_lo, s8
	s_cbranch_execnz .LBB22_1154
; %bb.258:                              ;   in Loop: Header=BB22_3 Depth=1
	s_or_b32 exec_lo, exec_lo, s7
	s_and_saveexec_b32 s7, s2
	s_cbranch_execnz .LBB22_1155
.LBB22_259:                             ;   in Loop: Header=BB22_3 Depth=1
	s_or_b32 exec_lo, exec_lo, s7
	s_and_saveexec_b32 s7, s20
	s_cbranch_execnz .LBB22_1156
.LBB22_260:                             ;   in Loop: Header=BB22_3 Depth=1
	s_or_b32 exec_lo, exec_lo, s7
	s_and_saveexec_b32 s7, s22
	s_cbranch_execnz .LBB22_1157
.LBB22_261:                             ;   in Loop: Header=BB22_3 Depth=1
	s_or_b32 exec_lo, exec_lo, s7
	s_and_saveexec_b32 s7, s1
	s_cbranch_execz .LBB22_263
.LBB22_262:                             ;   in Loop: Header=BB22_3 Depth=1
	ds_load_b32 v24, v32 offset:3904
	ds_load_b32 v25, v1 offset:60
	s_wait_dscnt 0x0
	v_fmac_f32_e32 v0, v24, v25
.LBB22_263:                             ;   in Loop: Header=BB22_3 Depth=1
	s_or_b32 exec_lo, exec_lo, s7
	s_delay_alu instid0(VALU_DEP_1)
	v_xor_b32_e32 v0, 0x80000000, v0
.LBB22_264:                             ;   in Loop: Header=BB22_3 Depth=1
	s_or_b32 exec_lo, exec_lo, s69
	s_and_saveexec_b32 s7, s55
	s_cbranch_execz .LBB22_266
; %bb.265:                              ;   in Loop: Header=BB22_3 Depth=1
	ds_load_b32 v24, v1 offset:4160
	s_wait_dscnt 0x0
	v_mul_f32_e32 v0, v0, v24
	ds_store_b32 v45, v0
.LBB22_266:                             ;   in Loop: Header=BB22_3 Depth=1
	s_or_b32 exec_lo, exec_lo, s7
	s_wait_dscnt 0x0
	s_barrier_signal -1
	s_barrier_wait -1
	s_and_saveexec_b32 s7, s56
	s_cbranch_execz .LBB22_268
; %bb.267:                              ;   in Loop: Header=BB22_3 Depth=1
	ds_load_b32 v24, v44 offset:4160
	ds_load_b32 v25, v45
	s_wait_dscnt 0x0
	v_fmac_f32_e32 v0, v24, v25
.LBB22_268:                             ;   in Loop: Header=BB22_3 Depth=1
	s_or_b32 exec_lo, exec_lo, s7
	s_barrier_signal -1
	s_barrier_wait -1
	s_and_saveexec_b32 s7, s57
	s_cbranch_execz .LBB22_270
; %bb.269:                              ;   in Loop: Header=BB22_3 Depth=1
	ds_load_b32 v24, v1 offset:4420
	s_wait_dscnt 0x0
	v_mul_f32_e32 v0, v0, v24
	ds_store_b32 v45, v0
.LBB22_270:                             ;   in Loop: Header=BB22_3 Depth=1
	s_or_b32 exec_lo, exec_lo, s7
	s_wait_dscnt 0x0
	s_barrier_signal -1
	s_barrier_wait -1
	s_and_saveexec_b32 s7, s58
	s_cbranch_execz .LBB22_272
; %bb.271:                              ;   in Loop: Header=BB22_3 Depth=1
	ds_load_b32 v24, v44 offset:4416
	ds_load_b32 v25, v45
	s_wait_dscnt 0x0
	v_fmac_f32_e32 v0, v24, v25
.LBB22_272:                             ;   in Loop: Header=BB22_3 Depth=1
	s_or_b32 exec_lo, exec_lo, s7
	s_barrier_signal -1
	s_barrier_wait -1
	;; [unrolled: 23-line block ×15, first 2 shown]
	s_and_saveexec_b32 s7, s76
	s_cbranch_execz .LBB22_326
; %bb.325:                              ;   in Loop: Header=BB22_3 Depth=1
	ds_load_b32 v24, v1 offset:8060
	s_wait_dscnt 0x0
	v_mul_f32_e32 v0, v0, v24
	ds_store_b32 v45, v0
.LBB22_326:                             ;   in Loop: Header=BB22_3 Depth=1
	s_or_b32 exec_lo, exec_lo, s7
	s_wait_dscnt 0x0
	s_barrier_signal -1
	s_barrier_wait -1
	s_barrier_signal -1
	s_barrier_wait -1
	s_and_saveexec_b32 s7, s3
; %bb.327:                              ;   in Loop: Header=BB22_3 Depth=1
	v_xor_b32_e32 v0, 0x80000000, v0
	ds_store_b32 v46, v0 offset:64
; %bb.328:                              ;   in Loop: Header=BB22_3 Depth=1
	s_or_b32 exec_lo, exec_lo, s7
	s_wait_dscnt 0x0
	s_barrier_signal -1
	s_barrier_wait -1
	s_barrier_signal -1
	s_barrier_wait -1
	s_and_saveexec_b32 s7, s15
	s_cbranch_execz .LBB22_330
; %bb.329:                              ;   in Loop: Header=BB22_3 Depth=1
	ds_load_b64 v[24:25], v1 offset:4160
	ds_load_b32 v0, v1 offset:4420
	s_wait_dscnt 0x0
	v_mul_f32_e32 v0, v24, v0
	s_delay_alu instid0(VALU_DEP_1)
	v_mul_f32_e32 v0, v25, v0
	ds_store_b32 v1, v0 offset:4164
.LBB22_330:                             ;   in Loop: Header=BB22_3 Depth=1
	s_or_b32 exec_lo, exec_lo, s7
	v_mov_b32_e32 v0, 0
	s_wait_dscnt 0x0
	s_barrier_signal -1
	s_barrier_wait -1
	s_and_saveexec_b32 s7, s0
	s_cbranch_execz .LBB22_334
; %bb.331:                              ;   in Loop: Header=BB22_3 Depth=1
	ds_load_b32 v0, v30 offset:4168
	ds_load_b32 v24, v31 offset:4160
	s_wait_dscnt 0x0
	v_fma_f32 v0, v0, v24, 0
	s_and_saveexec_b32 s8, s16
	s_cbranch_execz .LBB22_333
; %bb.332:                              ;   in Loop: Header=BB22_3 Depth=1
	ds_load_b32 v24, v32 offset:4424
	ds_load_b32 v25, v1 offset:4164
	s_wait_dscnt 0x0
	v_fmac_f32_e32 v0, v24, v25
.LBB22_333:                             ;   in Loop: Header=BB22_3 Depth=1
	s_or_b32 exec_lo, exec_lo, s8
	s_delay_alu instid0(VALU_DEP_1)
	v_xor_b32_e32 v0, 0x80000000, v0
.LBB22_334:                             ;   in Loop: Header=BB22_3 Depth=1
	s_or_b32 exec_lo, exec_lo, s7
	s_and_saveexec_b32 s7, s103
	s_cbranch_execz .LBB22_336
; %bb.335:                              ;   in Loop: Header=BB22_3 Depth=1
	ds_load_b32 v24, v1 offset:4680
	s_wait_dscnt 0x0
	v_mul_f32_e32 v0, v0, v24
	ds_store_b32 v3, v0
.LBB22_336:                             ;   in Loop: Header=BB22_3 Depth=1
	s_or_b32 exec_lo, exec_lo, s7
	s_wait_dscnt 0x0
	s_barrier_signal -1
	s_barrier_wait -1
	s_and_saveexec_b32 s7, s104
	s_cbranch_execz .LBB22_338
; %bb.337:                              ;   in Loop: Header=BB22_3 Depth=1
	ds_load_b32 v24, v1 offset:4684
	ds_load_b32 v25, v3
	s_wait_dscnt 0x0
	v_fmac_f32_e32 v0, v24, v25
.LBB22_338:                             ;   in Loop: Header=BB22_3 Depth=1
	s_or_b32 exec_lo, exec_lo, s7
	s_barrier_signal -1
	s_barrier_wait -1
	s_and_saveexec_b32 s7, s104
	s_cbranch_execz .LBB22_340
; %bb.339:                              ;   in Loop: Header=BB22_3 Depth=1
	ds_load_b32 v24, v1 offset:4940
	s_wait_dscnt 0x0
	v_mul_f32_e32 v0, v0, v24
	ds_store_b32 v3, v0
.LBB22_340:                             ;   in Loop: Header=BB22_3 Depth=1
	s_or_b32 exec_lo, exec_lo, s7
	s_wait_dscnt 0x0
	s_barrier_signal -1
	s_barrier_wait -1
	s_barrier_signal -1
	s_barrier_wait -1
	s_and_saveexec_b32 s7, s0
; %bb.341:                              ;   in Loop: Header=BB22_3 Depth=1
	v_xor_b32_e32 v0, 0x80000000, v0
	ds_store_b32 v30, v0 offset:4168
; %bb.342:                              ;   in Loop: Header=BB22_3 Depth=1
	s_or_b32 exec_lo, exec_lo, s7
	s_wait_dscnt 0x0
	s_barrier_signal -1
	s_barrier_wait -1
	s_barrier_signal -1
	s_barrier_wait -1
	s_and_saveexec_b32 s7, s15
	s_cbranch_execz .LBB22_344
; %bb.343:                              ;   in Loop: Header=BB22_3 Depth=1
	ds_load_b64 v[24:25], v1 offset:4680
	ds_load_b32 v0, v1 offset:4940
	s_wait_dscnt 0x0
	v_mul_f32_e32 v0, v24, v0
	s_delay_alu instid0(VALU_DEP_1)
	v_mul_f32_e32 v0, v25, v0
	ds_store_b32 v1, v0 offset:4684
.LBB22_344:                             ;   in Loop: Header=BB22_3 Depth=1
	s_or_b32 exec_lo, exec_lo, s7
	v_mov_b32_e32 v0, 0
	s_wait_dscnt 0x0
	s_barrier_signal -1
	s_barrier_wait -1
	s_and_saveexec_b32 s7, s1
	s_cbranch_execz .LBB22_350
; %bb.345:                              ;   in Loop: Header=BB22_3 Depth=1
	ds_load_b32 v0, v36 offset:4176
	ds_load_b32 v24, v33 offset:4160
	s_wait_dscnt 0x0
	v_fma_f32 v0, v0, v24, 0
	s_and_saveexec_b32 s8, s17
	s_cbranch_execnz .LBB22_1158
; %bb.346:                              ;   in Loop: Header=BB22_3 Depth=1
	s_or_b32 exec_lo, exec_lo, s8
	s_and_saveexec_b32 s8, s18
	s_cbranch_execnz .LBB22_1159
.LBB22_347:                             ;   in Loop: Header=BB22_3 Depth=1
	s_or_b32 exec_lo, exec_lo, s8
	s_and_saveexec_b32 s8, s0
	s_cbranch_execz .LBB22_349
.LBB22_348:                             ;   in Loop: Header=BB22_3 Depth=1
	ds_load_b32 v24, v32 offset:4944
	ds_load_b32 v25, v1 offset:4172
	s_wait_dscnt 0x0
	v_fmac_f32_e32 v0, v24, v25
.LBB22_349:                             ;   in Loop: Header=BB22_3 Depth=1
	s_or_b32 exec_lo, exec_lo, s8
	s_delay_alu instid0(VALU_DEP_1)
	v_xor_b32_e32 v0, 0x80000000, v0
.LBB22_350:                             ;   in Loop: Header=BB22_3 Depth=1
	s_or_b32 exec_lo, exec_lo, s7
	s_and_saveexec_b32 s7, vcc_hi
	s_cbranch_execz .LBB22_352
; %bb.351:                              ;   in Loop: Header=BB22_3 Depth=1
	ds_load_b32 v24, v1 offset:5200
	s_wait_dscnt 0x0
	v_mul_f32_e32 v0, v0, v24
	ds_store_b32 v34, v0
.LBB22_352:                             ;   in Loop: Header=BB22_3 Depth=1
	s_or_b32 exec_lo, exec_lo, s7
	s_wait_dscnt 0x0
	s_barrier_signal -1
	s_barrier_wait -1
	s_and_saveexec_b32 s7, s36
	s_cbranch_execz .LBB22_354
; %bb.353:                              ;   in Loop: Header=BB22_3 Depth=1
	ds_load_b32 v24, v35 offset:5200
	ds_load_b32 v25, v34
	s_wait_dscnt 0x0
	v_fmac_f32_e32 v0, v24, v25
.LBB22_354:                             ;   in Loop: Header=BB22_3 Depth=1
	s_or_b32 exec_lo, exec_lo, s7
	s_barrier_signal -1
	s_barrier_wait -1
	s_and_saveexec_b32 s7, s37
	s_cbranch_execz .LBB22_356
; %bb.355:                              ;   in Loop: Header=BB22_3 Depth=1
	ds_load_b32 v24, v1 offset:5460
	s_wait_dscnt 0x0
	v_mul_f32_e32 v0, v0, v24
	ds_store_b32 v34, v0
.LBB22_356:                             ;   in Loop: Header=BB22_3 Depth=1
	s_or_b32 exec_lo, exec_lo, s7
	s_wait_dscnt 0x0
	s_barrier_signal -1
	s_barrier_wait -1
	s_and_saveexec_b32 s7, s38
	s_cbranch_execz .LBB22_358
; %bb.357:                              ;   in Loop: Header=BB22_3 Depth=1
	ds_load_b32 v24, v35 offset:5456
	ds_load_b32 v25, v34
	s_wait_dscnt 0x0
	v_fmac_f32_e32 v0, v24, v25
.LBB22_358:                             ;   in Loop: Header=BB22_3 Depth=1
	s_or_b32 exec_lo, exec_lo, s7
	s_barrier_signal -1
	s_barrier_wait -1
	s_and_saveexec_b32 s7, s39
	;; [unrolled: 23-line block ×3, first 2 shown]
	s_cbranch_execz .LBB22_364
; %bb.363:                              ;   in Loop: Header=BB22_3 Depth=1
	ds_load_b32 v24, v1 offset:5980
	s_wait_dscnt 0x0
	v_mul_f32_e32 v0, v0, v24
	ds_store_b32 v34, v0
.LBB22_364:                             ;   in Loop: Header=BB22_3 Depth=1
	s_or_b32 exec_lo, exec_lo, s7
	s_wait_dscnt 0x0
	s_barrier_signal -1
	s_barrier_wait -1
	s_barrier_signal -1
	s_barrier_wait -1
	s_and_saveexec_b32 s7, s1
; %bb.365:                              ;   in Loop: Header=BB22_3 Depth=1
	v_xor_b32_e32 v0, 0x80000000, v0
	ds_store_b32 v36, v0 offset:4176
; %bb.366:                              ;   in Loop: Header=BB22_3 Depth=1
	s_or_b32 exec_lo, exec_lo, s7
	s_wait_dscnt 0x0
	s_barrier_signal -1
	s_barrier_wait -1
	s_barrier_signal -1
	s_barrier_wait -1
	s_and_saveexec_b32 s7, s15
	s_cbranch_execz .LBB22_368
; %bb.367:                              ;   in Loop: Header=BB22_3 Depth=1
	ds_load_b64 v[24:25], v1 offset:5200
	ds_load_b32 v0, v1 offset:5460
	s_wait_dscnt 0x0
	v_mul_f32_e32 v0, v24, v0
	s_delay_alu instid0(VALU_DEP_1)
	v_mul_f32_e32 v0, v25, v0
	ds_store_b32 v1, v0 offset:5204
.LBB22_368:                             ;   in Loop: Header=BB22_3 Depth=1
	s_or_b32 exec_lo, exec_lo, s7
	v_mov_b32_e32 v0, 0
	s_wait_dscnt 0x0
	s_barrier_signal -1
	s_barrier_wait -1
	s_and_saveexec_b32 s7, s0
	s_cbranch_execz .LBB22_372
; %bb.369:                              ;   in Loop: Header=BB22_3 Depth=1
	ds_load_b32 v0, v30 offset:5208
	ds_load_b32 v24, v31 offset:5200
	s_wait_dscnt 0x0
	v_fma_f32 v0, v0, v24, 0
	s_and_saveexec_b32 s8, s16
	s_cbranch_execz .LBB22_371
; %bb.370:                              ;   in Loop: Header=BB22_3 Depth=1
	ds_load_b32 v24, v32 offset:5464
	ds_load_b32 v25, v1 offset:5204
	s_wait_dscnt 0x0
	v_fmac_f32_e32 v0, v24, v25
.LBB22_371:                             ;   in Loop: Header=BB22_3 Depth=1
	s_or_b32 exec_lo, exec_lo, s8
	s_delay_alu instid0(VALU_DEP_1)
	v_xor_b32_e32 v0, 0x80000000, v0
.LBB22_372:                             ;   in Loop: Header=BB22_3 Depth=1
	s_or_b32 exec_lo, exec_lo, s7
	s_and_saveexec_b32 s7, s103
	s_cbranch_execz .LBB22_374
; %bb.373:                              ;   in Loop: Header=BB22_3 Depth=1
	ds_load_b32 v24, v1 offset:5720
	s_wait_dscnt 0x0
	v_mul_f32_e32 v0, v0, v24
	ds_store_b32 v3, v0
.LBB22_374:                             ;   in Loop: Header=BB22_3 Depth=1
	s_or_b32 exec_lo, exec_lo, s7
	s_wait_dscnt 0x0
	s_barrier_signal -1
	s_barrier_wait -1
	s_and_saveexec_b32 s7, s104
	s_cbranch_execz .LBB22_376
; %bb.375:                              ;   in Loop: Header=BB22_3 Depth=1
	ds_load_b32 v24, v1 offset:5724
	ds_load_b32 v25, v3
	s_wait_dscnt 0x0
	v_fmac_f32_e32 v0, v24, v25
.LBB22_376:                             ;   in Loop: Header=BB22_3 Depth=1
	s_or_b32 exec_lo, exec_lo, s7
	s_barrier_signal -1
	s_barrier_wait -1
	s_and_saveexec_b32 s7, s104
	s_cbranch_execz .LBB22_378
; %bb.377:                              ;   in Loop: Header=BB22_3 Depth=1
	ds_load_b32 v24, v1 offset:5980
	s_wait_dscnt 0x0
	v_mul_f32_e32 v0, v0, v24
	ds_store_b32 v3, v0
.LBB22_378:                             ;   in Loop: Header=BB22_3 Depth=1
	s_or_b32 exec_lo, exec_lo, s7
	s_wait_dscnt 0x0
	s_barrier_signal -1
	s_barrier_wait -1
	s_barrier_signal -1
	s_barrier_wait -1
	s_and_saveexec_b32 s7, s0
; %bb.379:                              ;   in Loop: Header=BB22_3 Depth=1
	v_xor_b32_e32 v0, 0x80000000, v0
	ds_store_b32 v30, v0 offset:5208
; %bb.380:                              ;   in Loop: Header=BB22_3 Depth=1
	s_or_b32 exec_lo, exec_lo, s7
	s_wait_dscnt 0x0
	s_barrier_signal -1
	s_barrier_wait -1
	s_barrier_signal -1
	s_barrier_wait -1
	s_and_saveexec_b32 s7, s15
	s_cbranch_execz .LBB22_382
; %bb.381:                              ;   in Loop: Header=BB22_3 Depth=1
	ds_load_b64 v[24:25], v1 offset:5720
	ds_load_b32 v0, v1 offset:5980
	s_wait_dscnt 0x0
	v_mul_f32_e32 v0, v24, v0
	s_delay_alu instid0(VALU_DEP_1)
	v_mul_f32_e32 v0, v25, v0
	ds_store_b32 v1, v0 offset:5724
.LBB22_382:                             ;   in Loop: Header=BB22_3 Depth=1
	s_or_b32 exec_lo, exec_lo, s7
	v_mov_b32_e32 v0, 0
	s_wait_dscnt 0x0
	s_barrier_signal -1
	s_barrier_wait -1
	s_and_saveexec_b32 s7, s2
	s_cbranch_execz .LBB22_392
; %bb.383:                              ;   in Loop: Header=BB22_3 Depth=1
	ds_load_b32 v0, v41 offset:4192
	ds_load_b32 v24, v38 offset:4160
	s_wait_dscnt 0x0
	v_fma_f32 v0, v0, v24, 0
	s_and_saveexec_b32 s8, s19
	s_cbranch_execnz .LBB22_1160
; %bb.384:                              ;   in Loop: Header=BB22_3 Depth=1
	s_or_b32 exec_lo, exec_lo, s8
	s_and_saveexec_b32 s8, s20
	s_cbranch_execnz .LBB22_1161
.LBB22_385:                             ;   in Loop: Header=BB22_3 Depth=1
	s_or_b32 exec_lo, exec_lo, s8
	s_and_saveexec_b32 s8, s21
	s_cbranch_execnz .LBB22_1162
.LBB22_386:                             ;   in Loop: Header=BB22_3 Depth=1
	s_or_b32 exec_lo, exec_lo, s8
	s_and_saveexec_b32 s8, s22
	s_cbranch_execnz .LBB22_1163
.LBB22_387:                             ;   in Loop: Header=BB22_3 Depth=1
	s_or_b32 exec_lo, exec_lo, s8
	s_and_saveexec_b32 s8, s23
	s_cbranch_execnz .LBB22_1164
.LBB22_388:                             ;   in Loop: Header=BB22_3 Depth=1
	s_or_b32 exec_lo, exec_lo, s8
	s_and_saveexec_b32 s8, s1
	s_cbranch_execnz .LBB22_1165
.LBB22_389:                             ;   in Loop: Header=BB22_3 Depth=1
	s_or_b32 exec_lo, exec_lo, s8
	s_and_saveexec_b32 s8, s18
	s_cbranch_execz .LBB22_391
.LBB22_390:                             ;   in Loop: Header=BB22_3 Depth=1
	ds_load_b32 v24, v32 offset:5984
	ds_load_b32 v25, v1 offset:4188
	s_wait_dscnt 0x0
	v_fmac_f32_e32 v0, v24, v25
.LBB22_391:                             ;   in Loop: Header=BB22_3 Depth=1
	s_or_b32 exec_lo, exec_lo, s8
	s_delay_alu instid0(VALU_DEP_1)
	v_xor_b32_e32 v0, 0x80000000, v0
.LBB22_392:                             ;   in Loop: Header=BB22_3 Depth=1
	s_or_b32 exec_lo, exec_lo, s7
	s_and_saveexec_b32 s7, s41
	s_cbranch_execz .LBB22_394
; %bb.393:                              ;   in Loop: Header=BB22_3 Depth=1
	ds_load_b32 v24, v1 offset:6240
	s_wait_dscnt 0x0
	v_mul_f32_e32 v0, v0, v24
	ds_store_b32 v40, v0
.LBB22_394:                             ;   in Loop: Header=BB22_3 Depth=1
	s_or_b32 exec_lo, exec_lo, s7
	s_wait_dscnt 0x0
	s_barrier_signal -1
	s_barrier_wait -1
	s_and_saveexec_b32 s7, s42
	s_cbranch_execz .LBB22_396
; %bb.395:                              ;   in Loop: Header=BB22_3 Depth=1
	ds_load_b32 v24, v39 offset:6240
	ds_load_b32 v25, v40
	s_wait_dscnt 0x0
	v_fmac_f32_e32 v0, v24, v25
.LBB22_396:                             ;   in Loop: Header=BB22_3 Depth=1
	s_or_b32 exec_lo, exec_lo, s7
	s_barrier_signal -1
	s_barrier_wait -1
	s_and_saveexec_b32 s7, s43
	s_cbranch_execz .LBB22_398
; %bb.397:                              ;   in Loop: Header=BB22_3 Depth=1
	ds_load_b32 v24, v1 offset:6500
	s_wait_dscnt 0x0
	v_mul_f32_e32 v0, v0, v24
	ds_store_b32 v40, v0
.LBB22_398:                             ;   in Loop: Header=BB22_3 Depth=1
	s_or_b32 exec_lo, exec_lo, s7
	s_wait_dscnt 0x0
	s_barrier_signal -1
	s_barrier_wait -1
	s_and_saveexec_b32 s7, s44
	s_cbranch_execz .LBB22_400
; %bb.399:                              ;   in Loop: Header=BB22_3 Depth=1
	ds_load_b32 v24, v39 offset:6496
	ds_load_b32 v25, v40
	s_wait_dscnt 0x0
	v_fmac_f32_e32 v0, v24, v25
.LBB22_400:                             ;   in Loop: Header=BB22_3 Depth=1
	s_or_b32 exec_lo, exec_lo, s7
	s_barrier_signal -1
	s_barrier_wait -1
	;; [unrolled: 23-line block ×7, first 2 shown]
	s_and_saveexec_b32 s7, s54
	s_cbranch_execz .LBB22_422
; %bb.421:                              ;   in Loop: Header=BB22_3 Depth=1
	ds_load_b32 v24, v1 offset:8060
	s_wait_dscnt 0x0
	v_mul_f32_e32 v0, v0, v24
	ds_store_b32 v40, v0
.LBB22_422:                             ;   in Loop: Header=BB22_3 Depth=1
	s_or_b32 exec_lo, exec_lo, s7
	s_wait_dscnt 0x0
	s_barrier_signal -1
	s_barrier_wait -1
	s_barrier_signal -1
	s_barrier_wait -1
	s_and_saveexec_b32 s7, s2
; %bb.423:                              ;   in Loop: Header=BB22_3 Depth=1
	v_xor_b32_e32 v0, 0x80000000, v0
	ds_store_b32 v41, v0 offset:4192
; %bb.424:                              ;   in Loop: Header=BB22_3 Depth=1
	s_or_b32 exec_lo, exec_lo, s7
	s_wait_dscnt 0x0
	s_barrier_signal -1
	s_barrier_wait -1
	s_barrier_signal -1
	s_barrier_wait -1
	s_and_saveexec_b32 s7, s15
	s_cbranch_execz .LBB22_426
; %bb.425:                              ;   in Loop: Header=BB22_3 Depth=1
	ds_load_b64 v[24:25], v1 offset:6240
	ds_load_b32 v0, v1 offset:6500
	s_wait_dscnt 0x0
	v_mul_f32_e32 v0, v24, v0
	s_delay_alu instid0(VALU_DEP_1)
	v_mul_f32_e32 v0, v25, v0
	ds_store_b32 v1, v0 offset:6244
.LBB22_426:                             ;   in Loop: Header=BB22_3 Depth=1
	s_or_b32 exec_lo, exec_lo, s7
	v_mov_b32_e32 v0, 0
	s_wait_dscnt 0x0
	s_barrier_signal -1
	s_barrier_wait -1
	s_and_saveexec_b32 s7, s0
	s_cbranch_execz .LBB22_430
; %bb.427:                              ;   in Loop: Header=BB22_3 Depth=1
	ds_load_b32 v0, v30 offset:6248
	ds_load_b32 v24, v31 offset:6240
	s_wait_dscnt 0x0
	v_fma_f32 v0, v0, v24, 0
	s_and_saveexec_b32 s8, s16
	s_cbranch_execz .LBB22_429
; %bb.428:                              ;   in Loop: Header=BB22_3 Depth=1
	ds_load_b32 v24, v32 offset:6504
	ds_load_b32 v25, v1 offset:6244
	s_wait_dscnt 0x0
	v_fmac_f32_e32 v0, v24, v25
.LBB22_429:                             ;   in Loop: Header=BB22_3 Depth=1
	s_or_b32 exec_lo, exec_lo, s8
	s_delay_alu instid0(VALU_DEP_1)
	v_xor_b32_e32 v0, 0x80000000, v0
.LBB22_430:                             ;   in Loop: Header=BB22_3 Depth=1
	s_or_b32 exec_lo, exec_lo, s7
	s_and_saveexec_b32 s7, s103
	s_cbranch_execz .LBB22_432
; %bb.431:                              ;   in Loop: Header=BB22_3 Depth=1
	ds_load_b32 v24, v1 offset:6760
	s_wait_dscnt 0x0
	v_mul_f32_e32 v0, v0, v24
	ds_store_b32 v3, v0
.LBB22_432:                             ;   in Loop: Header=BB22_3 Depth=1
	s_or_b32 exec_lo, exec_lo, s7
	s_wait_dscnt 0x0
	s_barrier_signal -1
	s_barrier_wait -1
	s_and_saveexec_b32 s7, s104
	s_cbranch_execz .LBB22_434
; %bb.433:                              ;   in Loop: Header=BB22_3 Depth=1
	ds_load_b32 v24, v1 offset:6764
	ds_load_b32 v25, v3
	s_wait_dscnt 0x0
	v_fmac_f32_e32 v0, v24, v25
.LBB22_434:                             ;   in Loop: Header=BB22_3 Depth=1
	s_or_b32 exec_lo, exec_lo, s7
	s_barrier_signal -1
	s_barrier_wait -1
	s_and_saveexec_b32 s7, s104
	s_cbranch_execz .LBB22_436
; %bb.435:                              ;   in Loop: Header=BB22_3 Depth=1
	ds_load_b32 v24, v1 offset:7020
	s_wait_dscnt 0x0
	v_mul_f32_e32 v0, v0, v24
	ds_store_b32 v3, v0
.LBB22_436:                             ;   in Loop: Header=BB22_3 Depth=1
	s_or_b32 exec_lo, exec_lo, s7
	s_wait_dscnt 0x0
	s_barrier_signal -1
	s_barrier_wait -1
	s_barrier_signal -1
	s_barrier_wait -1
	s_and_saveexec_b32 s7, s0
; %bb.437:                              ;   in Loop: Header=BB22_3 Depth=1
	v_xor_b32_e32 v0, 0x80000000, v0
	ds_store_b32 v30, v0 offset:6248
; %bb.438:                              ;   in Loop: Header=BB22_3 Depth=1
	s_or_b32 exec_lo, exec_lo, s7
	s_wait_dscnt 0x0
	s_barrier_signal -1
	s_barrier_wait -1
	s_barrier_signal -1
	s_barrier_wait -1
	s_and_saveexec_b32 s7, s15
	s_cbranch_execz .LBB22_440
; %bb.439:                              ;   in Loop: Header=BB22_3 Depth=1
	ds_load_b64 v[24:25], v1 offset:6760
	ds_load_b32 v0, v1 offset:7020
	s_wait_dscnt 0x0
	v_mul_f32_e32 v0, v24, v0
	s_delay_alu instid0(VALU_DEP_1)
	v_mul_f32_e32 v0, v25, v0
	ds_store_b32 v1, v0 offset:6764
.LBB22_440:                             ;   in Loop: Header=BB22_3 Depth=1
	s_or_b32 exec_lo, exec_lo, s7
	v_mov_b32_e32 v0, 0
	s_wait_dscnt 0x0
	s_barrier_signal -1
	s_barrier_wait -1
	s_and_saveexec_b32 s7, s1
	s_cbranch_execz .LBB22_446
; %bb.441:                              ;   in Loop: Header=BB22_3 Depth=1
	ds_load_b32 v0, v36 offset:6256
	ds_load_b32 v24, v33 offset:6240
	s_wait_dscnt 0x0
	v_fma_f32 v0, v0, v24, 0
	s_and_saveexec_b32 s8, s17
	s_cbranch_execnz .LBB22_1166
; %bb.442:                              ;   in Loop: Header=BB22_3 Depth=1
	s_or_b32 exec_lo, exec_lo, s8
	s_and_saveexec_b32 s8, s18
	s_cbranch_execnz .LBB22_1167
.LBB22_443:                             ;   in Loop: Header=BB22_3 Depth=1
	s_or_b32 exec_lo, exec_lo, s8
	s_and_saveexec_b32 s8, s0
	s_cbranch_execz .LBB22_445
.LBB22_444:                             ;   in Loop: Header=BB22_3 Depth=1
	ds_load_b32 v24, v32 offset:7024
	ds_load_b32 v25, v1 offset:6252
	s_wait_dscnt 0x0
	v_fmac_f32_e32 v0, v24, v25
.LBB22_445:                             ;   in Loop: Header=BB22_3 Depth=1
	s_or_b32 exec_lo, exec_lo, s8
	s_delay_alu instid0(VALU_DEP_1)
	v_xor_b32_e32 v0, 0x80000000, v0
.LBB22_446:                             ;   in Loop: Header=BB22_3 Depth=1
	s_or_b32 exec_lo, exec_lo, s7
	s_and_saveexec_b32 s7, vcc_hi
	s_cbranch_execz .LBB22_448
; %bb.447:                              ;   in Loop: Header=BB22_3 Depth=1
	ds_load_b32 v24, v1 offset:7280
	s_wait_dscnt 0x0
	v_mul_f32_e32 v0, v0, v24
	ds_store_b32 v34, v0
.LBB22_448:                             ;   in Loop: Header=BB22_3 Depth=1
	s_or_b32 exec_lo, exec_lo, s7
	s_wait_dscnt 0x0
	s_barrier_signal -1
	s_barrier_wait -1
	s_and_saveexec_b32 s7, s36
	s_cbranch_execz .LBB22_450
; %bb.449:                              ;   in Loop: Header=BB22_3 Depth=1
	ds_load_b32 v24, v35 offset:7280
	ds_load_b32 v25, v34
	s_wait_dscnt 0x0
	v_fmac_f32_e32 v0, v24, v25
.LBB22_450:                             ;   in Loop: Header=BB22_3 Depth=1
	s_or_b32 exec_lo, exec_lo, s7
	s_barrier_signal -1
	s_barrier_wait -1
	s_and_saveexec_b32 s7, s37
	s_cbranch_execz .LBB22_452
; %bb.451:                              ;   in Loop: Header=BB22_3 Depth=1
	ds_load_b32 v24, v1 offset:7540
	s_wait_dscnt 0x0
	v_mul_f32_e32 v0, v0, v24
	ds_store_b32 v34, v0
.LBB22_452:                             ;   in Loop: Header=BB22_3 Depth=1
	s_or_b32 exec_lo, exec_lo, s7
	s_wait_dscnt 0x0
	s_barrier_signal -1
	s_barrier_wait -1
	s_and_saveexec_b32 s7, s38
	s_cbranch_execz .LBB22_454
; %bb.453:                              ;   in Loop: Header=BB22_3 Depth=1
	ds_load_b32 v24, v35 offset:7536
	ds_load_b32 v25, v34
	s_wait_dscnt 0x0
	v_fmac_f32_e32 v0, v24, v25
.LBB22_454:                             ;   in Loop: Header=BB22_3 Depth=1
	s_or_b32 exec_lo, exec_lo, s7
	s_barrier_signal -1
	s_barrier_wait -1
	s_and_saveexec_b32 s7, s39
	;; [unrolled: 23-line block ×3, first 2 shown]
	s_cbranch_execz .LBB22_460
; %bb.459:                              ;   in Loop: Header=BB22_3 Depth=1
	ds_load_b32 v24, v1 offset:8060
	s_wait_dscnt 0x0
	v_mul_f32_e32 v0, v0, v24
	ds_store_b32 v34, v0
.LBB22_460:                             ;   in Loop: Header=BB22_3 Depth=1
	s_or_b32 exec_lo, exec_lo, s7
	s_wait_dscnt 0x0
	s_barrier_signal -1
	s_barrier_wait -1
	s_barrier_signal -1
	s_barrier_wait -1
	s_and_saveexec_b32 s7, s1
; %bb.461:                              ;   in Loop: Header=BB22_3 Depth=1
	v_xor_b32_e32 v0, 0x80000000, v0
	ds_store_b32 v36, v0 offset:6256
; %bb.462:                              ;   in Loop: Header=BB22_3 Depth=1
	s_or_b32 exec_lo, exec_lo, s7
	s_wait_dscnt 0x0
	s_barrier_signal -1
	s_barrier_wait -1
	s_barrier_signal -1
	s_barrier_wait -1
	s_and_saveexec_b32 s7, s15
	s_cbranch_execz .LBB22_464
; %bb.463:                              ;   in Loop: Header=BB22_3 Depth=1
	ds_load_b64 v[24:25], v1 offset:7280
	ds_load_b32 v0, v1 offset:7540
	s_wait_dscnt 0x0
	v_mul_f32_e32 v0, v24, v0
	s_delay_alu instid0(VALU_DEP_1)
	v_mul_f32_e32 v0, v25, v0
	ds_store_b32 v1, v0 offset:7284
.LBB22_464:                             ;   in Loop: Header=BB22_3 Depth=1
	s_or_b32 exec_lo, exec_lo, s7
	v_mov_b32_e32 v0, 0
	s_wait_dscnt 0x0
	s_barrier_signal -1
	s_barrier_wait -1
	s_and_saveexec_b32 s7, s0
	s_cbranch_execz .LBB22_468
; %bb.465:                              ;   in Loop: Header=BB22_3 Depth=1
	ds_load_b32 v0, v30 offset:7288
	ds_load_b32 v24, v31 offset:7280
	s_wait_dscnt 0x0
	v_fma_f32 v0, v0, v24, 0
	s_and_saveexec_b32 s8, s16
	s_cbranch_execz .LBB22_467
; %bb.466:                              ;   in Loop: Header=BB22_3 Depth=1
	ds_load_b32 v24, v32 offset:7544
	ds_load_b32 v25, v1 offset:7284
	s_wait_dscnt 0x0
	v_fmac_f32_e32 v0, v24, v25
.LBB22_467:                             ;   in Loop: Header=BB22_3 Depth=1
	s_or_b32 exec_lo, exec_lo, s8
	s_delay_alu instid0(VALU_DEP_1)
	v_xor_b32_e32 v0, 0x80000000, v0
.LBB22_468:                             ;   in Loop: Header=BB22_3 Depth=1
	s_or_b32 exec_lo, exec_lo, s7
	s_and_saveexec_b32 s7, s103
	s_cbranch_execz .LBB22_470
; %bb.469:                              ;   in Loop: Header=BB22_3 Depth=1
	ds_load_b32 v24, v1 offset:7800
	s_wait_dscnt 0x0
	v_mul_f32_e32 v0, v0, v24
	ds_store_b32 v3, v0
.LBB22_470:                             ;   in Loop: Header=BB22_3 Depth=1
	s_or_b32 exec_lo, exec_lo, s7
	s_wait_dscnt 0x0
	s_barrier_signal -1
	s_barrier_wait -1
	s_and_saveexec_b32 s7, s104
	s_cbranch_execz .LBB22_472
; %bb.471:                              ;   in Loop: Header=BB22_3 Depth=1
	ds_load_b32 v24, v1 offset:7804
	ds_load_b32 v25, v3
	s_wait_dscnt 0x0
	v_fmac_f32_e32 v0, v24, v25
.LBB22_472:                             ;   in Loop: Header=BB22_3 Depth=1
	s_or_b32 exec_lo, exec_lo, s7
	s_barrier_signal -1
	s_barrier_wait -1
	s_and_saveexec_b32 s7, s104
	s_cbranch_execz .LBB22_474
; %bb.473:                              ;   in Loop: Header=BB22_3 Depth=1
	ds_load_b32 v24, v1 offset:8060
	s_wait_dscnt 0x0
	v_mul_f32_e32 v0, v0, v24
	ds_store_b32 v3, v0
.LBB22_474:                             ;   in Loop: Header=BB22_3 Depth=1
	s_or_b32 exec_lo, exec_lo, s7
	s_wait_dscnt 0x0
	s_barrier_signal -1
	s_barrier_wait -1
	s_barrier_signal -1
	s_barrier_wait -1
	s_and_saveexec_b32 s7, s0
; %bb.475:                              ;   in Loop: Header=BB22_3 Depth=1
	v_xor_b32_e32 v0, 0x80000000, v0
	ds_store_b32 v30, v0 offset:7288
; %bb.476:                              ;   in Loop: Header=BB22_3 Depth=1
	s_or_b32 exec_lo, exec_lo, s7
	s_wait_dscnt 0x0
	s_barrier_signal -1
	s_barrier_wait -1
	s_barrier_signal -1
	s_barrier_wait -1
	s_and_saveexec_b32 s7, s15
	s_cbranch_execz .LBB22_478
; %bb.477:                              ;   in Loop: Header=BB22_3 Depth=1
	ds_load_b64 v[24:25], v1 offset:7800
	ds_load_b32 v0, v1 offset:8060
	s_wait_dscnt 0x0
	v_mul_f32_e32 v0, v24, v0
	s_delay_alu instid0(VALU_DEP_1)
	v_mul_f32_e32 v0, v25, v0
	ds_store_b32 v1, v0 offset:7804
.LBB22_478:                             ;   in Loop: Header=BB22_3 Depth=1
	s_or_b32 exec_lo, exec_lo, s7
	v_mov_b32_e32 v0, 0
	s_wait_dscnt 0x0
	s_barrier_signal -1
	s_barrier_wait -1
	s_and_saveexec_b32 s69, s4
	s_cbranch_execz .LBB22_539
; %bb.479:                              ;   in Loop: Header=BB22_3 Depth=1
	v_add_nc_u32_e32 v24, v50, v48
	ds_load_b32 v0, v52 offset:128
	ds_load_b32 v25, v24
	s_wait_dscnt 0x0
	v_fma_f32 v0, v0, v25, 0
	s_mov_b32 s7, exec_lo
	v_readlane_b32 s8, v73, 3
	s_and_b32 s8, s7, s8
	s_delay_alu instid0(SALU_CYCLE_1)
	s_mov_b32 exec_lo, s8
	s_cbranch_execz .LBB22_481
; %bb.480:                              ;   in Loop: Header=BB22_3 Depth=1
	ds_load_b32 v25, v52 offset:384
	ds_load_b32 v26, v24 offset:4
	s_wait_dscnt 0x0
	v_fmac_f32_e32 v0, v25, v26
.LBB22_481:                             ;   in Loop: Header=BB22_3 Depth=1
	s_or_b32 exec_lo, exec_lo, s7
	s_delay_alu instid0(SALU_CYCLE_1) | instskip(SKIP_2) | instid1(SALU_CYCLE_1)
	s_mov_b32 s7, exec_lo
	v_readlane_b32 s8, v73, 4
	s_and_b32 s8, s7, s8
	s_mov_b32 exec_lo, s8
	s_cbranch_execz .LBB22_483
; %bb.482:                              ;   in Loop: Header=BB22_3 Depth=1
	ds_load_b32 v25, v52 offset:640
	ds_load_b32 v26, v24 offset:8
	s_wait_dscnt 0x0
	v_fmac_f32_e32 v0, v25, v26
.LBB22_483:                             ;   in Loop: Header=BB22_3 Depth=1
	s_or_b32 exec_lo, exec_lo, s7
	s_delay_alu instid0(SALU_CYCLE_1) | instskip(SKIP_2) | instid1(SALU_CYCLE_1)
	s_mov_b32 s7, exec_lo
	v_readlane_b32 s8, v73, 5
	s_and_b32 s8, s7, s8
	;; [unrolled: 13-line block ×22, first 2 shown]
	s_mov_b32 exec_lo, s8
	s_cbranch_execz .LBB22_525
; %bb.524:                              ;   in Loop: Header=BB22_3 Depth=1
	ds_load_b32 v25, v52 offset:6016
	ds_load_b32 v26, v24 offset:92
	s_wait_dscnt 0x0
	v_fmac_f32_e32 v0, v25, v26
.LBB22_525:                             ;   in Loop: Header=BB22_3 Depth=1
	s_or_b32 exec_lo, exec_lo, s7
	s_and_saveexec_b32 s7, s3
	s_cbranch_execz .LBB22_527
; %bb.526:                              ;   in Loop: Header=BB22_3 Depth=1
	ds_load_b32 v25, v52 offset:6272
	ds_load_b32 v26, v24 offset:96
	s_wait_dscnt 0x0
	v_fmac_f32_e32 v0, v25, v26
.LBB22_527:                             ;   in Loop: Header=BB22_3 Depth=1
	s_or_b32 exec_lo, exec_lo, s7
	s_delay_alu instid0(SALU_CYCLE_1) | instskip(SKIP_2) | instid1(SALU_CYCLE_1)
	s_mov_b32 s7, exec_lo
	v_readlane_b32 s8, v74, 26
	s_and_b32 s8, s7, s8
	s_mov_b32 exec_lo, s8
	s_cbranch_execz .LBB22_529
; %bb.528:                              ;   in Loop: Header=BB22_3 Depth=1
	ds_load_b32 v25, v52 offset:6528
	ds_load_b32 v26, v24 offset:100
	s_wait_dscnt 0x0
	v_fmac_f32_e32 v0, v25, v26
.LBB22_529:                             ;   in Loop: Header=BB22_3 Depth=1
	s_or_b32 exec_lo, exec_lo, s7
	s_delay_alu instid0(SALU_CYCLE_1) | instskip(SKIP_2) | instid1(SALU_CYCLE_1)
	s_mov_b32 s7, exec_lo
	v_readlane_b32 s8, v74, 28
	s_and_b32 s8, s7, s8
	s_mov_b32 exec_lo, s8
	s_cbranch_execz .LBB22_531
; %bb.530:                              ;   in Loop: Header=BB22_3 Depth=1
	ds_load_b32 v25, v52 offset:6784
	ds_load_b32 v26, v24 offset:104
	s_wait_dscnt 0x0
	v_fmac_f32_e32 v0, v25, v26
.LBB22_531:                             ;   in Loop: Header=BB22_3 Depth=1
	s_or_b32 exec_lo, exec_lo, s7
	s_delay_alu instid0(SALU_CYCLE_1) | instskip(SKIP_2) | instid1(SALU_CYCLE_1)
	s_mov_b32 s7, exec_lo
	v_readlane_b32 s8, v74, 30
	s_and_b32 s8, s7, s8
	s_mov_b32 exec_lo, s8
	s_cbranch_execz .LBB22_533
; %bb.532:                              ;   in Loop: Header=BB22_3 Depth=1
	ds_load_b32 v25, v52 offset:7040
	ds_load_b32 v26, v24 offset:108
	s_wait_dscnt 0x0
	v_fmac_f32_e32 v0, v25, v26
.LBB22_533:                             ;   in Loop: Header=BB22_3 Depth=1
	s_or_b32 exec_lo, exec_lo, s7
	s_delay_alu instid0(SALU_CYCLE_1) | instskip(SKIP_2) | instid1(SALU_CYCLE_1)
	s_mov_b32 s7, exec_lo
	v_readlane_b32 s8, v73, 0
	s_and_b32 s8, s7, s8
	s_mov_b32 exec_lo, s8
	s_cbranch_execnz .LBB22_1168
; %bb.534:                              ;   in Loop: Header=BB22_3 Depth=1
	s_or_b32 exec_lo, exec_lo, s7
	s_and_saveexec_b32 s7, s10
	s_cbranch_execnz .LBB22_1169
.LBB22_535:                             ;   in Loop: Header=BB22_3 Depth=1
	s_or_b32 exec_lo, exec_lo, s7
	s_and_saveexec_b32 s7, s2
	s_cbranch_execnz .LBB22_1170
.LBB22_536:                             ;   in Loop: Header=BB22_3 Depth=1
	s_or_b32 exec_lo, exec_lo, s7
	s_and_saveexec_b32 s7, s22
	s_cbranch_execz .LBB22_538
.LBB22_537:                             ;   in Loop: Header=BB22_3 Depth=1
	ds_load_b32 v24, v32 offset:8064
	ds_load_b32 v25, v1 offset:124
	s_wait_dscnt 0x0
	v_fmac_f32_e32 v0, v24, v25
.LBB22_538:                             ;   in Loop: Header=BB22_3 Depth=1
	s_or_b32 exec_lo, exec_lo, s7
	s_delay_alu instid0(VALU_DEP_1)
	v_xor_b32_e32 v0, 0x80000000, v0
.LBB22_539:                             ;   in Loop: Header=BB22_3 Depth=1
	s_or_b32 exec_lo, exec_lo, s69
	s_delay_alu instid0(SALU_CYCLE_1) | instskip(SKIP_2) | instid1(SALU_CYCLE_1)
	s_mov_b32 s7, exec_lo
	v_readlane_b32 s8, v76, 6
	s_and_b32 s8, s7, s8
	s_mov_b32 exec_lo, s8
	s_cbranch_execz .LBB22_541
; %bb.540:                              ;   in Loop: Header=BB22_3 Depth=1
	ds_load_b32 v24, v1 offset:8320
	s_wait_dscnt 0x0
	v_mul_f32_e32 v0, v0, v24
	ds_store_b32 v49, v0
.LBB22_541:                             ;   in Loop: Header=BB22_3 Depth=1
	s_or_b32 exec_lo, exec_lo, s7
	s_wait_dscnt 0x0
	s_barrier_signal -1
	s_barrier_wait -1
	s_mov_b32 s7, exec_lo
	v_readlane_b32 s8, v76, 7
	s_and_b32 s8, s7, s8
	s_delay_alu instid0(SALU_CYCLE_1)
	s_mov_b32 exec_lo, s8
	s_cbranch_execz .LBB22_543
; %bb.542:                              ;   in Loop: Header=BB22_3 Depth=1
	ds_load_b32 v24, v51 offset:8320
	ds_load_b32 v25, v49
	s_wait_dscnt 0x0
	v_fmac_f32_e32 v0, v24, v25
.LBB22_543:                             ;   in Loop: Header=BB22_3 Depth=1
	s_or_b32 exec_lo, exec_lo, s7
	s_barrier_signal -1
	s_barrier_wait -1
	s_mov_b32 s7, exec_lo
	v_readlane_b32 s8, v76, 8
	s_and_b32 s8, s7, s8
	s_delay_alu instid0(SALU_CYCLE_1)
	s_mov_b32 exec_lo, s8
	s_cbranch_execz .LBB22_545
; %bb.544:                              ;   in Loop: Header=BB22_3 Depth=1
	ds_load_b32 v24, v1 offset:8580
	s_wait_dscnt 0x0
	v_mul_f32_e32 v0, v0, v24
	ds_store_b32 v49, v0
.LBB22_545:                             ;   in Loop: Header=BB22_3 Depth=1
	s_or_b32 exec_lo, exec_lo, s7
	s_wait_dscnt 0x0
	s_barrier_signal -1
	s_barrier_wait -1
	s_mov_b32 s7, exec_lo
	v_readlane_b32 s8, v76, 9
	s_and_b32 s8, s7, s8
	s_delay_alu instid0(SALU_CYCLE_1)
	s_mov_b32 exec_lo, s8
	s_cbranch_execz .LBB22_547
; %bb.546:                              ;   in Loop: Header=BB22_3 Depth=1
	ds_load_b32 v24, v51 offset:8576
	ds_load_b32 v25, v49
	s_wait_dscnt 0x0
	v_fmac_f32_e32 v0, v24, v25
.LBB22_547:                             ;   in Loop: Header=BB22_3 Depth=1
	s_or_b32 exec_lo, exec_lo, s7
	s_barrier_signal -1
	s_barrier_wait -1
	s_mov_b32 s7, exec_lo
	v_readlane_b32 s8, v76, 10
	s_and_b32 s8, s7, s8
	s_delay_alu instid0(SALU_CYCLE_1)
	;; [unrolled: 31-line block ×30, first 2 shown]
	s_mov_b32 exec_lo, s8
	s_cbranch_execz .LBB22_661
; %bb.660:                              ;   in Loop: Header=BB22_3 Depth=1
	ds_load_b32 v24, v1 offset:16120
	s_wait_dscnt 0x0
	v_mul_f32_e32 v0, v0, v24
	ds_store_b32 v49, v0
.LBB22_661:                             ;   in Loop: Header=BB22_3 Depth=1
	s_or_b32 exec_lo, exec_lo, s7
	s_wait_dscnt 0x0
	s_barrier_signal -1
	s_barrier_wait -1
	s_and_saveexec_b32 s7, s77
	s_cbranch_execz .LBB22_663
; %bb.662:                              ;   in Loop: Header=BB22_3 Depth=1
	ds_load_b32 v24, v1 offset:16124
	ds_load_b32 v25, v49
	s_wait_dscnt 0x0
	v_fmac_f32_e32 v0, v24, v25
.LBB22_663:                             ;   in Loop: Header=BB22_3 Depth=1
	s_or_b32 exec_lo, exec_lo, s7
	s_barrier_signal -1
	s_barrier_wait -1
	s_and_saveexec_b32 s7, s77
	s_cbranch_execz .LBB22_665
; %bb.664:                              ;   in Loop: Header=BB22_3 Depth=1
	ds_load_b32 v24, v1 offset:16380
	s_wait_dscnt 0x0
	v_mul_f32_e32 v0, v0, v24
	ds_store_b32 v49, v0
.LBB22_665:                             ;   in Loop: Header=BB22_3 Depth=1
	s_or_b32 exec_lo, exec_lo, s7
	s_wait_dscnt 0x0
	s_barrier_signal -1
	s_barrier_wait -1
	s_barrier_signal -1
	s_barrier_wait -1
	s_and_saveexec_b32 s7, s4
; %bb.666:                              ;   in Loop: Header=BB22_3 Depth=1
	v_xor_b32_e32 v0, 0x80000000, v0
	ds_store_b32 v52, v0 offset:128
; %bb.667:                              ;   in Loop: Header=BB22_3 Depth=1
	s_or_b32 exec_lo, exec_lo, s7
	s_wait_dscnt 0x0
	s_barrier_signal -1
	s_barrier_wait -1
	s_barrier_signal -1
	s_barrier_wait -1
	s_and_saveexec_b32 s7, s15
	s_cbranch_execz .LBB22_669
; %bb.668:                              ;   in Loop: Header=BB22_3 Depth=1
	ds_load_b64 v[24:25], v1 offset:8320
	ds_load_b32 v0, v1 offset:8580
	s_wait_dscnt 0x0
	v_mul_f32_e32 v0, v24, v0
	s_delay_alu instid0(VALU_DEP_1)
	v_mul_f32_e32 v0, v25, v0
	ds_store_b32 v1, v0 offset:8324
.LBB22_669:                             ;   in Loop: Header=BB22_3 Depth=1
	s_or_b32 exec_lo, exec_lo, s7
	v_mov_b32_e32 v0, 0
	s_wait_dscnt 0x0
	s_barrier_signal -1
	s_barrier_wait -1
	s_and_saveexec_b32 s7, s0
	s_cbranch_execz .LBB22_673
; %bb.670:                              ;   in Loop: Header=BB22_3 Depth=1
	ds_load_b32 v0, v30 offset:8328
	ds_load_b32 v24, v31 offset:8320
	s_wait_dscnt 0x0
	v_fma_f32 v0, v0, v24, 0
	s_and_saveexec_b32 s8, s16
	s_cbranch_execz .LBB22_672
; %bb.671:                              ;   in Loop: Header=BB22_3 Depth=1
	ds_load_b32 v24, v32 offset:8584
	ds_load_b32 v25, v1 offset:8324
	s_wait_dscnt 0x0
	v_fmac_f32_e32 v0, v24, v25
.LBB22_672:                             ;   in Loop: Header=BB22_3 Depth=1
	s_or_b32 exec_lo, exec_lo, s8
	s_delay_alu instid0(VALU_DEP_1)
	v_xor_b32_e32 v0, 0x80000000, v0
.LBB22_673:                             ;   in Loop: Header=BB22_3 Depth=1
	s_or_b32 exec_lo, exec_lo, s7
	s_and_saveexec_b32 s7, s103
	s_cbranch_execz .LBB22_675
; %bb.674:                              ;   in Loop: Header=BB22_3 Depth=1
	ds_load_b32 v24, v1 offset:8840
	s_wait_dscnt 0x0
	v_mul_f32_e32 v0, v0, v24
	ds_store_b32 v3, v0
.LBB22_675:                             ;   in Loop: Header=BB22_3 Depth=1
	s_or_b32 exec_lo, exec_lo, s7
	s_wait_dscnt 0x0
	s_barrier_signal -1
	s_barrier_wait -1
	s_and_saveexec_b32 s7, s104
	s_cbranch_execz .LBB22_677
; %bb.676:                              ;   in Loop: Header=BB22_3 Depth=1
	ds_load_b32 v24, v1 offset:8844
	ds_load_b32 v25, v3
	s_wait_dscnt 0x0
	v_fmac_f32_e32 v0, v24, v25
.LBB22_677:                             ;   in Loop: Header=BB22_3 Depth=1
	s_or_b32 exec_lo, exec_lo, s7
	s_barrier_signal -1
	s_barrier_wait -1
	s_and_saveexec_b32 s7, s104
	s_cbranch_execz .LBB22_679
; %bb.678:                              ;   in Loop: Header=BB22_3 Depth=1
	ds_load_b32 v24, v1 offset:9100
	s_wait_dscnt 0x0
	v_mul_f32_e32 v0, v0, v24
	ds_store_b32 v3, v0
.LBB22_679:                             ;   in Loop: Header=BB22_3 Depth=1
	s_or_b32 exec_lo, exec_lo, s7
	s_wait_dscnt 0x0
	s_barrier_signal -1
	s_barrier_wait -1
	s_barrier_signal -1
	s_barrier_wait -1
	s_and_saveexec_b32 s7, s0
; %bb.680:                              ;   in Loop: Header=BB22_3 Depth=1
	v_xor_b32_e32 v0, 0x80000000, v0
	ds_store_b32 v30, v0 offset:8328
; %bb.681:                              ;   in Loop: Header=BB22_3 Depth=1
	s_or_b32 exec_lo, exec_lo, s7
	s_wait_dscnt 0x0
	s_barrier_signal -1
	s_barrier_wait -1
	s_barrier_signal -1
	s_barrier_wait -1
	s_and_saveexec_b32 s7, s15
	s_cbranch_execz .LBB22_683
; %bb.682:                              ;   in Loop: Header=BB22_3 Depth=1
	ds_load_b64 v[24:25], v1 offset:8840
	ds_load_b32 v0, v1 offset:9100
	s_wait_dscnt 0x0
	v_mul_f32_e32 v0, v24, v0
	s_delay_alu instid0(VALU_DEP_1)
	v_mul_f32_e32 v0, v25, v0
	ds_store_b32 v1, v0 offset:8844
.LBB22_683:                             ;   in Loop: Header=BB22_3 Depth=1
	s_or_b32 exec_lo, exec_lo, s7
	v_mov_b32_e32 v0, 0
	s_wait_dscnt 0x0
	s_barrier_signal -1
	s_barrier_wait -1
	s_and_saveexec_b32 s7, s1
	s_cbranch_execz .LBB22_689
; %bb.684:                              ;   in Loop: Header=BB22_3 Depth=1
	ds_load_b32 v0, v36 offset:8336
	ds_load_b32 v24, v33 offset:8320
	s_wait_dscnt 0x0
	v_fma_f32 v0, v0, v24, 0
	s_and_saveexec_b32 s8, s17
	s_cbranch_execnz .LBB22_1171
; %bb.685:                              ;   in Loop: Header=BB22_3 Depth=1
	s_or_b32 exec_lo, exec_lo, s8
	s_and_saveexec_b32 s8, s18
	s_cbranch_execnz .LBB22_1172
.LBB22_686:                             ;   in Loop: Header=BB22_3 Depth=1
	s_or_b32 exec_lo, exec_lo, s8
	s_and_saveexec_b32 s8, s0
	s_cbranch_execz .LBB22_688
.LBB22_687:                             ;   in Loop: Header=BB22_3 Depth=1
	ds_load_b32 v24, v32 offset:9104
	ds_load_b32 v25, v1 offset:8332
	s_wait_dscnt 0x0
	v_fmac_f32_e32 v0, v24, v25
.LBB22_688:                             ;   in Loop: Header=BB22_3 Depth=1
	s_or_b32 exec_lo, exec_lo, s8
	s_delay_alu instid0(VALU_DEP_1)
	v_xor_b32_e32 v0, 0x80000000, v0
.LBB22_689:                             ;   in Loop: Header=BB22_3 Depth=1
	s_or_b32 exec_lo, exec_lo, s7
	s_and_saveexec_b32 s7, vcc_hi
	s_cbranch_execz .LBB22_691
; %bb.690:                              ;   in Loop: Header=BB22_3 Depth=1
	ds_load_b32 v24, v1 offset:9360
	s_wait_dscnt 0x0
	v_mul_f32_e32 v0, v0, v24
	ds_store_b32 v34, v0
.LBB22_691:                             ;   in Loop: Header=BB22_3 Depth=1
	s_or_b32 exec_lo, exec_lo, s7
	s_wait_dscnt 0x0
	s_barrier_signal -1
	s_barrier_wait -1
	s_and_saveexec_b32 s7, s36
	s_cbranch_execz .LBB22_693
; %bb.692:                              ;   in Loop: Header=BB22_3 Depth=1
	ds_load_b32 v24, v35 offset:9360
	ds_load_b32 v25, v34
	s_wait_dscnt 0x0
	v_fmac_f32_e32 v0, v24, v25
.LBB22_693:                             ;   in Loop: Header=BB22_3 Depth=1
	s_or_b32 exec_lo, exec_lo, s7
	s_barrier_signal -1
	s_barrier_wait -1
	s_and_saveexec_b32 s7, s37
	s_cbranch_execz .LBB22_695
; %bb.694:                              ;   in Loop: Header=BB22_3 Depth=1
	ds_load_b32 v24, v1 offset:9620
	s_wait_dscnt 0x0
	v_mul_f32_e32 v0, v0, v24
	ds_store_b32 v34, v0
.LBB22_695:                             ;   in Loop: Header=BB22_3 Depth=1
	s_or_b32 exec_lo, exec_lo, s7
	s_wait_dscnt 0x0
	s_barrier_signal -1
	s_barrier_wait -1
	s_and_saveexec_b32 s7, s38
	s_cbranch_execz .LBB22_697
; %bb.696:                              ;   in Loop: Header=BB22_3 Depth=1
	ds_load_b32 v24, v35 offset:9616
	ds_load_b32 v25, v34
	s_wait_dscnt 0x0
	v_fmac_f32_e32 v0, v24, v25
.LBB22_697:                             ;   in Loop: Header=BB22_3 Depth=1
	s_or_b32 exec_lo, exec_lo, s7
	s_barrier_signal -1
	s_barrier_wait -1
	s_and_saveexec_b32 s7, s39
	;; [unrolled: 23-line block ×3, first 2 shown]
	s_cbranch_execz .LBB22_703
; %bb.702:                              ;   in Loop: Header=BB22_3 Depth=1
	ds_load_b32 v24, v1 offset:10140
	s_wait_dscnt 0x0
	v_mul_f32_e32 v0, v0, v24
	ds_store_b32 v34, v0
.LBB22_703:                             ;   in Loop: Header=BB22_3 Depth=1
	s_or_b32 exec_lo, exec_lo, s7
	s_wait_dscnt 0x0
	s_barrier_signal -1
	s_barrier_wait -1
	s_barrier_signal -1
	s_barrier_wait -1
	s_and_saveexec_b32 s7, s1
; %bb.704:                              ;   in Loop: Header=BB22_3 Depth=1
	v_xor_b32_e32 v0, 0x80000000, v0
	ds_store_b32 v36, v0 offset:8336
; %bb.705:                              ;   in Loop: Header=BB22_3 Depth=1
	s_or_b32 exec_lo, exec_lo, s7
	s_wait_dscnt 0x0
	s_barrier_signal -1
	s_barrier_wait -1
	s_barrier_signal -1
	s_barrier_wait -1
	s_and_saveexec_b32 s7, s15
	s_cbranch_execz .LBB22_707
; %bb.706:                              ;   in Loop: Header=BB22_3 Depth=1
	ds_load_b64 v[24:25], v1 offset:9360
	ds_load_b32 v0, v1 offset:9620
	s_wait_dscnt 0x0
	v_mul_f32_e32 v0, v24, v0
	s_delay_alu instid0(VALU_DEP_1)
	v_mul_f32_e32 v0, v25, v0
	ds_store_b32 v1, v0 offset:9364
.LBB22_707:                             ;   in Loop: Header=BB22_3 Depth=1
	s_or_b32 exec_lo, exec_lo, s7
	v_mov_b32_e32 v0, 0
	s_wait_dscnt 0x0
	s_barrier_signal -1
	s_barrier_wait -1
	s_and_saveexec_b32 s7, s0
	s_cbranch_execz .LBB22_711
; %bb.708:                              ;   in Loop: Header=BB22_3 Depth=1
	ds_load_b32 v0, v30 offset:9368
	ds_load_b32 v24, v31 offset:9360
	s_wait_dscnt 0x0
	v_fma_f32 v0, v0, v24, 0
	s_and_saveexec_b32 s8, s16
	s_cbranch_execz .LBB22_710
; %bb.709:                              ;   in Loop: Header=BB22_3 Depth=1
	ds_load_b32 v24, v32 offset:9624
	ds_load_b32 v25, v1 offset:9364
	s_wait_dscnt 0x0
	v_fmac_f32_e32 v0, v24, v25
.LBB22_710:                             ;   in Loop: Header=BB22_3 Depth=1
	s_or_b32 exec_lo, exec_lo, s8
	s_delay_alu instid0(VALU_DEP_1)
	v_xor_b32_e32 v0, 0x80000000, v0
.LBB22_711:                             ;   in Loop: Header=BB22_3 Depth=1
	s_or_b32 exec_lo, exec_lo, s7
	s_and_saveexec_b32 s7, s103
	s_cbranch_execz .LBB22_713
; %bb.712:                              ;   in Loop: Header=BB22_3 Depth=1
	ds_load_b32 v24, v1 offset:9880
	s_wait_dscnt 0x0
	v_mul_f32_e32 v0, v0, v24
	ds_store_b32 v3, v0
.LBB22_713:                             ;   in Loop: Header=BB22_3 Depth=1
	s_or_b32 exec_lo, exec_lo, s7
	s_wait_dscnt 0x0
	s_barrier_signal -1
	s_barrier_wait -1
	s_and_saveexec_b32 s7, s104
	s_cbranch_execz .LBB22_715
; %bb.714:                              ;   in Loop: Header=BB22_3 Depth=1
	ds_load_b32 v24, v1 offset:9884
	ds_load_b32 v25, v3
	s_wait_dscnt 0x0
	v_fmac_f32_e32 v0, v24, v25
.LBB22_715:                             ;   in Loop: Header=BB22_3 Depth=1
	s_or_b32 exec_lo, exec_lo, s7
	s_barrier_signal -1
	s_barrier_wait -1
	s_and_saveexec_b32 s7, s104
	s_cbranch_execz .LBB22_717
; %bb.716:                              ;   in Loop: Header=BB22_3 Depth=1
	ds_load_b32 v24, v1 offset:10140
	s_wait_dscnt 0x0
	v_mul_f32_e32 v0, v0, v24
	ds_store_b32 v3, v0
.LBB22_717:                             ;   in Loop: Header=BB22_3 Depth=1
	s_or_b32 exec_lo, exec_lo, s7
	s_wait_dscnt 0x0
	s_barrier_signal -1
	s_barrier_wait -1
	s_barrier_signal -1
	s_barrier_wait -1
	s_and_saveexec_b32 s7, s0
; %bb.718:                              ;   in Loop: Header=BB22_3 Depth=1
	v_xor_b32_e32 v0, 0x80000000, v0
	ds_store_b32 v30, v0 offset:9368
; %bb.719:                              ;   in Loop: Header=BB22_3 Depth=1
	s_or_b32 exec_lo, exec_lo, s7
	s_wait_dscnt 0x0
	s_barrier_signal -1
	s_barrier_wait -1
	s_barrier_signal -1
	s_barrier_wait -1
	s_and_saveexec_b32 s7, s15
	s_cbranch_execz .LBB22_721
; %bb.720:                              ;   in Loop: Header=BB22_3 Depth=1
	ds_load_b64 v[24:25], v1 offset:9880
	ds_load_b32 v0, v1 offset:10140
	s_wait_dscnt 0x0
	v_mul_f32_e32 v0, v24, v0
	s_delay_alu instid0(VALU_DEP_1)
	v_mul_f32_e32 v0, v25, v0
	ds_store_b32 v1, v0 offset:9884
.LBB22_721:                             ;   in Loop: Header=BB22_3 Depth=1
	s_or_b32 exec_lo, exec_lo, s7
	v_mov_b32_e32 v0, 0
	s_wait_dscnt 0x0
	s_barrier_signal -1
	s_barrier_wait -1
	s_and_saveexec_b32 s7, s2
	s_cbranch_execz .LBB22_731
; %bb.722:                              ;   in Loop: Header=BB22_3 Depth=1
	ds_load_b32 v0, v41 offset:8352
	ds_load_b32 v24, v38 offset:8320
	s_wait_dscnt 0x0
	v_fma_f32 v0, v0, v24, 0
	s_and_saveexec_b32 s8, s19
	s_cbranch_execnz .LBB22_1173
; %bb.723:                              ;   in Loop: Header=BB22_3 Depth=1
	s_or_b32 exec_lo, exec_lo, s8
	s_and_saveexec_b32 s8, s20
	s_cbranch_execnz .LBB22_1174
.LBB22_724:                             ;   in Loop: Header=BB22_3 Depth=1
	s_or_b32 exec_lo, exec_lo, s8
	s_and_saveexec_b32 s8, s21
	s_cbranch_execnz .LBB22_1175
.LBB22_725:                             ;   in Loop: Header=BB22_3 Depth=1
	s_or_b32 exec_lo, exec_lo, s8
	s_and_saveexec_b32 s8, s22
	s_cbranch_execnz .LBB22_1176
.LBB22_726:                             ;   in Loop: Header=BB22_3 Depth=1
	s_or_b32 exec_lo, exec_lo, s8
	s_and_saveexec_b32 s8, s23
	s_cbranch_execnz .LBB22_1177
.LBB22_727:                             ;   in Loop: Header=BB22_3 Depth=1
	s_or_b32 exec_lo, exec_lo, s8
	s_and_saveexec_b32 s8, s1
	s_cbranch_execnz .LBB22_1178
.LBB22_728:                             ;   in Loop: Header=BB22_3 Depth=1
	s_or_b32 exec_lo, exec_lo, s8
	s_and_saveexec_b32 s8, s18
	s_cbranch_execz .LBB22_730
.LBB22_729:                             ;   in Loop: Header=BB22_3 Depth=1
	ds_load_b32 v24, v32 offset:10144
	ds_load_b32 v25, v1 offset:8348
	s_wait_dscnt 0x0
	v_fmac_f32_e32 v0, v24, v25
.LBB22_730:                             ;   in Loop: Header=BB22_3 Depth=1
	s_or_b32 exec_lo, exec_lo, s8
	s_delay_alu instid0(VALU_DEP_1)
	v_xor_b32_e32 v0, 0x80000000, v0
.LBB22_731:                             ;   in Loop: Header=BB22_3 Depth=1
	s_or_b32 exec_lo, exec_lo, s7
	s_and_saveexec_b32 s7, s41
	s_cbranch_execz .LBB22_733
; %bb.732:                              ;   in Loop: Header=BB22_3 Depth=1
	ds_load_b32 v24, v1 offset:10400
	s_wait_dscnt 0x0
	v_mul_f32_e32 v0, v0, v24
	ds_store_b32 v40, v0
.LBB22_733:                             ;   in Loop: Header=BB22_3 Depth=1
	s_or_b32 exec_lo, exec_lo, s7
	s_wait_dscnt 0x0
	s_barrier_signal -1
	s_barrier_wait -1
	s_and_saveexec_b32 s7, s42
	s_cbranch_execz .LBB22_735
; %bb.734:                              ;   in Loop: Header=BB22_3 Depth=1
	ds_load_b32 v24, v39 offset:10400
	ds_load_b32 v25, v40
	s_wait_dscnt 0x0
	v_fmac_f32_e32 v0, v24, v25
.LBB22_735:                             ;   in Loop: Header=BB22_3 Depth=1
	s_or_b32 exec_lo, exec_lo, s7
	s_barrier_signal -1
	s_barrier_wait -1
	s_and_saveexec_b32 s7, s43
	s_cbranch_execz .LBB22_737
; %bb.736:                              ;   in Loop: Header=BB22_3 Depth=1
	ds_load_b32 v24, v1 offset:10660
	s_wait_dscnt 0x0
	v_mul_f32_e32 v0, v0, v24
	ds_store_b32 v40, v0
.LBB22_737:                             ;   in Loop: Header=BB22_3 Depth=1
	s_or_b32 exec_lo, exec_lo, s7
	s_wait_dscnt 0x0
	s_barrier_signal -1
	s_barrier_wait -1
	s_and_saveexec_b32 s7, s44
	s_cbranch_execz .LBB22_739
; %bb.738:                              ;   in Loop: Header=BB22_3 Depth=1
	ds_load_b32 v24, v39 offset:10656
	ds_load_b32 v25, v40
	s_wait_dscnt 0x0
	v_fmac_f32_e32 v0, v24, v25
.LBB22_739:                             ;   in Loop: Header=BB22_3 Depth=1
	s_or_b32 exec_lo, exec_lo, s7
	s_barrier_signal -1
	s_barrier_wait -1
	;; [unrolled: 23-line block ×7, first 2 shown]
	s_and_saveexec_b32 s7, s54
	s_cbranch_execz .LBB22_761
; %bb.760:                              ;   in Loop: Header=BB22_3 Depth=1
	ds_load_b32 v24, v1 offset:12220
	s_wait_dscnt 0x0
	v_mul_f32_e32 v0, v0, v24
	ds_store_b32 v40, v0
.LBB22_761:                             ;   in Loop: Header=BB22_3 Depth=1
	s_or_b32 exec_lo, exec_lo, s7
	s_wait_dscnt 0x0
	s_barrier_signal -1
	s_barrier_wait -1
	s_barrier_signal -1
	s_barrier_wait -1
	s_and_saveexec_b32 s7, s2
; %bb.762:                              ;   in Loop: Header=BB22_3 Depth=1
	v_xor_b32_e32 v0, 0x80000000, v0
	ds_store_b32 v41, v0 offset:8352
; %bb.763:                              ;   in Loop: Header=BB22_3 Depth=1
	s_or_b32 exec_lo, exec_lo, s7
	s_wait_dscnt 0x0
	s_barrier_signal -1
	s_barrier_wait -1
	s_barrier_signal -1
	s_barrier_wait -1
	s_and_saveexec_b32 s7, s15
	s_cbranch_execz .LBB22_765
; %bb.764:                              ;   in Loop: Header=BB22_3 Depth=1
	ds_load_b64 v[24:25], v1 offset:10400
	ds_load_b32 v0, v1 offset:10660
	s_wait_dscnt 0x0
	v_mul_f32_e32 v0, v24, v0
	s_delay_alu instid0(VALU_DEP_1)
	v_mul_f32_e32 v0, v25, v0
	ds_store_b32 v1, v0 offset:10404
.LBB22_765:                             ;   in Loop: Header=BB22_3 Depth=1
	s_or_b32 exec_lo, exec_lo, s7
	v_mov_b32_e32 v0, 0
	s_wait_dscnt 0x0
	s_barrier_signal -1
	s_barrier_wait -1
	s_and_saveexec_b32 s7, s0
	s_cbranch_execz .LBB22_769
; %bb.766:                              ;   in Loop: Header=BB22_3 Depth=1
	ds_load_b32 v0, v30 offset:10408
	ds_load_b32 v24, v31 offset:10400
	s_wait_dscnt 0x0
	v_fma_f32 v0, v0, v24, 0
	s_and_saveexec_b32 s8, s16
	s_cbranch_execz .LBB22_768
; %bb.767:                              ;   in Loop: Header=BB22_3 Depth=1
	ds_load_b32 v24, v32 offset:10664
	ds_load_b32 v25, v1 offset:10404
	s_wait_dscnt 0x0
	v_fmac_f32_e32 v0, v24, v25
.LBB22_768:                             ;   in Loop: Header=BB22_3 Depth=1
	s_or_b32 exec_lo, exec_lo, s8
	s_delay_alu instid0(VALU_DEP_1)
	v_xor_b32_e32 v0, 0x80000000, v0
.LBB22_769:                             ;   in Loop: Header=BB22_3 Depth=1
	s_or_b32 exec_lo, exec_lo, s7
	s_and_saveexec_b32 s7, s103
	s_cbranch_execz .LBB22_771
; %bb.770:                              ;   in Loop: Header=BB22_3 Depth=1
	ds_load_b32 v24, v1 offset:10920
	s_wait_dscnt 0x0
	v_mul_f32_e32 v0, v0, v24
	ds_store_b32 v3, v0
.LBB22_771:                             ;   in Loop: Header=BB22_3 Depth=1
	s_or_b32 exec_lo, exec_lo, s7
	s_wait_dscnt 0x0
	s_barrier_signal -1
	s_barrier_wait -1
	s_and_saveexec_b32 s7, s104
	s_cbranch_execz .LBB22_773
; %bb.772:                              ;   in Loop: Header=BB22_3 Depth=1
	ds_load_b32 v24, v1 offset:10924
	ds_load_b32 v25, v3
	s_wait_dscnt 0x0
	v_fmac_f32_e32 v0, v24, v25
.LBB22_773:                             ;   in Loop: Header=BB22_3 Depth=1
	s_or_b32 exec_lo, exec_lo, s7
	s_barrier_signal -1
	s_barrier_wait -1
	s_and_saveexec_b32 s7, s104
	s_cbranch_execz .LBB22_775
; %bb.774:                              ;   in Loop: Header=BB22_3 Depth=1
	ds_load_b32 v24, v1 offset:11180
	s_wait_dscnt 0x0
	v_mul_f32_e32 v0, v0, v24
	ds_store_b32 v3, v0
.LBB22_775:                             ;   in Loop: Header=BB22_3 Depth=1
	s_or_b32 exec_lo, exec_lo, s7
	s_wait_dscnt 0x0
	s_barrier_signal -1
	s_barrier_wait -1
	s_barrier_signal -1
	s_barrier_wait -1
	s_and_saveexec_b32 s7, s0
; %bb.776:                              ;   in Loop: Header=BB22_3 Depth=1
	v_xor_b32_e32 v0, 0x80000000, v0
	ds_store_b32 v30, v0 offset:10408
; %bb.777:                              ;   in Loop: Header=BB22_3 Depth=1
	s_or_b32 exec_lo, exec_lo, s7
	s_wait_dscnt 0x0
	s_barrier_signal -1
	s_barrier_wait -1
	s_barrier_signal -1
	s_barrier_wait -1
	s_and_saveexec_b32 s7, s15
	s_cbranch_execz .LBB22_779
; %bb.778:                              ;   in Loop: Header=BB22_3 Depth=1
	ds_load_b64 v[24:25], v1 offset:10920
	ds_load_b32 v0, v1 offset:11180
	s_wait_dscnt 0x0
	v_mul_f32_e32 v0, v24, v0
	s_delay_alu instid0(VALU_DEP_1)
	v_mul_f32_e32 v0, v25, v0
	ds_store_b32 v1, v0 offset:10924
.LBB22_779:                             ;   in Loop: Header=BB22_3 Depth=1
	s_or_b32 exec_lo, exec_lo, s7
	v_mov_b32_e32 v0, 0
	s_wait_dscnt 0x0
	s_barrier_signal -1
	s_barrier_wait -1
	s_and_saveexec_b32 s7, s1
	s_cbranch_execz .LBB22_785
; %bb.780:                              ;   in Loop: Header=BB22_3 Depth=1
	ds_load_b32 v0, v36 offset:10416
	ds_load_b32 v24, v33 offset:10400
	s_wait_dscnt 0x0
	v_fma_f32 v0, v0, v24, 0
	s_and_saveexec_b32 s8, s17
	s_cbranch_execnz .LBB22_1179
; %bb.781:                              ;   in Loop: Header=BB22_3 Depth=1
	s_or_b32 exec_lo, exec_lo, s8
	s_and_saveexec_b32 s8, s18
	s_cbranch_execnz .LBB22_1180
.LBB22_782:                             ;   in Loop: Header=BB22_3 Depth=1
	s_or_b32 exec_lo, exec_lo, s8
	s_and_saveexec_b32 s8, s0
	s_cbranch_execz .LBB22_784
.LBB22_783:                             ;   in Loop: Header=BB22_3 Depth=1
	ds_load_b32 v24, v32 offset:11184
	ds_load_b32 v25, v1 offset:10412
	s_wait_dscnt 0x0
	v_fmac_f32_e32 v0, v24, v25
.LBB22_784:                             ;   in Loop: Header=BB22_3 Depth=1
	s_or_b32 exec_lo, exec_lo, s8
	s_delay_alu instid0(VALU_DEP_1)
	v_xor_b32_e32 v0, 0x80000000, v0
.LBB22_785:                             ;   in Loop: Header=BB22_3 Depth=1
	s_or_b32 exec_lo, exec_lo, s7
	s_and_saveexec_b32 s7, vcc_hi
	s_cbranch_execz .LBB22_787
; %bb.786:                              ;   in Loop: Header=BB22_3 Depth=1
	ds_load_b32 v24, v1 offset:11440
	s_wait_dscnt 0x0
	v_mul_f32_e32 v0, v0, v24
	ds_store_b32 v34, v0
.LBB22_787:                             ;   in Loop: Header=BB22_3 Depth=1
	s_or_b32 exec_lo, exec_lo, s7
	s_wait_dscnt 0x0
	s_barrier_signal -1
	s_barrier_wait -1
	s_and_saveexec_b32 s7, s36
	s_cbranch_execz .LBB22_789
; %bb.788:                              ;   in Loop: Header=BB22_3 Depth=1
	ds_load_b32 v24, v35 offset:11440
	ds_load_b32 v25, v34
	s_wait_dscnt 0x0
	v_fmac_f32_e32 v0, v24, v25
.LBB22_789:                             ;   in Loop: Header=BB22_3 Depth=1
	s_or_b32 exec_lo, exec_lo, s7
	s_barrier_signal -1
	s_barrier_wait -1
	s_and_saveexec_b32 s7, s37
	s_cbranch_execz .LBB22_791
; %bb.790:                              ;   in Loop: Header=BB22_3 Depth=1
	ds_load_b32 v24, v1 offset:11700
	s_wait_dscnt 0x0
	v_mul_f32_e32 v0, v0, v24
	ds_store_b32 v34, v0
.LBB22_791:                             ;   in Loop: Header=BB22_3 Depth=1
	s_or_b32 exec_lo, exec_lo, s7
	s_wait_dscnt 0x0
	s_barrier_signal -1
	s_barrier_wait -1
	s_and_saveexec_b32 s7, s38
	s_cbranch_execz .LBB22_793
; %bb.792:                              ;   in Loop: Header=BB22_3 Depth=1
	ds_load_b32 v24, v35 offset:11696
	ds_load_b32 v25, v34
	s_wait_dscnt 0x0
	v_fmac_f32_e32 v0, v24, v25
.LBB22_793:                             ;   in Loop: Header=BB22_3 Depth=1
	s_or_b32 exec_lo, exec_lo, s7
	s_barrier_signal -1
	s_barrier_wait -1
	s_and_saveexec_b32 s7, s39
	;; [unrolled: 23-line block ×3, first 2 shown]
	s_cbranch_execz .LBB22_799
; %bb.798:                              ;   in Loop: Header=BB22_3 Depth=1
	ds_load_b32 v24, v1 offset:12220
	s_wait_dscnt 0x0
	v_mul_f32_e32 v0, v0, v24
	ds_store_b32 v34, v0
.LBB22_799:                             ;   in Loop: Header=BB22_3 Depth=1
	s_or_b32 exec_lo, exec_lo, s7
	s_wait_dscnt 0x0
	s_barrier_signal -1
	s_barrier_wait -1
	s_barrier_signal -1
	s_barrier_wait -1
	s_and_saveexec_b32 s7, s1
; %bb.800:                              ;   in Loop: Header=BB22_3 Depth=1
	v_xor_b32_e32 v0, 0x80000000, v0
	ds_store_b32 v36, v0 offset:10416
; %bb.801:                              ;   in Loop: Header=BB22_3 Depth=1
	s_or_b32 exec_lo, exec_lo, s7
	s_wait_dscnt 0x0
	s_barrier_signal -1
	s_barrier_wait -1
	s_barrier_signal -1
	s_barrier_wait -1
	s_and_saveexec_b32 s7, s15
	s_cbranch_execz .LBB22_803
; %bb.802:                              ;   in Loop: Header=BB22_3 Depth=1
	ds_load_b64 v[24:25], v1 offset:11440
	ds_load_b32 v0, v1 offset:11700
	s_wait_dscnt 0x0
	v_mul_f32_e32 v0, v24, v0
	s_delay_alu instid0(VALU_DEP_1)
	v_mul_f32_e32 v0, v25, v0
	ds_store_b32 v1, v0 offset:11444
.LBB22_803:                             ;   in Loop: Header=BB22_3 Depth=1
	s_or_b32 exec_lo, exec_lo, s7
	v_mov_b32_e32 v0, 0
	s_wait_dscnt 0x0
	s_barrier_signal -1
	s_barrier_wait -1
	s_and_saveexec_b32 s7, s0
	s_cbranch_execz .LBB22_807
; %bb.804:                              ;   in Loop: Header=BB22_3 Depth=1
	ds_load_b32 v0, v30 offset:11448
	ds_load_b32 v24, v31 offset:11440
	s_wait_dscnt 0x0
	v_fma_f32 v0, v0, v24, 0
	s_and_saveexec_b32 s8, s16
	s_cbranch_execz .LBB22_806
; %bb.805:                              ;   in Loop: Header=BB22_3 Depth=1
	ds_load_b32 v24, v32 offset:11704
	ds_load_b32 v25, v1 offset:11444
	s_wait_dscnt 0x0
	v_fmac_f32_e32 v0, v24, v25
.LBB22_806:                             ;   in Loop: Header=BB22_3 Depth=1
	s_or_b32 exec_lo, exec_lo, s8
	s_delay_alu instid0(VALU_DEP_1)
	v_xor_b32_e32 v0, 0x80000000, v0
.LBB22_807:                             ;   in Loop: Header=BB22_3 Depth=1
	s_or_b32 exec_lo, exec_lo, s7
	s_and_saveexec_b32 s7, s103
	s_cbranch_execz .LBB22_809
; %bb.808:                              ;   in Loop: Header=BB22_3 Depth=1
	ds_load_b32 v24, v1 offset:11960
	s_wait_dscnt 0x0
	v_mul_f32_e32 v0, v0, v24
	ds_store_b32 v3, v0
.LBB22_809:                             ;   in Loop: Header=BB22_3 Depth=1
	s_or_b32 exec_lo, exec_lo, s7
	s_wait_dscnt 0x0
	s_barrier_signal -1
	s_barrier_wait -1
	s_and_saveexec_b32 s7, s104
	s_cbranch_execz .LBB22_811
; %bb.810:                              ;   in Loop: Header=BB22_3 Depth=1
	ds_load_b32 v24, v1 offset:11964
	ds_load_b32 v25, v3
	s_wait_dscnt 0x0
	v_fmac_f32_e32 v0, v24, v25
.LBB22_811:                             ;   in Loop: Header=BB22_3 Depth=1
	s_or_b32 exec_lo, exec_lo, s7
	s_barrier_signal -1
	s_barrier_wait -1
	s_and_saveexec_b32 s7, s104
	s_cbranch_execz .LBB22_813
; %bb.812:                              ;   in Loop: Header=BB22_3 Depth=1
	ds_load_b32 v24, v1 offset:12220
	s_wait_dscnt 0x0
	v_mul_f32_e32 v0, v0, v24
	ds_store_b32 v3, v0
.LBB22_813:                             ;   in Loop: Header=BB22_3 Depth=1
	s_or_b32 exec_lo, exec_lo, s7
	s_wait_dscnt 0x0
	s_barrier_signal -1
	s_barrier_wait -1
	s_barrier_signal -1
	s_barrier_wait -1
	s_and_saveexec_b32 s7, s0
; %bb.814:                              ;   in Loop: Header=BB22_3 Depth=1
	v_xor_b32_e32 v0, 0x80000000, v0
	ds_store_b32 v30, v0 offset:11448
; %bb.815:                              ;   in Loop: Header=BB22_3 Depth=1
	s_or_b32 exec_lo, exec_lo, s7
	s_wait_dscnt 0x0
	s_barrier_signal -1
	s_barrier_wait -1
	s_barrier_signal -1
	s_barrier_wait -1
	s_and_saveexec_b32 s7, s15
	s_cbranch_execz .LBB22_817
; %bb.816:                              ;   in Loop: Header=BB22_3 Depth=1
	ds_load_b64 v[24:25], v1 offset:11960
	ds_load_b32 v0, v1 offset:12220
	s_wait_dscnt 0x0
	v_mul_f32_e32 v0, v24, v0
	s_delay_alu instid0(VALU_DEP_1)
	v_mul_f32_e32 v0, v25, v0
	ds_store_b32 v1, v0 offset:11964
.LBB22_817:                             ;   in Loop: Header=BB22_3 Depth=1
	s_or_b32 exec_lo, exec_lo, s7
	v_mov_b32_e32 v0, 0
	s_wait_dscnt 0x0
	s_barrier_signal -1
	s_barrier_wait -1
	s_and_saveexec_b32 s69, s3
	s_cbranch_execz .LBB22_845
; %bb.818:                              ;   in Loop: Header=BB22_3 Depth=1
	ds_load_b32 v0, v46 offset:8384
	ds_load_b32 v24, v43 offset:8320
	s_wait_dscnt 0x0
	v_fma_f32 v0, v0, v24, 0
	s_mov_b32 s7, exec_lo
	v_readlane_b32 s8, v74, 25
	s_and_b32 s8, s7, s8
	s_delay_alu instid0(SALU_CYCLE_1)
	s_mov_b32 exec_lo, s8
	s_cbranch_execz .LBB22_820
; %bb.819:                              ;   in Loop: Header=BB22_3 Depth=1
	ds_load_b32 v24, v47 offset:8640
	ds_load_b32 v25, v43 offset:8324
	s_wait_dscnt 0x0
	v_fmac_f32_e32 v0, v24, v25
.LBB22_820:                             ;   in Loop: Header=BB22_3 Depth=1
	s_or_b32 exec_lo, exec_lo, s7
	s_delay_alu instid0(SALU_CYCLE_1) | instskip(SKIP_2) | instid1(SALU_CYCLE_1)
	s_mov_b32 s7, exec_lo
	v_readlane_b32 s8, v74, 26
	s_and_b32 s8, s7, s8
	s_mov_b32 exec_lo, s8
	s_cbranch_execz .LBB22_822
; %bb.821:                              ;   in Loop: Header=BB22_3 Depth=1
	ds_load_b32 v24, v47 offset:8896
	ds_load_b32 v25, v43 offset:8328
	s_wait_dscnt 0x0
	v_fmac_f32_e32 v0, v24, v25
.LBB22_822:                             ;   in Loop: Header=BB22_3 Depth=1
	s_or_b32 exec_lo, exec_lo, s7
	s_delay_alu instid0(SALU_CYCLE_1) | instskip(SKIP_2) | instid1(SALU_CYCLE_1)
	s_mov_b32 s7, exec_lo
	v_readlane_b32 s8, v74, 27
	s_and_b32 s8, s7, s8
	s_mov_b32 exec_lo, s8
	s_cbranch_execz .LBB22_824
; %bb.823:                              ;   in Loop: Header=BB22_3 Depth=1
	ds_load_b32 v24, v47 offset:9152
	ds_load_b32 v25, v43 offset:8332
	s_wait_dscnt 0x0
	v_fmac_f32_e32 v0, v24, v25
.LBB22_824:                             ;   in Loop: Header=BB22_3 Depth=1
	s_or_b32 exec_lo, exec_lo, s7
	s_delay_alu instid0(SALU_CYCLE_1) | instskip(SKIP_2) | instid1(SALU_CYCLE_1)
	s_mov_b32 s7, exec_lo
	v_readlane_b32 s8, v74, 28
	s_and_b32 s8, s7, s8
	s_mov_b32 exec_lo, s8
	s_cbranch_execz .LBB22_826
; %bb.825:                              ;   in Loop: Header=BB22_3 Depth=1
	ds_load_b32 v24, v47 offset:9408
	ds_load_b32 v25, v43 offset:8336
	s_wait_dscnt 0x0
	v_fmac_f32_e32 v0, v24, v25
.LBB22_826:                             ;   in Loop: Header=BB22_3 Depth=1
	s_or_b32 exec_lo, exec_lo, s7
	s_delay_alu instid0(SALU_CYCLE_1) | instskip(SKIP_2) | instid1(SALU_CYCLE_1)
	s_mov_b32 s7, exec_lo
	v_readlane_b32 s8, v74, 29
	s_and_b32 s8, s7, s8
	s_mov_b32 exec_lo, s8
	s_cbranch_execz .LBB22_828
; %bb.827:                              ;   in Loop: Header=BB22_3 Depth=1
	ds_load_b32 v24, v47 offset:9664
	ds_load_b32 v25, v43 offset:8340
	s_wait_dscnt 0x0
	v_fmac_f32_e32 v0, v24, v25
.LBB22_828:                             ;   in Loop: Header=BB22_3 Depth=1
	s_or_b32 exec_lo, exec_lo, s7
	s_delay_alu instid0(SALU_CYCLE_1) | instskip(SKIP_2) | instid1(SALU_CYCLE_1)
	s_mov_b32 s7, exec_lo
	v_readlane_b32 s8, v74, 30
	s_and_b32 s8, s7, s8
	s_mov_b32 exec_lo, s8
	s_cbranch_execz .LBB22_830
; %bb.829:                              ;   in Loop: Header=BB22_3 Depth=1
	ds_load_b32 v24, v47 offset:9920
	ds_load_b32 v25, v43 offset:8344
	s_wait_dscnt 0x0
	v_fmac_f32_e32 v0, v24, v25
.LBB22_830:                             ;   in Loop: Header=BB22_3 Depth=1
	s_or_b32 exec_lo, exec_lo, s7
	s_delay_alu instid0(SALU_CYCLE_1) | instskip(SKIP_2) | instid1(SALU_CYCLE_1)
	s_mov_b32 s7, exec_lo
	v_readlane_b32 s8, v74, 31
	s_and_b32 s8, s7, s8
	s_mov_b32 exec_lo, s8
	s_cbranch_execz .LBB22_832
; %bb.831:                              ;   in Loop: Header=BB22_3 Depth=1
	ds_load_b32 v24, v47 offset:10176
	ds_load_b32 v25, v43 offset:8348
	s_wait_dscnt 0x0
	v_fmac_f32_e32 v0, v24, v25
.LBB22_832:                             ;   in Loop: Header=BB22_3 Depth=1
	s_or_b32 exec_lo, exec_lo, s7
	s_delay_alu instid0(SALU_CYCLE_1) | instskip(SKIP_2) | instid1(SALU_CYCLE_1)
	s_mov_b32 s7, exec_lo
	v_readlane_b32 s8, v73, 0
	s_and_b32 s8, s7, s8
	s_mov_b32 exec_lo, s8
	s_cbranch_execz .LBB22_834
; %bb.833:                              ;   in Loop: Header=BB22_3 Depth=1
	ds_load_b32 v24, v46 offset:10432
	ds_load_b32 v25, v43 offset:8352
	s_wait_dscnt 0x0
	v_fmac_f32_e32 v0, v24, v25
.LBB22_834:                             ;   in Loop: Header=BB22_3 Depth=1
	s_or_b32 exec_lo, exec_lo, s7
	s_delay_alu instid0(SALU_CYCLE_1) | instskip(SKIP_2) | instid1(SALU_CYCLE_1)
	s_mov_b32 s7, exec_lo
	v_readlane_b32 s8, v73, 1
	s_and_b32 s8, s7, s8
	s_mov_b32 exec_lo, s8
	s_cbranch_execz .LBB22_836
; %bb.835:                              ;   in Loop: Header=BB22_3 Depth=1
	ds_load_b32 v24, v47 offset:10688
	ds_load_b32 v25, v43 offset:8356
	s_wait_dscnt 0x0
	v_fmac_f32_e32 v0, v24, v25
.LBB22_836:                             ;   in Loop: Header=BB22_3 Depth=1
	s_or_b32 exec_lo, exec_lo, s7
	s_and_saveexec_b32 s7, s10
	s_cbranch_execz .LBB22_838
; %bb.837:                              ;   in Loop: Header=BB22_3 Depth=1
	ds_load_b32 v24, v47 offset:10944
	ds_load_b32 v25, v43 offset:8360
	s_wait_dscnt 0x0
	v_fmac_f32_e32 v0, v24, v25
.LBB22_838:                             ;   in Loop: Header=BB22_3 Depth=1
	s_or_b32 exec_lo, exec_lo, s7
	s_delay_alu instid0(SALU_CYCLE_1) | instskip(SKIP_2) | instid1(SALU_CYCLE_1)
	s_mov_b32 s7, exec_lo
	v_readlane_b32 s8, v73, 2
	s_and_b32 s8, s7, s8
	s_mov_b32 exec_lo, s8
	s_cbranch_execnz .LBB22_1181
; %bb.839:                              ;   in Loop: Header=BB22_3 Depth=1
	s_or_b32 exec_lo, exec_lo, s7
	s_and_saveexec_b32 s7, s2
	s_cbranch_execnz .LBB22_1182
.LBB22_840:                             ;   in Loop: Header=BB22_3 Depth=1
	s_or_b32 exec_lo, exec_lo, s7
	s_and_saveexec_b32 s7, s20
	s_cbranch_execnz .LBB22_1183
.LBB22_841:                             ;   in Loop: Header=BB22_3 Depth=1
	s_or_b32 exec_lo, exec_lo, s7
	s_and_saveexec_b32 s7, s22
	s_cbranch_execnz .LBB22_1184
.LBB22_842:                             ;   in Loop: Header=BB22_3 Depth=1
	s_or_b32 exec_lo, exec_lo, s7
	s_and_saveexec_b32 s7, s1
	s_cbranch_execz .LBB22_844
.LBB22_843:                             ;   in Loop: Header=BB22_3 Depth=1
	ds_load_b32 v24, v32 offset:12224
	ds_load_b32 v25, v1 offset:8380
	s_wait_dscnt 0x0
	v_fmac_f32_e32 v0, v24, v25
.LBB22_844:                             ;   in Loop: Header=BB22_3 Depth=1
	s_or_b32 exec_lo, exec_lo, s7
	s_delay_alu instid0(VALU_DEP_1)
	v_xor_b32_e32 v0, 0x80000000, v0
.LBB22_845:                             ;   in Loop: Header=BB22_3 Depth=1
	s_or_b32 exec_lo, exec_lo, s69
	s_and_saveexec_b32 s7, s55
	s_cbranch_execz .LBB22_847
; %bb.846:                              ;   in Loop: Header=BB22_3 Depth=1
	ds_load_b32 v24, v1 offset:12480
	s_wait_dscnt 0x0
	v_mul_f32_e32 v0, v0, v24
	ds_store_b32 v45, v0
.LBB22_847:                             ;   in Loop: Header=BB22_3 Depth=1
	s_or_b32 exec_lo, exec_lo, s7
	s_wait_dscnt 0x0
	s_barrier_signal -1
	s_barrier_wait -1
	s_and_saveexec_b32 s7, s56
	s_cbranch_execz .LBB22_849
; %bb.848:                              ;   in Loop: Header=BB22_3 Depth=1
	ds_load_b32 v24, v44 offset:12480
	ds_load_b32 v25, v45
	s_wait_dscnt 0x0
	v_fmac_f32_e32 v0, v24, v25
.LBB22_849:                             ;   in Loop: Header=BB22_3 Depth=1
	s_or_b32 exec_lo, exec_lo, s7
	s_barrier_signal -1
	s_barrier_wait -1
	s_and_saveexec_b32 s7, s57
	s_cbranch_execz .LBB22_851
; %bb.850:                              ;   in Loop: Header=BB22_3 Depth=1
	ds_load_b32 v24, v1 offset:12740
	s_wait_dscnt 0x0
	v_mul_f32_e32 v0, v0, v24
	ds_store_b32 v45, v0
.LBB22_851:                             ;   in Loop: Header=BB22_3 Depth=1
	s_or_b32 exec_lo, exec_lo, s7
	s_wait_dscnt 0x0
	s_barrier_signal -1
	s_barrier_wait -1
	s_and_saveexec_b32 s7, s58
	s_cbranch_execz .LBB22_853
; %bb.852:                              ;   in Loop: Header=BB22_3 Depth=1
	ds_load_b32 v24, v44 offset:12736
	ds_load_b32 v25, v45
	s_wait_dscnt 0x0
	v_fmac_f32_e32 v0, v24, v25
.LBB22_853:                             ;   in Loop: Header=BB22_3 Depth=1
	s_or_b32 exec_lo, exec_lo, s7
	s_barrier_signal -1
	s_barrier_wait -1
	;; [unrolled: 23-line block ×15, first 2 shown]
	s_and_saveexec_b32 s7, s76
	s_cbranch_execz .LBB22_907
; %bb.906:                              ;   in Loop: Header=BB22_3 Depth=1
	ds_load_b32 v24, v1 offset:16380
	s_wait_dscnt 0x0
	v_mul_f32_e32 v0, v0, v24
	ds_store_b32 v45, v0
.LBB22_907:                             ;   in Loop: Header=BB22_3 Depth=1
	s_or_b32 exec_lo, exec_lo, s7
	s_wait_dscnt 0x0
	s_barrier_signal -1
	s_barrier_wait -1
	s_barrier_signal -1
	s_barrier_wait -1
	s_and_saveexec_b32 s7, s3
; %bb.908:                              ;   in Loop: Header=BB22_3 Depth=1
	v_xor_b32_e32 v0, 0x80000000, v0
	ds_store_b32 v46, v0 offset:8384
; %bb.909:                              ;   in Loop: Header=BB22_3 Depth=1
	s_or_b32 exec_lo, exec_lo, s7
	s_wait_dscnt 0x0
	s_barrier_signal -1
	s_barrier_wait -1
	s_barrier_signal -1
	s_barrier_wait -1
	s_and_saveexec_b32 s7, s15
	s_cbranch_execz .LBB22_911
; %bb.910:                              ;   in Loop: Header=BB22_3 Depth=1
	ds_load_b64 v[24:25], v1 offset:12480
	ds_load_b32 v0, v1 offset:12740
	s_wait_dscnt 0x0
	v_mul_f32_e32 v0, v24, v0
	s_delay_alu instid0(VALU_DEP_1)
	v_mul_f32_e32 v0, v25, v0
	ds_store_b32 v1, v0 offset:12484
.LBB22_911:                             ;   in Loop: Header=BB22_3 Depth=1
	s_or_b32 exec_lo, exec_lo, s7
	v_mov_b32_e32 v0, 0
	s_wait_dscnt 0x0
	s_barrier_signal -1
	s_barrier_wait -1
	s_and_saveexec_b32 s7, s0
	s_cbranch_execz .LBB22_915
; %bb.912:                              ;   in Loop: Header=BB22_3 Depth=1
	ds_load_b32 v0, v30 offset:12488
	ds_load_b32 v24, v31 offset:12480
	s_wait_dscnt 0x0
	v_fma_f32 v0, v0, v24, 0
	s_and_saveexec_b32 s8, s16
	s_cbranch_execz .LBB22_914
; %bb.913:                              ;   in Loop: Header=BB22_3 Depth=1
	ds_load_b32 v24, v32 offset:12744
	ds_load_b32 v25, v1 offset:12484
	s_wait_dscnt 0x0
	v_fmac_f32_e32 v0, v24, v25
.LBB22_914:                             ;   in Loop: Header=BB22_3 Depth=1
	s_or_b32 exec_lo, exec_lo, s8
	s_delay_alu instid0(VALU_DEP_1)
	v_xor_b32_e32 v0, 0x80000000, v0
.LBB22_915:                             ;   in Loop: Header=BB22_3 Depth=1
	s_or_b32 exec_lo, exec_lo, s7
	s_and_saveexec_b32 s7, s103
	s_cbranch_execz .LBB22_917
; %bb.916:                              ;   in Loop: Header=BB22_3 Depth=1
	ds_load_b32 v24, v1 offset:13000
	s_wait_dscnt 0x0
	v_mul_f32_e32 v0, v0, v24
	ds_store_b32 v3, v0
.LBB22_917:                             ;   in Loop: Header=BB22_3 Depth=1
	s_or_b32 exec_lo, exec_lo, s7
	s_wait_dscnt 0x0
	s_barrier_signal -1
	s_barrier_wait -1
	s_and_saveexec_b32 s7, s104
	s_cbranch_execz .LBB22_919
; %bb.918:                              ;   in Loop: Header=BB22_3 Depth=1
	ds_load_b32 v24, v1 offset:13004
	ds_load_b32 v25, v3
	s_wait_dscnt 0x0
	v_fmac_f32_e32 v0, v24, v25
.LBB22_919:                             ;   in Loop: Header=BB22_3 Depth=1
	s_or_b32 exec_lo, exec_lo, s7
	s_barrier_signal -1
	s_barrier_wait -1
	s_and_saveexec_b32 s7, s104
	s_cbranch_execz .LBB22_921
; %bb.920:                              ;   in Loop: Header=BB22_3 Depth=1
	ds_load_b32 v24, v1 offset:13260
	s_wait_dscnt 0x0
	v_mul_f32_e32 v0, v0, v24
	ds_store_b32 v3, v0
.LBB22_921:                             ;   in Loop: Header=BB22_3 Depth=1
	s_or_b32 exec_lo, exec_lo, s7
	s_wait_dscnt 0x0
	s_barrier_signal -1
	s_barrier_wait -1
	s_barrier_signal -1
	s_barrier_wait -1
	s_and_saveexec_b32 s7, s0
; %bb.922:                              ;   in Loop: Header=BB22_3 Depth=1
	v_xor_b32_e32 v0, 0x80000000, v0
	ds_store_b32 v30, v0 offset:12488
; %bb.923:                              ;   in Loop: Header=BB22_3 Depth=1
	s_or_b32 exec_lo, exec_lo, s7
	s_wait_dscnt 0x0
	s_barrier_signal -1
	s_barrier_wait -1
	s_barrier_signal -1
	s_barrier_wait -1
	s_and_saveexec_b32 s7, s15
	s_cbranch_execz .LBB22_925
; %bb.924:                              ;   in Loop: Header=BB22_3 Depth=1
	ds_load_b64 v[24:25], v1 offset:13000
	ds_load_b32 v0, v1 offset:13260
	s_wait_dscnt 0x0
	v_mul_f32_e32 v0, v24, v0
	s_delay_alu instid0(VALU_DEP_1)
	v_mul_f32_e32 v0, v25, v0
	ds_store_b32 v1, v0 offset:13004
.LBB22_925:                             ;   in Loop: Header=BB22_3 Depth=1
	s_or_b32 exec_lo, exec_lo, s7
	v_mov_b32_e32 v0, 0
	s_wait_dscnt 0x0
	s_barrier_signal -1
	s_barrier_wait -1
	s_and_saveexec_b32 s7, s1
	s_cbranch_execz .LBB22_931
; %bb.926:                              ;   in Loop: Header=BB22_3 Depth=1
	ds_load_b32 v0, v36 offset:12496
	ds_load_b32 v24, v33 offset:12480
	s_wait_dscnt 0x0
	v_fma_f32 v0, v0, v24, 0
	s_and_saveexec_b32 s8, s17
	s_cbranch_execnz .LBB22_1185
; %bb.927:                              ;   in Loop: Header=BB22_3 Depth=1
	s_or_b32 exec_lo, exec_lo, s8
	s_and_saveexec_b32 s8, s18
	s_cbranch_execnz .LBB22_1186
.LBB22_928:                             ;   in Loop: Header=BB22_3 Depth=1
	s_or_b32 exec_lo, exec_lo, s8
	s_and_saveexec_b32 s8, s0
	s_cbranch_execz .LBB22_930
.LBB22_929:                             ;   in Loop: Header=BB22_3 Depth=1
	ds_load_b32 v24, v32 offset:13264
	ds_load_b32 v25, v1 offset:12492
	s_wait_dscnt 0x0
	v_fmac_f32_e32 v0, v24, v25
.LBB22_930:                             ;   in Loop: Header=BB22_3 Depth=1
	s_or_b32 exec_lo, exec_lo, s8
	s_delay_alu instid0(VALU_DEP_1)
	v_xor_b32_e32 v0, 0x80000000, v0
.LBB22_931:                             ;   in Loop: Header=BB22_3 Depth=1
	s_or_b32 exec_lo, exec_lo, s7
	s_and_saveexec_b32 s7, vcc_hi
	s_cbranch_execz .LBB22_933
; %bb.932:                              ;   in Loop: Header=BB22_3 Depth=1
	ds_load_b32 v24, v1 offset:13520
	s_wait_dscnt 0x0
	v_mul_f32_e32 v0, v0, v24
	ds_store_b32 v34, v0
.LBB22_933:                             ;   in Loop: Header=BB22_3 Depth=1
	s_or_b32 exec_lo, exec_lo, s7
	s_wait_dscnt 0x0
	s_barrier_signal -1
	s_barrier_wait -1
	s_and_saveexec_b32 s7, s36
	s_cbranch_execz .LBB22_935
; %bb.934:                              ;   in Loop: Header=BB22_3 Depth=1
	ds_load_b32 v24, v35 offset:13520
	ds_load_b32 v25, v34
	s_wait_dscnt 0x0
	v_fmac_f32_e32 v0, v24, v25
.LBB22_935:                             ;   in Loop: Header=BB22_3 Depth=1
	s_or_b32 exec_lo, exec_lo, s7
	s_barrier_signal -1
	s_barrier_wait -1
	s_and_saveexec_b32 s7, s37
	s_cbranch_execz .LBB22_937
; %bb.936:                              ;   in Loop: Header=BB22_3 Depth=1
	ds_load_b32 v24, v1 offset:13780
	s_wait_dscnt 0x0
	v_mul_f32_e32 v0, v0, v24
	ds_store_b32 v34, v0
.LBB22_937:                             ;   in Loop: Header=BB22_3 Depth=1
	s_or_b32 exec_lo, exec_lo, s7
	s_wait_dscnt 0x0
	s_barrier_signal -1
	s_barrier_wait -1
	s_and_saveexec_b32 s7, s38
	s_cbranch_execz .LBB22_939
; %bb.938:                              ;   in Loop: Header=BB22_3 Depth=1
	ds_load_b32 v24, v35 offset:13776
	ds_load_b32 v25, v34
	s_wait_dscnt 0x0
	v_fmac_f32_e32 v0, v24, v25
.LBB22_939:                             ;   in Loop: Header=BB22_3 Depth=1
	s_or_b32 exec_lo, exec_lo, s7
	s_barrier_signal -1
	s_barrier_wait -1
	s_and_saveexec_b32 s7, s39
	;; [unrolled: 23-line block ×3, first 2 shown]
	s_cbranch_execz .LBB22_945
; %bb.944:                              ;   in Loop: Header=BB22_3 Depth=1
	ds_load_b32 v24, v1 offset:14300
	s_wait_dscnt 0x0
	v_mul_f32_e32 v0, v0, v24
	ds_store_b32 v34, v0
.LBB22_945:                             ;   in Loop: Header=BB22_3 Depth=1
	s_or_b32 exec_lo, exec_lo, s7
	s_wait_dscnt 0x0
	s_barrier_signal -1
	s_barrier_wait -1
	s_barrier_signal -1
	s_barrier_wait -1
	s_and_saveexec_b32 s7, s1
; %bb.946:                              ;   in Loop: Header=BB22_3 Depth=1
	v_xor_b32_e32 v0, 0x80000000, v0
	ds_store_b32 v36, v0 offset:12496
; %bb.947:                              ;   in Loop: Header=BB22_3 Depth=1
	s_or_b32 exec_lo, exec_lo, s7
	s_wait_dscnt 0x0
	s_barrier_signal -1
	s_barrier_wait -1
	s_barrier_signal -1
	s_barrier_wait -1
	s_and_saveexec_b32 s7, s15
	s_cbranch_execz .LBB22_949
; %bb.948:                              ;   in Loop: Header=BB22_3 Depth=1
	ds_load_b64 v[24:25], v1 offset:13520
	ds_load_b32 v0, v1 offset:13780
	s_wait_dscnt 0x0
	v_mul_f32_e32 v0, v24, v0
	s_delay_alu instid0(VALU_DEP_1)
	v_mul_f32_e32 v0, v25, v0
	ds_store_b32 v1, v0 offset:13524
.LBB22_949:                             ;   in Loop: Header=BB22_3 Depth=1
	s_or_b32 exec_lo, exec_lo, s7
	v_mov_b32_e32 v0, 0
	s_wait_dscnt 0x0
	s_barrier_signal -1
	s_barrier_wait -1
	s_and_saveexec_b32 s7, s0
	s_cbranch_execz .LBB22_953
; %bb.950:                              ;   in Loop: Header=BB22_3 Depth=1
	ds_load_b32 v0, v30 offset:13528
	ds_load_b32 v24, v31 offset:13520
	s_wait_dscnt 0x0
	v_fma_f32 v0, v0, v24, 0
	s_and_saveexec_b32 s8, s16
	s_cbranch_execz .LBB22_952
; %bb.951:                              ;   in Loop: Header=BB22_3 Depth=1
	ds_load_b32 v24, v32 offset:13784
	ds_load_b32 v25, v1 offset:13524
	s_wait_dscnt 0x0
	v_fmac_f32_e32 v0, v24, v25
.LBB22_952:                             ;   in Loop: Header=BB22_3 Depth=1
	s_or_b32 exec_lo, exec_lo, s8
	s_delay_alu instid0(VALU_DEP_1)
	v_xor_b32_e32 v0, 0x80000000, v0
.LBB22_953:                             ;   in Loop: Header=BB22_3 Depth=1
	s_or_b32 exec_lo, exec_lo, s7
	s_and_saveexec_b32 s7, s103
	s_cbranch_execz .LBB22_955
; %bb.954:                              ;   in Loop: Header=BB22_3 Depth=1
	ds_load_b32 v24, v1 offset:14040
	s_wait_dscnt 0x0
	v_mul_f32_e32 v0, v0, v24
	ds_store_b32 v3, v0
.LBB22_955:                             ;   in Loop: Header=BB22_3 Depth=1
	s_or_b32 exec_lo, exec_lo, s7
	s_wait_dscnt 0x0
	s_barrier_signal -1
	s_barrier_wait -1
	s_and_saveexec_b32 s7, s104
	s_cbranch_execz .LBB22_957
; %bb.956:                              ;   in Loop: Header=BB22_3 Depth=1
	ds_load_b32 v24, v1 offset:14044
	ds_load_b32 v25, v3
	s_wait_dscnt 0x0
	v_fmac_f32_e32 v0, v24, v25
.LBB22_957:                             ;   in Loop: Header=BB22_3 Depth=1
	s_or_b32 exec_lo, exec_lo, s7
	s_barrier_signal -1
	s_barrier_wait -1
	s_and_saveexec_b32 s7, s104
	s_cbranch_execz .LBB22_959
; %bb.958:                              ;   in Loop: Header=BB22_3 Depth=1
	ds_load_b32 v24, v1 offset:14300
	s_wait_dscnt 0x0
	v_mul_f32_e32 v0, v0, v24
	ds_store_b32 v3, v0
.LBB22_959:                             ;   in Loop: Header=BB22_3 Depth=1
	s_or_b32 exec_lo, exec_lo, s7
	s_wait_dscnt 0x0
	s_barrier_signal -1
	s_barrier_wait -1
	s_barrier_signal -1
	s_barrier_wait -1
	s_and_saveexec_b32 s7, s0
; %bb.960:                              ;   in Loop: Header=BB22_3 Depth=1
	v_xor_b32_e32 v0, 0x80000000, v0
	ds_store_b32 v30, v0 offset:13528
; %bb.961:                              ;   in Loop: Header=BB22_3 Depth=1
	s_or_b32 exec_lo, exec_lo, s7
	s_wait_dscnt 0x0
	s_barrier_signal -1
	s_barrier_wait -1
	s_barrier_signal -1
	s_barrier_wait -1
	s_and_saveexec_b32 s7, s15
	s_cbranch_execz .LBB22_963
; %bb.962:                              ;   in Loop: Header=BB22_3 Depth=1
	ds_load_b64 v[24:25], v1 offset:14040
	ds_load_b32 v0, v1 offset:14300
	s_wait_dscnt 0x0
	v_mul_f32_e32 v0, v24, v0
	s_delay_alu instid0(VALU_DEP_1)
	v_mul_f32_e32 v0, v25, v0
	ds_store_b32 v1, v0 offset:14044
.LBB22_963:                             ;   in Loop: Header=BB22_3 Depth=1
	s_or_b32 exec_lo, exec_lo, s7
	v_mov_b32_e32 v0, 0
	s_wait_dscnt 0x0
	s_barrier_signal -1
	s_barrier_wait -1
	s_and_saveexec_b32 s7, s2
	s_cbranch_execz .LBB22_973
; %bb.964:                              ;   in Loop: Header=BB22_3 Depth=1
	ds_load_b32 v0, v41 offset:12512
	ds_load_b32 v24, v38 offset:12480
	s_wait_dscnt 0x0
	v_fma_f32 v0, v0, v24, 0
	s_and_saveexec_b32 s8, s19
	s_cbranch_execnz .LBB22_1187
; %bb.965:                              ;   in Loop: Header=BB22_3 Depth=1
	s_or_b32 exec_lo, exec_lo, s8
	s_and_saveexec_b32 s8, s20
	s_cbranch_execnz .LBB22_1188
.LBB22_966:                             ;   in Loop: Header=BB22_3 Depth=1
	s_or_b32 exec_lo, exec_lo, s8
	s_and_saveexec_b32 s8, s21
	s_cbranch_execnz .LBB22_1189
.LBB22_967:                             ;   in Loop: Header=BB22_3 Depth=1
	s_or_b32 exec_lo, exec_lo, s8
	s_and_saveexec_b32 s8, s22
	s_cbranch_execnz .LBB22_1190
.LBB22_968:                             ;   in Loop: Header=BB22_3 Depth=1
	s_or_b32 exec_lo, exec_lo, s8
	s_and_saveexec_b32 s8, s23
	s_cbranch_execnz .LBB22_1191
.LBB22_969:                             ;   in Loop: Header=BB22_3 Depth=1
	s_or_b32 exec_lo, exec_lo, s8
	s_and_saveexec_b32 s8, s1
	s_cbranch_execnz .LBB22_1192
.LBB22_970:                             ;   in Loop: Header=BB22_3 Depth=1
	s_or_b32 exec_lo, exec_lo, s8
	s_and_saveexec_b32 s8, s18
	s_cbranch_execz .LBB22_972
.LBB22_971:                             ;   in Loop: Header=BB22_3 Depth=1
	ds_load_b32 v24, v32 offset:14304
	ds_load_b32 v25, v1 offset:12508
	s_wait_dscnt 0x0
	v_fmac_f32_e32 v0, v24, v25
.LBB22_972:                             ;   in Loop: Header=BB22_3 Depth=1
	s_or_b32 exec_lo, exec_lo, s8
	s_delay_alu instid0(VALU_DEP_1)
	v_xor_b32_e32 v0, 0x80000000, v0
.LBB22_973:                             ;   in Loop: Header=BB22_3 Depth=1
	s_or_b32 exec_lo, exec_lo, s7
	s_and_saveexec_b32 s7, s41
	s_cbranch_execz .LBB22_975
; %bb.974:                              ;   in Loop: Header=BB22_3 Depth=1
	ds_load_b32 v24, v1 offset:14560
	s_wait_dscnt 0x0
	v_mul_f32_e32 v0, v0, v24
	ds_store_b32 v40, v0
.LBB22_975:                             ;   in Loop: Header=BB22_3 Depth=1
	s_or_b32 exec_lo, exec_lo, s7
	s_wait_dscnt 0x0
	s_barrier_signal -1
	s_barrier_wait -1
	s_and_saveexec_b32 s7, s42
	s_cbranch_execz .LBB22_977
; %bb.976:                              ;   in Loop: Header=BB22_3 Depth=1
	ds_load_b32 v24, v39 offset:14560
	ds_load_b32 v25, v40
	s_wait_dscnt 0x0
	v_fmac_f32_e32 v0, v24, v25
.LBB22_977:                             ;   in Loop: Header=BB22_3 Depth=1
	s_or_b32 exec_lo, exec_lo, s7
	s_barrier_signal -1
	s_barrier_wait -1
	s_and_saveexec_b32 s7, s43
	s_cbranch_execz .LBB22_979
; %bb.978:                              ;   in Loop: Header=BB22_3 Depth=1
	ds_load_b32 v24, v1 offset:14820
	s_wait_dscnt 0x0
	v_mul_f32_e32 v0, v0, v24
	ds_store_b32 v40, v0
.LBB22_979:                             ;   in Loop: Header=BB22_3 Depth=1
	s_or_b32 exec_lo, exec_lo, s7
	s_wait_dscnt 0x0
	s_barrier_signal -1
	s_barrier_wait -1
	s_and_saveexec_b32 s7, s44
	s_cbranch_execz .LBB22_981
; %bb.980:                              ;   in Loop: Header=BB22_3 Depth=1
	ds_load_b32 v24, v39 offset:14816
	ds_load_b32 v25, v40
	s_wait_dscnt 0x0
	v_fmac_f32_e32 v0, v24, v25
.LBB22_981:                             ;   in Loop: Header=BB22_3 Depth=1
	s_or_b32 exec_lo, exec_lo, s7
	s_barrier_signal -1
	s_barrier_wait -1
	;; [unrolled: 23-line block ×6, first 2 shown]
	s_and_saveexec_b32 s7, s53
	s_cbranch_execz .LBB22_999
; %bb.998:                              ;   in Loop: Header=BB22_3 Depth=1
	ds_load_b32 v24, v1 offset:16120
	s_wait_dscnt 0x0
	v_mul_f32_e32 v0, v0, v24
	ds_store_b32 v40, v0
.LBB22_999:                             ;   in Loop: Header=BB22_3 Depth=1
	s_or_b32 exec_lo, exec_lo, s7
	s_wait_dscnt 0x0
	s_barrier_signal -1
	s_barrier_wait -1
	s_and_saveexec_b32 s7, s54
	s_cbranch_execz .LBB22_1001
; %bb.1000:                             ;   in Loop: Header=BB22_3 Depth=1
	ds_load_b32 v24, v1 offset:16124
	ds_load_b32 v25, v40
	s_wait_dscnt 0x0
	v_fmac_f32_e32 v0, v24, v25
.LBB22_1001:                            ;   in Loop: Header=BB22_3 Depth=1
	s_or_b32 exec_lo, exec_lo, s7
	s_barrier_signal -1
	s_barrier_wait -1
	s_and_saveexec_b32 s7, s54
	s_cbranch_execz .LBB22_1003
; %bb.1002:                             ;   in Loop: Header=BB22_3 Depth=1
	ds_load_b32 v24, v1 offset:16380
	s_wait_dscnt 0x0
	v_mul_f32_e32 v0, v0, v24
	ds_store_b32 v40, v0
.LBB22_1003:                            ;   in Loop: Header=BB22_3 Depth=1
	s_or_b32 exec_lo, exec_lo, s7
	s_wait_dscnt 0x0
	s_barrier_signal -1
	s_barrier_wait -1
	s_barrier_signal -1
	s_barrier_wait -1
	s_and_saveexec_b32 s7, s2
; %bb.1004:                             ;   in Loop: Header=BB22_3 Depth=1
	v_xor_b32_e32 v0, 0x80000000, v0
	ds_store_b32 v41, v0 offset:12512
; %bb.1005:                             ;   in Loop: Header=BB22_3 Depth=1
	s_or_b32 exec_lo, exec_lo, s7
	s_wait_dscnt 0x0
	s_barrier_signal -1
	s_barrier_wait -1
	s_barrier_signal -1
	s_barrier_wait -1
	s_and_saveexec_b32 s7, s15
	s_cbranch_execz .LBB22_1007
; %bb.1006:                             ;   in Loop: Header=BB22_3 Depth=1
	ds_load_b64 v[24:25], v1 offset:14560
	ds_load_b32 v0, v1 offset:14820
	s_wait_dscnt 0x0
	v_mul_f32_e32 v0, v24, v0
	s_delay_alu instid0(VALU_DEP_1)
	v_mul_f32_e32 v0, v25, v0
	ds_store_b32 v1, v0 offset:14564
.LBB22_1007:                            ;   in Loop: Header=BB22_3 Depth=1
	s_or_b32 exec_lo, exec_lo, s7
	v_mov_b32_e32 v0, 0
	s_wait_dscnt 0x0
	s_barrier_signal -1
	s_barrier_wait -1
	s_and_saveexec_b32 s7, s0
	s_cbranch_execz .LBB22_1011
; %bb.1008:                             ;   in Loop: Header=BB22_3 Depth=1
	ds_load_b32 v0, v30 offset:14568
	ds_load_b32 v24, v31 offset:14560
	s_wait_dscnt 0x0
	v_fma_f32 v0, v0, v24, 0
	s_and_saveexec_b32 s8, s16
	s_cbranch_execz .LBB22_1010
; %bb.1009:                             ;   in Loop: Header=BB22_3 Depth=1
	ds_load_b32 v24, v32 offset:14824
	ds_load_b32 v25, v1 offset:14564
	s_wait_dscnt 0x0
	v_fmac_f32_e32 v0, v24, v25
.LBB22_1010:                            ;   in Loop: Header=BB22_3 Depth=1
	s_or_b32 exec_lo, exec_lo, s8
	s_delay_alu instid0(VALU_DEP_1)
	v_xor_b32_e32 v0, 0x80000000, v0
.LBB22_1011:                            ;   in Loop: Header=BB22_3 Depth=1
	s_or_b32 exec_lo, exec_lo, s7
	s_and_saveexec_b32 s7, s103
	s_cbranch_execz .LBB22_1013
; %bb.1012:                             ;   in Loop: Header=BB22_3 Depth=1
	ds_load_b32 v24, v1 offset:15080
	s_wait_dscnt 0x0
	v_mul_f32_e32 v0, v0, v24
	ds_store_b32 v3, v0
.LBB22_1013:                            ;   in Loop: Header=BB22_3 Depth=1
	s_or_b32 exec_lo, exec_lo, s7
	s_wait_dscnt 0x0
	s_barrier_signal -1
	s_barrier_wait -1
	s_and_saveexec_b32 s7, s104
	s_cbranch_execz .LBB22_1015
; %bb.1014:                             ;   in Loop: Header=BB22_3 Depth=1
	ds_load_b32 v24, v1 offset:15084
	ds_load_b32 v25, v3
	s_wait_dscnt 0x0
	v_fmac_f32_e32 v0, v24, v25
.LBB22_1015:                            ;   in Loop: Header=BB22_3 Depth=1
	s_or_b32 exec_lo, exec_lo, s7
	s_barrier_signal -1
	s_barrier_wait -1
	s_and_saveexec_b32 s7, s104
	s_cbranch_execz .LBB22_1017
; %bb.1016:                             ;   in Loop: Header=BB22_3 Depth=1
	ds_load_b32 v24, v1 offset:15340
	s_wait_dscnt 0x0
	v_mul_f32_e32 v0, v0, v24
	ds_store_b32 v3, v0
.LBB22_1017:                            ;   in Loop: Header=BB22_3 Depth=1
	s_or_b32 exec_lo, exec_lo, s7
	s_wait_dscnt 0x0
	s_barrier_signal -1
	s_barrier_wait -1
	s_barrier_signal -1
	s_barrier_wait -1
	s_and_saveexec_b32 s7, s0
; %bb.1018:                             ;   in Loop: Header=BB22_3 Depth=1
	v_xor_b32_e32 v0, 0x80000000, v0
	ds_store_b32 v30, v0 offset:14568
; %bb.1019:                             ;   in Loop: Header=BB22_3 Depth=1
	s_or_b32 exec_lo, exec_lo, s7
	s_wait_dscnt 0x0
	s_barrier_signal -1
	s_barrier_wait -1
	s_barrier_signal -1
	s_barrier_wait -1
	s_and_saveexec_b32 s7, s15
	s_cbranch_execz .LBB22_1021
; %bb.1020:                             ;   in Loop: Header=BB22_3 Depth=1
	ds_load_b64 v[24:25], v1 offset:15080
	ds_load_b32 v0, v1 offset:15340
	s_wait_dscnt 0x0
	v_mul_f32_e32 v0, v24, v0
	s_delay_alu instid0(VALU_DEP_1)
	v_mul_f32_e32 v0, v25, v0
	ds_store_b32 v1, v0 offset:15084
.LBB22_1021:                            ;   in Loop: Header=BB22_3 Depth=1
	s_or_b32 exec_lo, exec_lo, s7
	v_mov_b32_e32 v0, 0
	s_wait_dscnt 0x0
	s_barrier_signal -1
	s_barrier_wait -1
	s_and_saveexec_b32 s7, s1
	s_cbranch_execz .LBB22_1027
; %bb.1022:                             ;   in Loop: Header=BB22_3 Depth=1
	ds_load_b32 v0, v36 offset:14576
	ds_load_b32 v24, v33 offset:14560
	s_wait_dscnt 0x0
	v_fma_f32 v0, v0, v24, 0
	s_and_saveexec_b32 s8, s17
	s_cbranch_execnz .LBB22_1193
; %bb.1023:                             ;   in Loop: Header=BB22_3 Depth=1
	s_or_b32 exec_lo, exec_lo, s8
	s_and_saveexec_b32 s8, s18
	s_cbranch_execnz .LBB22_1194
.LBB22_1024:                            ;   in Loop: Header=BB22_3 Depth=1
	s_or_b32 exec_lo, exec_lo, s8
	s_and_saveexec_b32 s8, s0
	s_cbranch_execz .LBB22_1026
.LBB22_1025:                            ;   in Loop: Header=BB22_3 Depth=1
	ds_load_b32 v24, v32 offset:15344
	ds_load_b32 v25, v1 offset:14572
	s_wait_dscnt 0x0
	v_fmac_f32_e32 v0, v24, v25
.LBB22_1026:                            ;   in Loop: Header=BB22_3 Depth=1
	s_or_b32 exec_lo, exec_lo, s8
	s_delay_alu instid0(VALU_DEP_1)
	v_xor_b32_e32 v0, 0x80000000, v0
.LBB22_1027:                            ;   in Loop: Header=BB22_3 Depth=1
	s_or_b32 exec_lo, exec_lo, s7
	s_and_saveexec_b32 s7, vcc_hi
	s_cbranch_execz .LBB22_1029
; %bb.1028:                             ;   in Loop: Header=BB22_3 Depth=1
	ds_load_b32 v24, v1 offset:15600
	s_wait_dscnt 0x0
	v_mul_f32_e32 v0, v0, v24
	ds_store_b32 v34, v0
.LBB22_1029:                            ;   in Loop: Header=BB22_3 Depth=1
	s_or_b32 exec_lo, exec_lo, s7
	s_wait_dscnt 0x0
	s_barrier_signal -1
	s_barrier_wait -1
	s_and_saveexec_b32 s7, s36
	s_cbranch_execz .LBB22_1031
; %bb.1030:                             ;   in Loop: Header=BB22_3 Depth=1
	ds_load_b32 v24, v35 offset:15600
	ds_load_b32 v25, v34
	s_wait_dscnt 0x0
	v_fmac_f32_e32 v0, v24, v25
.LBB22_1031:                            ;   in Loop: Header=BB22_3 Depth=1
	s_or_b32 exec_lo, exec_lo, s7
	s_barrier_signal -1
	s_barrier_wait -1
	s_and_saveexec_b32 s7, s37
	s_cbranch_execz .LBB22_1033
; %bb.1032:                             ;   in Loop: Header=BB22_3 Depth=1
	ds_load_b32 v24, v1 offset:15860
	s_wait_dscnt 0x0
	v_mul_f32_e32 v0, v0, v24
	ds_store_b32 v34, v0
.LBB22_1033:                            ;   in Loop: Header=BB22_3 Depth=1
	s_or_b32 exec_lo, exec_lo, s7
	s_wait_dscnt 0x0
	s_barrier_signal -1
	s_barrier_wait -1
	s_and_saveexec_b32 s7, s38
	s_cbranch_execz .LBB22_1035
; %bb.1034:                             ;   in Loop: Header=BB22_3 Depth=1
	ds_load_b32 v24, v35 offset:15856
	ds_load_b32 v25, v34
	s_wait_dscnt 0x0
	v_fmac_f32_e32 v0, v24, v25
.LBB22_1035:                            ;   in Loop: Header=BB22_3 Depth=1
	s_or_b32 exec_lo, exec_lo, s7
	s_barrier_signal -1
	s_barrier_wait -1
	s_and_saveexec_b32 s7, s39
	;; [unrolled: 23-line block ×3, first 2 shown]
	s_cbranch_execz .LBB22_1041
; %bb.1040:                             ;   in Loop: Header=BB22_3 Depth=1
	ds_load_b32 v24, v1 offset:16380
	s_wait_dscnt 0x0
	v_mul_f32_e32 v0, v0, v24
	ds_store_b32 v34, v0
.LBB22_1041:                            ;   in Loop: Header=BB22_3 Depth=1
	s_or_b32 exec_lo, exec_lo, s7
	s_wait_dscnt 0x0
	s_barrier_signal -1
	s_barrier_wait -1
	s_barrier_signal -1
	s_barrier_wait -1
	s_and_saveexec_b32 s7, s1
; %bb.1042:                             ;   in Loop: Header=BB22_3 Depth=1
	v_xor_b32_e32 v0, 0x80000000, v0
	ds_store_b32 v36, v0 offset:14576
; %bb.1043:                             ;   in Loop: Header=BB22_3 Depth=1
	s_or_b32 exec_lo, exec_lo, s7
	s_wait_dscnt 0x0
	s_barrier_signal -1
	s_barrier_wait -1
	s_barrier_signal -1
	s_barrier_wait -1
	s_and_saveexec_b32 s7, s15
	s_cbranch_execz .LBB22_1045
; %bb.1044:                             ;   in Loop: Header=BB22_3 Depth=1
	ds_load_b64 v[24:25], v1 offset:15600
	ds_load_b32 v0, v1 offset:15860
	s_wait_dscnt 0x0
	v_mul_f32_e32 v0, v24, v0
	s_delay_alu instid0(VALU_DEP_1)
	v_mul_f32_e32 v0, v25, v0
	ds_store_b32 v1, v0 offset:15604
.LBB22_1045:                            ;   in Loop: Header=BB22_3 Depth=1
	s_or_b32 exec_lo, exec_lo, s7
	v_mov_b32_e32 v0, 0
	s_wait_dscnt 0x0
	s_barrier_signal -1
	s_barrier_wait -1
	s_and_saveexec_b32 s7, s0
	s_cbranch_execz .LBB22_1049
; %bb.1046:                             ;   in Loop: Header=BB22_3 Depth=1
	ds_load_b32 v0, v30 offset:15608
	ds_load_b32 v24, v31 offset:15600
	s_wait_dscnt 0x0
	v_fma_f32 v0, v0, v24, 0
	s_and_saveexec_b32 s8, s16
	s_cbranch_execz .LBB22_1048
; %bb.1047:                             ;   in Loop: Header=BB22_3 Depth=1
	ds_load_b32 v24, v32 offset:15864
	ds_load_b32 v25, v1 offset:15604
	s_wait_dscnt 0x0
	v_fmac_f32_e32 v0, v24, v25
.LBB22_1048:                            ;   in Loop: Header=BB22_3 Depth=1
	s_or_b32 exec_lo, exec_lo, s8
	s_delay_alu instid0(VALU_DEP_1)
	v_xor_b32_e32 v0, 0x80000000, v0
.LBB22_1049:                            ;   in Loop: Header=BB22_3 Depth=1
	s_or_b32 exec_lo, exec_lo, s7
	s_and_saveexec_b32 s7, s103
	s_cbranch_execz .LBB22_1051
; %bb.1050:                             ;   in Loop: Header=BB22_3 Depth=1
	ds_load_b32 v24, v1 offset:16120
	s_wait_dscnt 0x0
	v_mul_f32_e32 v0, v0, v24
	ds_store_b32 v3, v0
.LBB22_1051:                            ;   in Loop: Header=BB22_3 Depth=1
	s_or_b32 exec_lo, exec_lo, s7
	s_wait_dscnt 0x0
	s_barrier_signal -1
	s_barrier_wait -1
	s_and_saveexec_b32 s7, s104
	s_cbranch_execz .LBB22_1053
; %bb.1052:                             ;   in Loop: Header=BB22_3 Depth=1
	ds_load_b32 v24, v1 offset:16124
	ds_load_b32 v25, v3
	s_wait_dscnt 0x0
	v_fmac_f32_e32 v0, v24, v25
.LBB22_1053:                            ;   in Loop: Header=BB22_3 Depth=1
	s_or_b32 exec_lo, exec_lo, s7
	s_barrier_signal -1
	s_barrier_wait -1
	s_and_saveexec_b32 s7, s104
	s_cbranch_execz .LBB22_1055
; %bb.1054:                             ;   in Loop: Header=BB22_3 Depth=1
	ds_load_b32 v24, v1 offset:16380
	s_wait_dscnt 0x0
	v_mul_f32_e32 v0, v0, v24
	ds_store_b32 v3, v0
.LBB22_1055:                            ;   in Loop: Header=BB22_3 Depth=1
	s_or_b32 exec_lo, exec_lo, s7
	s_wait_dscnt 0x0
	s_barrier_signal -1
	s_barrier_wait -1
	s_barrier_signal -1
	s_barrier_wait -1
	s_and_saveexec_b32 s7, s0
; %bb.1056:                             ;   in Loop: Header=BB22_3 Depth=1
	v_xor_b32_e32 v0, 0x80000000, v0
	ds_store_b32 v30, v0 offset:15608
; %bb.1057:                             ;   in Loop: Header=BB22_3 Depth=1
	s_or_b32 exec_lo, exec_lo, s7
	s_wait_dscnt 0x0
	s_barrier_signal -1
	s_barrier_wait -1
	s_barrier_signal -1
	s_barrier_wait -1
	s_and_saveexec_b32 s7, s15
	s_cbranch_execz .LBB22_1059
; %bb.1058:                             ;   in Loop: Header=BB22_3 Depth=1
	ds_load_b64 v[24:25], v1 offset:16120
	ds_load_b32 v0, v1 offset:16380
	s_wait_dscnt 0x0
	v_mul_f32_e32 v0, v24, v0
	s_delay_alu instid0(VALU_DEP_1)
	v_mul_f32_e32 v0, v25, v0
	ds_store_b32 v1, v0 offset:16124
.LBB22_1059:                            ;   in Loop: Header=BB22_3 Depth=1
	s_or_b32 exec_lo, exec_lo, s7
.LBB22_1060:                            ;   in Loop: Header=BB22_3 Depth=1
	v_readlane_b32 s94, v76, 3
	v_readlane_b32 s95, v76, 4
	s_mul_u64 s[8:9], s[82:83], s[84:85]
	v_mov_b32_e32 v66, 0
	s_lshl_b64 s[8:9], s[8:9], 2
	s_wait_dscnt 0x0
	s_add_nc_u64 s[94:95], s[94:95], s[8:9]
	s_barrier_signal -1
	s_barrier_wait -1
	s_and_saveexec_b32 s7, s11
	s_cbranch_execz .LBB22_1062
; %bb.1061:                             ;   in Loop: Header=BB22_3 Depth=1
	v_lshl_add_u64 v[24:25], v[10:11], 2, s[94:95]
	v_readlane_b32 s8, v76, 0
	global_load_b32 v0, v[24:25], off
	s_wait_loadcnt 0x0
	v_mul_f32_e64 v66, v0, -s8
.LBB22_1062:                            ;   in Loop: Header=BB22_3 Depth=1
	s_or_b32 exec_lo, exec_lo, s7
	s_delay_alu instid0(SALU_CYCLE_1)
	s_and_not1_b32 vcc_lo, exec_lo, s100
	s_cbranch_vccnz .LBB22_1088
; %bb.1063:                             ;   in Loop: Header=BB22_3 Depth=1
	v_lshl_add_u64 v[24:25], v[6:7], 2, s[92:93]
	v_mov_b32_e32 v67, -1
	s_lshl_b64 s[8:9], s[84:85], 2
	s_mov_b32 s7, 0
	s_add_nc_u64 s[92:93], s[86:87], s[8:9]
	s_branch .LBB22_1066
.LBB22_1064:                            ;   in Loop: Header=BB22_1066 Depth=2
	s_wait_xcnt 0x0
	ds_load_b32 v26, v5 offset:192
	s_wait_loadcnt_dscnt 0x0
	v_fmac_f32_e32 v66, v0, v26
.LBB22_1065:                            ;   in Loop: Header=BB22_1066 Depth=2
	s_or_b32 exec_lo, exec_lo, s8
	s_add_co_i32 s7, s7, 1
	s_delay_alu instid0(SALU_CYCLE_1)
	s_cmp_eq_u32 s7, s99
	s_cbranch_scc1 .LBB22_1088
.LBB22_1066:                            ;   Parent Loop BB22_3 Depth=1
                                        ; =>  This Loop Header: Depth=2
                                        ;       Child Loop BB22_1068 Depth 3
	v_cmp_gt_i32_e32 vcc_lo, s7, v67
	s_and_b32 s9, s59, vcc_lo
	s_delay_alu instid0(SALU_CYCLE_1)
	s_and_saveexec_b32 s8, s9
	s_cbranch_execz .LBB22_1069
; %bb.1067:                             ;   in Loop: Header=BB22_1066 Depth=2
	global_load_b32 v67, v1, s[92:93]
	s_wait_loadcnt 0x0
	v_cmp_le_i32_e32 vcc_lo, s7, v67
	s_cbranch_vccnz .LBB22_1069
.LBB22_1068:                            ;   Parent Loop BB22_3 Depth=1
                                        ;     Parent Loop BB22_1066 Depth=2
                                        ; =>    This Inner Loop Header: Depth=3
	global_wb scope:SCOPE_DEV
	s_wait_storecnt 0x0
	global_inv scope:SCOPE_DEV
	global_load_b32 v67, v1, s[92:93]
	s_wait_loadcnt 0x0
	v_cmp_gt_i32_e32 vcc_lo, s7, v67
	s_cbranch_vccnz .LBB22_1068
.LBB22_1069:                            ;   in Loop: Header=BB22_1066 Depth=2
	s_or_b32 exec_lo, exec_lo, s8
	s_lshl_b32 s69, s7, 6
	global_wb scope:SCOPE_DEV
	s_wait_storecnt 0x0
	global_inv scope:SCOPE_DEV
	s_wait_loadcnt 0x0
	s_barrier_signal -1
	s_barrier_wait -1
	s_and_saveexec_b32 s8, s60
	s_cbranch_execz .LBB22_1073
; %bb.1070:                             ;   in Loop: Header=BB22_1066 Depth=2
	v_dual_mov_b32 v26, 0 :: v_dual_bitop2_b32 v0, s69, v4 bitop3:0x54
	s_mov_b32 s9, exec_lo
	s_delay_alu instid0(VALU_DEP_1)
	v_cmpx_gt_i32_e64 s97, v0
	s_cbranch_execz .LBB22_1072
; %bb.1071:                             ;   in Loop: Header=BB22_1066 Depth=2
	v_mul_u64_e32 v[26:27], s[80:81], v[0:1]
	s_delay_alu instid0(VALU_DEP_1)
	v_lshl_add_u64 v[26:27], v[26:27], 2, s[94:95]
	global_load_b32 v26, v[26:27], off
.LBB22_1072:                            ;   in Loop: Header=BB22_1066 Depth=2
	s_wait_xcnt 0x0
	s_or_b32 exec_lo, exec_lo, s9
	s_wait_loadcnt 0x0
	ds_store_b32 v53, v26
.LBB22_1073:                            ;   in Loop: Header=BB22_1066 Depth=2
	s_or_b32 exec_lo, exec_lo, s8
	v_add_nc_u32_e32 v0, s69, v28
	v_cmp_ne_u32_e32 vcc_lo, s7, v29
	s_wait_dscnt 0x0
	s_barrier_signal -1
	s_barrier_wait -1
	v_mul_u64_e32 v[26:27], s[72:73], v[0:1]
	v_cmp_gt_i32_e64 s69, s97, v0
	v_cndmask_b32_e64 v68, 0, 1, vcc_lo
	s_and_b32 s9, s6, s69
	v_lshl_add_u64 v[26:27], v[26:27], 2, v[24:25]
	s_and_saveexec_b32 s8, s9
	s_cbranch_execz .LBB22_1077
; %bb.1074:                             ;   in Loop: Header=BB22_1066 Depth=2
	v_mov_b32_e32 v69, v62
	s_and_not1_b32 vcc_lo, exec_lo, vcc_lo
	s_cbranch_vccnz .LBB22_1076
; %bb.1075:                             ;   in Loop: Header=BB22_1066 Depth=2
	global_load_b32 v69, v[26:27], off
.LBB22_1076:                            ;   in Loop: Header=BB22_1066 Depth=2
	ds_load_b32 v70, v5
	s_wait_loadcnt_dscnt 0x0
	v_fmac_f32_e32 v66, v69, v70
.LBB22_1077:                            ;   in Loop: Header=BB22_1066 Depth=2
	s_or_b32 exec_lo, exec_lo, s8
	v_add_nc_u32_e32 v69, 16, v0
	s_delay_alu instid0(VALU_DEP_1) | instskip(SKIP_1) | instid1(SALU_CYCLE_1)
	v_cmp_gt_i32_e32 vcc_lo, s97, v69
	s_and_b32 s9, s6, vcc_lo
	s_and_saveexec_b32 s8, s9
	s_cbranch_execz .LBB22_1081
; %bb.1078:                             ;   in Loop: Header=BB22_1066 Depth=2
	v_cmp_ne_u32_e32 vcc_lo, 1, v68
	v_mov_b32_e32 v69, v63
	s_cbranch_vccnz .LBB22_1080
; %bb.1079:                             ;   in Loop: Header=BB22_1066 Depth=2
	v_add_nc_u64_e32 v[70:71], s[78:79], v[26:27]
	global_load_b32 v69, v[70:71], off
.LBB22_1080:                            ;   in Loop: Header=BB22_1066 Depth=2
	s_wait_xcnt 0x0
	ds_load_b32 v70, v5 offset:64
	s_wait_loadcnt_dscnt 0x0
	v_fmac_f32_e32 v66, v69, v70
.LBB22_1081:                            ;   in Loop: Header=BB22_1066 Depth=2
	s_or_b32 exec_lo, exec_lo, s8
	v_add_nc_u32_e32 v69, 32, v0
	s_delay_alu instid0(VALU_DEP_1) | instskip(SKIP_1) | instid1(SALU_CYCLE_1)
	v_cmp_gt_i32_e32 vcc_lo, s97, v69
	s_and_b32 s9, s6, vcc_lo
	s_and_saveexec_b32 s8, s9
	s_cbranch_execz .LBB22_1085
; %bb.1082:                             ;   in Loop: Header=BB22_1066 Depth=2
	v_cmp_ne_u32_e32 vcc_lo, 1, v68
	v_mov_b32_e32 v69, v64
	s_cbranch_vccnz .LBB22_1084
; %bb.1083:                             ;   in Loop: Header=BB22_1066 Depth=2
	v_add_nc_u64_e32 v[70:71], s[88:89], v[26:27]
	global_load_b32 v69, v[70:71], off
.LBB22_1084:                            ;   in Loop: Header=BB22_1066 Depth=2
	s_wait_xcnt 0x0
	ds_load_b32 v70, v5 offset:128
	s_wait_loadcnt_dscnt 0x0
	v_fmac_f32_e32 v66, v69, v70
.LBB22_1085:                            ;   in Loop: Header=BB22_1066 Depth=2
	s_or_b32 exec_lo, exec_lo, s8
	v_add_nc_u32_e32 v0, 48, v0
	s_delay_alu instid0(VALU_DEP_1) | instskip(SKIP_1) | instid1(SALU_CYCLE_1)
	v_cmp_gt_i32_e32 vcc_lo, s97, v0
	s_and_b32 s9, s6, vcc_lo
	s_and_saveexec_b32 s8, s9
	s_cbranch_execz .LBB22_1065
; %bb.1086:                             ;   in Loop: Header=BB22_1066 Depth=2
	v_cmp_ne_u32_e32 vcc_lo, 1, v68
	v_mov_b32_e32 v0, v65
	s_cbranch_vccnz .LBB22_1064
; %bb.1087:                             ;   in Loop: Header=BB22_1066 Depth=2
	v_add_nc_u64_e32 v[26:27], s[90:91], v[26:27]
	global_load_b32 v0, v[26:27], off
	s_branch .LBB22_1064
.LBB22_1088:                            ;   in Loop: Header=BB22_3 Depth=1
	ds_store_b32 v54, v66
	s_wait_dscnt 0x0
	s_barrier_signal -1
	s_barrier_wait -1
	s_and_saveexec_b32 s7, s5
	s_cbranch_execz .LBB22_1090
; %bb.1089:                             ;   in Loop: Header=BB22_3 Depth=1
	ds_load_2addr_stride64_b32 v[24:25], v55 offset0:1 offset1:2
	ds_load_2addr_stride64_b32 v[26:27], v55 offset0:3 offset1:4
	;; [unrolled: 1-line block ×4, first 2 shown]
	v_readlane_b32 s8, v74, 3
	s_wait_dscnt 0x3
	v_add_f32_e32 v0, v66, v24
	s_delay_alu instid0(VALU_DEP_1) | instskip(SKIP_3) | instid1(VALU_DEP_1)
	v_add_f32_e32 v0, v0, v25
	ds_load_2addr_stride64_b32 v[24:25], v55 offset0:9 offset1:10
	s_wait_dscnt 0x3
	v_add_f32_e32 v0, v0, v26
	v_add_f32_e32 v0, v0, v27
	ds_load_2addr_stride64_b32 v[26:27], v55 offset0:11 offset1:12
	s_wait_dscnt 0x3
	v_add_f32_e32 v0, v0, v68
	ds_load_2addr_stride64_b32 v[66:67], v55 offset0:13 offset1:14
	ds_load_b32 v68, v55 offset:3840
	v_add_f32_e32 v0, v0, v69
	s_wait_dscnt 0x4
	s_delay_alu instid0(VALU_DEP_1) | instskip(NEXT) | instid1(VALU_DEP_1)
	v_add_f32_e32 v0, v0, v70
	v_add_f32_e32 v0, v0, v71
	s_wait_dscnt 0x3
	s_delay_alu instid0(VALU_DEP_1) | instskip(NEXT) | instid1(VALU_DEP_1)
	v_add_f32_e32 v0, v0, v24
	;; [unrolled: 4-line block ×5, first 2 shown]
	v_cndmask_b32_e64 v66, -v0, 0, s8
.LBB22_1090:                            ;   in Loop: Header=BB22_3 Depth=1
	s_or_b32 exec_lo, exec_lo, s7
	s_delay_alu instid0(SALU_CYCLE_1)
	s_and_not1_b32 vcc_lo, exec_lo, s102
	s_cbranch_vccnz .LBB22_1103
; %bb.1091:                             ;   in Loop: Header=BB22_3 Depth=1
	s_and_saveexec_b32 s7, s5
; %bb.1092:                             ;   in Loop: Header=BB22_3 Depth=1
	ds_store_b32 v57, v66
; %bb.1093:                             ;   in Loop: Header=BB22_3 Depth=1
	s_or_b32 exec_lo, exec_lo, s7
	v_mov_b32_e32 v0, 0
	s_wait_dscnt 0x0
	s_barrier_signal -1
	s_barrier_wait -1
	s_mov_b32 s7, exec_lo
	v_readlane_b32 s8, v73, 26
	s_and_b32 s8, s7, s8
	s_delay_alu instid0(SALU_CYCLE_1)
	s_mov_b32 exec_lo, s8
	s_cbranch_execz .LBB22_1095
; %bb.1094:                             ;   in Loop: Header=BB22_3 Depth=1
	ds_load_b32 v0, v56
	ds_load_b32 v24, v5
	s_wait_dscnt 0x0
	v_fma_f32 v0, v0, v24, 0
.LBB22_1095:                            ;   in Loop: Header=BB22_3 Depth=1
	s_or_b32 exec_lo, exec_lo, s7
	s_delay_alu instid0(SALU_CYCLE_1) | instskip(SKIP_2) | instid1(SALU_CYCLE_1)
	s_mov_b32 s7, exec_lo
	v_readlane_b32 s8, v73, 27
	s_and_b32 s8, s7, s8
	s_mov_b32 exec_lo, s8
	s_cbranch_execz .LBB22_1097
; %bb.1096:                             ;   in Loop: Header=BB22_3 Depth=1
	ds_load_b32 v24, v56 offset:4096
	ds_load_b32 v25, v5 offset:64
	s_wait_dscnt 0x0
	v_fmac_f32_e32 v0, v24, v25
.LBB22_1097:                            ;   in Loop: Header=BB22_3 Depth=1
	s_or_b32 exec_lo, exec_lo, s7
	s_delay_alu instid0(SALU_CYCLE_1) | instskip(SKIP_2) | instid1(SALU_CYCLE_1)
	s_mov_b32 s7, exec_lo
	v_readlane_b32 s8, v73, 28
	s_and_b32 s8, s7, s8
	s_mov_b32 exec_lo, s8
	s_cbranch_execz .LBB22_1099
; %bb.1098:                             ;   in Loop: Header=BB22_3 Depth=1
	ds_load_b32 v24, v56 offset:8192
	ds_load_b32 v25, v5 offset:128
	s_wait_dscnt 0x0
	v_fmac_f32_e32 v0, v24, v25
.LBB22_1099:                            ;   in Loop: Header=BB22_3 Depth=1
	;; [unrolled: 13-line block ×3, first 2 shown]
	s_or_b32 exec_lo, exec_lo, s7
	s_mov_b32 s7, 0
	s_mov_b32 s69, 0
	ds_store_b32 v54, v0
	s_wait_dscnt 0x0
	s_barrier_signal -1
	s_barrier_wait -1
                                        ; implicit-def: $vgpr24
	s_and_saveexec_b32 s92, s5
	s_cbranch_execz .LBB22_1139
; %bb.1102:                             ;   in Loop: Header=BB22_3 Depth=1
	ds_load_2addr_stride64_b32 v[24:25], v55 offset0:1 offset1:2
	ds_load_2addr_stride64_b32 v[26:27], v55 offset0:3 offset1:4
	;; [unrolled: 1-line block ×4, first 2 shown]
	s_mov_b32 s69, exec_lo
	s_wait_dscnt 0x3
	v_add_f32_e32 v0, v0, v24
	s_delay_alu instid0(VALU_DEP_1) | instskip(SKIP_3) | instid1(VALU_DEP_1)
	v_add_f32_e32 v0, v25, v0
	ds_load_2addr_stride64_b32 v[24:25], v55 offset0:9 offset1:10
	s_wait_dscnt 0x3
	v_add_f32_e32 v0, v26, v0
	v_add_f32_e32 v0, v27, v0
	ds_load_2addr_stride64_b32 v[26:27], v55 offset0:11 offset1:12
	s_wait_dscnt 0x3
	v_add_f32_e32 v0, v68, v0
	s_delay_alu instid0(VALU_DEP_1) | instskip(SKIP_4) | instid1(VALU_DEP_1)
	v_add_f32_e32 v0, v69, v0
	ds_load_2addr_stride64_b32 v[68:69], v55 offset0:13 offset1:14
	ds_load_b32 v67, v55 offset:3840
	s_wait_dscnt 0x4
	v_add_f32_e32 v0, v70, v0
	v_add_f32_e32 v0, v71, v0
	s_wait_dscnt 0x3
	s_delay_alu instid0(VALU_DEP_1) | instskip(NEXT) | instid1(VALU_DEP_1)
	v_add_f32_e32 v0, v24, v0
	v_add_f32_e32 v0, v25, v0
	s_wait_dscnt 0x2
	s_delay_alu instid0(VALU_DEP_1) | instskip(NEXT) | instid1(VALU_DEP_1)
	;; [unrolled: 4-line block ×3, first 2 shown]
	v_add_f32_e32 v0, v68, v0
	v_add_f32_e32 v0, v69, v0
	s_wait_dscnt 0x0
	s_delay_alu instid0(VALU_DEP_1) | instskip(SKIP_1) | instid1(SALU_CYCLE_1)
	v_add_f32_e32 v24, v67, v0
	s_or_b32 exec_lo, exec_lo, s92
	s_and_b32 vcc_lo, exec_lo, s7
	s_cbranch_vccnz .LBB22_1104
	s_branch .LBB22_1140
.LBB22_1103:                            ;   in Loop: Header=BB22_3 Depth=1
	s_mov_b32 s69, 0
                                        ; implicit-def: $vgpr24
	s_cbranch_execz .LBB22_1140
.LBB22_1104:                            ;   in Loop: Header=BB22_3 Depth=1
	v_dual_mov_b32 v0, v2 :: v_dual_mov_b32 v24, v32
	s_mov_b32 s7, 0
	s_branch .LBB22_1106
.LBB22_1105:                            ;   in Loop: Header=BB22_1106 Depth=2
	s_or_b32 exec_lo, exec_lo, s8
	v_add_nc_u32_e32 v24, 0x400, v24
	v_add_nc_u32_e32 v0, -4, v0
	s_add_co_i32 s7, s7, 4
	s_delay_alu instid0(SALU_CYCLE_1)
	s_cmp_lg_u32 s7, 64
	s_barrier_signal -1
	s_barrier_wait -1
	s_cbranch_scc0 .LBB22_1122
.LBB22_1106:                            ;   Parent Loop BB22_3 Depth=1
                                        ; =>  This Inner Loop Header: Depth=2
	s_delay_alu instid0(VALU_DEP_1) | instskip(SKIP_1) | instid1(SALU_CYCLE_1)
	v_cmp_eq_u32_e32 vcc_lo, 0, v0
	s_and_b32 s9, s5, vcc_lo
	s_and_saveexec_b32 s8, s9
	s_cbranch_execz .LBB22_1108
; %bb.1107:                             ;   in Loop: Header=BB22_1106 Depth=2
	ds_load_b32 v25, v58
	s_wait_dscnt 0x0
	v_mul_f32_e32 v66, v66, v25
	ds_store_b32 v1, v66 offset:20736
.LBB22_1108:                            ;   in Loop: Header=BB22_1106 Depth=2
	s_or_b32 exec_lo, exec_lo, s8
	v_cmp_lt_u32_e32 vcc_lo, s7, v2
	s_wait_dscnt 0x0
	s_barrier_signal -1
	s_barrier_wait -1
	s_and_b32 s9, s5, vcc_lo
	s_delay_alu instid0(SALU_CYCLE_1)
	s_and_saveexec_b32 s8, s9
	s_cbranch_execz .LBB22_1110
; %bb.1109:                             ;   in Loop: Header=BB22_1106 Depth=2
	ds_load_b32 v25, v24
	ds_load_b32 v26, v1 offset:20736
	s_wait_dscnt 0x0
	v_fmac_f32_e32 v66, v25, v26
.LBB22_1110:                            ;   in Loop: Header=BB22_1106 Depth=2
	s_or_b32 exec_lo, exec_lo, s8
	s_or_b32 s8, s7, 1
	s_delay_alu instid0(SALU_CYCLE_1) | instskip(SKIP_3) | instid1(SALU_CYCLE_1)
	v_cmp_eq_u32_e32 vcc_lo, s8, v2
	s_barrier_signal -1
	s_barrier_wait -1
	s_and_b32 s92, s5, vcc_lo
	s_and_saveexec_b32 s9, s92
	s_cbranch_execz .LBB22_1112
; %bb.1111:                             ;   in Loop: Header=BB22_1106 Depth=2
	ds_load_b32 v25, v58
	s_wait_dscnt 0x0
	v_mul_f32_e32 v66, v66, v25
	ds_store_b32 v1, v66 offset:20736
.LBB22_1112:                            ;   in Loop: Header=BB22_1106 Depth=2
	s_or_b32 exec_lo, exec_lo, s9
	v_cmp_lt_u32_e32 vcc_lo, s8, v2
	s_wait_dscnt 0x0
	s_barrier_signal -1
	s_barrier_wait -1
	s_and_b32 s9, s5, vcc_lo
	s_delay_alu instid0(SALU_CYCLE_1)
	s_and_saveexec_b32 s8, s9
	s_cbranch_execz .LBB22_1114
; %bb.1113:                             ;   in Loop: Header=BB22_1106 Depth=2
	ds_load_b32 v25, v24 offset:256
	ds_load_b32 v26, v1 offset:20736
	s_wait_dscnt 0x0
	v_fmac_f32_e32 v66, v25, v26
.LBB22_1114:                            ;   in Loop: Header=BB22_1106 Depth=2
	s_or_b32 exec_lo, exec_lo, s8
	s_or_b32 s8, s7, 2
	s_delay_alu instid0(SALU_CYCLE_1) | instskip(SKIP_3) | instid1(SALU_CYCLE_1)
	v_cmp_eq_u32_e32 vcc_lo, s8, v2
	s_barrier_signal -1
	s_barrier_wait -1
	s_and_b32 s92, s5, vcc_lo
	s_and_saveexec_b32 s9, s92
	s_cbranch_execz .LBB22_1116
; %bb.1115:                             ;   in Loop: Header=BB22_1106 Depth=2
	ds_load_b32 v25, v58
	s_wait_dscnt 0x0
	v_mul_f32_e32 v66, v66, v25
	ds_store_b32 v1, v66 offset:20736
.LBB22_1116:                            ;   in Loop: Header=BB22_1106 Depth=2
	s_or_b32 exec_lo, exec_lo, s9
	v_cmp_lt_u32_e32 vcc_lo, s8, v2
	s_wait_dscnt 0x0
	s_barrier_signal -1
	s_barrier_wait -1
	s_and_b32 s9, s5, vcc_lo
	s_delay_alu instid0(SALU_CYCLE_1)
	s_and_saveexec_b32 s8, s9
	s_cbranch_execz .LBB22_1118
; %bb.1117:                             ;   in Loop: Header=BB22_1106 Depth=2
	ds_load_b32 v25, v24 offset:512
	ds_load_b32 v26, v1 offset:20736
	s_wait_dscnt 0x0
	v_fmac_f32_e32 v66, v25, v26
.LBB22_1118:                            ;   in Loop: Header=BB22_1106 Depth=2
	s_or_b32 exec_lo, exec_lo, s8
	s_or_b32 s8, s7, 3
	s_delay_alu instid0(SALU_CYCLE_1) | instskip(SKIP_3) | instid1(SALU_CYCLE_1)
	v_cmp_eq_u32_e32 vcc_lo, s8, v2
	s_barrier_signal -1
	s_barrier_wait -1
	s_and_b32 s92, s5, vcc_lo
	s_and_saveexec_b32 s9, s92
	s_cbranch_execz .LBB22_1120
; %bb.1119:                             ;   in Loop: Header=BB22_1106 Depth=2
	ds_load_b32 v25, v58
	s_wait_dscnt 0x0
	v_mul_f32_e32 v66, v66, v25
	ds_store_b32 v1, v66 offset:20736
.LBB22_1120:                            ;   in Loop: Header=BB22_1106 Depth=2
	s_or_b32 exec_lo, exec_lo, s9
	v_cmp_lt_u32_e32 vcc_lo, s8, v2
	s_wait_dscnt 0x0
	s_barrier_signal -1
	s_barrier_wait -1
	s_and_b32 s9, s5, vcc_lo
	s_delay_alu instid0(SALU_CYCLE_1)
	s_and_saveexec_b32 s8, s9
	s_cbranch_execz .LBB22_1105
; %bb.1121:                             ;   in Loop: Header=BB22_1106 Depth=2
	ds_load_b32 v25, v24 offset:768
	ds_load_b32 v26, v1 offset:20736
	s_wait_dscnt 0x0
	v_fmac_f32_e32 v66, v25, v26
	s_branch .LBB22_1105
.LBB22_1122:                            ;   in Loop: Header=BB22_3 Depth=1
	s_and_b32 vcc_lo, exec_lo, s101
	s_mov_b32 s7, -1
	s_cbranch_vccz .LBB22_1124
; %bb.1123:                             ;   in Loop: Header=BB22_3 Depth=1
	s_and_not1_b32 s8, s69, exec_lo
	s_and_b32 s9, s5, exec_lo
	s_mov_b32 s7, 0
	s_or_b32 s69, s8, s9
.LBB22_1124:                            ;   in Loop: Header=BB22_3 Depth=1
	s_and_not1_b32 vcc_lo, exec_lo, s7
	s_cbranch_vccnz .LBB22_1126
; %bb.1125:                             ;   in Loop: Header=BB22_3 Depth=1
	v_readlane_b32 s8, v74, 4
	s_and_not1_b32 s7, s69, exec_lo
	s_and_b32 s8, s8, exec_lo
	s_delay_alu instid0(SALU_CYCLE_1)
	s_or_b32 s69, s7, s8
.LBB22_1126:                            ;   in Loop: Header=BB22_3 Depth=1
	v_mov_b64_e32 v[24:25], v[14:15]
	s_and_saveexec_b32 s7, s69
	s_cbranch_execnz .LBB22_1141
	s_branch .LBB22_1142
.LBB22_1127:                            ;   in Loop: Header=BB22_3 Depth=1
	s_mov_b32 s8, exec_lo
	v_readlane_b32 s9, v74, 17
	s_and_b32 s9, s8, s9
	s_delay_alu instid0(SALU_CYCLE_1)
	s_xor_b32 s8, s9, s8
	s_mov_b32 exec_lo, s9
	s_cbranch_execz .LBB22_1129
; %bb.1128:                             ;   in Loop: Header=BB22_3 Depth=1
	v_readlane_b32 s9, v73, 30
	s_and_b32 s69, s9, exec_lo
.LBB22_1129:                            ;   in Loop: Header=BB22_3 Depth=1
	s_or_saveexec_b32 s94, s8
	v_mov_b32_e32 v0, 0
	s_xor_b32 exec_lo, exec_lo, s94
	s_cbranch_execz .LBB22_1131
; %bb.1130:                             ;   in Loop: Header=BB22_3 Depth=1
	v_lshl_add_u64 v[24:25], v[16:17], 2, s[92:93]
	s_or_b32 s69, s69, exec_lo
	global_load_b32 v0, v[24:25], off
	s_wait_loadcnt 0x0
	v_div_scale_f32 v24, null, v0, v0, 1.0
	s_delay_alu instid0(VALU_DEP_1) | instskip(SKIP_1) | instid1(TRANS32_DEP_1)
	v_rcp_f32_e32 v25, v24
	v_nop
	v_fma_f32 v26, -v24, v25, 1.0
	s_delay_alu instid0(VALU_DEP_1) | instskip(SKIP_1) | instid1(VALU_DEP_1)
	v_fmac_f32_e32 v25, v26, v25
	v_div_scale_f32 v26, vcc_lo, 1.0, v0, 1.0
	v_mul_f32_e32 v27, v26, v25
	s_delay_alu instid0(VALU_DEP_1) | instskip(NEXT) | instid1(VALU_DEP_1)
	v_fma_f32 v66, -v24, v27, v26
	v_fmac_f32_e32 v27, v66, v25
	s_delay_alu instid0(VALU_DEP_1) | instskip(NEXT) | instid1(VALU_DEP_1)
	v_fma_f32 v24, -v24, v27, v26
	v_div_fmas_f32 v24, v24, v25, v27
	s_delay_alu instid0(VALU_DEP_1)
	v_div_fixup_f32 v0, v24, v0, 1.0
.LBB22_1131:                            ;   in Loop: Header=BB22_3 Depth=1
	s_or_b32 exec_lo, exec_lo, s94
	s_delay_alu instid0(SALU_CYCLE_1)
	s_and_b32 s69, s69, exec_lo
	s_and_not1_saveexec_b32 s7, s7
	s_cbranch_execz .LBB22_17
.LBB22_1132:                            ;   in Loop: Header=BB22_3 Depth=1
	v_lshl_add_u64 v[24:25], v[16:17], 2, s[92:93]
	s_or_b32 s69, s69, exec_lo
	global_load_b32 v0, v[24:25], off
	s_wait_loadcnt 0x0
	v_xor_b32_e32 v0, 0x80000000, v0
	s_or_b32 exec_lo, exec_lo, s7
	s_and_saveexec_b32 s7, s69
	s_cbranch_execnz .LBB22_18
	s_branch .LBB22_19
.LBB22_1133:                            ;   in Loop: Header=BB22_3 Depth=1
	s_mov_b32 s8, exec_lo
	v_readlane_b32 s9, v74, 18
	s_and_b32 s9, s8, s9
	s_delay_alu instid0(SALU_CYCLE_1)
	s_xor_b32 s8, s9, s8
	s_mov_b32 exec_lo, s9
	s_cbranch_execz .LBB22_1135
; %bb.1134:                             ;   in Loop: Header=BB22_3 Depth=1
	v_readlane_b32 s9, v73, 30
	s_and_b32 s69, s9, exec_lo
.LBB22_1135:                            ;   in Loop: Header=BB22_3 Depth=1
	s_or_saveexec_b32 s94, s8
	v_mov_b32_e32 v0, 0
	s_xor_b32 exec_lo, exec_lo, s94
	s_cbranch_execz .LBB22_1137
; %bb.1136:                             ;   in Loop: Header=BB22_3 Depth=1
	v_lshl_add_u64 v[24:25], v[16:17], 2, s[92:93]
	s_or_b32 s69, s69, exec_lo
	global_load_b32 v0, v[24:25], off
	s_wait_loadcnt 0x0
	v_div_scale_f32 v24, null, v0, v0, 1.0
	s_delay_alu instid0(VALU_DEP_1) | instskip(SKIP_1) | instid1(TRANS32_DEP_1)
	v_rcp_f32_e32 v25, v24
	v_nop
	v_fma_f32 v26, -v24, v25, 1.0
	s_delay_alu instid0(VALU_DEP_1) | instskip(SKIP_1) | instid1(VALU_DEP_1)
	v_fmac_f32_e32 v25, v26, v25
	v_div_scale_f32 v26, vcc_lo, 1.0, v0, 1.0
	v_mul_f32_e32 v27, v26, v25
	s_delay_alu instid0(VALU_DEP_1) | instskip(NEXT) | instid1(VALU_DEP_1)
	v_fma_f32 v66, -v24, v27, v26
	v_fmac_f32_e32 v27, v66, v25
	s_delay_alu instid0(VALU_DEP_1) | instskip(NEXT) | instid1(VALU_DEP_1)
	v_fma_f32 v24, -v24, v27, v26
	v_div_fmas_f32 v24, v24, v25, v27
	s_delay_alu instid0(VALU_DEP_1)
	v_div_fixup_f32 v0, v24, v0, 1.0
.LBB22_1137:                            ;   in Loop: Header=BB22_3 Depth=1
	s_or_b32 exec_lo, exec_lo, s94
	s_delay_alu instid0(SALU_CYCLE_1)
	s_and_b32 s69, s69, exec_lo
	s_and_not1_saveexec_b32 s7, s7
	s_cbranch_execz .LBB22_52
.LBB22_1138:                            ;   in Loop: Header=BB22_3 Depth=1
	v_lshl_add_u64 v[24:25], v[16:17], 2, s[92:93]
	s_or_b32 s69, s69, exec_lo
	global_load_b32 v0, v[24:25], off
	s_wait_loadcnt 0x0
	v_xor_b32_e32 v0, 0x80000000, v0
	s_or_b32 exec_lo, exec_lo, s7
	s_and_saveexec_b32 s7, s69
	s_cbranch_execnz .LBB22_53
	s_branch .LBB22_54
.LBB22_1139:                            ;   in Loop: Header=BB22_3 Depth=1
	s_or_b32 exec_lo, exec_lo, s92
	s_delay_alu instid0(SALU_CYCLE_1)
	s_and_b32 vcc_lo, exec_lo, s7
	s_cbranch_vccnz .LBB22_1104
.LBB22_1140:                            ;   in Loop: Header=BB22_3 Depth=1
	v_mov_b32_e32 v66, v24
	v_mov_b64_e32 v[24:25], v[12:13]
	s_and_saveexec_b32 s7, s69
	s_cbranch_execz .LBB22_1142
.LBB22_1141:                            ;   in Loop: Header=BB22_3 Depth=1
	s_delay_alu instid0(VALU_DEP_1)
	v_lshl_add_u64 v[24:25], v[24:25], 2, s[94:95]
	global_store_b32 v[24:25], v66, off
.LBB22_1142:                            ;   in Loop: Header=BB22_3 Depth=1
	s_wait_xcnt 0x0
	s_or_b32 exec_lo, exec_lo, s7
	global_wb scope:SCOPE_DEV
	s_wait_storecnt 0x0
	global_inv scope:SCOPE_DEV
	s_wait_loadcnt 0x0
	s_barrier_signal -1
	s_barrier_wait -1
	s_and_saveexec_b32 s7, s59
	s_cbranch_execz .LBB22_2
; %bb.1143:                             ;   in Loop: Header=BB22_3 Depth=1
	s_lshl_b64 s[8:9], s[84:85], 2
	s_delay_alu instid0(SALU_CYCLE_1)
	s_add_nc_u64 s[8:9], s[86:87], s[8:9]
	global_load_b32 v0, v1, s[8:9]
	s_wait_loadcnt 0x0
	v_add_nc_u32_e32 v0, 1, v0
	global_store_b32 v1, v0, s[8:9]
	s_branch .LBB22_2
.LBB22_1144:                            ;   in Loop: Header=BB22_3 Depth=1
	ds_load_b32 v24, v37 offset:272
	ds_load_b32 v25, v33 offset:4
	s_wait_dscnt 0x0
	v_fmac_f32_e32 v0, v24, v25
	s_or_b32 exec_lo, exec_lo, s8
	s_and_saveexec_b32 s8, s18
	s_cbranch_execz .LBB22_105
.LBB22_1145:                            ;   in Loop: Header=BB22_3 Depth=1
	ds_load_b32 v24, v36 offset:528
	ds_load_b32 v25, v33 offset:8
	s_wait_dscnt 0x0
	v_fmac_f32_e32 v0, v24, v25
	s_or_b32 exec_lo, exec_lo, s8
	s_and_saveexec_b32 s8, s0
	s_cbranch_execnz .LBB22_106
	s_branch .LBB22_107
.LBB22_1146:                            ;   in Loop: Header=BB22_3 Depth=1
	ds_load_b32 v24, v42 offset:288
	ds_load_b32 v25, v38 offset:4
	s_wait_dscnt 0x0
	v_fmac_f32_e32 v0, v24, v25
	s_or_b32 exec_lo, exec_lo, s8
	s_and_saveexec_b32 s8, s20
	s_cbranch_execz .LBB22_143
.LBB22_1147:                            ;   in Loop: Header=BB22_3 Depth=1
	ds_load_b32 v24, v42 offset:544
	ds_load_b32 v25, v38 offset:8
	s_wait_dscnt 0x0
	v_fmac_f32_e32 v0, v24, v25
	s_or_b32 exec_lo, exec_lo, s8
	s_and_saveexec_b32 s8, s21
	s_cbranch_execz .LBB22_144
.LBB22_1148:                            ;   in Loop: Header=BB22_3 Depth=1
	ds_load_b32 v24, v42 offset:800
	ds_load_b32 v25, v38 offset:12
	s_wait_dscnt 0x0
	v_fmac_f32_e32 v0, v24, v25
	s_or_b32 exec_lo, exec_lo, s8
	s_and_saveexec_b32 s8, s22
	s_cbranch_execz .LBB22_145
.LBB22_1149:                            ;   in Loop: Header=BB22_3 Depth=1
	ds_load_b32 v24, v41 offset:1056
	ds_load_b32 v25, v38 offset:16
	s_wait_dscnt 0x0
	v_fmac_f32_e32 v0, v24, v25
	s_or_b32 exec_lo, exec_lo, s8
	s_and_saveexec_b32 s8, s23
	s_cbranch_execz .LBB22_146
.LBB22_1150:                            ;   in Loop: Header=BB22_3 Depth=1
	ds_load_b32 v24, v42 offset:1312
	ds_load_b32 v25, v38 offset:20
	s_wait_dscnt 0x0
	v_fmac_f32_e32 v0, v24, v25
	s_or_b32 exec_lo, exec_lo, s8
	s_and_saveexec_b32 s8, s1
	s_cbranch_execz .LBB22_147
.LBB22_1151:                            ;   in Loop: Header=BB22_3 Depth=1
	ds_load_b32 v24, v41 offset:1568
	ds_load_b32 v25, v38 offset:24
	s_wait_dscnt 0x0
	v_fmac_f32_e32 v0, v24, v25
	s_or_b32 exec_lo, exec_lo, s8
	s_and_saveexec_b32 s8, s18
	s_cbranch_execnz .LBB22_148
	s_branch .LBB22_149
.LBB22_1152:                            ;   in Loop: Header=BB22_3 Depth=1
	ds_load_b32 v24, v37 offset:2352
	ds_load_b32 v25, v33 offset:2084
	s_wait_dscnt 0x0
	v_fmac_f32_e32 v0, v24, v25
	s_or_b32 exec_lo, exec_lo, s8
	s_and_saveexec_b32 s8, s18
	s_cbranch_execz .LBB22_201
.LBB22_1153:                            ;   in Loop: Header=BB22_3 Depth=1
	ds_load_b32 v24, v36 offset:2608
	ds_load_b32 v25, v33 offset:2088
	s_wait_dscnt 0x0
	v_fmac_f32_e32 v0, v24, v25
	s_or_b32 exec_lo, exec_lo, s8
	s_and_saveexec_b32 s8, s0
	s_cbranch_execnz .LBB22_202
	s_branch .LBB22_203
.LBB22_1154:                            ;   in Loop: Header=BB22_3 Depth=1
	ds_load_b32 v24, v47 offset:2880
	ds_load_b32 v25, v43 offset:44
	s_wait_dscnt 0x0
	v_fmac_f32_e32 v0, v24, v25
	s_or_b32 exec_lo, exec_lo, s7
	s_and_saveexec_b32 s7, s2
	s_cbranch_execz .LBB22_259
.LBB22_1155:                            ;   in Loop: Header=BB22_3 Depth=1
	ds_load_b32 v24, v46 offset:3136
	ds_load_b32 v25, v43 offset:48
	s_wait_dscnt 0x0
	v_fmac_f32_e32 v0, v24, v25
	s_or_b32 exec_lo, exec_lo, s7
	s_and_saveexec_b32 s7, s20
	s_cbranch_execz .LBB22_260
.LBB22_1156:                            ;   in Loop: Header=BB22_3 Depth=1
	ds_load_b32 v24, v47 offset:3392
	ds_load_b32 v25, v43 offset:52
	s_wait_dscnt 0x0
	v_fmac_f32_e32 v0, v24, v25
	s_or_b32 exec_lo, exec_lo, s7
	s_and_saveexec_b32 s7, s22
	s_cbranch_execz .LBB22_261
.LBB22_1157:                            ;   in Loop: Header=BB22_3 Depth=1
	ds_load_b32 v24, v46 offset:3648
	ds_load_b32 v25, v43 offset:56
	s_wait_dscnt 0x0
	v_fmac_f32_e32 v0, v24, v25
	s_or_b32 exec_lo, exec_lo, s7
	s_and_saveexec_b32 s7, s1
	s_cbranch_execnz .LBB22_262
	s_branch .LBB22_263
.LBB22_1158:                            ;   in Loop: Header=BB22_3 Depth=1
	ds_load_b32 v24, v37 offset:4432
	ds_load_b32 v25, v33 offset:4164
	s_wait_dscnt 0x0
	v_fmac_f32_e32 v0, v24, v25
	s_or_b32 exec_lo, exec_lo, s8
	s_and_saveexec_b32 s8, s18
	s_cbranch_execz .LBB22_347
.LBB22_1159:                            ;   in Loop: Header=BB22_3 Depth=1
	ds_load_b32 v24, v36 offset:4688
	ds_load_b32 v25, v33 offset:4168
	s_wait_dscnt 0x0
	v_fmac_f32_e32 v0, v24, v25
	s_or_b32 exec_lo, exec_lo, s8
	s_and_saveexec_b32 s8, s0
	s_cbranch_execnz .LBB22_348
	s_branch .LBB22_349
.LBB22_1160:                            ;   in Loop: Header=BB22_3 Depth=1
	ds_load_b32 v24, v42 offset:4448
	ds_load_b32 v25, v38 offset:4164
	s_wait_dscnt 0x0
	v_fmac_f32_e32 v0, v24, v25
	s_or_b32 exec_lo, exec_lo, s8
	s_and_saveexec_b32 s8, s20
	s_cbranch_execz .LBB22_385
.LBB22_1161:                            ;   in Loop: Header=BB22_3 Depth=1
	ds_load_b32 v24, v42 offset:4704
	ds_load_b32 v25, v38 offset:4168
	s_wait_dscnt 0x0
	v_fmac_f32_e32 v0, v24, v25
	s_or_b32 exec_lo, exec_lo, s8
	s_and_saveexec_b32 s8, s21
	s_cbranch_execz .LBB22_386
.LBB22_1162:                            ;   in Loop: Header=BB22_3 Depth=1
	ds_load_b32 v24, v42 offset:4960
	ds_load_b32 v25, v38 offset:4172
	s_wait_dscnt 0x0
	v_fmac_f32_e32 v0, v24, v25
	s_or_b32 exec_lo, exec_lo, s8
	s_and_saveexec_b32 s8, s22
	s_cbranch_execz .LBB22_387
.LBB22_1163:                            ;   in Loop: Header=BB22_3 Depth=1
	ds_load_b32 v24, v41 offset:5216
	ds_load_b32 v25, v38 offset:4176
	s_wait_dscnt 0x0
	v_fmac_f32_e32 v0, v24, v25
	s_or_b32 exec_lo, exec_lo, s8
	s_and_saveexec_b32 s8, s23
	s_cbranch_execz .LBB22_388
.LBB22_1164:                            ;   in Loop: Header=BB22_3 Depth=1
	ds_load_b32 v24, v42 offset:5472
	ds_load_b32 v25, v38 offset:4180
	s_wait_dscnt 0x0
	v_fmac_f32_e32 v0, v24, v25
	s_or_b32 exec_lo, exec_lo, s8
	s_and_saveexec_b32 s8, s1
	s_cbranch_execz .LBB22_389
.LBB22_1165:                            ;   in Loop: Header=BB22_3 Depth=1
	ds_load_b32 v24, v41 offset:5728
	ds_load_b32 v25, v38 offset:4184
	s_wait_dscnt 0x0
	v_fmac_f32_e32 v0, v24, v25
	s_or_b32 exec_lo, exec_lo, s8
	s_and_saveexec_b32 s8, s18
	s_cbranch_execnz .LBB22_390
	s_branch .LBB22_391
.LBB22_1166:                            ;   in Loop: Header=BB22_3 Depth=1
	ds_load_b32 v24, v37 offset:6512
	ds_load_b32 v25, v33 offset:6244
	s_wait_dscnt 0x0
	v_fmac_f32_e32 v0, v24, v25
	s_or_b32 exec_lo, exec_lo, s8
	s_and_saveexec_b32 s8, s18
	s_cbranch_execz .LBB22_443
.LBB22_1167:                            ;   in Loop: Header=BB22_3 Depth=1
	ds_load_b32 v24, v36 offset:6768
	ds_load_b32 v25, v33 offset:6248
	s_wait_dscnt 0x0
	v_fmac_f32_e32 v0, v24, v25
	s_or_b32 exec_lo, exec_lo, s8
	s_and_saveexec_b32 s8, s0
	s_cbranch_execnz .LBB22_444
	s_branch .LBB22_445
.LBB22_1168:                            ;   in Loop: Header=BB22_3 Depth=1
	ds_load_b32 v25, v52 offset:7296
	ds_load_b32 v26, v24 offset:112
	s_wait_dscnt 0x0
	v_fmac_f32_e32 v0, v25, v26
	s_or_b32 exec_lo, exec_lo, s7
	s_and_saveexec_b32 s7, s10
	s_cbranch_execz .LBB22_535
.LBB22_1169:                            ;   in Loop: Header=BB22_3 Depth=1
	ds_load_b32 v25, v52 offset:7552
	ds_load_b32 v26, v24 offset:116
	s_wait_dscnt 0x0
	v_fmac_f32_e32 v0, v25, v26
	s_or_b32 exec_lo, exec_lo, s7
	s_and_saveexec_b32 s7, s2
	s_cbranch_execz .LBB22_536
.LBB22_1170:                            ;   in Loop: Header=BB22_3 Depth=1
	ds_load_b32 v25, v52 offset:7808
	ds_load_b32 v24, v24 offset:120
	s_wait_dscnt 0x0
	v_fmac_f32_e32 v0, v25, v24
	s_or_b32 exec_lo, exec_lo, s7
	s_and_saveexec_b32 s7, s22
	s_cbranch_execnz .LBB22_537
	s_branch .LBB22_538
.LBB22_1171:                            ;   in Loop: Header=BB22_3 Depth=1
	ds_load_b32 v24, v37 offset:8592
	ds_load_b32 v25, v33 offset:8324
	s_wait_dscnt 0x0
	v_fmac_f32_e32 v0, v24, v25
	s_or_b32 exec_lo, exec_lo, s8
	s_and_saveexec_b32 s8, s18
	s_cbranch_execz .LBB22_686
.LBB22_1172:                            ;   in Loop: Header=BB22_3 Depth=1
	ds_load_b32 v24, v36 offset:8848
	ds_load_b32 v25, v33 offset:8328
	s_wait_dscnt 0x0
	v_fmac_f32_e32 v0, v24, v25
	s_or_b32 exec_lo, exec_lo, s8
	s_and_saveexec_b32 s8, s0
	s_cbranch_execnz .LBB22_687
	s_branch .LBB22_688
.LBB22_1173:                            ;   in Loop: Header=BB22_3 Depth=1
	ds_load_b32 v24, v42 offset:8608
	ds_load_b32 v25, v38 offset:8324
	s_wait_dscnt 0x0
	v_fmac_f32_e32 v0, v24, v25
	s_or_b32 exec_lo, exec_lo, s8
	s_and_saveexec_b32 s8, s20
	s_cbranch_execz .LBB22_724
.LBB22_1174:                            ;   in Loop: Header=BB22_3 Depth=1
	ds_load_b32 v24, v42 offset:8864
	ds_load_b32 v25, v38 offset:8328
	s_wait_dscnt 0x0
	v_fmac_f32_e32 v0, v24, v25
	s_or_b32 exec_lo, exec_lo, s8
	s_and_saveexec_b32 s8, s21
	s_cbranch_execz .LBB22_725
.LBB22_1175:                            ;   in Loop: Header=BB22_3 Depth=1
	ds_load_b32 v24, v42 offset:9120
	ds_load_b32 v25, v38 offset:8332
	s_wait_dscnt 0x0
	v_fmac_f32_e32 v0, v24, v25
	s_or_b32 exec_lo, exec_lo, s8
	s_and_saveexec_b32 s8, s22
	s_cbranch_execz .LBB22_726
.LBB22_1176:                            ;   in Loop: Header=BB22_3 Depth=1
	ds_load_b32 v24, v41 offset:9376
	ds_load_b32 v25, v38 offset:8336
	s_wait_dscnt 0x0
	v_fmac_f32_e32 v0, v24, v25
	s_or_b32 exec_lo, exec_lo, s8
	s_and_saveexec_b32 s8, s23
	s_cbranch_execz .LBB22_727
.LBB22_1177:                            ;   in Loop: Header=BB22_3 Depth=1
	ds_load_b32 v24, v42 offset:9632
	ds_load_b32 v25, v38 offset:8340
	s_wait_dscnt 0x0
	v_fmac_f32_e32 v0, v24, v25
	s_or_b32 exec_lo, exec_lo, s8
	s_and_saveexec_b32 s8, s1
	s_cbranch_execz .LBB22_728
.LBB22_1178:                            ;   in Loop: Header=BB22_3 Depth=1
	ds_load_b32 v24, v41 offset:9888
	ds_load_b32 v25, v38 offset:8344
	s_wait_dscnt 0x0
	v_fmac_f32_e32 v0, v24, v25
	s_or_b32 exec_lo, exec_lo, s8
	s_and_saveexec_b32 s8, s18
	s_cbranch_execnz .LBB22_729
	s_branch .LBB22_730
.LBB22_1179:                            ;   in Loop: Header=BB22_3 Depth=1
	ds_load_b32 v24, v37 offset:10672
	ds_load_b32 v25, v33 offset:10404
	s_wait_dscnt 0x0
	v_fmac_f32_e32 v0, v24, v25
	s_or_b32 exec_lo, exec_lo, s8
	s_and_saveexec_b32 s8, s18
	s_cbranch_execz .LBB22_782
.LBB22_1180:                            ;   in Loop: Header=BB22_3 Depth=1
	ds_load_b32 v24, v36 offset:10928
	ds_load_b32 v25, v33 offset:10408
	s_wait_dscnt 0x0
	v_fmac_f32_e32 v0, v24, v25
	s_or_b32 exec_lo, exec_lo, s8
	s_and_saveexec_b32 s8, s0
	s_cbranch_execnz .LBB22_783
	s_branch .LBB22_784
.LBB22_1181:                            ;   in Loop: Header=BB22_3 Depth=1
	ds_load_b32 v24, v47 offset:11200
	ds_load_b32 v25, v43 offset:8364
	s_wait_dscnt 0x0
	v_fmac_f32_e32 v0, v24, v25
	s_or_b32 exec_lo, exec_lo, s7
	s_and_saveexec_b32 s7, s2
	s_cbranch_execz .LBB22_840
.LBB22_1182:                            ;   in Loop: Header=BB22_3 Depth=1
	ds_load_b32 v24, v46 offset:11456
	ds_load_b32 v25, v43 offset:8368
	s_wait_dscnt 0x0
	v_fmac_f32_e32 v0, v24, v25
	s_or_b32 exec_lo, exec_lo, s7
	s_and_saveexec_b32 s7, s20
	s_cbranch_execz .LBB22_841
.LBB22_1183:                            ;   in Loop: Header=BB22_3 Depth=1
	ds_load_b32 v24, v47 offset:11712
	ds_load_b32 v25, v43 offset:8372
	s_wait_dscnt 0x0
	v_fmac_f32_e32 v0, v24, v25
	s_or_b32 exec_lo, exec_lo, s7
	s_and_saveexec_b32 s7, s22
	s_cbranch_execz .LBB22_842
.LBB22_1184:                            ;   in Loop: Header=BB22_3 Depth=1
	ds_load_b32 v24, v46 offset:11968
	ds_load_b32 v25, v43 offset:8376
	s_wait_dscnt 0x0
	v_fmac_f32_e32 v0, v24, v25
	s_or_b32 exec_lo, exec_lo, s7
	s_and_saveexec_b32 s7, s1
	s_cbranch_execnz .LBB22_843
	s_branch .LBB22_844
.LBB22_1185:                            ;   in Loop: Header=BB22_3 Depth=1
	ds_load_b32 v24, v37 offset:12752
	ds_load_b32 v25, v33 offset:12484
	s_wait_dscnt 0x0
	v_fmac_f32_e32 v0, v24, v25
	s_or_b32 exec_lo, exec_lo, s8
	s_and_saveexec_b32 s8, s18
	s_cbranch_execz .LBB22_928
.LBB22_1186:                            ;   in Loop: Header=BB22_3 Depth=1
	ds_load_b32 v24, v36 offset:13008
	ds_load_b32 v25, v33 offset:12488
	s_wait_dscnt 0x0
	v_fmac_f32_e32 v0, v24, v25
	s_or_b32 exec_lo, exec_lo, s8
	s_and_saveexec_b32 s8, s0
	s_cbranch_execnz .LBB22_929
	s_branch .LBB22_930
.LBB22_1187:                            ;   in Loop: Header=BB22_3 Depth=1
	ds_load_b32 v24, v42 offset:12768
	ds_load_b32 v25, v38 offset:12484
	s_wait_dscnt 0x0
	v_fmac_f32_e32 v0, v24, v25
	s_or_b32 exec_lo, exec_lo, s8
	s_and_saveexec_b32 s8, s20
	s_cbranch_execz .LBB22_966
.LBB22_1188:                            ;   in Loop: Header=BB22_3 Depth=1
	ds_load_b32 v24, v42 offset:13024
	ds_load_b32 v25, v38 offset:12488
	s_wait_dscnt 0x0
	v_fmac_f32_e32 v0, v24, v25
	s_or_b32 exec_lo, exec_lo, s8
	s_and_saveexec_b32 s8, s21
	s_cbranch_execz .LBB22_967
.LBB22_1189:                            ;   in Loop: Header=BB22_3 Depth=1
	ds_load_b32 v24, v42 offset:13280
	ds_load_b32 v25, v38 offset:12492
	s_wait_dscnt 0x0
	v_fmac_f32_e32 v0, v24, v25
	s_or_b32 exec_lo, exec_lo, s8
	s_and_saveexec_b32 s8, s22
	s_cbranch_execz .LBB22_968
.LBB22_1190:                            ;   in Loop: Header=BB22_3 Depth=1
	ds_load_b32 v24, v41 offset:13536
	ds_load_b32 v25, v38 offset:12496
	s_wait_dscnt 0x0
	v_fmac_f32_e32 v0, v24, v25
	s_or_b32 exec_lo, exec_lo, s8
	s_and_saveexec_b32 s8, s23
	s_cbranch_execz .LBB22_969
.LBB22_1191:                            ;   in Loop: Header=BB22_3 Depth=1
	ds_load_b32 v24, v42 offset:13792
	ds_load_b32 v25, v38 offset:12500
	s_wait_dscnt 0x0
	v_fmac_f32_e32 v0, v24, v25
	s_or_b32 exec_lo, exec_lo, s8
	s_and_saveexec_b32 s8, s1
	s_cbranch_execz .LBB22_970
.LBB22_1192:                            ;   in Loop: Header=BB22_3 Depth=1
	ds_load_b32 v24, v41 offset:14048
	ds_load_b32 v25, v38 offset:12504
	s_wait_dscnt 0x0
	v_fmac_f32_e32 v0, v24, v25
	s_or_b32 exec_lo, exec_lo, s8
	s_and_saveexec_b32 s8, s18
	s_cbranch_execnz .LBB22_971
	s_branch .LBB22_972
.LBB22_1193:                            ;   in Loop: Header=BB22_3 Depth=1
	ds_load_b32 v24, v37 offset:14832
	ds_load_b32 v25, v33 offset:14564
	s_wait_dscnt 0x0
	v_fmac_f32_e32 v0, v24, v25
	s_or_b32 exec_lo, exec_lo, s8
	s_and_saveexec_b32 s8, s18
	s_cbranch_execz .LBB22_1024
.LBB22_1194:                            ;   in Loop: Header=BB22_3 Depth=1
	ds_load_b32 v24, v36 offset:15088
	ds_load_b32 v25, v33 offset:14568
	s_wait_dscnt 0x0
	v_fmac_f32_e32 v0, v24, v25
	s_or_b32 exec_lo, exec_lo, s8
	s_and_saveexec_b32 s8, s0
	s_cbranch_execnz .LBB22_1025
	s_branch .LBB22_1026
.LBB22_1195:
	s_endpgm
	.section	.rodata,"a",@progbits
	.p2align	6, 0x0
	.amdhsa_kernel _ZL19rocblas_trsv_deviceILi64ELi16ELb1ELb0ELb0ELb0EffPKfPfEviT7_lllT6_T8_lllPii
		.amdhsa_group_segment_fixed_size 20740
		.amdhsa_private_segment_fixed_size 0
		.amdhsa_kernarg_size 352
		.amdhsa_user_sgpr_count 2
		.amdhsa_user_sgpr_dispatch_ptr 0
		.amdhsa_user_sgpr_queue_ptr 0
		.amdhsa_user_sgpr_kernarg_segment_ptr 1
		.amdhsa_user_sgpr_dispatch_id 0
		.amdhsa_user_sgpr_kernarg_preload_length 0
		.amdhsa_user_sgpr_kernarg_preload_offset 0
		.amdhsa_user_sgpr_private_segment_size 0
		.amdhsa_wavefront_size32 1
		.amdhsa_uses_dynamic_stack 0
		.amdhsa_enable_private_segment 0
		.amdhsa_system_sgpr_workgroup_id_x 1
		.amdhsa_system_sgpr_workgroup_id_y 0
		.amdhsa_system_sgpr_workgroup_id_z 1
		.amdhsa_system_sgpr_workgroup_info 0
		.amdhsa_system_vgpr_workitem_id 1
		.amdhsa_next_free_vgpr 77
		.amdhsa_next_free_sgpr 105
		.amdhsa_named_barrier_count 0
		.amdhsa_reserve_vcc 1
		.amdhsa_float_round_mode_32 0
		.amdhsa_float_round_mode_16_64 0
		.amdhsa_float_denorm_mode_32 3
		.amdhsa_float_denorm_mode_16_64 3
		.amdhsa_fp16_overflow 0
		.amdhsa_memory_ordered 1
		.amdhsa_forward_progress 1
		.amdhsa_inst_pref_size 255
		.amdhsa_round_robin_scheduling 0
		.amdhsa_exception_fp_ieee_invalid_op 0
		.amdhsa_exception_fp_denorm_src 0
		.amdhsa_exception_fp_ieee_div_zero 0
		.amdhsa_exception_fp_ieee_overflow 0
		.amdhsa_exception_fp_ieee_underflow 0
		.amdhsa_exception_fp_ieee_inexact 0
		.amdhsa_exception_int_div_zero 0
	.end_amdhsa_kernel
	.section	.text._ZL19rocblas_trsv_deviceILi64ELi16ELb1ELb0ELb0ELb0EffPKfPfEviT7_lllT6_T8_lllPii,"axG",@progbits,_ZL19rocblas_trsv_deviceILi64ELi16ELb1ELb0ELb0ELb0EffPKfPfEviT7_lllT6_T8_lllPii,comdat
.Lfunc_end22:
	.size	_ZL19rocblas_trsv_deviceILi64ELi16ELb1ELb0ELb0ELb0EffPKfPfEviT7_lllT6_T8_lllPii, .Lfunc_end22-_ZL19rocblas_trsv_deviceILi64ELi16ELb1ELb0ELb0ELb0EffPKfPfEviT7_lllT6_T8_lllPii
                                        ; -- End function
	.set _ZL19rocblas_trsv_deviceILi64ELi16ELb1ELb0ELb0ELb0EffPKfPfEviT7_lllT6_T8_lllPii.num_vgpr, 77
	.set _ZL19rocblas_trsv_deviceILi64ELi16ELb1ELb0ELb0ELb0EffPKfPfEviT7_lllT6_T8_lllPii.num_agpr, 0
	.set _ZL19rocblas_trsv_deviceILi64ELi16ELb1ELb0ELb0ELb0EffPKfPfEviT7_lllT6_T8_lllPii.numbered_sgpr, 105
	.set _ZL19rocblas_trsv_deviceILi64ELi16ELb1ELb0ELb0ELb0EffPKfPfEviT7_lllT6_T8_lllPii.num_named_barrier, 0
	.set _ZL19rocblas_trsv_deviceILi64ELi16ELb1ELb0ELb0ELb0EffPKfPfEviT7_lllT6_T8_lllPii.private_seg_size, 0
	.set _ZL19rocblas_trsv_deviceILi64ELi16ELb1ELb0ELb0ELb0EffPKfPfEviT7_lllT6_T8_lllPii.uses_vcc, 1
	.set _ZL19rocblas_trsv_deviceILi64ELi16ELb1ELb0ELb0ELb0EffPKfPfEviT7_lllT6_T8_lllPii.uses_flat_scratch, 0
	.set _ZL19rocblas_trsv_deviceILi64ELi16ELb1ELb0ELb0ELb0EffPKfPfEviT7_lllT6_T8_lllPii.has_dyn_sized_stack, 0
	.set _ZL19rocblas_trsv_deviceILi64ELi16ELb1ELb0ELb0ELb0EffPKfPfEviT7_lllT6_T8_lllPii.has_recursion, 0
	.set _ZL19rocblas_trsv_deviceILi64ELi16ELb1ELb0ELb0ELb0EffPKfPfEviT7_lllT6_T8_lllPii.has_indirect_call, 0
	.section	.AMDGPU.csdata,"",@progbits
; Kernel info:
; codeLenInByte = 35328
; TotalNumSgprs: 107
; NumVgprs: 77
; ScratchSize: 0
; MemoryBound: 0
; FloatMode: 240
; IeeeMode: 1
; LDSByteSize: 20740 bytes/workgroup (compile time only)
; SGPRBlocks: 0
; VGPRBlocks: 4
; NumSGPRsForWavesPerEU: 107
; NumVGPRsForWavesPerEU: 77
; NamedBarCnt: 0
; Occupancy: 12
; WaveLimiterHint : 0
; COMPUTE_PGM_RSRC2:SCRATCH_EN: 0
; COMPUTE_PGM_RSRC2:USER_SGPR: 2
; COMPUTE_PGM_RSRC2:TRAP_HANDLER: 0
; COMPUTE_PGM_RSRC2:TGID_X_EN: 1
; COMPUTE_PGM_RSRC2:TGID_Y_EN: 0
; COMPUTE_PGM_RSRC2:TGID_Z_EN: 1
; COMPUTE_PGM_RSRC2:TIDIG_COMP_CNT: 1
	.section	.text._ZL19rocblas_trsv_deviceILi64ELi16ELb1ELb1ELb0ELb0EffPKfPfEviT7_lllT6_T8_lllPii,"axG",@progbits,_ZL19rocblas_trsv_deviceILi64ELi16ELb1ELb1ELb0ELb0EffPKfPfEviT7_lllT6_T8_lllPii,comdat
	.globl	_ZL19rocblas_trsv_deviceILi64ELi16ELb1ELb1ELb0ELb0EffPKfPfEviT7_lllT6_T8_lllPii ; -- Begin function _ZL19rocblas_trsv_deviceILi64ELi16ELb1ELb1ELb0ELb0EffPKfPfEviT7_lllT6_T8_lllPii
	.p2align	8
	.type	_ZL19rocblas_trsv_deviceILi64ELi16ELb1ELb1ELb0ELb0EffPKfPfEviT7_lllT6_T8_lllPii,@function
_ZL19rocblas_trsv_deviceILi64ELi16ELb1ELb1ELb0ELb0EffPKfPfEviT7_lllT6_T8_lllPii: ; @_ZL19rocblas_trsv_deviceILi64ELi16ELb1ELb1ELb0ELb0EffPKfPfEviT7_lllT6_T8_lllPii
; %bb.0:
	s_load_b32 s6, s[0:1], 0x58
	s_bfe_u32 s2, ttmp6, 0x40014
	s_lshr_b32 s3, ttmp7, 16
	s_add_co_i32 s2, s2, 1
	s_bfe_u32 s5, ttmp6, 0x40008
	s_mul_i32 s2, s3, s2
	s_getreg_b32 s4, hwreg(HW_REG_IB_STS2, 6, 4)
	s_add_co_i32 s5, s5, s2
	s_cmp_eq_u32 s4, 0
	s_mov_b32 s77, 0
	s_cselect_b32 s76, s3, s5
                                        ; implicit-def: $vgpr91 : SGPR spill to VGPR lane
	s_wait_kmcnt 0x0
	s_cmp_ge_u32 s76, s6
	v_writelane_b32 v91, s6, 0
	s_cbranch_scc1 .LBB23_1257
; %bb.1:
	s_clause 0x5
	s_load_b64 s[6:7], s[0:1], 0x50
	s_load_b256 s[60:67], s[0:1], 0x8
	s_load_b256 s[68:75], s[0:1], 0x30
	s_load_b32 s5, s[0:1], 0x6c
	s_load_b32 s89, s[0:1], 0x60
	;; [unrolled: 1-line block ×3, first 2 shown]
	s_bfe_u32 s2, ttmp6, 0x4000c
	s_wait_xcnt 0x0
	s_load_b32 s0, s[0:1], 0x28
	s_add_co_i32 s2, s2, 1
	s_and_b32 s3, ttmp6, 15
	s_mul_i32 s2, ttmp9, s2
	v_and_b32_e32 v2, 0x3ff, v0
	v_mov_b32_e32 v5, 0
	v_bfe_u32 v26, v0, 10, 10
                                        ; implicit-def: $vgpr90 : SGPR spill to VGPR lane
                                        ; implicit-def: $vgpr89 : SGPR spill to VGPR lane
                                        ; implicit-def: $vgpr88 : SGPR spill to VGPR lane
                                        ; implicit-def: $vgpr79
                                        ; implicit-def: $vgpr80
                                        ; implicit-def: $vgpr81
	v_dual_lshrrev_b32 v15, 10, v0 :: v_dual_bitop2_b32 v16, 1, v0 bitop3:0x40
	s_delay_alu instid0(VALU_DEP_3) | instskip(NEXT) | instid1(VALU_DEP_3)
	v_dual_lshlrev_b32 v1, 6, v2 :: v_dual_mov_b32 v3, v5
	v_lshl_add_u32 v20, v26, 6, v2
	s_delay_alu instid0(VALU_DEP_3) | instskip(NEXT) | instid1(VALU_DEP_3)
	v_bitop3_b32 v21, v0, v15, 0x3ff bitop3:0xa8
	v_dual_add_nc_u32 v78, 48, v26 :: v_dual_add_nc_u32 v10, v26, v1
	v_mul_i32_i24_e32 v76, 0xffffff04, v2
	s_delay_alu instid0(VALU_DEP_4)
	v_cmp_gt_u32_e64 s59, 0xf0, v20
	s_wait_kmcnt 0x0
	v_writelane_b32 v91, s6, 1
	v_lshl_add_u32 v17, v78, 6, v2
	v_mul_u32_u24_e32 v24, 0xfc, v2
	v_mul_lo_u32 v76, v76, 6
	v_lshl_add_u32 v67, v20, 2, 0x4000
	v_writelane_b32 v91, s7, 2
	s_add_co_i32 s6, s3, s2
	s_lshl_b64 s[2:3], s[70:71], 2
	v_cmp_gt_u32_e64 s19, 56, v20
	v_cmp_gt_u32_e64 s20, 48, v20
	v_writelane_b32 v91, s0, 3
	s_lshl_b64 s[0:1], s[62:63], 2
	s_cmp_eq_u32 s4, 0
	s_add_nc_u64 s[0:1], s[60:61], s[0:1]
	s_cselect_b32 s88, ttmp9, s6
	s_and_b32 s4, s5, 0xffff
	s_add_co_i32 s5, s78, -1
	s_ashr_i32 s79, s78, 31
	s_ashr_i32 s6, s5, 31
	s_lshr_b32 s7, s79, 26
	s_lshr_b32 s6, s6, 26
	s_add_co_i32 s7, s78, s7
	s_add_co_i32 s89, s89, -1
	s_add_co_i32 s5, s5, s6
	s_and_not1_b32 s7, s7, 63
	s_sub_co_i32 s16, s89, s88
	s_ashr_i32 s5, s5, 6
	s_sub_co_i32 s15, s78, s7
	s_cmp_eq_u32 s5, s16
	v_mad_u32_u24 v4, v26, s4, v2
	s_cselect_b32 s5, -1, 0
	s_cmp_lg_u32 s15, 0
	v_mad_u32 v24, v24, 7, v76
	s_cselect_b32 s6, -1, 0
	v_mul_u32_u24_e32 v76, 0xf8, v2
	s_and_b32 s17, s6, s5
	s_add_nc_u64 s[6:7], s[64:65], 1
	s_xor_b32 s90, s17, -1
	s_cmp_lg_u32 s88, 0
	v_lshl_add_u32 v65, v4, 2, 0x5000
	s_cselect_b32 s5, -1, 0
	s_lshl_b32 s10, s16, 6
	s_cmp_lt_i32 s88, 5
	v_writelane_b32 v91, s5, 4
	s_cselect_b32 vcc_lo, -1, 0
	v_mad_nc_u64_u32 v[18:19], s6, s10, v[2:3]
	v_dual_cndmask_b32 v25, v20, v10 :: v_dual_lshrrev_b32 v10, 1, v20
	s_or_b32 vcc_lo, vcc_lo, s17
	v_add_nc_u32_e32 v22, 16, v26
	v_add_nc_u32_e32 v12, s10, v2
	v_writelane_b32 v91, s0, 5
	s_ashr_i32 s11, s10, 31
	v_mul_u32_u24_e32 v28, 0x104, v10
	v_dual_add_nc_u32 v3, v22, v1 :: v_dual_add_nc_u32 v14, s10, v26
	v_ashrrev_i32_e32 v13, 31, v12
	v_writelane_b32 v91, s1, 6
	s_add_nc_u64 s[0:1], s[68:69], s[2:3]
	v_lshl_add_u32 v11, v22, 6, v2
	v_add_nc_u32_e32 v6, 64, v14
	v_cmp_eq_u32_e64 s2, 1, v16
	v_writelane_b32 v91, s0, 7
	s_delay_alu instid0(VALU_DEP_4) | instskip(NEXT) | instid1(VALU_DEP_4)
	v_dual_lshlrev_b32 v29, 2, v2 :: v_dual_cndmask_b32 v23, v11, v3, vcc_lo
	v_dual_ashrrev_i32 v7, 31, v6 :: v_dual_lshlrev_b32 v11, 2, v16
	v_writelane_b32 v91, s1, 8
	s_mul_i32 s0, s6, s11
	s_mul_i32 s1, s7, s10
	v_lshl_add_u32 v3, v10, 2, 0x4000
	v_add3_u32 v19, s0, s1, v19
	v_cmp_gt_u32_e64 s0, 4, v20
	s_xor_b32 s1, s2, -1
	v_lshl_or_b32 v27, v10, 8, v11
	v_dual_lshrrev_b32 v10, 2, v20 :: v_dual_bitop2_b32 v15, -4, v20 bitop3:0x40
	s_and_b32 s93, s1, s0
	v_cmp_eq_u32_e64 s1, 0, v26
	v_cmp_gt_u32_e64 s3, 2, v2
	v_dual_lshlrev_b32 v31, 8, v2 :: v_dual_bitop2_b32 v11, 3, v0 bitop3:0x40
	s_and_b32 s94, s2, s0
	v_mul_u32_u24_e32 v30, 0x104, v10
	s_and_b32 s95, s1, s3
	v_cmp_gt_u32_e64 s2, 16, v20
	v_cmp_eq_u32_e64 s3, 0, v11
	v_cmp_ne_u32_e64 s4, 0, v11
	v_lshlrev_b32_e32 v32, 2, v11
	v_sub_nc_u32_e32 v16, v30, v15
	v_cmp_eq_u32_e64 s5, 1, v11
	v_cmp_lt_u32_e64 s6, 1, v11
	v_cmp_eq_u32_e64 s7, 2, v11
	s_and_b32 s96, s3, s2
	s_and_b32 s97, s4, s2
	v_cmp_eq_u32_e64 s3, 3, v11
	v_cmp_gt_u32_e64 s4, 4, v2
	v_and_b32_e32 v11, 7, v0
	s_and_b32 s98, s5, s2
	v_lshl_or_b32 v35, v10, 8, v32
	s_and_b32 s101, s3, s2
	s_and_b32 s102, s1, s4
	v_cmp_gt_u32_e64 s3, 64, v20
	v_cmp_eq_u32_e64 s4, 0, v11
	v_cmp_ne_u32_e64 s5, 0, v11
	s_and_b32 s99, s6, s2
	v_lshrrev_b32_e32 v10, 3, v20
	v_cmp_eq_u32_e64 s6, 1, v11
	s_and_b32 s103, s4, s3
	s_and_b32 s104, s5, s3
	v_cmp_eq_u32_e64 s4, 2, v11
	v_cmp_lt_u32_e64 s5, 2, v11
	v_add_nc_u32_e32 v34, 0x4000, v15
	v_dual_add_nc_u32 v36, v16, v32 :: v_dual_lshlrev_b32 v15, 2, v10
	s_and_b32 s37, s4, s3
	v_cmp_lt_u32_e64 s4, 3, v11
	s_and_b32 s38, s5, s3
	v_cmp_eq_u32_e64 s5, 4, v11
	v_mul_u32_u24_e32 v39, 0x104, v10
	s_and_b32 vcc_hi, s6, s3
	v_cmp_eq_u32_e64 s6, 3, v11
	s_and_b32 s40, s4, s3
	v_cmp_lt_u32_e64 s4, 4, v11
	s_and_b32 s41, s5, s3
	v_cmp_lt_u32_e64 s5, 5, v11
	s_and_b32 s100, s7, s2
	v_lshlrev_b32_e32 v41, 2, v11
	v_sub_nc_u32_e32 v16, v39, v15
	v_cmp_lt_u32_e64 s7, 1, v11
	s_and_b32 s39, s6, s3
	v_cmp_eq_u32_e64 s6, 5, v11
	s_and_b32 s42, s4, s3
	v_cmp_eq_u32_e64 s4, 6, v11
	;; [unrolled: 2-line block ×3, first 2 shown]
	v_and_b32_e32 v11, 15, v0
	s_and_b32 s43, s6, s3
	s_and_b32 s45, s4, s3
	v_cmp_gt_u32_e64 s4, 0x100, v20
	s_and_b32 s46, s5, s3
	v_cmp_eq_u32_e64 s5, 0, v11
	v_cmp_gt_u32_e64 s6, 8, v2
	s_and_b32 s36, s7, s3
	v_cmp_eq_u32_e64 s7, 1, v11
	v_lshl_or_b32 v44, v10, 8, v41
	s_and_b32 s48, s5, s4
	v_cmp_lt_u32_e64 s5, 1, v11
	s_and_b32 s47, s1, s6
	v_cmp_ne_u32_e64 s6, 0, v11
	s_and_b32 s50, s7, s4
	v_cmp_lt_u32_e64 s7, 2, v11
	s_and_b32 s51, s5, s4
	v_cmp_lt_u32_e64 s5, 3, v11
	s_and_b32 s49, s6, s4
	v_cmp_eq_u32_e64 s6, 2, v11
	s_and_b32 s53, s7, s4
	v_cmp_eq_u32_e64 s7, 5, v11
	s_and_b32 s55, s5, s4
	v_cmp_lt_u32_e64 s5, 4, v11
	s_and_b32 s52, s6, s4
	v_cmp_eq_u32_e64 s6, 4, v11
	s_and_b32 s58, s7, s4
	v_cmp_lt_u32_e64 s7, 7, v11
	s_and_b32 s57, s5, s4
	v_cmp_lt_u32_e64 s5, 6, v11
	s_and_b32 s56, s6, s4
	v_cmp_eq_u32_e64 s6, 6, v11
	v_lshrrev_b32_e32 v10, 4, v20
	s_and_b32 s13, s7, s4
	s_and_b32 s63, s5, s4
	v_cmp_lt_u32_e64 s5, 8, v11
	s_and_b32 s62, s6, s4
	v_cmp_eq_u32_e64 s6, 7, v11
	v_cmp_eq_u32_e64 s7, 10, v11
	v_add_nc_u32_e32 v43, 0x4000, v15
	s_and_b32 s87, s5, s4
	v_cmp_lt_u32_e64 s5, 9, v11
	s_and_b32 s12, s6, s4
	v_cmp_eq_u32_e64 s6, 9, v11
	v_dual_add_nc_u32 v45, v16, v41 :: v_dual_lshlrev_b32 v15, 2, v10
	s_and_b32 s26, s5, s4
	v_cmp_lt_u32_e64 s5, 11, v11
	v_mul_u32_u24_e32 v53, 0x104, v10
	v_cmp_eq_u32_e64 s8, 3, v11
	s_and_b32 s24, s6, s4
	v_cmp_eq_u32_e64 s6, 11, v11
	s_and_b32 s28, s7, s4
	v_cmp_lt_u32_e64 s7, 12, v11
	s_and_b32 s35, s5, s4
	v_cmp_lt_u32_e64 s5, 13, v11
	v_add_nc_u32_e32 v56, 0x4000, v15
	v_dual_sub_nc_u32 v15, v53, v15 :: v_dual_bitop2_b32 v0, 31, v0 bitop3:0x40
	s_and_b32 s54, s8, s4
	v_cmp_lt_u32_e64 s8, 5, v11
	s_and_b32 s33, s6, s4
	v_cmp_eq_u32_e64 s6, 12, v11
	s_and_b32 s27, s7, s4
	s_and_b32 s31, s5, s4
	v_cmp_eq_u32_e64 s5, 15, v11
	v_cmp_gt_u32_e64 s7, 16, v2
	v_lshlrev_b32_e32 v55, 2, v11
	s_and_b32 s61, s8, s4
	v_cmp_eq_u32_e64 s8, 8, v11
	s_and_b32 s25, s6, s4
	v_cmp_eq_u32_e64 s6, 14, v11
	s_and_b32 s91, s5, s4
	s_and_b32 s86, s1, s7
	v_cmp_gt_u32_e64 s5, 0x400, v20
	v_cmp_eq_u32_e64 s7, 0, v0
	v_lshl_or_b32 v57, v10, 8, v55
	s_and_b32 s14, s8, s4
	v_cmp_lt_u32_e64 s8, 10, v11
	v_lshrrev_b32_e32 v10, 5, v20
	s_and_b32 s34, s6, s4
	v_cmp_ne_u32_e64 s6, 0, v0
	s_and_b32 s7, s7, s5
	s_and_b32 s30, s8, s4
	v_writelane_b32 v91, s7, 9
	v_cmp_eq_u32_e64 s8, 13, v11
	v_dual_lshlrev_b32 v60, 8, v10 :: v_dual_lshlrev_b32 v61, 2, v0
	v_add_nc_u32_e32 v77, 32, v26
	v_cmp_eq_u32_e64 s7, 1, v0
	s_and_b32 s6, s6, s5
	v_dual_add_nc_u32 v58, v15, v55 :: v_dual_lshlrev_b32 v59, 2, v10
	v_writelane_b32 v91, s6, 10
	s_and_b32 s29, s8, s4
	v_or_b32_e32 v63, v60, v61
	v_add_nc_u32_e32 v15, v77, v1
	v_lshl_add_u32 v16, v77, 6, v2
	v_dual_add_nc_u32 v1, v78, v1 :: v_dual_lshlrev_b32 v75, 2, v26
	v_cmp_lt_u32_e64 s8, 1, v0
	s_and_b32 s6, s7, s5
	s_xor_b32 s92, vcc_lo, -1
	v_writelane_b32 v91, s6, 11
	v_dual_cndmask_b32 v73, v16, v15 :: v_dual_cndmask_b32 v74, v17, v1
	v_cmp_eq_u32_e32 vcc_lo, 2, v0
	s_and_b32 s6, s8, s5
	v_cmp_lt_u32_e64 s9, 2, v0
	v_writelane_b32 v91, s6, 12
	v_add_nc_u64_e32 v[10:11], s[10:11], v[4:5]
	s_and_b32 s6, vcc_lo, s5
	v_cmp_eq_u32_e32 vcc_lo, 3, v0
	v_cmp_gt_i32_e64 s7, s78, v6
	v_writelane_b32 v91, s6, 13
	s_and_b32 s6, s9, s5
	v_mul_u64_e32 v[8:9], s[64:65], v[12:13]
	v_add_nc_u32_e32 v15, 0x60, v14
	v_add_nc_u32_e32 v71, 0x70, v14
	v_writelane_b32 v91, s6, 14
	s_and_b32 s6, vcc_lo, s5
	v_cmp_lt_u32_e32 vcc_lo, 3, v0
	v_cmp_le_i32_e64 s10, s15, v78
	v_cmp_ne_u32_e64 s18, v2, v78
	v_writelane_b32 v91, s6, 15
	v_mad_u32_u24 v33, 0xfc, v2, v29
	s_and_b32 s6, vcc_lo, s5
	v_cmp_eq_u32_e32 vcc_lo, 4, v0
	v_mul_u64_e32 v[10:11], s[72:73], v[10:11]
	v_writelane_b32 v91, s6, 16
	v_mad_i32_i24 v37, 0xffffff04, v2, v33
	v_mad_nc_u64_u32 v[16:17], s64, v77, v[18:19]
	s_and_b32 s6, vcc_lo, s5
	v_cmp_lt_u32_e32 vcc_lo, 4, v0
	v_writelane_b32 v91, s6, 17
	v_mad_u32_u24 v38, 0xfc, v2, v37
	v_or_b32_e32 v66, 0x5000, v75
	v_lshlrev_b32_e32 v72, 2, v23
	s_and_b32 s6, vcc_lo, s5
	v_cmp_eq_u32_e32 vcc_lo, 5, v0
	v_writelane_b32 v91, s6, 18
	v_mad_i32_i24 v40, 0xffffff04, v2, v38
	v_dual_add_nc_u32 v70, v66, v29 :: v_dual_bitop2_b32 v23, v77, v2 bitop3:0x54
	v_lshlrev_b32_e32 v73, 2, v73
	s_and_b32 s6, vcc_lo, s5
	v_cmp_lt_u32_e32 vcc_lo, 5, v0
	v_writelane_b32 v91, s6, 19
	v_mad_u32_u24 v42, 0xfc, v2, v40
	v_mad_u32 v17, s65, v77, v17
	v_mad_i32_i24 v64, 0xffffff04, v2, v31
	s_and_b32 s6, vcc_lo, s5
	v_cmp_eq_u32_e32 vcc_lo, 6, v0
	v_writelane_b32 v91, s6, 20
	v_mad_i32_i24 v46, 0xffffff04, v2, v42
	v_dual_add_nc_u32 v75, v31, v75 :: v_dual_bitop2_b32 v82, v78, v2 bitop3:0x54
	s_and_b32 s6, vcc_lo, s5
	v_cmp_lt_u32_e32 vcc_lo, 6, v0
	v_writelane_b32 v91, s6, 21
	v_mad_u32_u24 v47, 0xfc, v2, v46
	v_dual_lshlrev_b32 v74, 2, v74 :: v_dual_sub_nc_u32 v24, v24, v76
	s_and_b32 s6, vcc_lo, s5
	v_cmp_eq_u32_e32 vcc_lo, 7, v0
	v_writelane_b32 v91, s6, 22
	v_mad_i32_i24 v48, 0xffffff04, v2, v47
	v_add_nc_u32_e32 v62, 0x4000, v59
	v_add_nc_u32_e32 v68, 0x4000, v29
	s_and_b32 s6, vcc_lo, s5
	v_cmp_lt_u32_e32 vcc_lo, 7, v0
	v_writelane_b32 v91, s6, 23
	v_mad_u32_u24 v49, 0xfc, v2, v48
	v_lshl_add_u32 v69, v26, 8, v64
	v_add_nc_u32_e32 v76, 0x3c00, v24
	s_and_b32 s6, vcc_lo, s5
	v_cmp_eq_u32_e32 vcc_lo, 8, v0
	v_writelane_b32 v91, s6, 24
	v_mad_i32_i24 v50, 0xffffff04, v2, v49
	v_cmp_gt_u32_e64 s21, 40, v20
	v_cmp_gt_u32_e64 s22, 32, v20
	s_and_b32 s6, vcc_lo, s5
	v_cmp_lt_u32_e32 vcc_lo, 8, v0
	v_writelane_b32 v91, s6, 25
	v_mad_u32_u24 v51, 0xfc, v2, v50
	v_cmp_gt_u32_e64 s23, 24, v20
	v_cmp_gt_u32_e64 s60, 64, v4
	s_and_b32 s6, vcc_lo, s5
	v_cmp_eq_u32_e32 vcc_lo, 9, v0
	v_writelane_b32 v91, s6, 26
	v_mad_i32_i24 v52, 0xffffff04, v2, v51
	s_and_b32 s6, vcc_lo, s5
	v_cmp_lt_u32_e32 vcc_lo, 9, v0
	v_writelane_b32 v91, s6, 27
	s_delay_alu instid0(VALU_DEP_3)
	v_mad_u32_u24 v54, 0xfc, v2, v52
	s_and_b32 s6, vcc_lo, s5
	v_cmp_eq_u32_e32 vcc_lo, 10, v0
	v_writelane_b32 v91, s6, 28
	s_and_b32 s6, vcc_lo, s5
	v_cmp_lt_u32_e32 vcc_lo, 10, v0
	v_writelane_b32 v91, s6, 29
	s_and_b32 s6, vcc_lo, s5
	v_cmp_eq_u32_e32 vcc_lo, 11, v0
	v_writelane_b32 v91, s6, 30
	s_and_b32 s6, vcc_lo, s5
	v_cmp_lt_u32_e32 vcc_lo, 11, v0
	v_writelane_b32 v91, s6, 31
	;; [unrolled: 6-line block ×20, first 2 shown]
	s_and_b32 s6, vcc_lo, s5
	v_cmp_eq_u32_e32 vcc_lo, 30, v0
	v_writelane_b32 v89, s6, 4
	s_and_b32 s6, vcc_lo, s5
	v_cmp_eq_u32_e32 vcc_lo, 31, v0
	v_writelane_b32 v89, s6, 5
	v_mul_u64_e32 v[0:1], s[72:73], v[12:13]
	v_add_nc_u32_e32 v13, 0x50, v14
	s_and_b32 s11, vcc_lo, s5
	v_cmp_gt_u32_e32 vcc_lo, 32, v2
	s_and_b32 s6, s1, vcc_lo
	v_cmp_le_i32_e32 vcc_lo, s15, v2
	v_writelane_b32 v89, s6, 6
	s_and_b32 s6, vcc_lo, s17
	v_cmp_ne_u32_e64 s17, v2, v77
	v_writelane_b32 v89, s6, 7
	s_xor_b32 s6, s6, -1
	s_delay_alu instid0(SALU_CYCLE_1)
	s_and_b32 s70, s1, s6
	v_cmp_gt_i32_e64 s6, s15, v2
	s_cmp_gt_i32 s88, 0
	s_cselect_b32 s71, -1, 0
	s_add_co_i32 s68, s16, 1
	s_and_b32 s6, s1, s6
	s_delay_alu instid0(SALU_CYCLE_1) | instskip(SKIP_2) | instid1(SALU_CYCLE_1)
	v_writelane_b32 v89, s6, 8
	v_cmp_gt_i32_e64 s6, s78, v12
	s_and_b32 s7, s7, s6
	v_writelane_b32 v89, s7, 9
	v_cmp_gt_i32_e64 s7, s78, v13
	v_mad_nc_u64_u32 v[12:13], s64, v26, v[18:19]
	s_and_b32 s7, s7, s6
	s_delay_alu instid0(SALU_CYCLE_1)
	v_writelane_b32 v89, s7, 10
	v_cmp_gt_i32_e64 s7, s78, v15
	v_mad_nc_u64_u32 v[14:15], s64, v22, v[18:19]
	v_mad_nc_u64_u32 v[18:19], s64, v78, v[18:19]
	v_cmp_gt_u32_e64 s64, 64, v21
	v_mad_u32 v13, s65, v26, v13
	s_and_b32 s7, s7, s6
	s_delay_alu instid0(SALU_CYCLE_1)
	v_writelane_b32 v89, s7, 11
	v_cmp_gt_i32_e64 s7, s78, v71
	v_dual_lshlrev_b32 v71, 2, v25 :: v_dual_bitop2_b32 v25, v22, v2 bitop3:0x54
	v_mad_u32 v15, s65, v22, v15
	s_and_b32 s7, s7, s6
	v_mad_u32 v19, s65, v78, v19
	v_writelane_b32 v89, s7, 12
	v_cmp_le_i32_e64 s7, s15, v26
	s_or_b32 s8, s7, vcc_lo
	v_cmp_le_u32_e64 s7, v2, v26
	s_or_b32 s8, s8, s7
	s_delay_alu instid0(SALU_CYCLE_1) | instskip(SKIP_4) | instid1(SALU_CYCLE_1)
	v_writelane_b32 v89, s8, 13
	v_cmp_le_i32_e64 s8, s15, v22
	s_or_b32 s9, s8, vcc_lo
	v_cmp_le_u32_e64 s8, v2, v22
	s_or_b32 s9, s9, s8
	v_writelane_b32 v89, s9, 14
	v_cmp_le_i32_e64 s9, s15, v77
	s_or_b32 s16, s9, vcc_lo
	v_cmp_le_u32_e64 s9, v2, v77
	v_subrev_nc_u32_e32 v77, 63, v2
	s_or_b32 s15, s16, s9
	v_cmp_ne_u32_e64 s16, v2, v22
	v_writelane_b32 v89, s15, 15
	s_or_b32 s15, s10, vcc_lo
	v_cmp_le_u32_e64 s10, v2, v78
                                        ; implicit-def: $vgpr78
	s_or_b32 s15, s15, s10
	s_delay_alu instid0(SALU_CYCLE_1) | instskip(SKIP_1) | instid1(VALU_DEP_1)
	v_writelane_b32 v89, s15, 16
	v_cmp_ne_u32_e64 s15, v2, v26
	v_writelane_b32 v89, s15, 17
	s_or_b32 s15, vcc_lo, s15
	s_delay_alu instid0(SALU_CYCLE_1)
	v_writelane_b32 v89, s15, 18
	s_or_b32 s15, vcc_lo, s16
	v_writelane_b32 v89, s16, 19
	v_cmp_gt_u32_e64 s16, 2, v20
	v_writelane_b32 v89, s15, 20
	s_or_b32 s15, vcc_lo, s17
	v_writelane_b32 v89, s17, 21
	v_cmp_gt_u32_e64 s17, 12, v20
	v_writelane_b32 v89, s15, 22
	s_or_b32 s15, vcc_lo, s18
	v_writelane_b32 v89, s18, 23
	v_cmp_gt_u32_e64 s18, 8, v20
	v_writelane_b32 v89, s15, 24
	v_cmp_eq_u32_e64 s15, 0, v21
	v_writelane_b32 v89, s59, 25
	v_cmp_gt_u32_e64 s59, 0xe0, v20
	s_delay_alu instid0(VALU_DEP_1) | instskip(SKIP_1) | instid1(VALU_DEP_1)
	v_writelane_b32 v89, s59, 26
	v_cmp_gt_u32_e64 s59, 0xd0, v20
	v_writelane_b32 v89, s59, 27
	v_cmp_gt_u32_e64 s59, 0xc0, v20
	s_delay_alu instid0(VALU_DEP_1) | instskip(SKIP_1) | instid1(VALU_DEP_1)
	v_writelane_b32 v89, s59, 28
	v_cmp_gt_u32_e64 s59, 0xb0, v20
	;; [unrolled: 5-line block ×16, first 2 shown]
	v_writelane_b32 v88, s59, 25
	v_cmp_gt_u32_e64 s59, 0x120, v20
	s_delay_alu instid0(VALU_DEP_1) | instskip(SKIP_3) | instid1(VALU_DEP_1)
	v_writelane_b32 v88, s59, 26
	v_cmp_eq_u32_e64 s59, 0, v4
	v_writelane_b32 v88, s64, 27
	v_cmp_gt_u32_e64 s64, 64, v25
	v_writelane_b32 v88, s64, 28
	v_cmp_gt_u32_e64 s64, 64, v23
	s_delay_alu instid0(VALU_DEP_1) | instskip(SKIP_1) | instid1(VALU_DEP_1)
	v_writelane_b32 v88, s64, 29
	v_cmp_gt_u32_e64 s64, 64, v82
	v_writelane_b32 v88, s64, 30
	s_branch .LBB23_3
.LBB23_2:                               ;   in Loop: Header=BB23_3 Depth=1
	s_wait_xcnt 0x0
	s_or_b32 exec_lo, exec_lo, s64
	v_readlane_b32 s64, v91, 0
	s_add_co_i32 s76, s76, 0x10000
	global_wb scope:SCOPE_DEV
	s_wait_storecnt 0x0
	global_inv scope:SCOPE_DEV
	s_cmp_lt_u32 s76, s64
	s_cbranch_scc0 .LBB23_1257
.LBB23_3:                               ; =>This Loop Header: Depth=1
                                        ;     Child Loop BB23_1110 Depth 2
                                        ;       Child Loop BB23_1112 Depth 3
                                        ;     Child Loop BB23_1147 Depth 2
	v_readlane_b32 s80, v91, 5
	v_readlane_b32 s81, v91, 6
	s_mul_u64 s[64:65], s[66:67], s[76:77]
	s_delay_alu instid0(SALU_CYCLE_1) | instskip(NEXT) | instid1(SALU_CYCLE_1)
	s_lshl_b64 s[64:65], s[64:65], 2
	s_add_nc_u64 s[82:83], s[80:81], s[64:65]
	v_readlane_b32 s64, v91, 4
	v_lshl_add_u64 v[20:21], v[8:9], 2, s[82:83]
	s_and_not1_b32 vcc_lo, exec_lo, s64
	s_cbranch_vccnz .LBB23_13
; %bb.4:                                ;   in Loop: Header=BB23_3 Depth=1
	s_delay_alu instid0(VALU_DEP_1)
	v_lshl_add_u64 v[22:23], v[6:7], 2, v[20:21]
	v_dual_mov_b32 v79, 0 :: v_dual_mov_b32 v78, 0
	s_barrier_signal -1
	s_barrier_wait -1
	s_mov_b32 s64, exec_lo
	v_readlane_b32 s65, v89, 9
	s_and_b32 s65, s64, s65
	s_delay_alu instid0(SALU_CYCLE_1)
	s_mov_b32 exec_lo, s65
	s_cbranch_execz .LBB23_6
; %bb.5:                                ;   in Loop: Header=BB23_3 Depth=1
	global_load_b32 v78, v[22:23], off
.LBB23_6:                               ;   in Loop: Header=BB23_3 Depth=1
	s_wait_xcnt 0x0
	s_or_b32 exec_lo, exec_lo, s64
	s_wait_loadcnt 0x0
	s_barrier_signal -1
	s_barrier_wait -1
	s_mov_b32 s64, exec_lo
	v_readlane_b32 s65, v89, 10
	s_and_b32 s65, s64, s65
	s_delay_alu instid0(SALU_CYCLE_1)
	s_mov_b32 exec_lo, s65
	s_cbranch_execz .LBB23_8
; %bb.7:                                ;   in Loop: Header=BB23_3 Depth=1
	global_load_b32 v79, v[22:23], off offset:64
.LBB23_8:                               ;   in Loop: Header=BB23_3 Depth=1
	s_wait_xcnt 0x0
	s_or_b32 exec_lo, exec_lo, s64
	v_dual_mov_b32 v81, 0 :: v_dual_mov_b32 v80, 0
	s_wait_loadcnt 0x0
	s_barrier_signal -1
	s_barrier_wait -1
	s_mov_b32 s64, exec_lo
	v_readlane_b32 s65, v89, 11
	s_and_b32 s65, s64, s65
	s_delay_alu instid0(SALU_CYCLE_1)
	s_mov_b32 exec_lo, s65
	s_cbranch_execz .LBB23_10
; %bb.9:                                ;   in Loop: Header=BB23_3 Depth=1
	global_load_b32 v80, v[22:23], off offset:128
.LBB23_10:                              ;   in Loop: Header=BB23_3 Depth=1
	s_wait_xcnt 0x0
	s_or_b32 exec_lo, exec_lo, s64
	s_wait_loadcnt 0x0
	s_barrier_signal -1
	s_barrier_wait -1
	s_mov_b32 s64, exec_lo
	v_readlane_b32 s65, v89, 12
	s_and_b32 s65, s64, s65
	s_delay_alu instid0(SALU_CYCLE_1)
	s_mov_b32 exec_lo, s65
	s_cbranch_execz .LBB23_12
; %bb.11:                               ;   in Loop: Header=BB23_3 Depth=1
	global_load_b32 v81, v[22:23], off offset:192
.LBB23_12:                              ;   in Loop: Header=BB23_3 Depth=1
	s_wait_xcnt 0x0
	s_or_b32 exec_lo, exec_lo, s64
.LBB23_13:                              ;   in Loop: Header=BB23_3 Depth=1
	s_delay_alu instid0(SALU_CYCLE_1)
	s_and_not1_b32 vcc_lo, exec_lo, s90
	s_mov_b32 s64, -1
	s_cbranch_vccnz .LBB23_24
; %bb.14:                               ;   in Loop: Header=BB23_3 Depth=1
	s_and_saveexec_b32 s64, s7
	s_delay_alu instid0(SALU_CYCLE_1)
	s_xor_b32 s69, exec_lo, s64
	s_cbranch_execnz .LBB23_1169
; %bb.15:                               ;   in Loop: Header=BB23_3 Depth=1
	s_and_not1_saveexec_b32 s64, s69
	s_cbranch_execnz .LBB23_1176
.LBB23_16:                              ;   in Loop: Header=BB23_3 Depth=1
	s_or_b32 exec_lo, exec_lo, s64
	s_and_saveexec_b32 s64, s8
	s_delay_alu instid0(SALU_CYCLE_1)
	s_xor_b32 s69, exec_lo, s64
	s_cbranch_execnz .LBB23_1177
.LBB23_17:                              ;   in Loop: Header=BB23_3 Depth=1
	s_and_not1_saveexec_b32 s64, s69
	s_cbranch_execnz .LBB23_1184
.LBB23_18:                              ;   in Loop: Header=BB23_3 Depth=1
	s_or_b32 exec_lo, exec_lo, s64
	s_and_saveexec_b32 s64, s9
	s_delay_alu instid0(SALU_CYCLE_1)
	s_xor_b32 s69, exec_lo, s64
	s_cbranch_execnz .LBB23_1185
.LBB23_19:                              ;   in Loop: Header=BB23_3 Depth=1
	s_and_not1_saveexec_b32 s64, s69
	s_cbranch_execnz .LBB23_1192
.LBB23_20:                              ;   in Loop: Header=BB23_3 Depth=1
	s_or_b32 exec_lo, exec_lo, s64
	s_and_saveexec_b32 s64, s10
	s_delay_alu instid0(SALU_CYCLE_1)
	s_xor_b32 s69, exec_lo, s64
	s_cbranch_execnz .LBB23_1193
.LBB23_21:                              ;   in Loop: Header=BB23_3 Depth=1
	s_and_not1_saveexec_b32 s64, s69
	s_cbranch_execz .LBB23_23
.LBB23_22:                              ;   in Loop: Header=BB23_3 Depth=1
	v_lshl_add_u64 v[22:23], v[18:19], 2, s[82:83]
	global_load_b32 v22, v[22:23], off
	s_wait_loadcnt 0x0
	v_xor_b32_e32 v22, 0x80000000, v22
	ds_store_b32 v74, v22
.LBB23_23:                              ;   in Loop: Header=BB23_3 Depth=1
	s_or_b32 exec_lo, exec_lo, s64
	s_mov_b32 s64, 0
.LBB23_24:                              ;   in Loop: Header=BB23_3 Depth=1
	s_delay_alu instid0(SALU_CYCLE_1)
	s_and_b32 vcc_lo, exec_lo, s64
	s_cbranch_vccz .LBB23_66
; %bb.25:                               ;   in Loop: Header=BB23_3 Depth=1
	s_mov_b32 s64, exec_lo
	v_readlane_b32 s65, v89, 13
	s_and_b32 s65, s64, s65
	s_delay_alu instid0(SALU_CYCLE_1)
	s_xor_b32 s69, s65, s64
	s_mov_b32 exec_lo, s65
	s_cbranch_execz .LBB23_33
; %bb.26:                               ;   in Loop: Header=BB23_3 Depth=1
	s_mov_b32 s64, exec_lo
	v_readlane_b32 s65, v89, 18
	s_and_b32 s65, s64, s65
	s_delay_alu instid0(SALU_CYCLE_1)
	s_xor_b32 s64, s65, s64
	s_mov_b32 exec_lo, s65
	s_cbranch_execz .LBB23_30
; %bb.27:                               ;   in Loop: Header=BB23_3 Depth=1
	s_mov_b32 s65, exec_lo
	v_readlane_b32 s80, v88, 27
	s_and_b32 s80, s65, s80
	s_delay_alu instid0(SALU_CYCLE_1)
	s_mov_b32 exec_lo, s80
; %bb.28:                               ;   in Loop: Header=BB23_3 Depth=1
	ds_store_b32 v75, v5
; %bb.29:                               ;   in Loop: Header=BB23_3 Depth=1
	s_or_b32 exec_lo, exec_lo, s65
.LBB23_30:                              ;   in Loop: Header=BB23_3 Depth=1
	s_and_not1_saveexec_b32 s64, s64
	s_cbranch_execz .LBB23_32
; %bb.31:                               ;   in Loop: Header=BB23_3 Depth=1
	v_lshl_add_u64 v[22:23], v[12:13], 2, s[82:83]
	global_load_b32 v22, v[22:23], off
	s_wait_loadcnt 0x0
	v_div_scale_f32 v23, null, v22, v22, 1.0
	s_delay_alu instid0(VALU_DEP_1) | instskip(SKIP_1) | instid1(TRANS32_DEP_1)
	v_rcp_f32_e32 v24, v23
	v_nop
	v_fma_f32 v25, -v23, v24, 1.0
	s_delay_alu instid0(VALU_DEP_1) | instskip(SKIP_1) | instid1(VALU_DEP_1)
	v_fmac_f32_e32 v24, v25, v24
	v_div_scale_f32 v25, vcc_lo, 1.0, v22, 1.0
	v_mul_f32_e32 v82, v25, v24
	s_delay_alu instid0(VALU_DEP_1) | instskip(NEXT) | instid1(VALU_DEP_1)
	v_fma_f32 v83, -v23, v82, v25
	v_fmac_f32_e32 v82, v83, v24
	s_delay_alu instid0(VALU_DEP_1) | instskip(NEXT) | instid1(VALU_DEP_1)
	v_fma_f32 v23, -v23, v82, v25
	v_div_fmas_f32 v23, v23, v24, v82
	s_delay_alu instid0(VALU_DEP_1)
	v_div_fixup_f32 v22, v23, v22, 1.0
	ds_store_b32 v75, v22
.LBB23_32:                              ;   in Loop: Header=BB23_3 Depth=1
	s_or_b32 exec_lo, exec_lo, s64
.LBB23_33:                              ;   in Loop: Header=BB23_3 Depth=1
	s_and_not1_saveexec_b32 s64, s69
	s_cbranch_execz .LBB23_35
; %bb.34:                               ;   in Loop: Header=BB23_3 Depth=1
	v_lshl_add_u64 v[22:23], v[12:13], 2, s[82:83]
	global_load_b32 v22, v[22:23], off
	s_wait_loadcnt 0x0
	v_xor_b32_e32 v22, 0x80000000, v22
	ds_store_b32 v75, v22
.LBB23_35:                              ;   in Loop: Header=BB23_3 Depth=1
	s_or_b32 exec_lo, exec_lo, s64
	s_delay_alu instid0(SALU_CYCLE_1) | instskip(SKIP_2) | instid1(SALU_CYCLE_1)
	s_mov_b32 s64, exec_lo
	v_readlane_b32 s65, v89, 14
	s_and_b32 s65, s64, s65
	s_xor_b32 s69, s65, s64
	s_mov_b32 exec_lo, s65
	s_cbranch_execz .LBB23_43
; %bb.36:                               ;   in Loop: Header=BB23_3 Depth=1
	s_mov_b32 s64, exec_lo
	v_readlane_b32 s65, v89, 20
	s_and_b32 s65, s64, s65
	s_delay_alu instid0(SALU_CYCLE_1)
	s_xor_b32 s64, s65, s64
	s_mov_b32 exec_lo, s65
	s_cbranch_execz .LBB23_40
; %bb.37:                               ;   in Loop: Header=BB23_3 Depth=1
	s_mov_b32 s65, exec_lo
	v_readlane_b32 s80, v88, 28
	s_and_b32 s80, s65, s80
	s_delay_alu instid0(SALU_CYCLE_1)
	s_mov_b32 exec_lo, s80
; %bb.38:                               ;   in Loop: Header=BB23_3 Depth=1
	ds_store_b32 v72, v5
; %bb.39:                               ;   in Loop: Header=BB23_3 Depth=1
	s_or_b32 exec_lo, exec_lo, s65
.LBB23_40:                              ;   in Loop: Header=BB23_3 Depth=1
	s_and_not1_saveexec_b32 s64, s64
	s_cbranch_execz .LBB23_42
; %bb.41:                               ;   in Loop: Header=BB23_3 Depth=1
	v_lshl_add_u64 v[22:23], v[14:15], 2, s[82:83]
	global_load_b32 v22, v[22:23], off
	s_wait_loadcnt 0x0
	v_div_scale_f32 v23, null, v22, v22, 1.0
	s_delay_alu instid0(VALU_DEP_1) | instskip(SKIP_1) | instid1(TRANS32_DEP_1)
	v_rcp_f32_e32 v24, v23
	v_nop
	v_fma_f32 v25, -v23, v24, 1.0
	s_delay_alu instid0(VALU_DEP_1) | instskip(SKIP_1) | instid1(VALU_DEP_1)
	v_fmac_f32_e32 v24, v25, v24
	v_div_scale_f32 v25, vcc_lo, 1.0, v22, 1.0
	v_mul_f32_e32 v82, v25, v24
	s_delay_alu instid0(VALU_DEP_1) | instskip(NEXT) | instid1(VALU_DEP_1)
	v_fma_f32 v83, -v23, v82, v25
	v_fmac_f32_e32 v82, v83, v24
	s_delay_alu instid0(VALU_DEP_1) | instskip(NEXT) | instid1(VALU_DEP_1)
	v_fma_f32 v23, -v23, v82, v25
	v_div_fmas_f32 v23, v23, v24, v82
	s_delay_alu instid0(VALU_DEP_1)
	v_div_fixup_f32 v22, v23, v22, 1.0
	ds_store_b32 v72, v22
.LBB23_42:                              ;   in Loop: Header=BB23_3 Depth=1
	s_or_b32 exec_lo, exec_lo, s64
.LBB23_43:                              ;   in Loop: Header=BB23_3 Depth=1
	s_and_not1_saveexec_b32 s64, s69
	s_cbranch_execz .LBB23_45
; %bb.44:                               ;   in Loop: Header=BB23_3 Depth=1
	v_lshl_add_u64 v[22:23], v[14:15], 2, s[82:83]
	global_load_b32 v22, v[22:23], off
	s_wait_loadcnt 0x0
	v_xor_b32_e32 v22, 0x80000000, v22
	ds_store_b32 v72, v22
.LBB23_45:                              ;   in Loop: Header=BB23_3 Depth=1
	s_or_b32 exec_lo, exec_lo, s64
	s_delay_alu instid0(SALU_CYCLE_1) | instskip(SKIP_2) | instid1(SALU_CYCLE_1)
	s_mov_b32 s64, exec_lo
	v_readlane_b32 s65, v89, 15
	s_and_b32 s65, s64, s65
	;; [unrolled: 63-line block ×3, first 2 shown]
	s_xor_b32 s69, s65, s64
	s_mov_b32 exec_lo, s65
	s_cbranch_execz .LBB23_63
; %bb.56:                               ;   in Loop: Header=BB23_3 Depth=1
	s_mov_b32 s64, exec_lo
	v_readlane_b32 s65, v89, 24
	s_and_b32 s65, s64, s65
	s_delay_alu instid0(SALU_CYCLE_1)
	s_xor_b32 s64, s65, s64
	s_mov_b32 exec_lo, s65
	s_cbranch_execz .LBB23_60
; %bb.57:                               ;   in Loop: Header=BB23_3 Depth=1
	s_mov_b32 s65, exec_lo
	v_readlane_b32 s80, v88, 30
	s_and_b32 s80, s65, s80
	s_delay_alu instid0(SALU_CYCLE_1)
	s_mov_b32 exec_lo, s80
; %bb.58:                               ;   in Loop: Header=BB23_3 Depth=1
	ds_store_b32 v74, v5
; %bb.59:                               ;   in Loop: Header=BB23_3 Depth=1
	s_or_b32 exec_lo, exec_lo, s65
.LBB23_60:                              ;   in Loop: Header=BB23_3 Depth=1
	s_and_not1_saveexec_b32 s64, s64
	s_cbranch_execz .LBB23_62
; %bb.61:                               ;   in Loop: Header=BB23_3 Depth=1
	v_lshl_add_u64 v[22:23], v[18:19], 2, s[82:83]
	global_load_b32 v22, v[22:23], off
	s_wait_loadcnt 0x0
	v_div_scale_f32 v23, null, v22, v22, 1.0
	s_delay_alu instid0(VALU_DEP_1) | instskip(SKIP_1) | instid1(TRANS32_DEP_1)
	v_rcp_f32_e32 v24, v23
	v_nop
	v_fma_f32 v25, -v23, v24, 1.0
	s_delay_alu instid0(VALU_DEP_1) | instskip(SKIP_1) | instid1(VALU_DEP_1)
	v_fmac_f32_e32 v24, v25, v24
	v_div_scale_f32 v25, vcc_lo, 1.0, v22, 1.0
	v_mul_f32_e32 v82, v25, v24
	s_delay_alu instid0(VALU_DEP_1) | instskip(NEXT) | instid1(VALU_DEP_1)
	v_fma_f32 v83, -v23, v82, v25
	v_fmac_f32_e32 v82, v83, v24
	s_delay_alu instid0(VALU_DEP_1) | instskip(NEXT) | instid1(VALU_DEP_1)
	v_fma_f32 v23, -v23, v82, v25
	v_div_fmas_f32 v23, v23, v24, v82
	s_delay_alu instid0(VALU_DEP_1)
	v_div_fixup_f32 v22, v23, v22, 1.0
	ds_store_b32 v74, v22
.LBB23_62:                              ;   in Loop: Header=BB23_3 Depth=1
	s_or_b32 exec_lo, exec_lo, s64
.LBB23_63:                              ;   in Loop: Header=BB23_3 Depth=1
	s_and_not1_saveexec_b32 s64, s69
	s_cbranch_execz .LBB23_65
; %bb.64:                               ;   in Loop: Header=BB23_3 Depth=1
	v_lshl_add_u64 v[22:23], v[18:19], 2, s[82:83]
	global_load_b32 v22, v[22:23], off
	s_wait_loadcnt 0x0
	v_xor_b32_e32 v22, 0x80000000, v22
	ds_store_b32 v74, v22
.LBB23_65:                              ;   in Loop: Header=BB23_3 Depth=1
	s_or_b32 exec_lo, exec_lo, s64
.LBB23_66:                              ;   in Loop: Header=BB23_3 Depth=1
	s_delay_alu instid0(SALU_CYCLE_1)
	s_and_not1_b32 vcc_lo, exec_lo, s92
	s_wait_loadcnt_dscnt 0x0
	s_barrier_signal -1
	s_barrier_wait -1
	s_cbranch_vccnz .LBB23_1104
; %bb.67:                               ;   in Loop: Header=BB23_3 Depth=1
	s_and_saveexec_b32 s64, s15
	s_cbranch_execz .LBB23_69
; %bb.68:                               ;   in Loop: Header=BB23_3 Depth=1
	ds_load_b64 v[22:23], v5
	ds_load_b32 v24, v5 offset:260
	s_wait_dscnt 0x0
	v_mul_f32_e32 v22, v22, v24
	s_delay_alu instid0(VALU_DEP_1)
	v_mul_f32_e32 v22, v23, v22
	ds_store_2addr_b32 v5, v22, v22 offset0:1 offset1:64
.LBB23_69:                              ;   in Loop: Header=BB23_3 Depth=1
	s_or_b32 exec_lo, exec_lo, s64
	v_mov_b32_e32 v22, 0
	s_wait_dscnt 0x0
	s_barrier_signal -1
	s_barrier_wait -1
	s_and_saveexec_b32 s64, s0
	s_cbranch_execz .LBB23_73
; %bb.70:                               ;   in Loop: Header=BB23_3 Depth=1
	ds_load_b32 v22, v27 offset:8
	ds_load_b32 v23, v28
	s_wait_dscnt 0x0
	v_fma_f32 v22, v22, v23, 0
	s_and_saveexec_b32 s65, s16
	s_cbranch_execz .LBB23_72
; %bb.71:                               ;   in Loop: Header=BB23_3 Depth=1
	ds_load_b32 v23, v29 offset:264
	ds_load_b32 v24, v5 offset:4
	s_wait_dscnt 0x0
	v_fmac_f32_e32 v22, v23, v24
.LBB23_72:                              ;   in Loop: Header=BB23_3 Depth=1
	s_or_b32 exec_lo, exec_lo, s65
	s_delay_alu instid0(VALU_DEP_1)
	v_xor_b32_e32 v22, 0x80000000, v22
.LBB23_73:                              ;   in Loop: Header=BB23_3 Depth=1
	s_or_b32 exec_lo, exec_lo, s64
	s_and_saveexec_b32 s64, s93
	s_cbranch_execz .LBB23_75
; %bb.74:                               ;   in Loop: Header=BB23_3 Depth=1
	ds_load_b32 v23, v5 offset:520
	s_wait_dscnt 0x0
	v_mul_f32_e32 v22, v22, v23
	ds_store_b32 v3, v22
.LBB23_75:                              ;   in Loop: Header=BB23_3 Depth=1
	s_or_b32 exec_lo, exec_lo, s64
	s_wait_dscnt 0x0
	s_barrier_signal -1
	s_barrier_wait -1
	s_and_saveexec_b32 s64, s94
	s_cbranch_execz .LBB23_77
; %bb.76:                               ;   in Loop: Header=BB23_3 Depth=1
	ds_load_b32 v23, v5 offset:524
	ds_load_b32 v24, v3
	s_wait_dscnt 0x0
	v_fmac_f32_e32 v22, v23, v24
.LBB23_77:                              ;   in Loop: Header=BB23_3 Depth=1
	s_or_b32 exec_lo, exec_lo, s64
	s_barrier_signal -1
	s_barrier_wait -1
	s_and_saveexec_b32 s64, s94
	s_cbranch_execz .LBB23_79
; %bb.78:                               ;   in Loop: Header=BB23_3 Depth=1
	ds_load_b32 v23, v5 offset:780
	s_wait_dscnt 0x0
	v_mul_f32_e32 v22, v22, v23
	ds_store_b32 v3, v22
.LBB23_79:                              ;   in Loop: Header=BB23_3 Depth=1
	s_or_b32 exec_lo, exec_lo, s64
	s_wait_dscnt 0x0
	s_barrier_signal -1
	s_barrier_wait -1
	s_barrier_signal -1
	s_barrier_wait -1
	s_and_saveexec_b32 s64, s0
; %bb.80:                               ;   in Loop: Header=BB23_3 Depth=1
	v_xor_b32_e32 v22, 0x80000000, v22
	ds_store_b32 v27, v22 offset:8
; %bb.81:                               ;   in Loop: Header=BB23_3 Depth=1
	s_or_b32 exec_lo, exec_lo, s64
	s_wait_dscnt 0x0
	s_barrier_signal -1
	s_barrier_wait -1
	s_barrier_signal -1
	s_barrier_wait -1
	s_and_saveexec_b32 s64, s95
	s_cbranch_execz .LBB23_83
; %bb.82:                               ;   in Loop: Header=BB23_3 Depth=1
	ds_load_b32 v22, v33 offset:8
	s_wait_dscnt 0x0
	ds_store_b32 v29, v22 offset:512
	ds_load_b32 v22, v33 offset:12
	s_wait_dscnt 0x0
	ds_store_b32 v29, v22 offset:768
.LBB23_83:                              ;   in Loop: Header=BB23_3 Depth=1
	s_or_b32 exec_lo, exec_lo, s64
	s_wait_dscnt 0x0
	s_barrier_signal -1
	s_barrier_wait -1
	s_and_saveexec_b32 s64, s15
	s_cbranch_execz .LBB23_85
; %bb.84:                               ;   in Loop: Header=BB23_3 Depth=1
	ds_load_b64 v[22:23], v5 offset:520
	ds_load_b32 v24, v5 offset:780
	s_wait_dscnt 0x0
	v_mul_f32_e32 v22, v22, v24
	s_delay_alu instid0(VALU_DEP_1)
	v_mul_f32_e32 v22, v23, v22
	ds_store_2addr_b32 v5, v22, v22 offset0:131 offset1:194
.LBB23_85:                              ;   in Loop: Header=BB23_3 Depth=1
	s_or_b32 exec_lo, exec_lo, s64
	v_mov_b32_e32 v22, 0
	s_wait_dscnt 0x0
	s_barrier_signal -1
	s_barrier_wait -1
	s_and_saveexec_b32 s69, s2
	s_cbranch_execz .LBB23_91
; %bb.86:                               ;   in Loop: Header=BB23_3 Depth=1
	ds_load_b32 v22, v35 offset:16
	ds_load_b32 v23, v30
	s_wait_dscnt 0x0
	v_fma_f32 v22, v22, v23, 0
	s_and_saveexec_b32 s64, s17
	s_cbranch_execnz .LBB23_1207
; %bb.87:                               ;   in Loop: Header=BB23_3 Depth=1
	s_or_b32 exec_lo, exec_lo, s64
	s_and_saveexec_b32 s64, s18
	s_cbranch_execnz .LBB23_1208
.LBB23_88:                              ;   in Loop: Header=BB23_3 Depth=1
	s_or_b32 exec_lo, exec_lo, s64
	s_and_saveexec_b32 s64, s0
	s_cbranch_execz .LBB23_90
.LBB23_89:                              ;   in Loop: Header=BB23_3 Depth=1
	ds_load_b32 v23, v37 offset:784
	ds_load_b32 v24, v5 offset:12
	s_wait_dscnt 0x0
	v_fmac_f32_e32 v22, v23, v24
.LBB23_90:                              ;   in Loop: Header=BB23_3 Depth=1
	s_or_b32 exec_lo, exec_lo, s64
	s_delay_alu instid0(VALU_DEP_1)
	v_xor_b32_e32 v22, 0x80000000, v22
.LBB23_91:                              ;   in Loop: Header=BB23_3 Depth=1
	s_or_b32 exec_lo, exec_lo, s69
	s_and_saveexec_b32 s64, s96
	s_cbranch_execz .LBB23_93
; %bb.92:                               ;   in Loop: Header=BB23_3 Depth=1
	ds_load_b32 v23, v5 offset:1040
	s_wait_dscnt 0x0
	v_mul_f32_e32 v22, v22, v23
	ds_store_b32 v34, v22
.LBB23_93:                              ;   in Loop: Header=BB23_3 Depth=1
	s_or_b32 exec_lo, exec_lo, s64
	s_wait_dscnt 0x0
	s_barrier_signal -1
	s_barrier_wait -1
	s_and_saveexec_b32 s64, s97
	s_cbranch_execz .LBB23_95
; %bb.94:                               ;   in Loop: Header=BB23_3 Depth=1
	ds_load_b32 v23, v32 offset:1040
	ds_load_b32 v24, v34
	s_wait_dscnt 0x0
	v_fmac_f32_e32 v22, v23, v24
.LBB23_95:                              ;   in Loop: Header=BB23_3 Depth=1
	s_or_b32 exec_lo, exec_lo, s64
	s_barrier_signal -1
	s_barrier_wait -1
	s_and_saveexec_b32 s64, s98
	s_cbranch_execz .LBB23_97
; %bb.96:                               ;   in Loop: Header=BB23_3 Depth=1
	ds_load_b32 v23, v5 offset:1300
	s_wait_dscnt 0x0
	v_mul_f32_e32 v22, v22, v23
	ds_store_b32 v34, v22
.LBB23_97:                              ;   in Loop: Header=BB23_3 Depth=1
	s_or_b32 exec_lo, exec_lo, s64
	s_wait_dscnt 0x0
	s_barrier_signal -1
	s_barrier_wait -1
	s_and_saveexec_b32 s64, s99
	s_cbranch_execz .LBB23_99
; %bb.98:                               ;   in Loop: Header=BB23_3 Depth=1
	ds_load_b32 v23, v32 offset:1296
	ds_load_b32 v24, v34
	s_wait_dscnt 0x0
	v_fmac_f32_e32 v22, v23, v24
.LBB23_99:                              ;   in Loop: Header=BB23_3 Depth=1
	s_or_b32 exec_lo, exec_lo, s64
	s_barrier_signal -1
	s_barrier_wait -1
	s_and_saveexec_b32 s64, s100
	s_cbranch_execz .LBB23_101
; %bb.100:                              ;   in Loop: Header=BB23_3 Depth=1
	ds_load_b32 v23, v5 offset:1560
	s_wait_dscnt 0x0
	v_mul_f32_e32 v22, v22, v23
	ds_store_b32 v34, v22
.LBB23_101:                             ;   in Loop: Header=BB23_3 Depth=1
	s_or_b32 exec_lo, exec_lo, s64
	s_wait_dscnt 0x0
	s_barrier_signal -1
	s_barrier_wait -1
	s_and_saveexec_b32 s64, s101
	s_cbranch_execz .LBB23_103
; %bb.102:                              ;   in Loop: Header=BB23_3 Depth=1
	ds_load_b32 v23, v5 offset:1564
	ds_load_b32 v24, v34
	s_wait_dscnt 0x0
	v_fmac_f32_e32 v22, v23, v24
.LBB23_103:                             ;   in Loop: Header=BB23_3 Depth=1
	s_or_b32 exec_lo, exec_lo, s64
	s_barrier_signal -1
	s_barrier_wait -1
	s_and_saveexec_b32 s64, s101
	s_cbranch_execz .LBB23_105
; %bb.104:                              ;   in Loop: Header=BB23_3 Depth=1
	ds_load_b32 v23, v5 offset:1820
	s_wait_dscnt 0x0
	v_mul_f32_e32 v22, v22, v23
	ds_store_b32 v34, v22
.LBB23_105:                             ;   in Loop: Header=BB23_3 Depth=1
	s_or_b32 exec_lo, exec_lo, s64
	s_wait_dscnt 0x0
	s_barrier_signal -1
	s_barrier_wait -1
	s_barrier_signal -1
	s_barrier_wait -1
	s_and_saveexec_b32 s64, s2
; %bb.106:                              ;   in Loop: Header=BB23_3 Depth=1
	v_xor_b32_e32 v22, 0x80000000, v22
	ds_store_b32 v35, v22 offset:16
; %bb.107:                              ;   in Loop: Header=BB23_3 Depth=1
	s_or_b32 exec_lo, exec_lo, s64
	s_wait_dscnt 0x0
	s_barrier_signal -1
	s_barrier_wait -1
	s_barrier_signal -1
	s_barrier_wait -1
	s_and_saveexec_b32 s64, s102
	s_cbranch_execz .LBB23_109
; %bb.108:                              ;   in Loop: Header=BB23_3 Depth=1
	ds_load_b32 v22, v38 offset:16
	s_wait_dscnt 0x0
	ds_store_b32 v40, v22 offset:1024
	ds_load_b32 v22, v38 offset:20
	s_wait_dscnt 0x0
	ds_store_b32 v40, v22 offset:1280
	;; [unrolled: 3-line block ×4, first 2 shown]
.LBB23_109:                             ;   in Loop: Header=BB23_3 Depth=1
	s_or_b32 exec_lo, exec_lo, s64
	s_wait_dscnt 0x0
	s_barrier_signal -1
	s_barrier_wait -1
	s_and_saveexec_b32 s64, s15
	s_cbranch_execz .LBB23_111
; %bb.110:                              ;   in Loop: Header=BB23_3 Depth=1
	ds_load_b64 v[22:23], v5 offset:1040
	ds_load_b32 v24, v5 offset:1300
	s_wait_dscnt 0x0
	v_mul_f32_e32 v22, v22, v24
	s_delay_alu instid0(VALU_DEP_1)
	v_mul_f32_e32 v22, v23, v22
	v_add_nc_u32_e64 v23, 0x400, 0
	ds_store_2addr_b32 v23, v22, v22 offset0:5 offset1:68
.LBB23_111:                             ;   in Loop: Header=BB23_3 Depth=1
	s_or_b32 exec_lo, exec_lo, s64
	v_mov_b32_e32 v22, 0
	s_wait_dscnt 0x0
	s_barrier_signal -1
	s_barrier_wait -1
	s_and_saveexec_b32 s64, s0
	s_cbranch_execz .LBB23_115
; %bb.112:                              ;   in Loop: Header=BB23_3 Depth=1
	ds_load_b32 v22, v27 offset:1048
	ds_load_b32 v23, v28 offset:1040
	s_wait_dscnt 0x0
	v_fma_f32 v22, v22, v23, 0
	s_and_saveexec_b32 s65, s16
	s_cbranch_execz .LBB23_114
; %bb.113:                              ;   in Loop: Header=BB23_3 Depth=1
	ds_load_b32 v23, v40 offset:1304
	ds_load_b32 v24, v5 offset:1044
	s_wait_dscnt 0x0
	v_fmac_f32_e32 v22, v23, v24
.LBB23_114:                             ;   in Loop: Header=BB23_3 Depth=1
	s_or_b32 exec_lo, exec_lo, s65
	s_delay_alu instid0(VALU_DEP_1)
	v_xor_b32_e32 v22, 0x80000000, v22
.LBB23_115:                             ;   in Loop: Header=BB23_3 Depth=1
	s_or_b32 exec_lo, exec_lo, s64
	s_and_saveexec_b32 s64, s93
	s_cbranch_execz .LBB23_117
; %bb.116:                              ;   in Loop: Header=BB23_3 Depth=1
	ds_load_b32 v23, v5 offset:1560
	s_wait_dscnt 0x0
	v_mul_f32_e32 v22, v22, v23
	ds_store_b32 v3, v22
.LBB23_117:                             ;   in Loop: Header=BB23_3 Depth=1
	s_or_b32 exec_lo, exec_lo, s64
	s_wait_dscnt 0x0
	s_barrier_signal -1
	s_barrier_wait -1
	s_and_saveexec_b32 s64, s94
	s_cbranch_execz .LBB23_119
; %bb.118:                              ;   in Loop: Header=BB23_3 Depth=1
	ds_load_b32 v23, v5 offset:1564
	ds_load_b32 v24, v3
	s_wait_dscnt 0x0
	v_fmac_f32_e32 v22, v23, v24
.LBB23_119:                             ;   in Loop: Header=BB23_3 Depth=1
	s_or_b32 exec_lo, exec_lo, s64
	s_barrier_signal -1
	s_barrier_wait -1
	s_and_saveexec_b32 s64, s94
	s_cbranch_execz .LBB23_121
; %bb.120:                              ;   in Loop: Header=BB23_3 Depth=1
	ds_load_b32 v23, v5 offset:1820
	s_wait_dscnt 0x0
	v_mul_f32_e32 v22, v22, v23
	ds_store_b32 v3, v22
.LBB23_121:                             ;   in Loop: Header=BB23_3 Depth=1
	s_or_b32 exec_lo, exec_lo, s64
	s_wait_dscnt 0x0
	s_barrier_signal -1
	s_barrier_wait -1
	s_barrier_signal -1
	s_barrier_wait -1
	s_and_saveexec_b32 s64, s0
; %bb.122:                              ;   in Loop: Header=BB23_3 Depth=1
	v_xor_b32_e32 v22, 0x80000000, v22
	ds_store_b32 v27, v22 offset:1048
; %bb.123:                              ;   in Loop: Header=BB23_3 Depth=1
	s_or_b32 exec_lo, exec_lo, s64
	s_wait_dscnt 0x0
	s_barrier_signal -1
	s_barrier_wait -1
	s_barrier_signal -1
	s_barrier_wait -1
	s_and_saveexec_b32 s64, s95
	s_cbranch_execz .LBB23_125
; %bb.124:                              ;   in Loop: Header=BB23_3 Depth=1
	ds_load_b32 v22, v42 offset:1048
	s_wait_dscnt 0x0
	ds_store_b32 v40, v22 offset:1552
	ds_load_b32 v22, v42 offset:1052
	s_wait_dscnt 0x0
	ds_store_b32 v40, v22 offset:1808
.LBB23_125:                             ;   in Loop: Header=BB23_3 Depth=1
	s_or_b32 exec_lo, exec_lo, s64
	s_wait_dscnt 0x0
	s_barrier_signal -1
	s_barrier_wait -1
	s_and_saveexec_b32 s64, s15
	s_cbranch_execz .LBB23_127
; %bb.126:                              ;   in Loop: Header=BB23_3 Depth=1
	ds_load_b64 v[22:23], v5 offset:1560
	ds_load_b32 v24, v5 offset:1820
	s_wait_dscnt 0x0
	v_mul_f32_e32 v22, v22, v24
	s_delay_alu instid0(VALU_DEP_1)
	v_mul_f32_e32 v22, v23, v22
	v_add_nc_u32_e64 v23, 0x400, 0
	ds_store_2addr_b32 v23, v22, v22 offset0:135 offset1:198
.LBB23_127:                             ;   in Loop: Header=BB23_3 Depth=1
	s_or_b32 exec_lo, exec_lo, s64
	v_mov_b32_e32 v22, 0
	s_wait_dscnt 0x0
	s_barrier_signal -1
	s_barrier_wait -1
	s_and_saveexec_b32 s69, s3
	s_cbranch_execz .LBB23_137
; %bb.128:                              ;   in Loop: Header=BB23_3 Depth=1
	ds_load_b32 v22, v44 offset:32
	ds_load_b32 v23, v39
	s_wait_dscnt 0x0
	v_fma_f32 v22, v22, v23, 0
	s_and_saveexec_b32 s64, s19
	s_cbranch_execnz .LBB23_1209
; %bb.129:                              ;   in Loop: Header=BB23_3 Depth=1
	s_or_b32 exec_lo, exec_lo, s64
	s_and_saveexec_b32 s64, s20
	s_cbranch_execnz .LBB23_1210
.LBB23_130:                             ;   in Loop: Header=BB23_3 Depth=1
	s_or_b32 exec_lo, exec_lo, s64
	s_and_saveexec_b32 s64, s21
	s_cbranch_execnz .LBB23_1211
.LBB23_131:                             ;   in Loop: Header=BB23_3 Depth=1
	s_or_b32 exec_lo, exec_lo, s64
	s_and_saveexec_b32 s64, s22
	s_cbranch_execnz .LBB23_1212
.LBB23_132:                             ;   in Loop: Header=BB23_3 Depth=1
	s_or_b32 exec_lo, exec_lo, s64
	s_and_saveexec_b32 s64, s23
	s_cbranch_execnz .LBB23_1213
.LBB23_133:                             ;   in Loop: Header=BB23_3 Depth=1
	s_or_b32 exec_lo, exec_lo, s64
	s_and_saveexec_b32 s64, s2
	s_cbranch_execnz .LBB23_1214
.LBB23_134:                             ;   in Loop: Header=BB23_3 Depth=1
	s_or_b32 exec_lo, exec_lo, s64
	s_and_saveexec_b32 s64, s18
	s_cbranch_execz .LBB23_136
.LBB23_135:                             ;   in Loop: Header=BB23_3 Depth=1
	ds_load_b32 v23, v46 offset:1824
	ds_load_b32 v24, v5 offset:28
	s_wait_dscnt 0x0
	v_fmac_f32_e32 v22, v23, v24
.LBB23_136:                             ;   in Loop: Header=BB23_3 Depth=1
	s_or_b32 exec_lo, exec_lo, s64
	s_delay_alu instid0(VALU_DEP_1)
	v_xor_b32_e32 v22, 0x80000000, v22
.LBB23_137:                             ;   in Loop: Header=BB23_3 Depth=1
	s_or_b32 exec_lo, exec_lo, s69
	s_and_saveexec_b32 s64, s103
	s_cbranch_execz .LBB23_139
; %bb.138:                              ;   in Loop: Header=BB23_3 Depth=1
	ds_load_b32 v23, v5 offset:2080
	s_wait_dscnt 0x0
	v_mul_f32_e32 v22, v22, v23
	ds_store_b32 v43, v22
.LBB23_139:                             ;   in Loop: Header=BB23_3 Depth=1
	s_or_b32 exec_lo, exec_lo, s64
	s_wait_dscnt 0x0
	s_barrier_signal -1
	s_barrier_wait -1
	s_and_saveexec_b32 s64, s104
	s_cbranch_execz .LBB23_141
; %bb.140:                              ;   in Loop: Header=BB23_3 Depth=1
	ds_load_b32 v23, v41 offset:2080
	ds_load_b32 v24, v43
	s_wait_dscnt 0x0
	v_fmac_f32_e32 v22, v23, v24
.LBB23_141:                             ;   in Loop: Header=BB23_3 Depth=1
	s_or_b32 exec_lo, exec_lo, s64
	s_barrier_signal -1
	s_barrier_wait -1
	s_and_saveexec_b32 s64, vcc_hi
	s_cbranch_execz .LBB23_143
; %bb.142:                              ;   in Loop: Header=BB23_3 Depth=1
	ds_load_b32 v23, v5 offset:2340
	s_wait_dscnt 0x0
	v_mul_f32_e32 v22, v22, v23
	ds_store_b32 v43, v22
.LBB23_143:                             ;   in Loop: Header=BB23_3 Depth=1
	s_or_b32 exec_lo, exec_lo, s64
	s_wait_dscnt 0x0
	s_barrier_signal -1
	s_barrier_wait -1
	s_and_saveexec_b32 s64, s36
	s_cbranch_execz .LBB23_145
; %bb.144:                              ;   in Loop: Header=BB23_3 Depth=1
	ds_load_b32 v23, v41 offset:2336
	ds_load_b32 v24, v43
	s_wait_dscnt 0x0
	v_fmac_f32_e32 v22, v23, v24
.LBB23_145:                             ;   in Loop: Header=BB23_3 Depth=1
	s_or_b32 exec_lo, exec_lo, s64
	s_barrier_signal -1
	s_barrier_wait -1
	s_and_saveexec_b32 s64, s37
	s_cbranch_execz .LBB23_147
; %bb.146:                              ;   in Loop: Header=BB23_3 Depth=1
	ds_load_b32 v23, v5 offset:2600
	s_wait_dscnt 0x0
	v_mul_f32_e32 v22, v22, v23
	ds_store_b32 v43, v22
.LBB23_147:                             ;   in Loop: Header=BB23_3 Depth=1
	s_or_b32 exec_lo, exec_lo, s64
	s_wait_dscnt 0x0
	s_barrier_signal -1
	s_barrier_wait -1
	s_and_saveexec_b32 s64, s38
	s_cbranch_execz .LBB23_149
; %bb.148:                              ;   in Loop: Header=BB23_3 Depth=1
	ds_load_b32 v23, v41 offset:2592
	ds_load_b32 v24, v43
	s_wait_dscnt 0x0
	v_fmac_f32_e32 v22, v23, v24
.LBB23_149:                             ;   in Loop: Header=BB23_3 Depth=1
	s_or_b32 exec_lo, exec_lo, s64
	s_barrier_signal -1
	s_barrier_wait -1
	s_and_saveexec_b32 s64, s39
	;; [unrolled: 23-line block ×6, first 2 shown]
	s_cbranch_execz .LBB23_167
; %bb.166:                              ;   in Loop: Header=BB23_3 Depth=1
	ds_load_b32 v23, v5 offset:3900
	s_wait_dscnt 0x0
	v_mul_f32_e32 v22, v22, v23
	ds_store_b32 v43, v22
.LBB23_167:                             ;   in Loop: Header=BB23_3 Depth=1
	s_or_b32 exec_lo, exec_lo, s64
	s_wait_dscnt 0x0
	s_barrier_signal -1
	s_barrier_wait -1
	s_barrier_signal -1
	s_barrier_wait -1
	s_and_saveexec_b32 s64, s3
; %bb.168:                              ;   in Loop: Header=BB23_3 Depth=1
	v_xor_b32_e32 v22, 0x80000000, v22
	ds_store_b32 v44, v22 offset:32
; %bb.169:                              ;   in Loop: Header=BB23_3 Depth=1
	s_or_b32 exec_lo, exec_lo, s64
	s_wait_dscnt 0x0
	s_barrier_signal -1
	s_barrier_wait -1
	s_barrier_signal -1
	s_barrier_wait -1
	s_and_saveexec_b32 s64, s47
	s_cbranch_execz .LBB23_171
; %bb.170:                              ;   in Loop: Header=BB23_3 Depth=1
	ds_load_b32 v22, v47 offset:32
	s_wait_dscnt 0x0
	ds_store_b32 v48, v22 offset:2048
	ds_load_b32 v22, v47 offset:36
	s_wait_dscnt 0x0
	ds_store_b32 v48, v22 offset:2304
	;; [unrolled: 3-line block ×8, first 2 shown]
.LBB23_171:                             ;   in Loop: Header=BB23_3 Depth=1
	s_or_b32 exec_lo, exec_lo, s64
	s_wait_dscnt 0x0
	s_barrier_signal -1
	s_barrier_wait -1
	s_and_saveexec_b32 s64, s15
	s_cbranch_execz .LBB23_173
; %bb.172:                              ;   in Loop: Header=BB23_3 Depth=1
	ds_load_b64 v[22:23], v5 offset:2080
	ds_load_b32 v24, v5 offset:2340
	s_wait_dscnt 0x0
	v_mul_f32_e32 v22, v22, v24
	s_delay_alu instid0(VALU_DEP_1)
	v_mul_f32_e32 v22, v23, v22
	v_add_nc_u32_e64 v23, 0x800, 0
	ds_store_2addr_b32 v23, v22, v22 offset0:9 offset1:72
.LBB23_173:                             ;   in Loop: Header=BB23_3 Depth=1
	s_or_b32 exec_lo, exec_lo, s64
	v_mov_b32_e32 v22, 0
	s_wait_dscnt 0x0
	s_barrier_signal -1
	s_barrier_wait -1
	s_and_saveexec_b32 s64, s0
	s_cbranch_execz .LBB23_177
; %bb.174:                              ;   in Loop: Header=BB23_3 Depth=1
	ds_load_b32 v22, v27 offset:2088
	ds_load_b32 v23, v28 offset:2080
	s_wait_dscnt 0x0
	v_fma_f32 v22, v22, v23, 0
	s_and_saveexec_b32 s65, s16
	s_cbranch_execz .LBB23_176
; %bb.175:                              ;   in Loop: Header=BB23_3 Depth=1
	ds_load_b32 v23, v48 offset:2344
	ds_load_b32 v24, v5 offset:2084
	s_wait_dscnt 0x0
	v_fmac_f32_e32 v22, v23, v24
.LBB23_176:                             ;   in Loop: Header=BB23_3 Depth=1
	s_or_b32 exec_lo, exec_lo, s65
	s_delay_alu instid0(VALU_DEP_1)
	v_xor_b32_e32 v22, 0x80000000, v22
.LBB23_177:                             ;   in Loop: Header=BB23_3 Depth=1
	s_or_b32 exec_lo, exec_lo, s64
	s_and_saveexec_b32 s64, s93
	s_cbranch_execz .LBB23_179
; %bb.178:                              ;   in Loop: Header=BB23_3 Depth=1
	ds_load_b32 v23, v5 offset:2600
	s_wait_dscnt 0x0
	v_mul_f32_e32 v22, v22, v23
	ds_store_b32 v3, v22
.LBB23_179:                             ;   in Loop: Header=BB23_3 Depth=1
	s_or_b32 exec_lo, exec_lo, s64
	s_wait_dscnt 0x0
	s_barrier_signal -1
	s_barrier_wait -1
	s_and_saveexec_b32 s64, s94
	s_cbranch_execz .LBB23_181
; %bb.180:                              ;   in Loop: Header=BB23_3 Depth=1
	ds_load_b32 v23, v5 offset:2604
	ds_load_b32 v24, v3
	s_wait_dscnt 0x0
	v_fmac_f32_e32 v22, v23, v24
.LBB23_181:                             ;   in Loop: Header=BB23_3 Depth=1
	s_or_b32 exec_lo, exec_lo, s64
	s_barrier_signal -1
	s_barrier_wait -1
	s_and_saveexec_b32 s64, s94
	s_cbranch_execz .LBB23_183
; %bb.182:                              ;   in Loop: Header=BB23_3 Depth=1
	ds_load_b32 v23, v5 offset:2860
	s_wait_dscnt 0x0
	v_mul_f32_e32 v22, v22, v23
	ds_store_b32 v3, v22
.LBB23_183:                             ;   in Loop: Header=BB23_3 Depth=1
	s_or_b32 exec_lo, exec_lo, s64
	s_wait_dscnt 0x0
	s_barrier_signal -1
	s_barrier_wait -1
	s_barrier_signal -1
	s_barrier_wait -1
	s_and_saveexec_b32 s64, s0
; %bb.184:                              ;   in Loop: Header=BB23_3 Depth=1
	v_xor_b32_e32 v22, 0x80000000, v22
	ds_store_b32 v27, v22 offset:2088
; %bb.185:                              ;   in Loop: Header=BB23_3 Depth=1
	s_or_b32 exec_lo, exec_lo, s64
	s_wait_dscnt 0x0
	s_barrier_signal -1
	s_barrier_wait -1
	s_barrier_signal -1
	s_barrier_wait -1
	s_and_saveexec_b32 s64, s95
	s_cbranch_execz .LBB23_187
; %bb.186:                              ;   in Loop: Header=BB23_3 Depth=1
	ds_load_b32 v22, v49 offset:2088
	s_wait_dscnt 0x0
	ds_store_b32 v48, v22 offset:2592
	ds_load_b32 v22, v49 offset:2092
	s_wait_dscnt 0x0
	ds_store_b32 v48, v22 offset:2848
.LBB23_187:                             ;   in Loop: Header=BB23_3 Depth=1
	s_or_b32 exec_lo, exec_lo, s64
	s_wait_dscnt 0x0
	s_barrier_signal -1
	s_barrier_wait -1
	s_and_saveexec_b32 s64, s15
	s_cbranch_execz .LBB23_189
; %bb.188:                              ;   in Loop: Header=BB23_3 Depth=1
	ds_load_b64 v[22:23], v5 offset:2600
	ds_load_b32 v24, v5 offset:2860
	s_wait_dscnt 0x0
	v_mul_f32_e32 v22, v22, v24
	s_delay_alu instid0(VALU_DEP_1)
	v_mul_f32_e32 v22, v23, v22
	v_add_nc_u32_e64 v23, 0x800, 0
	ds_store_2addr_b32 v23, v22, v22 offset0:139 offset1:202
.LBB23_189:                             ;   in Loop: Header=BB23_3 Depth=1
	s_or_b32 exec_lo, exec_lo, s64
	v_mov_b32_e32 v22, 0
	s_wait_dscnt 0x0
	s_barrier_signal -1
	s_barrier_wait -1
	s_and_saveexec_b32 s69, s2
	s_cbranch_execz .LBB23_195
; %bb.190:                              ;   in Loop: Header=BB23_3 Depth=1
	ds_load_b32 v22, v35 offset:2096
	ds_load_b32 v23, v30 offset:2080
	s_wait_dscnt 0x0
	v_fma_f32 v22, v22, v23, 0
	s_and_saveexec_b32 s64, s17
	s_cbranch_execnz .LBB23_1215
; %bb.191:                              ;   in Loop: Header=BB23_3 Depth=1
	s_or_b32 exec_lo, exec_lo, s64
	s_and_saveexec_b32 s64, s18
	s_cbranch_execnz .LBB23_1216
.LBB23_192:                             ;   in Loop: Header=BB23_3 Depth=1
	s_or_b32 exec_lo, exec_lo, s64
	s_and_saveexec_b32 s64, s0
	s_cbranch_execz .LBB23_194
.LBB23_193:                             ;   in Loop: Header=BB23_3 Depth=1
	ds_load_b32 v23, v50 offset:2864
	ds_load_b32 v24, v5 offset:2092
	s_wait_dscnt 0x0
	v_fmac_f32_e32 v22, v23, v24
.LBB23_194:                             ;   in Loop: Header=BB23_3 Depth=1
	s_or_b32 exec_lo, exec_lo, s64
	s_delay_alu instid0(VALU_DEP_1)
	v_xor_b32_e32 v22, 0x80000000, v22
.LBB23_195:                             ;   in Loop: Header=BB23_3 Depth=1
	s_or_b32 exec_lo, exec_lo, s69
	s_and_saveexec_b32 s64, s96
	s_cbranch_execz .LBB23_197
; %bb.196:                              ;   in Loop: Header=BB23_3 Depth=1
	ds_load_b32 v23, v5 offset:3120
	s_wait_dscnt 0x0
	v_mul_f32_e32 v22, v22, v23
	ds_store_b32 v34, v22
.LBB23_197:                             ;   in Loop: Header=BB23_3 Depth=1
	s_or_b32 exec_lo, exec_lo, s64
	s_wait_dscnt 0x0
	s_barrier_signal -1
	s_barrier_wait -1
	s_and_saveexec_b32 s64, s97
	s_cbranch_execz .LBB23_199
; %bb.198:                              ;   in Loop: Header=BB23_3 Depth=1
	ds_load_b32 v23, v32 offset:3120
	ds_load_b32 v24, v34
	s_wait_dscnt 0x0
	v_fmac_f32_e32 v22, v23, v24
.LBB23_199:                             ;   in Loop: Header=BB23_3 Depth=1
	s_or_b32 exec_lo, exec_lo, s64
	s_barrier_signal -1
	s_barrier_wait -1
	s_and_saveexec_b32 s64, s98
	s_cbranch_execz .LBB23_201
; %bb.200:                              ;   in Loop: Header=BB23_3 Depth=1
	ds_load_b32 v23, v5 offset:3380
	s_wait_dscnt 0x0
	v_mul_f32_e32 v22, v22, v23
	ds_store_b32 v34, v22
.LBB23_201:                             ;   in Loop: Header=BB23_3 Depth=1
	s_or_b32 exec_lo, exec_lo, s64
	s_wait_dscnt 0x0
	s_barrier_signal -1
	s_barrier_wait -1
	s_and_saveexec_b32 s64, s99
	s_cbranch_execz .LBB23_203
; %bb.202:                              ;   in Loop: Header=BB23_3 Depth=1
	ds_load_b32 v23, v32 offset:3376
	ds_load_b32 v24, v34
	s_wait_dscnt 0x0
	v_fmac_f32_e32 v22, v23, v24
.LBB23_203:                             ;   in Loop: Header=BB23_3 Depth=1
	s_or_b32 exec_lo, exec_lo, s64
	s_barrier_signal -1
	s_barrier_wait -1
	;; [unrolled: 23-line block ×3, first 2 shown]
	s_and_saveexec_b32 s64, s101
	s_cbranch_execz .LBB23_209
; %bb.208:                              ;   in Loop: Header=BB23_3 Depth=1
	ds_load_b32 v23, v5 offset:3900
	s_wait_dscnt 0x0
	v_mul_f32_e32 v22, v22, v23
	ds_store_b32 v34, v22
.LBB23_209:                             ;   in Loop: Header=BB23_3 Depth=1
	s_or_b32 exec_lo, exec_lo, s64
	s_wait_dscnt 0x0
	s_barrier_signal -1
	s_barrier_wait -1
	s_barrier_signal -1
	s_barrier_wait -1
	s_and_saveexec_b32 s64, s2
; %bb.210:                              ;   in Loop: Header=BB23_3 Depth=1
	v_xor_b32_e32 v22, 0x80000000, v22
	ds_store_b32 v35, v22 offset:2096
; %bb.211:                              ;   in Loop: Header=BB23_3 Depth=1
	s_or_b32 exec_lo, exec_lo, s64
	s_wait_dscnt 0x0
	s_barrier_signal -1
	s_barrier_wait -1
	s_barrier_signal -1
	s_barrier_wait -1
	s_and_saveexec_b32 s64, s102
	s_cbranch_execz .LBB23_213
; %bb.212:                              ;   in Loop: Header=BB23_3 Depth=1
	ds_load_b32 v22, v51 offset:2096
	s_wait_dscnt 0x0
	ds_store_b32 v52, v22 offset:3104
	ds_load_b32 v22, v51 offset:2100
	s_wait_dscnt 0x0
	ds_store_b32 v52, v22 offset:3360
	;; [unrolled: 3-line block ×4, first 2 shown]
.LBB23_213:                             ;   in Loop: Header=BB23_3 Depth=1
	s_or_b32 exec_lo, exec_lo, s64
	s_wait_dscnt 0x0
	s_barrier_signal -1
	s_barrier_wait -1
	s_and_saveexec_b32 s64, s15
	s_cbranch_execz .LBB23_215
; %bb.214:                              ;   in Loop: Header=BB23_3 Depth=1
	ds_load_b64 v[22:23], v5 offset:3120
	ds_load_b32 v24, v5 offset:3380
	s_wait_dscnt 0x0
	v_mul_f32_e32 v22, v22, v24
	s_delay_alu instid0(VALU_DEP_1)
	v_mul_f32_e32 v22, v23, v22
	v_add_nc_u32_e64 v23, 0xc00, 0
	ds_store_2addr_b32 v23, v22, v22 offset0:13 offset1:76
.LBB23_215:                             ;   in Loop: Header=BB23_3 Depth=1
	s_or_b32 exec_lo, exec_lo, s64
	v_mov_b32_e32 v22, 0
	s_wait_dscnt 0x0
	s_barrier_signal -1
	s_barrier_wait -1
	s_and_saveexec_b32 s64, s0
	s_cbranch_execz .LBB23_219
; %bb.216:                              ;   in Loop: Header=BB23_3 Depth=1
	ds_load_b32 v22, v27 offset:3128
	ds_load_b32 v23, v28 offset:3120
	s_wait_dscnt 0x0
	v_fma_f32 v22, v22, v23, 0
	s_and_saveexec_b32 s65, s16
	s_cbranch_execz .LBB23_218
; %bb.217:                              ;   in Loop: Header=BB23_3 Depth=1
	ds_load_b32 v23, v52 offset:3384
	ds_load_b32 v24, v5 offset:3124
	s_wait_dscnt 0x0
	v_fmac_f32_e32 v22, v23, v24
.LBB23_218:                             ;   in Loop: Header=BB23_3 Depth=1
	s_or_b32 exec_lo, exec_lo, s65
	s_delay_alu instid0(VALU_DEP_1)
	v_xor_b32_e32 v22, 0x80000000, v22
.LBB23_219:                             ;   in Loop: Header=BB23_3 Depth=1
	s_or_b32 exec_lo, exec_lo, s64
	s_and_saveexec_b32 s64, s93
	s_cbranch_execz .LBB23_221
; %bb.220:                              ;   in Loop: Header=BB23_3 Depth=1
	ds_load_b32 v23, v5 offset:3640
	s_wait_dscnt 0x0
	v_mul_f32_e32 v22, v22, v23
	ds_store_b32 v3, v22
.LBB23_221:                             ;   in Loop: Header=BB23_3 Depth=1
	s_or_b32 exec_lo, exec_lo, s64
	s_wait_dscnt 0x0
	s_barrier_signal -1
	s_barrier_wait -1
	s_and_saveexec_b32 s64, s94
	s_cbranch_execz .LBB23_223
; %bb.222:                              ;   in Loop: Header=BB23_3 Depth=1
	ds_load_b32 v23, v5 offset:3644
	ds_load_b32 v24, v3
	s_wait_dscnt 0x0
	v_fmac_f32_e32 v22, v23, v24
.LBB23_223:                             ;   in Loop: Header=BB23_3 Depth=1
	s_or_b32 exec_lo, exec_lo, s64
	s_barrier_signal -1
	s_barrier_wait -1
	s_and_saveexec_b32 s64, s94
	s_cbranch_execz .LBB23_225
; %bb.224:                              ;   in Loop: Header=BB23_3 Depth=1
	ds_load_b32 v23, v5 offset:3900
	s_wait_dscnt 0x0
	v_mul_f32_e32 v22, v22, v23
	ds_store_b32 v3, v22
.LBB23_225:                             ;   in Loop: Header=BB23_3 Depth=1
	s_or_b32 exec_lo, exec_lo, s64
	s_wait_dscnt 0x0
	s_barrier_signal -1
	s_barrier_wait -1
	s_barrier_signal -1
	s_barrier_wait -1
	s_and_saveexec_b32 s64, s0
; %bb.226:                              ;   in Loop: Header=BB23_3 Depth=1
	v_xor_b32_e32 v22, 0x80000000, v22
	ds_store_b32 v27, v22 offset:3128
; %bb.227:                              ;   in Loop: Header=BB23_3 Depth=1
	s_or_b32 exec_lo, exec_lo, s64
	s_wait_dscnt 0x0
	s_barrier_signal -1
	s_barrier_wait -1
	s_barrier_signal -1
	s_barrier_wait -1
	s_and_saveexec_b32 s64, s95
	s_cbranch_execz .LBB23_229
; %bb.228:                              ;   in Loop: Header=BB23_3 Depth=1
	ds_load_b32 v22, v54 offset:3128
	s_wait_dscnt 0x0
	ds_store_b32 v52, v22 offset:3632
	ds_load_b32 v22, v54 offset:3132
	s_wait_dscnt 0x0
	ds_store_b32 v52, v22 offset:3888
.LBB23_229:                             ;   in Loop: Header=BB23_3 Depth=1
	s_or_b32 exec_lo, exec_lo, s64
	s_wait_dscnt 0x0
	s_barrier_signal -1
	s_barrier_wait -1
	s_and_saveexec_b32 s64, s15
	s_cbranch_execz .LBB23_231
; %bb.230:                              ;   in Loop: Header=BB23_3 Depth=1
	ds_load_b64 v[22:23], v5 offset:3640
	ds_load_b32 v24, v5 offset:3900
	s_wait_dscnt 0x0
	v_mul_f32_e32 v22, v22, v24
	s_delay_alu instid0(VALU_DEP_1)
	v_mul_f32_e32 v22, v23, v22
	v_add_nc_u32_e64 v23, 0xc00, 0
	ds_store_2addr_b32 v23, v22, v22 offset0:143 offset1:206
.LBB23_231:                             ;   in Loop: Header=BB23_3 Depth=1
	s_or_b32 exec_lo, exec_lo, s64
	v_mov_b32_e32 v22, 0
	s_wait_dscnt 0x0
	s_barrier_signal -1
	s_barrier_wait -1
	s_and_saveexec_b32 s69, s4
	s_cbranch_execz .LBB23_259
; %bb.232:                              ;   in Loop: Header=BB23_3 Depth=1
	ds_load_b32 v22, v57 offset:64
	ds_load_b32 v23, v53
	s_wait_dscnt 0x0
	v_fma_f32 v22, v22, v23, 0
	s_mov_b32 s64, exec_lo
	v_readlane_b32 s65, v89, 25
	s_and_b32 s65, s64, s65
	s_delay_alu instid0(SALU_CYCLE_1)
	s_mov_b32 exec_lo, s65
	s_cbranch_execz .LBB23_234
; %bb.233:                              ;   in Loop: Header=BB23_3 Depth=1
	ds_load_b32 v23, v58 offset:320
	ds_load_b32 v24, v53 offset:4
	s_wait_dscnt 0x0
	v_fmac_f32_e32 v22, v23, v24
.LBB23_234:                             ;   in Loop: Header=BB23_3 Depth=1
	s_or_b32 exec_lo, exec_lo, s64
	s_delay_alu instid0(SALU_CYCLE_1) | instskip(SKIP_2) | instid1(SALU_CYCLE_1)
	s_mov_b32 s64, exec_lo
	v_readlane_b32 s65, v89, 26
	s_and_b32 s65, s64, s65
	s_mov_b32 exec_lo, s65
	s_cbranch_execz .LBB23_236
; %bb.235:                              ;   in Loop: Header=BB23_3 Depth=1
	ds_load_b32 v23, v58 offset:576
	ds_load_b32 v24, v53 offset:8
	s_wait_dscnt 0x0
	v_fmac_f32_e32 v22, v23, v24
.LBB23_236:                             ;   in Loop: Header=BB23_3 Depth=1
	s_or_b32 exec_lo, exec_lo, s64
	s_delay_alu instid0(SALU_CYCLE_1) | instskip(SKIP_2) | instid1(SALU_CYCLE_1)
	s_mov_b32 s64, exec_lo
	v_readlane_b32 s65, v89, 27
	s_and_b32 s65, s64, s65
	;; [unrolled: 13-line block ×10, first 2 shown]
	s_mov_b32 exec_lo, s65
	s_cbranch_execnz .LBB23_1217
; %bb.253:                              ;   in Loop: Header=BB23_3 Depth=1
	s_or_b32 exec_lo, exec_lo, s64
	s_and_saveexec_b32 s64, s3
	s_cbranch_execnz .LBB23_1218
.LBB23_254:                             ;   in Loop: Header=BB23_3 Depth=1
	s_or_b32 exec_lo, exec_lo, s64
	s_and_saveexec_b32 s64, s20
	s_cbranch_execnz .LBB23_1219
.LBB23_255:                             ;   in Loop: Header=BB23_3 Depth=1
	s_or_b32 exec_lo, exec_lo, s64
	s_and_saveexec_b32 s64, s22
	s_cbranch_execnz .LBB23_1220
.LBB23_256:                             ;   in Loop: Header=BB23_3 Depth=1
	s_or_b32 exec_lo, exec_lo, s64
	s_and_saveexec_b32 s64, s2
	s_cbranch_execz .LBB23_258
.LBB23_257:                             ;   in Loop: Header=BB23_3 Depth=1
	ds_load_b32 v23, v29 offset:3904
	ds_load_b32 v24, v5 offset:60
	s_wait_dscnt 0x0
	v_fmac_f32_e32 v22, v23, v24
.LBB23_258:                             ;   in Loop: Header=BB23_3 Depth=1
	s_or_b32 exec_lo, exec_lo, s64
	s_delay_alu instid0(VALU_DEP_1)
	v_xor_b32_e32 v22, 0x80000000, v22
.LBB23_259:                             ;   in Loop: Header=BB23_3 Depth=1
	s_or_b32 exec_lo, exec_lo, s69
	s_and_saveexec_b32 s64, s48
	s_cbranch_execz .LBB23_261
; %bb.260:                              ;   in Loop: Header=BB23_3 Depth=1
	ds_load_b32 v23, v5 offset:4160
	s_wait_dscnt 0x0
	v_mul_f32_e32 v22, v22, v23
	ds_store_b32 v56, v22
.LBB23_261:                             ;   in Loop: Header=BB23_3 Depth=1
	s_or_b32 exec_lo, exec_lo, s64
	s_wait_dscnt 0x0
	s_barrier_signal -1
	s_barrier_wait -1
	s_and_saveexec_b32 s64, s49
	s_cbranch_execz .LBB23_263
; %bb.262:                              ;   in Loop: Header=BB23_3 Depth=1
	ds_load_b32 v23, v55 offset:4160
	ds_load_b32 v24, v56
	s_wait_dscnt 0x0
	v_fmac_f32_e32 v22, v23, v24
.LBB23_263:                             ;   in Loop: Header=BB23_3 Depth=1
	s_or_b32 exec_lo, exec_lo, s64
	s_barrier_signal -1
	s_barrier_wait -1
	s_and_saveexec_b32 s64, s50
	s_cbranch_execz .LBB23_265
; %bb.264:                              ;   in Loop: Header=BB23_3 Depth=1
	ds_load_b32 v23, v5 offset:4420
	s_wait_dscnt 0x0
	v_mul_f32_e32 v22, v22, v23
	ds_store_b32 v56, v22
.LBB23_265:                             ;   in Loop: Header=BB23_3 Depth=1
	s_or_b32 exec_lo, exec_lo, s64
	s_wait_dscnt 0x0
	s_barrier_signal -1
	s_barrier_wait -1
	s_and_saveexec_b32 s64, s51
	s_cbranch_execz .LBB23_267
; %bb.266:                              ;   in Loop: Header=BB23_3 Depth=1
	ds_load_b32 v23, v55 offset:4416
	ds_load_b32 v24, v56
	s_wait_dscnt 0x0
	v_fmac_f32_e32 v22, v23, v24
.LBB23_267:                             ;   in Loop: Header=BB23_3 Depth=1
	s_or_b32 exec_lo, exec_lo, s64
	s_barrier_signal -1
	s_barrier_wait -1
	;; [unrolled: 23-line block ×15, first 2 shown]
	s_and_saveexec_b32 s64, s91
	s_cbranch_execz .LBB23_321
; %bb.320:                              ;   in Loop: Header=BB23_3 Depth=1
	ds_load_b32 v23, v5 offset:8060
	s_wait_dscnt 0x0
	v_mul_f32_e32 v22, v22, v23
	ds_store_b32 v56, v22
.LBB23_321:                             ;   in Loop: Header=BB23_3 Depth=1
	s_or_b32 exec_lo, exec_lo, s64
	s_wait_dscnt 0x0
	s_barrier_signal -1
	s_barrier_wait -1
	s_barrier_signal -1
	s_barrier_wait -1
	s_and_saveexec_b32 s64, s4
; %bb.322:                              ;   in Loop: Header=BB23_3 Depth=1
	v_xor_b32_e32 v22, 0x80000000, v22
	ds_store_b32 v57, v22 offset:64
; %bb.323:                              ;   in Loop: Header=BB23_3 Depth=1
	s_or_b32 exec_lo, exec_lo, s64
	s_wait_dscnt 0x0
	s_barrier_signal -1
	s_barrier_wait -1
	s_barrier_signal -1
	s_barrier_wait -1
	s_and_saveexec_b32 s65, s86
	s_cbranch_execz .LBB23_325
; %bb.324:                              ;   in Loop: Header=BB23_3 Depth=1
	ds_load_b32 v22, v33 offset:64
	s_wait_dscnt 0x0
	ds_store_b32 v37, v22 offset:4096
	ds_load_b32 v22, v33 offset:68
	s_wait_dscnt 0x0
	ds_store_b32 v37, v22 offset:4352
	;; [unrolled: 3-line block ×16, first 2 shown]
.LBB23_325:                             ;   in Loop: Header=BB23_3 Depth=1
	s_or_b32 exec_lo, exec_lo, s65
	s_wait_dscnt 0x0
	s_barrier_signal -1
	s_barrier_wait -1
	s_and_saveexec_b32 s64, s15
	s_cbranch_execz .LBB23_327
; %bb.326:                              ;   in Loop: Header=BB23_3 Depth=1
	ds_load_b64 v[22:23], v5 offset:4160
	ds_load_b32 v24, v5 offset:4420
	s_wait_dscnt 0x0
	v_mul_f32_e32 v22, v22, v24
	s_delay_alu instid0(VALU_DEP_1)
	v_mul_f32_e32 v22, v23, v22
	v_add_nc_u32_e64 v23, 0x1000, 0
	ds_store_2addr_b32 v23, v22, v22 offset0:17 offset1:80
.LBB23_327:                             ;   in Loop: Header=BB23_3 Depth=1
	s_or_b32 exec_lo, exec_lo, s64
	v_mov_b32_e32 v22, 0
	s_wait_dscnt 0x0
	s_barrier_signal -1
	s_barrier_wait -1
	s_and_saveexec_b32 s64, s0
	s_cbranch_execz .LBB23_331
; %bb.328:                              ;   in Loop: Header=BB23_3 Depth=1
	ds_load_b32 v22, v27 offset:4168
	ds_load_b32 v23, v28 offset:4160
	s_wait_dscnt 0x0
	v_fma_f32 v22, v22, v23, 0
	s_and_saveexec_b32 s65, s16
	s_cbranch_execz .LBB23_330
; %bb.329:                              ;   in Loop: Header=BB23_3 Depth=1
	ds_load_b32 v23, v29 offset:4424
	ds_load_b32 v24, v5 offset:4164
	s_wait_dscnt 0x0
	v_fmac_f32_e32 v22, v23, v24
.LBB23_330:                             ;   in Loop: Header=BB23_3 Depth=1
	s_or_b32 exec_lo, exec_lo, s65
	s_delay_alu instid0(VALU_DEP_1)
	v_xor_b32_e32 v22, 0x80000000, v22
.LBB23_331:                             ;   in Loop: Header=BB23_3 Depth=1
	s_or_b32 exec_lo, exec_lo, s64
	s_and_saveexec_b32 s64, s93
	s_cbranch_execz .LBB23_333
; %bb.332:                              ;   in Loop: Header=BB23_3 Depth=1
	ds_load_b32 v23, v5 offset:4680
	s_wait_dscnt 0x0
	v_mul_f32_e32 v22, v22, v23
	ds_store_b32 v3, v22
.LBB23_333:                             ;   in Loop: Header=BB23_3 Depth=1
	s_or_b32 exec_lo, exec_lo, s64
	s_wait_dscnt 0x0
	s_barrier_signal -1
	s_barrier_wait -1
	s_and_saveexec_b32 s64, s94
	s_cbranch_execz .LBB23_335
; %bb.334:                              ;   in Loop: Header=BB23_3 Depth=1
	ds_load_b32 v23, v5 offset:4684
	ds_load_b32 v24, v3
	s_wait_dscnt 0x0
	v_fmac_f32_e32 v22, v23, v24
.LBB23_335:                             ;   in Loop: Header=BB23_3 Depth=1
	s_or_b32 exec_lo, exec_lo, s64
	s_barrier_signal -1
	s_barrier_wait -1
	s_and_saveexec_b32 s64, s94
	s_cbranch_execz .LBB23_337
; %bb.336:                              ;   in Loop: Header=BB23_3 Depth=1
	ds_load_b32 v23, v5 offset:4940
	s_wait_dscnt 0x0
	v_mul_f32_e32 v22, v22, v23
	ds_store_b32 v3, v22
.LBB23_337:                             ;   in Loop: Header=BB23_3 Depth=1
	s_or_b32 exec_lo, exec_lo, s64
	s_wait_dscnt 0x0
	s_barrier_signal -1
	s_barrier_wait -1
	s_barrier_signal -1
	s_barrier_wait -1
	s_and_saveexec_b32 s64, s0
; %bb.338:                              ;   in Loop: Header=BB23_3 Depth=1
	v_xor_b32_e32 v22, 0x80000000, v22
	ds_store_b32 v27, v22 offset:4168
; %bb.339:                              ;   in Loop: Header=BB23_3 Depth=1
	s_or_b32 exec_lo, exec_lo, s64
	s_wait_dscnt 0x0
	s_barrier_signal -1
	s_barrier_wait -1
	s_barrier_signal -1
	s_barrier_wait -1
	s_and_saveexec_b32 s64, s95
	s_cbranch_execz .LBB23_341
; %bb.340:                              ;   in Loop: Header=BB23_3 Depth=1
	ds_load_b32 v22, v33 offset:4168
	s_wait_dscnt 0x0
	ds_store_b32 v29, v22 offset:4672
	ds_load_b32 v22, v33 offset:4172
	s_wait_dscnt 0x0
	ds_store_b32 v29, v22 offset:4928
.LBB23_341:                             ;   in Loop: Header=BB23_3 Depth=1
	s_or_b32 exec_lo, exec_lo, s64
	s_wait_dscnt 0x0
	s_barrier_signal -1
	s_barrier_wait -1
	s_and_saveexec_b32 s64, s15
	s_cbranch_execz .LBB23_343
; %bb.342:                              ;   in Loop: Header=BB23_3 Depth=1
	ds_load_b64 v[22:23], v5 offset:4680
	ds_load_b32 v24, v5 offset:4940
	s_wait_dscnt 0x0
	v_mul_f32_e32 v22, v22, v24
	s_delay_alu instid0(VALU_DEP_1)
	v_mul_f32_e32 v22, v23, v22
	v_add_nc_u32_e64 v23, 0x1000, 0
	ds_store_2addr_b32 v23, v22, v22 offset0:147 offset1:210
.LBB23_343:                             ;   in Loop: Header=BB23_3 Depth=1
	s_or_b32 exec_lo, exec_lo, s64
	v_mov_b32_e32 v22, 0
	s_wait_dscnt 0x0
	s_barrier_signal -1
	s_barrier_wait -1
	s_and_saveexec_b32 s69, s2
	s_cbranch_execz .LBB23_349
; %bb.344:                              ;   in Loop: Header=BB23_3 Depth=1
	ds_load_b32 v22, v35 offset:4176
	ds_load_b32 v23, v30 offset:4160
	s_wait_dscnt 0x0
	v_fma_f32 v22, v22, v23, 0
	s_and_saveexec_b32 s64, s17
	s_cbranch_execnz .LBB23_1221
; %bb.345:                              ;   in Loop: Header=BB23_3 Depth=1
	s_or_b32 exec_lo, exec_lo, s64
	s_and_saveexec_b32 s64, s18
	s_cbranch_execnz .LBB23_1222
.LBB23_346:                             ;   in Loop: Header=BB23_3 Depth=1
	s_or_b32 exec_lo, exec_lo, s64
	s_and_saveexec_b32 s64, s0
	s_cbranch_execz .LBB23_348
.LBB23_347:                             ;   in Loop: Header=BB23_3 Depth=1
	ds_load_b32 v23, v37 offset:4944
	ds_load_b32 v24, v5 offset:4172
	s_wait_dscnt 0x0
	v_fmac_f32_e32 v22, v23, v24
.LBB23_348:                             ;   in Loop: Header=BB23_3 Depth=1
	s_or_b32 exec_lo, exec_lo, s64
	s_delay_alu instid0(VALU_DEP_1)
	v_xor_b32_e32 v22, 0x80000000, v22
.LBB23_349:                             ;   in Loop: Header=BB23_3 Depth=1
	s_or_b32 exec_lo, exec_lo, s69
	s_and_saveexec_b32 s64, s96
	s_cbranch_execz .LBB23_351
; %bb.350:                              ;   in Loop: Header=BB23_3 Depth=1
	ds_load_b32 v23, v5 offset:5200
	s_wait_dscnt 0x0
	v_mul_f32_e32 v22, v22, v23
	ds_store_b32 v34, v22
.LBB23_351:                             ;   in Loop: Header=BB23_3 Depth=1
	s_or_b32 exec_lo, exec_lo, s64
	s_wait_dscnt 0x0
	s_barrier_signal -1
	s_barrier_wait -1
	s_and_saveexec_b32 s64, s97
	s_cbranch_execz .LBB23_353
; %bb.352:                              ;   in Loop: Header=BB23_3 Depth=1
	ds_load_b32 v23, v32 offset:5200
	ds_load_b32 v24, v34
	s_wait_dscnt 0x0
	v_fmac_f32_e32 v22, v23, v24
.LBB23_353:                             ;   in Loop: Header=BB23_3 Depth=1
	s_or_b32 exec_lo, exec_lo, s64
	s_barrier_signal -1
	s_barrier_wait -1
	s_and_saveexec_b32 s64, s98
	s_cbranch_execz .LBB23_355
; %bb.354:                              ;   in Loop: Header=BB23_3 Depth=1
	ds_load_b32 v23, v5 offset:5460
	s_wait_dscnt 0x0
	v_mul_f32_e32 v22, v22, v23
	ds_store_b32 v34, v22
.LBB23_355:                             ;   in Loop: Header=BB23_3 Depth=1
	s_or_b32 exec_lo, exec_lo, s64
	s_wait_dscnt 0x0
	s_barrier_signal -1
	s_barrier_wait -1
	s_and_saveexec_b32 s64, s99
	s_cbranch_execz .LBB23_357
; %bb.356:                              ;   in Loop: Header=BB23_3 Depth=1
	ds_load_b32 v23, v32 offset:5456
	ds_load_b32 v24, v34
	s_wait_dscnt 0x0
	v_fmac_f32_e32 v22, v23, v24
.LBB23_357:                             ;   in Loop: Header=BB23_3 Depth=1
	s_or_b32 exec_lo, exec_lo, s64
	s_barrier_signal -1
	s_barrier_wait -1
	s_and_saveexec_b32 s64, s100
	s_cbranch_execz .LBB23_359
; %bb.358:                              ;   in Loop: Header=BB23_3 Depth=1
	ds_load_b32 v23, v5 offset:5720
	s_wait_dscnt 0x0
	v_mul_f32_e32 v22, v22, v23
	ds_store_b32 v34, v22
.LBB23_359:                             ;   in Loop: Header=BB23_3 Depth=1
	s_or_b32 exec_lo, exec_lo, s64
	s_wait_dscnt 0x0
	s_barrier_signal -1
	s_barrier_wait -1
	s_and_saveexec_b32 s64, s101
	s_cbranch_execz .LBB23_361
; %bb.360:                              ;   in Loop: Header=BB23_3 Depth=1
	ds_load_b32 v23, v5 offset:5724
	ds_load_b32 v24, v34
	s_wait_dscnt 0x0
	v_fmac_f32_e32 v22, v23, v24
.LBB23_361:                             ;   in Loop: Header=BB23_3 Depth=1
	s_or_b32 exec_lo, exec_lo, s64
	s_barrier_signal -1
	s_barrier_wait -1
	s_and_saveexec_b32 s64, s101
	s_cbranch_execz .LBB23_363
; %bb.362:                              ;   in Loop: Header=BB23_3 Depth=1
	ds_load_b32 v23, v5 offset:5980
	s_wait_dscnt 0x0
	v_mul_f32_e32 v22, v22, v23
	ds_store_b32 v34, v22
.LBB23_363:                             ;   in Loop: Header=BB23_3 Depth=1
	s_or_b32 exec_lo, exec_lo, s64
	s_wait_dscnt 0x0
	s_barrier_signal -1
	s_barrier_wait -1
	s_barrier_signal -1
	s_barrier_wait -1
	s_and_saveexec_b32 s64, s2
; %bb.364:                              ;   in Loop: Header=BB23_3 Depth=1
	v_xor_b32_e32 v22, 0x80000000, v22
	ds_store_b32 v35, v22 offset:4176
; %bb.365:                              ;   in Loop: Header=BB23_3 Depth=1
	s_or_b32 exec_lo, exec_lo, s64
	s_wait_dscnt 0x0
	s_barrier_signal -1
	s_barrier_wait -1
	s_barrier_signal -1
	s_barrier_wait -1
	s_and_saveexec_b32 s64, s102
	s_cbranch_execz .LBB23_367
; %bb.366:                              ;   in Loop: Header=BB23_3 Depth=1
	ds_load_b32 v22, v38 offset:4176
	s_wait_dscnt 0x0
	ds_store_b32 v40, v22 offset:5184
	ds_load_b32 v22, v38 offset:4180
	s_wait_dscnt 0x0
	ds_store_b32 v40, v22 offset:5440
	ds_load_b32 v22, v38 offset:4184
	s_wait_dscnt 0x0
	ds_store_b32 v40, v22 offset:5696
	ds_load_b32 v22, v38 offset:4188
	s_wait_dscnt 0x0
	ds_store_b32 v40, v22 offset:5952
.LBB23_367:                             ;   in Loop: Header=BB23_3 Depth=1
	s_or_b32 exec_lo, exec_lo, s64
	s_wait_dscnt 0x0
	s_barrier_signal -1
	s_barrier_wait -1
	s_and_saveexec_b32 s64, s15
	s_cbranch_execz .LBB23_369
; %bb.368:                              ;   in Loop: Header=BB23_3 Depth=1
	ds_load_b64 v[22:23], v5 offset:5200
	ds_load_b32 v24, v5 offset:5460
	s_wait_dscnt 0x0
	v_mul_f32_e32 v22, v22, v24
	s_delay_alu instid0(VALU_DEP_1)
	v_mul_f32_e32 v22, v23, v22
	v_add_nc_u32_e64 v23, 0x1400, 0
	ds_store_2addr_b32 v23, v22, v22 offset0:21 offset1:84
.LBB23_369:                             ;   in Loop: Header=BB23_3 Depth=1
	s_or_b32 exec_lo, exec_lo, s64
	v_mov_b32_e32 v22, 0
	s_wait_dscnt 0x0
	s_barrier_signal -1
	s_barrier_wait -1
	s_and_saveexec_b32 s64, s0
	s_cbranch_execz .LBB23_373
; %bb.370:                              ;   in Loop: Header=BB23_3 Depth=1
	ds_load_b32 v22, v27 offset:5208
	ds_load_b32 v23, v28 offset:5200
	s_wait_dscnt 0x0
	v_fma_f32 v22, v22, v23, 0
	s_and_saveexec_b32 s65, s16
	s_cbranch_execz .LBB23_372
; %bb.371:                              ;   in Loop: Header=BB23_3 Depth=1
	ds_load_b32 v23, v40 offset:5464
	ds_load_b32 v24, v5 offset:5204
	s_wait_dscnt 0x0
	v_fmac_f32_e32 v22, v23, v24
.LBB23_372:                             ;   in Loop: Header=BB23_3 Depth=1
	s_or_b32 exec_lo, exec_lo, s65
	s_delay_alu instid0(VALU_DEP_1)
	v_xor_b32_e32 v22, 0x80000000, v22
.LBB23_373:                             ;   in Loop: Header=BB23_3 Depth=1
	s_or_b32 exec_lo, exec_lo, s64
	s_and_saveexec_b32 s64, s93
	s_cbranch_execz .LBB23_375
; %bb.374:                              ;   in Loop: Header=BB23_3 Depth=1
	ds_load_b32 v23, v5 offset:5720
	s_wait_dscnt 0x0
	v_mul_f32_e32 v22, v22, v23
	ds_store_b32 v3, v22
.LBB23_375:                             ;   in Loop: Header=BB23_3 Depth=1
	s_or_b32 exec_lo, exec_lo, s64
	s_wait_dscnt 0x0
	s_barrier_signal -1
	s_barrier_wait -1
	s_and_saveexec_b32 s64, s94
	s_cbranch_execz .LBB23_377
; %bb.376:                              ;   in Loop: Header=BB23_3 Depth=1
	ds_load_b32 v23, v5 offset:5724
	ds_load_b32 v24, v3
	s_wait_dscnt 0x0
	v_fmac_f32_e32 v22, v23, v24
.LBB23_377:                             ;   in Loop: Header=BB23_3 Depth=1
	s_or_b32 exec_lo, exec_lo, s64
	s_barrier_signal -1
	s_barrier_wait -1
	s_and_saveexec_b32 s64, s94
	s_cbranch_execz .LBB23_379
; %bb.378:                              ;   in Loop: Header=BB23_3 Depth=1
	ds_load_b32 v23, v5 offset:5980
	s_wait_dscnt 0x0
	v_mul_f32_e32 v22, v22, v23
	ds_store_b32 v3, v22
.LBB23_379:                             ;   in Loop: Header=BB23_3 Depth=1
	s_or_b32 exec_lo, exec_lo, s64
	s_wait_dscnt 0x0
	s_barrier_signal -1
	s_barrier_wait -1
	s_barrier_signal -1
	s_barrier_wait -1
	s_and_saveexec_b32 s64, s0
; %bb.380:                              ;   in Loop: Header=BB23_3 Depth=1
	v_xor_b32_e32 v22, 0x80000000, v22
	ds_store_b32 v27, v22 offset:5208
; %bb.381:                              ;   in Loop: Header=BB23_3 Depth=1
	s_or_b32 exec_lo, exec_lo, s64
	s_wait_dscnt 0x0
	s_barrier_signal -1
	s_barrier_wait -1
	s_barrier_signal -1
	s_barrier_wait -1
	s_and_saveexec_b32 s64, s95
	s_cbranch_execz .LBB23_383
; %bb.382:                              ;   in Loop: Header=BB23_3 Depth=1
	ds_load_b32 v22, v42 offset:5208
	s_wait_dscnt 0x0
	ds_store_b32 v40, v22 offset:5712
	ds_load_b32 v22, v42 offset:5212
	s_wait_dscnt 0x0
	ds_store_b32 v40, v22 offset:5968
.LBB23_383:                             ;   in Loop: Header=BB23_3 Depth=1
	s_or_b32 exec_lo, exec_lo, s64
	s_wait_dscnt 0x0
	s_barrier_signal -1
	s_barrier_wait -1
	s_and_saveexec_b32 s64, s15
	s_cbranch_execz .LBB23_385
; %bb.384:                              ;   in Loop: Header=BB23_3 Depth=1
	ds_load_b64 v[22:23], v5 offset:5720
	ds_load_b32 v24, v5 offset:5980
	s_wait_dscnt 0x0
	v_mul_f32_e32 v22, v22, v24
	s_delay_alu instid0(VALU_DEP_1)
	v_mul_f32_e32 v22, v23, v22
	v_add_nc_u32_e64 v23, 0x1400, 0
	ds_store_2addr_b32 v23, v22, v22 offset0:151 offset1:214
.LBB23_385:                             ;   in Loop: Header=BB23_3 Depth=1
	s_or_b32 exec_lo, exec_lo, s64
	v_mov_b32_e32 v22, 0
	s_wait_dscnt 0x0
	s_barrier_signal -1
	s_barrier_wait -1
	s_and_saveexec_b32 s69, s3
	s_cbranch_execz .LBB23_395
; %bb.386:                              ;   in Loop: Header=BB23_3 Depth=1
	ds_load_b32 v22, v44 offset:4192
	ds_load_b32 v23, v39 offset:4160
	s_wait_dscnt 0x0
	v_fma_f32 v22, v22, v23, 0
	s_and_saveexec_b32 s64, s19
	s_cbranch_execnz .LBB23_1223
; %bb.387:                              ;   in Loop: Header=BB23_3 Depth=1
	s_or_b32 exec_lo, exec_lo, s64
	s_and_saveexec_b32 s64, s20
	s_cbranch_execnz .LBB23_1224
.LBB23_388:                             ;   in Loop: Header=BB23_3 Depth=1
	s_or_b32 exec_lo, exec_lo, s64
	s_and_saveexec_b32 s64, s21
	s_cbranch_execnz .LBB23_1225
.LBB23_389:                             ;   in Loop: Header=BB23_3 Depth=1
	s_or_b32 exec_lo, exec_lo, s64
	s_and_saveexec_b32 s64, s22
	s_cbranch_execnz .LBB23_1226
.LBB23_390:                             ;   in Loop: Header=BB23_3 Depth=1
	s_or_b32 exec_lo, exec_lo, s64
	s_and_saveexec_b32 s64, s23
	s_cbranch_execnz .LBB23_1227
.LBB23_391:                             ;   in Loop: Header=BB23_3 Depth=1
	s_or_b32 exec_lo, exec_lo, s64
	s_and_saveexec_b32 s64, s2
	s_cbranch_execnz .LBB23_1228
.LBB23_392:                             ;   in Loop: Header=BB23_3 Depth=1
	s_or_b32 exec_lo, exec_lo, s64
	s_and_saveexec_b32 s64, s18
	s_cbranch_execz .LBB23_394
.LBB23_393:                             ;   in Loop: Header=BB23_3 Depth=1
	ds_load_b32 v23, v46 offset:5984
	ds_load_b32 v24, v5 offset:4188
	s_wait_dscnt 0x0
	v_fmac_f32_e32 v22, v23, v24
.LBB23_394:                             ;   in Loop: Header=BB23_3 Depth=1
	s_or_b32 exec_lo, exec_lo, s64
	s_delay_alu instid0(VALU_DEP_1)
	v_xor_b32_e32 v22, 0x80000000, v22
.LBB23_395:                             ;   in Loop: Header=BB23_3 Depth=1
	s_or_b32 exec_lo, exec_lo, s69
	s_and_saveexec_b32 s64, s103
	s_cbranch_execz .LBB23_397
; %bb.396:                              ;   in Loop: Header=BB23_3 Depth=1
	ds_load_b32 v23, v5 offset:6240
	s_wait_dscnt 0x0
	v_mul_f32_e32 v22, v22, v23
	ds_store_b32 v43, v22
.LBB23_397:                             ;   in Loop: Header=BB23_3 Depth=1
	s_or_b32 exec_lo, exec_lo, s64
	s_wait_dscnt 0x0
	s_barrier_signal -1
	s_barrier_wait -1
	s_and_saveexec_b32 s64, s104
	s_cbranch_execz .LBB23_399
; %bb.398:                              ;   in Loop: Header=BB23_3 Depth=1
	ds_load_b32 v23, v41 offset:6240
	ds_load_b32 v24, v43
	s_wait_dscnt 0x0
	v_fmac_f32_e32 v22, v23, v24
.LBB23_399:                             ;   in Loop: Header=BB23_3 Depth=1
	s_or_b32 exec_lo, exec_lo, s64
	s_barrier_signal -1
	s_barrier_wait -1
	s_and_saveexec_b32 s64, vcc_hi
	s_cbranch_execz .LBB23_401
; %bb.400:                              ;   in Loop: Header=BB23_3 Depth=1
	ds_load_b32 v23, v5 offset:6500
	s_wait_dscnt 0x0
	v_mul_f32_e32 v22, v22, v23
	ds_store_b32 v43, v22
.LBB23_401:                             ;   in Loop: Header=BB23_3 Depth=1
	s_or_b32 exec_lo, exec_lo, s64
	s_wait_dscnt 0x0
	s_barrier_signal -1
	s_barrier_wait -1
	s_and_saveexec_b32 s64, s36
	s_cbranch_execz .LBB23_403
; %bb.402:                              ;   in Loop: Header=BB23_3 Depth=1
	ds_load_b32 v23, v41 offset:6496
	ds_load_b32 v24, v43
	s_wait_dscnt 0x0
	v_fmac_f32_e32 v22, v23, v24
.LBB23_403:                             ;   in Loop: Header=BB23_3 Depth=1
	s_or_b32 exec_lo, exec_lo, s64
	s_barrier_signal -1
	s_barrier_wait -1
	s_and_saveexec_b32 s64, s37
	s_cbranch_execz .LBB23_405
; %bb.404:                              ;   in Loop: Header=BB23_3 Depth=1
	ds_load_b32 v23, v5 offset:6760
	s_wait_dscnt 0x0
	v_mul_f32_e32 v22, v22, v23
	ds_store_b32 v43, v22
.LBB23_405:                             ;   in Loop: Header=BB23_3 Depth=1
	s_or_b32 exec_lo, exec_lo, s64
	s_wait_dscnt 0x0
	s_barrier_signal -1
	s_barrier_wait -1
	s_and_saveexec_b32 s64, s38
	s_cbranch_execz .LBB23_407
; %bb.406:                              ;   in Loop: Header=BB23_3 Depth=1
	ds_load_b32 v23, v41 offset:6752
	ds_load_b32 v24, v43
	s_wait_dscnt 0x0
	v_fmac_f32_e32 v22, v23, v24
.LBB23_407:                             ;   in Loop: Header=BB23_3 Depth=1
	s_or_b32 exec_lo, exec_lo, s64
	s_barrier_signal -1
	s_barrier_wait -1
	s_and_saveexec_b32 s64, s39
	;; [unrolled: 23-line block ×6, first 2 shown]
	s_cbranch_execz .LBB23_425
; %bb.424:                              ;   in Loop: Header=BB23_3 Depth=1
	ds_load_b32 v23, v5 offset:8060
	s_wait_dscnt 0x0
	v_mul_f32_e32 v22, v22, v23
	ds_store_b32 v43, v22
.LBB23_425:                             ;   in Loop: Header=BB23_3 Depth=1
	s_or_b32 exec_lo, exec_lo, s64
	s_wait_dscnt 0x0
	s_barrier_signal -1
	s_barrier_wait -1
	s_barrier_signal -1
	s_barrier_wait -1
	s_and_saveexec_b32 s64, s3
; %bb.426:                              ;   in Loop: Header=BB23_3 Depth=1
	v_xor_b32_e32 v22, 0x80000000, v22
	ds_store_b32 v44, v22 offset:4192
; %bb.427:                              ;   in Loop: Header=BB23_3 Depth=1
	s_or_b32 exec_lo, exec_lo, s64
	s_wait_dscnt 0x0
	s_barrier_signal -1
	s_barrier_wait -1
	s_barrier_signal -1
	s_barrier_wait -1
	s_and_saveexec_b32 s64, s47
	s_cbranch_execz .LBB23_429
; %bb.428:                              ;   in Loop: Header=BB23_3 Depth=1
	ds_load_b32 v22, v47 offset:4192
	s_wait_dscnt 0x0
	ds_store_b32 v48, v22 offset:6208
	ds_load_b32 v22, v47 offset:4196
	s_wait_dscnt 0x0
	ds_store_b32 v48, v22 offset:6464
	;; [unrolled: 3-line block ×8, first 2 shown]
.LBB23_429:                             ;   in Loop: Header=BB23_3 Depth=1
	s_or_b32 exec_lo, exec_lo, s64
	s_wait_dscnt 0x0
	s_barrier_signal -1
	s_barrier_wait -1
	s_and_saveexec_b32 s64, s15
	s_cbranch_execz .LBB23_431
; %bb.430:                              ;   in Loop: Header=BB23_3 Depth=1
	ds_load_b64 v[22:23], v5 offset:6240
	ds_load_b32 v24, v5 offset:6500
	s_wait_dscnt 0x0
	v_mul_f32_e32 v22, v22, v24
	s_delay_alu instid0(VALU_DEP_1)
	v_mul_f32_e32 v22, v23, v22
	v_add_nc_u32_e64 v23, 0x1800, 0
	ds_store_2addr_b32 v23, v22, v22 offset0:25 offset1:88
.LBB23_431:                             ;   in Loop: Header=BB23_3 Depth=1
	s_or_b32 exec_lo, exec_lo, s64
	v_mov_b32_e32 v22, 0
	s_wait_dscnt 0x0
	s_barrier_signal -1
	s_barrier_wait -1
	s_and_saveexec_b32 s64, s0
	s_cbranch_execz .LBB23_435
; %bb.432:                              ;   in Loop: Header=BB23_3 Depth=1
	ds_load_b32 v22, v27 offset:6248
	ds_load_b32 v23, v28 offset:6240
	s_wait_dscnt 0x0
	v_fma_f32 v22, v22, v23, 0
	s_and_saveexec_b32 s65, s16
	s_cbranch_execz .LBB23_434
; %bb.433:                              ;   in Loop: Header=BB23_3 Depth=1
	ds_load_b32 v23, v48 offset:6504
	ds_load_b32 v24, v5 offset:6244
	s_wait_dscnt 0x0
	v_fmac_f32_e32 v22, v23, v24
.LBB23_434:                             ;   in Loop: Header=BB23_3 Depth=1
	s_or_b32 exec_lo, exec_lo, s65
	s_delay_alu instid0(VALU_DEP_1)
	v_xor_b32_e32 v22, 0x80000000, v22
.LBB23_435:                             ;   in Loop: Header=BB23_3 Depth=1
	s_or_b32 exec_lo, exec_lo, s64
	s_and_saveexec_b32 s64, s93
	s_cbranch_execz .LBB23_437
; %bb.436:                              ;   in Loop: Header=BB23_3 Depth=1
	ds_load_b32 v23, v5 offset:6760
	s_wait_dscnt 0x0
	v_mul_f32_e32 v22, v22, v23
	ds_store_b32 v3, v22
.LBB23_437:                             ;   in Loop: Header=BB23_3 Depth=1
	s_or_b32 exec_lo, exec_lo, s64
	s_wait_dscnt 0x0
	s_barrier_signal -1
	s_barrier_wait -1
	s_and_saveexec_b32 s64, s94
	s_cbranch_execz .LBB23_439
; %bb.438:                              ;   in Loop: Header=BB23_3 Depth=1
	ds_load_b32 v23, v5 offset:6764
	ds_load_b32 v24, v3
	s_wait_dscnt 0x0
	v_fmac_f32_e32 v22, v23, v24
.LBB23_439:                             ;   in Loop: Header=BB23_3 Depth=1
	s_or_b32 exec_lo, exec_lo, s64
	s_barrier_signal -1
	s_barrier_wait -1
	s_and_saveexec_b32 s64, s94
	s_cbranch_execz .LBB23_441
; %bb.440:                              ;   in Loop: Header=BB23_3 Depth=1
	ds_load_b32 v23, v5 offset:7020
	s_wait_dscnt 0x0
	v_mul_f32_e32 v22, v22, v23
	ds_store_b32 v3, v22
.LBB23_441:                             ;   in Loop: Header=BB23_3 Depth=1
	s_or_b32 exec_lo, exec_lo, s64
	s_wait_dscnt 0x0
	s_barrier_signal -1
	s_barrier_wait -1
	s_barrier_signal -1
	s_barrier_wait -1
	s_and_saveexec_b32 s64, s0
; %bb.442:                              ;   in Loop: Header=BB23_3 Depth=1
	v_xor_b32_e32 v22, 0x80000000, v22
	ds_store_b32 v27, v22 offset:6248
; %bb.443:                              ;   in Loop: Header=BB23_3 Depth=1
	s_or_b32 exec_lo, exec_lo, s64
	s_wait_dscnt 0x0
	s_barrier_signal -1
	s_barrier_wait -1
	s_barrier_signal -1
	s_barrier_wait -1
	s_and_saveexec_b32 s64, s95
	s_cbranch_execz .LBB23_445
; %bb.444:                              ;   in Loop: Header=BB23_3 Depth=1
	ds_load_b32 v22, v49 offset:6248
	s_wait_dscnt 0x0
	ds_store_b32 v48, v22 offset:6752
	ds_load_b32 v22, v49 offset:6252
	s_wait_dscnt 0x0
	ds_store_b32 v48, v22 offset:7008
.LBB23_445:                             ;   in Loop: Header=BB23_3 Depth=1
	s_or_b32 exec_lo, exec_lo, s64
	s_wait_dscnt 0x0
	s_barrier_signal -1
	s_barrier_wait -1
	s_and_saveexec_b32 s64, s15
	s_cbranch_execz .LBB23_447
; %bb.446:                              ;   in Loop: Header=BB23_3 Depth=1
	ds_load_b64 v[22:23], v5 offset:6760
	ds_load_b32 v24, v5 offset:7020
	s_wait_dscnt 0x0
	v_mul_f32_e32 v22, v22, v24
	s_delay_alu instid0(VALU_DEP_1)
	v_mul_f32_e32 v22, v23, v22
	v_add_nc_u32_e64 v23, 0x1800, 0
	ds_store_2addr_b32 v23, v22, v22 offset0:155 offset1:218
.LBB23_447:                             ;   in Loop: Header=BB23_3 Depth=1
	s_or_b32 exec_lo, exec_lo, s64
	v_mov_b32_e32 v22, 0
	s_wait_dscnt 0x0
	s_barrier_signal -1
	s_barrier_wait -1
	s_and_saveexec_b32 s69, s2
	s_cbranch_execz .LBB23_453
; %bb.448:                              ;   in Loop: Header=BB23_3 Depth=1
	ds_load_b32 v22, v35 offset:6256
	ds_load_b32 v23, v30 offset:6240
	s_wait_dscnt 0x0
	v_fma_f32 v22, v22, v23, 0
	s_and_saveexec_b32 s64, s17
	s_cbranch_execnz .LBB23_1229
; %bb.449:                              ;   in Loop: Header=BB23_3 Depth=1
	s_or_b32 exec_lo, exec_lo, s64
	s_and_saveexec_b32 s64, s18
	s_cbranch_execnz .LBB23_1230
.LBB23_450:                             ;   in Loop: Header=BB23_3 Depth=1
	s_or_b32 exec_lo, exec_lo, s64
	s_and_saveexec_b32 s64, s0
	s_cbranch_execz .LBB23_452
.LBB23_451:                             ;   in Loop: Header=BB23_3 Depth=1
	ds_load_b32 v23, v50 offset:7024
	ds_load_b32 v24, v5 offset:6252
	s_wait_dscnt 0x0
	v_fmac_f32_e32 v22, v23, v24
.LBB23_452:                             ;   in Loop: Header=BB23_3 Depth=1
	s_or_b32 exec_lo, exec_lo, s64
	s_delay_alu instid0(VALU_DEP_1)
	v_xor_b32_e32 v22, 0x80000000, v22
.LBB23_453:                             ;   in Loop: Header=BB23_3 Depth=1
	s_or_b32 exec_lo, exec_lo, s69
	s_and_saveexec_b32 s64, s96
	s_cbranch_execz .LBB23_455
; %bb.454:                              ;   in Loop: Header=BB23_3 Depth=1
	ds_load_b32 v23, v5 offset:7280
	s_wait_dscnt 0x0
	v_mul_f32_e32 v22, v22, v23
	ds_store_b32 v34, v22
.LBB23_455:                             ;   in Loop: Header=BB23_3 Depth=1
	s_or_b32 exec_lo, exec_lo, s64
	s_wait_dscnt 0x0
	s_barrier_signal -1
	s_barrier_wait -1
	s_and_saveexec_b32 s64, s97
	s_cbranch_execz .LBB23_457
; %bb.456:                              ;   in Loop: Header=BB23_3 Depth=1
	ds_load_b32 v23, v32 offset:7280
	ds_load_b32 v24, v34
	s_wait_dscnt 0x0
	v_fmac_f32_e32 v22, v23, v24
.LBB23_457:                             ;   in Loop: Header=BB23_3 Depth=1
	s_or_b32 exec_lo, exec_lo, s64
	s_barrier_signal -1
	s_barrier_wait -1
	s_and_saveexec_b32 s64, s98
	s_cbranch_execz .LBB23_459
; %bb.458:                              ;   in Loop: Header=BB23_3 Depth=1
	ds_load_b32 v23, v5 offset:7540
	s_wait_dscnt 0x0
	v_mul_f32_e32 v22, v22, v23
	ds_store_b32 v34, v22
.LBB23_459:                             ;   in Loop: Header=BB23_3 Depth=1
	s_or_b32 exec_lo, exec_lo, s64
	s_wait_dscnt 0x0
	s_barrier_signal -1
	s_barrier_wait -1
	s_and_saveexec_b32 s64, s99
	s_cbranch_execz .LBB23_461
; %bb.460:                              ;   in Loop: Header=BB23_3 Depth=1
	ds_load_b32 v23, v32 offset:7536
	ds_load_b32 v24, v34
	s_wait_dscnt 0x0
	v_fmac_f32_e32 v22, v23, v24
.LBB23_461:                             ;   in Loop: Header=BB23_3 Depth=1
	s_or_b32 exec_lo, exec_lo, s64
	s_barrier_signal -1
	s_barrier_wait -1
	;; [unrolled: 23-line block ×3, first 2 shown]
	s_and_saveexec_b32 s64, s101
	s_cbranch_execz .LBB23_467
; %bb.466:                              ;   in Loop: Header=BB23_3 Depth=1
	ds_load_b32 v23, v5 offset:8060
	s_wait_dscnt 0x0
	v_mul_f32_e32 v22, v22, v23
	ds_store_b32 v34, v22
.LBB23_467:                             ;   in Loop: Header=BB23_3 Depth=1
	s_or_b32 exec_lo, exec_lo, s64
	s_wait_dscnt 0x0
	s_barrier_signal -1
	s_barrier_wait -1
	s_barrier_signal -1
	s_barrier_wait -1
	s_and_saveexec_b32 s64, s2
; %bb.468:                              ;   in Loop: Header=BB23_3 Depth=1
	v_xor_b32_e32 v22, 0x80000000, v22
	ds_store_b32 v35, v22 offset:6256
; %bb.469:                              ;   in Loop: Header=BB23_3 Depth=1
	s_or_b32 exec_lo, exec_lo, s64
	s_wait_dscnt 0x0
	s_barrier_signal -1
	s_barrier_wait -1
	s_barrier_signal -1
	s_barrier_wait -1
	s_and_saveexec_b32 s64, s102
	s_cbranch_execz .LBB23_471
; %bb.470:                              ;   in Loop: Header=BB23_3 Depth=1
	ds_load_b32 v22, v51 offset:6256
	s_wait_dscnt 0x0
	ds_store_b32 v52, v22 offset:7264
	ds_load_b32 v22, v51 offset:6260
	s_wait_dscnt 0x0
	ds_store_b32 v52, v22 offset:7520
	;; [unrolled: 3-line block ×4, first 2 shown]
.LBB23_471:                             ;   in Loop: Header=BB23_3 Depth=1
	s_or_b32 exec_lo, exec_lo, s64
	s_wait_dscnt 0x0
	s_barrier_signal -1
	s_barrier_wait -1
	s_and_saveexec_b32 s64, s15
	s_cbranch_execz .LBB23_473
; %bb.472:                              ;   in Loop: Header=BB23_3 Depth=1
	ds_load_b64 v[22:23], v5 offset:7280
	ds_load_b32 v24, v5 offset:7540
	s_wait_dscnt 0x0
	v_mul_f32_e32 v22, v22, v24
	s_delay_alu instid0(VALU_DEP_1)
	v_mul_f32_e32 v22, v23, v22
	v_add_nc_u32_e64 v23, 0x1c00, 0
	ds_store_2addr_b32 v23, v22, v22 offset0:29 offset1:92
.LBB23_473:                             ;   in Loop: Header=BB23_3 Depth=1
	s_or_b32 exec_lo, exec_lo, s64
	v_mov_b32_e32 v22, 0
	s_wait_dscnt 0x0
	s_barrier_signal -1
	s_barrier_wait -1
	s_and_saveexec_b32 s64, s0
	s_cbranch_execz .LBB23_477
; %bb.474:                              ;   in Loop: Header=BB23_3 Depth=1
	ds_load_b32 v22, v27 offset:7288
	ds_load_b32 v23, v28 offset:7280
	s_wait_dscnt 0x0
	v_fma_f32 v22, v22, v23, 0
	s_and_saveexec_b32 s65, s16
	s_cbranch_execz .LBB23_476
; %bb.475:                              ;   in Loop: Header=BB23_3 Depth=1
	ds_load_b32 v23, v52 offset:7544
	ds_load_b32 v24, v5 offset:7284
	s_wait_dscnt 0x0
	v_fmac_f32_e32 v22, v23, v24
.LBB23_476:                             ;   in Loop: Header=BB23_3 Depth=1
	s_or_b32 exec_lo, exec_lo, s65
	s_delay_alu instid0(VALU_DEP_1)
	v_xor_b32_e32 v22, 0x80000000, v22
.LBB23_477:                             ;   in Loop: Header=BB23_3 Depth=1
	s_or_b32 exec_lo, exec_lo, s64
	s_and_saveexec_b32 s64, s93
	s_cbranch_execz .LBB23_479
; %bb.478:                              ;   in Loop: Header=BB23_3 Depth=1
	ds_load_b32 v23, v5 offset:7800
	s_wait_dscnt 0x0
	v_mul_f32_e32 v22, v22, v23
	ds_store_b32 v3, v22
.LBB23_479:                             ;   in Loop: Header=BB23_3 Depth=1
	s_or_b32 exec_lo, exec_lo, s64
	s_wait_dscnt 0x0
	s_barrier_signal -1
	s_barrier_wait -1
	s_and_saveexec_b32 s64, s94
	s_cbranch_execz .LBB23_481
; %bb.480:                              ;   in Loop: Header=BB23_3 Depth=1
	ds_load_b32 v23, v5 offset:7804
	ds_load_b32 v24, v3
	s_wait_dscnt 0x0
	v_fmac_f32_e32 v22, v23, v24
.LBB23_481:                             ;   in Loop: Header=BB23_3 Depth=1
	s_or_b32 exec_lo, exec_lo, s64
	s_barrier_signal -1
	s_barrier_wait -1
	s_and_saveexec_b32 s64, s94
	s_cbranch_execz .LBB23_483
; %bb.482:                              ;   in Loop: Header=BB23_3 Depth=1
	ds_load_b32 v23, v5 offset:8060
	s_wait_dscnt 0x0
	v_mul_f32_e32 v22, v22, v23
	ds_store_b32 v3, v22
.LBB23_483:                             ;   in Loop: Header=BB23_3 Depth=1
	s_or_b32 exec_lo, exec_lo, s64
	s_wait_dscnt 0x0
	s_barrier_signal -1
	s_barrier_wait -1
	s_barrier_signal -1
	s_barrier_wait -1
	s_and_saveexec_b32 s64, s0
; %bb.484:                              ;   in Loop: Header=BB23_3 Depth=1
	v_xor_b32_e32 v22, 0x80000000, v22
	ds_store_b32 v27, v22 offset:7288
; %bb.485:                              ;   in Loop: Header=BB23_3 Depth=1
	s_or_b32 exec_lo, exec_lo, s64
	s_wait_dscnt 0x0
	s_barrier_signal -1
	s_barrier_wait -1
	s_barrier_signal -1
	s_barrier_wait -1
	s_and_saveexec_b32 s64, s95
	s_cbranch_execz .LBB23_487
; %bb.486:                              ;   in Loop: Header=BB23_3 Depth=1
	ds_load_b32 v22, v54 offset:7288
	s_wait_dscnt 0x0
	ds_store_b32 v52, v22 offset:7792
	ds_load_b32 v22, v54 offset:7292
	s_wait_dscnt 0x0
	ds_store_b32 v52, v22 offset:8048
.LBB23_487:                             ;   in Loop: Header=BB23_3 Depth=1
	s_or_b32 exec_lo, exec_lo, s64
	s_wait_dscnt 0x0
	s_barrier_signal -1
	s_barrier_wait -1
	s_and_saveexec_b32 s64, s15
	s_cbranch_execz .LBB23_489
; %bb.488:                              ;   in Loop: Header=BB23_3 Depth=1
	ds_load_b64 v[22:23], v5 offset:7800
	ds_load_b32 v24, v5 offset:8060
	s_wait_dscnt 0x0
	v_mul_f32_e32 v22, v22, v24
	s_delay_alu instid0(VALU_DEP_1)
	v_mul_f32_e32 v22, v23, v22
	v_add_nc_u32_e64 v23, 0x1c00, 0
	ds_store_2addr_b32 v23, v22, v22 offset0:159 offset1:222
.LBB23_489:                             ;   in Loop: Header=BB23_3 Depth=1
	s_or_b32 exec_lo, exec_lo, s64
	v_mov_b32_e32 v22, 0
	s_wait_dscnt 0x0
	s_barrier_signal -1
	s_barrier_wait -1
	s_and_saveexec_b32 s82, s5
	s_cbranch_execz .LBB23_551
; %bb.490:                              ;   in Loop: Header=BB23_3 Depth=1
	v_add_nc_u32_e32 v23, v60, v59
	ds_load_b32 v22, v63 offset:128
	ds_load_b32 v24, v23
	s_wait_dscnt 0x0
	v_fma_f32 v22, v22, v24, 0
	s_mov_b32 s64, exec_lo
	v_readlane_b32 s65, v88, 4
	s_and_b32 s65, s64, s65
	s_delay_alu instid0(SALU_CYCLE_1)
	s_mov_b32 exec_lo, s65
	s_cbranch_execz .LBB23_492
; %bb.491:                              ;   in Loop: Header=BB23_3 Depth=1
	ds_load_b32 v24, v63 offset:384
	ds_load_b32 v25, v23 offset:4
	s_wait_dscnt 0x0
	v_fmac_f32_e32 v22, v24, v25
.LBB23_492:                             ;   in Loop: Header=BB23_3 Depth=1
	s_or_b32 exec_lo, exec_lo, s64
	s_delay_alu instid0(SALU_CYCLE_1) | instskip(SKIP_2) | instid1(SALU_CYCLE_1)
	s_mov_b32 s64, exec_lo
	v_readlane_b32 s65, v88, 5
	s_and_b32 s65, s64, s65
	s_mov_b32 exec_lo, s65
	s_cbranch_execz .LBB23_494
; %bb.493:                              ;   in Loop: Header=BB23_3 Depth=1
	ds_load_b32 v24, v63 offset:640
	ds_load_b32 v25, v23 offset:8
	s_wait_dscnt 0x0
	v_fmac_f32_e32 v22, v24, v25
.LBB23_494:                             ;   in Loop: Header=BB23_3 Depth=1
	s_or_b32 exec_lo, exec_lo, s64
	s_delay_alu instid0(SALU_CYCLE_1) | instskip(SKIP_2) | instid1(SALU_CYCLE_1)
	s_mov_b32 s64, exec_lo
	v_readlane_b32 s65, v88, 6
	s_and_b32 s65, s64, s65
	;; [unrolled: 13-line block ×22, first 2 shown]
	s_mov_b32 exec_lo, s65
	s_cbranch_execz .LBB23_536
; %bb.535:                              ;   in Loop: Header=BB23_3 Depth=1
	ds_load_b32 v24, v63 offset:6016
	ds_load_b32 v25, v23 offset:92
	s_wait_dscnt 0x0
	v_fmac_f32_e32 v22, v24, v25
.LBB23_536:                             ;   in Loop: Header=BB23_3 Depth=1
	s_or_b32 exec_lo, exec_lo, s64
	s_and_saveexec_b32 s64, s4
	s_cbranch_execz .LBB23_538
; %bb.537:                              ;   in Loop: Header=BB23_3 Depth=1
	ds_load_b32 v24, v63 offset:6272
	ds_load_b32 v25, v23 offset:96
	s_wait_dscnt 0x0
	v_fmac_f32_e32 v22, v24, v25
.LBB23_538:                             ;   in Loop: Header=BB23_3 Depth=1
	s_or_b32 exec_lo, exec_lo, s64
	s_delay_alu instid0(SALU_CYCLE_1) | instskip(SKIP_2) | instid1(SALU_CYCLE_1)
	s_mov_b32 s64, exec_lo
	v_readlane_b32 s65, v89, 26
	s_and_b32 s65, s64, s65
	s_mov_b32 exec_lo, s65
	s_cbranch_execz .LBB23_540
; %bb.539:                              ;   in Loop: Header=BB23_3 Depth=1
	ds_load_b32 v24, v63 offset:6528
	ds_load_b32 v25, v23 offset:100
	s_wait_dscnt 0x0
	v_fmac_f32_e32 v22, v24, v25
.LBB23_540:                             ;   in Loop: Header=BB23_3 Depth=1
	s_or_b32 exec_lo, exec_lo, s64
	s_delay_alu instid0(SALU_CYCLE_1) | instskip(SKIP_2) | instid1(SALU_CYCLE_1)
	s_mov_b32 s64, exec_lo
	v_readlane_b32 s65, v89, 28
	s_and_b32 s65, s64, s65
	s_mov_b32 exec_lo, s65
	;; [unrolled: 13-line block ×5, first 2 shown]
	s_cbranch_execnz .LBB23_1231
; %bb.547:                              ;   in Loop: Header=BB23_3 Depth=1
	s_or_b32 exec_lo, exec_lo, s64
	s_and_saveexec_b32 s64, s3
	s_cbranch_execnz .LBB23_1232
.LBB23_548:                             ;   in Loop: Header=BB23_3 Depth=1
	s_or_b32 exec_lo, exec_lo, s64
	s_and_saveexec_b32 s64, s22
	s_cbranch_execz .LBB23_550
.LBB23_549:                             ;   in Loop: Header=BB23_3 Depth=1
	ds_load_b32 v23, v29 offset:8064
	ds_load_b32 v24, v5 offset:124
	s_wait_dscnt 0x0
	v_fmac_f32_e32 v22, v23, v24
.LBB23_550:                             ;   in Loop: Header=BB23_3 Depth=1
	s_or_b32 exec_lo, exec_lo, s64
	s_delay_alu instid0(VALU_DEP_1)
	v_xor_b32_e32 v22, 0x80000000, v22
.LBB23_551:                             ;   in Loop: Header=BB23_3 Depth=1
	s_or_b32 exec_lo, exec_lo, s82
	s_delay_alu instid0(SALU_CYCLE_1) | instskip(SKIP_2) | instid1(SALU_CYCLE_1)
	s_mov_b32 s64, exec_lo
	v_readlane_b32 s65, v91, 9
	s_and_b32 s65, s64, s65
	s_mov_b32 exec_lo, s65
	s_cbranch_execz .LBB23_553
; %bb.552:                              ;   in Loop: Header=BB23_3 Depth=1
	ds_load_b32 v23, v5 offset:8320
	s_wait_dscnt 0x0
	v_mul_f32_e32 v22, v22, v23
	ds_store_b32 v62, v22
.LBB23_553:                             ;   in Loop: Header=BB23_3 Depth=1
	s_or_b32 exec_lo, exec_lo, s64
	s_wait_dscnt 0x0
	s_barrier_signal -1
	s_barrier_wait -1
	s_mov_b32 s64, exec_lo
	v_readlane_b32 s65, v91, 10
	s_and_b32 s65, s64, s65
	s_delay_alu instid0(SALU_CYCLE_1)
	s_mov_b32 exec_lo, s65
	s_cbranch_execz .LBB23_555
; %bb.554:                              ;   in Loop: Header=BB23_3 Depth=1
	ds_load_b32 v23, v61 offset:8320
	ds_load_b32 v24, v62
	s_wait_dscnt 0x0
	v_fmac_f32_e32 v22, v23, v24
.LBB23_555:                             ;   in Loop: Header=BB23_3 Depth=1
	s_or_b32 exec_lo, exec_lo, s64
	s_barrier_signal -1
	s_barrier_wait -1
	s_mov_b32 s64, exec_lo
	v_readlane_b32 s65, v91, 11
	s_and_b32 s65, s64, s65
	s_delay_alu instid0(SALU_CYCLE_1)
	s_mov_b32 exec_lo, s65
	s_cbranch_execz .LBB23_557
; %bb.556:                              ;   in Loop: Header=BB23_3 Depth=1
	ds_load_b32 v23, v5 offset:8580
	s_wait_dscnt 0x0
	v_mul_f32_e32 v22, v22, v23
	ds_store_b32 v62, v22
.LBB23_557:                             ;   in Loop: Header=BB23_3 Depth=1
	s_or_b32 exec_lo, exec_lo, s64
	s_wait_dscnt 0x0
	s_barrier_signal -1
	s_barrier_wait -1
	s_mov_b32 s64, exec_lo
	v_readlane_b32 s65, v91, 12
	s_and_b32 s65, s64, s65
	s_delay_alu instid0(SALU_CYCLE_1)
	s_mov_b32 exec_lo, s65
	s_cbranch_execz .LBB23_559
; %bb.558:                              ;   in Loop: Header=BB23_3 Depth=1
	ds_load_b32 v23, v61 offset:8576
	ds_load_b32 v24, v62
	s_wait_dscnt 0x0
	v_fmac_f32_e32 v22, v23, v24
.LBB23_559:                             ;   in Loop: Header=BB23_3 Depth=1
	s_or_b32 exec_lo, exec_lo, s64
	s_barrier_signal -1
	s_barrier_wait -1
	s_mov_b32 s64, exec_lo
	v_readlane_b32 s65, v91, 13
	s_and_b32 s65, s64, s65
	s_delay_alu instid0(SALU_CYCLE_1)
	;; [unrolled: 31-line block ×30, first 2 shown]
	s_mov_b32 exec_lo, s65
	s_cbranch_execz .LBB23_673
; %bb.672:                              ;   in Loop: Header=BB23_3 Depth=1
	ds_load_b32 v23, v5 offset:16120
	s_wait_dscnt 0x0
	v_mul_f32_e32 v22, v22, v23
	ds_store_b32 v62, v22
.LBB23_673:                             ;   in Loop: Header=BB23_3 Depth=1
	s_or_b32 exec_lo, exec_lo, s64
	s_wait_dscnt 0x0
	s_barrier_signal -1
	s_barrier_wait -1
	s_and_saveexec_b32 s64, s11
	s_cbranch_execz .LBB23_675
; %bb.674:                              ;   in Loop: Header=BB23_3 Depth=1
	ds_load_b32 v23, v5 offset:16124
	ds_load_b32 v24, v62
	s_wait_dscnt 0x0
	v_fmac_f32_e32 v22, v23, v24
.LBB23_675:                             ;   in Loop: Header=BB23_3 Depth=1
	s_or_b32 exec_lo, exec_lo, s64
	s_barrier_signal -1
	s_barrier_wait -1
	s_and_saveexec_b32 s64, s11
	s_cbranch_execz .LBB23_677
; %bb.676:                              ;   in Loop: Header=BB23_3 Depth=1
	ds_load_b32 v23, v5 offset:16380
	s_wait_dscnt 0x0
	v_mul_f32_e32 v22, v22, v23
	ds_store_b32 v62, v22
.LBB23_677:                             ;   in Loop: Header=BB23_3 Depth=1
	s_or_b32 exec_lo, exec_lo, s64
	s_wait_dscnt 0x0
	s_barrier_signal -1
	s_barrier_wait -1
	s_barrier_signal -1
	s_barrier_wait -1
	s_and_saveexec_b32 s64, s5
; %bb.678:                              ;   in Loop: Header=BB23_3 Depth=1
	v_xor_b32_e32 v22, 0x80000000, v22
	ds_store_b32 v63, v22 offset:128
; %bb.679:                              ;   in Loop: Header=BB23_3 Depth=1
	s_or_b32 exec_lo, exec_lo, s64
	s_wait_dscnt 0x0
	s_barrier_signal -1
	s_barrier_wait -1
	s_barrier_signal -1
	s_barrier_wait -1
	s_mov_b32 s69, exec_lo
	v_readlane_b32 s64, v89, 6
	s_and_b32 s64, s69, s64
	s_delay_alu instid0(SALU_CYCLE_1)
	s_mov_b32 exec_lo, s64
	s_cbranch_execz .LBB23_681
; %bb.680:                              ;   in Loop: Header=BB23_3 Depth=1
	ds_load_b32 v22, v31 offset:128
	s_wait_dscnt 0x0
	ds_store_b32 v64, v22 offset:8192
	ds_load_b32 v22, v31 offset:132
	s_wait_dscnt 0x0
	ds_store_b32 v64, v22 offset:8448
	;; [unrolled: 3-line block ×32, first 2 shown]
.LBB23_681:                             ;   in Loop: Header=BB23_3 Depth=1
	s_or_b32 exec_lo, exec_lo, s69
	s_wait_dscnt 0x0
	s_barrier_signal -1
	s_barrier_wait -1
	s_and_saveexec_b32 s64, s15
	s_cbranch_execz .LBB23_683
; %bb.682:                              ;   in Loop: Header=BB23_3 Depth=1
	ds_load_b64 v[22:23], v5 offset:8320
	ds_load_b32 v24, v5 offset:8580
	s_wait_dscnt 0x0
	v_mul_f32_e32 v22, v22, v24
	s_delay_alu instid0(VALU_DEP_1)
	v_mul_f32_e32 v22, v23, v22
	v_add_nc_u32_e64 v23, 0x2000, 0
	ds_store_2addr_b32 v23, v22, v22 offset0:33 offset1:96
.LBB23_683:                             ;   in Loop: Header=BB23_3 Depth=1
	s_or_b32 exec_lo, exec_lo, s64
	v_mov_b32_e32 v22, 0
	s_wait_dscnt 0x0
	s_barrier_signal -1
	s_barrier_wait -1
	s_and_saveexec_b32 s64, s0
	s_cbranch_execz .LBB23_687
; %bb.684:                              ;   in Loop: Header=BB23_3 Depth=1
	ds_load_b32 v22, v27 offset:8328
	ds_load_b32 v23, v28 offset:8320
	s_wait_dscnt 0x0
	v_fma_f32 v22, v22, v23, 0
	s_and_saveexec_b32 s65, s16
	s_cbranch_execz .LBB23_686
; %bb.685:                              ;   in Loop: Header=BB23_3 Depth=1
	ds_load_b32 v23, v29 offset:8584
	ds_load_b32 v24, v5 offset:8324
	s_wait_dscnt 0x0
	v_fmac_f32_e32 v22, v23, v24
.LBB23_686:                             ;   in Loop: Header=BB23_3 Depth=1
	s_or_b32 exec_lo, exec_lo, s65
	s_delay_alu instid0(VALU_DEP_1)
	v_xor_b32_e32 v22, 0x80000000, v22
.LBB23_687:                             ;   in Loop: Header=BB23_3 Depth=1
	s_or_b32 exec_lo, exec_lo, s64
	s_and_saveexec_b32 s64, s93
	s_cbranch_execz .LBB23_689
; %bb.688:                              ;   in Loop: Header=BB23_3 Depth=1
	ds_load_b32 v23, v5 offset:8840
	s_wait_dscnt 0x0
	v_mul_f32_e32 v22, v22, v23
	ds_store_b32 v3, v22
.LBB23_689:                             ;   in Loop: Header=BB23_3 Depth=1
	s_or_b32 exec_lo, exec_lo, s64
	s_wait_dscnt 0x0
	s_barrier_signal -1
	s_barrier_wait -1
	s_and_saveexec_b32 s64, s94
	s_cbranch_execz .LBB23_691
; %bb.690:                              ;   in Loop: Header=BB23_3 Depth=1
	ds_load_b32 v23, v5 offset:8844
	ds_load_b32 v24, v3
	s_wait_dscnt 0x0
	v_fmac_f32_e32 v22, v23, v24
.LBB23_691:                             ;   in Loop: Header=BB23_3 Depth=1
	s_or_b32 exec_lo, exec_lo, s64
	s_barrier_signal -1
	s_barrier_wait -1
	s_and_saveexec_b32 s64, s94
	s_cbranch_execz .LBB23_693
; %bb.692:                              ;   in Loop: Header=BB23_3 Depth=1
	ds_load_b32 v23, v5 offset:9100
	s_wait_dscnt 0x0
	v_mul_f32_e32 v22, v22, v23
	ds_store_b32 v3, v22
.LBB23_693:                             ;   in Loop: Header=BB23_3 Depth=1
	s_or_b32 exec_lo, exec_lo, s64
	s_wait_dscnt 0x0
	s_barrier_signal -1
	s_barrier_wait -1
	s_barrier_signal -1
	s_barrier_wait -1
	s_and_saveexec_b32 s64, s0
; %bb.694:                              ;   in Loop: Header=BB23_3 Depth=1
	v_xor_b32_e32 v22, 0x80000000, v22
	ds_store_b32 v27, v22 offset:8328
; %bb.695:                              ;   in Loop: Header=BB23_3 Depth=1
	s_or_b32 exec_lo, exec_lo, s64
	s_wait_dscnt 0x0
	s_barrier_signal -1
	s_barrier_wait -1
	s_barrier_signal -1
	s_barrier_wait -1
	s_and_saveexec_b32 s64, s95
	s_cbranch_execz .LBB23_697
; %bb.696:                              ;   in Loop: Header=BB23_3 Depth=1
	ds_load_b32 v22, v33 offset:8328
	s_wait_dscnt 0x0
	ds_store_b32 v29, v22 offset:8832
	ds_load_b32 v22, v33 offset:8332
	s_wait_dscnt 0x0
	ds_store_b32 v29, v22 offset:9088
.LBB23_697:                             ;   in Loop: Header=BB23_3 Depth=1
	s_or_b32 exec_lo, exec_lo, s64
	s_wait_dscnt 0x0
	s_barrier_signal -1
	s_barrier_wait -1
	s_and_saveexec_b32 s64, s15
	s_cbranch_execz .LBB23_699
; %bb.698:                              ;   in Loop: Header=BB23_3 Depth=1
	ds_load_b64 v[22:23], v5 offset:8840
	ds_load_b32 v24, v5 offset:9100
	s_wait_dscnt 0x0
	v_mul_f32_e32 v22, v22, v24
	s_delay_alu instid0(VALU_DEP_1)
	v_mul_f32_e32 v22, v23, v22
	v_add_nc_u32_e64 v23, 0x2000, 0
	ds_store_2addr_b32 v23, v22, v22 offset0:163 offset1:226
.LBB23_699:                             ;   in Loop: Header=BB23_3 Depth=1
	s_or_b32 exec_lo, exec_lo, s64
	v_mov_b32_e32 v22, 0
	s_wait_dscnt 0x0
	s_barrier_signal -1
	s_barrier_wait -1
	s_and_saveexec_b32 s69, s2
	s_cbranch_execz .LBB23_705
; %bb.700:                              ;   in Loop: Header=BB23_3 Depth=1
	ds_load_b32 v22, v35 offset:8336
	ds_load_b32 v23, v30 offset:8320
	s_wait_dscnt 0x0
	v_fma_f32 v22, v22, v23, 0
	s_and_saveexec_b32 s64, s17
	s_cbranch_execnz .LBB23_1233
; %bb.701:                              ;   in Loop: Header=BB23_3 Depth=1
	s_or_b32 exec_lo, exec_lo, s64
	s_and_saveexec_b32 s64, s18
	s_cbranch_execnz .LBB23_1234
.LBB23_702:                             ;   in Loop: Header=BB23_3 Depth=1
	s_or_b32 exec_lo, exec_lo, s64
	s_and_saveexec_b32 s64, s0
	s_cbranch_execz .LBB23_704
.LBB23_703:                             ;   in Loop: Header=BB23_3 Depth=1
	ds_load_b32 v23, v37 offset:9104
	ds_load_b32 v24, v5 offset:8332
	s_wait_dscnt 0x0
	v_fmac_f32_e32 v22, v23, v24
.LBB23_704:                             ;   in Loop: Header=BB23_3 Depth=1
	s_or_b32 exec_lo, exec_lo, s64
	s_delay_alu instid0(VALU_DEP_1)
	v_xor_b32_e32 v22, 0x80000000, v22
.LBB23_705:                             ;   in Loop: Header=BB23_3 Depth=1
	s_or_b32 exec_lo, exec_lo, s69
	s_and_saveexec_b32 s64, s96
	s_cbranch_execz .LBB23_707
; %bb.706:                              ;   in Loop: Header=BB23_3 Depth=1
	ds_load_b32 v23, v5 offset:9360
	s_wait_dscnt 0x0
	v_mul_f32_e32 v22, v22, v23
	ds_store_b32 v34, v22
.LBB23_707:                             ;   in Loop: Header=BB23_3 Depth=1
	s_or_b32 exec_lo, exec_lo, s64
	s_wait_dscnt 0x0
	s_barrier_signal -1
	s_barrier_wait -1
	s_and_saveexec_b32 s64, s97
	s_cbranch_execz .LBB23_709
; %bb.708:                              ;   in Loop: Header=BB23_3 Depth=1
	ds_load_b32 v23, v32 offset:9360
	ds_load_b32 v24, v34
	s_wait_dscnt 0x0
	v_fmac_f32_e32 v22, v23, v24
.LBB23_709:                             ;   in Loop: Header=BB23_3 Depth=1
	s_or_b32 exec_lo, exec_lo, s64
	s_barrier_signal -1
	s_barrier_wait -1
	s_and_saveexec_b32 s64, s98
	s_cbranch_execz .LBB23_711
; %bb.710:                              ;   in Loop: Header=BB23_3 Depth=1
	ds_load_b32 v23, v5 offset:9620
	s_wait_dscnt 0x0
	v_mul_f32_e32 v22, v22, v23
	ds_store_b32 v34, v22
.LBB23_711:                             ;   in Loop: Header=BB23_3 Depth=1
	s_or_b32 exec_lo, exec_lo, s64
	s_wait_dscnt 0x0
	s_barrier_signal -1
	s_barrier_wait -1
	s_and_saveexec_b32 s64, s99
	s_cbranch_execz .LBB23_713
; %bb.712:                              ;   in Loop: Header=BB23_3 Depth=1
	ds_load_b32 v23, v32 offset:9616
	ds_load_b32 v24, v34
	s_wait_dscnt 0x0
	v_fmac_f32_e32 v22, v23, v24
.LBB23_713:                             ;   in Loop: Header=BB23_3 Depth=1
	s_or_b32 exec_lo, exec_lo, s64
	s_barrier_signal -1
	s_barrier_wait -1
	;; [unrolled: 23-line block ×3, first 2 shown]
	s_and_saveexec_b32 s64, s101
	s_cbranch_execz .LBB23_719
; %bb.718:                              ;   in Loop: Header=BB23_3 Depth=1
	ds_load_b32 v23, v5 offset:10140
	s_wait_dscnt 0x0
	v_mul_f32_e32 v22, v22, v23
	ds_store_b32 v34, v22
.LBB23_719:                             ;   in Loop: Header=BB23_3 Depth=1
	s_or_b32 exec_lo, exec_lo, s64
	s_wait_dscnt 0x0
	s_barrier_signal -1
	s_barrier_wait -1
	s_barrier_signal -1
	s_barrier_wait -1
	s_and_saveexec_b32 s64, s2
; %bb.720:                              ;   in Loop: Header=BB23_3 Depth=1
	v_xor_b32_e32 v22, 0x80000000, v22
	ds_store_b32 v35, v22 offset:8336
; %bb.721:                              ;   in Loop: Header=BB23_3 Depth=1
	s_or_b32 exec_lo, exec_lo, s64
	s_wait_dscnt 0x0
	s_barrier_signal -1
	s_barrier_wait -1
	s_barrier_signal -1
	s_barrier_wait -1
	s_and_saveexec_b32 s64, s102
	s_cbranch_execz .LBB23_723
; %bb.722:                              ;   in Loop: Header=BB23_3 Depth=1
	ds_load_b32 v22, v38 offset:8336
	s_wait_dscnt 0x0
	ds_store_b32 v40, v22 offset:9344
	ds_load_b32 v22, v38 offset:8340
	s_wait_dscnt 0x0
	ds_store_b32 v40, v22 offset:9600
	;; [unrolled: 3-line block ×4, first 2 shown]
.LBB23_723:                             ;   in Loop: Header=BB23_3 Depth=1
	s_or_b32 exec_lo, exec_lo, s64
	s_wait_dscnt 0x0
	s_barrier_signal -1
	s_barrier_wait -1
	s_and_saveexec_b32 s64, s15
	s_cbranch_execz .LBB23_725
; %bb.724:                              ;   in Loop: Header=BB23_3 Depth=1
	ds_load_b64 v[22:23], v5 offset:9360
	ds_load_b32 v24, v5 offset:9620
	s_wait_dscnt 0x0
	v_mul_f32_e32 v22, v22, v24
	s_delay_alu instid0(VALU_DEP_1)
	v_mul_f32_e32 v22, v23, v22
	v_add_nc_u32_e64 v23, 0x2400, 0
	ds_store_2addr_b32 v23, v22, v22 offset0:37 offset1:100
.LBB23_725:                             ;   in Loop: Header=BB23_3 Depth=1
	s_or_b32 exec_lo, exec_lo, s64
	v_mov_b32_e32 v22, 0
	s_wait_dscnt 0x0
	s_barrier_signal -1
	s_barrier_wait -1
	s_and_saveexec_b32 s64, s0
	s_cbranch_execz .LBB23_729
; %bb.726:                              ;   in Loop: Header=BB23_3 Depth=1
	ds_load_b32 v22, v27 offset:9368
	ds_load_b32 v23, v28 offset:9360
	s_wait_dscnt 0x0
	v_fma_f32 v22, v22, v23, 0
	s_and_saveexec_b32 s65, s16
	s_cbranch_execz .LBB23_728
; %bb.727:                              ;   in Loop: Header=BB23_3 Depth=1
	ds_load_b32 v23, v40 offset:9624
	ds_load_b32 v24, v5 offset:9364
	s_wait_dscnt 0x0
	v_fmac_f32_e32 v22, v23, v24
.LBB23_728:                             ;   in Loop: Header=BB23_3 Depth=1
	s_or_b32 exec_lo, exec_lo, s65
	s_delay_alu instid0(VALU_DEP_1)
	v_xor_b32_e32 v22, 0x80000000, v22
.LBB23_729:                             ;   in Loop: Header=BB23_3 Depth=1
	s_or_b32 exec_lo, exec_lo, s64
	s_and_saveexec_b32 s64, s93
	s_cbranch_execz .LBB23_731
; %bb.730:                              ;   in Loop: Header=BB23_3 Depth=1
	ds_load_b32 v23, v5 offset:9880
	s_wait_dscnt 0x0
	v_mul_f32_e32 v22, v22, v23
	ds_store_b32 v3, v22
.LBB23_731:                             ;   in Loop: Header=BB23_3 Depth=1
	s_or_b32 exec_lo, exec_lo, s64
	s_wait_dscnt 0x0
	s_barrier_signal -1
	s_barrier_wait -1
	s_and_saveexec_b32 s64, s94
	s_cbranch_execz .LBB23_733
; %bb.732:                              ;   in Loop: Header=BB23_3 Depth=1
	ds_load_b32 v23, v5 offset:9884
	ds_load_b32 v24, v3
	s_wait_dscnt 0x0
	v_fmac_f32_e32 v22, v23, v24
.LBB23_733:                             ;   in Loop: Header=BB23_3 Depth=1
	s_or_b32 exec_lo, exec_lo, s64
	s_barrier_signal -1
	s_barrier_wait -1
	s_and_saveexec_b32 s64, s94
	s_cbranch_execz .LBB23_735
; %bb.734:                              ;   in Loop: Header=BB23_3 Depth=1
	ds_load_b32 v23, v5 offset:10140
	s_wait_dscnt 0x0
	v_mul_f32_e32 v22, v22, v23
	ds_store_b32 v3, v22
.LBB23_735:                             ;   in Loop: Header=BB23_3 Depth=1
	s_or_b32 exec_lo, exec_lo, s64
	s_wait_dscnt 0x0
	s_barrier_signal -1
	s_barrier_wait -1
	s_barrier_signal -1
	s_barrier_wait -1
	s_and_saveexec_b32 s64, s0
; %bb.736:                              ;   in Loop: Header=BB23_3 Depth=1
	v_xor_b32_e32 v22, 0x80000000, v22
	ds_store_b32 v27, v22 offset:9368
; %bb.737:                              ;   in Loop: Header=BB23_3 Depth=1
	s_or_b32 exec_lo, exec_lo, s64
	s_wait_dscnt 0x0
	s_barrier_signal -1
	s_barrier_wait -1
	s_barrier_signal -1
	s_barrier_wait -1
	s_and_saveexec_b32 s64, s95
	s_cbranch_execz .LBB23_739
; %bb.738:                              ;   in Loop: Header=BB23_3 Depth=1
	ds_load_b32 v22, v42 offset:9368
	s_wait_dscnt 0x0
	ds_store_b32 v40, v22 offset:9872
	ds_load_b32 v22, v42 offset:9372
	s_wait_dscnt 0x0
	ds_store_b32 v40, v22 offset:10128
.LBB23_739:                             ;   in Loop: Header=BB23_3 Depth=1
	s_or_b32 exec_lo, exec_lo, s64
	s_wait_dscnt 0x0
	s_barrier_signal -1
	s_barrier_wait -1
	s_and_saveexec_b32 s64, s15
	s_cbranch_execz .LBB23_741
; %bb.740:                              ;   in Loop: Header=BB23_3 Depth=1
	ds_load_b64 v[22:23], v5 offset:9880
	ds_load_b32 v24, v5 offset:10140
	s_wait_dscnt 0x0
	v_mul_f32_e32 v22, v22, v24
	s_delay_alu instid0(VALU_DEP_1)
	v_mul_f32_e32 v22, v23, v22
	v_add_nc_u32_e64 v23, 0x2400, 0
	ds_store_2addr_b32 v23, v22, v22 offset0:167 offset1:230
.LBB23_741:                             ;   in Loop: Header=BB23_3 Depth=1
	s_or_b32 exec_lo, exec_lo, s64
	v_mov_b32_e32 v22, 0
	s_wait_dscnt 0x0
	s_barrier_signal -1
	s_barrier_wait -1
	s_and_saveexec_b32 s69, s3
	s_cbranch_execz .LBB23_751
; %bb.742:                              ;   in Loop: Header=BB23_3 Depth=1
	ds_load_b32 v22, v44 offset:8352
	ds_load_b32 v23, v39 offset:8320
	s_wait_dscnt 0x0
	v_fma_f32 v22, v22, v23, 0
	s_and_saveexec_b32 s64, s19
	s_cbranch_execnz .LBB23_1235
; %bb.743:                              ;   in Loop: Header=BB23_3 Depth=1
	s_or_b32 exec_lo, exec_lo, s64
	s_and_saveexec_b32 s64, s20
	s_cbranch_execnz .LBB23_1236
.LBB23_744:                             ;   in Loop: Header=BB23_3 Depth=1
	s_or_b32 exec_lo, exec_lo, s64
	s_and_saveexec_b32 s64, s21
	s_cbranch_execnz .LBB23_1237
.LBB23_745:                             ;   in Loop: Header=BB23_3 Depth=1
	s_or_b32 exec_lo, exec_lo, s64
	s_and_saveexec_b32 s64, s22
	s_cbranch_execnz .LBB23_1238
.LBB23_746:                             ;   in Loop: Header=BB23_3 Depth=1
	s_or_b32 exec_lo, exec_lo, s64
	s_and_saveexec_b32 s64, s23
	s_cbranch_execnz .LBB23_1239
.LBB23_747:                             ;   in Loop: Header=BB23_3 Depth=1
	s_or_b32 exec_lo, exec_lo, s64
	s_and_saveexec_b32 s64, s2
	s_cbranch_execnz .LBB23_1240
.LBB23_748:                             ;   in Loop: Header=BB23_3 Depth=1
	s_or_b32 exec_lo, exec_lo, s64
	s_and_saveexec_b32 s64, s18
	s_cbranch_execz .LBB23_750
.LBB23_749:                             ;   in Loop: Header=BB23_3 Depth=1
	ds_load_b32 v23, v46 offset:10144
	ds_load_b32 v24, v5 offset:8348
	s_wait_dscnt 0x0
	v_fmac_f32_e32 v22, v23, v24
.LBB23_750:                             ;   in Loop: Header=BB23_3 Depth=1
	s_or_b32 exec_lo, exec_lo, s64
	s_delay_alu instid0(VALU_DEP_1)
	v_xor_b32_e32 v22, 0x80000000, v22
.LBB23_751:                             ;   in Loop: Header=BB23_3 Depth=1
	s_or_b32 exec_lo, exec_lo, s69
	s_and_saveexec_b32 s64, s103
	s_cbranch_execz .LBB23_753
; %bb.752:                              ;   in Loop: Header=BB23_3 Depth=1
	ds_load_b32 v23, v5 offset:10400
	s_wait_dscnt 0x0
	v_mul_f32_e32 v22, v22, v23
	ds_store_b32 v43, v22
.LBB23_753:                             ;   in Loop: Header=BB23_3 Depth=1
	s_or_b32 exec_lo, exec_lo, s64
	s_wait_dscnt 0x0
	s_barrier_signal -1
	s_barrier_wait -1
	s_and_saveexec_b32 s64, s104
	s_cbranch_execz .LBB23_755
; %bb.754:                              ;   in Loop: Header=BB23_3 Depth=1
	ds_load_b32 v23, v41 offset:10400
	ds_load_b32 v24, v43
	s_wait_dscnt 0x0
	v_fmac_f32_e32 v22, v23, v24
.LBB23_755:                             ;   in Loop: Header=BB23_3 Depth=1
	s_or_b32 exec_lo, exec_lo, s64
	s_barrier_signal -1
	s_barrier_wait -1
	s_and_saveexec_b32 s64, vcc_hi
	s_cbranch_execz .LBB23_757
; %bb.756:                              ;   in Loop: Header=BB23_3 Depth=1
	ds_load_b32 v23, v5 offset:10660
	s_wait_dscnt 0x0
	v_mul_f32_e32 v22, v22, v23
	ds_store_b32 v43, v22
.LBB23_757:                             ;   in Loop: Header=BB23_3 Depth=1
	s_or_b32 exec_lo, exec_lo, s64
	s_wait_dscnt 0x0
	s_barrier_signal -1
	s_barrier_wait -1
	s_and_saveexec_b32 s64, s36
	s_cbranch_execz .LBB23_759
; %bb.758:                              ;   in Loop: Header=BB23_3 Depth=1
	ds_load_b32 v23, v41 offset:10656
	ds_load_b32 v24, v43
	s_wait_dscnt 0x0
	v_fmac_f32_e32 v22, v23, v24
.LBB23_759:                             ;   in Loop: Header=BB23_3 Depth=1
	s_or_b32 exec_lo, exec_lo, s64
	s_barrier_signal -1
	s_barrier_wait -1
	s_and_saveexec_b32 s64, s37
	s_cbranch_execz .LBB23_761
; %bb.760:                              ;   in Loop: Header=BB23_3 Depth=1
	ds_load_b32 v23, v5 offset:10920
	s_wait_dscnt 0x0
	v_mul_f32_e32 v22, v22, v23
	ds_store_b32 v43, v22
.LBB23_761:                             ;   in Loop: Header=BB23_3 Depth=1
	s_or_b32 exec_lo, exec_lo, s64
	s_wait_dscnt 0x0
	s_barrier_signal -1
	s_barrier_wait -1
	s_and_saveexec_b32 s64, s38
	s_cbranch_execz .LBB23_763
; %bb.762:                              ;   in Loop: Header=BB23_3 Depth=1
	ds_load_b32 v23, v41 offset:10912
	ds_load_b32 v24, v43
	s_wait_dscnt 0x0
	v_fmac_f32_e32 v22, v23, v24
.LBB23_763:                             ;   in Loop: Header=BB23_3 Depth=1
	s_or_b32 exec_lo, exec_lo, s64
	s_barrier_signal -1
	s_barrier_wait -1
	s_and_saveexec_b32 s64, s39
	;; [unrolled: 23-line block ×6, first 2 shown]
	s_cbranch_execz .LBB23_781
; %bb.780:                              ;   in Loop: Header=BB23_3 Depth=1
	ds_load_b32 v23, v5 offset:12220
	s_wait_dscnt 0x0
	v_mul_f32_e32 v22, v22, v23
	ds_store_b32 v43, v22
.LBB23_781:                             ;   in Loop: Header=BB23_3 Depth=1
	s_or_b32 exec_lo, exec_lo, s64
	s_wait_dscnt 0x0
	s_barrier_signal -1
	s_barrier_wait -1
	s_barrier_signal -1
	s_barrier_wait -1
	s_and_saveexec_b32 s64, s3
; %bb.782:                              ;   in Loop: Header=BB23_3 Depth=1
	v_xor_b32_e32 v22, 0x80000000, v22
	ds_store_b32 v44, v22 offset:8352
; %bb.783:                              ;   in Loop: Header=BB23_3 Depth=1
	s_or_b32 exec_lo, exec_lo, s64
	s_wait_dscnt 0x0
	s_barrier_signal -1
	s_barrier_wait -1
	s_barrier_signal -1
	s_barrier_wait -1
	s_and_saveexec_b32 s64, s47
	s_cbranch_execz .LBB23_785
; %bb.784:                              ;   in Loop: Header=BB23_3 Depth=1
	ds_load_b32 v22, v47 offset:8352
	s_wait_dscnt 0x0
	ds_store_b32 v48, v22 offset:10368
	ds_load_b32 v22, v47 offset:8356
	s_wait_dscnt 0x0
	ds_store_b32 v48, v22 offset:10624
	;; [unrolled: 3-line block ×8, first 2 shown]
.LBB23_785:                             ;   in Loop: Header=BB23_3 Depth=1
	s_or_b32 exec_lo, exec_lo, s64
	s_wait_dscnt 0x0
	s_barrier_signal -1
	s_barrier_wait -1
	s_and_saveexec_b32 s64, s15
	s_cbranch_execz .LBB23_787
; %bb.786:                              ;   in Loop: Header=BB23_3 Depth=1
	ds_load_b64 v[22:23], v5 offset:10400
	ds_load_b32 v24, v5 offset:10660
	s_wait_dscnt 0x0
	v_mul_f32_e32 v22, v22, v24
	s_delay_alu instid0(VALU_DEP_1)
	v_mul_f32_e32 v22, v23, v22
	v_add_nc_u32_e64 v23, 0x2800, 0
	ds_store_2addr_b32 v23, v22, v22 offset0:41 offset1:104
.LBB23_787:                             ;   in Loop: Header=BB23_3 Depth=1
	s_or_b32 exec_lo, exec_lo, s64
	v_mov_b32_e32 v22, 0
	s_wait_dscnt 0x0
	s_barrier_signal -1
	s_barrier_wait -1
	s_and_saveexec_b32 s64, s0
	s_cbranch_execz .LBB23_791
; %bb.788:                              ;   in Loop: Header=BB23_3 Depth=1
	ds_load_b32 v22, v27 offset:10408
	ds_load_b32 v23, v28 offset:10400
	s_wait_dscnt 0x0
	v_fma_f32 v22, v22, v23, 0
	s_and_saveexec_b32 s65, s16
	s_cbranch_execz .LBB23_790
; %bb.789:                              ;   in Loop: Header=BB23_3 Depth=1
	ds_load_b32 v23, v48 offset:10664
	ds_load_b32 v24, v5 offset:10404
	s_wait_dscnt 0x0
	v_fmac_f32_e32 v22, v23, v24
.LBB23_790:                             ;   in Loop: Header=BB23_3 Depth=1
	s_or_b32 exec_lo, exec_lo, s65
	s_delay_alu instid0(VALU_DEP_1)
	v_xor_b32_e32 v22, 0x80000000, v22
.LBB23_791:                             ;   in Loop: Header=BB23_3 Depth=1
	s_or_b32 exec_lo, exec_lo, s64
	s_and_saveexec_b32 s64, s93
	s_cbranch_execz .LBB23_793
; %bb.792:                              ;   in Loop: Header=BB23_3 Depth=1
	ds_load_b32 v23, v5 offset:10920
	s_wait_dscnt 0x0
	v_mul_f32_e32 v22, v22, v23
	ds_store_b32 v3, v22
.LBB23_793:                             ;   in Loop: Header=BB23_3 Depth=1
	s_or_b32 exec_lo, exec_lo, s64
	s_wait_dscnt 0x0
	s_barrier_signal -1
	s_barrier_wait -1
	s_and_saveexec_b32 s64, s94
	s_cbranch_execz .LBB23_795
; %bb.794:                              ;   in Loop: Header=BB23_3 Depth=1
	ds_load_b32 v23, v5 offset:10924
	ds_load_b32 v24, v3
	s_wait_dscnt 0x0
	v_fmac_f32_e32 v22, v23, v24
.LBB23_795:                             ;   in Loop: Header=BB23_3 Depth=1
	s_or_b32 exec_lo, exec_lo, s64
	s_barrier_signal -1
	s_barrier_wait -1
	s_and_saveexec_b32 s64, s94
	s_cbranch_execz .LBB23_797
; %bb.796:                              ;   in Loop: Header=BB23_3 Depth=1
	ds_load_b32 v23, v5 offset:11180
	s_wait_dscnt 0x0
	v_mul_f32_e32 v22, v22, v23
	ds_store_b32 v3, v22
.LBB23_797:                             ;   in Loop: Header=BB23_3 Depth=1
	s_or_b32 exec_lo, exec_lo, s64
	s_wait_dscnt 0x0
	s_barrier_signal -1
	s_barrier_wait -1
	s_barrier_signal -1
	s_barrier_wait -1
	s_and_saveexec_b32 s64, s0
; %bb.798:                              ;   in Loop: Header=BB23_3 Depth=1
	v_xor_b32_e32 v22, 0x80000000, v22
	ds_store_b32 v27, v22 offset:10408
; %bb.799:                              ;   in Loop: Header=BB23_3 Depth=1
	s_or_b32 exec_lo, exec_lo, s64
	s_wait_dscnt 0x0
	s_barrier_signal -1
	s_barrier_wait -1
	s_barrier_signal -1
	s_barrier_wait -1
	s_and_saveexec_b32 s64, s95
	s_cbranch_execz .LBB23_801
; %bb.800:                              ;   in Loop: Header=BB23_3 Depth=1
	ds_load_b32 v22, v49 offset:10408
	s_wait_dscnt 0x0
	ds_store_b32 v48, v22 offset:10912
	ds_load_b32 v22, v49 offset:10412
	s_wait_dscnt 0x0
	ds_store_b32 v48, v22 offset:11168
.LBB23_801:                             ;   in Loop: Header=BB23_3 Depth=1
	s_or_b32 exec_lo, exec_lo, s64
	s_wait_dscnt 0x0
	s_barrier_signal -1
	s_barrier_wait -1
	s_and_saveexec_b32 s64, s15
	s_cbranch_execz .LBB23_803
; %bb.802:                              ;   in Loop: Header=BB23_3 Depth=1
	ds_load_b64 v[22:23], v5 offset:10920
	ds_load_b32 v24, v5 offset:11180
	s_wait_dscnt 0x0
	v_mul_f32_e32 v22, v22, v24
	s_delay_alu instid0(VALU_DEP_1)
	v_mul_f32_e32 v22, v23, v22
	v_add_nc_u32_e64 v23, 0x2800, 0
	ds_store_2addr_b32 v23, v22, v22 offset0:171 offset1:234
.LBB23_803:                             ;   in Loop: Header=BB23_3 Depth=1
	s_or_b32 exec_lo, exec_lo, s64
	v_mov_b32_e32 v22, 0
	s_wait_dscnt 0x0
	s_barrier_signal -1
	s_barrier_wait -1
	s_and_saveexec_b32 s69, s2
	s_cbranch_execz .LBB23_809
; %bb.804:                              ;   in Loop: Header=BB23_3 Depth=1
	ds_load_b32 v22, v35 offset:10416
	ds_load_b32 v23, v30 offset:10400
	s_wait_dscnt 0x0
	v_fma_f32 v22, v22, v23, 0
	s_and_saveexec_b32 s64, s17
	s_cbranch_execnz .LBB23_1241
; %bb.805:                              ;   in Loop: Header=BB23_3 Depth=1
	s_or_b32 exec_lo, exec_lo, s64
	s_and_saveexec_b32 s64, s18
	s_cbranch_execnz .LBB23_1242
.LBB23_806:                             ;   in Loop: Header=BB23_3 Depth=1
	s_or_b32 exec_lo, exec_lo, s64
	s_and_saveexec_b32 s64, s0
	s_cbranch_execz .LBB23_808
.LBB23_807:                             ;   in Loop: Header=BB23_3 Depth=1
	ds_load_b32 v23, v50 offset:11184
	ds_load_b32 v24, v5 offset:10412
	s_wait_dscnt 0x0
	v_fmac_f32_e32 v22, v23, v24
.LBB23_808:                             ;   in Loop: Header=BB23_3 Depth=1
	s_or_b32 exec_lo, exec_lo, s64
	s_delay_alu instid0(VALU_DEP_1)
	v_xor_b32_e32 v22, 0x80000000, v22
.LBB23_809:                             ;   in Loop: Header=BB23_3 Depth=1
	s_or_b32 exec_lo, exec_lo, s69
	s_and_saveexec_b32 s64, s96
	s_cbranch_execz .LBB23_811
; %bb.810:                              ;   in Loop: Header=BB23_3 Depth=1
	ds_load_b32 v23, v5 offset:11440
	s_wait_dscnt 0x0
	v_mul_f32_e32 v22, v22, v23
	ds_store_b32 v34, v22
.LBB23_811:                             ;   in Loop: Header=BB23_3 Depth=1
	s_or_b32 exec_lo, exec_lo, s64
	s_wait_dscnt 0x0
	s_barrier_signal -1
	s_barrier_wait -1
	s_and_saveexec_b32 s64, s97
	s_cbranch_execz .LBB23_813
; %bb.812:                              ;   in Loop: Header=BB23_3 Depth=1
	ds_load_b32 v23, v32 offset:11440
	ds_load_b32 v24, v34
	s_wait_dscnt 0x0
	v_fmac_f32_e32 v22, v23, v24
.LBB23_813:                             ;   in Loop: Header=BB23_3 Depth=1
	s_or_b32 exec_lo, exec_lo, s64
	s_barrier_signal -1
	s_barrier_wait -1
	s_and_saveexec_b32 s64, s98
	s_cbranch_execz .LBB23_815
; %bb.814:                              ;   in Loop: Header=BB23_3 Depth=1
	ds_load_b32 v23, v5 offset:11700
	s_wait_dscnt 0x0
	v_mul_f32_e32 v22, v22, v23
	ds_store_b32 v34, v22
.LBB23_815:                             ;   in Loop: Header=BB23_3 Depth=1
	s_or_b32 exec_lo, exec_lo, s64
	s_wait_dscnt 0x0
	s_barrier_signal -1
	s_barrier_wait -1
	s_and_saveexec_b32 s64, s99
	s_cbranch_execz .LBB23_817
; %bb.816:                              ;   in Loop: Header=BB23_3 Depth=1
	ds_load_b32 v23, v32 offset:11696
	ds_load_b32 v24, v34
	s_wait_dscnt 0x0
	v_fmac_f32_e32 v22, v23, v24
.LBB23_817:                             ;   in Loop: Header=BB23_3 Depth=1
	s_or_b32 exec_lo, exec_lo, s64
	s_barrier_signal -1
	s_barrier_wait -1
	;; [unrolled: 23-line block ×3, first 2 shown]
	s_and_saveexec_b32 s64, s101
	s_cbranch_execz .LBB23_823
; %bb.822:                              ;   in Loop: Header=BB23_3 Depth=1
	ds_load_b32 v23, v5 offset:12220
	s_wait_dscnt 0x0
	v_mul_f32_e32 v22, v22, v23
	ds_store_b32 v34, v22
.LBB23_823:                             ;   in Loop: Header=BB23_3 Depth=1
	s_or_b32 exec_lo, exec_lo, s64
	s_wait_dscnt 0x0
	s_barrier_signal -1
	s_barrier_wait -1
	s_barrier_signal -1
	s_barrier_wait -1
	s_and_saveexec_b32 s64, s2
; %bb.824:                              ;   in Loop: Header=BB23_3 Depth=1
	v_xor_b32_e32 v22, 0x80000000, v22
	ds_store_b32 v35, v22 offset:10416
; %bb.825:                              ;   in Loop: Header=BB23_3 Depth=1
	s_or_b32 exec_lo, exec_lo, s64
	s_wait_dscnt 0x0
	s_barrier_signal -1
	s_barrier_wait -1
	s_barrier_signal -1
	s_barrier_wait -1
	s_and_saveexec_b32 s64, s102
	s_cbranch_execz .LBB23_827
; %bb.826:                              ;   in Loop: Header=BB23_3 Depth=1
	ds_load_b32 v22, v51 offset:10416
	s_wait_dscnt 0x0
	ds_store_b32 v52, v22 offset:11424
	ds_load_b32 v22, v51 offset:10420
	s_wait_dscnt 0x0
	ds_store_b32 v52, v22 offset:11680
	;; [unrolled: 3-line block ×4, first 2 shown]
.LBB23_827:                             ;   in Loop: Header=BB23_3 Depth=1
	s_or_b32 exec_lo, exec_lo, s64
	s_wait_dscnt 0x0
	s_barrier_signal -1
	s_barrier_wait -1
	s_and_saveexec_b32 s64, s15
	s_cbranch_execz .LBB23_829
; %bb.828:                              ;   in Loop: Header=BB23_3 Depth=1
	ds_load_b64 v[22:23], v5 offset:11440
	ds_load_b32 v24, v5 offset:11700
	s_wait_dscnt 0x0
	v_mul_f32_e32 v22, v22, v24
	s_delay_alu instid0(VALU_DEP_1)
	v_mul_f32_e32 v22, v23, v22
	v_add_nc_u32_e64 v23, 0x2c00, 0
	ds_store_2addr_b32 v23, v22, v22 offset0:45 offset1:108
.LBB23_829:                             ;   in Loop: Header=BB23_3 Depth=1
	s_or_b32 exec_lo, exec_lo, s64
	v_mov_b32_e32 v22, 0
	s_wait_dscnt 0x0
	s_barrier_signal -1
	s_barrier_wait -1
	s_and_saveexec_b32 s64, s0
	s_cbranch_execz .LBB23_833
; %bb.830:                              ;   in Loop: Header=BB23_3 Depth=1
	ds_load_b32 v22, v27 offset:11448
	ds_load_b32 v23, v28 offset:11440
	s_wait_dscnt 0x0
	v_fma_f32 v22, v22, v23, 0
	s_and_saveexec_b32 s65, s16
	s_cbranch_execz .LBB23_832
; %bb.831:                              ;   in Loop: Header=BB23_3 Depth=1
	ds_load_b32 v23, v52 offset:11704
	ds_load_b32 v24, v5 offset:11444
	s_wait_dscnt 0x0
	v_fmac_f32_e32 v22, v23, v24
.LBB23_832:                             ;   in Loop: Header=BB23_3 Depth=1
	s_or_b32 exec_lo, exec_lo, s65
	s_delay_alu instid0(VALU_DEP_1)
	v_xor_b32_e32 v22, 0x80000000, v22
.LBB23_833:                             ;   in Loop: Header=BB23_3 Depth=1
	s_or_b32 exec_lo, exec_lo, s64
	s_and_saveexec_b32 s64, s93
	s_cbranch_execz .LBB23_835
; %bb.834:                              ;   in Loop: Header=BB23_3 Depth=1
	ds_load_b32 v23, v5 offset:11960
	s_wait_dscnt 0x0
	v_mul_f32_e32 v22, v22, v23
	ds_store_b32 v3, v22
.LBB23_835:                             ;   in Loop: Header=BB23_3 Depth=1
	s_or_b32 exec_lo, exec_lo, s64
	s_wait_dscnt 0x0
	s_barrier_signal -1
	s_barrier_wait -1
	s_and_saveexec_b32 s64, s94
	s_cbranch_execz .LBB23_837
; %bb.836:                              ;   in Loop: Header=BB23_3 Depth=1
	ds_load_b32 v23, v5 offset:11964
	ds_load_b32 v24, v3
	s_wait_dscnt 0x0
	v_fmac_f32_e32 v22, v23, v24
.LBB23_837:                             ;   in Loop: Header=BB23_3 Depth=1
	s_or_b32 exec_lo, exec_lo, s64
	s_barrier_signal -1
	s_barrier_wait -1
	s_and_saveexec_b32 s64, s94
	s_cbranch_execz .LBB23_839
; %bb.838:                              ;   in Loop: Header=BB23_3 Depth=1
	ds_load_b32 v23, v5 offset:12220
	s_wait_dscnt 0x0
	v_mul_f32_e32 v22, v22, v23
	ds_store_b32 v3, v22
.LBB23_839:                             ;   in Loop: Header=BB23_3 Depth=1
	s_or_b32 exec_lo, exec_lo, s64
	s_wait_dscnt 0x0
	s_barrier_signal -1
	s_barrier_wait -1
	s_barrier_signal -1
	s_barrier_wait -1
	s_and_saveexec_b32 s64, s0
; %bb.840:                              ;   in Loop: Header=BB23_3 Depth=1
	v_xor_b32_e32 v22, 0x80000000, v22
	ds_store_b32 v27, v22 offset:11448
; %bb.841:                              ;   in Loop: Header=BB23_3 Depth=1
	s_or_b32 exec_lo, exec_lo, s64
	s_wait_dscnt 0x0
	s_barrier_signal -1
	s_barrier_wait -1
	s_barrier_signal -1
	s_barrier_wait -1
	s_and_saveexec_b32 s64, s95
	s_cbranch_execz .LBB23_843
; %bb.842:                              ;   in Loop: Header=BB23_3 Depth=1
	ds_load_b32 v22, v54 offset:11448
	s_wait_dscnt 0x0
	ds_store_b32 v52, v22 offset:11952
	ds_load_b32 v22, v54 offset:11452
	s_wait_dscnt 0x0
	ds_store_b32 v52, v22 offset:12208
.LBB23_843:                             ;   in Loop: Header=BB23_3 Depth=1
	s_or_b32 exec_lo, exec_lo, s64
	s_wait_dscnt 0x0
	s_barrier_signal -1
	s_barrier_wait -1
	s_and_saveexec_b32 s64, s15
	s_cbranch_execz .LBB23_845
; %bb.844:                              ;   in Loop: Header=BB23_3 Depth=1
	ds_load_b64 v[22:23], v5 offset:11960
	ds_load_b32 v24, v5 offset:12220
	s_wait_dscnt 0x0
	v_mul_f32_e32 v22, v22, v24
	s_delay_alu instid0(VALU_DEP_1)
	v_mul_f32_e32 v22, v23, v22
	v_add_nc_u32_e64 v23, 0x2c00, 0
	ds_store_2addr_b32 v23, v22, v22 offset0:175 offset1:238
.LBB23_845:                             ;   in Loop: Header=BB23_3 Depth=1
	s_or_b32 exec_lo, exec_lo, s64
	v_mov_b32_e32 v22, 0
	s_wait_dscnt 0x0
	s_barrier_signal -1
	s_barrier_wait -1
	s_and_saveexec_b32 s69, s4
	s_cbranch_execz .LBB23_873
; %bb.846:                              ;   in Loop: Header=BB23_3 Depth=1
	ds_load_b32 v22, v57 offset:8384
	ds_load_b32 v23, v53 offset:8320
	s_wait_dscnt 0x0
	v_fma_f32 v22, v22, v23, 0
	s_mov_b32 s64, exec_lo
	v_readlane_b32 s65, v89, 25
	s_and_b32 s65, s64, s65
	s_delay_alu instid0(SALU_CYCLE_1)
	s_mov_b32 exec_lo, s65
	s_cbranch_execz .LBB23_848
; %bb.847:                              ;   in Loop: Header=BB23_3 Depth=1
	ds_load_b32 v23, v58 offset:8640
	ds_load_b32 v24, v53 offset:8324
	s_wait_dscnt 0x0
	v_fmac_f32_e32 v22, v23, v24
.LBB23_848:                             ;   in Loop: Header=BB23_3 Depth=1
	s_or_b32 exec_lo, exec_lo, s64
	s_delay_alu instid0(SALU_CYCLE_1) | instskip(SKIP_2) | instid1(SALU_CYCLE_1)
	s_mov_b32 s64, exec_lo
	v_readlane_b32 s65, v89, 26
	s_and_b32 s65, s64, s65
	s_mov_b32 exec_lo, s65
	s_cbranch_execz .LBB23_850
; %bb.849:                              ;   in Loop: Header=BB23_3 Depth=1
	ds_load_b32 v23, v58 offset:8896
	ds_load_b32 v24, v53 offset:8328
	s_wait_dscnt 0x0
	v_fmac_f32_e32 v22, v23, v24
.LBB23_850:                             ;   in Loop: Header=BB23_3 Depth=1
	s_or_b32 exec_lo, exec_lo, s64
	s_delay_alu instid0(SALU_CYCLE_1) | instskip(SKIP_2) | instid1(SALU_CYCLE_1)
	s_mov_b32 s64, exec_lo
	v_readlane_b32 s65, v89, 27
	s_and_b32 s65, s64, s65
	;; [unrolled: 13-line block ×10, first 2 shown]
	s_mov_b32 exec_lo, s65
	s_cbranch_execnz .LBB23_1243
; %bb.867:                              ;   in Loop: Header=BB23_3 Depth=1
	s_or_b32 exec_lo, exec_lo, s64
	s_and_saveexec_b32 s64, s3
	s_cbranch_execnz .LBB23_1244
.LBB23_868:                             ;   in Loop: Header=BB23_3 Depth=1
	s_or_b32 exec_lo, exec_lo, s64
	s_and_saveexec_b32 s64, s20
	s_cbranch_execnz .LBB23_1245
.LBB23_869:                             ;   in Loop: Header=BB23_3 Depth=1
	s_or_b32 exec_lo, exec_lo, s64
	s_and_saveexec_b32 s64, s22
	s_cbranch_execnz .LBB23_1246
.LBB23_870:                             ;   in Loop: Header=BB23_3 Depth=1
	s_or_b32 exec_lo, exec_lo, s64
	s_and_saveexec_b32 s64, s2
	s_cbranch_execz .LBB23_872
.LBB23_871:                             ;   in Loop: Header=BB23_3 Depth=1
	ds_load_b32 v23, v29 offset:12224
	ds_load_b32 v24, v5 offset:8380
	s_wait_dscnt 0x0
	v_fmac_f32_e32 v22, v23, v24
.LBB23_872:                             ;   in Loop: Header=BB23_3 Depth=1
	s_or_b32 exec_lo, exec_lo, s64
	s_delay_alu instid0(VALU_DEP_1)
	v_xor_b32_e32 v22, 0x80000000, v22
.LBB23_873:                             ;   in Loop: Header=BB23_3 Depth=1
	s_or_b32 exec_lo, exec_lo, s69
	s_and_saveexec_b32 s64, s48
	s_cbranch_execz .LBB23_875
; %bb.874:                              ;   in Loop: Header=BB23_3 Depth=1
	ds_load_b32 v23, v5 offset:12480
	s_wait_dscnt 0x0
	v_mul_f32_e32 v22, v22, v23
	ds_store_b32 v56, v22
.LBB23_875:                             ;   in Loop: Header=BB23_3 Depth=1
	s_or_b32 exec_lo, exec_lo, s64
	s_wait_dscnt 0x0
	s_barrier_signal -1
	s_barrier_wait -1
	s_and_saveexec_b32 s64, s49
	s_cbranch_execz .LBB23_877
; %bb.876:                              ;   in Loop: Header=BB23_3 Depth=1
	ds_load_b32 v23, v55 offset:12480
	ds_load_b32 v24, v56
	s_wait_dscnt 0x0
	v_fmac_f32_e32 v22, v23, v24
.LBB23_877:                             ;   in Loop: Header=BB23_3 Depth=1
	s_or_b32 exec_lo, exec_lo, s64
	s_barrier_signal -1
	s_barrier_wait -1
	s_and_saveexec_b32 s64, s50
	s_cbranch_execz .LBB23_879
; %bb.878:                              ;   in Loop: Header=BB23_3 Depth=1
	ds_load_b32 v23, v5 offset:12740
	s_wait_dscnt 0x0
	v_mul_f32_e32 v22, v22, v23
	ds_store_b32 v56, v22
.LBB23_879:                             ;   in Loop: Header=BB23_3 Depth=1
	s_or_b32 exec_lo, exec_lo, s64
	s_wait_dscnt 0x0
	s_barrier_signal -1
	s_barrier_wait -1
	s_and_saveexec_b32 s64, s51
	s_cbranch_execz .LBB23_881
; %bb.880:                              ;   in Loop: Header=BB23_3 Depth=1
	ds_load_b32 v23, v55 offset:12736
	ds_load_b32 v24, v56
	s_wait_dscnt 0x0
	v_fmac_f32_e32 v22, v23, v24
.LBB23_881:                             ;   in Loop: Header=BB23_3 Depth=1
	s_or_b32 exec_lo, exec_lo, s64
	s_barrier_signal -1
	s_barrier_wait -1
	;; [unrolled: 23-line block ×15, first 2 shown]
	s_and_saveexec_b32 s64, s91
	s_cbranch_execz .LBB23_935
; %bb.934:                              ;   in Loop: Header=BB23_3 Depth=1
	ds_load_b32 v23, v5 offset:16380
	s_wait_dscnt 0x0
	v_mul_f32_e32 v22, v22, v23
	ds_store_b32 v56, v22
.LBB23_935:                             ;   in Loop: Header=BB23_3 Depth=1
	s_or_b32 exec_lo, exec_lo, s64
	s_wait_dscnt 0x0
	s_barrier_signal -1
	s_barrier_wait -1
	s_barrier_signal -1
	s_barrier_wait -1
	s_and_saveexec_b32 s64, s4
; %bb.936:                              ;   in Loop: Header=BB23_3 Depth=1
	v_xor_b32_e32 v22, 0x80000000, v22
	ds_store_b32 v57, v22 offset:8384
; %bb.937:                              ;   in Loop: Header=BB23_3 Depth=1
	s_or_b32 exec_lo, exec_lo, s64
	s_wait_dscnt 0x0
	s_barrier_signal -1
	s_barrier_wait -1
	s_barrier_signal -1
	s_barrier_wait -1
	s_and_saveexec_b32 s65, s86
	s_cbranch_execz .LBB23_939
; %bb.938:                              ;   in Loop: Header=BB23_3 Depth=1
	ds_load_b32 v22, v33 offset:8384
	s_wait_dscnt 0x0
	ds_store_b32 v37, v22 offset:12416
	ds_load_b32 v22, v33 offset:8388
	s_wait_dscnt 0x0
	ds_store_b32 v37, v22 offset:12672
	ds_load_b32 v22, v33 offset:8392
	s_wait_dscnt 0x0
	ds_store_b32 v37, v22 offset:12928
	ds_load_b32 v22, v33 offset:8396
	s_wait_dscnt 0x0
	ds_store_b32 v37, v22 offset:13184
	ds_load_b32 v22, v33 offset:8400
	s_wait_dscnt 0x0
	ds_store_b32 v37, v22 offset:13440
	ds_load_b32 v22, v33 offset:8404
	s_wait_dscnt 0x0
	ds_store_b32 v37, v22 offset:13696
	ds_load_b32 v22, v33 offset:8408
	s_wait_dscnt 0x0
	ds_store_b32 v37, v22 offset:13952
	ds_load_b32 v22, v33 offset:8412
	s_wait_dscnt 0x0
	ds_store_b32 v37, v22 offset:14208
	ds_load_b32 v22, v33 offset:8416
	s_wait_dscnt 0x0
	ds_store_b32 v37, v22 offset:14464
	ds_load_b32 v22, v33 offset:8420
	s_wait_dscnt 0x0
	ds_store_b32 v37, v22 offset:14720
	ds_load_b32 v22, v33 offset:8424
	s_wait_dscnt 0x0
	ds_store_b32 v37, v22 offset:14976
	ds_load_b32 v22, v33 offset:8428
	s_wait_dscnt 0x0
	ds_store_b32 v37, v22 offset:15232
	ds_load_b32 v22, v33 offset:8432
	s_wait_dscnt 0x0
	ds_store_b32 v37, v22 offset:15488
	ds_load_b32 v22, v33 offset:8436
	s_wait_dscnt 0x0
	ds_store_b32 v37, v22 offset:15744
	ds_load_b32 v22, v33 offset:8440
	s_wait_dscnt 0x0
	ds_store_b32 v37, v22 offset:16000
	ds_load_b32 v22, v33 offset:8444
	s_wait_dscnt 0x0
	ds_store_b32 v37, v22 offset:16256
.LBB23_939:                             ;   in Loop: Header=BB23_3 Depth=1
	s_or_b32 exec_lo, exec_lo, s65
	s_wait_dscnt 0x0
	s_barrier_signal -1
	s_barrier_wait -1
	s_and_saveexec_b32 s64, s15
	s_cbranch_execz .LBB23_941
; %bb.940:                              ;   in Loop: Header=BB23_3 Depth=1
	ds_load_b64 v[22:23], v5 offset:12480
	ds_load_b32 v24, v5 offset:12740
	s_wait_dscnt 0x0
	v_mul_f32_e32 v22, v22, v24
	s_delay_alu instid0(VALU_DEP_1)
	v_mul_f32_e32 v22, v23, v22
	v_add_nc_u32_e64 v23, 0x3000, 0
	ds_store_2addr_b32 v23, v22, v22 offset0:49 offset1:112
.LBB23_941:                             ;   in Loop: Header=BB23_3 Depth=1
	s_or_b32 exec_lo, exec_lo, s64
	v_mov_b32_e32 v22, 0
	s_wait_dscnt 0x0
	s_barrier_signal -1
	s_barrier_wait -1
	s_and_saveexec_b32 s64, s0
	s_cbranch_execz .LBB23_945
; %bb.942:                              ;   in Loop: Header=BB23_3 Depth=1
	ds_load_b32 v22, v27 offset:12488
	ds_load_b32 v23, v28 offset:12480
	s_wait_dscnt 0x0
	v_fma_f32 v22, v22, v23, 0
	s_and_saveexec_b32 s65, s16
	s_cbranch_execz .LBB23_944
; %bb.943:                              ;   in Loop: Header=BB23_3 Depth=1
	ds_load_b32 v23, v29 offset:12744
	ds_load_b32 v24, v5 offset:12484
	s_wait_dscnt 0x0
	v_fmac_f32_e32 v22, v23, v24
.LBB23_944:                             ;   in Loop: Header=BB23_3 Depth=1
	s_or_b32 exec_lo, exec_lo, s65
	s_delay_alu instid0(VALU_DEP_1)
	v_xor_b32_e32 v22, 0x80000000, v22
.LBB23_945:                             ;   in Loop: Header=BB23_3 Depth=1
	s_or_b32 exec_lo, exec_lo, s64
	s_and_saveexec_b32 s64, s93
	s_cbranch_execz .LBB23_947
; %bb.946:                              ;   in Loop: Header=BB23_3 Depth=1
	ds_load_b32 v23, v5 offset:13000
	s_wait_dscnt 0x0
	v_mul_f32_e32 v22, v22, v23
	ds_store_b32 v3, v22
.LBB23_947:                             ;   in Loop: Header=BB23_3 Depth=1
	s_or_b32 exec_lo, exec_lo, s64
	s_wait_dscnt 0x0
	s_barrier_signal -1
	s_barrier_wait -1
	s_and_saveexec_b32 s64, s94
	s_cbranch_execz .LBB23_949
; %bb.948:                              ;   in Loop: Header=BB23_3 Depth=1
	ds_load_b32 v23, v5 offset:13004
	ds_load_b32 v24, v3
	s_wait_dscnt 0x0
	v_fmac_f32_e32 v22, v23, v24
.LBB23_949:                             ;   in Loop: Header=BB23_3 Depth=1
	s_or_b32 exec_lo, exec_lo, s64
	s_barrier_signal -1
	s_barrier_wait -1
	s_and_saveexec_b32 s64, s94
	s_cbranch_execz .LBB23_951
; %bb.950:                              ;   in Loop: Header=BB23_3 Depth=1
	ds_load_b32 v23, v5 offset:13260
	s_wait_dscnt 0x0
	v_mul_f32_e32 v22, v22, v23
	ds_store_b32 v3, v22
.LBB23_951:                             ;   in Loop: Header=BB23_3 Depth=1
	s_or_b32 exec_lo, exec_lo, s64
	s_wait_dscnt 0x0
	s_barrier_signal -1
	s_barrier_wait -1
	s_barrier_signal -1
	s_barrier_wait -1
	s_and_saveexec_b32 s64, s0
; %bb.952:                              ;   in Loop: Header=BB23_3 Depth=1
	v_xor_b32_e32 v22, 0x80000000, v22
	ds_store_b32 v27, v22 offset:12488
; %bb.953:                              ;   in Loop: Header=BB23_3 Depth=1
	s_or_b32 exec_lo, exec_lo, s64
	s_wait_dscnt 0x0
	s_barrier_signal -1
	s_barrier_wait -1
	s_barrier_signal -1
	s_barrier_wait -1
	s_and_saveexec_b32 s64, s95
	s_cbranch_execz .LBB23_955
; %bb.954:                              ;   in Loop: Header=BB23_3 Depth=1
	ds_load_b32 v22, v33 offset:12488
	s_wait_dscnt 0x0
	ds_store_b32 v29, v22 offset:12992
	ds_load_b32 v22, v33 offset:12492
	s_wait_dscnt 0x0
	ds_store_b32 v29, v22 offset:13248
.LBB23_955:                             ;   in Loop: Header=BB23_3 Depth=1
	s_or_b32 exec_lo, exec_lo, s64
	s_wait_dscnt 0x0
	s_barrier_signal -1
	s_barrier_wait -1
	s_and_saveexec_b32 s64, s15
	s_cbranch_execz .LBB23_957
; %bb.956:                              ;   in Loop: Header=BB23_3 Depth=1
	ds_load_b64 v[22:23], v5 offset:13000
	ds_load_b32 v24, v5 offset:13260
	s_wait_dscnt 0x0
	v_mul_f32_e32 v22, v22, v24
	s_delay_alu instid0(VALU_DEP_1)
	v_mul_f32_e32 v22, v23, v22
	v_add_nc_u32_e64 v23, 0x3000, 0
	ds_store_2addr_b32 v23, v22, v22 offset0:179 offset1:242
.LBB23_957:                             ;   in Loop: Header=BB23_3 Depth=1
	s_or_b32 exec_lo, exec_lo, s64
	v_mov_b32_e32 v22, 0
	s_wait_dscnt 0x0
	s_barrier_signal -1
	s_barrier_wait -1
	s_and_saveexec_b32 s69, s2
	s_cbranch_execz .LBB23_963
; %bb.958:                              ;   in Loop: Header=BB23_3 Depth=1
	ds_load_b32 v22, v35 offset:12496
	ds_load_b32 v23, v30 offset:12480
	s_wait_dscnt 0x0
	v_fma_f32 v22, v22, v23, 0
	s_and_saveexec_b32 s64, s17
	s_cbranch_execnz .LBB23_1247
; %bb.959:                              ;   in Loop: Header=BB23_3 Depth=1
	s_or_b32 exec_lo, exec_lo, s64
	s_and_saveexec_b32 s64, s18
	s_cbranch_execnz .LBB23_1248
.LBB23_960:                             ;   in Loop: Header=BB23_3 Depth=1
	s_or_b32 exec_lo, exec_lo, s64
	s_and_saveexec_b32 s64, s0
	s_cbranch_execz .LBB23_962
.LBB23_961:                             ;   in Loop: Header=BB23_3 Depth=1
	ds_load_b32 v23, v37 offset:13264
	ds_load_b32 v24, v5 offset:12492
	s_wait_dscnt 0x0
	v_fmac_f32_e32 v22, v23, v24
.LBB23_962:                             ;   in Loop: Header=BB23_3 Depth=1
	s_or_b32 exec_lo, exec_lo, s64
	s_delay_alu instid0(VALU_DEP_1)
	v_xor_b32_e32 v22, 0x80000000, v22
.LBB23_963:                             ;   in Loop: Header=BB23_3 Depth=1
	s_or_b32 exec_lo, exec_lo, s69
	s_and_saveexec_b32 s64, s96
	s_cbranch_execz .LBB23_965
; %bb.964:                              ;   in Loop: Header=BB23_3 Depth=1
	ds_load_b32 v23, v5 offset:13520
	s_wait_dscnt 0x0
	v_mul_f32_e32 v22, v22, v23
	ds_store_b32 v34, v22
.LBB23_965:                             ;   in Loop: Header=BB23_3 Depth=1
	s_or_b32 exec_lo, exec_lo, s64
	s_wait_dscnt 0x0
	s_barrier_signal -1
	s_barrier_wait -1
	s_and_saveexec_b32 s64, s97
	s_cbranch_execz .LBB23_967
; %bb.966:                              ;   in Loop: Header=BB23_3 Depth=1
	ds_load_b32 v23, v32 offset:13520
	ds_load_b32 v24, v34
	s_wait_dscnt 0x0
	v_fmac_f32_e32 v22, v23, v24
.LBB23_967:                             ;   in Loop: Header=BB23_3 Depth=1
	s_or_b32 exec_lo, exec_lo, s64
	s_barrier_signal -1
	s_barrier_wait -1
	s_and_saveexec_b32 s64, s98
	s_cbranch_execz .LBB23_969
; %bb.968:                              ;   in Loop: Header=BB23_3 Depth=1
	ds_load_b32 v23, v5 offset:13780
	s_wait_dscnt 0x0
	v_mul_f32_e32 v22, v22, v23
	ds_store_b32 v34, v22
.LBB23_969:                             ;   in Loop: Header=BB23_3 Depth=1
	s_or_b32 exec_lo, exec_lo, s64
	s_wait_dscnt 0x0
	s_barrier_signal -1
	s_barrier_wait -1
	s_and_saveexec_b32 s64, s99
	s_cbranch_execz .LBB23_971
; %bb.970:                              ;   in Loop: Header=BB23_3 Depth=1
	ds_load_b32 v23, v32 offset:13776
	ds_load_b32 v24, v34
	s_wait_dscnt 0x0
	v_fmac_f32_e32 v22, v23, v24
.LBB23_971:                             ;   in Loop: Header=BB23_3 Depth=1
	s_or_b32 exec_lo, exec_lo, s64
	s_barrier_signal -1
	s_barrier_wait -1
	;; [unrolled: 23-line block ×3, first 2 shown]
	s_and_saveexec_b32 s64, s101
	s_cbranch_execz .LBB23_977
; %bb.976:                              ;   in Loop: Header=BB23_3 Depth=1
	ds_load_b32 v23, v5 offset:14300
	s_wait_dscnt 0x0
	v_mul_f32_e32 v22, v22, v23
	ds_store_b32 v34, v22
.LBB23_977:                             ;   in Loop: Header=BB23_3 Depth=1
	s_or_b32 exec_lo, exec_lo, s64
	s_wait_dscnt 0x0
	s_barrier_signal -1
	s_barrier_wait -1
	s_barrier_signal -1
	s_barrier_wait -1
	s_and_saveexec_b32 s64, s2
; %bb.978:                              ;   in Loop: Header=BB23_3 Depth=1
	v_xor_b32_e32 v22, 0x80000000, v22
	ds_store_b32 v35, v22 offset:12496
; %bb.979:                              ;   in Loop: Header=BB23_3 Depth=1
	s_or_b32 exec_lo, exec_lo, s64
	s_wait_dscnt 0x0
	s_barrier_signal -1
	s_barrier_wait -1
	s_barrier_signal -1
	s_barrier_wait -1
	s_and_saveexec_b32 s64, s102
	s_cbranch_execz .LBB23_981
; %bb.980:                              ;   in Loop: Header=BB23_3 Depth=1
	ds_load_b32 v22, v38 offset:12496
	s_wait_dscnt 0x0
	ds_store_b32 v40, v22 offset:13504
	ds_load_b32 v22, v38 offset:12500
	s_wait_dscnt 0x0
	ds_store_b32 v40, v22 offset:13760
	;; [unrolled: 3-line block ×4, first 2 shown]
.LBB23_981:                             ;   in Loop: Header=BB23_3 Depth=1
	s_or_b32 exec_lo, exec_lo, s64
	s_wait_dscnt 0x0
	s_barrier_signal -1
	s_barrier_wait -1
	s_and_saveexec_b32 s64, s15
	s_cbranch_execz .LBB23_983
; %bb.982:                              ;   in Loop: Header=BB23_3 Depth=1
	ds_load_b64 v[22:23], v5 offset:13520
	ds_load_b32 v24, v5 offset:13780
	s_wait_dscnt 0x0
	v_mul_f32_e32 v22, v22, v24
	s_delay_alu instid0(VALU_DEP_1)
	v_mul_f32_e32 v22, v23, v22
	v_add_nc_u32_e64 v23, 0x3400, 0
	ds_store_2addr_b32 v23, v22, v22 offset0:53 offset1:116
.LBB23_983:                             ;   in Loop: Header=BB23_3 Depth=1
	s_or_b32 exec_lo, exec_lo, s64
	v_mov_b32_e32 v22, 0
	s_wait_dscnt 0x0
	s_barrier_signal -1
	s_barrier_wait -1
	s_and_saveexec_b32 s64, s0
	s_cbranch_execz .LBB23_987
; %bb.984:                              ;   in Loop: Header=BB23_3 Depth=1
	ds_load_b32 v22, v27 offset:13528
	ds_load_b32 v23, v28 offset:13520
	s_wait_dscnt 0x0
	v_fma_f32 v22, v22, v23, 0
	s_and_saveexec_b32 s65, s16
	s_cbranch_execz .LBB23_986
; %bb.985:                              ;   in Loop: Header=BB23_3 Depth=1
	ds_load_b32 v23, v40 offset:13784
	ds_load_b32 v24, v5 offset:13524
	s_wait_dscnt 0x0
	v_fmac_f32_e32 v22, v23, v24
.LBB23_986:                             ;   in Loop: Header=BB23_3 Depth=1
	s_or_b32 exec_lo, exec_lo, s65
	s_delay_alu instid0(VALU_DEP_1)
	v_xor_b32_e32 v22, 0x80000000, v22
.LBB23_987:                             ;   in Loop: Header=BB23_3 Depth=1
	s_or_b32 exec_lo, exec_lo, s64
	s_and_saveexec_b32 s64, s93
	s_cbranch_execz .LBB23_989
; %bb.988:                              ;   in Loop: Header=BB23_3 Depth=1
	ds_load_b32 v23, v5 offset:14040
	s_wait_dscnt 0x0
	v_mul_f32_e32 v22, v22, v23
	ds_store_b32 v3, v22
.LBB23_989:                             ;   in Loop: Header=BB23_3 Depth=1
	s_or_b32 exec_lo, exec_lo, s64
	s_wait_dscnt 0x0
	s_barrier_signal -1
	s_barrier_wait -1
	s_and_saveexec_b32 s64, s94
	s_cbranch_execz .LBB23_991
; %bb.990:                              ;   in Loop: Header=BB23_3 Depth=1
	ds_load_b32 v23, v5 offset:14044
	ds_load_b32 v24, v3
	s_wait_dscnt 0x0
	v_fmac_f32_e32 v22, v23, v24
.LBB23_991:                             ;   in Loop: Header=BB23_3 Depth=1
	s_or_b32 exec_lo, exec_lo, s64
	s_barrier_signal -1
	s_barrier_wait -1
	s_and_saveexec_b32 s64, s94
	s_cbranch_execz .LBB23_993
; %bb.992:                              ;   in Loop: Header=BB23_3 Depth=1
	ds_load_b32 v23, v5 offset:14300
	s_wait_dscnt 0x0
	v_mul_f32_e32 v22, v22, v23
	ds_store_b32 v3, v22
.LBB23_993:                             ;   in Loop: Header=BB23_3 Depth=1
	s_or_b32 exec_lo, exec_lo, s64
	s_wait_dscnt 0x0
	s_barrier_signal -1
	s_barrier_wait -1
	s_barrier_signal -1
	s_barrier_wait -1
	s_and_saveexec_b32 s64, s0
; %bb.994:                              ;   in Loop: Header=BB23_3 Depth=1
	v_xor_b32_e32 v22, 0x80000000, v22
	ds_store_b32 v27, v22 offset:13528
; %bb.995:                              ;   in Loop: Header=BB23_3 Depth=1
	s_or_b32 exec_lo, exec_lo, s64
	s_wait_dscnt 0x0
	s_barrier_signal -1
	s_barrier_wait -1
	s_barrier_signal -1
	s_barrier_wait -1
	s_and_saveexec_b32 s64, s95
	s_cbranch_execz .LBB23_997
; %bb.996:                              ;   in Loop: Header=BB23_3 Depth=1
	ds_load_b32 v22, v42 offset:13528
	s_wait_dscnt 0x0
	ds_store_b32 v40, v22 offset:14032
	ds_load_b32 v22, v42 offset:13532
	s_wait_dscnt 0x0
	ds_store_b32 v40, v22 offset:14288
.LBB23_997:                             ;   in Loop: Header=BB23_3 Depth=1
	s_or_b32 exec_lo, exec_lo, s64
	s_wait_dscnt 0x0
	s_barrier_signal -1
	s_barrier_wait -1
	s_and_saveexec_b32 s64, s15
	s_cbranch_execz .LBB23_999
; %bb.998:                              ;   in Loop: Header=BB23_3 Depth=1
	ds_load_b64 v[22:23], v5 offset:14040
	ds_load_b32 v24, v5 offset:14300
	s_wait_dscnt 0x0
	v_mul_f32_e32 v22, v22, v24
	s_delay_alu instid0(VALU_DEP_1)
	v_mul_f32_e32 v22, v23, v22
	v_add_nc_u32_e64 v23, 0x3400, 0
	ds_store_2addr_b32 v23, v22, v22 offset0:183 offset1:246
.LBB23_999:                             ;   in Loop: Header=BB23_3 Depth=1
	s_or_b32 exec_lo, exec_lo, s64
	v_mov_b32_e32 v22, 0
	s_wait_dscnt 0x0
	s_barrier_signal -1
	s_barrier_wait -1
	s_and_saveexec_b32 s69, s3
	s_cbranch_execz .LBB23_1009
; %bb.1000:                             ;   in Loop: Header=BB23_3 Depth=1
	ds_load_b32 v22, v44 offset:12512
	ds_load_b32 v23, v39 offset:12480
	s_wait_dscnt 0x0
	v_fma_f32 v22, v22, v23, 0
	s_and_saveexec_b32 s64, s19
	s_cbranch_execnz .LBB23_1249
; %bb.1001:                             ;   in Loop: Header=BB23_3 Depth=1
	s_or_b32 exec_lo, exec_lo, s64
	s_and_saveexec_b32 s64, s20
	s_cbranch_execnz .LBB23_1250
.LBB23_1002:                            ;   in Loop: Header=BB23_3 Depth=1
	s_or_b32 exec_lo, exec_lo, s64
	s_and_saveexec_b32 s64, s21
	s_cbranch_execnz .LBB23_1251
.LBB23_1003:                            ;   in Loop: Header=BB23_3 Depth=1
	s_or_b32 exec_lo, exec_lo, s64
	s_and_saveexec_b32 s64, s22
	s_cbranch_execnz .LBB23_1252
.LBB23_1004:                            ;   in Loop: Header=BB23_3 Depth=1
	s_or_b32 exec_lo, exec_lo, s64
	s_and_saveexec_b32 s64, s23
	s_cbranch_execnz .LBB23_1253
.LBB23_1005:                            ;   in Loop: Header=BB23_3 Depth=1
	s_or_b32 exec_lo, exec_lo, s64
	s_and_saveexec_b32 s64, s2
	s_cbranch_execnz .LBB23_1254
.LBB23_1006:                            ;   in Loop: Header=BB23_3 Depth=1
	s_or_b32 exec_lo, exec_lo, s64
	s_and_saveexec_b32 s64, s18
	s_cbranch_execz .LBB23_1008
.LBB23_1007:                            ;   in Loop: Header=BB23_3 Depth=1
	ds_load_b32 v23, v46 offset:14304
	ds_load_b32 v24, v5 offset:12508
	s_wait_dscnt 0x0
	v_fmac_f32_e32 v22, v23, v24
.LBB23_1008:                            ;   in Loop: Header=BB23_3 Depth=1
	s_or_b32 exec_lo, exec_lo, s64
	s_delay_alu instid0(VALU_DEP_1)
	v_xor_b32_e32 v22, 0x80000000, v22
.LBB23_1009:                            ;   in Loop: Header=BB23_3 Depth=1
	s_or_b32 exec_lo, exec_lo, s69
	s_and_saveexec_b32 s64, s103
	s_cbranch_execz .LBB23_1011
; %bb.1010:                             ;   in Loop: Header=BB23_3 Depth=1
	ds_load_b32 v23, v5 offset:14560
	s_wait_dscnt 0x0
	v_mul_f32_e32 v22, v22, v23
	ds_store_b32 v43, v22
.LBB23_1011:                            ;   in Loop: Header=BB23_3 Depth=1
	s_or_b32 exec_lo, exec_lo, s64
	s_wait_dscnt 0x0
	s_barrier_signal -1
	s_barrier_wait -1
	s_and_saveexec_b32 s64, s104
	s_cbranch_execz .LBB23_1013
; %bb.1012:                             ;   in Loop: Header=BB23_3 Depth=1
	ds_load_b32 v23, v41 offset:14560
	ds_load_b32 v24, v43
	s_wait_dscnt 0x0
	v_fmac_f32_e32 v22, v23, v24
.LBB23_1013:                            ;   in Loop: Header=BB23_3 Depth=1
	s_or_b32 exec_lo, exec_lo, s64
	s_barrier_signal -1
	s_barrier_wait -1
	s_and_saveexec_b32 s64, vcc_hi
	s_cbranch_execz .LBB23_1015
; %bb.1014:                             ;   in Loop: Header=BB23_3 Depth=1
	ds_load_b32 v23, v5 offset:14820
	s_wait_dscnt 0x0
	v_mul_f32_e32 v22, v22, v23
	ds_store_b32 v43, v22
.LBB23_1015:                            ;   in Loop: Header=BB23_3 Depth=1
	s_or_b32 exec_lo, exec_lo, s64
	s_wait_dscnt 0x0
	s_barrier_signal -1
	s_barrier_wait -1
	s_and_saveexec_b32 s64, s36
	s_cbranch_execz .LBB23_1017
; %bb.1016:                             ;   in Loop: Header=BB23_3 Depth=1
	ds_load_b32 v23, v41 offset:14816
	ds_load_b32 v24, v43
	s_wait_dscnt 0x0
	v_fmac_f32_e32 v22, v23, v24
.LBB23_1017:                            ;   in Loop: Header=BB23_3 Depth=1
	s_or_b32 exec_lo, exec_lo, s64
	s_barrier_signal -1
	s_barrier_wait -1
	s_and_saveexec_b32 s64, s37
	s_cbranch_execz .LBB23_1019
; %bb.1018:                             ;   in Loop: Header=BB23_3 Depth=1
	ds_load_b32 v23, v5 offset:15080
	s_wait_dscnt 0x0
	v_mul_f32_e32 v22, v22, v23
	ds_store_b32 v43, v22
.LBB23_1019:                            ;   in Loop: Header=BB23_3 Depth=1
	s_or_b32 exec_lo, exec_lo, s64
	s_wait_dscnt 0x0
	s_barrier_signal -1
	s_barrier_wait -1
	s_and_saveexec_b32 s64, s38
	s_cbranch_execz .LBB23_1021
; %bb.1020:                             ;   in Loop: Header=BB23_3 Depth=1
	ds_load_b32 v23, v41 offset:15072
	ds_load_b32 v24, v43
	s_wait_dscnt 0x0
	v_fmac_f32_e32 v22, v23, v24
.LBB23_1021:                            ;   in Loop: Header=BB23_3 Depth=1
	s_or_b32 exec_lo, exec_lo, s64
	s_barrier_signal -1
	s_barrier_wait -1
	s_and_saveexec_b32 s64, s39
	;; [unrolled: 23-line block ×6, first 2 shown]
	s_cbranch_execz .LBB23_1039
; %bb.1038:                             ;   in Loop: Header=BB23_3 Depth=1
	ds_load_b32 v23, v5 offset:16380
	s_wait_dscnt 0x0
	v_mul_f32_e32 v22, v22, v23
	ds_store_b32 v43, v22
.LBB23_1039:                            ;   in Loop: Header=BB23_3 Depth=1
	s_or_b32 exec_lo, exec_lo, s64
	s_wait_dscnt 0x0
	s_barrier_signal -1
	s_barrier_wait -1
	s_barrier_signal -1
	s_barrier_wait -1
	s_and_saveexec_b32 s64, s3
; %bb.1040:                             ;   in Loop: Header=BB23_3 Depth=1
	v_xor_b32_e32 v22, 0x80000000, v22
	ds_store_b32 v44, v22 offset:12512
; %bb.1041:                             ;   in Loop: Header=BB23_3 Depth=1
	s_or_b32 exec_lo, exec_lo, s64
	s_wait_dscnt 0x0
	s_barrier_signal -1
	s_barrier_wait -1
	s_barrier_signal -1
	s_barrier_wait -1
	s_and_saveexec_b32 s64, s47
	s_cbranch_execz .LBB23_1043
; %bb.1042:                             ;   in Loop: Header=BB23_3 Depth=1
	ds_load_b32 v22, v47 offset:12512
	s_wait_dscnt 0x0
	ds_store_b32 v48, v22 offset:14528
	ds_load_b32 v22, v47 offset:12516
	s_wait_dscnt 0x0
	ds_store_b32 v48, v22 offset:14784
	;; [unrolled: 3-line block ×8, first 2 shown]
.LBB23_1043:                            ;   in Loop: Header=BB23_3 Depth=1
	s_or_b32 exec_lo, exec_lo, s64
	s_wait_dscnt 0x0
	s_barrier_signal -1
	s_barrier_wait -1
	s_and_saveexec_b32 s64, s15
	s_cbranch_execz .LBB23_1045
; %bb.1044:                             ;   in Loop: Header=BB23_3 Depth=1
	ds_load_b64 v[22:23], v5 offset:14560
	ds_load_b32 v24, v5 offset:14820
	s_wait_dscnt 0x0
	v_mul_f32_e32 v22, v22, v24
	s_delay_alu instid0(VALU_DEP_1)
	v_mul_f32_e32 v22, v23, v22
	v_add_nc_u32_e64 v23, 0x3800, 0
	ds_store_2addr_b32 v23, v22, v22 offset0:57 offset1:120
.LBB23_1045:                            ;   in Loop: Header=BB23_3 Depth=1
	s_or_b32 exec_lo, exec_lo, s64
	v_mov_b32_e32 v22, 0
	s_wait_dscnt 0x0
	s_barrier_signal -1
	s_barrier_wait -1
	s_and_saveexec_b32 s64, s0
	s_cbranch_execz .LBB23_1049
; %bb.1046:                             ;   in Loop: Header=BB23_3 Depth=1
	ds_load_b32 v22, v27 offset:14568
	ds_load_b32 v23, v28 offset:14560
	s_wait_dscnt 0x0
	v_fma_f32 v22, v22, v23, 0
	s_and_saveexec_b32 s65, s16
	s_cbranch_execz .LBB23_1048
; %bb.1047:                             ;   in Loop: Header=BB23_3 Depth=1
	ds_load_b32 v23, v48 offset:14824
	ds_load_b32 v24, v5 offset:14564
	s_wait_dscnt 0x0
	v_fmac_f32_e32 v22, v23, v24
.LBB23_1048:                            ;   in Loop: Header=BB23_3 Depth=1
	s_or_b32 exec_lo, exec_lo, s65
	s_delay_alu instid0(VALU_DEP_1)
	v_xor_b32_e32 v22, 0x80000000, v22
.LBB23_1049:                            ;   in Loop: Header=BB23_3 Depth=1
	s_or_b32 exec_lo, exec_lo, s64
	s_and_saveexec_b32 s64, s93
	s_cbranch_execz .LBB23_1051
; %bb.1050:                             ;   in Loop: Header=BB23_3 Depth=1
	ds_load_b32 v23, v5 offset:15080
	s_wait_dscnt 0x0
	v_mul_f32_e32 v22, v22, v23
	ds_store_b32 v3, v22
.LBB23_1051:                            ;   in Loop: Header=BB23_3 Depth=1
	s_or_b32 exec_lo, exec_lo, s64
	s_wait_dscnt 0x0
	s_barrier_signal -1
	s_barrier_wait -1
	s_and_saveexec_b32 s64, s94
	s_cbranch_execz .LBB23_1053
; %bb.1052:                             ;   in Loop: Header=BB23_3 Depth=1
	ds_load_b32 v23, v5 offset:15084
	ds_load_b32 v24, v3
	s_wait_dscnt 0x0
	v_fmac_f32_e32 v22, v23, v24
.LBB23_1053:                            ;   in Loop: Header=BB23_3 Depth=1
	s_or_b32 exec_lo, exec_lo, s64
	s_barrier_signal -1
	s_barrier_wait -1
	s_and_saveexec_b32 s64, s94
	s_cbranch_execz .LBB23_1055
; %bb.1054:                             ;   in Loop: Header=BB23_3 Depth=1
	ds_load_b32 v23, v5 offset:15340
	s_wait_dscnt 0x0
	v_mul_f32_e32 v22, v22, v23
	ds_store_b32 v3, v22
.LBB23_1055:                            ;   in Loop: Header=BB23_3 Depth=1
	s_or_b32 exec_lo, exec_lo, s64
	s_wait_dscnt 0x0
	s_barrier_signal -1
	s_barrier_wait -1
	s_barrier_signal -1
	s_barrier_wait -1
	s_and_saveexec_b32 s64, s0
; %bb.1056:                             ;   in Loop: Header=BB23_3 Depth=1
	v_xor_b32_e32 v22, 0x80000000, v22
	ds_store_b32 v27, v22 offset:14568
; %bb.1057:                             ;   in Loop: Header=BB23_3 Depth=1
	s_or_b32 exec_lo, exec_lo, s64
	s_wait_dscnt 0x0
	s_barrier_signal -1
	s_barrier_wait -1
	s_barrier_signal -1
	s_barrier_wait -1
	s_and_saveexec_b32 s64, s95
	s_cbranch_execz .LBB23_1059
; %bb.1058:                             ;   in Loop: Header=BB23_3 Depth=1
	ds_load_b32 v22, v49 offset:14568
	s_wait_dscnt 0x0
	ds_store_b32 v48, v22 offset:15072
	ds_load_b32 v22, v49 offset:14572
	s_wait_dscnt 0x0
	ds_store_b32 v48, v22 offset:15328
.LBB23_1059:                            ;   in Loop: Header=BB23_3 Depth=1
	s_or_b32 exec_lo, exec_lo, s64
	s_wait_dscnt 0x0
	s_barrier_signal -1
	s_barrier_wait -1
	s_and_saveexec_b32 s64, s15
	s_cbranch_execz .LBB23_1061
; %bb.1060:                             ;   in Loop: Header=BB23_3 Depth=1
	ds_load_b64 v[22:23], v5 offset:15080
	ds_load_b32 v24, v5 offset:15340
	s_wait_dscnt 0x0
	v_mul_f32_e32 v22, v22, v24
	s_delay_alu instid0(VALU_DEP_1)
	v_mul_f32_e32 v22, v23, v22
	v_add_nc_u32_e64 v23, 0x3800, 0
	ds_store_2addr_b32 v23, v22, v22 offset0:187 offset1:250
.LBB23_1061:                            ;   in Loop: Header=BB23_3 Depth=1
	s_or_b32 exec_lo, exec_lo, s64
	v_mov_b32_e32 v22, 0
	s_wait_dscnt 0x0
	s_barrier_signal -1
	s_barrier_wait -1
	s_and_saveexec_b32 s69, s2
	s_cbranch_execz .LBB23_1067
; %bb.1062:                             ;   in Loop: Header=BB23_3 Depth=1
	ds_load_b32 v22, v35 offset:14576
	ds_load_b32 v23, v30 offset:14560
	s_wait_dscnt 0x0
	v_fma_f32 v22, v22, v23, 0
	s_and_saveexec_b32 s64, s17
	s_cbranch_execnz .LBB23_1255
; %bb.1063:                             ;   in Loop: Header=BB23_3 Depth=1
	s_or_b32 exec_lo, exec_lo, s64
	s_and_saveexec_b32 s64, s18
	s_cbranch_execnz .LBB23_1256
.LBB23_1064:                            ;   in Loop: Header=BB23_3 Depth=1
	s_or_b32 exec_lo, exec_lo, s64
	s_and_saveexec_b32 s64, s0
	s_cbranch_execz .LBB23_1066
.LBB23_1065:                            ;   in Loop: Header=BB23_3 Depth=1
	ds_load_b32 v23, v50 offset:15344
	ds_load_b32 v24, v5 offset:14572
	s_wait_dscnt 0x0
	v_fmac_f32_e32 v22, v23, v24
.LBB23_1066:                            ;   in Loop: Header=BB23_3 Depth=1
	s_or_b32 exec_lo, exec_lo, s64
	s_delay_alu instid0(VALU_DEP_1)
	v_xor_b32_e32 v22, 0x80000000, v22
.LBB23_1067:                            ;   in Loop: Header=BB23_3 Depth=1
	s_or_b32 exec_lo, exec_lo, s69
	s_and_saveexec_b32 s64, s96
	s_cbranch_execz .LBB23_1069
; %bb.1068:                             ;   in Loop: Header=BB23_3 Depth=1
	ds_load_b32 v23, v5 offset:15600
	s_wait_dscnt 0x0
	v_mul_f32_e32 v22, v22, v23
	ds_store_b32 v34, v22
.LBB23_1069:                            ;   in Loop: Header=BB23_3 Depth=1
	s_or_b32 exec_lo, exec_lo, s64
	s_wait_dscnt 0x0
	s_barrier_signal -1
	s_barrier_wait -1
	s_and_saveexec_b32 s64, s97
	s_cbranch_execz .LBB23_1071
; %bb.1070:                             ;   in Loop: Header=BB23_3 Depth=1
	ds_load_b32 v23, v32 offset:15600
	ds_load_b32 v24, v34
	s_wait_dscnt 0x0
	v_fmac_f32_e32 v22, v23, v24
.LBB23_1071:                            ;   in Loop: Header=BB23_3 Depth=1
	s_or_b32 exec_lo, exec_lo, s64
	s_barrier_signal -1
	s_barrier_wait -1
	s_and_saveexec_b32 s64, s98
	s_cbranch_execz .LBB23_1073
; %bb.1072:                             ;   in Loop: Header=BB23_3 Depth=1
	ds_load_b32 v23, v5 offset:15860
	s_wait_dscnt 0x0
	v_mul_f32_e32 v22, v22, v23
	ds_store_b32 v34, v22
.LBB23_1073:                            ;   in Loop: Header=BB23_3 Depth=1
	s_or_b32 exec_lo, exec_lo, s64
	s_wait_dscnt 0x0
	s_barrier_signal -1
	s_barrier_wait -1
	s_and_saveexec_b32 s64, s99
	s_cbranch_execz .LBB23_1075
; %bb.1074:                             ;   in Loop: Header=BB23_3 Depth=1
	ds_load_b32 v23, v32 offset:15856
	ds_load_b32 v24, v34
	s_wait_dscnt 0x0
	v_fmac_f32_e32 v22, v23, v24
.LBB23_1075:                            ;   in Loop: Header=BB23_3 Depth=1
	s_or_b32 exec_lo, exec_lo, s64
	s_barrier_signal -1
	s_barrier_wait -1
	;; [unrolled: 23-line block ×3, first 2 shown]
	s_and_saveexec_b32 s64, s101
	s_cbranch_execz .LBB23_1081
; %bb.1080:                             ;   in Loop: Header=BB23_3 Depth=1
	ds_load_b32 v23, v5 offset:16380
	s_wait_dscnt 0x0
	v_mul_f32_e32 v22, v22, v23
	ds_store_b32 v34, v22
.LBB23_1081:                            ;   in Loop: Header=BB23_3 Depth=1
	s_or_b32 exec_lo, exec_lo, s64
	s_wait_dscnt 0x0
	s_barrier_signal -1
	s_barrier_wait -1
	s_barrier_signal -1
	s_barrier_wait -1
	s_and_saveexec_b32 s64, s2
; %bb.1082:                             ;   in Loop: Header=BB23_3 Depth=1
	v_xor_b32_e32 v22, 0x80000000, v22
	ds_store_b32 v35, v22 offset:14576
; %bb.1083:                             ;   in Loop: Header=BB23_3 Depth=1
	s_or_b32 exec_lo, exec_lo, s64
	s_wait_dscnt 0x0
	s_barrier_signal -1
	s_barrier_wait -1
	s_barrier_signal -1
	s_barrier_wait -1
	s_and_saveexec_b32 s64, s102
	s_cbranch_execz .LBB23_1085
; %bb.1084:                             ;   in Loop: Header=BB23_3 Depth=1
	ds_load_b32 v22, v51 offset:14576
	s_wait_dscnt 0x0
	ds_store_b32 v52, v22 offset:15584
	ds_load_b32 v22, v51 offset:14580
	s_wait_dscnt 0x0
	ds_store_b32 v52, v22 offset:15840
	;; [unrolled: 3-line block ×4, first 2 shown]
.LBB23_1085:                            ;   in Loop: Header=BB23_3 Depth=1
	s_or_b32 exec_lo, exec_lo, s64
	s_wait_dscnt 0x0
	s_barrier_signal -1
	s_barrier_wait -1
	s_and_saveexec_b32 s64, s15
	s_cbranch_execz .LBB23_1087
; %bb.1086:                             ;   in Loop: Header=BB23_3 Depth=1
	ds_load_b64 v[22:23], v5 offset:15600
	ds_load_b32 v24, v5 offset:15860
	s_wait_dscnt 0x0
	v_mul_f32_e32 v22, v22, v24
	s_delay_alu instid0(VALU_DEP_1)
	v_mul_f32_e32 v22, v23, v22
	v_add_nc_u32_e64 v23, 0x3c00, 0
	ds_store_2addr_b32 v23, v22, v22 offset0:61 offset1:124
.LBB23_1087:                            ;   in Loop: Header=BB23_3 Depth=1
	s_or_b32 exec_lo, exec_lo, s64
	v_mov_b32_e32 v22, 0
	s_wait_dscnt 0x0
	s_barrier_signal -1
	s_barrier_wait -1
	s_and_saveexec_b32 s64, s0
	s_cbranch_execz .LBB23_1091
; %bb.1088:                             ;   in Loop: Header=BB23_3 Depth=1
	ds_load_b32 v22, v27 offset:15608
	ds_load_b32 v23, v28 offset:15600
	s_wait_dscnt 0x0
	v_fma_f32 v22, v22, v23, 0
	s_and_saveexec_b32 s65, s16
	s_cbranch_execz .LBB23_1090
; %bb.1089:                             ;   in Loop: Header=BB23_3 Depth=1
	ds_load_b32 v23, v52 offset:15864
	ds_load_b32 v24, v5 offset:15604
	s_wait_dscnt 0x0
	v_fmac_f32_e32 v22, v23, v24
.LBB23_1090:                            ;   in Loop: Header=BB23_3 Depth=1
	s_or_b32 exec_lo, exec_lo, s65
	s_delay_alu instid0(VALU_DEP_1)
	v_xor_b32_e32 v22, 0x80000000, v22
.LBB23_1091:                            ;   in Loop: Header=BB23_3 Depth=1
	s_or_b32 exec_lo, exec_lo, s64
	s_and_saveexec_b32 s64, s93
	s_cbranch_execz .LBB23_1093
; %bb.1092:                             ;   in Loop: Header=BB23_3 Depth=1
	ds_load_b32 v23, v5 offset:16120
	s_wait_dscnt 0x0
	v_mul_f32_e32 v22, v22, v23
	ds_store_b32 v3, v22
.LBB23_1093:                            ;   in Loop: Header=BB23_3 Depth=1
	s_or_b32 exec_lo, exec_lo, s64
	s_wait_dscnt 0x0
	s_barrier_signal -1
	s_barrier_wait -1
	s_and_saveexec_b32 s64, s94
	s_cbranch_execz .LBB23_1095
; %bb.1094:                             ;   in Loop: Header=BB23_3 Depth=1
	ds_load_b32 v23, v5 offset:16124
	ds_load_b32 v24, v3
	s_wait_dscnt 0x0
	v_fmac_f32_e32 v22, v23, v24
.LBB23_1095:                            ;   in Loop: Header=BB23_3 Depth=1
	s_or_b32 exec_lo, exec_lo, s64
	s_barrier_signal -1
	s_barrier_wait -1
	s_and_saveexec_b32 s64, s94
	s_cbranch_execz .LBB23_1097
; %bb.1096:                             ;   in Loop: Header=BB23_3 Depth=1
	ds_load_b32 v23, v5 offset:16380
	s_wait_dscnt 0x0
	v_mul_f32_e32 v22, v22, v23
	ds_store_b32 v3, v22
.LBB23_1097:                            ;   in Loop: Header=BB23_3 Depth=1
	s_or_b32 exec_lo, exec_lo, s64
	s_wait_dscnt 0x0
	s_barrier_signal -1
	s_barrier_wait -1
	s_barrier_signal -1
	s_barrier_wait -1
	s_and_saveexec_b32 s64, s0
; %bb.1098:                             ;   in Loop: Header=BB23_3 Depth=1
	v_xor_b32_e32 v22, 0x80000000, v22
	ds_store_b32 v27, v22 offset:15608
; %bb.1099:                             ;   in Loop: Header=BB23_3 Depth=1
	s_or_b32 exec_lo, exec_lo, s64
	s_wait_dscnt 0x0
	s_barrier_signal -1
	s_barrier_wait -1
	s_barrier_signal -1
	s_barrier_wait -1
	s_and_saveexec_b32 s64, s95
	s_cbranch_execz .LBB23_1101
; %bb.1100:                             ;   in Loop: Header=BB23_3 Depth=1
	ds_load_b32 v22, v54 offset:15608
	s_wait_dscnt 0x0
	ds_store_b32 v52, v22 offset:16112
	ds_load_b32 v22, v54 offset:15612
	s_wait_dscnt 0x0
	ds_store_b32 v52, v22 offset:16368
.LBB23_1101:                            ;   in Loop: Header=BB23_3 Depth=1
	s_or_b32 exec_lo, exec_lo, s64
	s_wait_dscnt 0x0
	s_barrier_signal -1
	s_barrier_wait -1
	s_and_saveexec_b32 s64, s15
	s_cbranch_execz .LBB23_1103
; %bb.1102:                             ;   in Loop: Header=BB23_3 Depth=1
	ds_load_b64 v[22:23], v5 offset:16120
	ds_load_b32 v24, v5 offset:16380
	s_wait_dscnt 0x0
	v_mul_f32_e32 v22, v22, v24
	s_delay_alu instid0(VALU_DEP_1)
	v_mul_f32_e32 v22, v23, v22
	v_add_nc_u32_e64 v23, 0x3c00, 0
	ds_store_2addr_b32 v23, v22, v22 offset0:191 offset1:254
.LBB23_1103:                            ;   in Loop: Header=BB23_3 Depth=1
	s_or_b32 exec_lo, exec_lo, s64
.LBB23_1104:                            ;   in Loop: Header=BB23_3 Depth=1
	v_readlane_b32 s80, v91, 7
	v_readlane_b32 s81, v91, 8
	s_mul_u64 s[64:65], s[74:75], s[76:77]
	v_mov_b32_e32 v82, 0
	s_lshl_b64 s[64:65], s[64:65], 2
	s_wait_dscnt 0x0
	s_add_nc_u64 s[82:83], s[80:81], s[64:65]
	s_barrier_signal -1
	s_barrier_wait -1
	s_and_saveexec_b32 s64, s70
	s_cbranch_execz .LBB23_1106
; %bb.1105:                             ;   in Loop: Header=BB23_3 Depth=1
	v_lshl_add_u64 v[22:23], v[0:1], 2, s[82:83]
	v_readlane_b32 s65, v91, 3
	global_load_b32 v22, v[22:23], off
	s_wait_loadcnt 0x0
	v_mul_f32_e64 v82, v22, -s65
.LBB23_1106:                            ;   in Loop: Header=BB23_3 Depth=1
	s_or_b32 exec_lo, exec_lo, s64
	s_delay_alu instid0(SALU_CYCLE_1)
	s_and_not1_b32 vcc_lo, exec_lo, s71
	s_cbranch_vccnz .LBB23_1132
; %bb.1107:                             ;   in Loop: Header=BB23_3 Depth=1
	v_readlane_b32 s80, v91, 1
	v_readlane_b32 s81, v91, 2
	v_mov_b32_e32 v83, -1
	s_lshl_b64 s[64:65], s[76:77], 2
	s_mov_b32 s69, 0
	s_add_nc_u64 s[84:85], s[80:81], s[64:65]
	s_branch .LBB23_1110
.LBB23_1108:                            ;   in Loop: Header=BB23_1110 Depth=2
	s_wait_xcnt 0x0
	ds_load_b32 v22, v66 offset:192
	s_wait_loadcnt_dscnt 0x0
	v_fmac_f32_e32 v82, v24, v22
.LBB23_1109:                            ;   in Loop: Header=BB23_1110 Depth=2
	s_or_b32 exec_lo, exec_lo, s64
	s_add_co_i32 s69, s69, 1
	s_delay_alu instid0(SALU_CYCLE_1)
	s_cmp_eq_u32 s69, s88
	s_cbranch_scc1 .LBB23_1132
.LBB23_1110:                            ;   Parent Loop BB23_3 Depth=1
                                        ; =>  This Loop Header: Depth=2
                                        ;       Child Loop BB23_1112 Depth 3
	v_cmp_gt_i32_e32 vcc_lo, s69, v83
	s_and_b32 s65, s59, vcc_lo
	s_delay_alu instid0(SALU_CYCLE_1)
	s_and_saveexec_b32 s64, s65
	s_cbranch_execz .LBB23_1113
; %bb.1111:                             ;   in Loop: Header=BB23_1110 Depth=2
	global_load_b32 v83, v5, s[84:85]
	s_wait_loadcnt 0x0
	v_cmp_le_i32_e32 vcc_lo, s69, v83
	s_cbranch_vccnz .LBB23_1113
.LBB23_1112:                            ;   Parent Loop BB23_3 Depth=1
                                        ;     Parent Loop BB23_1110 Depth=2
                                        ; =>    This Inner Loop Header: Depth=3
	global_wb scope:SCOPE_DEV
	s_wait_storecnt 0x0
	global_inv scope:SCOPE_DEV
	global_load_b32 v83, v5, s[84:85]
	s_wait_loadcnt 0x0
	v_cmp_gt_i32_e32 vcc_lo, s69, v83
	s_cbranch_vccnz .LBB23_1112
.LBB23_1113:                            ;   in Loop: Header=BB23_1110 Depth=2
	s_or_b32 exec_lo, exec_lo, s64
	s_sub_co_i32 s65, s89, s69
	global_wb scope:SCOPE_DEV
	s_wait_storecnt 0x0
	global_inv scope:SCOPE_DEV
	s_lshl_b32 s64, s65, 6
	s_wait_loadcnt 0x0
	s_barrier_signal -1
	s_barrier_wait -1
	s_and_saveexec_b32 s80, s60
	s_cbranch_execz .LBB23_1117
; %bb.1114:                             ;   in Loop: Header=BB23_1110 Depth=2
	s_ashr_i32 s81, s64, 31
	s_delay_alu instid0(SALU_CYCLE_1) | instskip(SKIP_2) | instid1(VALU_DEP_1)
	v_dual_mov_b32 v24, 0 :: v_dual_mov_b32 v23, s81
	v_or_b32_e32 v22, s64, v4
	s_mov_b32 s81, exec_lo
	v_cmpx_gt_i64_e64 s[78:79], v[22:23]
	s_cbranch_execz .LBB23_1116
; %bb.1115:                             ;   in Loop: Header=BB23_1110 Depth=2
	v_mul_u64_e32 v[22:23], s[72:73], v[22:23]
	s_delay_alu instid0(VALU_DEP_1)
	v_lshl_add_u64 v[22:23], v[22:23], 2, s[82:83]
	global_load_b32 v24, v[22:23], off
.LBB23_1116:                            ;   in Loop: Header=BB23_1110 Depth=2
	s_wait_xcnt 0x0
	s_or_b32 exec_lo, exec_lo, s81
	s_wait_loadcnt 0x0
	ds_store_b32 v65, v24
.LBB23_1117:                            ;   in Loop: Header=BB23_1110 Depth=2
	s_or_b32 exec_lo, exec_lo, s80
	v_add_nc_u32_e32 v24, s64, v26
	s_cmp_lg_u32 s65, s68
	s_wait_dscnt 0x0
	s_cselect_b32 s65, -1, 0
	s_barrier_signal -1
	v_ashrrev_i32_e32 v25, 31, v24
	v_cmp_gt_i32_e32 vcc_lo, s78, v24
	s_barrier_wait -1
	s_delay_alu instid0(VALU_DEP_2) | instskip(SKIP_2) | instid1(SALU_CYCLE_1)
	v_lshl_add_u64 v[22:23], v[24:25], 2, v[20:21]
	v_cndmask_b32_e64 v25, 0, 1, s65
	s_and_b32 s80, vcc_lo, s6
	s_and_saveexec_b32 s64, s80
	s_cbranch_execz .LBB23_1121
; %bb.1118:                             ;   in Loop: Header=BB23_1110 Depth=2
	v_mov_b32_e32 v84, v78
	s_and_not1_b32 vcc_lo, exec_lo, s65
	s_cbranch_vccnz .LBB23_1120
; %bb.1119:                             ;   in Loop: Header=BB23_1110 Depth=2
	global_load_b32 v84, v[22:23], off
.LBB23_1120:                            ;   in Loop: Header=BB23_1110 Depth=2
	ds_load_b32 v85, v66
	s_wait_loadcnt_dscnt 0x0
	v_fmac_f32_e32 v82, v84, v85
.LBB23_1121:                            ;   in Loop: Header=BB23_1110 Depth=2
	s_or_b32 exec_lo, exec_lo, s64
	v_add_nc_u32_e32 v84, 16, v24
	s_delay_alu instid0(VALU_DEP_1) | instskip(SKIP_1) | instid1(SALU_CYCLE_1)
	v_cmp_gt_i32_e32 vcc_lo, s78, v84
	s_and_b32 s65, vcc_lo, s6
	s_and_saveexec_b32 s64, s65
	s_cbranch_execz .LBB23_1125
; %bb.1122:                             ;   in Loop: Header=BB23_1110 Depth=2
	v_cmp_ne_u32_e32 vcc_lo, 1, v25
	v_mov_b32_e32 v84, v79
	s_cbranch_vccnz .LBB23_1124
; %bb.1123:                             ;   in Loop: Header=BB23_1110 Depth=2
	global_load_b32 v84, v[22:23], off offset:64
.LBB23_1124:                            ;   in Loop: Header=BB23_1110 Depth=2
	ds_load_b32 v85, v66 offset:64
	s_wait_loadcnt_dscnt 0x0
	v_fmac_f32_e32 v82, v84, v85
.LBB23_1125:                            ;   in Loop: Header=BB23_1110 Depth=2
	s_or_b32 exec_lo, exec_lo, s64
	v_add_nc_u32_e32 v84, 32, v24
	s_delay_alu instid0(VALU_DEP_1) | instskip(SKIP_1) | instid1(SALU_CYCLE_1)
	v_cmp_gt_i32_e32 vcc_lo, s78, v84
	s_and_b32 s65, vcc_lo, s6
	s_and_saveexec_b32 s64, s65
	s_cbranch_execz .LBB23_1129
; %bb.1126:                             ;   in Loop: Header=BB23_1110 Depth=2
	v_cmp_ne_u32_e32 vcc_lo, 1, v25
	v_mov_b32_e32 v84, v80
	s_cbranch_vccnz .LBB23_1128
; %bb.1127:                             ;   in Loop: Header=BB23_1110 Depth=2
	global_load_b32 v84, v[22:23], off offset:128
.LBB23_1128:                            ;   in Loop: Header=BB23_1110 Depth=2
	ds_load_b32 v85, v66 offset:128
	s_wait_loadcnt_dscnt 0x0
	v_fmac_f32_e32 v82, v84, v85
.LBB23_1129:                            ;   in Loop: Header=BB23_1110 Depth=2
	s_or_b32 exec_lo, exec_lo, s64
	v_add_nc_u32_e32 v24, 48, v24
	s_delay_alu instid0(VALU_DEP_1) | instskip(SKIP_1) | instid1(SALU_CYCLE_1)
	v_cmp_gt_i32_e32 vcc_lo, s78, v24
	s_and_b32 s65, vcc_lo, s6
	s_and_saveexec_b32 s64, s65
	s_cbranch_execz .LBB23_1109
; %bb.1130:                             ;   in Loop: Header=BB23_1110 Depth=2
	v_cmp_ne_u32_e32 vcc_lo, 1, v25
	v_mov_b32_e32 v24, v81
	s_cbranch_vccnz .LBB23_1108
; %bb.1131:                             ;   in Loop: Header=BB23_1110 Depth=2
	global_load_b32 v24, v[22:23], off offset:192
	s_branch .LBB23_1108
.LBB23_1132:                            ;   in Loop: Header=BB23_3 Depth=1
	ds_store_b32 v67, v82
	s_wait_dscnt 0x0
	s_barrier_signal -1
	s_barrier_wait -1
	s_and_saveexec_b32 s69, s1
	s_cbranch_execz .LBB23_1134
; %bb.1133:                             ;   in Loop: Header=BB23_3 Depth=1
	ds_load_2addr_stride64_b32 v[20:21], v68 offset0:1 offset1:2
	ds_load_2addr_stride64_b32 v[22:23], v68 offset0:3 offset1:4
	;; [unrolled: 1-line block ×4, first 2 shown]
	v_readlane_b32 s64, v89, 7
	s_wait_dscnt 0x3
	v_add_f32_e32 v20, v82, v20
	s_delay_alu instid0(VALU_DEP_1) | instskip(SKIP_1) | instid1(VALU_DEP_1)
	v_add_f32_e32 v20, v20, v21
	s_wait_dscnt 0x2
	v_add_f32_e32 v20, v20, v22
	s_delay_alu instid0(VALU_DEP_1) | instskip(SKIP_1) | instid1(VALU_DEP_1)
	v_add_f32_e32 v20, v20, v23
	s_wait_dscnt 0x1
	v_add_f32_e32 v22, v20, v24
	ds_load_2addr_stride64_b32 v[20:21], v68 offset0:9 offset1:10
	v_add_f32_e32 v22, v22, v25
	s_wait_dscnt 0x1
	s_delay_alu instid0(VALU_DEP_1)
	v_add_f32_e32 v24, v22, v84
	ds_load_2addr_stride64_b32 v[22:23], v68 offset0:11 offset1:12
	v_add_f32_e32 v82, v24, v85
	ds_load_2addr_stride64_b32 v[24:25], v68 offset0:13 offset1:14
	ds_load_b32 v83, v68 offset:3840
	s_wait_dscnt 0x3
	v_add_f32_e32 v20, v82, v20
	s_delay_alu instid0(VALU_DEP_1) | instskip(SKIP_1) | instid1(VALU_DEP_1)
	v_add_f32_e32 v20, v20, v21
	s_wait_dscnt 0x2
	v_add_f32_e32 v20, v20, v22
	s_delay_alu instid0(VALU_DEP_1) | instskip(SKIP_1) | instid1(VALU_DEP_1)
	v_add_f32_e32 v20, v20, v23
	;; [unrolled: 4-line block ×3, first 2 shown]
	s_wait_dscnt 0x0
	v_add_f32_e32 v20, v20, v83
	s_delay_alu instid0(VALU_DEP_1)
	v_cndmask_b32_e64 v82, -v20, 0, s64
.LBB23_1134:                            ;   in Loop: Header=BB23_3 Depth=1
	s_or_b32 exec_lo, exec_lo, s69
	s_delay_alu instid0(SALU_CYCLE_1)
	s_and_not1_b32 vcc_lo, exec_lo, s92
	s_cbranch_vccnz .LBB23_1144
; %bb.1135:                             ;   in Loop: Header=BB23_3 Depth=1
	s_and_saveexec_b32 s64, s1
; %bb.1136:                             ;   in Loop: Header=BB23_3 Depth=1
	ds_store_b32 v70, v82
; %bb.1137:                             ;   in Loop: Header=BB23_3 Depth=1
	s_or_b32 exec_lo, exec_lo, s64
	v_mov_b32_e32 v20, 0
	s_wait_dscnt 0x0
	s_barrier_signal -1
	s_barrier_wait -1
	s_and_saveexec_b32 s64, s7
	s_cbranch_execnz .LBB23_1200
; %bb.1138:                             ;   in Loop: Header=BB23_3 Depth=1
	s_or_b32 exec_lo, exec_lo, s64
	s_and_saveexec_b32 s64, s8
	s_cbranch_execnz .LBB23_1201
.LBB23_1139:                            ;   in Loop: Header=BB23_3 Depth=1
	s_or_b32 exec_lo, exec_lo, s64
	s_and_saveexec_b32 s64, s9
	s_cbranch_execnz .LBB23_1202
.LBB23_1140:                            ;   in Loop: Header=BB23_3 Depth=1
	s_or_b32 exec_lo, exec_lo, s64
	s_and_saveexec_b32 s64, s10
	s_cbranch_execz .LBB23_1142
.LBB23_1141:                            ;   in Loop: Header=BB23_3 Depth=1
	ds_load_b32 v21, v69 offset:12288
	ds_load_b32 v22, v66 offset:192
	s_wait_dscnt 0x0
	v_fmac_f32_e32 v20, v21, v22
.LBB23_1142:                            ;   in Loop: Header=BB23_3 Depth=1
	s_or_b32 exec_lo, exec_lo, s64
	s_mov_b32 s69, 0
	s_mov_b32 s84, 0
	ds_store_b32 v67, v20
	s_wait_dscnt 0x0
	s_barrier_signal -1
	s_barrier_wait -1
                                        ; implicit-def: $vgpr21
	s_and_saveexec_b32 s85, s1
	s_cbranch_execz .LBB23_1203
; %bb.1143:                             ;   in Loop: Header=BB23_3 Depth=1
	ds_load_2addr_stride64_b32 v[22:23], v68 offset0:1 offset1:2
	ds_load_2addr_stride64_b32 v[24:25], v68 offset0:3 offset1:4
	;; [unrolled: 1-line block ×4, first 2 shown]
	s_mov_b32 s84, exec_lo
	s_wait_dscnt 0x3
	v_add_f32_e32 v20, v20, v22
	s_delay_alu instid0(VALU_DEP_1) | instskip(SKIP_1) | instid1(VALU_DEP_1)
	v_add_f32_e32 v20, v23, v20
	s_wait_dscnt 0x2
	v_add_f32_e32 v20, v24, v20
	s_delay_alu instid0(VALU_DEP_1) | instskip(SKIP_1) | instid1(VALU_DEP_1)
	v_add_f32_e32 v20, v25, v20
	s_wait_dscnt 0x1
	v_add_f32_e32 v22, v84, v20
	ds_load_2addr_stride64_b32 v[20:21], v68 offset0:9 offset1:10
	v_add_f32_e32 v22, v85, v22
	s_wait_dscnt 0x1
	s_delay_alu instid0(VALU_DEP_1)
	v_add_f32_e32 v24, v86, v22
	ds_load_2addr_stride64_b32 v[22:23], v68 offset0:11 offset1:12
	v_add_f32_e32 v83, v87, v24
	ds_load_2addr_stride64_b32 v[24:25], v68 offset0:13 offset1:14
	ds_load_b32 v84, v68 offset:3840
	s_wait_dscnt 0x3
	v_add_f32_e32 v20, v20, v83
	s_delay_alu instid0(VALU_DEP_1) | instskip(SKIP_1) | instid1(VALU_DEP_1)
	v_add_f32_e32 v20, v21, v20
	s_wait_dscnt 0x2
	v_add_f32_e32 v20, v22, v20
	s_delay_alu instid0(VALU_DEP_1) | instskip(SKIP_1) | instid1(VALU_DEP_1)
	v_add_f32_e32 v20, v23, v20
	;; [unrolled: 4-line block ×3, first 2 shown]
	s_wait_dscnt 0x0
	v_add_f32_e32 v21, v84, v20
	s_or_b32 exec_lo, exec_lo, s85
	s_delay_alu instid0(SALU_CYCLE_1)
	s_and_b32 vcc_lo, exec_lo, s69
	s_cbranch_vccnz .LBB23_1145
	s_branch .LBB23_1204
.LBB23_1144:                            ;   in Loop: Header=BB23_3 Depth=1
	s_mov_b32 s84, 0
                                        ; implicit-def: $vgpr21
	s_cbranch_execz .LBB23_1204
.LBB23_1145:                            ;   in Loop: Header=BB23_3 Depth=1
	v_dual_mov_b32 v20, v77 :: v_dual_mov_b32 v21, v76
	s_mov_b32 s69, 63
	s_branch .LBB23_1147
.LBB23_1146:                            ;   in Loop: Header=BB23_1147 Depth=2
	s_or_b32 exec_lo, exec_lo, s64
	v_add_nc_u32_e32 v21, 0xfffffc00, v21
	v_add_nc_u32_e32 v20, 4, v20
	s_add_co_i32 s69, s69, -4
	s_cmp_lg_u32 s85, 0
	s_barrier_signal -1
	s_barrier_wait -1
	s_cbranch_scc0 .LBB23_1163
.LBB23_1147:                            ;   Parent Loop BB23_3 Depth=1
                                        ; =>  This Inner Loop Header: Depth=2
	s_delay_alu instid0(VALU_DEP_1) | instskip(SKIP_2) | instid1(SALU_CYCLE_1)
	v_cmp_eq_u32_e32 vcc_lo, 0, v20
	v_add_nc_u32_e32 v22, v54, v29
	s_and_b32 s65, s1, vcc_lo
	s_and_saveexec_b32 s64, s65
	s_cbranch_execz .LBB23_1149
; %bb.1148:                             ;   in Loop: Header=BB23_1147 Depth=2
	ds_load_b32 v23, v22
	s_wait_dscnt 0x0
	v_mul_f32_e32 v82, v82, v23
	ds_store_b32 v5, v82 offset:20736
.LBB23_1149:                            ;   in Loop: Header=BB23_1147 Depth=2
	s_or_b32 exec_lo, exec_lo, s64
	v_cmp_gt_u32_e32 vcc_lo, s69, v2
	s_wait_dscnt 0x0
	s_barrier_signal -1
	s_barrier_wait -1
	s_and_b32 s65, s1, vcc_lo
	s_delay_alu instid0(SALU_CYCLE_1)
	s_and_saveexec_b32 s64, s65
	s_cbranch_execz .LBB23_1151
; %bb.1150:                             ;   in Loop: Header=BB23_1147 Depth=2
	ds_load_b32 v23, v21 offset:768
	ds_load_b32 v24, v5 offset:20736
	s_wait_dscnt 0x0
	v_fmac_f32_e32 v82, v23, v24
.LBB23_1151:                            ;   in Loop: Header=BB23_1147 Depth=2
	s_or_b32 exec_lo, exec_lo, s64
	s_add_co_i32 s64, s69, -1
	s_delay_alu instid0(SALU_CYCLE_1) | instskip(SKIP_3) | instid1(SALU_CYCLE_1)
	v_cmp_eq_u32_e32 vcc_lo, s64, v2
	s_barrier_signal -1
	s_barrier_wait -1
	s_and_b32 s80, s1, vcc_lo
	s_and_saveexec_b32 s65, s80
	s_cbranch_execz .LBB23_1153
; %bb.1152:                             ;   in Loop: Header=BB23_1147 Depth=2
	ds_load_b32 v23, v22
	s_wait_dscnt 0x0
	v_mul_f32_e32 v82, v82, v23
	ds_store_b32 v5, v82 offset:20736
.LBB23_1153:                            ;   in Loop: Header=BB23_1147 Depth=2
	s_or_b32 exec_lo, exec_lo, s65
	v_cmp_gt_u32_e32 vcc_lo, s64, v2
	s_wait_dscnt 0x0
	s_barrier_signal -1
	s_barrier_wait -1
	s_and_b32 s65, s1, vcc_lo
	s_delay_alu instid0(SALU_CYCLE_1)
	s_and_saveexec_b32 s64, s65
	s_cbranch_execz .LBB23_1155
; %bb.1154:                             ;   in Loop: Header=BB23_1147 Depth=2
	ds_load_b32 v23, v21 offset:512
	ds_load_b32 v24, v5 offset:20736
	s_wait_dscnt 0x0
	v_fmac_f32_e32 v82, v23, v24
.LBB23_1155:                            ;   in Loop: Header=BB23_1147 Depth=2
	s_or_b32 exec_lo, exec_lo, s64
	s_add_co_i32 s64, s69, -2
	s_delay_alu instid0(SALU_CYCLE_1) | instskip(SKIP_3) | instid1(SALU_CYCLE_1)
	v_cmp_eq_u32_e32 vcc_lo, s64, v2
	s_barrier_signal -1
	s_barrier_wait -1
	;; [unrolled: 30-line block ×3, first 2 shown]
	s_and_b32 s65, s1, vcc_lo
	s_and_saveexec_b32 s64, s65
	s_cbranch_execz .LBB23_1161
; %bb.1160:                             ;   in Loop: Header=BB23_1147 Depth=2
	ds_load_b32 v22, v22
	s_wait_dscnt 0x0
	v_mul_f32_e32 v82, v82, v22
	ds_store_b32 v5, v82 offset:20736
.LBB23_1161:                            ;   in Loop: Header=BB23_1147 Depth=2
	s_or_b32 exec_lo, exec_lo, s64
	v_cmp_gt_u32_e32 vcc_lo, s85, v2
	s_wait_dscnt 0x0
	s_barrier_signal -1
	s_barrier_wait -1
	s_and_b32 s65, s1, vcc_lo
	s_delay_alu instid0(SALU_CYCLE_1)
	s_and_saveexec_b32 s64, s65
	s_cbranch_execz .LBB23_1146
; %bb.1162:                             ;   in Loop: Header=BB23_1147 Depth=2
	ds_load_b32 v22, v21
	ds_load_b32 v23, v5 offset:20736
	s_wait_dscnt 0x0
	v_fmac_f32_e32 v82, v22, v23
	s_branch .LBB23_1146
.LBB23_1163:                            ;   in Loop: Header=BB23_3 Depth=1
	s_and_b32 vcc_lo, exec_lo, s90
	s_mov_b32 s64, -1
	s_cbranch_vccnz .LBB23_1205
; %bb.1164:                             ;   in Loop: Header=BB23_3 Depth=1
	s_and_not1_b32 vcc_lo, exec_lo, s64
	s_cbranch_vccz .LBB23_1206
.LBB23_1165:                            ;   in Loop: Header=BB23_3 Depth=1
	s_and_saveexec_b32 s64, s84
	s_cbranch_execz .LBB23_1167
.LBB23_1166:                            ;   in Loop: Header=BB23_3 Depth=1
	v_lshl_add_u64 v[20:21], v[10:11], 2, s[82:83]
	global_store_b32 v[20:21], v82, off
.LBB23_1167:                            ;   in Loop: Header=BB23_3 Depth=1
	s_wait_xcnt 0x0
	s_or_b32 exec_lo, exec_lo, s64
	global_wb scope:SCOPE_DEV
	s_wait_storecnt 0x0
	global_inv scope:SCOPE_DEV
	s_wait_loadcnt 0x0
	s_barrier_signal -1
	s_barrier_wait -1
	s_and_saveexec_b32 s64, s59
	s_cbranch_execz .LBB23_2
; %bb.1168:                             ;   in Loop: Header=BB23_3 Depth=1
	v_readlane_b32 s82, v91, 1
	v_readlane_b32 s83, v91, 2
	s_lshl_b64 s[80:81], s[76:77], 2
	s_delay_alu instid0(SALU_CYCLE_1)
	s_add_nc_u64 s[80:81], s[82:83], s[80:81]
	global_load_b32 v20, v5, s[80:81]
	s_wait_loadcnt 0x0
	v_add_nc_u32_e32 v20, 1, v20
	global_store_b32 v5, v20, s[80:81]
	s_branch .LBB23_2
.LBB23_1169:                            ;   in Loop: Header=BB23_3 Depth=1
	s_mov_b32 s64, exec_lo
	v_readlane_b32 s65, v89, 17
	s_and_b32 s65, s64, s65
	s_delay_alu instid0(SALU_CYCLE_1)
	s_xor_b32 s64, s65, s64
	s_mov_b32 exec_lo, s65
	s_cbranch_execz .LBB23_1173
; %bb.1170:                             ;   in Loop: Header=BB23_3 Depth=1
	s_mov_b32 s65, exec_lo
	v_readlane_b32 s80, v88, 27
	s_and_b32 s80, s65, s80
	s_delay_alu instid0(SALU_CYCLE_1)
	s_mov_b32 exec_lo, s80
; %bb.1171:                             ;   in Loop: Header=BB23_3 Depth=1
	ds_store_b32 v71, v5
; %bb.1172:                             ;   in Loop: Header=BB23_3 Depth=1
	s_or_b32 exec_lo, exec_lo, s65
.LBB23_1173:                            ;   in Loop: Header=BB23_3 Depth=1
	s_and_not1_saveexec_b32 s64, s64
	s_cbranch_execz .LBB23_1175
; %bb.1174:                             ;   in Loop: Header=BB23_3 Depth=1
	v_lshl_add_u64 v[22:23], v[12:13], 2, s[82:83]
	global_load_b32 v22, v[22:23], off
	s_wait_loadcnt 0x0
	v_div_scale_f32 v23, null, v22, v22, 1.0
	s_delay_alu instid0(VALU_DEP_1) | instskip(SKIP_1) | instid1(TRANS32_DEP_1)
	v_rcp_f32_e32 v24, v23
	v_nop
	v_fma_f32 v25, -v23, v24, 1.0
	s_delay_alu instid0(VALU_DEP_1) | instskip(SKIP_1) | instid1(VALU_DEP_1)
	v_fmac_f32_e32 v24, v25, v24
	v_div_scale_f32 v25, vcc_lo, 1.0, v22, 1.0
	v_mul_f32_e32 v82, v25, v24
	s_delay_alu instid0(VALU_DEP_1) | instskip(NEXT) | instid1(VALU_DEP_1)
	v_fma_f32 v83, -v23, v82, v25
	v_fmac_f32_e32 v82, v83, v24
	s_delay_alu instid0(VALU_DEP_1) | instskip(NEXT) | instid1(VALU_DEP_1)
	v_fma_f32 v23, -v23, v82, v25
	v_div_fmas_f32 v23, v23, v24, v82
	s_delay_alu instid0(VALU_DEP_1)
	v_div_fixup_f32 v22, v23, v22, 1.0
	ds_store_b32 v71, v22
.LBB23_1175:                            ;   in Loop: Header=BB23_3 Depth=1
	s_or_b32 exec_lo, exec_lo, s64
	s_and_not1_saveexec_b32 s64, s69
	s_cbranch_execz .LBB23_16
.LBB23_1176:                            ;   in Loop: Header=BB23_3 Depth=1
	v_lshl_add_u64 v[22:23], v[12:13], 2, s[82:83]
	global_load_b32 v22, v[22:23], off
	s_wait_loadcnt 0x0
	v_xor_b32_e32 v22, 0x80000000, v22
	ds_store_b32 v71, v22
	s_or_b32 exec_lo, exec_lo, s64
	s_and_saveexec_b32 s64, s8
	s_delay_alu instid0(SALU_CYCLE_1)
	s_xor_b32 s69, exec_lo, s64
	s_cbranch_execz .LBB23_17
.LBB23_1177:                            ;   in Loop: Header=BB23_3 Depth=1
	s_mov_b32 s64, exec_lo
	v_readlane_b32 s65, v89, 19
	s_and_b32 s65, s64, s65
	s_delay_alu instid0(SALU_CYCLE_1)
	s_xor_b32 s64, s65, s64
	s_mov_b32 exec_lo, s65
	s_cbranch_execz .LBB23_1181
; %bb.1178:                             ;   in Loop: Header=BB23_3 Depth=1
	s_mov_b32 s65, exec_lo
	v_readlane_b32 s80, v88, 28
	s_and_b32 s80, s65, s80
	s_delay_alu instid0(SALU_CYCLE_1)
	s_mov_b32 exec_lo, s80
; %bb.1179:                             ;   in Loop: Header=BB23_3 Depth=1
	ds_store_b32 v72, v5
; %bb.1180:                             ;   in Loop: Header=BB23_3 Depth=1
	s_or_b32 exec_lo, exec_lo, s65
.LBB23_1181:                            ;   in Loop: Header=BB23_3 Depth=1
	s_and_not1_saveexec_b32 s64, s64
	s_cbranch_execz .LBB23_1183
; %bb.1182:                             ;   in Loop: Header=BB23_3 Depth=1
	v_lshl_add_u64 v[22:23], v[14:15], 2, s[82:83]
	global_load_b32 v22, v[22:23], off
	s_wait_loadcnt 0x0
	v_div_scale_f32 v23, null, v22, v22, 1.0
	s_delay_alu instid0(VALU_DEP_1) | instskip(SKIP_1) | instid1(TRANS32_DEP_1)
	v_rcp_f32_e32 v24, v23
	v_nop
	v_fma_f32 v25, -v23, v24, 1.0
	s_delay_alu instid0(VALU_DEP_1) | instskip(SKIP_1) | instid1(VALU_DEP_1)
	v_fmac_f32_e32 v24, v25, v24
	v_div_scale_f32 v25, vcc_lo, 1.0, v22, 1.0
	v_mul_f32_e32 v82, v25, v24
	s_delay_alu instid0(VALU_DEP_1) | instskip(NEXT) | instid1(VALU_DEP_1)
	v_fma_f32 v83, -v23, v82, v25
	v_fmac_f32_e32 v82, v83, v24
	s_delay_alu instid0(VALU_DEP_1) | instskip(NEXT) | instid1(VALU_DEP_1)
	v_fma_f32 v23, -v23, v82, v25
	v_div_fmas_f32 v23, v23, v24, v82
	s_delay_alu instid0(VALU_DEP_1)
	v_div_fixup_f32 v22, v23, v22, 1.0
	ds_store_b32 v72, v22
.LBB23_1183:                            ;   in Loop: Header=BB23_3 Depth=1
	s_or_b32 exec_lo, exec_lo, s64
	s_and_not1_saveexec_b32 s64, s69
	s_cbranch_execz .LBB23_18
.LBB23_1184:                            ;   in Loop: Header=BB23_3 Depth=1
	v_lshl_add_u64 v[22:23], v[14:15], 2, s[82:83]
	global_load_b32 v22, v[22:23], off
	s_wait_loadcnt 0x0
	v_xor_b32_e32 v22, 0x80000000, v22
	ds_store_b32 v72, v22
	s_or_b32 exec_lo, exec_lo, s64
	s_and_saveexec_b32 s64, s9
	s_delay_alu instid0(SALU_CYCLE_1)
	s_xor_b32 s69, exec_lo, s64
	s_cbranch_execz .LBB23_19
.LBB23_1185:                            ;   in Loop: Header=BB23_3 Depth=1
	s_mov_b32 s64, exec_lo
	v_readlane_b32 s65, v89, 21
	s_and_b32 s65, s64, s65
	s_delay_alu instid0(SALU_CYCLE_1)
	s_xor_b32 s64, s65, s64
	s_mov_b32 exec_lo, s65
	s_cbranch_execz .LBB23_1189
; %bb.1186:                             ;   in Loop: Header=BB23_3 Depth=1
	s_mov_b32 s65, exec_lo
	v_readlane_b32 s80, v88, 29
	s_and_b32 s80, s65, s80
	s_delay_alu instid0(SALU_CYCLE_1)
	s_mov_b32 exec_lo, s80
; %bb.1187:                             ;   in Loop: Header=BB23_3 Depth=1
	ds_store_b32 v73, v5
; %bb.1188:                             ;   in Loop: Header=BB23_3 Depth=1
	s_or_b32 exec_lo, exec_lo, s65
.LBB23_1189:                            ;   in Loop: Header=BB23_3 Depth=1
	s_and_not1_saveexec_b32 s64, s64
	s_cbranch_execz .LBB23_1191
; %bb.1190:                             ;   in Loop: Header=BB23_3 Depth=1
	v_lshl_add_u64 v[22:23], v[16:17], 2, s[82:83]
	global_load_b32 v22, v[22:23], off
	s_wait_loadcnt 0x0
	v_div_scale_f32 v23, null, v22, v22, 1.0
	s_delay_alu instid0(VALU_DEP_1) | instskip(SKIP_1) | instid1(TRANS32_DEP_1)
	v_rcp_f32_e32 v24, v23
	v_nop
	v_fma_f32 v25, -v23, v24, 1.0
	s_delay_alu instid0(VALU_DEP_1) | instskip(SKIP_1) | instid1(VALU_DEP_1)
	v_fmac_f32_e32 v24, v25, v24
	v_div_scale_f32 v25, vcc_lo, 1.0, v22, 1.0
	v_mul_f32_e32 v82, v25, v24
	s_delay_alu instid0(VALU_DEP_1) | instskip(NEXT) | instid1(VALU_DEP_1)
	v_fma_f32 v83, -v23, v82, v25
	v_fmac_f32_e32 v82, v83, v24
	s_delay_alu instid0(VALU_DEP_1) | instskip(NEXT) | instid1(VALU_DEP_1)
	v_fma_f32 v23, -v23, v82, v25
	v_div_fmas_f32 v23, v23, v24, v82
	s_delay_alu instid0(VALU_DEP_1)
	v_div_fixup_f32 v22, v23, v22, 1.0
	ds_store_b32 v73, v22
.LBB23_1191:                            ;   in Loop: Header=BB23_3 Depth=1
	s_or_b32 exec_lo, exec_lo, s64
	s_and_not1_saveexec_b32 s64, s69
	s_cbranch_execz .LBB23_20
.LBB23_1192:                            ;   in Loop: Header=BB23_3 Depth=1
	v_lshl_add_u64 v[22:23], v[16:17], 2, s[82:83]
	global_load_b32 v22, v[22:23], off
	s_wait_loadcnt 0x0
	v_xor_b32_e32 v22, 0x80000000, v22
	ds_store_b32 v73, v22
	s_or_b32 exec_lo, exec_lo, s64
	s_and_saveexec_b32 s64, s10
	s_delay_alu instid0(SALU_CYCLE_1)
	s_xor_b32 s69, exec_lo, s64
	s_cbranch_execz .LBB23_21
.LBB23_1193:                            ;   in Loop: Header=BB23_3 Depth=1
	s_mov_b32 s64, exec_lo
	v_readlane_b32 s65, v89, 23
	s_and_b32 s65, s64, s65
	s_delay_alu instid0(SALU_CYCLE_1)
	s_xor_b32 s64, s65, s64
	s_mov_b32 exec_lo, s65
	s_cbranch_execz .LBB23_1197
; %bb.1194:                             ;   in Loop: Header=BB23_3 Depth=1
	s_mov_b32 s65, exec_lo
	v_readlane_b32 s80, v88, 30
	s_and_b32 s80, s65, s80
	s_delay_alu instid0(SALU_CYCLE_1)
	s_mov_b32 exec_lo, s80
; %bb.1195:                             ;   in Loop: Header=BB23_3 Depth=1
	ds_store_b32 v74, v5
; %bb.1196:                             ;   in Loop: Header=BB23_3 Depth=1
	s_or_b32 exec_lo, exec_lo, s65
.LBB23_1197:                            ;   in Loop: Header=BB23_3 Depth=1
	s_and_not1_saveexec_b32 s64, s64
	s_cbranch_execz .LBB23_1199
; %bb.1198:                             ;   in Loop: Header=BB23_3 Depth=1
	v_lshl_add_u64 v[22:23], v[18:19], 2, s[82:83]
	global_load_b32 v22, v[22:23], off
	s_wait_loadcnt 0x0
	v_div_scale_f32 v23, null, v22, v22, 1.0
	s_delay_alu instid0(VALU_DEP_1) | instskip(SKIP_1) | instid1(TRANS32_DEP_1)
	v_rcp_f32_e32 v24, v23
	v_nop
	v_fma_f32 v25, -v23, v24, 1.0
	s_delay_alu instid0(VALU_DEP_1) | instskip(SKIP_1) | instid1(VALU_DEP_1)
	v_fmac_f32_e32 v24, v25, v24
	v_div_scale_f32 v25, vcc_lo, 1.0, v22, 1.0
	v_mul_f32_e32 v82, v25, v24
	s_delay_alu instid0(VALU_DEP_1) | instskip(NEXT) | instid1(VALU_DEP_1)
	v_fma_f32 v83, -v23, v82, v25
	v_fmac_f32_e32 v82, v83, v24
	s_delay_alu instid0(VALU_DEP_1) | instskip(NEXT) | instid1(VALU_DEP_1)
	v_fma_f32 v23, -v23, v82, v25
	v_div_fmas_f32 v23, v23, v24, v82
	s_delay_alu instid0(VALU_DEP_1)
	v_div_fixup_f32 v22, v23, v22, 1.0
	ds_store_b32 v74, v22
.LBB23_1199:                            ;   in Loop: Header=BB23_3 Depth=1
	s_or_b32 exec_lo, exec_lo, s64
	s_and_not1_saveexec_b32 s64, s69
	s_cbranch_execnz .LBB23_22
	s_branch .LBB23_23
.LBB23_1200:                            ;   in Loop: Header=BB23_3 Depth=1
	ds_load_b32 v20, v69
	ds_load_b32 v21, v66
	s_wait_dscnt 0x0
	v_fma_f32 v20, v20, v21, 0
	s_or_b32 exec_lo, exec_lo, s64
	s_and_saveexec_b32 s64, s8
	s_cbranch_execz .LBB23_1139
.LBB23_1201:                            ;   in Loop: Header=BB23_3 Depth=1
	ds_load_b32 v21, v69 offset:4096
	ds_load_b32 v22, v66 offset:64
	s_wait_dscnt 0x0
	v_fmac_f32_e32 v20, v21, v22
	s_or_b32 exec_lo, exec_lo, s64
	s_and_saveexec_b32 s64, s9
	s_cbranch_execz .LBB23_1140
.LBB23_1202:                            ;   in Loop: Header=BB23_3 Depth=1
	ds_load_b32 v21, v69 offset:8192
	ds_load_b32 v22, v66 offset:128
	s_wait_dscnt 0x0
	v_fmac_f32_e32 v20, v21, v22
	s_or_b32 exec_lo, exec_lo, s64
	s_and_saveexec_b32 s64, s10
	s_cbranch_execnz .LBB23_1141
	s_branch .LBB23_1142
.LBB23_1203:                            ;   in Loop: Header=BB23_3 Depth=1
	s_or_b32 exec_lo, exec_lo, s85
	s_delay_alu instid0(SALU_CYCLE_1)
	s_and_b32 vcc_lo, exec_lo, s69
	s_cbranch_vccnz .LBB23_1145
.LBB23_1204:                            ;   in Loop: Header=BB23_3 Depth=1
	v_mov_b32_e32 v82, v21
	s_and_saveexec_b32 s64, s84
	s_cbranch_execnz .LBB23_1166
	s_branch .LBB23_1167
.LBB23_1205:                            ;   in Loop: Header=BB23_3 Depth=1
	s_and_not1_b32 s65, s84, exec_lo
	s_and_b32 s69, s1, exec_lo
	s_delay_alu instid0(SALU_CYCLE_1)
	s_or_b32 s84, s65, s69
	s_cbranch_execnz .LBB23_1165
.LBB23_1206:                            ;   in Loop: Header=BB23_3 Depth=1
	v_readlane_b32 s65, v89, 8
	s_and_not1_b32 s64, s84, exec_lo
	s_and_b32 s65, s65, exec_lo
	s_delay_alu instid0(SALU_CYCLE_1) | instskip(NEXT) | instid1(SALU_CYCLE_1)
	s_or_b32 s84, s64, s65
	s_and_saveexec_b32 s64, s84
	s_cbranch_execnz .LBB23_1166
	s_branch .LBB23_1167
.LBB23_1207:                            ;   in Loop: Header=BB23_3 Depth=1
	ds_load_b32 v23, v36 offset:272
	ds_load_b32 v24, v30 offset:4
	s_wait_dscnt 0x0
	v_fmac_f32_e32 v22, v23, v24
	s_or_b32 exec_lo, exec_lo, s64
	s_and_saveexec_b32 s64, s18
	s_cbranch_execz .LBB23_88
.LBB23_1208:                            ;   in Loop: Header=BB23_3 Depth=1
	ds_load_b32 v23, v35 offset:528
	ds_load_b32 v24, v30 offset:8
	s_wait_dscnt 0x0
	v_fmac_f32_e32 v22, v23, v24
	s_or_b32 exec_lo, exec_lo, s64
	s_and_saveexec_b32 s64, s0
	s_cbranch_execnz .LBB23_89
	s_branch .LBB23_90
.LBB23_1209:                            ;   in Loop: Header=BB23_3 Depth=1
	ds_load_b32 v23, v45 offset:288
	ds_load_b32 v24, v39 offset:4
	s_wait_dscnt 0x0
	v_fmac_f32_e32 v22, v23, v24
	s_or_b32 exec_lo, exec_lo, s64
	s_and_saveexec_b32 s64, s20
	s_cbranch_execz .LBB23_130
.LBB23_1210:                            ;   in Loop: Header=BB23_3 Depth=1
	ds_load_b32 v23, v45 offset:544
	ds_load_b32 v24, v39 offset:8
	s_wait_dscnt 0x0
	v_fmac_f32_e32 v22, v23, v24
	s_or_b32 exec_lo, exec_lo, s64
	s_and_saveexec_b32 s64, s21
	s_cbranch_execz .LBB23_131
.LBB23_1211:                            ;   in Loop: Header=BB23_3 Depth=1
	ds_load_b32 v23, v45 offset:800
	ds_load_b32 v24, v39 offset:12
	s_wait_dscnt 0x0
	v_fmac_f32_e32 v22, v23, v24
	s_or_b32 exec_lo, exec_lo, s64
	s_and_saveexec_b32 s64, s22
	s_cbranch_execz .LBB23_132
.LBB23_1212:                            ;   in Loop: Header=BB23_3 Depth=1
	ds_load_b32 v23, v44 offset:1056
	ds_load_b32 v24, v39 offset:16
	s_wait_dscnt 0x0
	v_fmac_f32_e32 v22, v23, v24
	s_or_b32 exec_lo, exec_lo, s64
	s_and_saveexec_b32 s64, s23
	s_cbranch_execz .LBB23_133
.LBB23_1213:                            ;   in Loop: Header=BB23_3 Depth=1
	ds_load_b32 v23, v45 offset:1312
	ds_load_b32 v24, v39 offset:20
	s_wait_dscnt 0x0
	v_fmac_f32_e32 v22, v23, v24
	s_or_b32 exec_lo, exec_lo, s64
	s_and_saveexec_b32 s64, s2
	s_cbranch_execz .LBB23_134
.LBB23_1214:                            ;   in Loop: Header=BB23_3 Depth=1
	ds_load_b32 v23, v44 offset:1568
	ds_load_b32 v24, v39 offset:24
	s_wait_dscnt 0x0
	v_fmac_f32_e32 v22, v23, v24
	s_or_b32 exec_lo, exec_lo, s64
	s_and_saveexec_b32 s64, s18
	s_cbranch_execnz .LBB23_135
	s_branch .LBB23_136
.LBB23_1215:                            ;   in Loop: Header=BB23_3 Depth=1
	ds_load_b32 v23, v36 offset:2352
	ds_load_b32 v24, v30 offset:2084
	s_wait_dscnt 0x0
	v_fmac_f32_e32 v22, v23, v24
	s_or_b32 exec_lo, exec_lo, s64
	s_and_saveexec_b32 s64, s18
	s_cbranch_execz .LBB23_192
.LBB23_1216:                            ;   in Loop: Header=BB23_3 Depth=1
	ds_load_b32 v23, v35 offset:2608
	ds_load_b32 v24, v30 offset:2088
	s_wait_dscnt 0x0
	v_fmac_f32_e32 v22, v23, v24
	s_or_b32 exec_lo, exec_lo, s64
	s_and_saveexec_b32 s64, s0
	s_cbranch_execnz .LBB23_193
	s_branch .LBB23_194
.LBB23_1217:                            ;   in Loop: Header=BB23_3 Depth=1
	ds_load_b32 v23, v58 offset:2880
	ds_load_b32 v24, v53 offset:44
	s_wait_dscnt 0x0
	v_fmac_f32_e32 v22, v23, v24
	s_or_b32 exec_lo, exec_lo, s64
	s_and_saveexec_b32 s64, s3
	s_cbranch_execz .LBB23_254
.LBB23_1218:                            ;   in Loop: Header=BB23_3 Depth=1
	ds_load_b32 v23, v57 offset:3136
	ds_load_b32 v24, v53 offset:48
	s_wait_dscnt 0x0
	v_fmac_f32_e32 v22, v23, v24
	s_or_b32 exec_lo, exec_lo, s64
	s_and_saveexec_b32 s64, s20
	s_cbranch_execz .LBB23_255
.LBB23_1219:                            ;   in Loop: Header=BB23_3 Depth=1
	ds_load_b32 v23, v58 offset:3392
	ds_load_b32 v24, v53 offset:52
	s_wait_dscnt 0x0
	v_fmac_f32_e32 v22, v23, v24
	s_or_b32 exec_lo, exec_lo, s64
	s_and_saveexec_b32 s64, s22
	s_cbranch_execz .LBB23_256
.LBB23_1220:                            ;   in Loop: Header=BB23_3 Depth=1
	ds_load_b32 v23, v57 offset:3648
	ds_load_b32 v24, v53 offset:56
	s_wait_dscnt 0x0
	v_fmac_f32_e32 v22, v23, v24
	s_or_b32 exec_lo, exec_lo, s64
	s_and_saveexec_b32 s64, s2
	s_cbranch_execnz .LBB23_257
	s_branch .LBB23_258
.LBB23_1221:                            ;   in Loop: Header=BB23_3 Depth=1
	ds_load_b32 v23, v36 offset:4432
	ds_load_b32 v24, v30 offset:4164
	s_wait_dscnt 0x0
	v_fmac_f32_e32 v22, v23, v24
	s_or_b32 exec_lo, exec_lo, s64
	s_and_saveexec_b32 s64, s18
	s_cbranch_execz .LBB23_346
.LBB23_1222:                            ;   in Loop: Header=BB23_3 Depth=1
	ds_load_b32 v23, v35 offset:4688
	ds_load_b32 v24, v30 offset:4168
	s_wait_dscnt 0x0
	v_fmac_f32_e32 v22, v23, v24
	s_or_b32 exec_lo, exec_lo, s64
	s_and_saveexec_b32 s64, s0
	s_cbranch_execnz .LBB23_347
	s_branch .LBB23_348
.LBB23_1223:                            ;   in Loop: Header=BB23_3 Depth=1
	ds_load_b32 v23, v45 offset:4448
	ds_load_b32 v24, v39 offset:4164
	s_wait_dscnt 0x0
	v_fmac_f32_e32 v22, v23, v24
	s_or_b32 exec_lo, exec_lo, s64
	s_and_saveexec_b32 s64, s20
	s_cbranch_execz .LBB23_388
.LBB23_1224:                            ;   in Loop: Header=BB23_3 Depth=1
	ds_load_b32 v23, v45 offset:4704
	ds_load_b32 v24, v39 offset:4168
	s_wait_dscnt 0x0
	v_fmac_f32_e32 v22, v23, v24
	s_or_b32 exec_lo, exec_lo, s64
	s_and_saveexec_b32 s64, s21
	s_cbranch_execz .LBB23_389
.LBB23_1225:                            ;   in Loop: Header=BB23_3 Depth=1
	ds_load_b32 v23, v45 offset:4960
	ds_load_b32 v24, v39 offset:4172
	s_wait_dscnt 0x0
	v_fmac_f32_e32 v22, v23, v24
	s_or_b32 exec_lo, exec_lo, s64
	s_and_saveexec_b32 s64, s22
	s_cbranch_execz .LBB23_390
.LBB23_1226:                            ;   in Loop: Header=BB23_3 Depth=1
	ds_load_b32 v23, v44 offset:5216
	ds_load_b32 v24, v39 offset:4176
	s_wait_dscnt 0x0
	v_fmac_f32_e32 v22, v23, v24
	s_or_b32 exec_lo, exec_lo, s64
	s_and_saveexec_b32 s64, s23
	s_cbranch_execz .LBB23_391
.LBB23_1227:                            ;   in Loop: Header=BB23_3 Depth=1
	ds_load_b32 v23, v45 offset:5472
	ds_load_b32 v24, v39 offset:4180
	s_wait_dscnt 0x0
	v_fmac_f32_e32 v22, v23, v24
	s_or_b32 exec_lo, exec_lo, s64
	s_and_saveexec_b32 s64, s2
	s_cbranch_execz .LBB23_392
.LBB23_1228:                            ;   in Loop: Header=BB23_3 Depth=1
	ds_load_b32 v23, v44 offset:5728
	ds_load_b32 v24, v39 offset:4184
	s_wait_dscnt 0x0
	v_fmac_f32_e32 v22, v23, v24
	s_or_b32 exec_lo, exec_lo, s64
	s_and_saveexec_b32 s64, s18
	s_cbranch_execnz .LBB23_393
	s_branch .LBB23_394
.LBB23_1229:                            ;   in Loop: Header=BB23_3 Depth=1
	ds_load_b32 v23, v36 offset:6512
	ds_load_b32 v24, v30 offset:6244
	s_wait_dscnt 0x0
	v_fmac_f32_e32 v22, v23, v24
	s_or_b32 exec_lo, exec_lo, s64
	s_and_saveexec_b32 s64, s18
	s_cbranch_execz .LBB23_450
.LBB23_1230:                            ;   in Loop: Header=BB23_3 Depth=1
	ds_load_b32 v23, v35 offset:6768
	ds_load_b32 v24, v30 offset:6248
	s_wait_dscnt 0x0
	v_fmac_f32_e32 v22, v23, v24
	s_or_b32 exec_lo, exec_lo, s64
	s_and_saveexec_b32 s64, s0
	s_cbranch_execnz .LBB23_451
	s_branch .LBB23_452
.LBB23_1231:                            ;   in Loop: Header=BB23_3 Depth=1
	ds_load_b32 v24, v63 offset:7552
	ds_load_b32 v25, v23 offset:116
	s_wait_dscnt 0x0
	v_fmac_f32_e32 v22, v24, v25
	s_or_b32 exec_lo, exec_lo, s64
	s_and_saveexec_b32 s64, s3
	s_cbranch_execz .LBB23_548
.LBB23_1232:                            ;   in Loop: Header=BB23_3 Depth=1
	ds_load_b32 v24, v63 offset:7808
	ds_load_b32 v23, v23 offset:120
	s_wait_dscnt 0x0
	v_fmac_f32_e32 v22, v24, v23
	s_or_b32 exec_lo, exec_lo, s64
	s_and_saveexec_b32 s64, s22
	s_cbranch_execnz .LBB23_549
	s_branch .LBB23_550
.LBB23_1233:                            ;   in Loop: Header=BB23_3 Depth=1
	ds_load_b32 v23, v36 offset:8592
	ds_load_b32 v24, v30 offset:8324
	s_wait_dscnt 0x0
	v_fmac_f32_e32 v22, v23, v24
	s_or_b32 exec_lo, exec_lo, s64
	s_and_saveexec_b32 s64, s18
	s_cbranch_execz .LBB23_702
.LBB23_1234:                            ;   in Loop: Header=BB23_3 Depth=1
	ds_load_b32 v23, v35 offset:8848
	ds_load_b32 v24, v30 offset:8328
	s_wait_dscnt 0x0
	v_fmac_f32_e32 v22, v23, v24
	s_or_b32 exec_lo, exec_lo, s64
	s_and_saveexec_b32 s64, s0
	s_cbranch_execnz .LBB23_703
	s_branch .LBB23_704
.LBB23_1235:                            ;   in Loop: Header=BB23_3 Depth=1
	ds_load_b32 v23, v45 offset:8608
	ds_load_b32 v24, v39 offset:8324
	s_wait_dscnt 0x0
	v_fmac_f32_e32 v22, v23, v24
	s_or_b32 exec_lo, exec_lo, s64
	s_and_saveexec_b32 s64, s20
	s_cbranch_execz .LBB23_744
.LBB23_1236:                            ;   in Loop: Header=BB23_3 Depth=1
	ds_load_b32 v23, v45 offset:8864
	ds_load_b32 v24, v39 offset:8328
	s_wait_dscnt 0x0
	v_fmac_f32_e32 v22, v23, v24
	s_or_b32 exec_lo, exec_lo, s64
	s_and_saveexec_b32 s64, s21
	s_cbranch_execz .LBB23_745
.LBB23_1237:                            ;   in Loop: Header=BB23_3 Depth=1
	ds_load_b32 v23, v45 offset:9120
	ds_load_b32 v24, v39 offset:8332
	s_wait_dscnt 0x0
	v_fmac_f32_e32 v22, v23, v24
	s_or_b32 exec_lo, exec_lo, s64
	s_and_saveexec_b32 s64, s22
	s_cbranch_execz .LBB23_746
.LBB23_1238:                            ;   in Loop: Header=BB23_3 Depth=1
	ds_load_b32 v23, v44 offset:9376
	ds_load_b32 v24, v39 offset:8336
	s_wait_dscnt 0x0
	v_fmac_f32_e32 v22, v23, v24
	s_or_b32 exec_lo, exec_lo, s64
	s_and_saveexec_b32 s64, s23
	s_cbranch_execz .LBB23_747
.LBB23_1239:                            ;   in Loop: Header=BB23_3 Depth=1
	ds_load_b32 v23, v45 offset:9632
	ds_load_b32 v24, v39 offset:8340
	s_wait_dscnt 0x0
	v_fmac_f32_e32 v22, v23, v24
	s_or_b32 exec_lo, exec_lo, s64
	s_and_saveexec_b32 s64, s2
	s_cbranch_execz .LBB23_748
.LBB23_1240:                            ;   in Loop: Header=BB23_3 Depth=1
	ds_load_b32 v23, v44 offset:9888
	ds_load_b32 v24, v39 offset:8344
	s_wait_dscnt 0x0
	v_fmac_f32_e32 v22, v23, v24
	s_or_b32 exec_lo, exec_lo, s64
	s_and_saveexec_b32 s64, s18
	s_cbranch_execnz .LBB23_749
	s_branch .LBB23_750
.LBB23_1241:                            ;   in Loop: Header=BB23_3 Depth=1
	ds_load_b32 v23, v36 offset:10672
	ds_load_b32 v24, v30 offset:10404
	s_wait_dscnt 0x0
	v_fmac_f32_e32 v22, v23, v24
	s_or_b32 exec_lo, exec_lo, s64
	s_and_saveexec_b32 s64, s18
	s_cbranch_execz .LBB23_806
.LBB23_1242:                            ;   in Loop: Header=BB23_3 Depth=1
	ds_load_b32 v23, v35 offset:10928
	ds_load_b32 v24, v30 offset:10408
	s_wait_dscnt 0x0
	v_fmac_f32_e32 v22, v23, v24
	s_or_b32 exec_lo, exec_lo, s64
	s_and_saveexec_b32 s64, s0
	s_cbranch_execnz .LBB23_807
	s_branch .LBB23_808
.LBB23_1243:                            ;   in Loop: Header=BB23_3 Depth=1
	ds_load_b32 v23, v58 offset:11200
	ds_load_b32 v24, v53 offset:8364
	s_wait_dscnt 0x0
	v_fmac_f32_e32 v22, v23, v24
	s_or_b32 exec_lo, exec_lo, s64
	s_and_saveexec_b32 s64, s3
	s_cbranch_execz .LBB23_868
.LBB23_1244:                            ;   in Loop: Header=BB23_3 Depth=1
	ds_load_b32 v23, v57 offset:11456
	ds_load_b32 v24, v53 offset:8368
	s_wait_dscnt 0x0
	v_fmac_f32_e32 v22, v23, v24
	s_or_b32 exec_lo, exec_lo, s64
	s_and_saveexec_b32 s64, s20
	s_cbranch_execz .LBB23_869
.LBB23_1245:                            ;   in Loop: Header=BB23_3 Depth=1
	ds_load_b32 v23, v58 offset:11712
	ds_load_b32 v24, v53 offset:8372
	s_wait_dscnt 0x0
	v_fmac_f32_e32 v22, v23, v24
	s_or_b32 exec_lo, exec_lo, s64
	s_and_saveexec_b32 s64, s22
	s_cbranch_execz .LBB23_870
.LBB23_1246:                            ;   in Loop: Header=BB23_3 Depth=1
	ds_load_b32 v23, v57 offset:11968
	ds_load_b32 v24, v53 offset:8376
	s_wait_dscnt 0x0
	v_fmac_f32_e32 v22, v23, v24
	s_or_b32 exec_lo, exec_lo, s64
	s_and_saveexec_b32 s64, s2
	s_cbranch_execnz .LBB23_871
	s_branch .LBB23_872
.LBB23_1247:                            ;   in Loop: Header=BB23_3 Depth=1
	ds_load_b32 v23, v36 offset:12752
	ds_load_b32 v24, v30 offset:12484
	s_wait_dscnt 0x0
	v_fmac_f32_e32 v22, v23, v24
	s_or_b32 exec_lo, exec_lo, s64
	s_and_saveexec_b32 s64, s18
	s_cbranch_execz .LBB23_960
.LBB23_1248:                            ;   in Loop: Header=BB23_3 Depth=1
	ds_load_b32 v23, v35 offset:13008
	ds_load_b32 v24, v30 offset:12488
	s_wait_dscnt 0x0
	v_fmac_f32_e32 v22, v23, v24
	s_or_b32 exec_lo, exec_lo, s64
	s_and_saveexec_b32 s64, s0
	s_cbranch_execnz .LBB23_961
	s_branch .LBB23_962
.LBB23_1249:                            ;   in Loop: Header=BB23_3 Depth=1
	ds_load_b32 v23, v45 offset:12768
	ds_load_b32 v24, v39 offset:12484
	s_wait_dscnt 0x0
	v_fmac_f32_e32 v22, v23, v24
	s_or_b32 exec_lo, exec_lo, s64
	s_and_saveexec_b32 s64, s20
	s_cbranch_execz .LBB23_1002
.LBB23_1250:                            ;   in Loop: Header=BB23_3 Depth=1
	ds_load_b32 v23, v45 offset:13024
	ds_load_b32 v24, v39 offset:12488
	s_wait_dscnt 0x0
	v_fmac_f32_e32 v22, v23, v24
	s_or_b32 exec_lo, exec_lo, s64
	s_and_saveexec_b32 s64, s21
	s_cbranch_execz .LBB23_1003
.LBB23_1251:                            ;   in Loop: Header=BB23_3 Depth=1
	ds_load_b32 v23, v45 offset:13280
	ds_load_b32 v24, v39 offset:12492
	s_wait_dscnt 0x0
	v_fmac_f32_e32 v22, v23, v24
	s_or_b32 exec_lo, exec_lo, s64
	s_and_saveexec_b32 s64, s22
	s_cbranch_execz .LBB23_1004
.LBB23_1252:                            ;   in Loop: Header=BB23_3 Depth=1
	ds_load_b32 v23, v44 offset:13536
	ds_load_b32 v24, v39 offset:12496
	s_wait_dscnt 0x0
	v_fmac_f32_e32 v22, v23, v24
	s_or_b32 exec_lo, exec_lo, s64
	s_and_saveexec_b32 s64, s23
	s_cbranch_execz .LBB23_1005
.LBB23_1253:                            ;   in Loop: Header=BB23_3 Depth=1
	ds_load_b32 v23, v45 offset:13792
	ds_load_b32 v24, v39 offset:12500
	s_wait_dscnt 0x0
	v_fmac_f32_e32 v22, v23, v24
	s_or_b32 exec_lo, exec_lo, s64
	s_and_saveexec_b32 s64, s2
	s_cbranch_execz .LBB23_1006
.LBB23_1254:                            ;   in Loop: Header=BB23_3 Depth=1
	ds_load_b32 v23, v44 offset:14048
	ds_load_b32 v24, v39 offset:12504
	s_wait_dscnt 0x0
	v_fmac_f32_e32 v22, v23, v24
	s_or_b32 exec_lo, exec_lo, s64
	s_and_saveexec_b32 s64, s18
	s_cbranch_execnz .LBB23_1007
	s_branch .LBB23_1008
.LBB23_1255:                            ;   in Loop: Header=BB23_3 Depth=1
	ds_load_b32 v23, v36 offset:14832
	ds_load_b32 v24, v30 offset:14564
	s_wait_dscnt 0x0
	v_fmac_f32_e32 v22, v23, v24
	s_or_b32 exec_lo, exec_lo, s64
	s_and_saveexec_b32 s64, s18
	s_cbranch_execz .LBB23_1064
.LBB23_1256:                            ;   in Loop: Header=BB23_3 Depth=1
	ds_load_b32 v23, v35 offset:15088
	ds_load_b32 v24, v30 offset:14568
	s_wait_dscnt 0x0
	v_fmac_f32_e32 v22, v23, v24
	s_or_b32 exec_lo, exec_lo, s64
	s_and_saveexec_b32 s64, s0
	s_cbranch_execnz .LBB23_1065
	s_branch .LBB23_1066
.LBB23_1257:
	s_endpgm
	.section	.rodata,"a",@progbits
	.p2align	6, 0x0
	.amdhsa_kernel _ZL19rocblas_trsv_deviceILi64ELi16ELb1ELb1ELb0ELb0EffPKfPfEviT7_lllT6_T8_lllPii
		.amdhsa_group_segment_fixed_size 20740
		.amdhsa_private_segment_fixed_size 0
		.amdhsa_kernarg_size 352
		.amdhsa_user_sgpr_count 2
		.amdhsa_user_sgpr_dispatch_ptr 0
		.amdhsa_user_sgpr_queue_ptr 0
		.amdhsa_user_sgpr_kernarg_segment_ptr 1
		.amdhsa_user_sgpr_dispatch_id 0
		.amdhsa_user_sgpr_kernarg_preload_length 0
		.amdhsa_user_sgpr_kernarg_preload_offset 0
		.amdhsa_user_sgpr_private_segment_size 0
		.amdhsa_wavefront_size32 1
		.amdhsa_uses_dynamic_stack 0
		.amdhsa_enable_private_segment 0
		.amdhsa_system_sgpr_workgroup_id_x 1
		.amdhsa_system_sgpr_workgroup_id_y 0
		.amdhsa_system_sgpr_workgroup_id_z 1
		.amdhsa_system_sgpr_workgroup_info 0
		.amdhsa_system_vgpr_workitem_id 1
		.amdhsa_next_free_vgpr 92
		.amdhsa_next_free_sgpr 105
		.amdhsa_named_barrier_count 0
		.amdhsa_reserve_vcc 1
		.amdhsa_float_round_mode_32 0
		.amdhsa_float_round_mode_16_64 0
		.amdhsa_float_denorm_mode_32 3
		.amdhsa_float_denorm_mode_16_64 3
		.amdhsa_fp16_overflow 0
		.amdhsa_memory_ordered 1
		.amdhsa_forward_progress 1
		.amdhsa_inst_pref_size 255
		.amdhsa_round_robin_scheduling 0
		.amdhsa_exception_fp_ieee_invalid_op 0
		.amdhsa_exception_fp_denorm_src 0
		.amdhsa_exception_fp_ieee_div_zero 0
		.amdhsa_exception_fp_ieee_overflow 0
		.amdhsa_exception_fp_ieee_underflow 0
		.amdhsa_exception_fp_ieee_inexact 0
		.amdhsa_exception_int_div_zero 0
	.end_amdhsa_kernel
	.section	.text._ZL19rocblas_trsv_deviceILi64ELi16ELb1ELb1ELb0ELb0EffPKfPfEviT7_lllT6_T8_lllPii,"axG",@progbits,_ZL19rocblas_trsv_deviceILi64ELi16ELb1ELb1ELb0ELb0EffPKfPfEviT7_lllT6_T8_lllPii,comdat
.Lfunc_end23:
	.size	_ZL19rocblas_trsv_deviceILi64ELi16ELb1ELb1ELb0ELb0EffPKfPfEviT7_lllT6_T8_lllPii, .Lfunc_end23-_ZL19rocblas_trsv_deviceILi64ELi16ELb1ELb1ELb0ELb0EffPKfPfEviT7_lllT6_T8_lllPii
                                        ; -- End function
	.set _ZL19rocblas_trsv_deviceILi64ELi16ELb1ELb1ELb0ELb0EffPKfPfEviT7_lllT6_T8_lllPii.num_vgpr, 92
	.set _ZL19rocblas_trsv_deviceILi64ELi16ELb1ELb1ELb0ELb0EffPKfPfEviT7_lllT6_T8_lllPii.num_agpr, 0
	.set _ZL19rocblas_trsv_deviceILi64ELi16ELb1ELb1ELb0ELb0EffPKfPfEviT7_lllT6_T8_lllPii.numbered_sgpr, 105
	.set _ZL19rocblas_trsv_deviceILi64ELi16ELb1ELb1ELb0ELb0EffPKfPfEviT7_lllT6_T8_lllPii.num_named_barrier, 0
	.set _ZL19rocblas_trsv_deviceILi64ELi16ELb1ELb1ELb0ELb0EffPKfPfEviT7_lllT6_T8_lllPii.private_seg_size, 0
	.set _ZL19rocblas_trsv_deviceILi64ELi16ELb1ELb1ELb0ELb0EffPKfPfEviT7_lllT6_T8_lllPii.uses_vcc, 1
	.set _ZL19rocblas_trsv_deviceILi64ELi16ELb1ELb1ELb0ELb0EffPKfPfEviT7_lllT6_T8_lllPii.uses_flat_scratch, 0
	.set _ZL19rocblas_trsv_deviceILi64ELi16ELb1ELb1ELb0ELb0EffPKfPfEviT7_lllT6_T8_lllPii.has_dyn_sized_stack, 0
	.set _ZL19rocblas_trsv_deviceILi64ELi16ELb1ELb1ELb0ELb0EffPKfPfEviT7_lllT6_T8_lllPii.has_recursion, 0
	.set _ZL19rocblas_trsv_deviceILi64ELi16ELb1ELb1ELb0ELb0EffPKfPfEviT7_lllT6_T8_lllPii.has_indirect_call, 0
	.section	.AMDGPU.csdata,"",@progbits
; Kernel info:
; codeLenInByte = 39956
; TotalNumSgprs: 107
; NumVgprs: 92
; ScratchSize: 0
; MemoryBound: 0
; FloatMode: 240
; IeeeMode: 1
; LDSByteSize: 20740 bytes/workgroup (compile time only)
; SGPRBlocks: 0
; VGPRBlocks: 5
; NumSGPRsForWavesPerEU: 107
; NumVGPRsForWavesPerEU: 92
; NamedBarCnt: 0
; Occupancy: 10
; WaveLimiterHint : 0
; COMPUTE_PGM_RSRC2:SCRATCH_EN: 0
; COMPUTE_PGM_RSRC2:USER_SGPR: 2
; COMPUTE_PGM_RSRC2:TRAP_HANDLER: 0
; COMPUTE_PGM_RSRC2:TGID_X_EN: 1
; COMPUTE_PGM_RSRC2:TGID_Y_EN: 0
; COMPUTE_PGM_RSRC2:TGID_Z_EN: 1
; COMPUTE_PGM_RSRC2:TIDIG_COMP_CNT: 1
	.section	.text._ZL19rocblas_trsv_deviceILi64ELi16ELb1ELb1ELb1ELb0EffPKfPfEviT7_lllT6_T8_lllPii,"axG",@progbits,_ZL19rocblas_trsv_deviceILi64ELi16ELb1ELb1ELb1ELb0EffPKfPfEviT7_lllT6_T8_lllPii,comdat
	.globl	_ZL19rocblas_trsv_deviceILi64ELi16ELb1ELb1ELb1ELb0EffPKfPfEviT7_lllT6_T8_lllPii ; -- Begin function _ZL19rocblas_trsv_deviceILi64ELi16ELb1ELb1ELb1ELb0EffPKfPfEviT7_lllT6_T8_lllPii
	.p2align	8
	.type	_ZL19rocblas_trsv_deviceILi64ELi16ELb1ELb1ELb1ELb0EffPKfPfEviT7_lllT6_T8_lllPii,@function
_ZL19rocblas_trsv_deviceILi64ELi16ELb1ELb1ELb1ELb0EffPKfPfEviT7_lllT6_T8_lllPii: ; @_ZL19rocblas_trsv_deviceILi64ELi16ELb1ELb1ELb1ELb0EffPKfPfEviT7_lllT6_T8_lllPii
; %bb.0:
	s_load_b32 s6, s[0:1], 0x58
	s_bfe_u32 s2, ttmp6, 0x40014
	s_lshr_b32 s3, ttmp7, 16
	s_add_co_i32 s2, s2, 1
	s_bfe_u32 s5, ttmp6, 0x40008
	s_mul_i32 s2, s3, s2
	s_getreg_b32 s4, hwreg(HW_REG_IB_STS2, 6, 4)
	s_add_co_i32 s5, s5, s2
	s_cmp_eq_u32 s4, 0
	s_mov_b32 s77, 0
	s_cselect_b32 s76, s3, s5
                                        ; implicit-def: $vgpr91 : SGPR spill to VGPR lane
	s_wait_kmcnt 0x0
	s_cmp_ge_u32 s76, s6
	v_writelane_b32 v91, s6, 0
	s_cbranch_scc1 .LBB24_1257
; %bb.1:
	s_clause 0x5
	s_load_b64 s[6:7], s[0:1], 0x50
	s_load_b256 s[60:67], s[0:1], 0x8
	s_load_b256 s[68:75], s[0:1], 0x30
	s_load_b32 s5, s[0:1], 0x6c
	s_load_b32 s89, s[0:1], 0x60
	;; [unrolled: 1-line block ×3, first 2 shown]
	s_bfe_u32 s2, ttmp6, 0x4000c
	s_wait_xcnt 0x0
	s_load_b32 s0, s[0:1], 0x28
	s_add_co_i32 s2, s2, 1
	s_and_b32 s3, ttmp6, 15
	s_mul_i32 s2, ttmp9, s2
	v_and_b32_e32 v2, 0x3ff, v0
	v_mov_b32_e32 v5, 0
	v_bfe_u32 v26, v0, 10, 10
                                        ; implicit-def: $vgpr90 : SGPR spill to VGPR lane
                                        ; implicit-def: $vgpr89 : SGPR spill to VGPR lane
                                        ; implicit-def: $vgpr88 : SGPR spill to VGPR lane
                                        ; implicit-def: $vgpr79
                                        ; implicit-def: $vgpr80
                                        ; implicit-def: $vgpr81
	v_dual_lshrrev_b32 v15, 10, v0 :: v_dual_bitop2_b32 v16, 1, v0 bitop3:0x40
	s_delay_alu instid0(VALU_DEP_3) | instskip(NEXT) | instid1(VALU_DEP_3)
	v_dual_lshlrev_b32 v1, 6, v2 :: v_dual_mov_b32 v3, v5
	v_lshl_add_u32 v20, v26, 6, v2
	s_delay_alu instid0(VALU_DEP_3) | instskip(NEXT) | instid1(VALU_DEP_3)
	v_bitop3_b32 v21, v0, v15, 0x3ff bitop3:0xa8
	v_dual_add_nc_u32 v78, 48, v26 :: v_dual_add_nc_u32 v10, v26, v1
	v_mul_i32_i24_e32 v76, 0xffffff04, v2
	s_delay_alu instid0(VALU_DEP_4)
	v_cmp_gt_u32_e64 s59, 0xf0, v20
	s_wait_kmcnt 0x0
	v_writelane_b32 v91, s6, 1
	v_lshl_add_u32 v17, v78, 6, v2
	v_mul_u32_u24_e32 v24, 0xfc, v2
	v_mul_lo_u32 v76, v76, 6
	v_lshl_add_u32 v67, v20, 2, 0x4000
	v_writelane_b32 v91, s7, 2
	s_add_co_i32 s6, s3, s2
	s_lshl_b64 s[2:3], s[70:71], 2
	v_cmp_gt_u32_e64 s19, 56, v20
	v_cmp_gt_u32_e64 s20, 48, v20
	v_writelane_b32 v91, s0, 3
	s_lshl_b64 s[0:1], s[62:63], 2
	s_cmp_eq_u32 s4, 0
	s_add_nc_u64 s[0:1], s[60:61], s[0:1]
	s_cselect_b32 s88, ttmp9, s6
	s_and_b32 s4, s5, 0xffff
	s_add_co_i32 s5, s78, -1
	s_ashr_i32 s79, s78, 31
	s_ashr_i32 s6, s5, 31
	s_lshr_b32 s7, s79, 26
	s_lshr_b32 s6, s6, 26
	s_add_co_i32 s7, s78, s7
	s_add_co_i32 s89, s89, -1
	s_add_co_i32 s5, s5, s6
	s_and_not1_b32 s7, s7, 63
	s_sub_co_i32 s16, s89, s88
	s_ashr_i32 s5, s5, 6
	s_sub_co_i32 s15, s78, s7
	s_cmp_eq_u32 s5, s16
	v_mad_u32_u24 v4, v26, s4, v2
	s_cselect_b32 s5, -1, 0
	s_cmp_lg_u32 s15, 0
	v_mad_u32 v24, v24, 7, v76
	s_cselect_b32 s6, -1, 0
	v_mul_u32_u24_e32 v76, 0xf8, v2
	s_and_b32 s17, s6, s5
	s_add_nc_u64 s[6:7], s[64:65], 1
	s_xor_b32 s90, s17, -1
	s_cmp_lg_u32 s88, 0
	v_lshl_add_u32 v65, v4, 2, 0x5000
	s_cselect_b32 s5, -1, 0
	s_lshl_b32 s10, s16, 6
	s_cmp_lt_i32 s88, 5
	v_writelane_b32 v91, s5, 4
	s_cselect_b32 vcc_lo, -1, 0
	v_mad_nc_u64_u32 v[18:19], s6, s10, v[2:3]
	v_dual_cndmask_b32 v25, v20, v10 :: v_dual_lshrrev_b32 v10, 1, v20
	s_or_b32 vcc_lo, vcc_lo, s17
	v_add_nc_u32_e32 v22, 16, v26
	v_add_nc_u32_e32 v12, s10, v2
	v_writelane_b32 v91, s0, 5
	s_ashr_i32 s11, s10, 31
	v_mul_u32_u24_e32 v28, 0x104, v10
	v_dual_add_nc_u32 v3, v22, v1 :: v_dual_add_nc_u32 v14, s10, v26
	v_ashrrev_i32_e32 v13, 31, v12
	v_writelane_b32 v91, s1, 6
	s_add_nc_u64 s[0:1], s[68:69], s[2:3]
	v_lshl_add_u32 v11, v22, 6, v2
	v_add_nc_u32_e32 v6, 64, v14
	v_cmp_eq_u32_e64 s2, 1, v16
	v_writelane_b32 v91, s0, 7
	s_delay_alu instid0(VALU_DEP_4) | instskip(NEXT) | instid1(VALU_DEP_4)
	v_dual_lshlrev_b32 v29, 2, v2 :: v_dual_cndmask_b32 v23, v11, v3, vcc_lo
	v_dual_ashrrev_i32 v7, 31, v6 :: v_dual_lshlrev_b32 v11, 2, v16
	v_writelane_b32 v91, s1, 8
	s_mul_i32 s0, s6, s11
	s_mul_i32 s1, s7, s10
	v_lshl_add_u32 v3, v10, 2, 0x4000
	v_add3_u32 v19, s0, s1, v19
	v_cmp_gt_u32_e64 s0, 4, v20
	s_xor_b32 s1, s2, -1
	v_lshl_or_b32 v27, v10, 8, v11
	v_dual_lshrrev_b32 v10, 2, v20 :: v_dual_bitop2_b32 v15, -4, v20 bitop3:0x40
	s_and_b32 s93, s1, s0
	v_cmp_eq_u32_e64 s1, 0, v26
	v_cmp_gt_u32_e64 s3, 2, v2
	v_dual_lshlrev_b32 v31, 8, v2 :: v_dual_bitop2_b32 v11, 3, v0 bitop3:0x40
	s_and_b32 s94, s2, s0
	v_mul_u32_u24_e32 v30, 0x104, v10
	s_and_b32 s95, s1, s3
	v_cmp_gt_u32_e64 s2, 16, v20
	v_cmp_eq_u32_e64 s3, 0, v11
	v_cmp_ne_u32_e64 s4, 0, v11
	v_lshlrev_b32_e32 v32, 2, v11
	v_sub_nc_u32_e32 v16, v30, v15
	v_cmp_eq_u32_e64 s5, 1, v11
	v_cmp_lt_u32_e64 s6, 1, v11
	v_cmp_eq_u32_e64 s7, 2, v11
	s_and_b32 s96, s3, s2
	s_and_b32 s97, s4, s2
	v_cmp_eq_u32_e64 s3, 3, v11
	v_cmp_gt_u32_e64 s4, 4, v2
	v_and_b32_e32 v11, 7, v0
	s_and_b32 s98, s5, s2
	v_lshl_or_b32 v35, v10, 8, v32
	s_and_b32 s101, s3, s2
	s_and_b32 s102, s1, s4
	v_cmp_gt_u32_e64 s3, 64, v20
	v_cmp_eq_u32_e64 s4, 0, v11
	v_cmp_ne_u32_e64 s5, 0, v11
	s_and_b32 s99, s6, s2
	v_lshrrev_b32_e32 v10, 3, v20
	v_cmp_eq_u32_e64 s6, 1, v11
	s_and_b32 s103, s4, s3
	s_and_b32 s104, s5, s3
	v_cmp_eq_u32_e64 s4, 2, v11
	v_cmp_lt_u32_e64 s5, 2, v11
	v_add_nc_u32_e32 v34, 0x4000, v15
	v_dual_add_nc_u32 v36, v16, v32 :: v_dual_lshlrev_b32 v15, 2, v10
	s_and_b32 s37, s4, s3
	v_cmp_lt_u32_e64 s4, 3, v11
	s_and_b32 s38, s5, s3
	v_cmp_eq_u32_e64 s5, 4, v11
	v_mul_u32_u24_e32 v39, 0x104, v10
	s_and_b32 vcc_hi, s6, s3
	v_cmp_eq_u32_e64 s6, 3, v11
	s_and_b32 s40, s4, s3
	v_cmp_lt_u32_e64 s4, 4, v11
	s_and_b32 s41, s5, s3
	v_cmp_lt_u32_e64 s5, 5, v11
	s_and_b32 s100, s7, s2
	v_lshlrev_b32_e32 v41, 2, v11
	v_sub_nc_u32_e32 v16, v39, v15
	v_cmp_lt_u32_e64 s7, 1, v11
	s_and_b32 s39, s6, s3
	v_cmp_eq_u32_e64 s6, 5, v11
	s_and_b32 s42, s4, s3
	v_cmp_eq_u32_e64 s4, 6, v11
	;; [unrolled: 2-line block ×3, first 2 shown]
	v_and_b32_e32 v11, 15, v0
	s_and_b32 s43, s6, s3
	s_and_b32 s45, s4, s3
	v_cmp_gt_u32_e64 s4, 0x100, v20
	s_and_b32 s46, s5, s3
	v_cmp_eq_u32_e64 s5, 0, v11
	v_cmp_gt_u32_e64 s6, 8, v2
	s_and_b32 s36, s7, s3
	v_cmp_eq_u32_e64 s7, 1, v11
	v_lshl_or_b32 v44, v10, 8, v41
	s_and_b32 s48, s5, s4
	v_cmp_lt_u32_e64 s5, 1, v11
	s_and_b32 s47, s1, s6
	v_cmp_ne_u32_e64 s6, 0, v11
	s_and_b32 s50, s7, s4
	v_cmp_lt_u32_e64 s7, 2, v11
	s_and_b32 s51, s5, s4
	v_cmp_lt_u32_e64 s5, 3, v11
	s_and_b32 s49, s6, s4
	v_cmp_eq_u32_e64 s6, 2, v11
	s_and_b32 s53, s7, s4
	v_cmp_eq_u32_e64 s7, 5, v11
	s_and_b32 s55, s5, s4
	v_cmp_lt_u32_e64 s5, 4, v11
	s_and_b32 s52, s6, s4
	v_cmp_eq_u32_e64 s6, 4, v11
	s_and_b32 s58, s7, s4
	v_cmp_lt_u32_e64 s7, 7, v11
	s_and_b32 s57, s5, s4
	v_cmp_lt_u32_e64 s5, 6, v11
	s_and_b32 s56, s6, s4
	v_cmp_eq_u32_e64 s6, 6, v11
	v_lshrrev_b32_e32 v10, 4, v20
	s_and_b32 s13, s7, s4
	s_and_b32 s63, s5, s4
	v_cmp_lt_u32_e64 s5, 8, v11
	s_and_b32 s62, s6, s4
	v_cmp_eq_u32_e64 s6, 7, v11
	v_cmp_eq_u32_e64 s7, 10, v11
	v_add_nc_u32_e32 v43, 0x4000, v15
	s_and_b32 s87, s5, s4
	v_cmp_lt_u32_e64 s5, 9, v11
	s_and_b32 s12, s6, s4
	v_cmp_eq_u32_e64 s6, 9, v11
	v_dual_add_nc_u32 v45, v16, v41 :: v_dual_lshlrev_b32 v15, 2, v10
	s_and_b32 s26, s5, s4
	v_cmp_lt_u32_e64 s5, 11, v11
	v_mul_u32_u24_e32 v53, 0x104, v10
	v_cmp_eq_u32_e64 s8, 3, v11
	s_and_b32 s24, s6, s4
	v_cmp_eq_u32_e64 s6, 11, v11
	s_and_b32 s28, s7, s4
	v_cmp_lt_u32_e64 s7, 12, v11
	s_and_b32 s35, s5, s4
	v_cmp_lt_u32_e64 s5, 13, v11
	v_add_nc_u32_e32 v56, 0x4000, v15
	v_dual_sub_nc_u32 v15, v53, v15 :: v_dual_bitop2_b32 v0, 31, v0 bitop3:0x40
	s_and_b32 s54, s8, s4
	v_cmp_lt_u32_e64 s8, 5, v11
	s_and_b32 s33, s6, s4
	v_cmp_eq_u32_e64 s6, 12, v11
	s_and_b32 s27, s7, s4
	s_and_b32 s31, s5, s4
	v_cmp_eq_u32_e64 s5, 15, v11
	v_cmp_gt_u32_e64 s7, 16, v2
	v_lshlrev_b32_e32 v55, 2, v11
	s_and_b32 s61, s8, s4
	v_cmp_eq_u32_e64 s8, 8, v11
	s_and_b32 s25, s6, s4
	v_cmp_eq_u32_e64 s6, 14, v11
	s_and_b32 s91, s5, s4
	s_and_b32 s86, s1, s7
	v_cmp_gt_u32_e64 s5, 0x400, v20
	v_cmp_eq_u32_e64 s7, 0, v0
	v_lshl_or_b32 v57, v10, 8, v55
	s_and_b32 s14, s8, s4
	v_cmp_lt_u32_e64 s8, 10, v11
	v_lshrrev_b32_e32 v10, 5, v20
	s_and_b32 s34, s6, s4
	v_cmp_ne_u32_e64 s6, 0, v0
	s_and_b32 s7, s7, s5
	s_and_b32 s30, s8, s4
	v_writelane_b32 v91, s7, 9
	v_cmp_eq_u32_e64 s8, 13, v11
	v_dual_lshlrev_b32 v60, 8, v10 :: v_dual_lshlrev_b32 v61, 2, v0
	v_add_nc_u32_e32 v77, 32, v26
	v_cmp_eq_u32_e64 s7, 1, v0
	s_and_b32 s6, s6, s5
	v_dual_add_nc_u32 v58, v15, v55 :: v_dual_lshlrev_b32 v59, 2, v10
	v_writelane_b32 v91, s6, 10
	s_and_b32 s29, s8, s4
	v_or_b32_e32 v63, v60, v61
	v_add_nc_u32_e32 v15, v77, v1
	v_lshl_add_u32 v16, v77, 6, v2
	v_dual_add_nc_u32 v1, v78, v1 :: v_dual_lshlrev_b32 v75, 2, v26
	v_cmp_lt_u32_e64 s8, 1, v0
	s_and_b32 s6, s7, s5
	s_xor_b32 s92, vcc_lo, -1
	v_writelane_b32 v91, s6, 11
	v_dual_cndmask_b32 v73, v16, v15 :: v_dual_cndmask_b32 v74, v17, v1
	v_cmp_eq_u32_e32 vcc_lo, 2, v0
	s_and_b32 s6, s8, s5
	v_cmp_lt_u32_e64 s9, 2, v0
	v_writelane_b32 v91, s6, 12
	v_add_nc_u64_e32 v[10:11], s[10:11], v[4:5]
	s_and_b32 s6, vcc_lo, s5
	v_cmp_eq_u32_e32 vcc_lo, 3, v0
	v_cmp_gt_i32_e64 s7, s78, v6
	v_writelane_b32 v91, s6, 13
	s_and_b32 s6, s9, s5
	v_mul_u64_e32 v[8:9], s[64:65], v[12:13]
	v_add_nc_u32_e32 v15, 0x60, v14
	v_add_nc_u32_e32 v71, 0x70, v14
	v_writelane_b32 v91, s6, 14
	s_and_b32 s6, vcc_lo, s5
	v_cmp_lt_u32_e32 vcc_lo, 3, v0
	v_cmp_le_i32_e64 s10, s15, v78
	v_cmp_ne_u32_e64 s18, v2, v78
	v_writelane_b32 v91, s6, 15
	v_mad_u32_u24 v33, 0xfc, v2, v29
	s_and_b32 s6, vcc_lo, s5
	v_cmp_eq_u32_e32 vcc_lo, 4, v0
	v_mul_u64_e32 v[10:11], s[72:73], v[10:11]
	v_writelane_b32 v91, s6, 16
	v_mad_i32_i24 v37, 0xffffff04, v2, v33
	v_mad_nc_u64_u32 v[16:17], s64, v77, v[18:19]
	s_and_b32 s6, vcc_lo, s5
	v_cmp_lt_u32_e32 vcc_lo, 4, v0
	v_writelane_b32 v91, s6, 17
	v_mad_u32_u24 v38, 0xfc, v2, v37
	v_or_b32_e32 v66, 0x5000, v75
	v_lshlrev_b32_e32 v72, 2, v23
	s_and_b32 s6, vcc_lo, s5
	v_cmp_eq_u32_e32 vcc_lo, 5, v0
	v_writelane_b32 v91, s6, 18
	v_mad_i32_i24 v40, 0xffffff04, v2, v38
	v_dual_add_nc_u32 v70, v66, v29 :: v_dual_bitop2_b32 v23, v77, v2 bitop3:0x54
	v_lshlrev_b32_e32 v73, 2, v73
	s_and_b32 s6, vcc_lo, s5
	v_cmp_lt_u32_e32 vcc_lo, 5, v0
	v_writelane_b32 v91, s6, 19
	v_mad_u32_u24 v42, 0xfc, v2, v40
	v_mad_u32 v17, s65, v77, v17
	v_mad_i32_i24 v64, 0xffffff04, v2, v31
	s_and_b32 s6, vcc_lo, s5
	v_cmp_eq_u32_e32 vcc_lo, 6, v0
	v_writelane_b32 v91, s6, 20
	v_mad_i32_i24 v46, 0xffffff04, v2, v42
	v_dual_add_nc_u32 v75, v31, v75 :: v_dual_bitop2_b32 v82, v78, v2 bitop3:0x54
	s_and_b32 s6, vcc_lo, s5
	v_cmp_lt_u32_e32 vcc_lo, 6, v0
	v_writelane_b32 v91, s6, 21
	v_mad_u32_u24 v47, 0xfc, v2, v46
	v_dual_lshlrev_b32 v74, 2, v74 :: v_dual_sub_nc_u32 v24, v24, v76
	s_and_b32 s6, vcc_lo, s5
	v_cmp_eq_u32_e32 vcc_lo, 7, v0
	v_writelane_b32 v91, s6, 22
	v_mad_i32_i24 v48, 0xffffff04, v2, v47
	v_add_nc_u32_e32 v62, 0x4000, v59
	v_add_nc_u32_e32 v68, 0x4000, v29
	s_and_b32 s6, vcc_lo, s5
	v_cmp_lt_u32_e32 vcc_lo, 7, v0
	v_writelane_b32 v91, s6, 23
	v_mad_u32_u24 v49, 0xfc, v2, v48
	v_lshl_add_u32 v69, v26, 8, v64
	v_add_nc_u32_e32 v76, 0x3c00, v24
	s_and_b32 s6, vcc_lo, s5
	v_cmp_eq_u32_e32 vcc_lo, 8, v0
	v_writelane_b32 v91, s6, 24
	v_mad_i32_i24 v50, 0xffffff04, v2, v49
	v_cmp_gt_u32_e64 s21, 40, v20
	v_cmp_gt_u32_e64 s22, 32, v20
	s_and_b32 s6, vcc_lo, s5
	v_cmp_lt_u32_e32 vcc_lo, 8, v0
	v_writelane_b32 v91, s6, 25
	v_mad_u32_u24 v51, 0xfc, v2, v50
	v_cmp_gt_u32_e64 s23, 24, v20
	v_cmp_gt_u32_e64 s60, 64, v4
	s_and_b32 s6, vcc_lo, s5
	v_cmp_eq_u32_e32 vcc_lo, 9, v0
	v_writelane_b32 v91, s6, 26
	v_mad_i32_i24 v52, 0xffffff04, v2, v51
	s_and_b32 s6, vcc_lo, s5
	v_cmp_lt_u32_e32 vcc_lo, 9, v0
	v_writelane_b32 v91, s6, 27
	s_delay_alu instid0(VALU_DEP_3)
	v_mad_u32_u24 v54, 0xfc, v2, v52
	s_and_b32 s6, vcc_lo, s5
	v_cmp_eq_u32_e32 vcc_lo, 10, v0
	v_writelane_b32 v91, s6, 28
	s_and_b32 s6, vcc_lo, s5
	v_cmp_lt_u32_e32 vcc_lo, 10, v0
	v_writelane_b32 v91, s6, 29
	s_and_b32 s6, vcc_lo, s5
	v_cmp_eq_u32_e32 vcc_lo, 11, v0
	v_writelane_b32 v91, s6, 30
	s_and_b32 s6, vcc_lo, s5
	v_cmp_lt_u32_e32 vcc_lo, 11, v0
	v_writelane_b32 v91, s6, 31
	;; [unrolled: 6-line block ×20, first 2 shown]
	s_and_b32 s6, vcc_lo, s5
	v_cmp_eq_u32_e32 vcc_lo, 30, v0
	v_writelane_b32 v89, s6, 4
	s_and_b32 s6, vcc_lo, s5
	v_cmp_eq_u32_e32 vcc_lo, 31, v0
	v_writelane_b32 v89, s6, 5
	v_mul_u64_e32 v[0:1], s[72:73], v[12:13]
	v_add_nc_u32_e32 v13, 0x50, v14
	s_and_b32 s11, vcc_lo, s5
	v_cmp_gt_u32_e32 vcc_lo, 32, v2
	s_and_b32 s6, s1, vcc_lo
	v_cmp_le_i32_e32 vcc_lo, s15, v2
	v_writelane_b32 v89, s6, 6
	s_and_b32 s6, vcc_lo, s17
	v_cmp_ne_u32_e64 s17, v2, v77
	v_writelane_b32 v89, s6, 7
	s_xor_b32 s6, s6, -1
	s_delay_alu instid0(SALU_CYCLE_1)
	s_and_b32 s70, s1, s6
	v_cmp_gt_i32_e64 s6, s15, v2
	s_cmp_gt_i32 s88, 0
	s_cselect_b32 s71, -1, 0
	s_add_co_i32 s68, s16, 1
	s_and_b32 s6, s1, s6
	s_delay_alu instid0(SALU_CYCLE_1) | instskip(SKIP_2) | instid1(SALU_CYCLE_1)
	v_writelane_b32 v89, s6, 8
	v_cmp_gt_i32_e64 s6, s78, v12
	s_and_b32 s7, s7, s6
	v_writelane_b32 v89, s7, 9
	v_cmp_gt_i32_e64 s7, s78, v13
	v_mad_nc_u64_u32 v[12:13], s64, v26, v[18:19]
	s_and_b32 s7, s7, s6
	s_delay_alu instid0(SALU_CYCLE_1)
	v_writelane_b32 v89, s7, 10
	v_cmp_gt_i32_e64 s7, s78, v15
	v_mad_nc_u64_u32 v[14:15], s64, v22, v[18:19]
	v_mad_nc_u64_u32 v[18:19], s64, v78, v[18:19]
	v_cmp_gt_u32_e64 s64, 64, v21
	v_mad_u32 v13, s65, v26, v13
	s_and_b32 s7, s7, s6
	s_delay_alu instid0(SALU_CYCLE_1)
	v_writelane_b32 v89, s7, 11
	v_cmp_gt_i32_e64 s7, s78, v71
	v_dual_lshlrev_b32 v71, 2, v25 :: v_dual_bitop2_b32 v25, v22, v2 bitop3:0x54
	v_mad_u32 v15, s65, v22, v15
	s_and_b32 s7, s7, s6
	v_mad_u32 v19, s65, v78, v19
	v_writelane_b32 v89, s7, 12
	v_cmp_le_i32_e64 s7, s15, v26
	s_or_b32 s8, s7, vcc_lo
	v_cmp_le_u32_e64 s7, v2, v26
	s_or_b32 s8, s8, s7
	s_delay_alu instid0(SALU_CYCLE_1) | instskip(SKIP_4) | instid1(SALU_CYCLE_1)
	v_writelane_b32 v89, s8, 13
	v_cmp_le_i32_e64 s8, s15, v22
	s_or_b32 s9, s8, vcc_lo
	v_cmp_le_u32_e64 s8, v2, v22
	s_or_b32 s9, s9, s8
	v_writelane_b32 v89, s9, 14
	v_cmp_le_i32_e64 s9, s15, v77
	s_or_b32 s16, s9, vcc_lo
	v_cmp_le_u32_e64 s9, v2, v77
	v_subrev_nc_u32_e32 v77, 63, v2
	s_or_b32 s15, s16, s9
	v_cmp_ne_u32_e64 s16, v2, v22
	v_writelane_b32 v89, s15, 15
	s_or_b32 s15, s10, vcc_lo
	v_cmp_le_u32_e64 s10, v2, v78
                                        ; implicit-def: $vgpr78
	s_or_b32 s15, s15, s10
	s_delay_alu instid0(SALU_CYCLE_1) | instskip(SKIP_1) | instid1(VALU_DEP_1)
	v_writelane_b32 v89, s15, 16
	v_cmp_ne_u32_e64 s15, v2, v26
	v_writelane_b32 v89, s15, 17
	s_or_b32 s15, vcc_lo, s15
	s_delay_alu instid0(SALU_CYCLE_1)
	v_writelane_b32 v89, s15, 18
	s_or_b32 s15, vcc_lo, s16
	v_writelane_b32 v89, s16, 19
	v_cmp_gt_u32_e64 s16, 2, v20
	v_writelane_b32 v89, s15, 20
	s_or_b32 s15, vcc_lo, s17
	v_writelane_b32 v89, s17, 21
	v_cmp_gt_u32_e64 s17, 12, v20
	;; [unrolled: 4-line block ×3, first 2 shown]
	v_writelane_b32 v89, s15, 24
	v_cmp_eq_u32_e64 s15, 0, v21
	v_writelane_b32 v89, s59, 25
	v_cmp_gt_u32_e64 s59, 0xe0, v20
	s_delay_alu instid0(VALU_DEP_1) | instskip(SKIP_1) | instid1(VALU_DEP_1)
	v_writelane_b32 v89, s59, 26
	v_cmp_gt_u32_e64 s59, 0xd0, v20
	v_writelane_b32 v89, s59, 27
	v_cmp_gt_u32_e64 s59, 0xc0, v20
	s_delay_alu instid0(VALU_DEP_1) | instskip(SKIP_1) | instid1(VALU_DEP_1)
	v_writelane_b32 v89, s59, 28
	v_cmp_gt_u32_e64 s59, 0xb0, v20
	;; [unrolled: 5-line block ×16, first 2 shown]
	v_writelane_b32 v88, s59, 25
	v_cmp_gt_u32_e64 s59, 0x120, v20
	s_delay_alu instid0(VALU_DEP_1) | instskip(SKIP_3) | instid1(VALU_DEP_1)
	v_writelane_b32 v88, s59, 26
	v_cmp_eq_u32_e64 s59, 0, v4
	v_writelane_b32 v88, s64, 27
	v_cmp_gt_u32_e64 s64, 64, v25
	v_writelane_b32 v88, s64, 28
	v_cmp_gt_u32_e64 s64, 64, v23
	s_delay_alu instid0(VALU_DEP_1) | instskip(SKIP_1) | instid1(VALU_DEP_1)
	v_writelane_b32 v88, s64, 29
	v_cmp_gt_u32_e64 s64, 64, v82
	v_writelane_b32 v88, s64, 30
	s_branch .LBB24_3
.LBB24_2:                               ;   in Loop: Header=BB24_3 Depth=1
	s_wait_xcnt 0x0
	s_or_b32 exec_lo, exec_lo, s64
	v_readlane_b32 s64, v91, 0
	s_add_co_i32 s76, s76, 0x10000
	global_wb scope:SCOPE_DEV
	s_wait_storecnt 0x0
	global_inv scope:SCOPE_DEV
	s_cmp_lt_u32 s76, s64
	s_cbranch_scc0 .LBB24_1257
.LBB24_3:                               ; =>This Loop Header: Depth=1
                                        ;     Child Loop BB24_1110 Depth 2
                                        ;       Child Loop BB24_1112 Depth 3
                                        ;     Child Loop BB24_1147 Depth 2
	v_readlane_b32 s80, v91, 5
	v_readlane_b32 s81, v91, 6
	s_mul_u64 s[64:65], s[66:67], s[76:77]
	s_delay_alu instid0(SALU_CYCLE_1) | instskip(NEXT) | instid1(SALU_CYCLE_1)
	s_lshl_b64 s[64:65], s[64:65], 2
	s_add_nc_u64 s[82:83], s[80:81], s[64:65]
	v_readlane_b32 s64, v91, 4
	v_lshl_add_u64 v[20:21], v[8:9], 2, s[82:83]
	s_and_not1_b32 vcc_lo, exec_lo, s64
	s_cbranch_vccnz .LBB24_13
; %bb.4:                                ;   in Loop: Header=BB24_3 Depth=1
	s_delay_alu instid0(VALU_DEP_1)
	v_lshl_add_u64 v[22:23], v[6:7], 2, v[20:21]
	v_dual_mov_b32 v79, 0 :: v_dual_mov_b32 v78, 0
	s_barrier_signal -1
	s_barrier_wait -1
	s_mov_b32 s64, exec_lo
	v_readlane_b32 s65, v89, 9
	s_and_b32 s65, s64, s65
	s_delay_alu instid0(SALU_CYCLE_1)
	s_mov_b32 exec_lo, s65
	s_cbranch_execz .LBB24_6
; %bb.5:                                ;   in Loop: Header=BB24_3 Depth=1
	global_load_b32 v78, v[22:23], off
.LBB24_6:                               ;   in Loop: Header=BB24_3 Depth=1
	s_wait_xcnt 0x0
	s_or_b32 exec_lo, exec_lo, s64
	s_wait_loadcnt 0x0
	s_barrier_signal -1
	s_barrier_wait -1
	s_mov_b32 s64, exec_lo
	v_readlane_b32 s65, v89, 10
	s_and_b32 s65, s64, s65
	s_delay_alu instid0(SALU_CYCLE_1)
	s_mov_b32 exec_lo, s65
	s_cbranch_execz .LBB24_8
; %bb.7:                                ;   in Loop: Header=BB24_3 Depth=1
	global_load_b32 v79, v[22:23], off offset:64
.LBB24_8:                               ;   in Loop: Header=BB24_3 Depth=1
	s_wait_xcnt 0x0
	s_or_b32 exec_lo, exec_lo, s64
	v_dual_mov_b32 v81, 0 :: v_dual_mov_b32 v80, 0
	s_wait_loadcnt 0x0
	s_barrier_signal -1
	s_barrier_wait -1
	s_mov_b32 s64, exec_lo
	v_readlane_b32 s65, v89, 11
	s_and_b32 s65, s64, s65
	s_delay_alu instid0(SALU_CYCLE_1)
	s_mov_b32 exec_lo, s65
	s_cbranch_execz .LBB24_10
; %bb.9:                                ;   in Loop: Header=BB24_3 Depth=1
	global_load_b32 v80, v[22:23], off offset:128
.LBB24_10:                              ;   in Loop: Header=BB24_3 Depth=1
	s_wait_xcnt 0x0
	s_or_b32 exec_lo, exec_lo, s64
	s_wait_loadcnt 0x0
	s_barrier_signal -1
	s_barrier_wait -1
	s_mov_b32 s64, exec_lo
	v_readlane_b32 s65, v89, 12
	s_and_b32 s65, s64, s65
	s_delay_alu instid0(SALU_CYCLE_1)
	s_mov_b32 exec_lo, s65
	s_cbranch_execz .LBB24_12
; %bb.11:                               ;   in Loop: Header=BB24_3 Depth=1
	global_load_b32 v81, v[22:23], off offset:192
.LBB24_12:                              ;   in Loop: Header=BB24_3 Depth=1
	s_wait_xcnt 0x0
	s_or_b32 exec_lo, exec_lo, s64
.LBB24_13:                              ;   in Loop: Header=BB24_3 Depth=1
	s_delay_alu instid0(SALU_CYCLE_1)
	s_and_not1_b32 vcc_lo, exec_lo, s90
	s_mov_b32 s64, -1
	s_cbranch_vccnz .LBB24_24
; %bb.14:                               ;   in Loop: Header=BB24_3 Depth=1
	s_and_saveexec_b32 s64, s7
	s_delay_alu instid0(SALU_CYCLE_1)
	s_xor_b32 s69, exec_lo, s64
	s_cbranch_execnz .LBB24_1169
; %bb.15:                               ;   in Loop: Header=BB24_3 Depth=1
	s_and_not1_saveexec_b32 s64, s69
	s_cbranch_execnz .LBB24_1176
.LBB24_16:                              ;   in Loop: Header=BB24_3 Depth=1
	s_or_b32 exec_lo, exec_lo, s64
	s_and_saveexec_b32 s64, s8
	s_delay_alu instid0(SALU_CYCLE_1)
	s_xor_b32 s69, exec_lo, s64
	s_cbranch_execnz .LBB24_1177
.LBB24_17:                              ;   in Loop: Header=BB24_3 Depth=1
	s_and_not1_saveexec_b32 s64, s69
	s_cbranch_execnz .LBB24_1184
.LBB24_18:                              ;   in Loop: Header=BB24_3 Depth=1
	s_or_b32 exec_lo, exec_lo, s64
	s_and_saveexec_b32 s64, s9
	s_delay_alu instid0(SALU_CYCLE_1)
	s_xor_b32 s69, exec_lo, s64
	s_cbranch_execnz .LBB24_1185
.LBB24_19:                              ;   in Loop: Header=BB24_3 Depth=1
	s_and_not1_saveexec_b32 s64, s69
	s_cbranch_execnz .LBB24_1192
.LBB24_20:                              ;   in Loop: Header=BB24_3 Depth=1
	s_or_b32 exec_lo, exec_lo, s64
	s_and_saveexec_b32 s64, s10
	s_delay_alu instid0(SALU_CYCLE_1)
	s_xor_b32 s69, exec_lo, s64
	s_cbranch_execnz .LBB24_1193
.LBB24_21:                              ;   in Loop: Header=BB24_3 Depth=1
	s_and_not1_saveexec_b32 s64, s69
	s_cbranch_execz .LBB24_23
.LBB24_22:                              ;   in Loop: Header=BB24_3 Depth=1
	v_lshl_add_u64 v[22:23], v[18:19], 2, s[82:83]
	global_load_b32 v22, v[22:23], off
	s_wait_loadcnt 0x0
	v_xor_b32_e32 v22, 0x80000000, v22
	ds_store_b32 v74, v22
.LBB24_23:                              ;   in Loop: Header=BB24_3 Depth=1
	s_or_b32 exec_lo, exec_lo, s64
	s_mov_b32 s64, 0
.LBB24_24:                              ;   in Loop: Header=BB24_3 Depth=1
	s_delay_alu instid0(SALU_CYCLE_1)
	s_and_b32 vcc_lo, exec_lo, s64
	s_cbranch_vccz .LBB24_66
; %bb.25:                               ;   in Loop: Header=BB24_3 Depth=1
	s_mov_b32 s64, exec_lo
	v_readlane_b32 s65, v89, 13
	s_and_b32 s65, s64, s65
	s_delay_alu instid0(SALU_CYCLE_1)
	s_xor_b32 s69, s65, s64
	s_mov_b32 exec_lo, s65
	s_cbranch_execz .LBB24_33
; %bb.26:                               ;   in Loop: Header=BB24_3 Depth=1
	s_mov_b32 s64, exec_lo
	v_readlane_b32 s65, v89, 18
	s_and_b32 s65, s64, s65
	s_delay_alu instid0(SALU_CYCLE_1)
	s_xor_b32 s64, s65, s64
	s_mov_b32 exec_lo, s65
	s_cbranch_execz .LBB24_30
; %bb.27:                               ;   in Loop: Header=BB24_3 Depth=1
	s_mov_b32 s65, exec_lo
	v_readlane_b32 s80, v88, 27
	s_and_b32 s80, s65, s80
	s_delay_alu instid0(SALU_CYCLE_1)
	s_mov_b32 exec_lo, s80
; %bb.28:                               ;   in Loop: Header=BB24_3 Depth=1
	ds_store_b32 v75, v5
; %bb.29:                               ;   in Loop: Header=BB24_3 Depth=1
	s_or_b32 exec_lo, exec_lo, s65
.LBB24_30:                              ;   in Loop: Header=BB24_3 Depth=1
	s_and_not1_saveexec_b32 s64, s64
	s_cbranch_execz .LBB24_32
; %bb.31:                               ;   in Loop: Header=BB24_3 Depth=1
	v_lshl_add_u64 v[22:23], v[12:13], 2, s[82:83]
	global_load_b32 v22, v[22:23], off
	s_wait_loadcnt 0x0
	v_div_scale_f32 v23, null, v22, v22, 1.0
	s_delay_alu instid0(VALU_DEP_1) | instskip(SKIP_1) | instid1(TRANS32_DEP_1)
	v_rcp_f32_e32 v24, v23
	v_nop
	v_fma_f32 v25, -v23, v24, 1.0
	s_delay_alu instid0(VALU_DEP_1) | instskip(SKIP_1) | instid1(VALU_DEP_1)
	v_fmac_f32_e32 v24, v25, v24
	v_div_scale_f32 v25, vcc_lo, 1.0, v22, 1.0
	v_mul_f32_e32 v82, v25, v24
	s_delay_alu instid0(VALU_DEP_1) | instskip(NEXT) | instid1(VALU_DEP_1)
	v_fma_f32 v83, -v23, v82, v25
	v_fmac_f32_e32 v82, v83, v24
	s_delay_alu instid0(VALU_DEP_1) | instskip(NEXT) | instid1(VALU_DEP_1)
	v_fma_f32 v23, -v23, v82, v25
	v_div_fmas_f32 v23, v23, v24, v82
	s_delay_alu instid0(VALU_DEP_1)
	v_div_fixup_f32 v22, v23, v22, 1.0
	ds_store_b32 v75, v22
.LBB24_32:                              ;   in Loop: Header=BB24_3 Depth=1
	s_or_b32 exec_lo, exec_lo, s64
.LBB24_33:                              ;   in Loop: Header=BB24_3 Depth=1
	s_and_not1_saveexec_b32 s64, s69
	s_cbranch_execz .LBB24_35
; %bb.34:                               ;   in Loop: Header=BB24_3 Depth=1
	v_lshl_add_u64 v[22:23], v[12:13], 2, s[82:83]
	global_load_b32 v22, v[22:23], off
	s_wait_loadcnt 0x0
	v_xor_b32_e32 v22, 0x80000000, v22
	ds_store_b32 v75, v22
.LBB24_35:                              ;   in Loop: Header=BB24_3 Depth=1
	s_or_b32 exec_lo, exec_lo, s64
	s_delay_alu instid0(SALU_CYCLE_1) | instskip(SKIP_2) | instid1(SALU_CYCLE_1)
	s_mov_b32 s64, exec_lo
	v_readlane_b32 s65, v89, 14
	s_and_b32 s65, s64, s65
	s_xor_b32 s69, s65, s64
	s_mov_b32 exec_lo, s65
	s_cbranch_execz .LBB24_43
; %bb.36:                               ;   in Loop: Header=BB24_3 Depth=1
	s_mov_b32 s64, exec_lo
	v_readlane_b32 s65, v89, 20
	s_and_b32 s65, s64, s65
	s_delay_alu instid0(SALU_CYCLE_1)
	s_xor_b32 s64, s65, s64
	s_mov_b32 exec_lo, s65
	s_cbranch_execz .LBB24_40
; %bb.37:                               ;   in Loop: Header=BB24_3 Depth=1
	s_mov_b32 s65, exec_lo
	v_readlane_b32 s80, v88, 28
	s_and_b32 s80, s65, s80
	s_delay_alu instid0(SALU_CYCLE_1)
	s_mov_b32 exec_lo, s80
; %bb.38:                               ;   in Loop: Header=BB24_3 Depth=1
	ds_store_b32 v72, v5
; %bb.39:                               ;   in Loop: Header=BB24_3 Depth=1
	s_or_b32 exec_lo, exec_lo, s65
.LBB24_40:                              ;   in Loop: Header=BB24_3 Depth=1
	s_and_not1_saveexec_b32 s64, s64
	s_cbranch_execz .LBB24_42
; %bb.41:                               ;   in Loop: Header=BB24_3 Depth=1
	v_lshl_add_u64 v[22:23], v[14:15], 2, s[82:83]
	global_load_b32 v22, v[22:23], off
	s_wait_loadcnt 0x0
	v_div_scale_f32 v23, null, v22, v22, 1.0
	s_delay_alu instid0(VALU_DEP_1) | instskip(SKIP_1) | instid1(TRANS32_DEP_1)
	v_rcp_f32_e32 v24, v23
	v_nop
	v_fma_f32 v25, -v23, v24, 1.0
	s_delay_alu instid0(VALU_DEP_1) | instskip(SKIP_1) | instid1(VALU_DEP_1)
	v_fmac_f32_e32 v24, v25, v24
	v_div_scale_f32 v25, vcc_lo, 1.0, v22, 1.0
	v_mul_f32_e32 v82, v25, v24
	s_delay_alu instid0(VALU_DEP_1) | instskip(NEXT) | instid1(VALU_DEP_1)
	v_fma_f32 v83, -v23, v82, v25
	v_fmac_f32_e32 v82, v83, v24
	s_delay_alu instid0(VALU_DEP_1) | instskip(NEXT) | instid1(VALU_DEP_1)
	v_fma_f32 v23, -v23, v82, v25
	v_div_fmas_f32 v23, v23, v24, v82
	s_delay_alu instid0(VALU_DEP_1)
	v_div_fixup_f32 v22, v23, v22, 1.0
	ds_store_b32 v72, v22
.LBB24_42:                              ;   in Loop: Header=BB24_3 Depth=1
	s_or_b32 exec_lo, exec_lo, s64
.LBB24_43:                              ;   in Loop: Header=BB24_3 Depth=1
	s_and_not1_saveexec_b32 s64, s69
	s_cbranch_execz .LBB24_45
; %bb.44:                               ;   in Loop: Header=BB24_3 Depth=1
	v_lshl_add_u64 v[22:23], v[14:15], 2, s[82:83]
	global_load_b32 v22, v[22:23], off
	s_wait_loadcnt 0x0
	v_xor_b32_e32 v22, 0x80000000, v22
	ds_store_b32 v72, v22
.LBB24_45:                              ;   in Loop: Header=BB24_3 Depth=1
	s_or_b32 exec_lo, exec_lo, s64
	s_delay_alu instid0(SALU_CYCLE_1) | instskip(SKIP_2) | instid1(SALU_CYCLE_1)
	s_mov_b32 s64, exec_lo
	v_readlane_b32 s65, v89, 15
	s_and_b32 s65, s64, s65
	;; [unrolled: 63-line block ×3, first 2 shown]
	s_xor_b32 s69, s65, s64
	s_mov_b32 exec_lo, s65
	s_cbranch_execz .LBB24_63
; %bb.56:                               ;   in Loop: Header=BB24_3 Depth=1
	s_mov_b32 s64, exec_lo
	v_readlane_b32 s65, v89, 24
	s_and_b32 s65, s64, s65
	s_delay_alu instid0(SALU_CYCLE_1)
	s_xor_b32 s64, s65, s64
	s_mov_b32 exec_lo, s65
	s_cbranch_execz .LBB24_60
; %bb.57:                               ;   in Loop: Header=BB24_3 Depth=1
	s_mov_b32 s65, exec_lo
	v_readlane_b32 s80, v88, 30
	s_and_b32 s80, s65, s80
	s_delay_alu instid0(SALU_CYCLE_1)
	s_mov_b32 exec_lo, s80
; %bb.58:                               ;   in Loop: Header=BB24_3 Depth=1
	ds_store_b32 v74, v5
; %bb.59:                               ;   in Loop: Header=BB24_3 Depth=1
	s_or_b32 exec_lo, exec_lo, s65
.LBB24_60:                              ;   in Loop: Header=BB24_3 Depth=1
	s_and_not1_saveexec_b32 s64, s64
	s_cbranch_execz .LBB24_62
; %bb.61:                               ;   in Loop: Header=BB24_3 Depth=1
	v_lshl_add_u64 v[22:23], v[18:19], 2, s[82:83]
	global_load_b32 v22, v[22:23], off
	s_wait_loadcnt 0x0
	v_div_scale_f32 v23, null, v22, v22, 1.0
	s_delay_alu instid0(VALU_DEP_1) | instskip(SKIP_1) | instid1(TRANS32_DEP_1)
	v_rcp_f32_e32 v24, v23
	v_nop
	v_fma_f32 v25, -v23, v24, 1.0
	s_delay_alu instid0(VALU_DEP_1) | instskip(SKIP_1) | instid1(VALU_DEP_1)
	v_fmac_f32_e32 v24, v25, v24
	v_div_scale_f32 v25, vcc_lo, 1.0, v22, 1.0
	v_mul_f32_e32 v82, v25, v24
	s_delay_alu instid0(VALU_DEP_1) | instskip(NEXT) | instid1(VALU_DEP_1)
	v_fma_f32 v83, -v23, v82, v25
	v_fmac_f32_e32 v82, v83, v24
	s_delay_alu instid0(VALU_DEP_1) | instskip(NEXT) | instid1(VALU_DEP_1)
	v_fma_f32 v23, -v23, v82, v25
	v_div_fmas_f32 v23, v23, v24, v82
	s_delay_alu instid0(VALU_DEP_1)
	v_div_fixup_f32 v22, v23, v22, 1.0
	ds_store_b32 v74, v22
.LBB24_62:                              ;   in Loop: Header=BB24_3 Depth=1
	s_or_b32 exec_lo, exec_lo, s64
.LBB24_63:                              ;   in Loop: Header=BB24_3 Depth=1
	s_and_not1_saveexec_b32 s64, s69
	s_cbranch_execz .LBB24_65
; %bb.64:                               ;   in Loop: Header=BB24_3 Depth=1
	v_lshl_add_u64 v[22:23], v[18:19], 2, s[82:83]
	global_load_b32 v22, v[22:23], off
	s_wait_loadcnt 0x0
	v_xor_b32_e32 v22, 0x80000000, v22
	ds_store_b32 v74, v22
.LBB24_65:                              ;   in Loop: Header=BB24_3 Depth=1
	s_or_b32 exec_lo, exec_lo, s64
.LBB24_66:                              ;   in Loop: Header=BB24_3 Depth=1
	s_delay_alu instid0(SALU_CYCLE_1)
	s_and_not1_b32 vcc_lo, exec_lo, s92
	s_wait_loadcnt_dscnt 0x0
	s_barrier_signal -1
	s_barrier_wait -1
	s_cbranch_vccnz .LBB24_1104
; %bb.67:                               ;   in Loop: Header=BB24_3 Depth=1
	s_and_saveexec_b32 s64, s15
	s_cbranch_execz .LBB24_69
; %bb.68:                               ;   in Loop: Header=BB24_3 Depth=1
	ds_load_b64 v[22:23], v5
	ds_load_b32 v24, v5 offset:260
	s_wait_dscnt 0x0
	v_mul_f32_e32 v22, v22, v24
	s_delay_alu instid0(VALU_DEP_1)
	v_mul_f32_e32 v22, v23, v22
	ds_store_2addr_b32 v5, v22, v22 offset0:1 offset1:64
.LBB24_69:                              ;   in Loop: Header=BB24_3 Depth=1
	s_or_b32 exec_lo, exec_lo, s64
	v_mov_b32_e32 v22, 0
	s_wait_dscnt 0x0
	s_barrier_signal -1
	s_barrier_wait -1
	s_and_saveexec_b32 s64, s0
	s_cbranch_execz .LBB24_73
; %bb.70:                               ;   in Loop: Header=BB24_3 Depth=1
	ds_load_b32 v22, v27 offset:8
	ds_load_b32 v23, v28
	s_wait_dscnt 0x0
	v_fma_f32 v22, v22, v23, 0
	s_and_saveexec_b32 s65, s16
	s_cbranch_execz .LBB24_72
; %bb.71:                               ;   in Loop: Header=BB24_3 Depth=1
	ds_load_b32 v23, v29 offset:264
	ds_load_b32 v24, v5 offset:4
	s_wait_dscnt 0x0
	v_fmac_f32_e32 v22, v23, v24
.LBB24_72:                              ;   in Loop: Header=BB24_3 Depth=1
	s_or_b32 exec_lo, exec_lo, s65
	s_delay_alu instid0(VALU_DEP_1)
	v_xor_b32_e32 v22, 0x80000000, v22
.LBB24_73:                              ;   in Loop: Header=BB24_3 Depth=1
	s_or_b32 exec_lo, exec_lo, s64
	s_and_saveexec_b32 s64, s93
	s_cbranch_execz .LBB24_75
; %bb.74:                               ;   in Loop: Header=BB24_3 Depth=1
	ds_load_b32 v23, v5 offset:520
	s_wait_dscnt 0x0
	v_mul_f32_e32 v22, v22, v23
	ds_store_b32 v3, v22
.LBB24_75:                              ;   in Loop: Header=BB24_3 Depth=1
	s_or_b32 exec_lo, exec_lo, s64
	s_wait_dscnt 0x0
	s_barrier_signal -1
	s_barrier_wait -1
	s_and_saveexec_b32 s64, s94
	s_cbranch_execz .LBB24_77
; %bb.76:                               ;   in Loop: Header=BB24_3 Depth=1
	ds_load_b32 v23, v5 offset:524
	ds_load_b32 v24, v3
	s_wait_dscnt 0x0
	v_fmac_f32_e32 v22, v23, v24
.LBB24_77:                              ;   in Loop: Header=BB24_3 Depth=1
	s_or_b32 exec_lo, exec_lo, s64
	s_barrier_signal -1
	s_barrier_wait -1
	s_and_saveexec_b32 s64, s94
	s_cbranch_execz .LBB24_79
; %bb.78:                               ;   in Loop: Header=BB24_3 Depth=1
	ds_load_b32 v23, v5 offset:780
	s_wait_dscnt 0x0
	v_mul_f32_e32 v22, v22, v23
	ds_store_b32 v3, v22
.LBB24_79:                              ;   in Loop: Header=BB24_3 Depth=1
	s_or_b32 exec_lo, exec_lo, s64
	s_wait_dscnt 0x0
	s_barrier_signal -1
	s_barrier_wait -1
	s_barrier_signal -1
	s_barrier_wait -1
	s_and_saveexec_b32 s64, s0
; %bb.80:                               ;   in Loop: Header=BB24_3 Depth=1
	v_xor_b32_e32 v22, 0x80000000, v22
	ds_store_b32 v27, v22 offset:8
; %bb.81:                               ;   in Loop: Header=BB24_3 Depth=1
	s_or_b32 exec_lo, exec_lo, s64
	s_wait_dscnt 0x0
	s_barrier_signal -1
	s_barrier_wait -1
	s_barrier_signal -1
	s_barrier_wait -1
	s_and_saveexec_b32 s64, s95
	s_cbranch_execz .LBB24_83
; %bb.82:                               ;   in Loop: Header=BB24_3 Depth=1
	ds_load_b32 v22, v33 offset:8
	s_wait_dscnt 0x0
	ds_store_b32 v29, v22 offset:512
	ds_load_b32 v22, v33 offset:12
	s_wait_dscnt 0x0
	ds_store_b32 v29, v22 offset:768
.LBB24_83:                              ;   in Loop: Header=BB24_3 Depth=1
	s_or_b32 exec_lo, exec_lo, s64
	s_wait_dscnt 0x0
	s_barrier_signal -1
	s_barrier_wait -1
	s_and_saveexec_b32 s64, s15
	s_cbranch_execz .LBB24_85
; %bb.84:                               ;   in Loop: Header=BB24_3 Depth=1
	ds_load_b64 v[22:23], v5 offset:520
	ds_load_b32 v24, v5 offset:780
	s_wait_dscnt 0x0
	v_mul_f32_e32 v22, v22, v24
	s_delay_alu instid0(VALU_DEP_1)
	v_mul_f32_e32 v22, v23, v22
	ds_store_2addr_b32 v5, v22, v22 offset0:131 offset1:194
.LBB24_85:                              ;   in Loop: Header=BB24_3 Depth=1
	s_or_b32 exec_lo, exec_lo, s64
	v_mov_b32_e32 v22, 0
	s_wait_dscnt 0x0
	s_barrier_signal -1
	s_barrier_wait -1
	s_and_saveexec_b32 s69, s2
	s_cbranch_execz .LBB24_91
; %bb.86:                               ;   in Loop: Header=BB24_3 Depth=1
	ds_load_b32 v22, v35 offset:16
	ds_load_b32 v23, v30
	s_wait_dscnt 0x0
	v_fma_f32 v22, v22, v23, 0
	s_and_saveexec_b32 s64, s17
	s_cbranch_execnz .LBB24_1207
; %bb.87:                               ;   in Loop: Header=BB24_3 Depth=1
	s_or_b32 exec_lo, exec_lo, s64
	s_and_saveexec_b32 s64, s18
	s_cbranch_execnz .LBB24_1208
.LBB24_88:                              ;   in Loop: Header=BB24_3 Depth=1
	s_or_b32 exec_lo, exec_lo, s64
	s_and_saveexec_b32 s64, s0
	s_cbranch_execz .LBB24_90
.LBB24_89:                              ;   in Loop: Header=BB24_3 Depth=1
	ds_load_b32 v23, v37 offset:784
	ds_load_b32 v24, v5 offset:12
	s_wait_dscnt 0x0
	v_fmac_f32_e32 v22, v23, v24
.LBB24_90:                              ;   in Loop: Header=BB24_3 Depth=1
	s_or_b32 exec_lo, exec_lo, s64
	s_delay_alu instid0(VALU_DEP_1)
	v_xor_b32_e32 v22, 0x80000000, v22
.LBB24_91:                              ;   in Loop: Header=BB24_3 Depth=1
	s_or_b32 exec_lo, exec_lo, s69
	s_and_saveexec_b32 s64, s96
	s_cbranch_execz .LBB24_93
; %bb.92:                               ;   in Loop: Header=BB24_3 Depth=1
	ds_load_b32 v23, v5 offset:1040
	s_wait_dscnt 0x0
	v_mul_f32_e32 v22, v22, v23
	ds_store_b32 v34, v22
.LBB24_93:                              ;   in Loop: Header=BB24_3 Depth=1
	s_or_b32 exec_lo, exec_lo, s64
	s_wait_dscnt 0x0
	s_barrier_signal -1
	s_barrier_wait -1
	s_and_saveexec_b32 s64, s97
	s_cbranch_execz .LBB24_95
; %bb.94:                               ;   in Loop: Header=BB24_3 Depth=1
	ds_load_b32 v23, v32 offset:1040
	ds_load_b32 v24, v34
	s_wait_dscnt 0x0
	v_fmac_f32_e32 v22, v23, v24
.LBB24_95:                              ;   in Loop: Header=BB24_3 Depth=1
	s_or_b32 exec_lo, exec_lo, s64
	s_barrier_signal -1
	s_barrier_wait -1
	s_and_saveexec_b32 s64, s98
	s_cbranch_execz .LBB24_97
; %bb.96:                               ;   in Loop: Header=BB24_3 Depth=1
	ds_load_b32 v23, v5 offset:1300
	s_wait_dscnt 0x0
	v_mul_f32_e32 v22, v22, v23
	ds_store_b32 v34, v22
.LBB24_97:                              ;   in Loop: Header=BB24_3 Depth=1
	s_or_b32 exec_lo, exec_lo, s64
	s_wait_dscnt 0x0
	s_barrier_signal -1
	s_barrier_wait -1
	s_and_saveexec_b32 s64, s99
	s_cbranch_execz .LBB24_99
; %bb.98:                               ;   in Loop: Header=BB24_3 Depth=1
	ds_load_b32 v23, v32 offset:1296
	ds_load_b32 v24, v34
	s_wait_dscnt 0x0
	v_fmac_f32_e32 v22, v23, v24
.LBB24_99:                              ;   in Loop: Header=BB24_3 Depth=1
	s_or_b32 exec_lo, exec_lo, s64
	s_barrier_signal -1
	s_barrier_wait -1
	s_and_saveexec_b32 s64, s100
	s_cbranch_execz .LBB24_101
; %bb.100:                              ;   in Loop: Header=BB24_3 Depth=1
	ds_load_b32 v23, v5 offset:1560
	s_wait_dscnt 0x0
	v_mul_f32_e32 v22, v22, v23
	ds_store_b32 v34, v22
.LBB24_101:                             ;   in Loop: Header=BB24_3 Depth=1
	s_or_b32 exec_lo, exec_lo, s64
	s_wait_dscnt 0x0
	s_barrier_signal -1
	s_barrier_wait -1
	s_and_saveexec_b32 s64, s101
	s_cbranch_execz .LBB24_103
; %bb.102:                              ;   in Loop: Header=BB24_3 Depth=1
	ds_load_b32 v23, v5 offset:1564
	ds_load_b32 v24, v34
	s_wait_dscnt 0x0
	v_fmac_f32_e32 v22, v23, v24
.LBB24_103:                             ;   in Loop: Header=BB24_3 Depth=1
	s_or_b32 exec_lo, exec_lo, s64
	s_barrier_signal -1
	s_barrier_wait -1
	s_and_saveexec_b32 s64, s101
	s_cbranch_execz .LBB24_105
; %bb.104:                              ;   in Loop: Header=BB24_3 Depth=1
	ds_load_b32 v23, v5 offset:1820
	s_wait_dscnt 0x0
	v_mul_f32_e32 v22, v22, v23
	ds_store_b32 v34, v22
.LBB24_105:                             ;   in Loop: Header=BB24_3 Depth=1
	s_or_b32 exec_lo, exec_lo, s64
	s_wait_dscnt 0x0
	s_barrier_signal -1
	s_barrier_wait -1
	s_barrier_signal -1
	s_barrier_wait -1
	s_and_saveexec_b32 s64, s2
; %bb.106:                              ;   in Loop: Header=BB24_3 Depth=1
	v_xor_b32_e32 v22, 0x80000000, v22
	ds_store_b32 v35, v22 offset:16
; %bb.107:                              ;   in Loop: Header=BB24_3 Depth=1
	s_or_b32 exec_lo, exec_lo, s64
	s_wait_dscnt 0x0
	s_barrier_signal -1
	s_barrier_wait -1
	s_barrier_signal -1
	s_barrier_wait -1
	s_and_saveexec_b32 s64, s102
	s_cbranch_execz .LBB24_109
; %bb.108:                              ;   in Loop: Header=BB24_3 Depth=1
	ds_load_b32 v22, v38 offset:16
	s_wait_dscnt 0x0
	ds_store_b32 v40, v22 offset:1024
	ds_load_b32 v22, v38 offset:20
	s_wait_dscnt 0x0
	ds_store_b32 v40, v22 offset:1280
	;; [unrolled: 3-line block ×4, first 2 shown]
.LBB24_109:                             ;   in Loop: Header=BB24_3 Depth=1
	s_or_b32 exec_lo, exec_lo, s64
	s_wait_dscnt 0x0
	s_barrier_signal -1
	s_barrier_wait -1
	s_and_saveexec_b32 s64, s15
	s_cbranch_execz .LBB24_111
; %bb.110:                              ;   in Loop: Header=BB24_3 Depth=1
	ds_load_b64 v[22:23], v5 offset:1040
	ds_load_b32 v24, v5 offset:1300
	s_wait_dscnt 0x0
	v_mul_f32_e32 v22, v22, v24
	s_delay_alu instid0(VALU_DEP_1)
	v_mul_f32_e32 v22, v23, v22
	v_add_nc_u32_e64 v23, 0x400, 0
	ds_store_2addr_b32 v23, v22, v22 offset0:5 offset1:68
.LBB24_111:                             ;   in Loop: Header=BB24_3 Depth=1
	s_or_b32 exec_lo, exec_lo, s64
	v_mov_b32_e32 v22, 0
	s_wait_dscnt 0x0
	s_barrier_signal -1
	s_barrier_wait -1
	s_and_saveexec_b32 s64, s0
	s_cbranch_execz .LBB24_115
; %bb.112:                              ;   in Loop: Header=BB24_3 Depth=1
	ds_load_b32 v22, v27 offset:1048
	ds_load_b32 v23, v28 offset:1040
	s_wait_dscnt 0x0
	v_fma_f32 v22, v22, v23, 0
	s_and_saveexec_b32 s65, s16
	s_cbranch_execz .LBB24_114
; %bb.113:                              ;   in Loop: Header=BB24_3 Depth=1
	ds_load_b32 v23, v40 offset:1304
	ds_load_b32 v24, v5 offset:1044
	s_wait_dscnt 0x0
	v_fmac_f32_e32 v22, v23, v24
.LBB24_114:                             ;   in Loop: Header=BB24_3 Depth=1
	s_or_b32 exec_lo, exec_lo, s65
	s_delay_alu instid0(VALU_DEP_1)
	v_xor_b32_e32 v22, 0x80000000, v22
.LBB24_115:                             ;   in Loop: Header=BB24_3 Depth=1
	s_or_b32 exec_lo, exec_lo, s64
	s_and_saveexec_b32 s64, s93
	s_cbranch_execz .LBB24_117
; %bb.116:                              ;   in Loop: Header=BB24_3 Depth=1
	ds_load_b32 v23, v5 offset:1560
	s_wait_dscnt 0x0
	v_mul_f32_e32 v22, v22, v23
	ds_store_b32 v3, v22
.LBB24_117:                             ;   in Loop: Header=BB24_3 Depth=1
	s_or_b32 exec_lo, exec_lo, s64
	s_wait_dscnt 0x0
	s_barrier_signal -1
	s_barrier_wait -1
	s_and_saveexec_b32 s64, s94
	s_cbranch_execz .LBB24_119
; %bb.118:                              ;   in Loop: Header=BB24_3 Depth=1
	ds_load_b32 v23, v5 offset:1564
	ds_load_b32 v24, v3
	s_wait_dscnt 0x0
	v_fmac_f32_e32 v22, v23, v24
.LBB24_119:                             ;   in Loop: Header=BB24_3 Depth=1
	s_or_b32 exec_lo, exec_lo, s64
	s_barrier_signal -1
	s_barrier_wait -1
	s_and_saveexec_b32 s64, s94
	s_cbranch_execz .LBB24_121
; %bb.120:                              ;   in Loop: Header=BB24_3 Depth=1
	ds_load_b32 v23, v5 offset:1820
	s_wait_dscnt 0x0
	v_mul_f32_e32 v22, v22, v23
	ds_store_b32 v3, v22
.LBB24_121:                             ;   in Loop: Header=BB24_3 Depth=1
	s_or_b32 exec_lo, exec_lo, s64
	s_wait_dscnt 0x0
	s_barrier_signal -1
	s_barrier_wait -1
	s_barrier_signal -1
	s_barrier_wait -1
	s_and_saveexec_b32 s64, s0
; %bb.122:                              ;   in Loop: Header=BB24_3 Depth=1
	v_xor_b32_e32 v22, 0x80000000, v22
	ds_store_b32 v27, v22 offset:1048
; %bb.123:                              ;   in Loop: Header=BB24_3 Depth=1
	s_or_b32 exec_lo, exec_lo, s64
	s_wait_dscnt 0x0
	s_barrier_signal -1
	s_barrier_wait -1
	s_barrier_signal -1
	s_barrier_wait -1
	s_and_saveexec_b32 s64, s95
	s_cbranch_execz .LBB24_125
; %bb.124:                              ;   in Loop: Header=BB24_3 Depth=1
	ds_load_b32 v22, v42 offset:1048
	s_wait_dscnt 0x0
	ds_store_b32 v40, v22 offset:1552
	ds_load_b32 v22, v42 offset:1052
	s_wait_dscnt 0x0
	ds_store_b32 v40, v22 offset:1808
.LBB24_125:                             ;   in Loop: Header=BB24_3 Depth=1
	s_or_b32 exec_lo, exec_lo, s64
	s_wait_dscnt 0x0
	s_barrier_signal -1
	s_barrier_wait -1
	s_and_saveexec_b32 s64, s15
	s_cbranch_execz .LBB24_127
; %bb.126:                              ;   in Loop: Header=BB24_3 Depth=1
	ds_load_b64 v[22:23], v5 offset:1560
	ds_load_b32 v24, v5 offset:1820
	s_wait_dscnt 0x0
	v_mul_f32_e32 v22, v22, v24
	s_delay_alu instid0(VALU_DEP_1)
	v_mul_f32_e32 v22, v23, v22
	v_add_nc_u32_e64 v23, 0x400, 0
	ds_store_2addr_b32 v23, v22, v22 offset0:135 offset1:198
.LBB24_127:                             ;   in Loop: Header=BB24_3 Depth=1
	s_or_b32 exec_lo, exec_lo, s64
	v_mov_b32_e32 v22, 0
	s_wait_dscnt 0x0
	s_barrier_signal -1
	s_barrier_wait -1
	s_and_saveexec_b32 s69, s3
	s_cbranch_execz .LBB24_137
; %bb.128:                              ;   in Loop: Header=BB24_3 Depth=1
	ds_load_b32 v22, v44 offset:32
	ds_load_b32 v23, v39
	s_wait_dscnt 0x0
	v_fma_f32 v22, v22, v23, 0
	s_and_saveexec_b32 s64, s19
	s_cbranch_execnz .LBB24_1209
; %bb.129:                              ;   in Loop: Header=BB24_3 Depth=1
	s_or_b32 exec_lo, exec_lo, s64
	s_and_saveexec_b32 s64, s20
	s_cbranch_execnz .LBB24_1210
.LBB24_130:                             ;   in Loop: Header=BB24_3 Depth=1
	s_or_b32 exec_lo, exec_lo, s64
	s_and_saveexec_b32 s64, s21
	s_cbranch_execnz .LBB24_1211
.LBB24_131:                             ;   in Loop: Header=BB24_3 Depth=1
	s_or_b32 exec_lo, exec_lo, s64
	s_and_saveexec_b32 s64, s22
	s_cbranch_execnz .LBB24_1212
.LBB24_132:                             ;   in Loop: Header=BB24_3 Depth=1
	s_or_b32 exec_lo, exec_lo, s64
	s_and_saveexec_b32 s64, s23
	s_cbranch_execnz .LBB24_1213
.LBB24_133:                             ;   in Loop: Header=BB24_3 Depth=1
	s_or_b32 exec_lo, exec_lo, s64
	s_and_saveexec_b32 s64, s2
	s_cbranch_execnz .LBB24_1214
.LBB24_134:                             ;   in Loop: Header=BB24_3 Depth=1
	s_or_b32 exec_lo, exec_lo, s64
	s_and_saveexec_b32 s64, s18
	s_cbranch_execz .LBB24_136
.LBB24_135:                             ;   in Loop: Header=BB24_3 Depth=1
	ds_load_b32 v23, v46 offset:1824
	ds_load_b32 v24, v5 offset:28
	s_wait_dscnt 0x0
	v_fmac_f32_e32 v22, v23, v24
.LBB24_136:                             ;   in Loop: Header=BB24_3 Depth=1
	s_or_b32 exec_lo, exec_lo, s64
	s_delay_alu instid0(VALU_DEP_1)
	v_xor_b32_e32 v22, 0x80000000, v22
.LBB24_137:                             ;   in Loop: Header=BB24_3 Depth=1
	s_or_b32 exec_lo, exec_lo, s69
	s_and_saveexec_b32 s64, s103
	s_cbranch_execz .LBB24_139
; %bb.138:                              ;   in Loop: Header=BB24_3 Depth=1
	ds_load_b32 v23, v5 offset:2080
	s_wait_dscnt 0x0
	v_mul_f32_e32 v22, v22, v23
	ds_store_b32 v43, v22
.LBB24_139:                             ;   in Loop: Header=BB24_3 Depth=1
	s_or_b32 exec_lo, exec_lo, s64
	s_wait_dscnt 0x0
	s_barrier_signal -1
	s_barrier_wait -1
	s_and_saveexec_b32 s64, s104
	s_cbranch_execz .LBB24_141
; %bb.140:                              ;   in Loop: Header=BB24_3 Depth=1
	ds_load_b32 v23, v41 offset:2080
	ds_load_b32 v24, v43
	s_wait_dscnt 0x0
	v_fmac_f32_e32 v22, v23, v24
.LBB24_141:                             ;   in Loop: Header=BB24_3 Depth=1
	s_or_b32 exec_lo, exec_lo, s64
	s_barrier_signal -1
	s_barrier_wait -1
	s_and_saveexec_b32 s64, vcc_hi
	s_cbranch_execz .LBB24_143
; %bb.142:                              ;   in Loop: Header=BB24_3 Depth=1
	ds_load_b32 v23, v5 offset:2340
	s_wait_dscnt 0x0
	v_mul_f32_e32 v22, v22, v23
	ds_store_b32 v43, v22
.LBB24_143:                             ;   in Loop: Header=BB24_3 Depth=1
	s_or_b32 exec_lo, exec_lo, s64
	s_wait_dscnt 0x0
	s_barrier_signal -1
	s_barrier_wait -1
	s_and_saveexec_b32 s64, s36
	s_cbranch_execz .LBB24_145
; %bb.144:                              ;   in Loop: Header=BB24_3 Depth=1
	ds_load_b32 v23, v41 offset:2336
	ds_load_b32 v24, v43
	s_wait_dscnt 0x0
	v_fmac_f32_e32 v22, v23, v24
.LBB24_145:                             ;   in Loop: Header=BB24_3 Depth=1
	s_or_b32 exec_lo, exec_lo, s64
	s_barrier_signal -1
	s_barrier_wait -1
	s_and_saveexec_b32 s64, s37
	s_cbranch_execz .LBB24_147
; %bb.146:                              ;   in Loop: Header=BB24_3 Depth=1
	ds_load_b32 v23, v5 offset:2600
	s_wait_dscnt 0x0
	v_mul_f32_e32 v22, v22, v23
	ds_store_b32 v43, v22
.LBB24_147:                             ;   in Loop: Header=BB24_3 Depth=1
	s_or_b32 exec_lo, exec_lo, s64
	s_wait_dscnt 0x0
	s_barrier_signal -1
	s_barrier_wait -1
	s_and_saveexec_b32 s64, s38
	s_cbranch_execz .LBB24_149
; %bb.148:                              ;   in Loop: Header=BB24_3 Depth=1
	ds_load_b32 v23, v41 offset:2592
	ds_load_b32 v24, v43
	s_wait_dscnt 0x0
	v_fmac_f32_e32 v22, v23, v24
.LBB24_149:                             ;   in Loop: Header=BB24_3 Depth=1
	s_or_b32 exec_lo, exec_lo, s64
	s_barrier_signal -1
	s_barrier_wait -1
	s_and_saveexec_b32 s64, s39
	;; [unrolled: 23-line block ×6, first 2 shown]
	s_cbranch_execz .LBB24_167
; %bb.166:                              ;   in Loop: Header=BB24_3 Depth=1
	ds_load_b32 v23, v5 offset:3900
	s_wait_dscnt 0x0
	v_mul_f32_e32 v22, v22, v23
	ds_store_b32 v43, v22
.LBB24_167:                             ;   in Loop: Header=BB24_3 Depth=1
	s_or_b32 exec_lo, exec_lo, s64
	s_wait_dscnt 0x0
	s_barrier_signal -1
	s_barrier_wait -1
	s_barrier_signal -1
	s_barrier_wait -1
	s_and_saveexec_b32 s64, s3
; %bb.168:                              ;   in Loop: Header=BB24_3 Depth=1
	v_xor_b32_e32 v22, 0x80000000, v22
	ds_store_b32 v44, v22 offset:32
; %bb.169:                              ;   in Loop: Header=BB24_3 Depth=1
	s_or_b32 exec_lo, exec_lo, s64
	s_wait_dscnt 0x0
	s_barrier_signal -1
	s_barrier_wait -1
	s_barrier_signal -1
	s_barrier_wait -1
	s_and_saveexec_b32 s64, s47
	s_cbranch_execz .LBB24_171
; %bb.170:                              ;   in Loop: Header=BB24_3 Depth=1
	ds_load_b32 v22, v47 offset:32
	s_wait_dscnt 0x0
	ds_store_b32 v48, v22 offset:2048
	ds_load_b32 v22, v47 offset:36
	s_wait_dscnt 0x0
	ds_store_b32 v48, v22 offset:2304
	;; [unrolled: 3-line block ×8, first 2 shown]
.LBB24_171:                             ;   in Loop: Header=BB24_3 Depth=1
	s_or_b32 exec_lo, exec_lo, s64
	s_wait_dscnt 0x0
	s_barrier_signal -1
	s_barrier_wait -1
	s_and_saveexec_b32 s64, s15
	s_cbranch_execz .LBB24_173
; %bb.172:                              ;   in Loop: Header=BB24_3 Depth=1
	ds_load_b64 v[22:23], v5 offset:2080
	ds_load_b32 v24, v5 offset:2340
	s_wait_dscnt 0x0
	v_mul_f32_e32 v22, v22, v24
	s_delay_alu instid0(VALU_DEP_1)
	v_mul_f32_e32 v22, v23, v22
	v_add_nc_u32_e64 v23, 0x800, 0
	ds_store_2addr_b32 v23, v22, v22 offset0:9 offset1:72
.LBB24_173:                             ;   in Loop: Header=BB24_3 Depth=1
	s_or_b32 exec_lo, exec_lo, s64
	v_mov_b32_e32 v22, 0
	s_wait_dscnt 0x0
	s_barrier_signal -1
	s_barrier_wait -1
	s_and_saveexec_b32 s64, s0
	s_cbranch_execz .LBB24_177
; %bb.174:                              ;   in Loop: Header=BB24_3 Depth=1
	ds_load_b32 v22, v27 offset:2088
	ds_load_b32 v23, v28 offset:2080
	s_wait_dscnt 0x0
	v_fma_f32 v22, v22, v23, 0
	s_and_saveexec_b32 s65, s16
	s_cbranch_execz .LBB24_176
; %bb.175:                              ;   in Loop: Header=BB24_3 Depth=1
	ds_load_b32 v23, v48 offset:2344
	ds_load_b32 v24, v5 offset:2084
	s_wait_dscnt 0x0
	v_fmac_f32_e32 v22, v23, v24
.LBB24_176:                             ;   in Loop: Header=BB24_3 Depth=1
	s_or_b32 exec_lo, exec_lo, s65
	s_delay_alu instid0(VALU_DEP_1)
	v_xor_b32_e32 v22, 0x80000000, v22
.LBB24_177:                             ;   in Loop: Header=BB24_3 Depth=1
	s_or_b32 exec_lo, exec_lo, s64
	s_and_saveexec_b32 s64, s93
	s_cbranch_execz .LBB24_179
; %bb.178:                              ;   in Loop: Header=BB24_3 Depth=1
	ds_load_b32 v23, v5 offset:2600
	s_wait_dscnt 0x0
	v_mul_f32_e32 v22, v22, v23
	ds_store_b32 v3, v22
.LBB24_179:                             ;   in Loop: Header=BB24_3 Depth=1
	s_or_b32 exec_lo, exec_lo, s64
	s_wait_dscnt 0x0
	s_barrier_signal -1
	s_barrier_wait -1
	s_and_saveexec_b32 s64, s94
	s_cbranch_execz .LBB24_181
; %bb.180:                              ;   in Loop: Header=BB24_3 Depth=1
	ds_load_b32 v23, v5 offset:2604
	ds_load_b32 v24, v3
	s_wait_dscnt 0x0
	v_fmac_f32_e32 v22, v23, v24
.LBB24_181:                             ;   in Loop: Header=BB24_3 Depth=1
	s_or_b32 exec_lo, exec_lo, s64
	s_barrier_signal -1
	s_barrier_wait -1
	s_and_saveexec_b32 s64, s94
	s_cbranch_execz .LBB24_183
; %bb.182:                              ;   in Loop: Header=BB24_3 Depth=1
	ds_load_b32 v23, v5 offset:2860
	s_wait_dscnt 0x0
	v_mul_f32_e32 v22, v22, v23
	ds_store_b32 v3, v22
.LBB24_183:                             ;   in Loop: Header=BB24_3 Depth=1
	s_or_b32 exec_lo, exec_lo, s64
	s_wait_dscnt 0x0
	s_barrier_signal -1
	s_barrier_wait -1
	s_barrier_signal -1
	s_barrier_wait -1
	s_and_saveexec_b32 s64, s0
; %bb.184:                              ;   in Loop: Header=BB24_3 Depth=1
	v_xor_b32_e32 v22, 0x80000000, v22
	ds_store_b32 v27, v22 offset:2088
; %bb.185:                              ;   in Loop: Header=BB24_3 Depth=1
	s_or_b32 exec_lo, exec_lo, s64
	s_wait_dscnt 0x0
	s_barrier_signal -1
	s_barrier_wait -1
	s_barrier_signal -1
	s_barrier_wait -1
	s_and_saveexec_b32 s64, s95
	s_cbranch_execz .LBB24_187
; %bb.186:                              ;   in Loop: Header=BB24_3 Depth=1
	ds_load_b32 v22, v49 offset:2088
	s_wait_dscnt 0x0
	ds_store_b32 v48, v22 offset:2592
	ds_load_b32 v22, v49 offset:2092
	s_wait_dscnt 0x0
	ds_store_b32 v48, v22 offset:2848
.LBB24_187:                             ;   in Loop: Header=BB24_3 Depth=1
	s_or_b32 exec_lo, exec_lo, s64
	s_wait_dscnt 0x0
	s_barrier_signal -1
	s_barrier_wait -1
	s_and_saveexec_b32 s64, s15
	s_cbranch_execz .LBB24_189
; %bb.188:                              ;   in Loop: Header=BB24_3 Depth=1
	ds_load_b64 v[22:23], v5 offset:2600
	ds_load_b32 v24, v5 offset:2860
	s_wait_dscnt 0x0
	v_mul_f32_e32 v22, v22, v24
	s_delay_alu instid0(VALU_DEP_1)
	v_mul_f32_e32 v22, v23, v22
	v_add_nc_u32_e64 v23, 0x800, 0
	ds_store_2addr_b32 v23, v22, v22 offset0:139 offset1:202
.LBB24_189:                             ;   in Loop: Header=BB24_3 Depth=1
	s_or_b32 exec_lo, exec_lo, s64
	v_mov_b32_e32 v22, 0
	s_wait_dscnt 0x0
	s_barrier_signal -1
	s_barrier_wait -1
	s_and_saveexec_b32 s69, s2
	s_cbranch_execz .LBB24_195
; %bb.190:                              ;   in Loop: Header=BB24_3 Depth=1
	ds_load_b32 v22, v35 offset:2096
	ds_load_b32 v23, v30 offset:2080
	s_wait_dscnt 0x0
	v_fma_f32 v22, v22, v23, 0
	s_and_saveexec_b32 s64, s17
	s_cbranch_execnz .LBB24_1215
; %bb.191:                              ;   in Loop: Header=BB24_3 Depth=1
	s_or_b32 exec_lo, exec_lo, s64
	s_and_saveexec_b32 s64, s18
	s_cbranch_execnz .LBB24_1216
.LBB24_192:                             ;   in Loop: Header=BB24_3 Depth=1
	s_or_b32 exec_lo, exec_lo, s64
	s_and_saveexec_b32 s64, s0
	s_cbranch_execz .LBB24_194
.LBB24_193:                             ;   in Loop: Header=BB24_3 Depth=1
	ds_load_b32 v23, v50 offset:2864
	ds_load_b32 v24, v5 offset:2092
	s_wait_dscnt 0x0
	v_fmac_f32_e32 v22, v23, v24
.LBB24_194:                             ;   in Loop: Header=BB24_3 Depth=1
	s_or_b32 exec_lo, exec_lo, s64
	s_delay_alu instid0(VALU_DEP_1)
	v_xor_b32_e32 v22, 0x80000000, v22
.LBB24_195:                             ;   in Loop: Header=BB24_3 Depth=1
	s_or_b32 exec_lo, exec_lo, s69
	s_and_saveexec_b32 s64, s96
	s_cbranch_execz .LBB24_197
; %bb.196:                              ;   in Loop: Header=BB24_3 Depth=1
	ds_load_b32 v23, v5 offset:3120
	s_wait_dscnt 0x0
	v_mul_f32_e32 v22, v22, v23
	ds_store_b32 v34, v22
.LBB24_197:                             ;   in Loop: Header=BB24_3 Depth=1
	s_or_b32 exec_lo, exec_lo, s64
	s_wait_dscnt 0x0
	s_barrier_signal -1
	s_barrier_wait -1
	s_and_saveexec_b32 s64, s97
	s_cbranch_execz .LBB24_199
; %bb.198:                              ;   in Loop: Header=BB24_3 Depth=1
	ds_load_b32 v23, v32 offset:3120
	ds_load_b32 v24, v34
	s_wait_dscnt 0x0
	v_fmac_f32_e32 v22, v23, v24
.LBB24_199:                             ;   in Loop: Header=BB24_3 Depth=1
	s_or_b32 exec_lo, exec_lo, s64
	s_barrier_signal -1
	s_barrier_wait -1
	s_and_saveexec_b32 s64, s98
	s_cbranch_execz .LBB24_201
; %bb.200:                              ;   in Loop: Header=BB24_3 Depth=1
	ds_load_b32 v23, v5 offset:3380
	s_wait_dscnt 0x0
	v_mul_f32_e32 v22, v22, v23
	ds_store_b32 v34, v22
.LBB24_201:                             ;   in Loop: Header=BB24_3 Depth=1
	s_or_b32 exec_lo, exec_lo, s64
	s_wait_dscnt 0x0
	s_barrier_signal -1
	s_barrier_wait -1
	s_and_saveexec_b32 s64, s99
	s_cbranch_execz .LBB24_203
; %bb.202:                              ;   in Loop: Header=BB24_3 Depth=1
	ds_load_b32 v23, v32 offset:3376
	ds_load_b32 v24, v34
	s_wait_dscnt 0x0
	v_fmac_f32_e32 v22, v23, v24
.LBB24_203:                             ;   in Loop: Header=BB24_3 Depth=1
	s_or_b32 exec_lo, exec_lo, s64
	s_barrier_signal -1
	s_barrier_wait -1
	;; [unrolled: 23-line block ×3, first 2 shown]
	s_and_saveexec_b32 s64, s101
	s_cbranch_execz .LBB24_209
; %bb.208:                              ;   in Loop: Header=BB24_3 Depth=1
	ds_load_b32 v23, v5 offset:3900
	s_wait_dscnt 0x0
	v_mul_f32_e32 v22, v22, v23
	ds_store_b32 v34, v22
.LBB24_209:                             ;   in Loop: Header=BB24_3 Depth=1
	s_or_b32 exec_lo, exec_lo, s64
	s_wait_dscnt 0x0
	s_barrier_signal -1
	s_barrier_wait -1
	s_barrier_signal -1
	s_barrier_wait -1
	s_and_saveexec_b32 s64, s2
; %bb.210:                              ;   in Loop: Header=BB24_3 Depth=1
	v_xor_b32_e32 v22, 0x80000000, v22
	ds_store_b32 v35, v22 offset:2096
; %bb.211:                              ;   in Loop: Header=BB24_3 Depth=1
	s_or_b32 exec_lo, exec_lo, s64
	s_wait_dscnt 0x0
	s_barrier_signal -1
	s_barrier_wait -1
	s_barrier_signal -1
	s_barrier_wait -1
	s_and_saveexec_b32 s64, s102
	s_cbranch_execz .LBB24_213
; %bb.212:                              ;   in Loop: Header=BB24_3 Depth=1
	ds_load_b32 v22, v51 offset:2096
	s_wait_dscnt 0x0
	ds_store_b32 v52, v22 offset:3104
	ds_load_b32 v22, v51 offset:2100
	s_wait_dscnt 0x0
	ds_store_b32 v52, v22 offset:3360
	;; [unrolled: 3-line block ×4, first 2 shown]
.LBB24_213:                             ;   in Loop: Header=BB24_3 Depth=1
	s_or_b32 exec_lo, exec_lo, s64
	s_wait_dscnt 0x0
	s_barrier_signal -1
	s_barrier_wait -1
	s_and_saveexec_b32 s64, s15
	s_cbranch_execz .LBB24_215
; %bb.214:                              ;   in Loop: Header=BB24_3 Depth=1
	ds_load_b64 v[22:23], v5 offset:3120
	ds_load_b32 v24, v5 offset:3380
	s_wait_dscnt 0x0
	v_mul_f32_e32 v22, v22, v24
	s_delay_alu instid0(VALU_DEP_1)
	v_mul_f32_e32 v22, v23, v22
	v_add_nc_u32_e64 v23, 0xc00, 0
	ds_store_2addr_b32 v23, v22, v22 offset0:13 offset1:76
.LBB24_215:                             ;   in Loop: Header=BB24_3 Depth=1
	s_or_b32 exec_lo, exec_lo, s64
	v_mov_b32_e32 v22, 0
	s_wait_dscnt 0x0
	s_barrier_signal -1
	s_barrier_wait -1
	s_and_saveexec_b32 s64, s0
	s_cbranch_execz .LBB24_219
; %bb.216:                              ;   in Loop: Header=BB24_3 Depth=1
	ds_load_b32 v22, v27 offset:3128
	ds_load_b32 v23, v28 offset:3120
	s_wait_dscnt 0x0
	v_fma_f32 v22, v22, v23, 0
	s_and_saveexec_b32 s65, s16
	s_cbranch_execz .LBB24_218
; %bb.217:                              ;   in Loop: Header=BB24_3 Depth=1
	ds_load_b32 v23, v52 offset:3384
	ds_load_b32 v24, v5 offset:3124
	s_wait_dscnt 0x0
	v_fmac_f32_e32 v22, v23, v24
.LBB24_218:                             ;   in Loop: Header=BB24_3 Depth=1
	s_or_b32 exec_lo, exec_lo, s65
	s_delay_alu instid0(VALU_DEP_1)
	v_xor_b32_e32 v22, 0x80000000, v22
.LBB24_219:                             ;   in Loop: Header=BB24_3 Depth=1
	s_or_b32 exec_lo, exec_lo, s64
	s_and_saveexec_b32 s64, s93
	s_cbranch_execz .LBB24_221
; %bb.220:                              ;   in Loop: Header=BB24_3 Depth=1
	ds_load_b32 v23, v5 offset:3640
	s_wait_dscnt 0x0
	v_mul_f32_e32 v22, v22, v23
	ds_store_b32 v3, v22
.LBB24_221:                             ;   in Loop: Header=BB24_3 Depth=1
	s_or_b32 exec_lo, exec_lo, s64
	s_wait_dscnt 0x0
	s_barrier_signal -1
	s_barrier_wait -1
	s_and_saveexec_b32 s64, s94
	s_cbranch_execz .LBB24_223
; %bb.222:                              ;   in Loop: Header=BB24_3 Depth=1
	ds_load_b32 v23, v5 offset:3644
	ds_load_b32 v24, v3
	s_wait_dscnt 0x0
	v_fmac_f32_e32 v22, v23, v24
.LBB24_223:                             ;   in Loop: Header=BB24_3 Depth=1
	s_or_b32 exec_lo, exec_lo, s64
	s_barrier_signal -1
	s_barrier_wait -1
	s_and_saveexec_b32 s64, s94
	s_cbranch_execz .LBB24_225
; %bb.224:                              ;   in Loop: Header=BB24_3 Depth=1
	ds_load_b32 v23, v5 offset:3900
	s_wait_dscnt 0x0
	v_mul_f32_e32 v22, v22, v23
	ds_store_b32 v3, v22
.LBB24_225:                             ;   in Loop: Header=BB24_3 Depth=1
	s_or_b32 exec_lo, exec_lo, s64
	s_wait_dscnt 0x0
	s_barrier_signal -1
	s_barrier_wait -1
	s_barrier_signal -1
	s_barrier_wait -1
	s_and_saveexec_b32 s64, s0
; %bb.226:                              ;   in Loop: Header=BB24_3 Depth=1
	v_xor_b32_e32 v22, 0x80000000, v22
	ds_store_b32 v27, v22 offset:3128
; %bb.227:                              ;   in Loop: Header=BB24_3 Depth=1
	s_or_b32 exec_lo, exec_lo, s64
	s_wait_dscnt 0x0
	s_barrier_signal -1
	s_barrier_wait -1
	s_barrier_signal -1
	s_barrier_wait -1
	s_and_saveexec_b32 s64, s95
	s_cbranch_execz .LBB24_229
; %bb.228:                              ;   in Loop: Header=BB24_3 Depth=1
	ds_load_b32 v22, v54 offset:3128
	s_wait_dscnt 0x0
	ds_store_b32 v52, v22 offset:3632
	ds_load_b32 v22, v54 offset:3132
	s_wait_dscnt 0x0
	ds_store_b32 v52, v22 offset:3888
.LBB24_229:                             ;   in Loop: Header=BB24_3 Depth=1
	s_or_b32 exec_lo, exec_lo, s64
	s_wait_dscnt 0x0
	s_barrier_signal -1
	s_barrier_wait -1
	s_and_saveexec_b32 s64, s15
	s_cbranch_execz .LBB24_231
; %bb.230:                              ;   in Loop: Header=BB24_3 Depth=1
	ds_load_b64 v[22:23], v5 offset:3640
	ds_load_b32 v24, v5 offset:3900
	s_wait_dscnt 0x0
	v_mul_f32_e32 v22, v22, v24
	s_delay_alu instid0(VALU_DEP_1)
	v_mul_f32_e32 v22, v23, v22
	v_add_nc_u32_e64 v23, 0xc00, 0
	ds_store_2addr_b32 v23, v22, v22 offset0:143 offset1:206
.LBB24_231:                             ;   in Loop: Header=BB24_3 Depth=1
	s_or_b32 exec_lo, exec_lo, s64
	v_mov_b32_e32 v22, 0
	s_wait_dscnt 0x0
	s_barrier_signal -1
	s_barrier_wait -1
	s_and_saveexec_b32 s69, s4
	s_cbranch_execz .LBB24_259
; %bb.232:                              ;   in Loop: Header=BB24_3 Depth=1
	ds_load_b32 v22, v57 offset:64
	ds_load_b32 v23, v53
	s_wait_dscnt 0x0
	v_fma_f32 v22, v22, v23, 0
	s_mov_b32 s64, exec_lo
	v_readlane_b32 s65, v89, 25
	s_and_b32 s65, s64, s65
	s_delay_alu instid0(SALU_CYCLE_1)
	s_mov_b32 exec_lo, s65
	s_cbranch_execz .LBB24_234
; %bb.233:                              ;   in Loop: Header=BB24_3 Depth=1
	ds_load_b32 v23, v58 offset:320
	ds_load_b32 v24, v53 offset:4
	s_wait_dscnt 0x0
	v_fmac_f32_e32 v22, v23, v24
.LBB24_234:                             ;   in Loop: Header=BB24_3 Depth=1
	s_or_b32 exec_lo, exec_lo, s64
	s_delay_alu instid0(SALU_CYCLE_1) | instskip(SKIP_2) | instid1(SALU_CYCLE_1)
	s_mov_b32 s64, exec_lo
	v_readlane_b32 s65, v89, 26
	s_and_b32 s65, s64, s65
	s_mov_b32 exec_lo, s65
	s_cbranch_execz .LBB24_236
; %bb.235:                              ;   in Loop: Header=BB24_3 Depth=1
	ds_load_b32 v23, v58 offset:576
	ds_load_b32 v24, v53 offset:8
	s_wait_dscnt 0x0
	v_fmac_f32_e32 v22, v23, v24
.LBB24_236:                             ;   in Loop: Header=BB24_3 Depth=1
	s_or_b32 exec_lo, exec_lo, s64
	s_delay_alu instid0(SALU_CYCLE_1) | instskip(SKIP_2) | instid1(SALU_CYCLE_1)
	s_mov_b32 s64, exec_lo
	v_readlane_b32 s65, v89, 27
	s_and_b32 s65, s64, s65
	;; [unrolled: 13-line block ×10, first 2 shown]
	s_mov_b32 exec_lo, s65
	s_cbranch_execnz .LBB24_1217
; %bb.253:                              ;   in Loop: Header=BB24_3 Depth=1
	s_or_b32 exec_lo, exec_lo, s64
	s_and_saveexec_b32 s64, s3
	s_cbranch_execnz .LBB24_1218
.LBB24_254:                             ;   in Loop: Header=BB24_3 Depth=1
	s_or_b32 exec_lo, exec_lo, s64
	s_and_saveexec_b32 s64, s20
	s_cbranch_execnz .LBB24_1219
.LBB24_255:                             ;   in Loop: Header=BB24_3 Depth=1
	s_or_b32 exec_lo, exec_lo, s64
	s_and_saveexec_b32 s64, s22
	s_cbranch_execnz .LBB24_1220
.LBB24_256:                             ;   in Loop: Header=BB24_3 Depth=1
	s_or_b32 exec_lo, exec_lo, s64
	s_and_saveexec_b32 s64, s2
	s_cbranch_execz .LBB24_258
.LBB24_257:                             ;   in Loop: Header=BB24_3 Depth=1
	ds_load_b32 v23, v29 offset:3904
	ds_load_b32 v24, v5 offset:60
	s_wait_dscnt 0x0
	v_fmac_f32_e32 v22, v23, v24
.LBB24_258:                             ;   in Loop: Header=BB24_3 Depth=1
	s_or_b32 exec_lo, exec_lo, s64
	s_delay_alu instid0(VALU_DEP_1)
	v_xor_b32_e32 v22, 0x80000000, v22
.LBB24_259:                             ;   in Loop: Header=BB24_3 Depth=1
	s_or_b32 exec_lo, exec_lo, s69
	s_and_saveexec_b32 s64, s48
	s_cbranch_execz .LBB24_261
; %bb.260:                              ;   in Loop: Header=BB24_3 Depth=1
	ds_load_b32 v23, v5 offset:4160
	s_wait_dscnt 0x0
	v_mul_f32_e32 v22, v22, v23
	ds_store_b32 v56, v22
.LBB24_261:                             ;   in Loop: Header=BB24_3 Depth=1
	s_or_b32 exec_lo, exec_lo, s64
	s_wait_dscnt 0x0
	s_barrier_signal -1
	s_barrier_wait -1
	s_and_saveexec_b32 s64, s49
	s_cbranch_execz .LBB24_263
; %bb.262:                              ;   in Loop: Header=BB24_3 Depth=1
	ds_load_b32 v23, v55 offset:4160
	ds_load_b32 v24, v56
	s_wait_dscnt 0x0
	v_fmac_f32_e32 v22, v23, v24
.LBB24_263:                             ;   in Loop: Header=BB24_3 Depth=1
	s_or_b32 exec_lo, exec_lo, s64
	s_barrier_signal -1
	s_barrier_wait -1
	s_and_saveexec_b32 s64, s50
	s_cbranch_execz .LBB24_265
; %bb.264:                              ;   in Loop: Header=BB24_3 Depth=1
	ds_load_b32 v23, v5 offset:4420
	s_wait_dscnt 0x0
	v_mul_f32_e32 v22, v22, v23
	ds_store_b32 v56, v22
.LBB24_265:                             ;   in Loop: Header=BB24_3 Depth=1
	s_or_b32 exec_lo, exec_lo, s64
	s_wait_dscnt 0x0
	s_barrier_signal -1
	s_barrier_wait -1
	s_and_saveexec_b32 s64, s51
	s_cbranch_execz .LBB24_267
; %bb.266:                              ;   in Loop: Header=BB24_3 Depth=1
	ds_load_b32 v23, v55 offset:4416
	ds_load_b32 v24, v56
	s_wait_dscnt 0x0
	v_fmac_f32_e32 v22, v23, v24
.LBB24_267:                             ;   in Loop: Header=BB24_3 Depth=1
	s_or_b32 exec_lo, exec_lo, s64
	s_barrier_signal -1
	s_barrier_wait -1
	;; [unrolled: 23-line block ×15, first 2 shown]
	s_and_saveexec_b32 s64, s91
	s_cbranch_execz .LBB24_321
; %bb.320:                              ;   in Loop: Header=BB24_3 Depth=1
	ds_load_b32 v23, v5 offset:8060
	s_wait_dscnt 0x0
	v_mul_f32_e32 v22, v22, v23
	ds_store_b32 v56, v22
.LBB24_321:                             ;   in Loop: Header=BB24_3 Depth=1
	s_or_b32 exec_lo, exec_lo, s64
	s_wait_dscnt 0x0
	s_barrier_signal -1
	s_barrier_wait -1
	s_barrier_signal -1
	s_barrier_wait -1
	s_and_saveexec_b32 s64, s4
; %bb.322:                              ;   in Loop: Header=BB24_3 Depth=1
	v_xor_b32_e32 v22, 0x80000000, v22
	ds_store_b32 v57, v22 offset:64
; %bb.323:                              ;   in Loop: Header=BB24_3 Depth=1
	s_or_b32 exec_lo, exec_lo, s64
	s_wait_dscnt 0x0
	s_barrier_signal -1
	s_barrier_wait -1
	s_barrier_signal -1
	s_barrier_wait -1
	s_and_saveexec_b32 s65, s86
	s_cbranch_execz .LBB24_325
; %bb.324:                              ;   in Loop: Header=BB24_3 Depth=1
	ds_load_b32 v22, v33 offset:64
	s_wait_dscnt 0x0
	ds_store_b32 v37, v22 offset:4096
	ds_load_b32 v22, v33 offset:68
	s_wait_dscnt 0x0
	ds_store_b32 v37, v22 offset:4352
	;; [unrolled: 3-line block ×16, first 2 shown]
.LBB24_325:                             ;   in Loop: Header=BB24_3 Depth=1
	s_or_b32 exec_lo, exec_lo, s65
	s_wait_dscnt 0x0
	s_barrier_signal -1
	s_barrier_wait -1
	s_and_saveexec_b32 s64, s15
	s_cbranch_execz .LBB24_327
; %bb.326:                              ;   in Loop: Header=BB24_3 Depth=1
	ds_load_b64 v[22:23], v5 offset:4160
	ds_load_b32 v24, v5 offset:4420
	s_wait_dscnt 0x0
	v_mul_f32_e32 v22, v22, v24
	s_delay_alu instid0(VALU_DEP_1)
	v_mul_f32_e32 v22, v23, v22
	v_add_nc_u32_e64 v23, 0x1000, 0
	ds_store_2addr_b32 v23, v22, v22 offset0:17 offset1:80
.LBB24_327:                             ;   in Loop: Header=BB24_3 Depth=1
	s_or_b32 exec_lo, exec_lo, s64
	v_mov_b32_e32 v22, 0
	s_wait_dscnt 0x0
	s_barrier_signal -1
	s_barrier_wait -1
	s_and_saveexec_b32 s64, s0
	s_cbranch_execz .LBB24_331
; %bb.328:                              ;   in Loop: Header=BB24_3 Depth=1
	ds_load_b32 v22, v27 offset:4168
	ds_load_b32 v23, v28 offset:4160
	s_wait_dscnt 0x0
	v_fma_f32 v22, v22, v23, 0
	s_and_saveexec_b32 s65, s16
	s_cbranch_execz .LBB24_330
; %bb.329:                              ;   in Loop: Header=BB24_3 Depth=1
	ds_load_b32 v23, v29 offset:4424
	ds_load_b32 v24, v5 offset:4164
	s_wait_dscnt 0x0
	v_fmac_f32_e32 v22, v23, v24
.LBB24_330:                             ;   in Loop: Header=BB24_3 Depth=1
	s_or_b32 exec_lo, exec_lo, s65
	s_delay_alu instid0(VALU_DEP_1)
	v_xor_b32_e32 v22, 0x80000000, v22
.LBB24_331:                             ;   in Loop: Header=BB24_3 Depth=1
	s_or_b32 exec_lo, exec_lo, s64
	s_and_saveexec_b32 s64, s93
	s_cbranch_execz .LBB24_333
; %bb.332:                              ;   in Loop: Header=BB24_3 Depth=1
	ds_load_b32 v23, v5 offset:4680
	s_wait_dscnt 0x0
	v_mul_f32_e32 v22, v22, v23
	ds_store_b32 v3, v22
.LBB24_333:                             ;   in Loop: Header=BB24_3 Depth=1
	s_or_b32 exec_lo, exec_lo, s64
	s_wait_dscnt 0x0
	s_barrier_signal -1
	s_barrier_wait -1
	s_and_saveexec_b32 s64, s94
	s_cbranch_execz .LBB24_335
; %bb.334:                              ;   in Loop: Header=BB24_3 Depth=1
	ds_load_b32 v23, v5 offset:4684
	ds_load_b32 v24, v3
	s_wait_dscnt 0x0
	v_fmac_f32_e32 v22, v23, v24
.LBB24_335:                             ;   in Loop: Header=BB24_3 Depth=1
	s_or_b32 exec_lo, exec_lo, s64
	s_barrier_signal -1
	s_barrier_wait -1
	s_and_saveexec_b32 s64, s94
	s_cbranch_execz .LBB24_337
; %bb.336:                              ;   in Loop: Header=BB24_3 Depth=1
	ds_load_b32 v23, v5 offset:4940
	s_wait_dscnt 0x0
	v_mul_f32_e32 v22, v22, v23
	ds_store_b32 v3, v22
.LBB24_337:                             ;   in Loop: Header=BB24_3 Depth=1
	s_or_b32 exec_lo, exec_lo, s64
	s_wait_dscnt 0x0
	s_barrier_signal -1
	s_barrier_wait -1
	s_barrier_signal -1
	s_barrier_wait -1
	s_and_saveexec_b32 s64, s0
; %bb.338:                              ;   in Loop: Header=BB24_3 Depth=1
	v_xor_b32_e32 v22, 0x80000000, v22
	ds_store_b32 v27, v22 offset:4168
; %bb.339:                              ;   in Loop: Header=BB24_3 Depth=1
	s_or_b32 exec_lo, exec_lo, s64
	s_wait_dscnt 0x0
	s_barrier_signal -1
	s_barrier_wait -1
	s_barrier_signal -1
	s_barrier_wait -1
	s_and_saveexec_b32 s64, s95
	s_cbranch_execz .LBB24_341
; %bb.340:                              ;   in Loop: Header=BB24_3 Depth=1
	ds_load_b32 v22, v33 offset:4168
	s_wait_dscnt 0x0
	ds_store_b32 v29, v22 offset:4672
	ds_load_b32 v22, v33 offset:4172
	s_wait_dscnt 0x0
	ds_store_b32 v29, v22 offset:4928
.LBB24_341:                             ;   in Loop: Header=BB24_3 Depth=1
	s_or_b32 exec_lo, exec_lo, s64
	s_wait_dscnt 0x0
	s_barrier_signal -1
	s_barrier_wait -1
	s_and_saveexec_b32 s64, s15
	s_cbranch_execz .LBB24_343
; %bb.342:                              ;   in Loop: Header=BB24_3 Depth=1
	ds_load_b64 v[22:23], v5 offset:4680
	ds_load_b32 v24, v5 offset:4940
	s_wait_dscnt 0x0
	v_mul_f32_e32 v22, v22, v24
	s_delay_alu instid0(VALU_DEP_1)
	v_mul_f32_e32 v22, v23, v22
	v_add_nc_u32_e64 v23, 0x1000, 0
	ds_store_2addr_b32 v23, v22, v22 offset0:147 offset1:210
.LBB24_343:                             ;   in Loop: Header=BB24_3 Depth=1
	s_or_b32 exec_lo, exec_lo, s64
	v_mov_b32_e32 v22, 0
	s_wait_dscnt 0x0
	s_barrier_signal -1
	s_barrier_wait -1
	s_and_saveexec_b32 s69, s2
	s_cbranch_execz .LBB24_349
; %bb.344:                              ;   in Loop: Header=BB24_3 Depth=1
	ds_load_b32 v22, v35 offset:4176
	ds_load_b32 v23, v30 offset:4160
	s_wait_dscnt 0x0
	v_fma_f32 v22, v22, v23, 0
	s_and_saveexec_b32 s64, s17
	s_cbranch_execnz .LBB24_1221
; %bb.345:                              ;   in Loop: Header=BB24_3 Depth=1
	s_or_b32 exec_lo, exec_lo, s64
	s_and_saveexec_b32 s64, s18
	s_cbranch_execnz .LBB24_1222
.LBB24_346:                             ;   in Loop: Header=BB24_3 Depth=1
	s_or_b32 exec_lo, exec_lo, s64
	s_and_saveexec_b32 s64, s0
	s_cbranch_execz .LBB24_348
.LBB24_347:                             ;   in Loop: Header=BB24_3 Depth=1
	ds_load_b32 v23, v37 offset:4944
	ds_load_b32 v24, v5 offset:4172
	s_wait_dscnt 0x0
	v_fmac_f32_e32 v22, v23, v24
.LBB24_348:                             ;   in Loop: Header=BB24_3 Depth=1
	s_or_b32 exec_lo, exec_lo, s64
	s_delay_alu instid0(VALU_DEP_1)
	v_xor_b32_e32 v22, 0x80000000, v22
.LBB24_349:                             ;   in Loop: Header=BB24_3 Depth=1
	s_or_b32 exec_lo, exec_lo, s69
	s_and_saveexec_b32 s64, s96
	s_cbranch_execz .LBB24_351
; %bb.350:                              ;   in Loop: Header=BB24_3 Depth=1
	ds_load_b32 v23, v5 offset:5200
	s_wait_dscnt 0x0
	v_mul_f32_e32 v22, v22, v23
	ds_store_b32 v34, v22
.LBB24_351:                             ;   in Loop: Header=BB24_3 Depth=1
	s_or_b32 exec_lo, exec_lo, s64
	s_wait_dscnt 0x0
	s_barrier_signal -1
	s_barrier_wait -1
	s_and_saveexec_b32 s64, s97
	s_cbranch_execz .LBB24_353
; %bb.352:                              ;   in Loop: Header=BB24_3 Depth=1
	ds_load_b32 v23, v32 offset:5200
	ds_load_b32 v24, v34
	s_wait_dscnt 0x0
	v_fmac_f32_e32 v22, v23, v24
.LBB24_353:                             ;   in Loop: Header=BB24_3 Depth=1
	s_or_b32 exec_lo, exec_lo, s64
	s_barrier_signal -1
	s_barrier_wait -1
	s_and_saveexec_b32 s64, s98
	s_cbranch_execz .LBB24_355
; %bb.354:                              ;   in Loop: Header=BB24_3 Depth=1
	ds_load_b32 v23, v5 offset:5460
	s_wait_dscnt 0x0
	v_mul_f32_e32 v22, v22, v23
	ds_store_b32 v34, v22
.LBB24_355:                             ;   in Loop: Header=BB24_3 Depth=1
	s_or_b32 exec_lo, exec_lo, s64
	s_wait_dscnt 0x0
	s_barrier_signal -1
	s_barrier_wait -1
	s_and_saveexec_b32 s64, s99
	s_cbranch_execz .LBB24_357
; %bb.356:                              ;   in Loop: Header=BB24_3 Depth=1
	ds_load_b32 v23, v32 offset:5456
	ds_load_b32 v24, v34
	s_wait_dscnt 0x0
	v_fmac_f32_e32 v22, v23, v24
.LBB24_357:                             ;   in Loop: Header=BB24_3 Depth=1
	s_or_b32 exec_lo, exec_lo, s64
	s_barrier_signal -1
	s_barrier_wait -1
	;; [unrolled: 23-line block ×3, first 2 shown]
	s_and_saveexec_b32 s64, s101
	s_cbranch_execz .LBB24_363
; %bb.362:                              ;   in Loop: Header=BB24_3 Depth=1
	ds_load_b32 v23, v5 offset:5980
	s_wait_dscnt 0x0
	v_mul_f32_e32 v22, v22, v23
	ds_store_b32 v34, v22
.LBB24_363:                             ;   in Loop: Header=BB24_3 Depth=1
	s_or_b32 exec_lo, exec_lo, s64
	s_wait_dscnt 0x0
	s_barrier_signal -1
	s_barrier_wait -1
	s_barrier_signal -1
	s_barrier_wait -1
	s_and_saveexec_b32 s64, s2
; %bb.364:                              ;   in Loop: Header=BB24_3 Depth=1
	v_xor_b32_e32 v22, 0x80000000, v22
	ds_store_b32 v35, v22 offset:4176
; %bb.365:                              ;   in Loop: Header=BB24_3 Depth=1
	s_or_b32 exec_lo, exec_lo, s64
	s_wait_dscnt 0x0
	s_barrier_signal -1
	s_barrier_wait -1
	s_barrier_signal -1
	s_barrier_wait -1
	s_and_saveexec_b32 s64, s102
	s_cbranch_execz .LBB24_367
; %bb.366:                              ;   in Loop: Header=BB24_3 Depth=1
	ds_load_b32 v22, v38 offset:4176
	s_wait_dscnt 0x0
	ds_store_b32 v40, v22 offset:5184
	ds_load_b32 v22, v38 offset:4180
	s_wait_dscnt 0x0
	ds_store_b32 v40, v22 offset:5440
	;; [unrolled: 3-line block ×4, first 2 shown]
.LBB24_367:                             ;   in Loop: Header=BB24_3 Depth=1
	s_or_b32 exec_lo, exec_lo, s64
	s_wait_dscnt 0x0
	s_barrier_signal -1
	s_barrier_wait -1
	s_and_saveexec_b32 s64, s15
	s_cbranch_execz .LBB24_369
; %bb.368:                              ;   in Loop: Header=BB24_3 Depth=1
	ds_load_b64 v[22:23], v5 offset:5200
	ds_load_b32 v24, v5 offset:5460
	s_wait_dscnt 0x0
	v_mul_f32_e32 v22, v22, v24
	s_delay_alu instid0(VALU_DEP_1)
	v_mul_f32_e32 v22, v23, v22
	v_add_nc_u32_e64 v23, 0x1400, 0
	ds_store_2addr_b32 v23, v22, v22 offset0:21 offset1:84
.LBB24_369:                             ;   in Loop: Header=BB24_3 Depth=1
	s_or_b32 exec_lo, exec_lo, s64
	v_mov_b32_e32 v22, 0
	s_wait_dscnt 0x0
	s_barrier_signal -1
	s_barrier_wait -1
	s_and_saveexec_b32 s64, s0
	s_cbranch_execz .LBB24_373
; %bb.370:                              ;   in Loop: Header=BB24_3 Depth=1
	ds_load_b32 v22, v27 offset:5208
	ds_load_b32 v23, v28 offset:5200
	s_wait_dscnt 0x0
	v_fma_f32 v22, v22, v23, 0
	s_and_saveexec_b32 s65, s16
	s_cbranch_execz .LBB24_372
; %bb.371:                              ;   in Loop: Header=BB24_3 Depth=1
	ds_load_b32 v23, v40 offset:5464
	ds_load_b32 v24, v5 offset:5204
	s_wait_dscnt 0x0
	v_fmac_f32_e32 v22, v23, v24
.LBB24_372:                             ;   in Loop: Header=BB24_3 Depth=1
	s_or_b32 exec_lo, exec_lo, s65
	s_delay_alu instid0(VALU_DEP_1)
	v_xor_b32_e32 v22, 0x80000000, v22
.LBB24_373:                             ;   in Loop: Header=BB24_3 Depth=1
	s_or_b32 exec_lo, exec_lo, s64
	s_and_saveexec_b32 s64, s93
	s_cbranch_execz .LBB24_375
; %bb.374:                              ;   in Loop: Header=BB24_3 Depth=1
	ds_load_b32 v23, v5 offset:5720
	s_wait_dscnt 0x0
	v_mul_f32_e32 v22, v22, v23
	ds_store_b32 v3, v22
.LBB24_375:                             ;   in Loop: Header=BB24_3 Depth=1
	s_or_b32 exec_lo, exec_lo, s64
	s_wait_dscnt 0x0
	s_barrier_signal -1
	s_barrier_wait -1
	s_and_saveexec_b32 s64, s94
	s_cbranch_execz .LBB24_377
; %bb.376:                              ;   in Loop: Header=BB24_3 Depth=1
	ds_load_b32 v23, v5 offset:5724
	ds_load_b32 v24, v3
	s_wait_dscnt 0x0
	v_fmac_f32_e32 v22, v23, v24
.LBB24_377:                             ;   in Loop: Header=BB24_3 Depth=1
	s_or_b32 exec_lo, exec_lo, s64
	s_barrier_signal -1
	s_barrier_wait -1
	s_and_saveexec_b32 s64, s94
	s_cbranch_execz .LBB24_379
; %bb.378:                              ;   in Loop: Header=BB24_3 Depth=1
	ds_load_b32 v23, v5 offset:5980
	s_wait_dscnt 0x0
	v_mul_f32_e32 v22, v22, v23
	ds_store_b32 v3, v22
.LBB24_379:                             ;   in Loop: Header=BB24_3 Depth=1
	s_or_b32 exec_lo, exec_lo, s64
	s_wait_dscnt 0x0
	s_barrier_signal -1
	s_barrier_wait -1
	s_barrier_signal -1
	s_barrier_wait -1
	s_and_saveexec_b32 s64, s0
; %bb.380:                              ;   in Loop: Header=BB24_3 Depth=1
	v_xor_b32_e32 v22, 0x80000000, v22
	ds_store_b32 v27, v22 offset:5208
; %bb.381:                              ;   in Loop: Header=BB24_3 Depth=1
	s_or_b32 exec_lo, exec_lo, s64
	s_wait_dscnt 0x0
	s_barrier_signal -1
	s_barrier_wait -1
	s_barrier_signal -1
	s_barrier_wait -1
	s_and_saveexec_b32 s64, s95
	s_cbranch_execz .LBB24_383
; %bb.382:                              ;   in Loop: Header=BB24_3 Depth=1
	ds_load_b32 v22, v42 offset:5208
	s_wait_dscnt 0x0
	ds_store_b32 v40, v22 offset:5712
	ds_load_b32 v22, v42 offset:5212
	s_wait_dscnt 0x0
	ds_store_b32 v40, v22 offset:5968
.LBB24_383:                             ;   in Loop: Header=BB24_3 Depth=1
	s_or_b32 exec_lo, exec_lo, s64
	s_wait_dscnt 0x0
	s_barrier_signal -1
	s_barrier_wait -1
	s_and_saveexec_b32 s64, s15
	s_cbranch_execz .LBB24_385
; %bb.384:                              ;   in Loop: Header=BB24_3 Depth=1
	ds_load_b64 v[22:23], v5 offset:5720
	ds_load_b32 v24, v5 offset:5980
	s_wait_dscnt 0x0
	v_mul_f32_e32 v22, v22, v24
	s_delay_alu instid0(VALU_DEP_1)
	v_mul_f32_e32 v22, v23, v22
	v_add_nc_u32_e64 v23, 0x1400, 0
	ds_store_2addr_b32 v23, v22, v22 offset0:151 offset1:214
.LBB24_385:                             ;   in Loop: Header=BB24_3 Depth=1
	s_or_b32 exec_lo, exec_lo, s64
	v_mov_b32_e32 v22, 0
	s_wait_dscnt 0x0
	s_barrier_signal -1
	s_barrier_wait -1
	s_and_saveexec_b32 s69, s3
	s_cbranch_execz .LBB24_395
; %bb.386:                              ;   in Loop: Header=BB24_3 Depth=1
	ds_load_b32 v22, v44 offset:4192
	ds_load_b32 v23, v39 offset:4160
	s_wait_dscnt 0x0
	v_fma_f32 v22, v22, v23, 0
	s_and_saveexec_b32 s64, s19
	s_cbranch_execnz .LBB24_1223
; %bb.387:                              ;   in Loop: Header=BB24_3 Depth=1
	s_or_b32 exec_lo, exec_lo, s64
	s_and_saveexec_b32 s64, s20
	s_cbranch_execnz .LBB24_1224
.LBB24_388:                             ;   in Loop: Header=BB24_3 Depth=1
	s_or_b32 exec_lo, exec_lo, s64
	s_and_saveexec_b32 s64, s21
	s_cbranch_execnz .LBB24_1225
.LBB24_389:                             ;   in Loop: Header=BB24_3 Depth=1
	s_or_b32 exec_lo, exec_lo, s64
	s_and_saveexec_b32 s64, s22
	s_cbranch_execnz .LBB24_1226
.LBB24_390:                             ;   in Loop: Header=BB24_3 Depth=1
	s_or_b32 exec_lo, exec_lo, s64
	s_and_saveexec_b32 s64, s23
	s_cbranch_execnz .LBB24_1227
.LBB24_391:                             ;   in Loop: Header=BB24_3 Depth=1
	s_or_b32 exec_lo, exec_lo, s64
	s_and_saveexec_b32 s64, s2
	s_cbranch_execnz .LBB24_1228
.LBB24_392:                             ;   in Loop: Header=BB24_3 Depth=1
	s_or_b32 exec_lo, exec_lo, s64
	s_and_saveexec_b32 s64, s18
	s_cbranch_execz .LBB24_394
.LBB24_393:                             ;   in Loop: Header=BB24_3 Depth=1
	ds_load_b32 v23, v46 offset:5984
	ds_load_b32 v24, v5 offset:4188
	s_wait_dscnt 0x0
	v_fmac_f32_e32 v22, v23, v24
.LBB24_394:                             ;   in Loop: Header=BB24_3 Depth=1
	s_or_b32 exec_lo, exec_lo, s64
	s_delay_alu instid0(VALU_DEP_1)
	v_xor_b32_e32 v22, 0x80000000, v22
.LBB24_395:                             ;   in Loop: Header=BB24_3 Depth=1
	s_or_b32 exec_lo, exec_lo, s69
	s_and_saveexec_b32 s64, s103
	s_cbranch_execz .LBB24_397
; %bb.396:                              ;   in Loop: Header=BB24_3 Depth=1
	ds_load_b32 v23, v5 offset:6240
	s_wait_dscnt 0x0
	v_mul_f32_e32 v22, v22, v23
	ds_store_b32 v43, v22
.LBB24_397:                             ;   in Loop: Header=BB24_3 Depth=1
	s_or_b32 exec_lo, exec_lo, s64
	s_wait_dscnt 0x0
	s_barrier_signal -1
	s_barrier_wait -1
	s_and_saveexec_b32 s64, s104
	s_cbranch_execz .LBB24_399
; %bb.398:                              ;   in Loop: Header=BB24_3 Depth=1
	ds_load_b32 v23, v41 offset:6240
	ds_load_b32 v24, v43
	s_wait_dscnt 0x0
	v_fmac_f32_e32 v22, v23, v24
.LBB24_399:                             ;   in Loop: Header=BB24_3 Depth=1
	s_or_b32 exec_lo, exec_lo, s64
	s_barrier_signal -1
	s_barrier_wait -1
	s_and_saveexec_b32 s64, vcc_hi
	s_cbranch_execz .LBB24_401
; %bb.400:                              ;   in Loop: Header=BB24_3 Depth=1
	ds_load_b32 v23, v5 offset:6500
	s_wait_dscnt 0x0
	v_mul_f32_e32 v22, v22, v23
	ds_store_b32 v43, v22
.LBB24_401:                             ;   in Loop: Header=BB24_3 Depth=1
	s_or_b32 exec_lo, exec_lo, s64
	s_wait_dscnt 0x0
	s_barrier_signal -1
	s_barrier_wait -1
	s_and_saveexec_b32 s64, s36
	s_cbranch_execz .LBB24_403
; %bb.402:                              ;   in Loop: Header=BB24_3 Depth=1
	ds_load_b32 v23, v41 offset:6496
	ds_load_b32 v24, v43
	s_wait_dscnt 0x0
	v_fmac_f32_e32 v22, v23, v24
.LBB24_403:                             ;   in Loop: Header=BB24_3 Depth=1
	s_or_b32 exec_lo, exec_lo, s64
	s_barrier_signal -1
	s_barrier_wait -1
	s_and_saveexec_b32 s64, s37
	s_cbranch_execz .LBB24_405
; %bb.404:                              ;   in Loop: Header=BB24_3 Depth=1
	ds_load_b32 v23, v5 offset:6760
	s_wait_dscnt 0x0
	v_mul_f32_e32 v22, v22, v23
	ds_store_b32 v43, v22
.LBB24_405:                             ;   in Loop: Header=BB24_3 Depth=1
	s_or_b32 exec_lo, exec_lo, s64
	s_wait_dscnt 0x0
	s_barrier_signal -1
	s_barrier_wait -1
	s_and_saveexec_b32 s64, s38
	s_cbranch_execz .LBB24_407
; %bb.406:                              ;   in Loop: Header=BB24_3 Depth=1
	ds_load_b32 v23, v41 offset:6752
	ds_load_b32 v24, v43
	s_wait_dscnt 0x0
	v_fmac_f32_e32 v22, v23, v24
.LBB24_407:                             ;   in Loop: Header=BB24_3 Depth=1
	s_or_b32 exec_lo, exec_lo, s64
	s_barrier_signal -1
	s_barrier_wait -1
	s_and_saveexec_b32 s64, s39
	s_cbranch_execz .LBB24_409
; %bb.408:                              ;   in Loop: Header=BB24_3 Depth=1
	ds_load_b32 v23, v5 offset:7020
	s_wait_dscnt 0x0
	v_mul_f32_e32 v22, v22, v23
	ds_store_b32 v43, v22
.LBB24_409:                             ;   in Loop: Header=BB24_3 Depth=1
	s_or_b32 exec_lo, exec_lo, s64
	s_wait_dscnt 0x0
	s_barrier_signal -1
	s_barrier_wait -1
	s_and_saveexec_b32 s64, s40
	s_cbranch_execz .LBB24_411
; %bb.410:                              ;   in Loop: Header=BB24_3 Depth=1
	ds_load_b32 v23, v41 offset:7008
	ds_load_b32 v24, v43
	s_wait_dscnt 0x0
	v_fmac_f32_e32 v22, v23, v24
.LBB24_411:                             ;   in Loop: Header=BB24_3 Depth=1
	s_or_b32 exec_lo, exec_lo, s64
	s_barrier_signal -1
	s_barrier_wait -1
	s_and_saveexec_b32 s64, s41
	s_cbranch_execz .LBB24_413
; %bb.412:                              ;   in Loop: Header=BB24_3 Depth=1
	ds_load_b32 v23, v5 offset:7280
	s_wait_dscnt 0x0
	v_mul_f32_e32 v22, v22, v23
	ds_store_b32 v43, v22
.LBB24_413:                             ;   in Loop: Header=BB24_3 Depth=1
	s_or_b32 exec_lo, exec_lo, s64
	s_wait_dscnt 0x0
	s_barrier_signal -1
	s_barrier_wait -1
	s_and_saveexec_b32 s64, s42
	s_cbranch_execz .LBB24_415
; %bb.414:                              ;   in Loop: Header=BB24_3 Depth=1
	ds_load_b32 v23, v41 offset:7264
	ds_load_b32 v24, v43
	s_wait_dscnt 0x0
	v_fmac_f32_e32 v22, v23, v24
.LBB24_415:                             ;   in Loop: Header=BB24_3 Depth=1
	s_or_b32 exec_lo, exec_lo, s64
	s_barrier_signal -1
	s_barrier_wait -1
	s_and_saveexec_b32 s64, s43
	s_cbranch_execz .LBB24_417
; %bb.416:                              ;   in Loop: Header=BB24_3 Depth=1
	ds_load_b32 v23, v5 offset:7540
	s_wait_dscnt 0x0
	v_mul_f32_e32 v22, v22, v23
	ds_store_b32 v43, v22
.LBB24_417:                             ;   in Loop: Header=BB24_3 Depth=1
	s_or_b32 exec_lo, exec_lo, s64
	s_wait_dscnt 0x0
	s_barrier_signal -1
	s_barrier_wait -1
	s_and_saveexec_b32 s64, s44
	s_cbranch_execz .LBB24_419
; %bb.418:                              ;   in Loop: Header=BB24_3 Depth=1
	ds_load_b32 v23, v41 offset:7520
	ds_load_b32 v24, v43
	s_wait_dscnt 0x0
	v_fmac_f32_e32 v22, v23, v24
.LBB24_419:                             ;   in Loop: Header=BB24_3 Depth=1
	s_or_b32 exec_lo, exec_lo, s64
	s_barrier_signal -1
	s_barrier_wait -1
	s_and_saveexec_b32 s64, s45
	s_cbranch_execz .LBB24_421
; %bb.420:                              ;   in Loop: Header=BB24_3 Depth=1
	ds_load_b32 v23, v5 offset:7800
	s_wait_dscnt 0x0
	v_mul_f32_e32 v22, v22, v23
	ds_store_b32 v43, v22
.LBB24_421:                             ;   in Loop: Header=BB24_3 Depth=1
	s_or_b32 exec_lo, exec_lo, s64
	s_wait_dscnt 0x0
	s_barrier_signal -1
	s_barrier_wait -1
	s_and_saveexec_b32 s64, s46
	s_cbranch_execz .LBB24_423
; %bb.422:                              ;   in Loop: Header=BB24_3 Depth=1
	ds_load_b32 v23, v5 offset:7804
	ds_load_b32 v24, v43
	s_wait_dscnt 0x0
	v_fmac_f32_e32 v22, v23, v24
.LBB24_423:                             ;   in Loop: Header=BB24_3 Depth=1
	s_or_b32 exec_lo, exec_lo, s64
	s_barrier_signal -1
	s_barrier_wait -1
	s_and_saveexec_b32 s64, s46
	s_cbranch_execz .LBB24_425
; %bb.424:                              ;   in Loop: Header=BB24_3 Depth=1
	ds_load_b32 v23, v5 offset:8060
	s_wait_dscnt 0x0
	v_mul_f32_e32 v22, v22, v23
	ds_store_b32 v43, v22
.LBB24_425:                             ;   in Loop: Header=BB24_3 Depth=1
	s_or_b32 exec_lo, exec_lo, s64
	s_wait_dscnt 0x0
	s_barrier_signal -1
	s_barrier_wait -1
	s_barrier_signal -1
	s_barrier_wait -1
	s_and_saveexec_b32 s64, s3
; %bb.426:                              ;   in Loop: Header=BB24_3 Depth=1
	v_xor_b32_e32 v22, 0x80000000, v22
	ds_store_b32 v44, v22 offset:4192
; %bb.427:                              ;   in Loop: Header=BB24_3 Depth=1
	s_or_b32 exec_lo, exec_lo, s64
	s_wait_dscnt 0x0
	s_barrier_signal -1
	s_barrier_wait -1
	s_barrier_signal -1
	s_barrier_wait -1
	s_and_saveexec_b32 s64, s47
	s_cbranch_execz .LBB24_429
; %bb.428:                              ;   in Loop: Header=BB24_3 Depth=1
	ds_load_b32 v22, v47 offset:4192
	s_wait_dscnt 0x0
	ds_store_b32 v48, v22 offset:6208
	ds_load_b32 v22, v47 offset:4196
	s_wait_dscnt 0x0
	ds_store_b32 v48, v22 offset:6464
	;; [unrolled: 3-line block ×8, first 2 shown]
.LBB24_429:                             ;   in Loop: Header=BB24_3 Depth=1
	s_or_b32 exec_lo, exec_lo, s64
	s_wait_dscnt 0x0
	s_barrier_signal -1
	s_barrier_wait -1
	s_and_saveexec_b32 s64, s15
	s_cbranch_execz .LBB24_431
; %bb.430:                              ;   in Loop: Header=BB24_3 Depth=1
	ds_load_b64 v[22:23], v5 offset:6240
	ds_load_b32 v24, v5 offset:6500
	s_wait_dscnt 0x0
	v_mul_f32_e32 v22, v22, v24
	s_delay_alu instid0(VALU_DEP_1)
	v_mul_f32_e32 v22, v23, v22
	v_add_nc_u32_e64 v23, 0x1800, 0
	ds_store_2addr_b32 v23, v22, v22 offset0:25 offset1:88
.LBB24_431:                             ;   in Loop: Header=BB24_3 Depth=1
	s_or_b32 exec_lo, exec_lo, s64
	v_mov_b32_e32 v22, 0
	s_wait_dscnt 0x0
	s_barrier_signal -1
	s_barrier_wait -1
	s_and_saveexec_b32 s64, s0
	s_cbranch_execz .LBB24_435
; %bb.432:                              ;   in Loop: Header=BB24_3 Depth=1
	ds_load_b32 v22, v27 offset:6248
	ds_load_b32 v23, v28 offset:6240
	s_wait_dscnt 0x0
	v_fma_f32 v22, v22, v23, 0
	s_and_saveexec_b32 s65, s16
	s_cbranch_execz .LBB24_434
; %bb.433:                              ;   in Loop: Header=BB24_3 Depth=1
	ds_load_b32 v23, v48 offset:6504
	ds_load_b32 v24, v5 offset:6244
	s_wait_dscnt 0x0
	v_fmac_f32_e32 v22, v23, v24
.LBB24_434:                             ;   in Loop: Header=BB24_3 Depth=1
	s_or_b32 exec_lo, exec_lo, s65
	s_delay_alu instid0(VALU_DEP_1)
	v_xor_b32_e32 v22, 0x80000000, v22
.LBB24_435:                             ;   in Loop: Header=BB24_3 Depth=1
	s_or_b32 exec_lo, exec_lo, s64
	s_and_saveexec_b32 s64, s93
	s_cbranch_execz .LBB24_437
; %bb.436:                              ;   in Loop: Header=BB24_3 Depth=1
	ds_load_b32 v23, v5 offset:6760
	s_wait_dscnt 0x0
	v_mul_f32_e32 v22, v22, v23
	ds_store_b32 v3, v22
.LBB24_437:                             ;   in Loop: Header=BB24_3 Depth=1
	s_or_b32 exec_lo, exec_lo, s64
	s_wait_dscnt 0x0
	s_barrier_signal -1
	s_barrier_wait -1
	s_and_saveexec_b32 s64, s94
	s_cbranch_execz .LBB24_439
; %bb.438:                              ;   in Loop: Header=BB24_3 Depth=1
	ds_load_b32 v23, v5 offset:6764
	ds_load_b32 v24, v3
	s_wait_dscnt 0x0
	v_fmac_f32_e32 v22, v23, v24
.LBB24_439:                             ;   in Loop: Header=BB24_3 Depth=1
	s_or_b32 exec_lo, exec_lo, s64
	s_barrier_signal -1
	s_barrier_wait -1
	s_and_saveexec_b32 s64, s94
	s_cbranch_execz .LBB24_441
; %bb.440:                              ;   in Loop: Header=BB24_3 Depth=1
	ds_load_b32 v23, v5 offset:7020
	s_wait_dscnt 0x0
	v_mul_f32_e32 v22, v22, v23
	ds_store_b32 v3, v22
.LBB24_441:                             ;   in Loop: Header=BB24_3 Depth=1
	s_or_b32 exec_lo, exec_lo, s64
	s_wait_dscnt 0x0
	s_barrier_signal -1
	s_barrier_wait -1
	s_barrier_signal -1
	s_barrier_wait -1
	s_and_saveexec_b32 s64, s0
; %bb.442:                              ;   in Loop: Header=BB24_3 Depth=1
	v_xor_b32_e32 v22, 0x80000000, v22
	ds_store_b32 v27, v22 offset:6248
; %bb.443:                              ;   in Loop: Header=BB24_3 Depth=1
	s_or_b32 exec_lo, exec_lo, s64
	s_wait_dscnt 0x0
	s_barrier_signal -1
	s_barrier_wait -1
	s_barrier_signal -1
	s_barrier_wait -1
	s_and_saveexec_b32 s64, s95
	s_cbranch_execz .LBB24_445
; %bb.444:                              ;   in Loop: Header=BB24_3 Depth=1
	ds_load_b32 v22, v49 offset:6248
	s_wait_dscnt 0x0
	ds_store_b32 v48, v22 offset:6752
	ds_load_b32 v22, v49 offset:6252
	s_wait_dscnt 0x0
	ds_store_b32 v48, v22 offset:7008
.LBB24_445:                             ;   in Loop: Header=BB24_3 Depth=1
	s_or_b32 exec_lo, exec_lo, s64
	s_wait_dscnt 0x0
	s_barrier_signal -1
	s_barrier_wait -1
	s_and_saveexec_b32 s64, s15
	s_cbranch_execz .LBB24_447
; %bb.446:                              ;   in Loop: Header=BB24_3 Depth=1
	ds_load_b64 v[22:23], v5 offset:6760
	ds_load_b32 v24, v5 offset:7020
	s_wait_dscnt 0x0
	v_mul_f32_e32 v22, v22, v24
	s_delay_alu instid0(VALU_DEP_1)
	v_mul_f32_e32 v22, v23, v22
	v_add_nc_u32_e64 v23, 0x1800, 0
	ds_store_2addr_b32 v23, v22, v22 offset0:155 offset1:218
.LBB24_447:                             ;   in Loop: Header=BB24_3 Depth=1
	s_or_b32 exec_lo, exec_lo, s64
	v_mov_b32_e32 v22, 0
	s_wait_dscnt 0x0
	s_barrier_signal -1
	s_barrier_wait -1
	s_and_saveexec_b32 s69, s2
	s_cbranch_execz .LBB24_453
; %bb.448:                              ;   in Loop: Header=BB24_3 Depth=1
	ds_load_b32 v22, v35 offset:6256
	ds_load_b32 v23, v30 offset:6240
	s_wait_dscnt 0x0
	v_fma_f32 v22, v22, v23, 0
	s_and_saveexec_b32 s64, s17
	s_cbranch_execnz .LBB24_1229
; %bb.449:                              ;   in Loop: Header=BB24_3 Depth=1
	s_or_b32 exec_lo, exec_lo, s64
	s_and_saveexec_b32 s64, s18
	s_cbranch_execnz .LBB24_1230
.LBB24_450:                             ;   in Loop: Header=BB24_3 Depth=1
	s_or_b32 exec_lo, exec_lo, s64
	s_and_saveexec_b32 s64, s0
	s_cbranch_execz .LBB24_452
.LBB24_451:                             ;   in Loop: Header=BB24_3 Depth=1
	ds_load_b32 v23, v50 offset:7024
	ds_load_b32 v24, v5 offset:6252
	s_wait_dscnt 0x0
	v_fmac_f32_e32 v22, v23, v24
.LBB24_452:                             ;   in Loop: Header=BB24_3 Depth=1
	s_or_b32 exec_lo, exec_lo, s64
	s_delay_alu instid0(VALU_DEP_1)
	v_xor_b32_e32 v22, 0x80000000, v22
.LBB24_453:                             ;   in Loop: Header=BB24_3 Depth=1
	s_or_b32 exec_lo, exec_lo, s69
	s_and_saveexec_b32 s64, s96
	s_cbranch_execz .LBB24_455
; %bb.454:                              ;   in Loop: Header=BB24_3 Depth=1
	ds_load_b32 v23, v5 offset:7280
	s_wait_dscnt 0x0
	v_mul_f32_e32 v22, v22, v23
	ds_store_b32 v34, v22
.LBB24_455:                             ;   in Loop: Header=BB24_3 Depth=1
	s_or_b32 exec_lo, exec_lo, s64
	s_wait_dscnt 0x0
	s_barrier_signal -1
	s_barrier_wait -1
	s_and_saveexec_b32 s64, s97
	s_cbranch_execz .LBB24_457
; %bb.456:                              ;   in Loop: Header=BB24_3 Depth=1
	ds_load_b32 v23, v32 offset:7280
	ds_load_b32 v24, v34
	s_wait_dscnt 0x0
	v_fmac_f32_e32 v22, v23, v24
.LBB24_457:                             ;   in Loop: Header=BB24_3 Depth=1
	s_or_b32 exec_lo, exec_lo, s64
	s_barrier_signal -1
	s_barrier_wait -1
	s_and_saveexec_b32 s64, s98
	s_cbranch_execz .LBB24_459
; %bb.458:                              ;   in Loop: Header=BB24_3 Depth=1
	ds_load_b32 v23, v5 offset:7540
	s_wait_dscnt 0x0
	v_mul_f32_e32 v22, v22, v23
	ds_store_b32 v34, v22
.LBB24_459:                             ;   in Loop: Header=BB24_3 Depth=1
	s_or_b32 exec_lo, exec_lo, s64
	s_wait_dscnt 0x0
	s_barrier_signal -1
	s_barrier_wait -1
	s_and_saveexec_b32 s64, s99
	s_cbranch_execz .LBB24_461
; %bb.460:                              ;   in Loop: Header=BB24_3 Depth=1
	ds_load_b32 v23, v32 offset:7536
	ds_load_b32 v24, v34
	s_wait_dscnt 0x0
	v_fmac_f32_e32 v22, v23, v24
.LBB24_461:                             ;   in Loop: Header=BB24_3 Depth=1
	s_or_b32 exec_lo, exec_lo, s64
	s_barrier_signal -1
	s_barrier_wait -1
	;; [unrolled: 23-line block ×3, first 2 shown]
	s_and_saveexec_b32 s64, s101
	s_cbranch_execz .LBB24_467
; %bb.466:                              ;   in Loop: Header=BB24_3 Depth=1
	ds_load_b32 v23, v5 offset:8060
	s_wait_dscnt 0x0
	v_mul_f32_e32 v22, v22, v23
	ds_store_b32 v34, v22
.LBB24_467:                             ;   in Loop: Header=BB24_3 Depth=1
	s_or_b32 exec_lo, exec_lo, s64
	s_wait_dscnt 0x0
	s_barrier_signal -1
	s_barrier_wait -1
	s_barrier_signal -1
	s_barrier_wait -1
	s_and_saveexec_b32 s64, s2
; %bb.468:                              ;   in Loop: Header=BB24_3 Depth=1
	v_xor_b32_e32 v22, 0x80000000, v22
	ds_store_b32 v35, v22 offset:6256
; %bb.469:                              ;   in Loop: Header=BB24_3 Depth=1
	s_or_b32 exec_lo, exec_lo, s64
	s_wait_dscnt 0x0
	s_barrier_signal -1
	s_barrier_wait -1
	s_barrier_signal -1
	s_barrier_wait -1
	s_and_saveexec_b32 s64, s102
	s_cbranch_execz .LBB24_471
; %bb.470:                              ;   in Loop: Header=BB24_3 Depth=1
	ds_load_b32 v22, v51 offset:6256
	s_wait_dscnt 0x0
	ds_store_b32 v52, v22 offset:7264
	ds_load_b32 v22, v51 offset:6260
	s_wait_dscnt 0x0
	ds_store_b32 v52, v22 offset:7520
	ds_load_b32 v22, v51 offset:6264
	s_wait_dscnt 0x0
	ds_store_b32 v52, v22 offset:7776
	ds_load_b32 v22, v51 offset:6268
	s_wait_dscnt 0x0
	ds_store_b32 v52, v22 offset:8032
.LBB24_471:                             ;   in Loop: Header=BB24_3 Depth=1
	s_or_b32 exec_lo, exec_lo, s64
	s_wait_dscnt 0x0
	s_barrier_signal -1
	s_barrier_wait -1
	s_and_saveexec_b32 s64, s15
	s_cbranch_execz .LBB24_473
; %bb.472:                              ;   in Loop: Header=BB24_3 Depth=1
	ds_load_b64 v[22:23], v5 offset:7280
	ds_load_b32 v24, v5 offset:7540
	s_wait_dscnt 0x0
	v_mul_f32_e32 v22, v22, v24
	s_delay_alu instid0(VALU_DEP_1)
	v_mul_f32_e32 v22, v23, v22
	v_add_nc_u32_e64 v23, 0x1c00, 0
	ds_store_2addr_b32 v23, v22, v22 offset0:29 offset1:92
.LBB24_473:                             ;   in Loop: Header=BB24_3 Depth=1
	s_or_b32 exec_lo, exec_lo, s64
	v_mov_b32_e32 v22, 0
	s_wait_dscnt 0x0
	s_barrier_signal -1
	s_barrier_wait -1
	s_and_saveexec_b32 s64, s0
	s_cbranch_execz .LBB24_477
; %bb.474:                              ;   in Loop: Header=BB24_3 Depth=1
	ds_load_b32 v22, v27 offset:7288
	ds_load_b32 v23, v28 offset:7280
	s_wait_dscnt 0x0
	v_fma_f32 v22, v22, v23, 0
	s_and_saveexec_b32 s65, s16
	s_cbranch_execz .LBB24_476
; %bb.475:                              ;   in Loop: Header=BB24_3 Depth=1
	ds_load_b32 v23, v52 offset:7544
	ds_load_b32 v24, v5 offset:7284
	s_wait_dscnt 0x0
	v_fmac_f32_e32 v22, v23, v24
.LBB24_476:                             ;   in Loop: Header=BB24_3 Depth=1
	s_or_b32 exec_lo, exec_lo, s65
	s_delay_alu instid0(VALU_DEP_1)
	v_xor_b32_e32 v22, 0x80000000, v22
.LBB24_477:                             ;   in Loop: Header=BB24_3 Depth=1
	s_or_b32 exec_lo, exec_lo, s64
	s_and_saveexec_b32 s64, s93
	s_cbranch_execz .LBB24_479
; %bb.478:                              ;   in Loop: Header=BB24_3 Depth=1
	ds_load_b32 v23, v5 offset:7800
	s_wait_dscnt 0x0
	v_mul_f32_e32 v22, v22, v23
	ds_store_b32 v3, v22
.LBB24_479:                             ;   in Loop: Header=BB24_3 Depth=1
	s_or_b32 exec_lo, exec_lo, s64
	s_wait_dscnt 0x0
	s_barrier_signal -1
	s_barrier_wait -1
	s_and_saveexec_b32 s64, s94
	s_cbranch_execz .LBB24_481
; %bb.480:                              ;   in Loop: Header=BB24_3 Depth=1
	ds_load_b32 v23, v5 offset:7804
	ds_load_b32 v24, v3
	s_wait_dscnt 0x0
	v_fmac_f32_e32 v22, v23, v24
.LBB24_481:                             ;   in Loop: Header=BB24_3 Depth=1
	s_or_b32 exec_lo, exec_lo, s64
	s_barrier_signal -1
	s_barrier_wait -1
	s_and_saveexec_b32 s64, s94
	s_cbranch_execz .LBB24_483
; %bb.482:                              ;   in Loop: Header=BB24_3 Depth=1
	ds_load_b32 v23, v5 offset:8060
	s_wait_dscnt 0x0
	v_mul_f32_e32 v22, v22, v23
	ds_store_b32 v3, v22
.LBB24_483:                             ;   in Loop: Header=BB24_3 Depth=1
	s_or_b32 exec_lo, exec_lo, s64
	s_wait_dscnt 0x0
	s_barrier_signal -1
	s_barrier_wait -1
	s_barrier_signal -1
	s_barrier_wait -1
	s_and_saveexec_b32 s64, s0
; %bb.484:                              ;   in Loop: Header=BB24_3 Depth=1
	v_xor_b32_e32 v22, 0x80000000, v22
	ds_store_b32 v27, v22 offset:7288
; %bb.485:                              ;   in Loop: Header=BB24_3 Depth=1
	s_or_b32 exec_lo, exec_lo, s64
	s_wait_dscnt 0x0
	s_barrier_signal -1
	s_barrier_wait -1
	s_barrier_signal -1
	s_barrier_wait -1
	s_and_saveexec_b32 s64, s95
	s_cbranch_execz .LBB24_487
; %bb.486:                              ;   in Loop: Header=BB24_3 Depth=1
	ds_load_b32 v22, v54 offset:7288
	s_wait_dscnt 0x0
	ds_store_b32 v52, v22 offset:7792
	ds_load_b32 v22, v54 offset:7292
	s_wait_dscnt 0x0
	ds_store_b32 v52, v22 offset:8048
.LBB24_487:                             ;   in Loop: Header=BB24_3 Depth=1
	s_or_b32 exec_lo, exec_lo, s64
	s_wait_dscnt 0x0
	s_barrier_signal -1
	s_barrier_wait -1
	s_and_saveexec_b32 s64, s15
	s_cbranch_execz .LBB24_489
; %bb.488:                              ;   in Loop: Header=BB24_3 Depth=1
	ds_load_b64 v[22:23], v5 offset:7800
	ds_load_b32 v24, v5 offset:8060
	s_wait_dscnt 0x0
	v_mul_f32_e32 v22, v22, v24
	s_delay_alu instid0(VALU_DEP_1)
	v_mul_f32_e32 v22, v23, v22
	v_add_nc_u32_e64 v23, 0x1c00, 0
	ds_store_2addr_b32 v23, v22, v22 offset0:159 offset1:222
.LBB24_489:                             ;   in Loop: Header=BB24_3 Depth=1
	s_or_b32 exec_lo, exec_lo, s64
	v_mov_b32_e32 v22, 0
	s_wait_dscnt 0x0
	s_barrier_signal -1
	s_barrier_wait -1
	s_and_saveexec_b32 s82, s5
	s_cbranch_execz .LBB24_551
; %bb.490:                              ;   in Loop: Header=BB24_3 Depth=1
	v_add_nc_u32_e32 v23, v60, v59
	ds_load_b32 v22, v63 offset:128
	ds_load_b32 v24, v23
	s_wait_dscnt 0x0
	v_fma_f32 v22, v22, v24, 0
	s_mov_b32 s64, exec_lo
	v_readlane_b32 s65, v88, 4
	s_and_b32 s65, s64, s65
	s_delay_alu instid0(SALU_CYCLE_1)
	s_mov_b32 exec_lo, s65
	s_cbranch_execz .LBB24_492
; %bb.491:                              ;   in Loop: Header=BB24_3 Depth=1
	ds_load_b32 v24, v63 offset:384
	ds_load_b32 v25, v23 offset:4
	s_wait_dscnt 0x0
	v_fmac_f32_e32 v22, v24, v25
.LBB24_492:                             ;   in Loop: Header=BB24_3 Depth=1
	s_or_b32 exec_lo, exec_lo, s64
	s_delay_alu instid0(SALU_CYCLE_1) | instskip(SKIP_2) | instid1(SALU_CYCLE_1)
	s_mov_b32 s64, exec_lo
	v_readlane_b32 s65, v88, 5
	s_and_b32 s65, s64, s65
	s_mov_b32 exec_lo, s65
	s_cbranch_execz .LBB24_494
; %bb.493:                              ;   in Loop: Header=BB24_3 Depth=1
	ds_load_b32 v24, v63 offset:640
	ds_load_b32 v25, v23 offset:8
	s_wait_dscnt 0x0
	v_fmac_f32_e32 v22, v24, v25
.LBB24_494:                             ;   in Loop: Header=BB24_3 Depth=1
	s_or_b32 exec_lo, exec_lo, s64
	s_delay_alu instid0(SALU_CYCLE_1) | instskip(SKIP_2) | instid1(SALU_CYCLE_1)
	s_mov_b32 s64, exec_lo
	v_readlane_b32 s65, v88, 6
	s_and_b32 s65, s64, s65
	;; [unrolled: 13-line block ×22, first 2 shown]
	s_mov_b32 exec_lo, s65
	s_cbranch_execz .LBB24_536
; %bb.535:                              ;   in Loop: Header=BB24_3 Depth=1
	ds_load_b32 v24, v63 offset:6016
	ds_load_b32 v25, v23 offset:92
	s_wait_dscnt 0x0
	v_fmac_f32_e32 v22, v24, v25
.LBB24_536:                             ;   in Loop: Header=BB24_3 Depth=1
	s_or_b32 exec_lo, exec_lo, s64
	s_and_saveexec_b32 s64, s4
	s_cbranch_execz .LBB24_538
; %bb.537:                              ;   in Loop: Header=BB24_3 Depth=1
	ds_load_b32 v24, v63 offset:6272
	ds_load_b32 v25, v23 offset:96
	s_wait_dscnt 0x0
	v_fmac_f32_e32 v22, v24, v25
.LBB24_538:                             ;   in Loop: Header=BB24_3 Depth=1
	s_or_b32 exec_lo, exec_lo, s64
	s_delay_alu instid0(SALU_CYCLE_1) | instskip(SKIP_2) | instid1(SALU_CYCLE_1)
	s_mov_b32 s64, exec_lo
	v_readlane_b32 s65, v89, 26
	s_and_b32 s65, s64, s65
	s_mov_b32 exec_lo, s65
	s_cbranch_execz .LBB24_540
; %bb.539:                              ;   in Loop: Header=BB24_3 Depth=1
	ds_load_b32 v24, v63 offset:6528
	ds_load_b32 v25, v23 offset:100
	s_wait_dscnt 0x0
	v_fmac_f32_e32 v22, v24, v25
.LBB24_540:                             ;   in Loop: Header=BB24_3 Depth=1
	s_or_b32 exec_lo, exec_lo, s64
	s_delay_alu instid0(SALU_CYCLE_1) | instskip(SKIP_2) | instid1(SALU_CYCLE_1)
	s_mov_b32 s64, exec_lo
	v_readlane_b32 s65, v89, 28
	s_and_b32 s65, s64, s65
	s_mov_b32 exec_lo, s65
	;; [unrolled: 13-line block ×5, first 2 shown]
	s_cbranch_execnz .LBB24_1231
; %bb.547:                              ;   in Loop: Header=BB24_3 Depth=1
	s_or_b32 exec_lo, exec_lo, s64
	s_and_saveexec_b32 s64, s3
	s_cbranch_execnz .LBB24_1232
.LBB24_548:                             ;   in Loop: Header=BB24_3 Depth=1
	s_or_b32 exec_lo, exec_lo, s64
	s_and_saveexec_b32 s64, s22
	s_cbranch_execz .LBB24_550
.LBB24_549:                             ;   in Loop: Header=BB24_3 Depth=1
	ds_load_b32 v23, v29 offset:8064
	ds_load_b32 v24, v5 offset:124
	s_wait_dscnt 0x0
	v_fmac_f32_e32 v22, v23, v24
.LBB24_550:                             ;   in Loop: Header=BB24_3 Depth=1
	s_or_b32 exec_lo, exec_lo, s64
	s_delay_alu instid0(VALU_DEP_1)
	v_xor_b32_e32 v22, 0x80000000, v22
.LBB24_551:                             ;   in Loop: Header=BB24_3 Depth=1
	s_or_b32 exec_lo, exec_lo, s82
	s_delay_alu instid0(SALU_CYCLE_1) | instskip(SKIP_2) | instid1(SALU_CYCLE_1)
	s_mov_b32 s64, exec_lo
	v_readlane_b32 s65, v91, 9
	s_and_b32 s65, s64, s65
	s_mov_b32 exec_lo, s65
	s_cbranch_execz .LBB24_553
; %bb.552:                              ;   in Loop: Header=BB24_3 Depth=1
	ds_load_b32 v23, v5 offset:8320
	s_wait_dscnt 0x0
	v_mul_f32_e32 v22, v22, v23
	ds_store_b32 v62, v22
.LBB24_553:                             ;   in Loop: Header=BB24_3 Depth=1
	s_or_b32 exec_lo, exec_lo, s64
	s_wait_dscnt 0x0
	s_barrier_signal -1
	s_barrier_wait -1
	s_mov_b32 s64, exec_lo
	v_readlane_b32 s65, v91, 10
	s_and_b32 s65, s64, s65
	s_delay_alu instid0(SALU_CYCLE_1)
	s_mov_b32 exec_lo, s65
	s_cbranch_execz .LBB24_555
; %bb.554:                              ;   in Loop: Header=BB24_3 Depth=1
	ds_load_b32 v23, v61 offset:8320
	ds_load_b32 v24, v62
	s_wait_dscnt 0x0
	v_fmac_f32_e32 v22, v23, v24
.LBB24_555:                             ;   in Loop: Header=BB24_3 Depth=1
	s_or_b32 exec_lo, exec_lo, s64
	s_barrier_signal -1
	s_barrier_wait -1
	s_mov_b32 s64, exec_lo
	v_readlane_b32 s65, v91, 11
	s_and_b32 s65, s64, s65
	s_delay_alu instid0(SALU_CYCLE_1)
	s_mov_b32 exec_lo, s65
	s_cbranch_execz .LBB24_557
; %bb.556:                              ;   in Loop: Header=BB24_3 Depth=1
	ds_load_b32 v23, v5 offset:8580
	s_wait_dscnt 0x0
	v_mul_f32_e32 v22, v22, v23
	ds_store_b32 v62, v22
.LBB24_557:                             ;   in Loop: Header=BB24_3 Depth=1
	s_or_b32 exec_lo, exec_lo, s64
	s_wait_dscnt 0x0
	s_barrier_signal -1
	s_barrier_wait -1
	s_mov_b32 s64, exec_lo
	v_readlane_b32 s65, v91, 12
	s_and_b32 s65, s64, s65
	s_delay_alu instid0(SALU_CYCLE_1)
	s_mov_b32 exec_lo, s65
	s_cbranch_execz .LBB24_559
; %bb.558:                              ;   in Loop: Header=BB24_3 Depth=1
	ds_load_b32 v23, v61 offset:8576
	ds_load_b32 v24, v62
	s_wait_dscnt 0x0
	v_fmac_f32_e32 v22, v23, v24
.LBB24_559:                             ;   in Loop: Header=BB24_3 Depth=1
	s_or_b32 exec_lo, exec_lo, s64
	s_barrier_signal -1
	s_barrier_wait -1
	s_mov_b32 s64, exec_lo
	v_readlane_b32 s65, v91, 13
	s_and_b32 s65, s64, s65
	s_delay_alu instid0(SALU_CYCLE_1)
	;; [unrolled: 31-line block ×30, first 2 shown]
	s_mov_b32 exec_lo, s65
	s_cbranch_execz .LBB24_673
; %bb.672:                              ;   in Loop: Header=BB24_3 Depth=1
	ds_load_b32 v23, v5 offset:16120
	s_wait_dscnt 0x0
	v_mul_f32_e32 v22, v22, v23
	ds_store_b32 v62, v22
.LBB24_673:                             ;   in Loop: Header=BB24_3 Depth=1
	s_or_b32 exec_lo, exec_lo, s64
	s_wait_dscnt 0x0
	s_barrier_signal -1
	s_barrier_wait -1
	s_and_saveexec_b32 s64, s11
	s_cbranch_execz .LBB24_675
; %bb.674:                              ;   in Loop: Header=BB24_3 Depth=1
	ds_load_b32 v23, v5 offset:16124
	ds_load_b32 v24, v62
	s_wait_dscnt 0x0
	v_fmac_f32_e32 v22, v23, v24
.LBB24_675:                             ;   in Loop: Header=BB24_3 Depth=1
	s_or_b32 exec_lo, exec_lo, s64
	s_barrier_signal -1
	s_barrier_wait -1
	s_and_saveexec_b32 s64, s11
	s_cbranch_execz .LBB24_677
; %bb.676:                              ;   in Loop: Header=BB24_3 Depth=1
	ds_load_b32 v23, v5 offset:16380
	s_wait_dscnt 0x0
	v_mul_f32_e32 v22, v22, v23
	ds_store_b32 v62, v22
.LBB24_677:                             ;   in Loop: Header=BB24_3 Depth=1
	s_or_b32 exec_lo, exec_lo, s64
	s_wait_dscnt 0x0
	s_barrier_signal -1
	s_barrier_wait -1
	s_barrier_signal -1
	s_barrier_wait -1
	s_and_saveexec_b32 s64, s5
; %bb.678:                              ;   in Loop: Header=BB24_3 Depth=1
	v_xor_b32_e32 v22, 0x80000000, v22
	ds_store_b32 v63, v22 offset:128
; %bb.679:                              ;   in Loop: Header=BB24_3 Depth=1
	s_or_b32 exec_lo, exec_lo, s64
	s_wait_dscnt 0x0
	s_barrier_signal -1
	s_barrier_wait -1
	s_barrier_signal -1
	s_barrier_wait -1
	s_mov_b32 s69, exec_lo
	v_readlane_b32 s64, v89, 6
	s_and_b32 s64, s69, s64
	s_delay_alu instid0(SALU_CYCLE_1)
	s_mov_b32 exec_lo, s64
	s_cbranch_execz .LBB24_681
; %bb.680:                              ;   in Loop: Header=BB24_3 Depth=1
	ds_load_b32 v22, v31 offset:128
	s_wait_dscnt 0x0
	ds_store_b32 v64, v22 offset:8192
	ds_load_b32 v22, v31 offset:132
	s_wait_dscnt 0x0
	ds_store_b32 v64, v22 offset:8448
	ds_load_b32 v22, v31 offset:136
	s_wait_dscnt 0x0
	ds_store_b32 v64, v22 offset:8704
	ds_load_b32 v22, v31 offset:140
	s_wait_dscnt 0x0
	ds_store_b32 v64, v22 offset:8960
	ds_load_b32 v22, v31 offset:144
	s_wait_dscnt 0x0
	ds_store_b32 v64, v22 offset:9216
	ds_load_b32 v22, v31 offset:148
	s_wait_dscnt 0x0
	ds_store_b32 v64, v22 offset:9472
	ds_load_b32 v22, v31 offset:152
	s_wait_dscnt 0x0
	ds_store_b32 v64, v22 offset:9728
	ds_load_b32 v22, v31 offset:156
	s_wait_dscnt 0x0
	ds_store_b32 v64, v22 offset:9984
	ds_load_b32 v22, v31 offset:160
	s_wait_dscnt 0x0
	ds_store_b32 v64, v22 offset:10240
	ds_load_b32 v22, v31 offset:164
	s_wait_dscnt 0x0
	ds_store_b32 v64, v22 offset:10496
	ds_load_b32 v22, v31 offset:168
	s_wait_dscnt 0x0
	ds_store_b32 v64, v22 offset:10752
	ds_load_b32 v22, v31 offset:172
	s_wait_dscnt 0x0
	ds_store_b32 v64, v22 offset:11008
	ds_load_b32 v22, v31 offset:176
	s_wait_dscnt 0x0
	ds_store_b32 v64, v22 offset:11264
	ds_load_b32 v22, v31 offset:180
	s_wait_dscnt 0x0
	ds_store_b32 v64, v22 offset:11520
	ds_load_b32 v22, v31 offset:184
	s_wait_dscnt 0x0
	ds_store_b32 v64, v22 offset:11776
	ds_load_b32 v22, v31 offset:188
	s_wait_dscnt 0x0
	ds_store_b32 v64, v22 offset:12032
	ds_load_b32 v22, v31 offset:192
	s_wait_dscnt 0x0
	ds_store_b32 v64, v22 offset:12288
	ds_load_b32 v22, v31 offset:196
	s_wait_dscnt 0x0
	ds_store_b32 v64, v22 offset:12544
	ds_load_b32 v22, v31 offset:200
	s_wait_dscnt 0x0
	ds_store_b32 v64, v22 offset:12800
	ds_load_b32 v22, v31 offset:204
	s_wait_dscnt 0x0
	ds_store_b32 v64, v22 offset:13056
	ds_load_b32 v22, v31 offset:208
	s_wait_dscnt 0x0
	ds_store_b32 v64, v22 offset:13312
	ds_load_b32 v22, v31 offset:212
	s_wait_dscnt 0x0
	ds_store_b32 v64, v22 offset:13568
	ds_load_b32 v22, v31 offset:216
	s_wait_dscnt 0x0
	ds_store_b32 v64, v22 offset:13824
	ds_load_b32 v22, v31 offset:220
	s_wait_dscnt 0x0
	ds_store_b32 v64, v22 offset:14080
	ds_load_b32 v22, v31 offset:224
	s_wait_dscnt 0x0
	ds_store_b32 v64, v22 offset:14336
	ds_load_b32 v22, v31 offset:228
	s_wait_dscnt 0x0
	ds_store_b32 v64, v22 offset:14592
	ds_load_b32 v22, v31 offset:232
	s_wait_dscnt 0x0
	ds_store_b32 v64, v22 offset:14848
	ds_load_b32 v22, v31 offset:236
	s_wait_dscnt 0x0
	ds_store_b32 v64, v22 offset:15104
	ds_load_b32 v22, v31 offset:240
	s_wait_dscnt 0x0
	ds_store_b32 v64, v22 offset:15360
	ds_load_b32 v22, v31 offset:244
	s_wait_dscnt 0x0
	ds_store_b32 v64, v22 offset:15616
	ds_load_b32 v22, v31 offset:248
	s_wait_dscnt 0x0
	ds_store_b32 v64, v22 offset:15872
	ds_load_b32 v22, v31 offset:252
	s_wait_dscnt 0x0
	ds_store_b32 v64, v22 offset:16128
.LBB24_681:                             ;   in Loop: Header=BB24_3 Depth=1
	s_or_b32 exec_lo, exec_lo, s69
	s_wait_dscnt 0x0
	s_barrier_signal -1
	s_barrier_wait -1
	s_and_saveexec_b32 s64, s15
	s_cbranch_execz .LBB24_683
; %bb.682:                              ;   in Loop: Header=BB24_3 Depth=1
	ds_load_b64 v[22:23], v5 offset:8320
	ds_load_b32 v24, v5 offset:8580
	s_wait_dscnt 0x0
	v_mul_f32_e32 v22, v22, v24
	s_delay_alu instid0(VALU_DEP_1)
	v_mul_f32_e32 v22, v23, v22
	v_add_nc_u32_e64 v23, 0x2000, 0
	ds_store_2addr_b32 v23, v22, v22 offset0:33 offset1:96
.LBB24_683:                             ;   in Loop: Header=BB24_3 Depth=1
	s_or_b32 exec_lo, exec_lo, s64
	v_mov_b32_e32 v22, 0
	s_wait_dscnt 0x0
	s_barrier_signal -1
	s_barrier_wait -1
	s_and_saveexec_b32 s64, s0
	s_cbranch_execz .LBB24_687
; %bb.684:                              ;   in Loop: Header=BB24_3 Depth=1
	ds_load_b32 v22, v27 offset:8328
	ds_load_b32 v23, v28 offset:8320
	s_wait_dscnt 0x0
	v_fma_f32 v22, v22, v23, 0
	s_and_saveexec_b32 s65, s16
	s_cbranch_execz .LBB24_686
; %bb.685:                              ;   in Loop: Header=BB24_3 Depth=1
	ds_load_b32 v23, v29 offset:8584
	ds_load_b32 v24, v5 offset:8324
	s_wait_dscnt 0x0
	v_fmac_f32_e32 v22, v23, v24
.LBB24_686:                             ;   in Loop: Header=BB24_3 Depth=1
	s_or_b32 exec_lo, exec_lo, s65
	s_delay_alu instid0(VALU_DEP_1)
	v_xor_b32_e32 v22, 0x80000000, v22
.LBB24_687:                             ;   in Loop: Header=BB24_3 Depth=1
	s_or_b32 exec_lo, exec_lo, s64
	s_and_saveexec_b32 s64, s93
	s_cbranch_execz .LBB24_689
; %bb.688:                              ;   in Loop: Header=BB24_3 Depth=1
	ds_load_b32 v23, v5 offset:8840
	s_wait_dscnt 0x0
	v_mul_f32_e32 v22, v22, v23
	ds_store_b32 v3, v22
.LBB24_689:                             ;   in Loop: Header=BB24_3 Depth=1
	s_or_b32 exec_lo, exec_lo, s64
	s_wait_dscnt 0x0
	s_barrier_signal -1
	s_barrier_wait -1
	s_and_saveexec_b32 s64, s94
	s_cbranch_execz .LBB24_691
; %bb.690:                              ;   in Loop: Header=BB24_3 Depth=1
	ds_load_b32 v23, v5 offset:8844
	ds_load_b32 v24, v3
	s_wait_dscnt 0x0
	v_fmac_f32_e32 v22, v23, v24
.LBB24_691:                             ;   in Loop: Header=BB24_3 Depth=1
	s_or_b32 exec_lo, exec_lo, s64
	s_barrier_signal -1
	s_barrier_wait -1
	s_and_saveexec_b32 s64, s94
	s_cbranch_execz .LBB24_693
; %bb.692:                              ;   in Loop: Header=BB24_3 Depth=1
	ds_load_b32 v23, v5 offset:9100
	s_wait_dscnt 0x0
	v_mul_f32_e32 v22, v22, v23
	ds_store_b32 v3, v22
.LBB24_693:                             ;   in Loop: Header=BB24_3 Depth=1
	s_or_b32 exec_lo, exec_lo, s64
	s_wait_dscnt 0x0
	s_barrier_signal -1
	s_barrier_wait -1
	s_barrier_signal -1
	s_barrier_wait -1
	s_and_saveexec_b32 s64, s0
; %bb.694:                              ;   in Loop: Header=BB24_3 Depth=1
	v_xor_b32_e32 v22, 0x80000000, v22
	ds_store_b32 v27, v22 offset:8328
; %bb.695:                              ;   in Loop: Header=BB24_3 Depth=1
	s_or_b32 exec_lo, exec_lo, s64
	s_wait_dscnt 0x0
	s_barrier_signal -1
	s_barrier_wait -1
	s_barrier_signal -1
	s_barrier_wait -1
	s_and_saveexec_b32 s64, s95
	s_cbranch_execz .LBB24_697
; %bb.696:                              ;   in Loop: Header=BB24_3 Depth=1
	ds_load_b32 v22, v33 offset:8328
	s_wait_dscnt 0x0
	ds_store_b32 v29, v22 offset:8832
	ds_load_b32 v22, v33 offset:8332
	s_wait_dscnt 0x0
	ds_store_b32 v29, v22 offset:9088
.LBB24_697:                             ;   in Loop: Header=BB24_3 Depth=1
	s_or_b32 exec_lo, exec_lo, s64
	s_wait_dscnt 0x0
	s_barrier_signal -1
	s_barrier_wait -1
	s_and_saveexec_b32 s64, s15
	s_cbranch_execz .LBB24_699
; %bb.698:                              ;   in Loop: Header=BB24_3 Depth=1
	ds_load_b64 v[22:23], v5 offset:8840
	ds_load_b32 v24, v5 offset:9100
	s_wait_dscnt 0x0
	v_mul_f32_e32 v22, v22, v24
	s_delay_alu instid0(VALU_DEP_1)
	v_mul_f32_e32 v22, v23, v22
	v_add_nc_u32_e64 v23, 0x2000, 0
	ds_store_2addr_b32 v23, v22, v22 offset0:163 offset1:226
.LBB24_699:                             ;   in Loop: Header=BB24_3 Depth=1
	s_or_b32 exec_lo, exec_lo, s64
	v_mov_b32_e32 v22, 0
	s_wait_dscnt 0x0
	s_barrier_signal -1
	s_barrier_wait -1
	s_and_saveexec_b32 s69, s2
	s_cbranch_execz .LBB24_705
; %bb.700:                              ;   in Loop: Header=BB24_3 Depth=1
	ds_load_b32 v22, v35 offset:8336
	ds_load_b32 v23, v30 offset:8320
	s_wait_dscnt 0x0
	v_fma_f32 v22, v22, v23, 0
	s_and_saveexec_b32 s64, s17
	s_cbranch_execnz .LBB24_1233
; %bb.701:                              ;   in Loop: Header=BB24_3 Depth=1
	s_or_b32 exec_lo, exec_lo, s64
	s_and_saveexec_b32 s64, s18
	s_cbranch_execnz .LBB24_1234
.LBB24_702:                             ;   in Loop: Header=BB24_3 Depth=1
	s_or_b32 exec_lo, exec_lo, s64
	s_and_saveexec_b32 s64, s0
	s_cbranch_execz .LBB24_704
.LBB24_703:                             ;   in Loop: Header=BB24_3 Depth=1
	ds_load_b32 v23, v37 offset:9104
	ds_load_b32 v24, v5 offset:8332
	s_wait_dscnt 0x0
	v_fmac_f32_e32 v22, v23, v24
.LBB24_704:                             ;   in Loop: Header=BB24_3 Depth=1
	s_or_b32 exec_lo, exec_lo, s64
	s_delay_alu instid0(VALU_DEP_1)
	v_xor_b32_e32 v22, 0x80000000, v22
.LBB24_705:                             ;   in Loop: Header=BB24_3 Depth=1
	s_or_b32 exec_lo, exec_lo, s69
	s_and_saveexec_b32 s64, s96
	s_cbranch_execz .LBB24_707
; %bb.706:                              ;   in Loop: Header=BB24_3 Depth=1
	ds_load_b32 v23, v5 offset:9360
	s_wait_dscnt 0x0
	v_mul_f32_e32 v22, v22, v23
	ds_store_b32 v34, v22
.LBB24_707:                             ;   in Loop: Header=BB24_3 Depth=1
	s_or_b32 exec_lo, exec_lo, s64
	s_wait_dscnt 0x0
	s_barrier_signal -1
	s_barrier_wait -1
	s_and_saveexec_b32 s64, s97
	s_cbranch_execz .LBB24_709
; %bb.708:                              ;   in Loop: Header=BB24_3 Depth=1
	ds_load_b32 v23, v32 offset:9360
	ds_load_b32 v24, v34
	s_wait_dscnt 0x0
	v_fmac_f32_e32 v22, v23, v24
.LBB24_709:                             ;   in Loop: Header=BB24_3 Depth=1
	s_or_b32 exec_lo, exec_lo, s64
	s_barrier_signal -1
	s_barrier_wait -1
	s_and_saveexec_b32 s64, s98
	s_cbranch_execz .LBB24_711
; %bb.710:                              ;   in Loop: Header=BB24_3 Depth=1
	ds_load_b32 v23, v5 offset:9620
	s_wait_dscnt 0x0
	v_mul_f32_e32 v22, v22, v23
	ds_store_b32 v34, v22
.LBB24_711:                             ;   in Loop: Header=BB24_3 Depth=1
	s_or_b32 exec_lo, exec_lo, s64
	s_wait_dscnt 0x0
	s_barrier_signal -1
	s_barrier_wait -1
	s_and_saveexec_b32 s64, s99
	s_cbranch_execz .LBB24_713
; %bb.712:                              ;   in Loop: Header=BB24_3 Depth=1
	ds_load_b32 v23, v32 offset:9616
	ds_load_b32 v24, v34
	s_wait_dscnt 0x0
	v_fmac_f32_e32 v22, v23, v24
.LBB24_713:                             ;   in Loop: Header=BB24_3 Depth=1
	s_or_b32 exec_lo, exec_lo, s64
	s_barrier_signal -1
	s_barrier_wait -1
	;; [unrolled: 23-line block ×3, first 2 shown]
	s_and_saveexec_b32 s64, s101
	s_cbranch_execz .LBB24_719
; %bb.718:                              ;   in Loop: Header=BB24_3 Depth=1
	ds_load_b32 v23, v5 offset:10140
	s_wait_dscnt 0x0
	v_mul_f32_e32 v22, v22, v23
	ds_store_b32 v34, v22
.LBB24_719:                             ;   in Loop: Header=BB24_3 Depth=1
	s_or_b32 exec_lo, exec_lo, s64
	s_wait_dscnt 0x0
	s_barrier_signal -1
	s_barrier_wait -1
	s_barrier_signal -1
	s_barrier_wait -1
	s_and_saveexec_b32 s64, s2
; %bb.720:                              ;   in Loop: Header=BB24_3 Depth=1
	v_xor_b32_e32 v22, 0x80000000, v22
	ds_store_b32 v35, v22 offset:8336
; %bb.721:                              ;   in Loop: Header=BB24_3 Depth=1
	s_or_b32 exec_lo, exec_lo, s64
	s_wait_dscnt 0x0
	s_barrier_signal -1
	s_barrier_wait -1
	s_barrier_signal -1
	s_barrier_wait -1
	s_and_saveexec_b32 s64, s102
	s_cbranch_execz .LBB24_723
; %bb.722:                              ;   in Loop: Header=BB24_3 Depth=1
	ds_load_b32 v22, v38 offset:8336
	s_wait_dscnt 0x0
	ds_store_b32 v40, v22 offset:9344
	ds_load_b32 v22, v38 offset:8340
	s_wait_dscnt 0x0
	ds_store_b32 v40, v22 offset:9600
	;; [unrolled: 3-line block ×4, first 2 shown]
.LBB24_723:                             ;   in Loop: Header=BB24_3 Depth=1
	s_or_b32 exec_lo, exec_lo, s64
	s_wait_dscnt 0x0
	s_barrier_signal -1
	s_barrier_wait -1
	s_and_saveexec_b32 s64, s15
	s_cbranch_execz .LBB24_725
; %bb.724:                              ;   in Loop: Header=BB24_3 Depth=1
	ds_load_b64 v[22:23], v5 offset:9360
	ds_load_b32 v24, v5 offset:9620
	s_wait_dscnt 0x0
	v_mul_f32_e32 v22, v22, v24
	s_delay_alu instid0(VALU_DEP_1)
	v_mul_f32_e32 v22, v23, v22
	v_add_nc_u32_e64 v23, 0x2400, 0
	ds_store_2addr_b32 v23, v22, v22 offset0:37 offset1:100
.LBB24_725:                             ;   in Loop: Header=BB24_3 Depth=1
	s_or_b32 exec_lo, exec_lo, s64
	v_mov_b32_e32 v22, 0
	s_wait_dscnt 0x0
	s_barrier_signal -1
	s_barrier_wait -1
	s_and_saveexec_b32 s64, s0
	s_cbranch_execz .LBB24_729
; %bb.726:                              ;   in Loop: Header=BB24_3 Depth=1
	ds_load_b32 v22, v27 offset:9368
	ds_load_b32 v23, v28 offset:9360
	s_wait_dscnt 0x0
	v_fma_f32 v22, v22, v23, 0
	s_and_saveexec_b32 s65, s16
	s_cbranch_execz .LBB24_728
; %bb.727:                              ;   in Loop: Header=BB24_3 Depth=1
	ds_load_b32 v23, v40 offset:9624
	ds_load_b32 v24, v5 offset:9364
	s_wait_dscnt 0x0
	v_fmac_f32_e32 v22, v23, v24
.LBB24_728:                             ;   in Loop: Header=BB24_3 Depth=1
	s_or_b32 exec_lo, exec_lo, s65
	s_delay_alu instid0(VALU_DEP_1)
	v_xor_b32_e32 v22, 0x80000000, v22
.LBB24_729:                             ;   in Loop: Header=BB24_3 Depth=1
	s_or_b32 exec_lo, exec_lo, s64
	s_and_saveexec_b32 s64, s93
	s_cbranch_execz .LBB24_731
; %bb.730:                              ;   in Loop: Header=BB24_3 Depth=1
	ds_load_b32 v23, v5 offset:9880
	s_wait_dscnt 0x0
	v_mul_f32_e32 v22, v22, v23
	ds_store_b32 v3, v22
.LBB24_731:                             ;   in Loop: Header=BB24_3 Depth=1
	s_or_b32 exec_lo, exec_lo, s64
	s_wait_dscnt 0x0
	s_barrier_signal -1
	s_barrier_wait -1
	s_and_saveexec_b32 s64, s94
	s_cbranch_execz .LBB24_733
; %bb.732:                              ;   in Loop: Header=BB24_3 Depth=1
	ds_load_b32 v23, v5 offset:9884
	ds_load_b32 v24, v3
	s_wait_dscnt 0x0
	v_fmac_f32_e32 v22, v23, v24
.LBB24_733:                             ;   in Loop: Header=BB24_3 Depth=1
	s_or_b32 exec_lo, exec_lo, s64
	s_barrier_signal -1
	s_barrier_wait -1
	s_and_saveexec_b32 s64, s94
	s_cbranch_execz .LBB24_735
; %bb.734:                              ;   in Loop: Header=BB24_3 Depth=1
	ds_load_b32 v23, v5 offset:10140
	s_wait_dscnt 0x0
	v_mul_f32_e32 v22, v22, v23
	ds_store_b32 v3, v22
.LBB24_735:                             ;   in Loop: Header=BB24_3 Depth=1
	s_or_b32 exec_lo, exec_lo, s64
	s_wait_dscnt 0x0
	s_barrier_signal -1
	s_barrier_wait -1
	s_barrier_signal -1
	s_barrier_wait -1
	s_and_saveexec_b32 s64, s0
; %bb.736:                              ;   in Loop: Header=BB24_3 Depth=1
	v_xor_b32_e32 v22, 0x80000000, v22
	ds_store_b32 v27, v22 offset:9368
; %bb.737:                              ;   in Loop: Header=BB24_3 Depth=1
	s_or_b32 exec_lo, exec_lo, s64
	s_wait_dscnt 0x0
	s_barrier_signal -1
	s_barrier_wait -1
	s_barrier_signal -1
	s_barrier_wait -1
	s_and_saveexec_b32 s64, s95
	s_cbranch_execz .LBB24_739
; %bb.738:                              ;   in Loop: Header=BB24_3 Depth=1
	ds_load_b32 v22, v42 offset:9368
	s_wait_dscnt 0x0
	ds_store_b32 v40, v22 offset:9872
	ds_load_b32 v22, v42 offset:9372
	s_wait_dscnt 0x0
	ds_store_b32 v40, v22 offset:10128
.LBB24_739:                             ;   in Loop: Header=BB24_3 Depth=1
	s_or_b32 exec_lo, exec_lo, s64
	s_wait_dscnt 0x0
	s_barrier_signal -1
	s_barrier_wait -1
	s_and_saveexec_b32 s64, s15
	s_cbranch_execz .LBB24_741
; %bb.740:                              ;   in Loop: Header=BB24_3 Depth=1
	ds_load_b64 v[22:23], v5 offset:9880
	ds_load_b32 v24, v5 offset:10140
	s_wait_dscnt 0x0
	v_mul_f32_e32 v22, v22, v24
	s_delay_alu instid0(VALU_DEP_1)
	v_mul_f32_e32 v22, v23, v22
	v_add_nc_u32_e64 v23, 0x2400, 0
	ds_store_2addr_b32 v23, v22, v22 offset0:167 offset1:230
.LBB24_741:                             ;   in Loop: Header=BB24_3 Depth=1
	s_or_b32 exec_lo, exec_lo, s64
	v_mov_b32_e32 v22, 0
	s_wait_dscnt 0x0
	s_barrier_signal -1
	s_barrier_wait -1
	s_and_saveexec_b32 s69, s3
	s_cbranch_execz .LBB24_751
; %bb.742:                              ;   in Loop: Header=BB24_3 Depth=1
	ds_load_b32 v22, v44 offset:8352
	ds_load_b32 v23, v39 offset:8320
	s_wait_dscnt 0x0
	v_fma_f32 v22, v22, v23, 0
	s_and_saveexec_b32 s64, s19
	s_cbranch_execnz .LBB24_1235
; %bb.743:                              ;   in Loop: Header=BB24_3 Depth=1
	s_or_b32 exec_lo, exec_lo, s64
	s_and_saveexec_b32 s64, s20
	s_cbranch_execnz .LBB24_1236
.LBB24_744:                             ;   in Loop: Header=BB24_3 Depth=1
	s_or_b32 exec_lo, exec_lo, s64
	s_and_saveexec_b32 s64, s21
	s_cbranch_execnz .LBB24_1237
.LBB24_745:                             ;   in Loop: Header=BB24_3 Depth=1
	s_or_b32 exec_lo, exec_lo, s64
	s_and_saveexec_b32 s64, s22
	s_cbranch_execnz .LBB24_1238
.LBB24_746:                             ;   in Loop: Header=BB24_3 Depth=1
	s_or_b32 exec_lo, exec_lo, s64
	s_and_saveexec_b32 s64, s23
	s_cbranch_execnz .LBB24_1239
.LBB24_747:                             ;   in Loop: Header=BB24_3 Depth=1
	s_or_b32 exec_lo, exec_lo, s64
	s_and_saveexec_b32 s64, s2
	s_cbranch_execnz .LBB24_1240
.LBB24_748:                             ;   in Loop: Header=BB24_3 Depth=1
	s_or_b32 exec_lo, exec_lo, s64
	s_and_saveexec_b32 s64, s18
	s_cbranch_execz .LBB24_750
.LBB24_749:                             ;   in Loop: Header=BB24_3 Depth=1
	ds_load_b32 v23, v46 offset:10144
	ds_load_b32 v24, v5 offset:8348
	s_wait_dscnt 0x0
	v_fmac_f32_e32 v22, v23, v24
.LBB24_750:                             ;   in Loop: Header=BB24_3 Depth=1
	s_or_b32 exec_lo, exec_lo, s64
	s_delay_alu instid0(VALU_DEP_1)
	v_xor_b32_e32 v22, 0x80000000, v22
.LBB24_751:                             ;   in Loop: Header=BB24_3 Depth=1
	s_or_b32 exec_lo, exec_lo, s69
	s_and_saveexec_b32 s64, s103
	s_cbranch_execz .LBB24_753
; %bb.752:                              ;   in Loop: Header=BB24_3 Depth=1
	ds_load_b32 v23, v5 offset:10400
	s_wait_dscnt 0x0
	v_mul_f32_e32 v22, v22, v23
	ds_store_b32 v43, v22
.LBB24_753:                             ;   in Loop: Header=BB24_3 Depth=1
	s_or_b32 exec_lo, exec_lo, s64
	s_wait_dscnt 0x0
	s_barrier_signal -1
	s_barrier_wait -1
	s_and_saveexec_b32 s64, s104
	s_cbranch_execz .LBB24_755
; %bb.754:                              ;   in Loop: Header=BB24_3 Depth=1
	ds_load_b32 v23, v41 offset:10400
	ds_load_b32 v24, v43
	s_wait_dscnt 0x0
	v_fmac_f32_e32 v22, v23, v24
.LBB24_755:                             ;   in Loop: Header=BB24_3 Depth=1
	s_or_b32 exec_lo, exec_lo, s64
	s_barrier_signal -1
	s_barrier_wait -1
	s_and_saveexec_b32 s64, vcc_hi
	s_cbranch_execz .LBB24_757
; %bb.756:                              ;   in Loop: Header=BB24_3 Depth=1
	ds_load_b32 v23, v5 offset:10660
	s_wait_dscnt 0x0
	v_mul_f32_e32 v22, v22, v23
	ds_store_b32 v43, v22
.LBB24_757:                             ;   in Loop: Header=BB24_3 Depth=1
	s_or_b32 exec_lo, exec_lo, s64
	s_wait_dscnt 0x0
	s_barrier_signal -1
	s_barrier_wait -1
	s_and_saveexec_b32 s64, s36
	s_cbranch_execz .LBB24_759
; %bb.758:                              ;   in Loop: Header=BB24_3 Depth=1
	ds_load_b32 v23, v41 offset:10656
	ds_load_b32 v24, v43
	s_wait_dscnt 0x0
	v_fmac_f32_e32 v22, v23, v24
.LBB24_759:                             ;   in Loop: Header=BB24_3 Depth=1
	s_or_b32 exec_lo, exec_lo, s64
	s_barrier_signal -1
	s_barrier_wait -1
	s_and_saveexec_b32 s64, s37
	s_cbranch_execz .LBB24_761
; %bb.760:                              ;   in Loop: Header=BB24_3 Depth=1
	ds_load_b32 v23, v5 offset:10920
	s_wait_dscnt 0x0
	v_mul_f32_e32 v22, v22, v23
	ds_store_b32 v43, v22
.LBB24_761:                             ;   in Loop: Header=BB24_3 Depth=1
	s_or_b32 exec_lo, exec_lo, s64
	s_wait_dscnt 0x0
	s_barrier_signal -1
	s_barrier_wait -1
	s_and_saveexec_b32 s64, s38
	s_cbranch_execz .LBB24_763
; %bb.762:                              ;   in Loop: Header=BB24_3 Depth=1
	ds_load_b32 v23, v41 offset:10912
	ds_load_b32 v24, v43
	s_wait_dscnt 0x0
	v_fmac_f32_e32 v22, v23, v24
.LBB24_763:                             ;   in Loop: Header=BB24_3 Depth=1
	s_or_b32 exec_lo, exec_lo, s64
	s_barrier_signal -1
	s_barrier_wait -1
	s_and_saveexec_b32 s64, s39
	;; [unrolled: 23-line block ×6, first 2 shown]
	s_cbranch_execz .LBB24_781
; %bb.780:                              ;   in Loop: Header=BB24_3 Depth=1
	ds_load_b32 v23, v5 offset:12220
	s_wait_dscnt 0x0
	v_mul_f32_e32 v22, v22, v23
	ds_store_b32 v43, v22
.LBB24_781:                             ;   in Loop: Header=BB24_3 Depth=1
	s_or_b32 exec_lo, exec_lo, s64
	s_wait_dscnt 0x0
	s_barrier_signal -1
	s_barrier_wait -1
	s_barrier_signal -1
	s_barrier_wait -1
	s_and_saveexec_b32 s64, s3
; %bb.782:                              ;   in Loop: Header=BB24_3 Depth=1
	v_xor_b32_e32 v22, 0x80000000, v22
	ds_store_b32 v44, v22 offset:8352
; %bb.783:                              ;   in Loop: Header=BB24_3 Depth=1
	s_or_b32 exec_lo, exec_lo, s64
	s_wait_dscnt 0x0
	s_barrier_signal -1
	s_barrier_wait -1
	s_barrier_signal -1
	s_barrier_wait -1
	s_and_saveexec_b32 s64, s47
	s_cbranch_execz .LBB24_785
; %bb.784:                              ;   in Loop: Header=BB24_3 Depth=1
	ds_load_b32 v22, v47 offset:8352
	s_wait_dscnt 0x0
	ds_store_b32 v48, v22 offset:10368
	ds_load_b32 v22, v47 offset:8356
	s_wait_dscnt 0x0
	ds_store_b32 v48, v22 offset:10624
	;; [unrolled: 3-line block ×8, first 2 shown]
.LBB24_785:                             ;   in Loop: Header=BB24_3 Depth=1
	s_or_b32 exec_lo, exec_lo, s64
	s_wait_dscnt 0x0
	s_barrier_signal -1
	s_barrier_wait -1
	s_and_saveexec_b32 s64, s15
	s_cbranch_execz .LBB24_787
; %bb.786:                              ;   in Loop: Header=BB24_3 Depth=1
	ds_load_b64 v[22:23], v5 offset:10400
	ds_load_b32 v24, v5 offset:10660
	s_wait_dscnt 0x0
	v_mul_f32_e32 v22, v22, v24
	s_delay_alu instid0(VALU_DEP_1)
	v_mul_f32_e32 v22, v23, v22
	v_add_nc_u32_e64 v23, 0x2800, 0
	ds_store_2addr_b32 v23, v22, v22 offset0:41 offset1:104
.LBB24_787:                             ;   in Loop: Header=BB24_3 Depth=1
	s_or_b32 exec_lo, exec_lo, s64
	v_mov_b32_e32 v22, 0
	s_wait_dscnt 0x0
	s_barrier_signal -1
	s_barrier_wait -1
	s_and_saveexec_b32 s64, s0
	s_cbranch_execz .LBB24_791
; %bb.788:                              ;   in Loop: Header=BB24_3 Depth=1
	ds_load_b32 v22, v27 offset:10408
	ds_load_b32 v23, v28 offset:10400
	s_wait_dscnt 0x0
	v_fma_f32 v22, v22, v23, 0
	s_and_saveexec_b32 s65, s16
	s_cbranch_execz .LBB24_790
; %bb.789:                              ;   in Loop: Header=BB24_3 Depth=1
	ds_load_b32 v23, v48 offset:10664
	ds_load_b32 v24, v5 offset:10404
	s_wait_dscnt 0x0
	v_fmac_f32_e32 v22, v23, v24
.LBB24_790:                             ;   in Loop: Header=BB24_3 Depth=1
	s_or_b32 exec_lo, exec_lo, s65
	s_delay_alu instid0(VALU_DEP_1)
	v_xor_b32_e32 v22, 0x80000000, v22
.LBB24_791:                             ;   in Loop: Header=BB24_3 Depth=1
	s_or_b32 exec_lo, exec_lo, s64
	s_and_saveexec_b32 s64, s93
	s_cbranch_execz .LBB24_793
; %bb.792:                              ;   in Loop: Header=BB24_3 Depth=1
	ds_load_b32 v23, v5 offset:10920
	s_wait_dscnt 0x0
	v_mul_f32_e32 v22, v22, v23
	ds_store_b32 v3, v22
.LBB24_793:                             ;   in Loop: Header=BB24_3 Depth=1
	s_or_b32 exec_lo, exec_lo, s64
	s_wait_dscnt 0x0
	s_barrier_signal -1
	s_barrier_wait -1
	s_and_saveexec_b32 s64, s94
	s_cbranch_execz .LBB24_795
; %bb.794:                              ;   in Loop: Header=BB24_3 Depth=1
	ds_load_b32 v23, v5 offset:10924
	ds_load_b32 v24, v3
	s_wait_dscnt 0x0
	v_fmac_f32_e32 v22, v23, v24
.LBB24_795:                             ;   in Loop: Header=BB24_3 Depth=1
	s_or_b32 exec_lo, exec_lo, s64
	s_barrier_signal -1
	s_barrier_wait -1
	s_and_saveexec_b32 s64, s94
	s_cbranch_execz .LBB24_797
; %bb.796:                              ;   in Loop: Header=BB24_3 Depth=1
	ds_load_b32 v23, v5 offset:11180
	s_wait_dscnt 0x0
	v_mul_f32_e32 v22, v22, v23
	ds_store_b32 v3, v22
.LBB24_797:                             ;   in Loop: Header=BB24_3 Depth=1
	s_or_b32 exec_lo, exec_lo, s64
	s_wait_dscnt 0x0
	s_barrier_signal -1
	s_barrier_wait -1
	s_barrier_signal -1
	s_barrier_wait -1
	s_and_saveexec_b32 s64, s0
; %bb.798:                              ;   in Loop: Header=BB24_3 Depth=1
	v_xor_b32_e32 v22, 0x80000000, v22
	ds_store_b32 v27, v22 offset:10408
; %bb.799:                              ;   in Loop: Header=BB24_3 Depth=1
	s_or_b32 exec_lo, exec_lo, s64
	s_wait_dscnt 0x0
	s_barrier_signal -1
	s_barrier_wait -1
	s_barrier_signal -1
	s_barrier_wait -1
	s_and_saveexec_b32 s64, s95
	s_cbranch_execz .LBB24_801
; %bb.800:                              ;   in Loop: Header=BB24_3 Depth=1
	ds_load_b32 v22, v49 offset:10408
	s_wait_dscnt 0x0
	ds_store_b32 v48, v22 offset:10912
	ds_load_b32 v22, v49 offset:10412
	s_wait_dscnt 0x0
	ds_store_b32 v48, v22 offset:11168
.LBB24_801:                             ;   in Loop: Header=BB24_3 Depth=1
	s_or_b32 exec_lo, exec_lo, s64
	s_wait_dscnt 0x0
	s_barrier_signal -1
	s_barrier_wait -1
	s_and_saveexec_b32 s64, s15
	s_cbranch_execz .LBB24_803
; %bb.802:                              ;   in Loop: Header=BB24_3 Depth=1
	ds_load_b64 v[22:23], v5 offset:10920
	ds_load_b32 v24, v5 offset:11180
	s_wait_dscnt 0x0
	v_mul_f32_e32 v22, v22, v24
	s_delay_alu instid0(VALU_DEP_1)
	v_mul_f32_e32 v22, v23, v22
	v_add_nc_u32_e64 v23, 0x2800, 0
	ds_store_2addr_b32 v23, v22, v22 offset0:171 offset1:234
.LBB24_803:                             ;   in Loop: Header=BB24_3 Depth=1
	s_or_b32 exec_lo, exec_lo, s64
	v_mov_b32_e32 v22, 0
	s_wait_dscnt 0x0
	s_barrier_signal -1
	s_barrier_wait -1
	s_and_saveexec_b32 s69, s2
	s_cbranch_execz .LBB24_809
; %bb.804:                              ;   in Loop: Header=BB24_3 Depth=1
	ds_load_b32 v22, v35 offset:10416
	ds_load_b32 v23, v30 offset:10400
	s_wait_dscnt 0x0
	v_fma_f32 v22, v22, v23, 0
	s_and_saveexec_b32 s64, s17
	s_cbranch_execnz .LBB24_1241
; %bb.805:                              ;   in Loop: Header=BB24_3 Depth=1
	s_or_b32 exec_lo, exec_lo, s64
	s_and_saveexec_b32 s64, s18
	s_cbranch_execnz .LBB24_1242
.LBB24_806:                             ;   in Loop: Header=BB24_3 Depth=1
	s_or_b32 exec_lo, exec_lo, s64
	s_and_saveexec_b32 s64, s0
	s_cbranch_execz .LBB24_808
.LBB24_807:                             ;   in Loop: Header=BB24_3 Depth=1
	ds_load_b32 v23, v50 offset:11184
	ds_load_b32 v24, v5 offset:10412
	s_wait_dscnt 0x0
	v_fmac_f32_e32 v22, v23, v24
.LBB24_808:                             ;   in Loop: Header=BB24_3 Depth=1
	s_or_b32 exec_lo, exec_lo, s64
	s_delay_alu instid0(VALU_DEP_1)
	v_xor_b32_e32 v22, 0x80000000, v22
.LBB24_809:                             ;   in Loop: Header=BB24_3 Depth=1
	s_or_b32 exec_lo, exec_lo, s69
	s_and_saveexec_b32 s64, s96
	s_cbranch_execz .LBB24_811
; %bb.810:                              ;   in Loop: Header=BB24_3 Depth=1
	ds_load_b32 v23, v5 offset:11440
	s_wait_dscnt 0x0
	v_mul_f32_e32 v22, v22, v23
	ds_store_b32 v34, v22
.LBB24_811:                             ;   in Loop: Header=BB24_3 Depth=1
	s_or_b32 exec_lo, exec_lo, s64
	s_wait_dscnt 0x0
	s_barrier_signal -1
	s_barrier_wait -1
	s_and_saveexec_b32 s64, s97
	s_cbranch_execz .LBB24_813
; %bb.812:                              ;   in Loop: Header=BB24_3 Depth=1
	ds_load_b32 v23, v32 offset:11440
	ds_load_b32 v24, v34
	s_wait_dscnt 0x0
	v_fmac_f32_e32 v22, v23, v24
.LBB24_813:                             ;   in Loop: Header=BB24_3 Depth=1
	s_or_b32 exec_lo, exec_lo, s64
	s_barrier_signal -1
	s_barrier_wait -1
	s_and_saveexec_b32 s64, s98
	s_cbranch_execz .LBB24_815
; %bb.814:                              ;   in Loop: Header=BB24_3 Depth=1
	ds_load_b32 v23, v5 offset:11700
	s_wait_dscnt 0x0
	v_mul_f32_e32 v22, v22, v23
	ds_store_b32 v34, v22
.LBB24_815:                             ;   in Loop: Header=BB24_3 Depth=1
	s_or_b32 exec_lo, exec_lo, s64
	s_wait_dscnt 0x0
	s_barrier_signal -1
	s_barrier_wait -1
	s_and_saveexec_b32 s64, s99
	s_cbranch_execz .LBB24_817
; %bb.816:                              ;   in Loop: Header=BB24_3 Depth=1
	ds_load_b32 v23, v32 offset:11696
	ds_load_b32 v24, v34
	s_wait_dscnt 0x0
	v_fmac_f32_e32 v22, v23, v24
.LBB24_817:                             ;   in Loop: Header=BB24_3 Depth=1
	s_or_b32 exec_lo, exec_lo, s64
	s_barrier_signal -1
	s_barrier_wait -1
	;; [unrolled: 23-line block ×3, first 2 shown]
	s_and_saveexec_b32 s64, s101
	s_cbranch_execz .LBB24_823
; %bb.822:                              ;   in Loop: Header=BB24_3 Depth=1
	ds_load_b32 v23, v5 offset:12220
	s_wait_dscnt 0x0
	v_mul_f32_e32 v22, v22, v23
	ds_store_b32 v34, v22
.LBB24_823:                             ;   in Loop: Header=BB24_3 Depth=1
	s_or_b32 exec_lo, exec_lo, s64
	s_wait_dscnt 0x0
	s_barrier_signal -1
	s_barrier_wait -1
	s_barrier_signal -1
	s_barrier_wait -1
	s_and_saveexec_b32 s64, s2
; %bb.824:                              ;   in Loop: Header=BB24_3 Depth=1
	v_xor_b32_e32 v22, 0x80000000, v22
	ds_store_b32 v35, v22 offset:10416
; %bb.825:                              ;   in Loop: Header=BB24_3 Depth=1
	s_or_b32 exec_lo, exec_lo, s64
	s_wait_dscnt 0x0
	s_barrier_signal -1
	s_barrier_wait -1
	s_barrier_signal -1
	s_barrier_wait -1
	s_and_saveexec_b32 s64, s102
	s_cbranch_execz .LBB24_827
; %bb.826:                              ;   in Loop: Header=BB24_3 Depth=1
	ds_load_b32 v22, v51 offset:10416
	s_wait_dscnt 0x0
	ds_store_b32 v52, v22 offset:11424
	ds_load_b32 v22, v51 offset:10420
	s_wait_dscnt 0x0
	ds_store_b32 v52, v22 offset:11680
	;; [unrolled: 3-line block ×4, first 2 shown]
.LBB24_827:                             ;   in Loop: Header=BB24_3 Depth=1
	s_or_b32 exec_lo, exec_lo, s64
	s_wait_dscnt 0x0
	s_barrier_signal -1
	s_barrier_wait -1
	s_and_saveexec_b32 s64, s15
	s_cbranch_execz .LBB24_829
; %bb.828:                              ;   in Loop: Header=BB24_3 Depth=1
	ds_load_b64 v[22:23], v5 offset:11440
	ds_load_b32 v24, v5 offset:11700
	s_wait_dscnt 0x0
	v_mul_f32_e32 v22, v22, v24
	s_delay_alu instid0(VALU_DEP_1)
	v_mul_f32_e32 v22, v23, v22
	v_add_nc_u32_e64 v23, 0x2c00, 0
	ds_store_2addr_b32 v23, v22, v22 offset0:45 offset1:108
.LBB24_829:                             ;   in Loop: Header=BB24_3 Depth=1
	s_or_b32 exec_lo, exec_lo, s64
	v_mov_b32_e32 v22, 0
	s_wait_dscnt 0x0
	s_barrier_signal -1
	s_barrier_wait -1
	s_and_saveexec_b32 s64, s0
	s_cbranch_execz .LBB24_833
; %bb.830:                              ;   in Loop: Header=BB24_3 Depth=1
	ds_load_b32 v22, v27 offset:11448
	ds_load_b32 v23, v28 offset:11440
	s_wait_dscnt 0x0
	v_fma_f32 v22, v22, v23, 0
	s_and_saveexec_b32 s65, s16
	s_cbranch_execz .LBB24_832
; %bb.831:                              ;   in Loop: Header=BB24_3 Depth=1
	ds_load_b32 v23, v52 offset:11704
	ds_load_b32 v24, v5 offset:11444
	s_wait_dscnt 0x0
	v_fmac_f32_e32 v22, v23, v24
.LBB24_832:                             ;   in Loop: Header=BB24_3 Depth=1
	s_or_b32 exec_lo, exec_lo, s65
	s_delay_alu instid0(VALU_DEP_1)
	v_xor_b32_e32 v22, 0x80000000, v22
.LBB24_833:                             ;   in Loop: Header=BB24_3 Depth=1
	s_or_b32 exec_lo, exec_lo, s64
	s_and_saveexec_b32 s64, s93
	s_cbranch_execz .LBB24_835
; %bb.834:                              ;   in Loop: Header=BB24_3 Depth=1
	ds_load_b32 v23, v5 offset:11960
	s_wait_dscnt 0x0
	v_mul_f32_e32 v22, v22, v23
	ds_store_b32 v3, v22
.LBB24_835:                             ;   in Loop: Header=BB24_3 Depth=1
	s_or_b32 exec_lo, exec_lo, s64
	s_wait_dscnt 0x0
	s_barrier_signal -1
	s_barrier_wait -1
	s_and_saveexec_b32 s64, s94
	s_cbranch_execz .LBB24_837
; %bb.836:                              ;   in Loop: Header=BB24_3 Depth=1
	ds_load_b32 v23, v5 offset:11964
	ds_load_b32 v24, v3
	s_wait_dscnt 0x0
	v_fmac_f32_e32 v22, v23, v24
.LBB24_837:                             ;   in Loop: Header=BB24_3 Depth=1
	s_or_b32 exec_lo, exec_lo, s64
	s_barrier_signal -1
	s_barrier_wait -1
	s_and_saveexec_b32 s64, s94
	s_cbranch_execz .LBB24_839
; %bb.838:                              ;   in Loop: Header=BB24_3 Depth=1
	ds_load_b32 v23, v5 offset:12220
	s_wait_dscnt 0x0
	v_mul_f32_e32 v22, v22, v23
	ds_store_b32 v3, v22
.LBB24_839:                             ;   in Loop: Header=BB24_3 Depth=1
	s_or_b32 exec_lo, exec_lo, s64
	s_wait_dscnt 0x0
	s_barrier_signal -1
	s_barrier_wait -1
	s_barrier_signal -1
	s_barrier_wait -1
	s_and_saveexec_b32 s64, s0
; %bb.840:                              ;   in Loop: Header=BB24_3 Depth=1
	v_xor_b32_e32 v22, 0x80000000, v22
	ds_store_b32 v27, v22 offset:11448
; %bb.841:                              ;   in Loop: Header=BB24_3 Depth=1
	s_or_b32 exec_lo, exec_lo, s64
	s_wait_dscnt 0x0
	s_barrier_signal -1
	s_barrier_wait -1
	s_barrier_signal -1
	s_barrier_wait -1
	s_and_saveexec_b32 s64, s95
	s_cbranch_execz .LBB24_843
; %bb.842:                              ;   in Loop: Header=BB24_3 Depth=1
	ds_load_b32 v22, v54 offset:11448
	s_wait_dscnt 0x0
	ds_store_b32 v52, v22 offset:11952
	ds_load_b32 v22, v54 offset:11452
	s_wait_dscnt 0x0
	ds_store_b32 v52, v22 offset:12208
.LBB24_843:                             ;   in Loop: Header=BB24_3 Depth=1
	s_or_b32 exec_lo, exec_lo, s64
	s_wait_dscnt 0x0
	s_barrier_signal -1
	s_barrier_wait -1
	s_and_saveexec_b32 s64, s15
	s_cbranch_execz .LBB24_845
; %bb.844:                              ;   in Loop: Header=BB24_3 Depth=1
	ds_load_b64 v[22:23], v5 offset:11960
	ds_load_b32 v24, v5 offset:12220
	s_wait_dscnt 0x0
	v_mul_f32_e32 v22, v22, v24
	s_delay_alu instid0(VALU_DEP_1)
	v_mul_f32_e32 v22, v23, v22
	v_add_nc_u32_e64 v23, 0x2c00, 0
	ds_store_2addr_b32 v23, v22, v22 offset0:175 offset1:238
.LBB24_845:                             ;   in Loop: Header=BB24_3 Depth=1
	s_or_b32 exec_lo, exec_lo, s64
	v_mov_b32_e32 v22, 0
	s_wait_dscnt 0x0
	s_barrier_signal -1
	s_barrier_wait -1
	s_and_saveexec_b32 s69, s4
	s_cbranch_execz .LBB24_873
; %bb.846:                              ;   in Loop: Header=BB24_3 Depth=1
	ds_load_b32 v22, v57 offset:8384
	ds_load_b32 v23, v53 offset:8320
	s_wait_dscnt 0x0
	v_fma_f32 v22, v22, v23, 0
	s_mov_b32 s64, exec_lo
	v_readlane_b32 s65, v89, 25
	s_and_b32 s65, s64, s65
	s_delay_alu instid0(SALU_CYCLE_1)
	s_mov_b32 exec_lo, s65
	s_cbranch_execz .LBB24_848
; %bb.847:                              ;   in Loop: Header=BB24_3 Depth=1
	ds_load_b32 v23, v58 offset:8640
	ds_load_b32 v24, v53 offset:8324
	s_wait_dscnt 0x0
	v_fmac_f32_e32 v22, v23, v24
.LBB24_848:                             ;   in Loop: Header=BB24_3 Depth=1
	s_or_b32 exec_lo, exec_lo, s64
	s_delay_alu instid0(SALU_CYCLE_1) | instskip(SKIP_2) | instid1(SALU_CYCLE_1)
	s_mov_b32 s64, exec_lo
	v_readlane_b32 s65, v89, 26
	s_and_b32 s65, s64, s65
	s_mov_b32 exec_lo, s65
	s_cbranch_execz .LBB24_850
; %bb.849:                              ;   in Loop: Header=BB24_3 Depth=1
	ds_load_b32 v23, v58 offset:8896
	ds_load_b32 v24, v53 offset:8328
	s_wait_dscnt 0x0
	v_fmac_f32_e32 v22, v23, v24
.LBB24_850:                             ;   in Loop: Header=BB24_3 Depth=1
	s_or_b32 exec_lo, exec_lo, s64
	s_delay_alu instid0(SALU_CYCLE_1) | instskip(SKIP_2) | instid1(SALU_CYCLE_1)
	s_mov_b32 s64, exec_lo
	v_readlane_b32 s65, v89, 27
	s_and_b32 s65, s64, s65
	s_mov_b32 exec_lo, s65
	s_cbranch_execz .LBB24_852
; %bb.851:                              ;   in Loop: Header=BB24_3 Depth=1
	ds_load_b32 v23, v58 offset:9152
	ds_load_b32 v24, v53 offset:8332
	s_wait_dscnt 0x0
	v_fmac_f32_e32 v22, v23, v24
.LBB24_852:                             ;   in Loop: Header=BB24_3 Depth=1
	s_or_b32 exec_lo, exec_lo, s64
	s_delay_alu instid0(SALU_CYCLE_1) | instskip(SKIP_2) | instid1(SALU_CYCLE_1)
	s_mov_b32 s64, exec_lo
	v_readlane_b32 s65, v89, 28
	s_and_b32 s65, s64, s65
	s_mov_b32 exec_lo, s65
	s_cbranch_execz .LBB24_854
; %bb.853:                              ;   in Loop: Header=BB24_3 Depth=1
	ds_load_b32 v23, v58 offset:9408
	ds_load_b32 v24, v53 offset:8336
	s_wait_dscnt 0x0
	v_fmac_f32_e32 v22, v23, v24
.LBB24_854:                             ;   in Loop: Header=BB24_3 Depth=1
	s_or_b32 exec_lo, exec_lo, s64
	s_delay_alu instid0(SALU_CYCLE_1) | instskip(SKIP_2) | instid1(SALU_CYCLE_1)
	s_mov_b32 s64, exec_lo
	v_readlane_b32 s65, v89, 29
	s_and_b32 s65, s64, s65
	s_mov_b32 exec_lo, s65
	s_cbranch_execz .LBB24_856
; %bb.855:                              ;   in Loop: Header=BB24_3 Depth=1
	ds_load_b32 v23, v58 offset:9664
	ds_load_b32 v24, v53 offset:8340
	s_wait_dscnt 0x0
	v_fmac_f32_e32 v22, v23, v24
.LBB24_856:                             ;   in Loop: Header=BB24_3 Depth=1
	s_or_b32 exec_lo, exec_lo, s64
	s_delay_alu instid0(SALU_CYCLE_1) | instskip(SKIP_2) | instid1(SALU_CYCLE_1)
	s_mov_b32 s64, exec_lo
	v_readlane_b32 s65, v89, 30
	s_and_b32 s65, s64, s65
	s_mov_b32 exec_lo, s65
	s_cbranch_execz .LBB24_858
; %bb.857:                              ;   in Loop: Header=BB24_3 Depth=1
	ds_load_b32 v23, v58 offset:9920
	ds_load_b32 v24, v53 offset:8344
	s_wait_dscnt 0x0
	v_fmac_f32_e32 v22, v23, v24
.LBB24_858:                             ;   in Loop: Header=BB24_3 Depth=1
	s_or_b32 exec_lo, exec_lo, s64
	s_delay_alu instid0(SALU_CYCLE_1) | instskip(SKIP_2) | instid1(SALU_CYCLE_1)
	s_mov_b32 s64, exec_lo
	v_readlane_b32 s65, v89, 31
	s_and_b32 s65, s64, s65
	s_mov_b32 exec_lo, s65
	s_cbranch_execz .LBB24_860
; %bb.859:                              ;   in Loop: Header=BB24_3 Depth=1
	ds_load_b32 v23, v58 offset:10176
	ds_load_b32 v24, v53 offset:8348
	s_wait_dscnt 0x0
	v_fmac_f32_e32 v22, v23, v24
.LBB24_860:                             ;   in Loop: Header=BB24_3 Depth=1
	s_or_b32 exec_lo, exec_lo, s64
	s_delay_alu instid0(SALU_CYCLE_1) | instskip(SKIP_2) | instid1(SALU_CYCLE_1)
	s_mov_b32 s64, exec_lo
	v_readlane_b32 s65, v88, 0
	s_and_b32 s65, s64, s65
	s_mov_b32 exec_lo, s65
	s_cbranch_execz .LBB24_862
; %bb.861:                              ;   in Loop: Header=BB24_3 Depth=1
	ds_load_b32 v23, v57 offset:10432
	ds_load_b32 v24, v53 offset:8352
	s_wait_dscnt 0x0
	v_fmac_f32_e32 v22, v23, v24
.LBB24_862:                             ;   in Loop: Header=BB24_3 Depth=1
	s_or_b32 exec_lo, exec_lo, s64
	s_delay_alu instid0(SALU_CYCLE_1) | instskip(SKIP_2) | instid1(SALU_CYCLE_1)
	s_mov_b32 s64, exec_lo
	v_readlane_b32 s65, v88, 1
	s_and_b32 s65, s64, s65
	s_mov_b32 exec_lo, s65
	s_cbranch_execz .LBB24_864
; %bb.863:                              ;   in Loop: Header=BB24_3 Depth=1
	ds_load_b32 v23, v58 offset:10688
	ds_load_b32 v24, v53 offset:8356
	s_wait_dscnt 0x0
	v_fmac_f32_e32 v22, v23, v24
.LBB24_864:                             ;   in Loop: Header=BB24_3 Depth=1
	s_or_b32 exec_lo, exec_lo, s64
	s_delay_alu instid0(SALU_CYCLE_1) | instskip(SKIP_2) | instid1(SALU_CYCLE_1)
	s_mov_b32 s64, exec_lo
	v_readlane_b32 s65, v88, 2
	s_and_b32 s65, s64, s65
	s_mov_b32 exec_lo, s65
	s_cbranch_execz .LBB24_866
; %bb.865:                              ;   in Loop: Header=BB24_3 Depth=1
	ds_load_b32 v23, v58 offset:10944
	ds_load_b32 v24, v53 offset:8360
	s_wait_dscnt 0x0
	v_fmac_f32_e32 v22, v23, v24
.LBB24_866:                             ;   in Loop: Header=BB24_3 Depth=1
	s_or_b32 exec_lo, exec_lo, s64
	s_delay_alu instid0(SALU_CYCLE_1) | instskip(SKIP_2) | instid1(SALU_CYCLE_1)
	s_mov_b32 s64, exec_lo
	v_readlane_b32 s65, v88, 3
	s_and_b32 s65, s64, s65
	s_mov_b32 exec_lo, s65
	s_cbranch_execnz .LBB24_1243
; %bb.867:                              ;   in Loop: Header=BB24_3 Depth=1
	s_or_b32 exec_lo, exec_lo, s64
	s_and_saveexec_b32 s64, s3
	s_cbranch_execnz .LBB24_1244
.LBB24_868:                             ;   in Loop: Header=BB24_3 Depth=1
	s_or_b32 exec_lo, exec_lo, s64
	s_and_saveexec_b32 s64, s20
	s_cbranch_execnz .LBB24_1245
.LBB24_869:                             ;   in Loop: Header=BB24_3 Depth=1
	s_or_b32 exec_lo, exec_lo, s64
	s_and_saveexec_b32 s64, s22
	s_cbranch_execnz .LBB24_1246
.LBB24_870:                             ;   in Loop: Header=BB24_3 Depth=1
	s_or_b32 exec_lo, exec_lo, s64
	s_and_saveexec_b32 s64, s2
	s_cbranch_execz .LBB24_872
.LBB24_871:                             ;   in Loop: Header=BB24_3 Depth=1
	ds_load_b32 v23, v29 offset:12224
	ds_load_b32 v24, v5 offset:8380
	s_wait_dscnt 0x0
	v_fmac_f32_e32 v22, v23, v24
.LBB24_872:                             ;   in Loop: Header=BB24_3 Depth=1
	s_or_b32 exec_lo, exec_lo, s64
	s_delay_alu instid0(VALU_DEP_1)
	v_xor_b32_e32 v22, 0x80000000, v22
.LBB24_873:                             ;   in Loop: Header=BB24_3 Depth=1
	s_or_b32 exec_lo, exec_lo, s69
	s_and_saveexec_b32 s64, s48
	s_cbranch_execz .LBB24_875
; %bb.874:                              ;   in Loop: Header=BB24_3 Depth=1
	ds_load_b32 v23, v5 offset:12480
	s_wait_dscnt 0x0
	v_mul_f32_e32 v22, v22, v23
	ds_store_b32 v56, v22
.LBB24_875:                             ;   in Loop: Header=BB24_3 Depth=1
	s_or_b32 exec_lo, exec_lo, s64
	s_wait_dscnt 0x0
	s_barrier_signal -1
	s_barrier_wait -1
	s_and_saveexec_b32 s64, s49
	s_cbranch_execz .LBB24_877
; %bb.876:                              ;   in Loop: Header=BB24_3 Depth=1
	ds_load_b32 v23, v55 offset:12480
	ds_load_b32 v24, v56
	s_wait_dscnt 0x0
	v_fmac_f32_e32 v22, v23, v24
.LBB24_877:                             ;   in Loop: Header=BB24_3 Depth=1
	s_or_b32 exec_lo, exec_lo, s64
	s_barrier_signal -1
	s_barrier_wait -1
	s_and_saveexec_b32 s64, s50
	s_cbranch_execz .LBB24_879
; %bb.878:                              ;   in Loop: Header=BB24_3 Depth=1
	ds_load_b32 v23, v5 offset:12740
	s_wait_dscnt 0x0
	v_mul_f32_e32 v22, v22, v23
	ds_store_b32 v56, v22
.LBB24_879:                             ;   in Loop: Header=BB24_3 Depth=1
	s_or_b32 exec_lo, exec_lo, s64
	s_wait_dscnt 0x0
	s_barrier_signal -1
	s_barrier_wait -1
	s_and_saveexec_b32 s64, s51
	s_cbranch_execz .LBB24_881
; %bb.880:                              ;   in Loop: Header=BB24_3 Depth=1
	ds_load_b32 v23, v55 offset:12736
	ds_load_b32 v24, v56
	s_wait_dscnt 0x0
	v_fmac_f32_e32 v22, v23, v24
.LBB24_881:                             ;   in Loop: Header=BB24_3 Depth=1
	s_or_b32 exec_lo, exec_lo, s64
	s_barrier_signal -1
	s_barrier_wait -1
	;; [unrolled: 23-line block ×15, first 2 shown]
	s_and_saveexec_b32 s64, s91
	s_cbranch_execz .LBB24_935
; %bb.934:                              ;   in Loop: Header=BB24_3 Depth=1
	ds_load_b32 v23, v5 offset:16380
	s_wait_dscnt 0x0
	v_mul_f32_e32 v22, v22, v23
	ds_store_b32 v56, v22
.LBB24_935:                             ;   in Loop: Header=BB24_3 Depth=1
	s_or_b32 exec_lo, exec_lo, s64
	s_wait_dscnt 0x0
	s_barrier_signal -1
	s_barrier_wait -1
	s_barrier_signal -1
	s_barrier_wait -1
	s_and_saveexec_b32 s64, s4
; %bb.936:                              ;   in Loop: Header=BB24_3 Depth=1
	v_xor_b32_e32 v22, 0x80000000, v22
	ds_store_b32 v57, v22 offset:8384
; %bb.937:                              ;   in Loop: Header=BB24_3 Depth=1
	s_or_b32 exec_lo, exec_lo, s64
	s_wait_dscnt 0x0
	s_barrier_signal -1
	s_barrier_wait -1
	s_barrier_signal -1
	s_barrier_wait -1
	s_and_saveexec_b32 s65, s86
	s_cbranch_execz .LBB24_939
; %bb.938:                              ;   in Loop: Header=BB24_3 Depth=1
	ds_load_b32 v22, v33 offset:8384
	s_wait_dscnt 0x0
	ds_store_b32 v37, v22 offset:12416
	ds_load_b32 v22, v33 offset:8388
	s_wait_dscnt 0x0
	ds_store_b32 v37, v22 offset:12672
	;; [unrolled: 3-line block ×16, first 2 shown]
.LBB24_939:                             ;   in Loop: Header=BB24_3 Depth=1
	s_or_b32 exec_lo, exec_lo, s65
	s_wait_dscnt 0x0
	s_barrier_signal -1
	s_barrier_wait -1
	s_and_saveexec_b32 s64, s15
	s_cbranch_execz .LBB24_941
; %bb.940:                              ;   in Loop: Header=BB24_3 Depth=1
	ds_load_b64 v[22:23], v5 offset:12480
	ds_load_b32 v24, v5 offset:12740
	s_wait_dscnt 0x0
	v_mul_f32_e32 v22, v22, v24
	s_delay_alu instid0(VALU_DEP_1)
	v_mul_f32_e32 v22, v23, v22
	v_add_nc_u32_e64 v23, 0x3000, 0
	ds_store_2addr_b32 v23, v22, v22 offset0:49 offset1:112
.LBB24_941:                             ;   in Loop: Header=BB24_3 Depth=1
	s_or_b32 exec_lo, exec_lo, s64
	v_mov_b32_e32 v22, 0
	s_wait_dscnt 0x0
	s_barrier_signal -1
	s_barrier_wait -1
	s_and_saveexec_b32 s64, s0
	s_cbranch_execz .LBB24_945
; %bb.942:                              ;   in Loop: Header=BB24_3 Depth=1
	ds_load_b32 v22, v27 offset:12488
	ds_load_b32 v23, v28 offset:12480
	s_wait_dscnt 0x0
	v_fma_f32 v22, v22, v23, 0
	s_and_saveexec_b32 s65, s16
	s_cbranch_execz .LBB24_944
; %bb.943:                              ;   in Loop: Header=BB24_3 Depth=1
	ds_load_b32 v23, v29 offset:12744
	ds_load_b32 v24, v5 offset:12484
	s_wait_dscnt 0x0
	v_fmac_f32_e32 v22, v23, v24
.LBB24_944:                             ;   in Loop: Header=BB24_3 Depth=1
	s_or_b32 exec_lo, exec_lo, s65
	s_delay_alu instid0(VALU_DEP_1)
	v_xor_b32_e32 v22, 0x80000000, v22
.LBB24_945:                             ;   in Loop: Header=BB24_3 Depth=1
	s_or_b32 exec_lo, exec_lo, s64
	s_and_saveexec_b32 s64, s93
	s_cbranch_execz .LBB24_947
; %bb.946:                              ;   in Loop: Header=BB24_3 Depth=1
	ds_load_b32 v23, v5 offset:13000
	s_wait_dscnt 0x0
	v_mul_f32_e32 v22, v22, v23
	ds_store_b32 v3, v22
.LBB24_947:                             ;   in Loop: Header=BB24_3 Depth=1
	s_or_b32 exec_lo, exec_lo, s64
	s_wait_dscnt 0x0
	s_barrier_signal -1
	s_barrier_wait -1
	s_and_saveexec_b32 s64, s94
	s_cbranch_execz .LBB24_949
; %bb.948:                              ;   in Loop: Header=BB24_3 Depth=1
	ds_load_b32 v23, v5 offset:13004
	ds_load_b32 v24, v3
	s_wait_dscnt 0x0
	v_fmac_f32_e32 v22, v23, v24
.LBB24_949:                             ;   in Loop: Header=BB24_3 Depth=1
	s_or_b32 exec_lo, exec_lo, s64
	s_barrier_signal -1
	s_barrier_wait -1
	s_and_saveexec_b32 s64, s94
	s_cbranch_execz .LBB24_951
; %bb.950:                              ;   in Loop: Header=BB24_3 Depth=1
	ds_load_b32 v23, v5 offset:13260
	s_wait_dscnt 0x0
	v_mul_f32_e32 v22, v22, v23
	ds_store_b32 v3, v22
.LBB24_951:                             ;   in Loop: Header=BB24_3 Depth=1
	s_or_b32 exec_lo, exec_lo, s64
	s_wait_dscnt 0x0
	s_barrier_signal -1
	s_barrier_wait -1
	s_barrier_signal -1
	s_barrier_wait -1
	s_and_saveexec_b32 s64, s0
; %bb.952:                              ;   in Loop: Header=BB24_3 Depth=1
	v_xor_b32_e32 v22, 0x80000000, v22
	ds_store_b32 v27, v22 offset:12488
; %bb.953:                              ;   in Loop: Header=BB24_3 Depth=1
	s_or_b32 exec_lo, exec_lo, s64
	s_wait_dscnt 0x0
	s_barrier_signal -1
	s_barrier_wait -1
	s_barrier_signal -1
	s_barrier_wait -1
	s_and_saveexec_b32 s64, s95
	s_cbranch_execz .LBB24_955
; %bb.954:                              ;   in Loop: Header=BB24_3 Depth=1
	ds_load_b32 v22, v33 offset:12488
	s_wait_dscnt 0x0
	ds_store_b32 v29, v22 offset:12992
	ds_load_b32 v22, v33 offset:12492
	s_wait_dscnt 0x0
	ds_store_b32 v29, v22 offset:13248
.LBB24_955:                             ;   in Loop: Header=BB24_3 Depth=1
	s_or_b32 exec_lo, exec_lo, s64
	s_wait_dscnt 0x0
	s_barrier_signal -1
	s_barrier_wait -1
	s_and_saveexec_b32 s64, s15
	s_cbranch_execz .LBB24_957
; %bb.956:                              ;   in Loop: Header=BB24_3 Depth=1
	ds_load_b64 v[22:23], v5 offset:13000
	ds_load_b32 v24, v5 offset:13260
	s_wait_dscnt 0x0
	v_mul_f32_e32 v22, v22, v24
	s_delay_alu instid0(VALU_DEP_1)
	v_mul_f32_e32 v22, v23, v22
	v_add_nc_u32_e64 v23, 0x3000, 0
	ds_store_2addr_b32 v23, v22, v22 offset0:179 offset1:242
.LBB24_957:                             ;   in Loop: Header=BB24_3 Depth=1
	s_or_b32 exec_lo, exec_lo, s64
	v_mov_b32_e32 v22, 0
	s_wait_dscnt 0x0
	s_barrier_signal -1
	s_barrier_wait -1
	s_and_saveexec_b32 s69, s2
	s_cbranch_execz .LBB24_963
; %bb.958:                              ;   in Loop: Header=BB24_3 Depth=1
	ds_load_b32 v22, v35 offset:12496
	ds_load_b32 v23, v30 offset:12480
	s_wait_dscnt 0x0
	v_fma_f32 v22, v22, v23, 0
	s_and_saveexec_b32 s64, s17
	s_cbranch_execnz .LBB24_1247
; %bb.959:                              ;   in Loop: Header=BB24_3 Depth=1
	s_or_b32 exec_lo, exec_lo, s64
	s_and_saveexec_b32 s64, s18
	s_cbranch_execnz .LBB24_1248
.LBB24_960:                             ;   in Loop: Header=BB24_3 Depth=1
	s_or_b32 exec_lo, exec_lo, s64
	s_and_saveexec_b32 s64, s0
	s_cbranch_execz .LBB24_962
.LBB24_961:                             ;   in Loop: Header=BB24_3 Depth=1
	ds_load_b32 v23, v37 offset:13264
	ds_load_b32 v24, v5 offset:12492
	s_wait_dscnt 0x0
	v_fmac_f32_e32 v22, v23, v24
.LBB24_962:                             ;   in Loop: Header=BB24_3 Depth=1
	s_or_b32 exec_lo, exec_lo, s64
	s_delay_alu instid0(VALU_DEP_1)
	v_xor_b32_e32 v22, 0x80000000, v22
.LBB24_963:                             ;   in Loop: Header=BB24_3 Depth=1
	s_or_b32 exec_lo, exec_lo, s69
	s_and_saveexec_b32 s64, s96
	s_cbranch_execz .LBB24_965
; %bb.964:                              ;   in Loop: Header=BB24_3 Depth=1
	ds_load_b32 v23, v5 offset:13520
	s_wait_dscnt 0x0
	v_mul_f32_e32 v22, v22, v23
	ds_store_b32 v34, v22
.LBB24_965:                             ;   in Loop: Header=BB24_3 Depth=1
	s_or_b32 exec_lo, exec_lo, s64
	s_wait_dscnt 0x0
	s_barrier_signal -1
	s_barrier_wait -1
	s_and_saveexec_b32 s64, s97
	s_cbranch_execz .LBB24_967
; %bb.966:                              ;   in Loop: Header=BB24_3 Depth=1
	ds_load_b32 v23, v32 offset:13520
	ds_load_b32 v24, v34
	s_wait_dscnt 0x0
	v_fmac_f32_e32 v22, v23, v24
.LBB24_967:                             ;   in Loop: Header=BB24_3 Depth=1
	s_or_b32 exec_lo, exec_lo, s64
	s_barrier_signal -1
	s_barrier_wait -1
	s_and_saveexec_b32 s64, s98
	s_cbranch_execz .LBB24_969
; %bb.968:                              ;   in Loop: Header=BB24_3 Depth=1
	ds_load_b32 v23, v5 offset:13780
	s_wait_dscnt 0x0
	v_mul_f32_e32 v22, v22, v23
	ds_store_b32 v34, v22
.LBB24_969:                             ;   in Loop: Header=BB24_3 Depth=1
	s_or_b32 exec_lo, exec_lo, s64
	s_wait_dscnt 0x0
	s_barrier_signal -1
	s_barrier_wait -1
	s_and_saveexec_b32 s64, s99
	s_cbranch_execz .LBB24_971
; %bb.970:                              ;   in Loop: Header=BB24_3 Depth=1
	ds_load_b32 v23, v32 offset:13776
	ds_load_b32 v24, v34
	s_wait_dscnt 0x0
	v_fmac_f32_e32 v22, v23, v24
.LBB24_971:                             ;   in Loop: Header=BB24_3 Depth=1
	s_or_b32 exec_lo, exec_lo, s64
	s_barrier_signal -1
	s_barrier_wait -1
	;; [unrolled: 23-line block ×3, first 2 shown]
	s_and_saveexec_b32 s64, s101
	s_cbranch_execz .LBB24_977
; %bb.976:                              ;   in Loop: Header=BB24_3 Depth=1
	ds_load_b32 v23, v5 offset:14300
	s_wait_dscnt 0x0
	v_mul_f32_e32 v22, v22, v23
	ds_store_b32 v34, v22
.LBB24_977:                             ;   in Loop: Header=BB24_3 Depth=1
	s_or_b32 exec_lo, exec_lo, s64
	s_wait_dscnt 0x0
	s_barrier_signal -1
	s_barrier_wait -1
	s_barrier_signal -1
	s_barrier_wait -1
	s_and_saveexec_b32 s64, s2
; %bb.978:                              ;   in Loop: Header=BB24_3 Depth=1
	v_xor_b32_e32 v22, 0x80000000, v22
	ds_store_b32 v35, v22 offset:12496
; %bb.979:                              ;   in Loop: Header=BB24_3 Depth=1
	s_or_b32 exec_lo, exec_lo, s64
	s_wait_dscnt 0x0
	s_barrier_signal -1
	s_barrier_wait -1
	s_barrier_signal -1
	s_barrier_wait -1
	s_and_saveexec_b32 s64, s102
	s_cbranch_execz .LBB24_981
; %bb.980:                              ;   in Loop: Header=BB24_3 Depth=1
	ds_load_b32 v22, v38 offset:12496
	s_wait_dscnt 0x0
	ds_store_b32 v40, v22 offset:13504
	ds_load_b32 v22, v38 offset:12500
	s_wait_dscnt 0x0
	ds_store_b32 v40, v22 offset:13760
	;; [unrolled: 3-line block ×4, first 2 shown]
.LBB24_981:                             ;   in Loop: Header=BB24_3 Depth=1
	s_or_b32 exec_lo, exec_lo, s64
	s_wait_dscnt 0x0
	s_barrier_signal -1
	s_barrier_wait -1
	s_and_saveexec_b32 s64, s15
	s_cbranch_execz .LBB24_983
; %bb.982:                              ;   in Loop: Header=BB24_3 Depth=1
	ds_load_b64 v[22:23], v5 offset:13520
	ds_load_b32 v24, v5 offset:13780
	s_wait_dscnt 0x0
	v_mul_f32_e32 v22, v22, v24
	s_delay_alu instid0(VALU_DEP_1)
	v_mul_f32_e32 v22, v23, v22
	v_add_nc_u32_e64 v23, 0x3400, 0
	ds_store_2addr_b32 v23, v22, v22 offset0:53 offset1:116
.LBB24_983:                             ;   in Loop: Header=BB24_3 Depth=1
	s_or_b32 exec_lo, exec_lo, s64
	v_mov_b32_e32 v22, 0
	s_wait_dscnt 0x0
	s_barrier_signal -1
	s_barrier_wait -1
	s_and_saveexec_b32 s64, s0
	s_cbranch_execz .LBB24_987
; %bb.984:                              ;   in Loop: Header=BB24_3 Depth=1
	ds_load_b32 v22, v27 offset:13528
	ds_load_b32 v23, v28 offset:13520
	s_wait_dscnt 0x0
	v_fma_f32 v22, v22, v23, 0
	s_and_saveexec_b32 s65, s16
	s_cbranch_execz .LBB24_986
; %bb.985:                              ;   in Loop: Header=BB24_3 Depth=1
	ds_load_b32 v23, v40 offset:13784
	ds_load_b32 v24, v5 offset:13524
	s_wait_dscnt 0x0
	v_fmac_f32_e32 v22, v23, v24
.LBB24_986:                             ;   in Loop: Header=BB24_3 Depth=1
	s_or_b32 exec_lo, exec_lo, s65
	s_delay_alu instid0(VALU_DEP_1)
	v_xor_b32_e32 v22, 0x80000000, v22
.LBB24_987:                             ;   in Loop: Header=BB24_3 Depth=1
	s_or_b32 exec_lo, exec_lo, s64
	s_and_saveexec_b32 s64, s93
	s_cbranch_execz .LBB24_989
; %bb.988:                              ;   in Loop: Header=BB24_3 Depth=1
	ds_load_b32 v23, v5 offset:14040
	s_wait_dscnt 0x0
	v_mul_f32_e32 v22, v22, v23
	ds_store_b32 v3, v22
.LBB24_989:                             ;   in Loop: Header=BB24_3 Depth=1
	s_or_b32 exec_lo, exec_lo, s64
	s_wait_dscnt 0x0
	s_barrier_signal -1
	s_barrier_wait -1
	s_and_saveexec_b32 s64, s94
	s_cbranch_execz .LBB24_991
; %bb.990:                              ;   in Loop: Header=BB24_3 Depth=1
	ds_load_b32 v23, v5 offset:14044
	ds_load_b32 v24, v3
	s_wait_dscnt 0x0
	v_fmac_f32_e32 v22, v23, v24
.LBB24_991:                             ;   in Loop: Header=BB24_3 Depth=1
	s_or_b32 exec_lo, exec_lo, s64
	s_barrier_signal -1
	s_barrier_wait -1
	s_and_saveexec_b32 s64, s94
	s_cbranch_execz .LBB24_993
; %bb.992:                              ;   in Loop: Header=BB24_3 Depth=1
	ds_load_b32 v23, v5 offset:14300
	s_wait_dscnt 0x0
	v_mul_f32_e32 v22, v22, v23
	ds_store_b32 v3, v22
.LBB24_993:                             ;   in Loop: Header=BB24_3 Depth=1
	s_or_b32 exec_lo, exec_lo, s64
	s_wait_dscnt 0x0
	s_barrier_signal -1
	s_barrier_wait -1
	s_barrier_signal -1
	s_barrier_wait -1
	s_and_saveexec_b32 s64, s0
; %bb.994:                              ;   in Loop: Header=BB24_3 Depth=1
	v_xor_b32_e32 v22, 0x80000000, v22
	ds_store_b32 v27, v22 offset:13528
; %bb.995:                              ;   in Loop: Header=BB24_3 Depth=1
	s_or_b32 exec_lo, exec_lo, s64
	s_wait_dscnt 0x0
	s_barrier_signal -1
	s_barrier_wait -1
	s_barrier_signal -1
	s_barrier_wait -1
	s_and_saveexec_b32 s64, s95
	s_cbranch_execz .LBB24_997
; %bb.996:                              ;   in Loop: Header=BB24_3 Depth=1
	ds_load_b32 v22, v42 offset:13528
	s_wait_dscnt 0x0
	ds_store_b32 v40, v22 offset:14032
	ds_load_b32 v22, v42 offset:13532
	s_wait_dscnt 0x0
	ds_store_b32 v40, v22 offset:14288
.LBB24_997:                             ;   in Loop: Header=BB24_3 Depth=1
	s_or_b32 exec_lo, exec_lo, s64
	s_wait_dscnt 0x0
	s_barrier_signal -1
	s_barrier_wait -1
	s_and_saveexec_b32 s64, s15
	s_cbranch_execz .LBB24_999
; %bb.998:                              ;   in Loop: Header=BB24_3 Depth=1
	ds_load_b64 v[22:23], v5 offset:14040
	ds_load_b32 v24, v5 offset:14300
	s_wait_dscnt 0x0
	v_mul_f32_e32 v22, v22, v24
	s_delay_alu instid0(VALU_DEP_1)
	v_mul_f32_e32 v22, v23, v22
	v_add_nc_u32_e64 v23, 0x3400, 0
	ds_store_2addr_b32 v23, v22, v22 offset0:183 offset1:246
.LBB24_999:                             ;   in Loop: Header=BB24_3 Depth=1
	s_or_b32 exec_lo, exec_lo, s64
	v_mov_b32_e32 v22, 0
	s_wait_dscnt 0x0
	s_barrier_signal -1
	s_barrier_wait -1
	s_and_saveexec_b32 s69, s3
	s_cbranch_execz .LBB24_1009
; %bb.1000:                             ;   in Loop: Header=BB24_3 Depth=1
	ds_load_b32 v22, v44 offset:12512
	ds_load_b32 v23, v39 offset:12480
	s_wait_dscnt 0x0
	v_fma_f32 v22, v22, v23, 0
	s_and_saveexec_b32 s64, s19
	s_cbranch_execnz .LBB24_1249
; %bb.1001:                             ;   in Loop: Header=BB24_3 Depth=1
	s_or_b32 exec_lo, exec_lo, s64
	s_and_saveexec_b32 s64, s20
	s_cbranch_execnz .LBB24_1250
.LBB24_1002:                            ;   in Loop: Header=BB24_3 Depth=1
	s_or_b32 exec_lo, exec_lo, s64
	s_and_saveexec_b32 s64, s21
	s_cbranch_execnz .LBB24_1251
.LBB24_1003:                            ;   in Loop: Header=BB24_3 Depth=1
	s_or_b32 exec_lo, exec_lo, s64
	s_and_saveexec_b32 s64, s22
	s_cbranch_execnz .LBB24_1252
.LBB24_1004:                            ;   in Loop: Header=BB24_3 Depth=1
	s_or_b32 exec_lo, exec_lo, s64
	s_and_saveexec_b32 s64, s23
	s_cbranch_execnz .LBB24_1253
.LBB24_1005:                            ;   in Loop: Header=BB24_3 Depth=1
	s_or_b32 exec_lo, exec_lo, s64
	s_and_saveexec_b32 s64, s2
	s_cbranch_execnz .LBB24_1254
.LBB24_1006:                            ;   in Loop: Header=BB24_3 Depth=1
	s_or_b32 exec_lo, exec_lo, s64
	s_and_saveexec_b32 s64, s18
	s_cbranch_execz .LBB24_1008
.LBB24_1007:                            ;   in Loop: Header=BB24_3 Depth=1
	ds_load_b32 v23, v46 offset:14304
	ds_load_b32 v24, v5 offset:12508
	s_wait_dscnt 0x0
	v_fmac_f32_e32 v22, v23, v24
.LBB24_1008:                            ;   in Loop: Header=BB24_3 Depth=1
	s_or_b32 exec_lo, exec_lo, s64
	s_delay_alu instid0(VALU_DEP_1)
	v_xor_b32_e32 v22, 0x80000000, v22
.LBB24_1009:                            ;   in Loop: Header=BB24_3 Depth=1
	s_or_b32 exec_lo, exec_lo, s69
	s_and_saveexec_b32 s64, s103
	s_cbranch_execz .LBB24_1011
; %bb.1010:                             ;   in Loop: Header=BB24_3 Depth=1
	ds_load_b32 v23, v5 offset:14560
	s_wait_dscnt 0x0
	v_mul_f32_e32 v22, v22, v23
	ds_store_b32 v43, v22
.LBB24_1011:                            ;   in Loop: Header=BB24_3 Depth=1
	s_or_b32 exec_lo, exec_lo, s64
	s_wait_dscnt 0x0
	s_barrier_signal -1
	s_barrier_wait -1
	s_and_saveexec_b32 s64, s104
	s_cbranch_execz .LBB24_1013
; %bb.1012:                             ;   in Loop: Header=BB24_3 Depth=1
	ds_load_b32 v23, v41 offset:14560
	ds_load_b32 v24, v43
	s_wait_dscnt 0x0
	v_fmac_f32_e32 v22, v23, v24
.LBB24_1013:                            ;   in Loop: Header=BB24_3 Depth=1
	s_or_b32 exec_lo, exec_lo, s64
	s_barrier_signal -1
	s_barrier_wait -1
	s_and_saveexec_b32 s64, vcc_hi
	s_cbranch_execz .LBB24_1015
; %bb.1014:                             ;   in Loop: Header=BB24_3 Depth=1
	ds_load_b32 v23, v5 offset:14820
	s_wait_dscnt 0x0
	v_mul_f32_e32 v22, v22, v23
	ds_store_b32 v43, v22
.LBB24_1015:                            ;   in Loop: Header=BB24_3 Depth=1
	s_or_b32 exec_lo, exec_lo, s64
	s_wait_dscnt 0x0
	s_barrier_signal -1
	s_barrier_wait -1
	s_and_saveexec_b32 s64, s36
	s_cbranch_execz .LBB24_1017
; %bb.1016:                             ;   in Loop: Header=BB24_3 Depth=1
	ds_load_b32 v23, v41 offset:14816
	ds_load_b32 v24, v43
	s_wait_dscnt 0x0
	v_fmac_f32_e32 v22, v23, v24
.LBB24_1017:                            ;   in Loop: Header=BB24_3 Depth=1
	s_or_b32 exec_lo, exec_lo, s64
	s_barrier_signal -1
	s_barrier_wait -1
	s_and_saveexec_b32 s64, s37
	s_cbranch_execz .LBB24_1019
; %bb.1018:                             ;   in Loop: Header=BB24_3 Depth=1
	ds_load_b32 v23, v5 offset:15080
	s_wait_dscnt 0x0
	v_mul_f32_e32 v22, v22, v23
	ds_store_b32 v43, v22
.LBB24_1019:                            ;   in Loop: Header=BB24_3 Depth=1
	s_or_b32 exec_lo, exec_lo, s64
	s_wait_dscnt 0x0
	s_barrier_signal -1
	s_barrier_wait -1
	s_and_saveexec_b32 s64, s38
	s_cbranch_execz .LBB24_1021
; %bb.1020:                             ;   in Loop: Header=BB24_3 Depth=1
	ds_load_b32 v23, v41 offset:15072
	ds_load_b32 v24, v43
	s_wait_dscnt 0x0
	v_fmac_f32_e32 v22, v23, v24
.LBB24_1021:                            ;   in Loop: Header=BB24_3 Depth=1
	s_or_b32 exec_lo, exec_lo, s64
	s_barrier_signal -1
	s_barrier_wait -1
	s_and_saveexec_b32 s64, s39
	;; [unrolled: 23-line block ×6, first 2 shown]
	s_cbranch_execz .LBB24_1039
; %bb.1038:                             ;   in Loop: Header=BB24_3 Depth=1
	ds_load_b32 v23, v5 offset:16380
	s_wait_dscnt 0x0
	v_mul_f32_e32 v22, v22, v23
	ds_store_b32 v43, v22
.LBB24_1039:                            ;   in Loop: Header=BB24_3 Depth=1
	s_or_b32 exec_lo, exec_lo, s64
	s_wait_dscnt 0x0
	s_barrier_signal -1
	s_barrier_wait -1
	s_barrier_signal -1
	s_barrier_wait -1
	s_and_saveexec_b32 s64, s3
; %bb.1040:                             ;   in Loop: Header=BB24_3 Depth=1
	v_xor_b32_e32 v22, 0x80000000, v22
	ds_store_b32 v44, v22 offset:12512
; %bb.1041:                             ;   in Loop: Header=BB24_3 Depth=1
	s_or_b32 exec_lo, exec_lo, s64
	s_wait_dscnt 0x0
	s_barrier_signal -1
	s_barrier_wait -1
	s_barrier_signal -1
	s_barrier_wait -1
	s_and_saveexec_b32 s64, s47
	s_cbranch_execz .LBB24_1043
; %bb.1042:                             ;   in Loop: Header=BB24_3 Depth=1
	ds_load_b32 v22, v47 offset:12512
	s_wait_dscnt 0x0
	ds_store_b32 v48, v22 offset:14528
	ds_load_b32 v22, v47 offset:12516
	s_wait_dscnt 0x0
	ds_store_b32 v48, v22 offset:14784
	;; [unrolled: 3-line block ×8, first 2 shown]
.LBB24_1043:                            ;   in Loop: Header=BB24_3 Depth=1
	s_or_b32 exec_lo, exec_lo, s64
	s_wait_dscnt 0x0
	s_barrier_signal -1
	s_barrier_wait -1
	s_and_saveexec_b32 s64, s15
	s_cbranch_execz .LBB24_1045
; %bb.1044:                             ;   in Loop: Header=BB24_3 Depth=1
	ds_load_b64 v[22:23], v5 offset:14560
	ds_load_b32 v24, v5 offset:14820
	s_wait_dscnt 0x0
	v_mul_f32_e32 v22, v22, v24
	s_delay_alu instid0(VALU_DEP_1)
	v_mul_f32_e32 v22, v23, v22
	v_add_nc_u32_e64 v23, 0x3800, 0
	ds_store_2addr_b32 v23, v22, v22 offset0:57 offset1:120
.LBB24_1045:                            ;   in Loop: Header=BB24_3 Depth=1
	s_or_b32 exec_lo, exec_lo, s64
	v_mov_b32_e32 v22, 0
	s_wait_dscnt 0x0
	s_barrier_signal -1
	s_barrier_wait -1
	s_and_saveexec_b32 s64, s0
	s_cbranch_execz .LBB24_1049
; %bb.1046:                             ;   in Loop: Header=BB24_3 Depth=1
	ds_load_b32 v22, v27 offset:14568
	ds_load_b32 v23, v28 offset:14560
	s_wait_dscnt 0x0
	v_fma_f32 v22, v22, v23, 0
	s_and_saveexec_b32 s65, s16
	s_cbranch_execz .LBB24_1048
; %bb.1047:                             ;   in Loop: Header=BB24_3 Depth=1
	ds_load_b32 v23, v48 offset:14824
	ds_load_b32 v24, v5 offset:14564
	s_wait_dscnt 0x0
	v_fmac_f32_e32 v22, v23, v24
.LBB24_1048:                            ;   in Loop: Header=BB24_3 Depth=1
	s_or_b32 exec_lo, exec_lo, s65
	s_delay_alu instid0(VALU_DEP_1)
	v_xor_b32_e32 v22, 0x80000000, v22
.LBB24_1049:                            ;   in Loop: Header=BB24_3 Depth=1
	s_or_b32 exec_lo, exec_lo, s64
	s_and_saveexec_b32 s64, s93
	s_cbranch_execz .LBB24_1051
; %bb.1050:                             ;   in Loop: Header=BB24_3 Depth=1
	ds_load_b32 v23, v5 offset:15080
	s_wait_dscnt 0x0
	v_mul_f32_e32 v22, v22, v23
	ds_store_b32 v3, v22
.LBB24_1051:                            ;   in Loop: Header=BB24_3 Depth=1
	s_or_b32 exec_lo, exec_lo, s64
	s_wait_dscnt 0x0
	s_barrier_signal -1
	s_barrier_wait -1
	s_and_saveexec_b32 s64, s94
	s_cbranch_execz .LBB24_1053
; %bb.1052:                             ;   in Loop: Header=BB24_3 Depth=1
	ds_load_b32 v23, v5 offset:15084
	ds_load_b32 v24, v3
	s_wait_dscnt 0x0
	v_fmac_f32_e32 v22, v23, v24
.LBB24_1053:                            ;   in Loop: Header=BB24_3 Depth=1
	s_or_b32 exec_lo, exec_lo, s64
	s_barrier_signal -1
	s_barrier_wait -1
	s_and_saveexec_b32 s64, s94
	s_cbranch_execz .LBB24_1055
; %bb.1054:                             ;   in Loop: Header=BB24_3 Depth=1
	ds_load_b32 v23, v5 offset:15340
	s_wait_dscnt 0x0
	v_mul_f32_e32 v22, v22, v23
	ds_store_b32 v3, v22
.LBB24_1055:                            ;   in Loop: Header=BB24_3 Depth=1
	s_or_b32 exec_lo, exec_lo, s64
	s_wait_dscnt 0x0
	s_barrier_signal -1
	s_barrier_wait -1
	s_barrier_signal -1
	s_barrier_wait -1
	s_and_saveexec_b32 s64, s0
; %bb.1056:                             ;   in Loop: Header=BB24_3 Depth=1
	v_xor_b32_e32 v22, 0x80000000, v22
	ds_store_b32 v27, v22 offset:14568
; %bb.1057:                             ;   in Loop: Header=BB24_3 Depth=1
	s_or_b32 exec_lo, exec_lo, s64
	s_wait_dscnt 0x0
	s_barrier_signal -1
	s_barrier_wait -1
	s_barrier_signal -1
	s_barrier_wait -1
	s_and_saveexec_b32 s64, s95
	s_cbranch_execz .LBB24_1059
; %bb.1058:                             ;   in Loop: Header=BB24_3 Depth=1
	ds_load_b32 v22, v49 offset:14568
	s_wait_dscnt 0x0
	ds_store_b32 v48, v22 offset:15072
	ds_load_b32 v22, v49 offset:14572
	s_wait_dscnt 0x0
	ds_store_b32 v48, v22 offset:15328
.LBB24_1059:                            ;   in Loop: Header=BB24_3 Depth=1
	s_or_b32 exec_lo, exec_lo, s64
	s_wait_dscnt 0x0
	s_barrier_signal -1
	s_barrier_wait -1
	s_and_saveexec_b32 s64, s15
	s_cbranch_execz .LBB24_1061
; %bb.1060:                             ;   in Loop: Header=BB24_3 Depth=1
	ds_load_b64 v[22:23], v5 offset:15080
	ds_load_b32 v24, v5 offset:15340
	s_wait_dscnt 0x0
	v_mul_f32_e32 v22, v22, v24
	s_delay_alu instid0(VALU_DEP_1)
	v_mul_f32_e32 v22, v23, v22
	v_add_nc_u32_e64 v23, 0x3800, 0
	ds_store_2addr_b32 v23, v22, v22 offset0:187 offset1:250
.LBB24_1061:                            ;   in Loop: Header=BB24_3 Depth=1
	s_or_b32 exec_lo, exec_lo, s64
	v_mov_b32_e32 v22, 0
	s_wait_dscnt 0x0
	s_barrier_signal -1
	s_barrier_wait -1
	s_and_saveexec_b32 s69, s2
	s_cbranch_execz .LBB24_1067
; %bb.1062:                             ;   in Loop: Header=BB24_3 Depth=1
	ds_load_b32 v22, v35 offset:14576
	ds_load_b32 v23, v30 offset:14560
	s_wait_dscnt 0x0
	v_fma_f32 v22, v22, v23, 0
	s_and_saveexec_b32 s64, s17
	s_cbranch_execnz .LBB24_1255
; %bb.1063:                             ;   in Loop: Header=BB24_3 Depth=1
	s_or_b32 exec_lo, exec_lo, s64
	s_and_saveexec_b32 s64, s18
	s_cbranch_execnz .LBB24_1256
.LBB24_1064:                            ;   in Loop: Header=BB24_3 Depth=1
	s_or_b32 exec_lo, exec_lo, s64
	s_and_saveexec_b32 s64, s0
	s_cbranch_execz .LBB24_1066
.LBB24_1065:                            ;   in Loop: Header=BB24_3 Depth=1
	ds_load_b32 v23, v50 offset:15344
	ds_load_b32 v24, v5 offset:14572
	s_wait_dscnt 0x0
	v_fmac_f32_e32 v22, v23, v24
.LBB24_1066:                            ;   in Loop: Header=BB24_3 Depth=1
	s_or_b32 exec_lo, exec_lo, s64
	s_delay_alu instid0(VALU_DEP_1)
	v_xor_b32_e32 v22, 0x80000000, v22
.LBB24_1067:                            ;   in Loop: Header=BB24_3 Depth=1
	s_or_b32 exec_lo, exec_lo, s69
	s_and_saveexec_b32 s64, s96
	s_cbranch_execz .LBB24_1069
; %bb.1068:                             ;   in Loop: Header=BB24_3 Depth=1
	ds_load_b32 v23, v5 offset:15600
	s_wait_dscnt 0x0
	v_mul_f32_e32 v22, v22, v23
	ds_store_b32 v34, v22
.LBB24_1069:                            ;   in Loop: Header=BB24_3 Depth=1
	s_or_b32 exec_lo, exec_lo, s64
	s_wait_dscnt 0x0
	s_barrier_signal -1
	s_barrier_wait -1
	s_and_saveexec_b32 s64, s97
	s_cbranch_execz .LBB24_1071
; %bb.1070:                             ;   in Loop: Header=BB24_3 Depth=1
	ds_load_b32 v23, v32 offset:15600
	ds_load_b32 v24, v34
	s_wait_dscnt 0x0
	v_fmac_f32_e32 v22, v23, v24
.LBB24_1071:                            ;   in Loop: Header=BB24_3 Depth=1
	s_or_b32 exec_lo, exec_lo, s64
	s_barrier_signal -1
	s_barrier_wait -1
	s_and_saveexec_b32 s64, s98
	s_cbranch_execz .LBB24_1073
; %bb.1072:                             ;   in Loop: Header=BB24_3 Depth=1
	ds_load_b32 v23, v5 offset:15860
	s_wait_dscnt 0x0
	v_mul_f32_e32 v22, v22, v23
	ds_store_b32 v34, v22
.LBB24_1073:                            ;   in Loop: Header=BB24_3 Depth=1
	s_or_b32 exec_lo, exec_lo, s64
	s_wait_dscnt 0x0
	s_barrier_signal -1
	s_barrier_wait -1
	s_and_saveexec_b32 s64, s99
	s_cbranch_execz .LBB24_1075
; %bb.1074:                             ;   in Loop: Header=BB24_3 Depth=1
	ds_load_b32 v23, v32 offset:15856
	ds_load_b32 v24, v34
	s_wait_dscnt 0x0
	v_fmac_f32_e32 v22, v23, v24
.LBB24_1075:                            ;   in Loop: Header=BB24_3 Depth=1
	s_or_b32 exec_lo, exec_lo, s64
	s_barrier_signal -1
	s_barrier_wait -1
	;; [unrolled: 23-line block ×3, first 2 shown]
	s_and_saveexec_b32 s64, s101
	s_cbranch_execz .LBB24_1081
; %bb.1080:                             ;   in Loop: Header=BB24_3 Depth=1
	ds_load_b32 v23, v5 offset:16380
	s_wait_dscnt 0x0
	v_mul_f32_e32 v22, v22, v23
	ds_store_b32 v34, v22
.LBB24_1081:                            ;   in Loop: Header=BB24_3 Depth=1
	s_or_b32 exec_lo, exec_lo, s64
	s_wait_dscnt 0x0
	s_barrier_signal -1
	s_barrier_wait -1
	s_barrier_signal -1
	s_barrier_wait -1
	s_and_saveexec_b32 s64, s2
; %bb.1082:                             ;   in Loop: Header=BB24_3 Depth=1
	v_xor_b32_e32 v22, 0x80000000, v22
	ds_store_b32 v35, v22 offset:14576
; %bb.1083:                             ;   in Loop: Header=BB24_3 Depth=1
	s_or_b32 exec_lo, exec_lo, s64
	s_wait_dscnt 0x0
	s_barrier_signal -1
	s_barrier_wait -1
	s_barrier_signal -1
	s_barrier_wait -1
	s_and_saveexec_b32 s64, s102
	s_cbranch_execz .LBB24_1085
; %bb.1084:                             ;   in Loop: Header=BB24_3 Depth=1
	ds_load_b32 v22, v51 offset:14576
	s_wait_dscnt 0x0
	ds_store_b32 v52, v22 offset:15584
	ds_load_b32 v22, v51 offset:14580
	s_wait_dscnt 0x0
	ds_store_b32 v52, v22 offset:15840
	;; [unrolled: 3-line block ×4, first 2 shown]
.LBB24_1085:                            ;   in Loop: Header=BB24_3 Depth=1
	s_or_b32 exec_lo, exec_lo, s64
	s_wait_dscnt 0x0
	s_barrier_signal -1
	s_barrier_wait -1
	s_and_saveexec_b32 s64, s15
	s_cbranch_execz .LBB24_1087
; %bb.1086:                             ;   in Loop: Header=BB24_3 Depth=1
	ds_load_b64 v[22:23], v5 offset:15600
	ds_load_b32 v24, v5 offset:15860
	s_wait_dscnt 0x0
	v_mul_f32_e32 v22, v22, v24
	s_delay_alu instid0(VALU_DEP_1)
	v_mul_f32_e32 v22, v23, v22
	v_add_nc_u32_e64 v23, 0x3c00, 0
	ds_store_2addr_b32 v23, v22, v22 offset0:61 offset1:124
.LBB24_1087:                            ;   in Loop: Header=BB24_3 Depth=1
	s_or_b32 exec_lo, exec_lo, s64
	v_mov_b32_e32 v22, 0
	s_wait_dscnt 0x0
	s_barrier_signal -1
	s_barrier_wait -1
	s_and_saveexec_b32 s64, s0
	s_cbranch_execz .LBB24_1091
; %bb.1088:                             ;   in Loop: Header=BB24_3 Depth=1
	ds_load_b32 v22, v27 offset:15608
	ds_load_b32 v23, v28 offset:15600
	s_wait_dscnt 0x0
	v_fma_f32 v22, v22, v23, 0
	s_and_saveexec_b32 s65, s16
	s_cbranch_execz .LBB24_1090
; %bb.1089:                             ;   in Loop: Header=BB24_3 Depth=1
	ds_load_b32 v23, v52 offset:15864
	ds_load_b32 v24, v5 offset:15604
	s_wait_dscnt 0x0
	v_fmac_f32_e32 v22, v23, v24
.LBB24_1090:                            ;   in Loop: Header=BB24_3 Depth=1
	s_or_b32 exec_lo, exec_lo, s65
	s_delay_alu instid0(VALU_DEP_1)
	v_xor_b32_e32 v22, 0x80000000, v22
.LBB24_1091:                            ;   in Loop: Header=BB24_3 Depth=1
	s_or_b32 exec_lo, exec_lo, s64
	s_and_saveexec_b32 s64, s93
	s_cbranch_execz .LBB24_1093
; %bb.1092:                             ;   in Loop: Header=BB24_3 Depth=1
	ds_load_b32 v23, v5 offset:16120
	s_wait_dscnt 0x0
	v_mul_f32_e32 v22, v22, v23
	ds_store_b32 v3, v22
.LBB24_1093:                            ;   in Loop: Header=BB24_3 Depth=1
	s_or_b32 exec_lo, exec_lo, s64
	s_wait_dscnt 0x0
	s_barrier_signal -1
	s_barrier_wait -1
	s_and_saveexec_b32 s64, s94
	s_cbranch_execz .LBB24_1095
; %bb.1094:                             ;   in Loop: Header=BB24_3 Depth=1
	ds_load_b32 v23, v5 offset:16124
	ds_load_b32 v24, v3
	s_wait_dscnt 0x0
	v_fmac_f32_e32 v22, v23, v24
.LBB24_1095:                            ;   in Loop: Header=BB24_3 Depth=1
	s_or_b32 exec_lo, exec_lo, s64
	s_barrier_signal -1
	s_barrier_wait -1
	s_and_saveexec_b32 s64, s94
	s_cbranch_execz .LBB24_1097
; %bb.1096:                             ;   in Loop: Header=BB24_3 Depth=1
	ds_load_b32 v23, v5 offset:16380
	s_wait_dscnt 0x0
	v_mul_f32_e32 v22, v22, v23
	ds_store_b32 v3, v22
.LBB24_1097:                            ;   in Loop: Header=BB24_3 Depth=1
	s_or_b32 exec_lo, exec_lo, s64
	s_wait_dscnt 0x0
	s_barrier_signal -1
	s_barrier_wait -1
	s_barrier_signal -1
	s_barrier_wait -1
	s_and_saveexec_b32 s64, s0
; %bb.1098:                             ;   in Loop: Header=BB24_3 Depth=1
	v_xor_b32_e32 v22, 0x80000000, v22
	ds_store_b32 v27, v22 offset:15608
; %bb.1099:                             ;   in Loop: Header=BB24_3 Depth=1
	s_or_b32 exec_lo, exec_lo, s64
	s_wait_dscnt 0x0
	s_barrier_signal -1
	s_barrier_wait -1
	s_barrier_signal -1
	s_barrier_wait -1
	s_and_saveexec_b32 s64, s95
	s_cbranch_execz .LBB24_1101
; %bb.1100:                             ;   in Loop: Header=BB24_3 Depth=1
	ds_load_b32 v22, v54 offset:15608
	s_wait_dscnt 0x0
	ds_store_b32 v52, v22 offset:16112
	ds_load_b32 v22, v54 offset:15612
	s_wait_dscnt 0x0
	ds_store_b32 v52, v22 offset:16368
.LBB24_1101:                            ;   in Loop: Header=BB24_3 Depth=1
	s_or_b32 exec_lo, exec_lo, s64
	s_wait_dscnt 0x0
	s_barrier_signal -1
	s_barrier_wait -1
	s_and_saveexec_b32 s64, s15
	s_cbranch_execz .LBB24_1103
; %bb.1102:                             ;   in Loop: Header=BB24_3 Depth=1
	ds_load_b64 v[22:23], v5 offset:16120
	ds_load_b32 v24, v5 offset:16380
	s_wait_dscnt 0x0
	v_mul_f32_e32 v22, v22, v24
	s_delay_alu instid0(VALU_DEP_1)
	v_mul_f32_e32 v22, v23, v22
	v_add_nc_u32_e64 v23, 0x3c00, 0
	ds_store_2addr_b32 v23, v22, v22 offset0:191 offset1:254
.LBB24_1103:                            ;   in Loop: Header=BB24_3 Depth=1
	s_or_b32 exec_lo, exec_lo, s64
.LBB24_1104:                            ;   in Loop: Header=BB24_3 Depth=1
	v_readlane_b32 s80, v91, 7
	v_readlane_b32 s81, v91, 8
	s_mul_u64 s[64:65], s[74:75], s[76:77]
	v_mov_b32_e32 v82, 0
	s_lshl_b64 s[64:65], s[64:65], 2
	s_wait_dscnt 0x0
	s_add_nc_u64 s[82:83], s[80:81], s[64:65]
	s_barrier_signal -1
	s_barrier_wait -1
	s_and_saveexec_b32 s64, s70
	s_cbranch_execz .LBB24_1106
; %bb.1105:                             ;   in Loop: Header=BB24_3 Depth=1
	v_lshl_add_u64 v[22:23], v[0:1], 2, s[82:83]
	v_readlane_b32 s65, v91, 3
	global_load_b32 v22, v[22:23], off
	s_wait_loadcnt 0x0
	v_mul_f32_e64 v82, v22, -s65
.LBB24_1106:                            ;   in Loop: Header=BB24_3 Depth=1
	s_or_b32 exec_lo, exec_lo, s64
	s_delay_alu instid0(SALU_CYCLE_1)
	s_and_not1_b32 vcc_lo, exec_lo, s71
	s_cbranch_vccnz .LBB24_1132
; %bb.1107:                             ;   in Loop: Header=BB24_3 Depth=1
	v_readlane_b32 s80, v91, 1
	v_readlane_b32 s81, v91, 2
	v_mov_b32_e32 v83, -1
	s_lshl_b64 s[64:65], s[76:77], 2
	s_mov_b32 s69, 0
	s_add_nc_u64 s[84:85], s[80:81], s[64:65]
	s_branch .LBB24_1110
.LBB24_1108:                            ;   in Loop: Header=BB24_1110 Depth=2
	s_wait_xcnt 0x0
	ds_load_b32 v22, v66 offset:192
	s_wait_loadcnt_dscnt 0x0
	v_fmac_f32_e32 v82, v24, v22
.LBB24_1109:                            ;   in Loop: Header=BB24_1110 Depth=2
	s_or_b32 exec_lo, exec_lo, s64
	s_add_co_i32 s69, s69, 1
	s_delay_alu instid0(SALU_CYCLE_1)
	s_cmp_eq_u32 s69, s88
	s_cbranch_scc1 .LBB24_1132
.LBB24_1110:                            ;   Parent Loop BB24_3 Depth=1
                                        ; =>  This Loop Header: Depth=2
                                        ;       Child Loop BB24_1112 Depth 3
	v_cmp_gt_i32_e32 vcc_lo, s69, v83
	s_and_b32 s65, s59, vcc_lo
	s_delay_alu instid0(SALU_CYCLE_1)
	s_and_saveexec_b32 s64, s65
	s_cbranch_execz .LBB24_1113
; %bb.1111:                             ;   in Loop: Header=BB24_1110 Depth=2
	global_load_b32 v83, v5, s[84:85]
	s_wait_loadcnt 0x0
	v_cmp_le_i32_e32 vcc_lo, s69, v83
	s_cbranch_vccnz .LBB24_1113
.LBB24_1112:                            ;   Parent Loop BB24_3 Depth=1
                                        ;     Parent Loop BB24_1110 Depth=2
                                        ; =>    This Inner Loop Header: Depth=3
	global_wb scope:SCOPE_DEV
	s_wait_storecnt 0x0
	global_inv scope:SCOPE_DEV
	global_load_b32 v83, v5, s[84:85]
	s_wait_loadcnt 0x0
	v_cmp_gt_i32_e32 vcc_lo, s69, v83
	s_cbranch_vccnz .LBB24_1112
.LBB24_1113:                            ;   in Loop: Header=BB24_1110 Depth=2
	s_or_b32 exec_lo, exec_lo, s64
	s_sub_co_i32 s65, s89, s69
	global_wb scope:SCOPE_DEV
	s_wait_storecnt 0x0
	global_inv scope:SCOPE_DEV
	s_lshl_b32 s64, s65, 6
	s_wait_loadcnt 0x0
	s_barrier_signal -1
	s_barrier_wait -1
	s_and_saveexec_b32 s80, s60
	s_cbranch_execz .LBB24_1117
; %bb.1114:                             ;   in Loop: Header=BB24_1110 Depth=2
	s_ashr_i32 s81, s64, 31
	s_delay_alu instid0(SALU_CYCLE_1) | instskip(SKIP_2) | instid1(VALU_DEP_1)
	v_dual_mov_b32 v24, 0 :: v_dual_mov_b32 v23, s81
	v_or_b32_e32 v22, s64, v4
	s_mov_b32 s81, exec_lo
	v_cmpx_gt_i64_e64 s[78:79], v[22:23]
	s_cbranch_execz .LBB24_1116
; %bb.1115:                             ;   in Loop: Header=BB24_1110 Depth=2
	v_mul_u64_e32 v[22:23], s[72:73], v[22:23]
	s_delay_alu instid0(VALU_DEP_1)
	v_lshl_add_u64 v[22:23], v[22:23], 2, s[82:83]
	global_load_b32 v24, v[22:23], off
.LBB24_1116:                            ;   in Loop: Header=BB24_1110 Depth=2
	s_wait_xcnt 0x0
	s_or_b32 exec_lo, exec_lo, s81
	s_wait_loadcnt 0x0
	ds_store_b32 v65, v24
.LBB24_1117:                            ;   in Loop: Header=BB24_1110 Depth=2
	s_or_b32 exec_lo, exec_lo, s80
	v_add_nc_u32_e32 v24, s64, v26
	s_cmp_lg_u32 s65, s68
	s_wait_dscnt 0x0
	s_cselect_b32 s65, -1, 0
	s_barrier_signal -1
	v_ashrrev_i32_e32 v25, 31, v24
	v_cmp_gt_i32_e32 vcc_lo, s78, v24
	s_barrier_wait -1
	s_delay_alu instid0(VALU_DEP_2) | instskip(SKIP_2) | instid1(SALU_CYCLE_1)
	v_lshl_add_u64 v[22:23], v[24:25], 2, v[20:21]
	v_cndmask_b32_e64 v25, 0, 1, s65
	s_and_b32 s80, vcc_lo, s6
	s_and_saveexec_b32 s64, s80
	s_cbranch_execz .LBB24_1121
; %bb.1118:                             ;   in Loop: Header=BB24_1110 Depth=2
	v_mov_b32_e32 v84, v78
	s_and_not1_b32 vcc_lo, exec_lo, s65
	s_cbranch_vccnz .LBB24_1120
; %bb.1119:                             ;   in Loop: Header=BB24_1110 Depth=2
	global_load_b32 v84, v[22:23], off
.LBB24_1120:                            ;   in Loop: Header=BB24_1110 Depth=2
	ds_load_b32 v85, v66
	s_wait_loadcnt_dscnt 0x0
	v_fmac_f32_e32 v82, v84, v85
.LBB24_1121:                            ;   in Loop: Header=BB24_1110 Depth=2
	s_or_b32 exec_lo, exec_lo, s64
	v_add_nc_u32_e32 v84, 16, v24
	s_delay_alu instid0(VALU_DEP_1) | instskip(SKIP_1) | instid1(SALU_CYCLE_1)
	v_cmp_gt_i32_e32 vcc_lo, s78, v84
	s_and_b32 s65, vcc_lo, s6
	s_and_saveexec_b32 s64, s65
	s_cbranch_execz .LBB24_1125
; %bb.1122:                             ;   in Loop: Header=BB24_1110 Depth=2
	v_cmp_ne_u32_e32 vcc_lo, 1, v25
	v_mov_b32_e32 v84, v79
	s_cbranch_vccnz .LBB24_1124
; %bb.1123:                             ;   in Loop: Header=BB24_1110 Depth=2
	global_load_b32 v84, v[22:23], off offset:64
.LBB24_1124:                            ;   in Loop: Header=BB24_1110 Depth=2
	ds_load_b32 v85, v66 offset:64
	s_wait_loadcnt_dscnt 0x0
	v_fmac_f32_e32 v82, v84, v85
.LBB24_1125:                            ;   in Loop: Header=BB24_1110 Depth=2
	s_or_b32 exec_lo, exec_lo, s64
	v_add_nc_u32_e32 v84, 32, v24
	s_delay_alu instid0(VALU_DEP_1) | instskip(SKIP_1) | instid1(SALU_CYCLE_1)
	v_cmp_gt_i32_e32 vcc_lo, s78, v84
	s_and_b32 s65, vcc_lo, s6
	s_and_saveexec_b32 s64, s65
	s_cbranch_execz .LBB24_1129
; %bb.1126:                             ;   in Loop: Header=BB24_1110 Depth=2
	v_cmp_ne_u32_e32 vcc_lo, 1, v25
	v_mov_b32_e32 v84, v80
	s_cbranch_vccnz .LBB24_1128
; %bb.1127:                             ;   in Loop: Header=BB24_1110 Depth=2
	global_load_b32 v84, v[22:23], off offset:128
.LBB24_1128:                            ;   in Loop: Header=BB24_1110 Depth=2
	ds_load_b32 v85, v66 offset:128
	s_wait_loadcnt_dscnt 0x0
	v_fmac_f32_e32 v82, v84, v85
.LBB24_1129:                            ;   in Loop: Header=BB24_1110 Depth=2
	s_or_b32 exec_lo, exec_lo, s64
	v_add_nc_u32_e32 v24, 48, v24
	s_delay_alu instid0(VALU_DEP_1) | instskip(SKIP_1) | instid1(SALU_CYCLE_1)
	v_cmp_gt_i32_e32 vcc_lo, s78, v24
	s_and_b32 s65, vcc_lo, s6
	s_and_saveexec_b32 s64, s65
	s_cbranch_execz .LBB24_1109
; %bb.1130:                             ;   in Loop: Header=BB24_1110 Depth=2
	v_cmp_ne_u32_e32 vcc_lo, 1, v25
	v_mov_b32_e32 v24, v81
	s_cbranch_vccnz .LBB24_1108
; %bb.1131:                             ;   in Loop: Header=BB24_1110 Depth=2
	global_load_b32 v24, v[22:23], off offset:192
	s_branch .LBB24_1108
.LBB24_1132:                            ;   in Loop: Header=BB24_3 Depth=1
	ds_store_b32 v67, v82
	s_wait_dscnt 0x0
	s_barrier_signal -1
	s_barrier_wait -1
	s_and_saveexec_b32 s69, s1
	s_cbranch_execz .LBB24_1134
; %bb.1133:                             ;   in Loop: Header=BB24_3 Depth=1
	ds_load_2addr_stride64_b32 v[20:21], v68 offset0:1 offset1:2
	ds_load_2addr_stride64_b32 v[22:23], v68 offset0:3 offset1:4
	;; [unrolled: 1-line block ×4, first 2 shown]
	v_readlane_b32 s64, v89, 7
	s_wait_dscnt 0x3
	v_add_f32_e32 v20, v82, v20
	s_delay_alu instid0(VALU_DEP_1) | instskip(SKIP_1) | instid1(VALU_DEP_1)
	v_add_f32_e32 v20, v20, v21
	s_wait_dscnt 0x2
	v_add_f32_e32 v20, v20, v22
	s_delay_alu instid0(VALU_DEP_1) | instskip(SKIP_1) | instid1(VALU_DEP_1)
	v_add_f32_e32 v20, v20, v23
	s_wait_dscnt 0x1
	v_add_f32_e32 v22, v20, v24
	ds_load_2addr_stride64_b32 v[20:21], v68 offset0:9 offset1:10
	v_add_f32_e32 v22, v22, v25
	s_wait_dscnt 0x1
	s_delay_alu instid0(VALU_DEP_1)
	v_add_f32_e32 v24, v22, v84
	ds_load_2addr_stride64_b32 v[22:23], v68 offset0:11 offset1:12
	v_add_f32_e32 v82, v24, v85
	ds_load_2addr_stride64_b32 v[24:25], v68 offset0:13 offset1:14
	ds_load_b32 v83, v68 offset:3840
	s_wait_dscnt 0x3
	v_add_f32_e32 v20, v82, v20
	s_delay_alu instid0(VALU_DEP_1) | instskip(SKIP_1) | instid1(VALU_DEP_1)
	v_add_f32_e32 v20, v20, v21
	s_wait_dscnt 0x2
	v_add_f32_e32 v20, v20, v22
	s_delay_alu instid0(VALU_DEP_1) | instskip(SKIP_1) | instid1(VALU_DEP_1)
	v_add_f32_e32 v20, v20, v23
	;; [unrolled: 4-line block ×3, first 2 shown]
	s_wait_dscnt 0x0
	v_add_f32_e32 v20, v20, v83
	s_delay_alu instid0(VALU_DEP_1)
	v_cndmask_b32_e64 v82, -v20, 0, s64
.LBB24_1134:                            ;   in Loop: Header=BB24_3 Depth=1
	s_or_b32 exec_lo, exec_lo, s69
	s_delay_alu instid0(SALU_CYCLE_1)
	s_and_not1_b32 vcc_lo, exec_lo, s92
	s_cbranch_vccnz .LBB24_1144
; %bb.1135:                             ;   in Loop: Header=BB24_3 Depth=1
	s_and_saveexec_b32 s64, s1
; %bb.1136:                             ;   in Loop: Header=BB24_3 Depth=1
	ds_store_b32 v70, v82
; %bb.1137:                             ;   in Loop: Header=BB24_3 Depth=1
	s_or_b32 exec_lo, exec_lo, s64
	v_mov_b32_e32 v20, 0
	s_wait_dscnt 0x0
	s_barrier_signal -1
	s_barrier_wait -1
	s_and_saveexec_b32 s64, s7
	s_cbranch_execnz .LBB24_1200
; %bb.1138:                             ;   in Loop: Header=BB24_3 Depth=1
	s_or_b32 exec_lo, exec_lo, s64
	s_and_saveexec_b32 s64, s8
	s_cbranch_execnz .LBB24_1201
.LBB24_1139:                            ;   in Loop: Header=BB24_3 Depth=1
	s_or_b32 exec_lo, exec_lo, s64
	s_and_saveexec_b32 s64, s9
	s_cbranch_execnz .LBB24_1202
.LBB24_1140:                            ;   in Loop: Header=BB24_3 Depth=1
	s_or_b32 exec_lo, exec_lo, s64
	s_and_saveexec_b32 s64, s10
	s_cbranch_execz .LBB24_1142
.LBB24_1141:                            ;   in Loop: Header=BB24_3 Depth=1
	ds_load_b32 v21, v69 offset:12288
	ds_load_b32 v22, v66 offset:192
	s_wait_dscnt 0x0
	v_fmac_f32_e32 v20, v21, v22
.LBB24_1142:                            ;   in Loop: Header=BB24_3 Depth=1
	s_or_b32 exec_lo, exec_lo, s64
	s_mov_b32 s69, 0
	s_mov_b32 s84, 0
	ds_store_b32 v67, v20
	s_wait_dscnt 0x0
	s_barrier_signal -1
	s_barrier_wait -1
                                        ; implicit-def: $vgpr21
	s_and_saveexec_b32 s85, s1
	s_cbranch_execz .LBB24_1203
; %bb.1143:                             ;   in Loop: Header=BB24_3 Depth=1
	ds_load_2addr_stride64_b32 v[22:23], v68 offset0:1 offset1:2
	ds_load_2addr_stride64_b32 v[24:25], v68 offset0:3 offset1:4
	;; [unrolled: 1-line block ×4, first 2 shown]
	s_mov_b32 s84, exec_lo
	s_wait_dscnt 0x3
	v_add_f32_e32 v20, v20, v22
	s_delay_alu instid0(VALU_DEP_1) | instskip(SKIP_1) | instid1(VALU_DEP_1)
	v_add_f32_e32 v20, v23, v20
	s_wait_dscnt 0x2
	v_add_f32_e32 v20, v24, v20
	s_delay_alu instid0(VALU_DEP_1) | instskip(SKIP_1) | instid1(VALU_DEP_1)
	v_add_f32_e32 v20, v25, v20
	s_wait_dscnt 0x1
	v_add_f32_e32 v22, v84, v20
	ds_load_2addr_stride64_b32 v[20:21], v68 offset0:9 offset1:10
	v_add_f32_e32 v22, v85, v22
	s_wait_dscnt 0x1
	s_delay_alu instid0(VALU_DEP_1)
	v_add_f32_e32 v24, v86, v22
	ds_load_2addr_stride64_b32 v[22:23], v68 offset0:11 offset1:12
	v_add_f32_e32 v83, v87, v24
	ds_load_2addr_stride64_b32 v[24:25], v68 offset0:13 offset1:14
	ds_load_b32 v84, v68 offset:3840
	s_wait_dscnt 0x3
	v_add_f32_e32 v20, v20, v83
	s_delay_alu instid0(VALU_DEP_1) | instskip(SKIP_1) | instid1(VALU_DEP_1)
	v_add_f32_e32 v20, v21, v20
	s_wait_dscnt 0x2
	v_add_f32_e32 v20, v22, v20
	s_delay_alu instid0(VALU_DEP_1) | instskip(SKIP_1) | instid1(VALU_DEP_1)
	v_add_f32_e32 v20, v23, v20
	;; [unrolled: 4-line block ×3, first 2 shown]
	s_wait_dscnt 0x0
	v_add_f32_e32 v21, v84, v20
	s_or_b32 exec_lo, exec_lo, s85
	s_delay_alu instid0(SALU_CYCLE_1)
	s_and_b32 vcc_lo, exec_lo, s69
	s_cbranch_vccnz .LBB24_1145
	s_branch .LBB24_1204
.LBB24_1144:                            ;   in Loop: Header=BB24_3 Depth=1
	s_mov_b32 s84, 0
                                        ; implicit-def: $vgpr21
	s_cbranch_execz .LBB24_1204
.LBB24_1145:                            ;   in Loop: Header=BB24_3 Depth=1
	v_dual_mov_b32 v20, v77 :: v_dual_mov_b32 v21, v76
	s_mov_b32 s69, 63
	s_branch .LBB24_1147
.LBB24_1146:                            ;   in Loop: Header=BB24_1147 Depth=2
	s_or_b32 exec_lo, exec_lo, s64
	v_add_nc_u32_e32 v21, 0xfffffc00, v21
	v_add_nc_u32_e32 v20, 4, v20
	s_add_co_i32 s69, s69, -4
	s_cmp_lg_u32 s85, 0
	s_barrier_signal -1
	s_barrier_wait -1
	s_cbranch_scc0 .LBB24_1163
.LBB24_1147:                            ;   Parent Loop BB24_3 Depth=1
                                        ; =>  This Inner Loop Header: Depth=2
	s_delay_alu instid0(VALU_DEP_1) | instskip(SKIP_2) | instid1(SALU_CYCLE_1)
	v_cmp_eq_u32_e32 vcc_lo, 0, v20
	v_add_nc_u32_e32 v22, v54, v29
	s_and_b32 s65, s1, vcc_lo
	s_and_saveexec_b32 s64, s65
	s_cbranch_execz .LBB24_1149
; %bb.1148:                             ;   in Loop: Header=BB24_1147 Depth=2
	ds_load_b32 v23, v22
	s_wait_dscnt 0x0
	v_mul_f32_e32 v82, v82, v23
	ds_store_b32 v5, v82 offset:20736
.LBB24_1149:                            ;   in Loop: Header=BB24_1147 Depth=2
	s_or_b32 exec_lo, exec_lo, s64
	v_cmp_gt_u32_e32 vcc_lo, s69, v2
	s_wait_dscnt 0x0
	s_barrier_signal -1
	s_barrier_wait -1
	s_and_b32 s65, s1, vcc_lo
	s_delay_alu instid0(SALU_CYCLE_1)
	s_and_saveexec_b32 s64, s65
	s_cbranch_execz .LBB24_1151
; %bb.1150:                             ;   in Loop: Header=BB24_1147 Depth=2
	ds_load_b32 v23, v21 offset:768
	ds_load_b32 v24, v5 offset:20736
	s_wait_dscnt 0x0
	v_fmac_f32_e32 v82, v23, v24
.LBB24_1151:                            ;   in Loop: Header=BB24_1147 Depth=2
	s_or_b32 exec_lo, exec_lo, s64
	s_add_co_i32 s64, s69, -1
	s_delay_alu instid0(SALU_CYCLE_1) | instskip(SKIP_3) | instid1(SALU_CYCLE_1)
	v_cmp_eq_u32_e32 vcc_lo, s64, v2
	s_barrier_signal -1
	s_barrier_wait -1
	s_and_b32 s80, s1, vcc_lo
	s_and_saveexec_b32 s65, s80
	s_cbranch_execz .LBB24_1153
; %bb.1152:                             ;   in Loop: Header=BB24_1147 Depth=2
	ds_load_b32 v23, v22
	s_wait_dscnt 0x0
	v_mul_f32_e32 v82, v82, v23
	ds_store_b32 v5, v82 offset:20736
.LBB24_1153:                            ;   in Loop: Header=BB24_1147 Depth=2
	s_or_b32 exec_lo, exec_lo, s65
	v_cmp_gt_u32_e32 vcc_lo, s64, v2
	s_wait_dscnt 0x0
	s_barrier_signal -1
	s_barrier_wait -1
	s_and_b32 s65, s1, vcc_lo
	s_delay_alu instid0(SALU_CYCLE_1)
	s_and_saveexec_b32 s64, s65
	s_cbranch_execz .LBB24_1155
; %bb.1154:                             ;   in Loop: Header=BB24_1147 Depth=2
	ds_load_b32 v23, v21 offset:512
	ds_load_b32 v24, v5 offset:20736
	s_wait_dscnt 0x0
	v_fmac_f32_e32 v82, v23, v24
.LBB24_1155:                            ;   in Loop: Header=BB24_1147 Depth=2
	s_or_b32 exec_lo, exec_lo, s64
	s_add_co_i32 s64, s69, -2
	s_delay_alu instid0(SALU_CYCLE_1) | instskip(SKIP_3) | instid1(SALU_CYCLE_1)
	v_cmp_eq_u32_e32 vcc_lo, s64, v2
	s_barrier_signal -1
	s_barrier_wait -1
	;; [unrolled: 30-line block ×3, first 2 shown]
	s_and_b32 s65, s1, vcc_lo
	s_and_saveexec_b32 s64, s65
	s_cbranch_execz .LBB24_1161
; %bb.1160:                             ;   in Loop: Header=BB24_1147 Depth=2
	ds_load_b32 v22, v22
	s_wait_dscnt 0x0
	v_mul_f32_e32 v82, v82, v22
	ds_store_b32 v5, v82 offset:20736
.LBB24_1161:                            ;   in Loop: Header=BB24_1147 Depth=2
	s_or_b32 exec_lo, exec_lo, s64
	v_cmp_gt_u32_e32 vcc_lo, s85, v2
	s_wait_dscnt 0x0
	s_barrier_signal -1
	s_barrier_wait -1
	s_and_b32 s65, s1, vcc_lo
	s_delay_alu instid0(SALU_CYCLE_1)
	s_and_saveexec_b32 s64, s65
	s_cbranch_execz .LBB24_1146
; %bb.1162:                             ;   in Loop: Header=BB24_1147 Depth=2
	ds_load_b32 v22, v21
	ds_load_b32 v23, v5 offset:20736
	s_wait_dscnt 0x0
	v_fmac_f32_e32 v82, v22, v23
	s_branch .LBB24_1146
.LBB24_1163:                            ;   in Loop: Header=BB24_3 Depth=1
	s_and_b32 vcc_lo, exec_lo, s90
	s_mov_b32 s64, -1
	s_cbranch_vccnz .LBB24_1205
; %bb.1164:                             ;   in Loop: Header=BB24_3 Depth=1
	s_and_not1_b32 vcc_lo, exec_lo, s64
	s_cbranch_vccz .LBB24_1206
.LBB24_1165:                            ;   in Loop: Header=BB24_3 Depth=1
	s_and_saveexec_b32 s64, s84
	s_cbranch_execz .LBB24_1167
.LBB24_1166:                            ;   in Loop: Header=BB24_3 Depth=1
	v_lshl_add_u64 v[20:21], v[10:11], 2, s[82:83]
	global_store_b32 v[20:21], v82, off
.LBB24_1167:                            ;   in Loop: Header=BB24_3 Depth=1
	s_wait_xcnt 0x0
	s_or_b32 exec_lo, exec_lo, s64
	global_wb scope:SCOPE_DEV
	s_wait_storecnt 0x0
	global_inv scope:SCOPE_DEV
	s_wait_loadcnt 0x0
	s_barrier_signal -1
	s_barrier_wait -1
	s_and_saveexec_b32 s64, s59
	s_cbranch_execz .LBB24_2
; %bb.1168:                             ;   in Loop: Header=BB24_3 Depth=1
	v_readlane_b32 s82, v91, 1
	v_readlane_b32 s83, v91, 2
	s_lshl_b64 s[80:81], s[76:77], 2
	s_delay_alu instid0(SALU_CYCLE_1)
	s_add_nc_u64 s[80:81], s[82:83], s[80:81]
	global_load_b32 v20, v5, s[80:81]
	s_wait_loadcnt 0x0
	v_add_nc_u32_e32 v20, 1, v20
	global_store_b32 v5, v20, s[80:81]
	s_branch .LBB24_2
.LBB24_1169:                            ;   in Loop: Header=BB24_3 Depth=1
	s_mov_b32 s64, exec_lo
	v_readlane_b32 s65, v89, 17
	s_and_b32 s65, s64, s65
	s_delay_alu instid0(SALU_CYCLE_1)
	s_xor_b32 s64, s65, s64
	s_mov_b32 exec_lo, s65
	s_cbranch_execz .LBB24_1173
; %bb.1170:                             ;   in Loop: Header=BB24_3 Depth=1
	s_mov_b32 s65, exec_lo
	v_readlane_b32 s80, v88, 27
	s_and_b32 s80, s65, s80
	s_delay_alu instid0(SALU_CYCLE_1)
	s_mov_b32 exec_lo, s80
; %bb.1171:                             ;   in Loop: Header=BB24_3 Depth=1
	ds_store_b32 v71, v5
; %bb.1172:                             ;   in Loop: Header=BB24_3 Depth=1
	s_or_b32 exec_lo, exec_lo, s65
.LBB24_1173:                            ;   in Loop: Header=BB24_3 Depth=1
	s_and_not1_saveexec_b32 s64, s64
	s_cbranch_execz .LBB24_1175
; %bb.1174:                             ;   in Loop: Header=BB24_3 Depth=1
	v_lshl_add_u64 v[22:23], v[12:13], 2, s[82:83]
	global_load_b32 v22, v[22:23], off
	s_wait_loadcnt 0x0
	v_div_scale_f32 v23, null, v22, v22, 1.0
	s_delay_alu instid0(VALU_DEP_1) | instskip(SKIP_1) | instid1(TRANS32_DEP_1)
	v_rcp_f32_e32 v24, v23
	v_nop
	v_fma_f32 v25, -v23, v24, 1.0
	s_delay_alu instid0(VALU_DEP_1) | instskip(SKIP_1) | instid1(VALU_DEP_1)
	v_fmac_f32_e32 v24, v25, v24
	v_div_scale_f32 v25, vcc_lo, 1.0, v22, 1.0
	v_mul_f32_e32 v82, v25, v24
	s_delay_alu instid0(VALU_DEP_1) | instskip(NEXT) | instid1(VALU_DEP_1)
	v_fma_f32 v83, -v23, v82, v25
	v_fmac_f32_e32 v82, v83, v24
	s_delay_alu instid0(VALU_DEP_1) | instskip(NEXT) | instid1(VALU_DEP_1)
	v_fma_f32 v23, -v23, v82, v25
	v_div_fmas_f32 v23, v23, v24, v82
	s_delay_alu instid0(VALU_DEP_1)
	v_div_fixup_f32 v22, v23, v22, 1.0
	ds_store_b32 v71, v22
.LBB24_1175:                            ;   in Loop: Header=BB24_3 Depth=1
	s_or_b32 exec_lo, exec_lo, s64
	s_and_not1_saveexec_b32 s64, s69
	s_cbranch_execz .LBB24_16
.LBB24_1176:                            ;   in Loop: Header=BB24_3 Depth=1
	v_lshl_add_u64 v[22:23], v[12:13], 2, s[82:83]
	global_load_b32 v22, v[22:23], off
	s_wait_loadcnt 0x0
	v_xor_b32_e32 v22, 0x80000000, v22
	ds_store_b32 v71, v22
	s_or_b32 exec_lo, exec_lo, s64
	s_and_saveexec_b32 s64, s8
	s_delay_alu instid0(SALU_CYCLE_1)
	s_xor_b32 s69, exec_lo, s64
	s_cbranch_execz .LBB24_17
.LBB24_1177:                            ;   in Loop: Header=BB24_3 Depth=1
	s_mov_b32 s64, exec_lo
	v_readlane_b32 s65, v89, 19
	s_and_b32 s65, s64, s65
	s_delay_alu instid0(SALU_CYCLE_1)
	s_xor_b32 s64, s65, s64
	s_mov_b32 exec_lo, s65
	s_cbranch_execz .LBB24_1181
; %bb.1178:                             ;   in Loop: Header=BB24_3 Depth=1
	s_mov_b32 s65, exec_lo
	v_readlane_b32 s80, v88, 28
	s_and_b32 s80, s65, s80
	s_delay_alu instid0(SALU_CYCLE_1)
	s_mov_b32 exec_lo, s80
; %bb.1179:                             ;   in Loop: Header=BB24_3 Depth=1
	ds_store_b32 v72, v5
; %bb.1180:                             ;   in Loop: Header=BB24_3 Depth=1
	s_or_b32 exec_lo, exec_lo, s65
.LBB24_1181:                            ;   in Loop: Header=BB24_3 Depth=1
	s_and_not1_saveexec_b32 s64, s64
	s_cbranch_execz .LBB24_1183
; %bb.1182:                             ;   in Loop: Header=BB24_3 Depth=1
	v_lshl_add_u64 v[22:23], v[14:15], 2, s[82:83]
	global_load_b32 v22, v[22:23], off
	s_wait_loadcnt 0x0
	v_div_scale_f32 v23, null, v22, v22, 1.0
	s_delay_alu instid0(VALU_DEP_1) | instskip(SKIP_1) | instid1(TRANS32_DEP_1)
	v_rcp_f32_e32 v24, v23
	v_nop
	v_fma_f32 v25, -v23, v24, 1.0
	s_delay_alu instid0(VALU_DEP_1) | instskip(SKIP_1) | instid1(VALU_DEP_1)
	v_fmac_f32_e32 v24, v25, v24
	v_div_scale_f32 v25, vcc_lo, 1.0, v22, 1.0
	v_mul_f32_e32 v82, v25, v24
	s_delay_alu instid0(VALU_DEP_1) | instskip(NEXT) | instid1(VALU_DEP_1)
	v_fma_f32 v83, -v23, v82, v25
	v_fmac_f32_e32 v82, v83, v24
	s_delay_alu instid0(VALU_DEP_1) | instskip(NEXT) | instid1(VALU_DEP_1)
	v_fma_f32 v23, -v23, v82, v25
	v_div_fmas_f32 v23, v23, v24, v82
	s_delay_alu instid0(VALU_DEP_1)
	v_div_fixup_f32 v22, v23, v22, 1.0
	ds_store_b32 v72, v22
.LBB24_1183:                            ;   in Loop: Header=BB24_3 Depth=1
	s_or_b32 exec_lo, exec_lo, s64
	s_and_not1_saveexec_b32 s64, s69
	s_cbranch_execz .LBB24_18
.LBB24_1184:                            ;   in Loop: Header=BB24_3 Depth=1
	v_lshl_add_u64 v[22:23], v[14:15], 2, s[82:83]
	global_load_b32 v22, v[22:23], off
	s_wait_loadcnt 0x0
	v_xor_b32_e32 v22, 0x80000000, v22
	ds_store_b32 v72, v22
	s_or_b32 exec_lo, exec_lo, s64
	s_and_saveexec_b32 s64, s9
	s_delay_alu instid0(SALU_CYCLE_1)
	s_xor_b32 s69, exec_lo, s64
	s_cbranch_execz .LBB24_19
.LBB24_1185:                            ;   in Loop: Header=BB24_3 Depth=1
	s_mov_b32 s64, exec_lo
	v_readlane_b32 s65, v89, 21
	s_and_b32 s65, s64, s65
	s_delay_alu instid0(SALU_CYCLE_1)
	s_xor_b32 s64, s65, s64
	s_mov_b32 exec_lo, s65
	s_cbranch_execz .LBB24_1189
; %bb.1186:                             ;   in Loop: Header=BB24_3 Depth=1
	s_mov_b32 s65, exec_lo
	v_readlane_b32 s80, v88, 29
	s_and_b32 s80, s65, s80
	s_delay_alu instid0(SALU_CYCLE_1)
	s_mov_b32 exec_lo, s80
; %bb.1187:                             ;   in Loop: Header=BB24_3 Depth=1
	ds_store_b32 v73, v5
; %bb.1188:                             ;   in Loop: Header=BB24_3 Depth=1
	s_or_b32 exec_lo, exec_lo, s65
.LBB24_1189:                            ;   in Loop: Header=BB24_3 Depth=1
	s_and_not1_saveexec_b32 s64, s64
	s_cbranch_execz .LBB24_1191
; %bb.1190:                             ;   in Loop: Header=BB24_3 Depth=1
	v_lshl_add_u64 v[22:23], v[16:17], 2, s[82:83]
	global_load_b32 v22, v[22:23], off
	s_wait_loadcnt 0x0
	v_div_scale_f32 v23, null, v22, v22, 1.0
	s_delay_alu instid0(VALU_DEP_1) | instskip(SKIP_1) | instid1(TRANS32_DEP_1)
	v_rcp_f32_e32 v24, v23
	v_nop
	v_fma_f32 v25, -v23, v24, 1.0
	s_delay_alu instid0(VALU_DEP_1) | instskip(SKIP_1) | instid1(VALU_DEP_1)
	v_fmac_f32_e32 v24, v25, v24
	v_div_scale_f32 v25, vcc_lo, 1.0, v22, 1.0
	v_mul_f32_e32 v82, v25, v24
	s_delay_alu instid0(VALU_DEP_1) | instskip(NEXT) | instid1(VALU_DEP_1)
	v_fma_f32 v83, -v23, v82, v25
	v_fmac_f32_e32 v82, v83, v24
	s_delay_alu instid0(VALU_DEP_1) | instskip(NEXT) | instid1(VALU_DEP_1)
	v_fma_f32 v23, -v23, v82, v25
	v_div_fmas_f32 v23, v23, v24, v82
	s_delay_alu instid0(VALU_DEP_1)
	v_div_fixup_f32 v22, v23, v22, 1.0
	ds_store_b32 v73, v22
.LBB24_1191:                            ;   in Loop: Header=BB24_3 Depth=1
	s_or_b32 exec_lo, exec_lo, s64
	s_and_not1_saveexec_b32 s64, s69
	s_cbranch_execz .LBB24_20
.LBB24_1192:                            ;   in Loop: Header=BB24_3 Depth=1
	v_lshl_add_u64 v[22:23], v[16:17], 2, s[82:83]
	global_load_b32 v22, v[22:23], off
	s_wait_loadcnt 0x0
	v_xor_b32_e32 v22, 0x80000000, v22
	ds_store_b32 v73, v22
	s_or_b32 exec_lo, exec_lo, s64
	s_and_saveexec_b32 s64, s10
	s_delay_alu instid0(SALU_CYCLE_1)
	s_xor_b32 s69, exec_lo, s64
	s_cbranch_execz .LBB24_21
.LBB24_1193:                            ;   in Loop: Header=BB24_3 Depth=1
	s_mov_b32 s64, exec_lo
	v_readlane_b32 s65, v89, 23
	s_and_b32 s65, s64, s65
	s_delay_alu instid0(SALU_CYCLE_1)
	s_xor_b32 s64, s65, s64
	s_mov_b32 exec_lo, s65
	s_cbranch_execz .LBB24_1197
; %bb.1194:                             ;   in Loop: Header=BB24_3 Depth=1
	s_mov_b32 s65, exec_lo
	v_readlane_b32 s80, v88, 30
	s_and_b32 s80, s65, s80
	s_delay_alu instid0(SALU_CYCLE_1)
	s_mov_b32 exec_lo, s80
; %bb.1195:                             ;   in Loop: Header=BB24_3 Depth=1
	ds_store_b32 v74, v5
; %bb.1196:                             ;   in Loop: Header=BB24_3 Depth=1
	s_or_b32 exec_lo, exec_lo, s65
.LBB24_1197:                            ;   in Loop: Header=BB24_3 Depth=1
	s_and_not1_saveexec_b32 s64, s64
	s_cbranch_execz .LBB24_1199
; %bb.1198:                             ;   in Loop: Header=BB24_3 Depth=1
	v_lshl_add_u64 v[22:23], v[18:19], 2, s[82:83]
	global_load_b32 v22, v[22:23], off
	s_wait_loadcnt 0x0
	v_div_scale_f32 v23, null, v22, v22, 1.0
	s_delay_alu instid0(VALU_DEP_1) | instskip(SKIP_1) | instid1(TRANS32_DEP_1)
	v_rcp_f32_e32 v24, v23
	v_nop
	v_fma_f32 v25, -v23, v24, 1.0
	s_delay_alu instid0(VALU_DEP_1) | instskip(SKIP_1) | instid1(VALU_DEP_1)
	v_fmac_f32_e32 v24, v25, v24
	v_div_scale_f32 v25, vcc_lo, 1.0, v22, 1.0
	v_mul_f32_e32 v82, v25, v24
	s_delay_alu instid0(VALU_DEP_1) | instskip(NEXT) | instid1(VALU_DEP_1)
	v_fma_f32 v83, -v23, v82, v25
	v_fmac_f32_e32 v82, v83, v24
	s_delay_alu instid0(VALU_DEP_1) | instskip(NEXT) | instid1(VALU_DEP_1)
	v_fma_f32 v23, -v23, v82, v25
	v_div_fmas_f32 v23, v23, v24, v82
	s_delay_alu instid0(VALU_DEP_1)
	v_div_fixup_f32 v22, v23, v22, 1.0
	ds_store_b32 v74, v22
.LBB24_1199:                            ;   in Loop: Header=BB24_3 Depth=1
	s_or_b32 exec_lo, exec_lo, s64
	s_and_not1_saveexec_b32 s64, s69
	s_cbranch_execnz .LBB24_22
	s_branch .LBB24_23
.LBB24_1200:                            ;   in Loop: Header=BB24_3 Depth=1
	ds_load_b32 v20, v69
	ds_load_b32 v21, v66
	s_wait_dscnt 0x0
	v_fma_f32 v20, v20, v21, 0
	s_or_b32 exec_lo, exec_lo, s64
	s_and_saveexec_b32 s64, s8
	s_cbranch_execz .LBB24_1139
.LBB24_1201:                            ;   in Loop: Header=BB24_3 Depth=1
	ds_load_b32 v21, v69 offset:4096
	ds_load_b32 v22, v66 offset:64
	s_wait_dscnt 0x0
	v_fmac_f32_e32 v20, v21, v22
	s_or_b32 exec_lo, exec_lo, s64
	s_and_saveexec_b32 s64, s9
	s_cbranch_execz .LBB24_1140
.LBB24_1202:                            ;   in Loop: Header=BB24_3 Depth=1
	ds_load_b32 v21, v69 offset:8192
	ds_load_b32 v22, v66 offset:128
	s_wait_dscnt 0x0
	v_fmac_f32_e32 v20, v21, v22
	s_or_b32 exec_lo, exec_lo, s64
	s_and_saveexec_b32 s64, s10
	s_cbranch_execnz .LBB24_1141
	s_branch .LBB24_1142
.LBB24_1203:                            ;   in Loop: Header=BB24_3 Depth=1
	s_or_b32 exec_lo, exec_lo, s85
	s_delay_alu instid0(SALU_CYCLE_1)
	s_and_b32 vcc_lo, exec_lo, s69
	s_cbranch_vccnz .LBB24_1145
.LBB24_1204:                            ;   in Loop: Header=BB24_3 Depth=1
	v_mov_b32_e32 v82, v21
	s_and_saveexec_b32 s64, s84
	s_cbranch_execnz .LBB24_1166
	s_branch .LBB24_1167
.LBB24_1205:                            ;   in Loop: Header=BB24_3 Depth=1
	s_and_not1_b32 s65, s84, exec_lo
	s_and_b32 s69, s1, exec_lo
	s_delay_alu instid0(SALU_CYCLE_1)
	s_or_b32 s84, s65, s69
	s_cbranch_execnz .LBB24_1165
.LBB24_1206:                            ;   in Loop: Header=BB24_3 Depth=1
	v_readlane_b32 s65, v89, 8
	s_and_not1_b32 s64, s84, exec_lo
	s_and_b32 s65, s65, exec_lo
	s_delay_alu instid0(SALU_CYCLE_1) | instskip(NEXT) | instid1(SALU_CYCLE_1)
	s_or_b32 s84, s64, s65
	s_and_saveexec_b32 s64, s84
	s_cbranch_execnz .LBB24_1166
	s_branch .LBB24_1167
.LBB24_1207:                            ;   in Loop: Header=BB24_3 Depth=1
	ds_load_b32 v23, v36 offset:272
	ds_load_b32 v24, v30 offset:4
	s_wait_dscnt 0x0
	v_fmac_f32_e32 v22, v23, v24
	s_or_b32 exec_lo, exec_lo, s64
	s_and_saveexec_b32 s64, s18
	s_cbranch_execz .LBB24_88
.LBB24_1208:                            ;   in Loop: Header=BB24_3 Depth=1
	ds_load_b32 v23, v35 offset:528
	ds_load_b32 v24, v30 offset:8
	s_wait_dscnt 0x0
	v_fmac_f32_e32 v22, v23, v24
	s_or_b32 exec_lo, exec_lo, s64
	s_and_saveexec_b32 s64, s0
	s_cbranch_execnz .LBB24_89
	s_branch .LBB24_90
.LBB24_1209:                            ;   in Loop: Header=BB24_3 Depth=1
	ds_load_b32 v23, v45 offset:288
	ds_load_b32 v24, v39 offset:4
	s_wait_dscnt 0x0
	v_fmac_f32_e32 v22, v23, v24
	s_or_b32 exec_lo, exec_lo, s64
	s_and_saveexec_b32 s64, s20
	s_cbranch_execz .LBB24_130
.LBB24_1210:                            ;   in Loop: Header=BB24_3 Depth=1
	ds_load_b32 v23, v45 offset:544
	ds_load_b32 v24, v39 offset:8
	s_wait_dscnt 0x0
	v_fmac_f32_e32 v22, v23, v24
	s_or_b32 exec_lo, exec_lo, s64
	s_and_saveexec_b32 s64, s21
	s_cbranch_execz .LBB24_131
.LBB24_1211:                            ;   in Loop: Header=BB24_3 Depth=1
	ds_load_b32 v23, v45 offset:800
	ds_load_b32 v24, v39 offset:12
	s_wait_dscnt 0x0
	v_fmac_f32_e32 v22, v23, v24
	s_or_b32 exec_lo, exec_lo, s64
	s_and_saveexec_b32 s64, s22
	s_cbranch_execz .LBB24_132
.LBB24_1212:                            ;   in Loop: Header=BB24_3 Depth=1
	ds_load_b32 v23, v44 offset:1056
	ds_load_b32 v24, v39 offset:16
	s_wait_dscnt 0x0
	v_fmac_f32_e32 v22, v23, v24
	s_or_b32 exec_lo, exec_lo, s64
	s_and_saveexec_b32 s64, s23
	s_cbranch_execz .LBB24_133
.LBB24_1213:                            ;   in Loop: Header=BB24_3 Depth=1
	ds_load_b32 v23, v45 offset:1312
	ds_load_b32 v24, v39 offset:20
	s_wait_dscnt 0x0
	v_fmac_f32_e32 v22, v23, v24
	s_or_b32 exec_lo, exec_lo, s64
	s_and_saveexec_b32 s64, s2
	s_cbranch_execz .LBB24_134
.LBB24_1214:                            ;   in Loop: Header=BB24_3 Depth=1
	ds_load_b32 v23, v44 offset:1568
	ds_load_b32 v24, v39 offset:24
	s_wait_dscnt 0x0
	v_fmac_f32_e32 v22, v23, v24
	s_or_b32 exec_lo, exec_lo, s64
	s_and_saveexec_b32 s64, s18
	s_cbranch_execnz .LBB24_135
	s_branch .LBB24_136
.LBB24_1215:                            ;   in Loop: Header=BB24_3 Depth=1
	ds_load_b32 v23, v36 offset:2352
	ds_load_b32 v24, v30 offset:2084
	s_wait_dscnt 0x0
	v_fmac_f32_e32 v22, v23, v24
	s_or_b32 exec_lo, exec_lo, s64
	s_and_saveexec_b32 s64, s18
	s_cbranch_execz .LBB24_192
.LBB24_1216:                            ;   in Loop: Header=BB24_3 Depth=1
	ds_load_b32 v23, v35 offset:2608
	ds_load_b32 v24, v30 offset:2088
	s_wait_dscnt 0x0
	v_fmac_f32_e32 v22, v23, v24
	s_or_b32 exec_lo, exec_lo, s64
	s_and_saveexec_b32 s64, s0
	s_cbranch_execnz .LBB24_193
	s_branch .LBB24_194
.LBB24_1217:                            ;   in Loop: Header=BB24_3 Depth=1
	ds_load_b32 v23, v58 offset:2880
	ds_load_b32 v24, v53 offset:44
	s_wait_dscnt 0x0
	v_fmac_f32_e32 v22, v23, v24
	s_or_b32 exec_lo, exec_lo, s64
	s_and_saveexec_b32 s64, s3
	s_cbranch_execz .LBB24_254
.LBB24_1218:                            ;   in Loop: Header=BB24_3 Depth=1
	ds_load_b32 v23, v57 offset:3136
	ds_load_b32 v24, v53 offset:48
	s_wait_dscnt 0x0
	v_fmac_f32_e32 v22, v23, v24
	s_or_b32 exec_lo, exec_lo, s64
	s_and_saveexec_b32 s64, s20
	s_cbranch_execz .LBB24_255
.LBB24_1219:                            ;   in Loop: Header=BB24_3 Depth=1
	ds_load_b32 v23, v58 offset:3392
	ds_load_b32 v24, v53 offset:52
	s_wait_dscnt 0x0
	v_fmac_f32_e32 v22, v23, v24
	s_or_b32 exec_lo, exec_lo, s64
	s_and_saveexec_b32 s64, s22
	s_cbranch_execz .LBB24_256
.LBB24_1220:                            ;   in Loop: Header=BB24_3 Depth=1
	ds_load_b32 v23, v57 offset:3648
	ds_load_b32 v24, v53 offset:56
	s_wait_dscnt 0x0
	v_fmac_f32_e32 v22, v23, v24
	s_or_b32 exec_lo, exec_lo, s64
	s_and_saveexec_b32 s64, s2
	s_cbranch_execnz .LBB24_257
	s_branch .LBB24_258
.LBB24_1221:                            ;   in Loop: Header=BB24_3 Depth=1
	ds_load_b32 v23, v36 offset:4432
	ds_load_b32 v24, v30 offset:4164
	s_wait_dscnt 0x0
	v_fmac_f32_e32 v22, v23, v24
	s_or_b32 exec_lo, exec_lo, s64
	s_and_saveexec_b32 s64, s18
	s_cbranch_execz .LBB24_346
.LBB24_1222:                            ;   in Loop: Header=BB24_3 Depth=1
	ds_load_b32 v23, v35 offset:4688
	ds_load_b32 v24, v30 offset:4168
	s_wait_dscnt 0x0
	v_fmac_f32_e32 v22, v23, v24
	s_or_b32 exec_lo, exec_lo, s64
	s_and_saveexec_b32 s64, s0
	s_cbranch_execnz .LBB24_347
	s_branch .LBB24_348
.LBB24_1223:                            ;   in Loop: Header=BB24_3 Depth=1
	ds_load_b32 v23, v45 offset:4448
	ds_load_b32 v24, v39 offset:4164
	s_wait_dscnt 0x0
	v_fmac_f32_e32 v22, v23, v24
	s_or_b32 exec_lo, exec_lo, s64
	s_and_saveexec_b32 s64, s20
	s_cbranch_execz .LBB24_388
.LBB24_1224:                            ;   in Loop: Header=BB24_3 Depth=1
	ds_load_b32 v23, v45 offset:4704
	ds_load_b32 v24, v39 offset:4168
	s_wait_dscnt 0x0
	v_fmac_f32_e32 v22, v23, v24
	s_or_b32 exec_lo, exec_lo, s64
	s_and_saveexec_b32 s64, s21
	s_cbranch_execz .LBB24_389
.LBB24_1225:                            ;   in Loop: Header=BB24_3 Depth=1
	ds_load_b32 v23, v45 offset:4960
	ds_load_b32 v24, v39 offset:4172
	s_wait_dscnt 0x0
	v_fmac_f32_e32 v22, v23, v24
	s_or_b32 exec_lo, exec_lo, s64
	s_and_saveexec_b32 s64, s22
	s_cbranch_execz .LBB24_390
.LBB24_1226:                            ;   in Loop: Header=BB24_3 Depth=1
	ds_load_b32 v23, v44 offset:5216
	ds_load_b32 v24, v39 offset:4176
	s_wait_dscnt 0x0
	v_fmac_f32_e32 v22, v23, v24
	s_or_b32 exec_lo, exec_lo, s64
	s_and_saveexec_b32 s64, s23
	s_cbranch_execz .LBB24_391
.LBB24_1227:                            ;   in Loop: Header=BB24_3 Depth=1
	ds_load_b32 v23, v45 offset:5472
	ds_load_b32 v24, v39 offset:4180
	s_wait_dscnt 0x0
	v_fmac_f32_e32 v22, v23, v24
	s_or_b32 exec_lo, exec_lo, s64
	s_and_saveexec_b32 s64, s2
	s_cbranch_execz .LBB24_392
.LBB24_1228:                            ;   in Loop: Header=BB24_3 Depth=1
	ds_load_b32 v23, v44 offset:5728
	ds_load_b32 v24, v39 offset:4184
	s_wait_dscnt 0x0
	v_fmac_f32_e32 v22, v23, v24
	s_or_b32 exec_lo, exec_lo, s64
	s_and_saveexec_b32 s64, s18
	s_cbranch_execnz .LBB24_393
	s_branch .LBB24_394
.LBB24_1229:                            ;   in Loop: Header=BB24_3 Depth=1
	ds_load_b32 v23, v36 offset:6512
	ds_load_b32 v24, v30 offset:6244
	s_wait_dscnt 0x0
	v_fmac_f32_e32 v22, v23, v24
	s_or_b32 exec_lo, exec_lo, s64
	s_and_saveexec_b32 s64, s18
	s_cbranch_execz .LBB24_450
.LBB24_1230:                            ;   in Loop: Header=BB24_3 Depth=1
	ds_load_b32 v23, v35 offset:6768
	ds_load_b32 v24, v30 offset:6248
	s_wait_dscnt 0x0
	v_fmac_f32_e32 v22, v23, v24
	s_or_b32 exec_lo, exec_lo, s64
	s_and_saveexec_b32 s64, s0
	s_cbranch_execnz .LBB24_451
	s_branch .LBB24_452
.LBB24_1231:                            ;   in Loop: Header=BB24_3 Depth=1
	ds_load_b32 v24, v63 offset:7552
	ds_load_b32 v25, v23 offset:116
	s_wait_dscnt 0x0
	v_fmac_f32_e32 v22, v24, v25
	s_or_b32 exec_lo, exec_lo, s64
	s_and_saveexec_b32 s64, s3
	s_cbranch_execz .LBB24_548
.LBB24_1232:                            ;   in Loop: Header=BB24_3 Depth=1
	ds_load_b32 v24, v63 offset:7808
	ds_load_b32 v23, v23 offset:120
	s_wait_dscnt 0x0
	v_fmac_f32_e32 v22, v24, v23
	s_or_b32 exec_lo, exec_lo, s64
	s_and_saveexec_b32 s64, s22
	s_cbranch_execnz .LBB24_549
	s_branch .LBB24_550
.LBB24_1233:                            ;   in Loop: Header=BB24_3 Depth=1
	ds_load_b32 v23, v36 offset:8592
	ds_load_b32 v24, v30 offset:8324
	s_wait_dscnt 0x0
	v_fmac_f32_e32 v22, v23, v24
	s_or_b32 exec_lo, exec_lo, s64
	s_and_saveexec_b32 s64, s18
	s_cbranch_execz .LBB24_702
.LBB24_1234:                            ;   in Loop: Header=BB24_3 Depth=1
	ds_load_b32 v23, v35 offset:8848
	ds_load_b32 v24, v30 offset:8328
	s_wait_dscnt 0x0
	v_fmac_f32_e32 v22, v23, v24
	s_or_b32 exec_lo, exec_lo, s64
	s_and_saveexec_b32 s64, s0
	s_cbranch_execnz .LBB24_703
	s_branch .LBB24_704
.LBB24_1235:                            ;   in Loop: Header=BB24_3 Depth=1
	ds_load_b32 v23, v45 offset:8608
	ds_load_b32 v24, v39 offset:8324
	s_wait_dscnt 0x0
	v_fmac_f32_e32 v22, v23, v24
	s_or_b32 exec_lo, exec_lo, s64
	s_and_saveexec_b32 s64, s20
	s_cbranch_execz .LBB24_744
.LBB24_1236:                            ;   in Loop: Header=BB24_3 Depth=1
	ds_load_b32 v23, v45 offset:8864
	ds_load_b32 v24, v39 offset:8328
	s_wait_dscnt 0x0
	v_fmac_f32_e32 v22, v23, v24
	s_or_b32 exec_lo, exec_lo, s64
	s_and_saveexec_b32 s64, s21
	s_cbranch_execz .LBB24_745
.LBB24_1237:                            ;   in Loop: Header=BB24_3 Depth=1
	ds_load_b32 v23, v45 offset:9120
	ds_load_b32 v24, v39 offset:8332
	s_wait_dscnt 0x0
	v_fmac_f32_e32 v22, v23, v24
	s_or_b32 exec_lo, exec_lo, s64
	s_and_saveexec_b32 s64, s22
	s_cbranch_execz .LBB24_746
.LBB24_1238:                            ;   in Loop: Header=BB24_3 Depth=1
	ds_load_b32 v23, v44 offset:9376
	ds_load_b32 v24, v39 offset:8336
	s_wait_dscnt 0x0
	v_fmac_f32_e32 v22, v23, v24
	s_or_b32 exec_lo, exec_lo, s64
	s_and_saveexec_b32 s64, s23
	s_cbranch_execz .LBB24_747
.LBB24_1239:                            ;   in Loop: Header=BB24_3 Depth=1
	ds_load_b32 v23, v45 offset:9632
	ds_load_b32 v24, v39 offset:8340
	s_wait_dscnt 0x0
	v_fmac_f32_e32 v22, v23, v24
	s_or_b32 exec_lo, exec_lo, s64
	s_and_saveexec_b32 s64, s2
	s_cbranch_execz .LBB24_748
.LBB24_1240:                            ;   in Loop: Header=BB24_3 Depth=1
	ds_load_b32 v23, v44 offset:9888
	ds_load_b32 v24, v39 offset:8344
	s_wait_dscnt 0x0
	v_fmac_f32_e32 v22, v23, v24
	s_or_b32 exec_lo, exec_lo, s64
	s_and_saveexec_b32 s64, s18
	s_cbranch_execnz .LBB24_749
	s_branch .LBB24_750
.LBB24_1241:                            ;   in Loop: Header=BB24_3 Depth=1
	ds_load_b32 v23, v36 offset:10672
	ds_load_b32 v24, v30 offset:10404
	s_wait_dscnt 0x0
	v_fmac_f32_e32 v22, v23, v24
	s_or_b32 exec_lo, exec_lo, s64
	s_and_saveexec_b32 s64, s18
	s_cbranch_execz .LBB24_806
.LBB24_1242:                            ;   in Loop: Header=BB24_3 Depth=1
	ds_load_b32 v23, v35 offset:10928
	ds_load_b32 v24, v30 offset:10408
	s_wait_dscnt 0x0
	v_fmac_f32_e32 v22, v23, v24
	s_or_b32 exec_lo, exec_lo, s64
	s_and_saveexec_b32 s64, s0
	s_cbranch_execnz .LBB24_807
	s_branch .LBB24_808
.LBB24_1243:                            ;   in Loop: Header=BB24_3 Depth=1
	ds_load_b32 v23, v58 offset:11200
	ds_load_b32 v24, v53 offset:8364
	s_wait_dscnt 0x0
	v_fmac_f32_e32 v22, v23, v24
	s_or_b32 exec_lo, exec_lo, s64
	s_and_saveexec_b32 s64, s3
	s_cbranch_execz .LBB24_868
.LBB24_1244:                            ;   in Loop: Header=BB24_3 Depth=1
	ds_load_b32 v23, v57 offset:11456
	ds_load_b32 v24, v53 offset:8368
	s_wait_dscnt 0x0
	v_fmac_f32_e32 v22, v23, v24
	s_or_b32 exec_lo, exec_lo, s64
	s_and_saveexec_b32 s64, s20
	s_cbranch_execz .LBB24_869
.LBB24_1245:                            ;   in Loop: Header=BB24_3 Depth=1
	ds_load_b32 v23, v58 offset:11712
	ds_load_b32 v24, v53 offset:8372
	s_wait_dscnt 0x0
	v_fmac_f32_e32 v22, v23, v24
	s_or_b32 exec_lo, exec_lo, s64
	s_and_saveexec_b32 s64, s22
	s_cbranch_execz .LBB24_870
.LBB24_1246:                            ;   in Loop: Header=BB24_3 Depth=1
	ds_load_b32 v23, v57 offset:11968
	ds_load_b32 v24, v53 offset:8376
	s_wait_dscnt 0x0
	v_fmac_f32_e32 v22, v23, v24
	s_or_b32 exec_lo, exec_lo, s64
	s_and_saveexec_b32 s64, s2
	s_cbranch_execnz .LBB24_871
	s_branch .LBB24_872
.LBB24_1247:                            ;   in Loop: Header=BB24_3 Depth=1
	ds_load_b32 v23, v36 offset:12752
	ds_load_b32 v24, v30 offset:12484
	s_wait_dscnt 0x0
	v_fmac_f32_e32 v22, v23, v24
	s_or_b32 exec_lo, exec_lo, s64
	s_and_saveexec_b32 s64, s18
	s_cbranch_execz .LBB24_960
.LBB24_1248:                            ;   in Loop: Header=BB24_3 Depth=1
	ds_load_b32 v23, v35 offset:13008
	ds_load_b32 v24, v30 offset:12488
	s_wait_dscnt 0x0
	v_fmac_f32_e32 v22, v23, v24
	s_or_b32 exec_lo, exec_lo, s64
	s_and_saveexec_b32 s64, s0
	s_cbranch_execnz .LBB24_961
	s_branch .LBB24_962
.LBB24_1249:                            ;   in Loop: Header=BB24_3 Depth=1
	ds_load_b32 v23, v45 offset:12768
	ds_load_b32 v24, v39 offset:12484
	s_wait_dscnt 0x0
	v_fmac_f32_e32 v22, v23, v24
	s_or_b32 exec_lo, exec_lo, s64
	s_and_saveexec_b32 s64, s20
	s_cbranch_execz .LBB24_1002
.LBB24_1250:                            ;   in Loop: Header=BB24_3 Depth=1
	ds_load_b32 v23, v45 offset:13024
	ds_load_b32 v24, v39 offset:12488
	s_wait_dscnt 0x0
	v_fmac_f32_e32 v22, v23, v24
	s_or_b32 exec_lo, exec_lo, s64
	s_and_saveexec_b32 s64, s21
	s_cbranch_execz .LBB24_1003
.LBB24_1251:                            ;   in Loop: Header=BB24_3 Depth=1
	ds_load_b32 v23, v45 offset:13280
	ds_load_b32 v24, v39 offset:12492
	s_wait_dscnt 0x0
	v_fmac_f32_e32 v22, v23, v24
	s_or_b32 exec_lo, exec_lo, s64
	s_and_saveexec_b32 s64, s22
	s_cbranch_execz .LBB24_1004
.LBB24_1252:                            ;   in Loop: Header=BB24_3 Depth=1
	ds_load_b32 v23, v44 offset:13536
	ds_load_b32 v24, v39 offset:12496
	s_wait_dscnt 0x0
	v_fmac_f32_e32 v22, v23, v24
	s_or_b32 exec_lo, exec_lo, s64
	s_and_saveexec_b32 s64, s23
	s_cbranch_execz .LBB24_1005
.LBB24_1253:                            ;   in Loop: Header=BB24_3 Depth=1
	ds_load_b32 v23, v45 offset:13792
	ds_load_b32 v24, v39 offset:12500
	s_wait_dscnt 0x0
	v_fmac_f32_e32 v22, v23, v24
	s_or_b32 exec_lo, exec_lo, s64
	s_and_saveexec_b32 s64, s2
	s_cbranch_execz .LBB24_1006
.LBB24_1254:                            ;   in Loop: Header=BB24_3 Depth=1
	ds_load_b32 v23, v44 offset:14048
	ds_load_b32 v24, v39 offset:12504
	s_wait_dscnt 0x0
	v_fmac_f32_e32 v22, v23, v24
	s_or_b32 exec_lo, exec_lo, s64
	s_and_saveexec_b32 s64, s18
	s_cbranch_execnz .LBB24_1007
	s_branch .LBB24_1008
.LBB24_1255:                            ;   in Loop: Header=BB24_3 Depth=1
	ds_load_b32 v23, v36 offset:14832
	ds_load_b32 v24, v30 offset:14564
	s_wait_dscnt 0x0
	v_fmac_f32_e32 v22, v23, v24
	s_or_b32 exec_lo, exec_lo, s64
	s_and_saveexec_b32 s64, s18
	s_cbranch_execz .LBB24_1064
.LBB24_1256:                            ;   in Loop: Header=BB24_3 Depth=1
	ds_load_b32 v23, v35 offset:15088
	ds_load_b32 v24, v30 offset:14568
	s_wait_dscnt 0x0
	v_fmac_f32_e32 v22, v23, v24
	s_or_b32 exec_lo, exec_lo, s64
	s_and_saveexec_b32 s64, s0
	s_cbranch_execnz .LBB24_1065
	s_branch .LBB24_1066
.LBB24_1257:
	s_endpgm
	.section	.rodata,"a",@progbits
	.p2align	6, 0x0
	.amdhsa_kernel _ZL19rocblas_trsv_deviceILi64ELi16ELb1ELb1ELb1ELb0EffPKfPfEviT7_lllT6_T8_lllPii
		.amdhsa_group_segment_fixed_size 20740
		.amdhsa_private_segment_fixed_size 0
		.amdhsa_kernarg_size 352
		.amdhsa_user_sgpr_count 2
		.amdhsa_user_sgpr_dispatch_ptr 0
		.amdhsa_user_sgpr_queue_ptr 0
		.amdhsa_user_sgpr_kernarg_segment_ptr 1
		.amdhsa_user_sgpr_dispatch_id 0
		.amdhsa_user_sgpr_kernarg_preload_length 0
		.amdhsa_user_sgpr_kernarg_preload_offset 0
		.amdhsa_user_sgpr_private_segment_size 0
		.amdhsa_wavefront_size32 1
		.amdhsa_uses_dynamic_stack 0
		.amdhsa_enable_private_segment 0
		.amdhsa_system_sgpr_workgroup_id_x 1
		.amdhsa_system_sgpr_workgroup_id_y 0
		.amdhsa_system_sgpr_workgroup_id_z 1
		.amdhsa_system_sgpr_workgroup_info 0
		.amdhsa_system_vgpr_workitem_id 1
		.amdhsa_next_free_vgpr 92
		.amdhsa_next_free_sgpr 105
		.amdhsa_named_barrier_count 0
		.amdhsa_reserve_vcc 1
		.amdhsa_float_round_mode_32 0
		.amdhsa_float_round_mode_16_64 0
		.amdhsa_float_denorm_mode_32 3
		.amdhsa_float_denorm_mode_16_64 3
		.amdhsa_fp16_overflow 0
		.amdhsa_memory_ordered 1
		.amdhsa_forward_progress 1
		.amdhsa_inst_pref_size 255
		.amdhsa_round_robin_scheduling 0
		.amdhsa_exception_fp_ieee_invalid_op 0
		.amdhsa_exception_fp_denorm_src 0
		.amdhsa_exception_fp_ieee_div_zero 0
		.amdhsa_exception_fp_ieee_overflow 0
		.amdhsa_exception_fp_ieee_underflow 0
		.amdhsa_exception_fp_ieee_inexact 0
		.amdhsa_exception_int_div_zero 0
	.end_amdhsa_kernel
	.section	.text._ZL19rocblas_trsv_deviceILi64ELi16ELb1ELb1ELb1ELb0EffPKfPfEviT7_lllT6_T8_lllPii,"axG",@progbits,_ZL19rocblas_trsv_deviceILi64ELi16ELb1ELb1ELb1ELb0EffPKfPfEviT7_lllT6_T8_lllPii,comdat
.Lfunc_end24:
	.size	_ZL19rocblas_trsv_deviceILi64ELi16ELb1ELb1ELb1ELb0EffPKfPfEviT7_lllT6_T8_lllPii, .Lfunc_end24-_ZL19rocblas_trsv_deviceILi64ELi16ELb1ELb1ELb1ELb0EffPKfPfEviT7_lllT6_T8_lllPii
                                        ; -- End function
	.set _ZL19rocblas_trsv_deviceILi64ELi16ELb1ELb1ELb1ELb0EffPKfPfEviT7_lllT6_T8_lllPii.num_vgpr, 92
	.set _ZL19rocblas_trsv_deviceILi64ELi16ELb1ELb1ELb1ELb0EffPKfPfEviT7_lllT6_T8_lllPii.num_agpr, 0
	.set _ZL19rocblas_trsv_deviceILi64ELi16ELb1ELb1ELb1ELb0EffPKfPfEviT7_lllT6_T8_lllPii.numbered_sgpr, 105
	.set _ZL19rocblas_trsv_deviceILi64ELi16ELb1ELb1ELb1ELb0EffPKfPfEviT7_lllT6_T8_lllPii.num_named_barrier, 0
	.set _ZL19rocblas_trsv_deviceILi64ELi16ELb1ELb1ELb1ELb0EffPKfPfEviT7_lllT6_T8_lllPii.private_seg_size, 0
	.set _ZL19rocblas_trsv_deviceILi64ELi16ELb1ELb1ELb1ELb0EffPKfPfEviT7_lllT6_T8_lllPii.uses_vcc, 1
	.set _ZL19rocblas_trsv_deviceILi64ELi16ELb1ELb1ELb1ELb0EffPKfPfEviT7_lllT6_T8_lllPii.uses_flat_scratch, 0
	.set _ZL19rocblas_trsv_deviceILi64ELi16ELb1ELb1ELb1ELb0EffPKfPfEviT7_lllT6_T8_lllPii.has_dyn_sized_stack, 0
	.set _ZL19rocblas_trsv_deviceILi64ELi16ELb1ELb1ELb1ELb0EffPKfPfEviT7_lllT6_T8_lllPii.has_recursion, 0
	.set _ZL19rocblas_trsv_deviceILi64ELi16ELb1ELb1ELb1ELb0EffPKfPfEviT7_lllT6_T8_lllPii.has_indirect_call, 0
	.section	.AMDGPU.csdata,"",@progbits
; Kernel info:
; codeLenInByte = 39956
; TotalNumSgprs: 107
; NumVgprs: 92
; ScratchSize: 0
; MemoryBound: 0
; FloatMode: 240
; IeeeMode: 1
; LDSByteSize: 20740 bytes/workgroup (compile time only)
; SGPRBlocks: 0
; VGPRBlocks: 5
; NumSGPRsForWavesPerEU: 107
; NumVGPRsForWavesPerEU: 92
; NamedBarCnt: 0
; Occupancy: 10
; WaveLimiterHint : 0
; COMPUTE_PGM_RSRC2:SCRATCH_EN: 0
; COMPUTE_PGM_RSRC2:USER_SGPR: 2
; COMPUTE_PGM_RSRC2:TRAP_HANDLER: 0
; COMPUTE_PGM_RSRC2:TGID_X_EN: 1
; COMPUTE_PGM_RSRC2:TGID_Y_EN: 0
; COMPUTE_PGM_RSRC2:TGID_Z_EN: 1
; COMPUTE_PGM_RSRC2:TIDIG_COMP_CNT: 1
	.section	.text._ZL19rocblas_trsv_deviceILi64ELi16ELb0ELb0ELb0ELb1EdPKdS1_PdEviT7_lllT6_T8_lllPii,"axG",@progbits,_ZL19rocblas_trsv_deviceILi64ELi16ELb0ELb0ELb0ELb1EdPKdS1_PdEviT7_lllT6_T8_lllPii,comdat
	.globl	_ZL19rocblas_trsv_deviceILi64ELi16ELb0ELb0ELb0ELb1EdPKdS1_PdEviT7_lllT6_T8_lllPii ; -- Begin function _ZL19rocblas_trsv_deviceILi64ELi16ELb0ELb0ELb0ELb1EdPKdS1_PdEviT7_lllT6_T8_lllPii
	.p2align	8
	.type	_ZL19rocblas_trsv_deviceILi64ELi16ELb0ELb0ELb0ELb1EdPKdS1_PdEviT7_lllT6_T8_lllPii,@function
_ZL19rocblas_trsv_deviceILi64ELi16ELb0ELb0ELb0ELb1EdPKdS1_PdEviT7_lllT6_T8_lllPii: ; @_ZL19rocblas_trsv_deviceILi64ELi16ELb0ELb0ELb0ELb1EdPKdS1_PdEviT7_lllT6_T8_lllPii
; %bb.0:
	s_load_b32 s6, s[0:1], 0x58
	s_bfe_u32 s2, ttmp6, 0x40014
	s_lshr_b32 s3, ttmp7, 16
	s_add_co_i32 s2, s2, 1
	s_bfe_u32 s5, ttmp6, 0x40008
	s_mul_i32 s2, s3, s2
	s_getreg_b32 s4, hwreg(HW_REG_IB_STS2, 6, 4)
	s_add_co_i32 s5, s5, s2
	s_cmp_eq_u32 s4, 0
	s_mov_b32 s85, 0
	s_cselect_b32 s84, s3, s5
                                        ; implicit-def: $vgpr86 : SGPR spill to VGPR lane
	s_wait_kmcnt 0x0
	s_cmp_ge_u32 s84, s6
	v_writelane_b32 v86, s6, 0
	s_cbranch_scc1 .LBB25_1055
; %bb.1:
	s_clause 0x3
	s_load_b512 s[64:79], s[0:1], 0x8
	s_load_b32 s2, s[0:1], 0x6c
	s_load_b32 s100, s[0:1], 0x60
	;; [unrolled: 1-line block ×3, first 2 shown]
	s_bfe_u32 s5, ttmp6, 0x4000c
	s_and_b32 s3, ttmp6, 15
	s_add_co_i32 s5, s5, 1
	s_load_b128 s[80:83], s[0:1], 0x48
	s_mul_i32 s5, ttmp9, s5
	v_bfe_u32 v2, v0, 10, 10
	s_add_co_i32 s3, s3, s5
	v_and_b32_e32 v4, 0x3ff, v0
	v_dual_mov_b32 v7, 0 :: v_dual_bitop2_b32 v1, 1, v0 bitop3:0x40
	s_delay_alu instid0(VALU_DEP_3) | instskip(NEXT) | instid1(VALU_DEP_3)
	v_dual_add_nc_u32 v40, 32, v2 :: v_dual_bitop2_b32 v28, 7, v0 bitop3:0x40
	v_lshl_add_u32 v42, v2, 6, v4
	v_dual_add_nc_u32 v36, 48, v2 :: v_dual_bitop2_b32 v29, 15, v0 bitop3:0x40
	s_delay_alu instid0(VALU_DEP_4)
	v_cmp_eq_u32_e32 vcc_lo, 1, v1
	s_wait_kmcnt 0x0
	s_lshl_b64 s[12:13], s[66:67], 3
	s_lshl_b64 s[10:11], s[76:77], 3
	s_cmp_eq_u32 s4, 0
	v_cmp_gt_u32_e64 s5, 6, v28
	s_cselect_b32 s99, ttmp9, s3
	s_add_co_i32 s0, s86, -1
	s_ashr_i32 s87, s86, 31
	s_and_b32 s1, s2, 0xffff
	s_ashr_i32 s2, s0, 31
	s_lshr_b32 s3, s87, 26
	s_lshr_b32 s2, s2, 26
	s_add_co_i32 s3, s86, s3
	s_add_co_i32 s100, s100, -1
	s_add_co_i32 s0, s0, s2
	s_and_not1_b32 s3, s3, 63
	s_sub_co_i32 s18, s100, s99
	s_ashr_i32 s0, s0, 6
	s_sub_co_i32 s29, s86, s3
	s_cmp_eq_u32 s0, s18
	v_mad_u32_u24 v6, v2, s1, v4
	s_cselect_b32 s0, -1, 0
	s_cmp_lg_u32 s29, 0
	v_cmp_eq_u32_e64 s6, 5, v28
	s_cselect_b32 s2, -1, 0
	v_cmp_le_i32_e64 s8, s29, v4
	s_and_b32 s21, s2, s0
	s_add_nc_u64 s[2:3], s[68:69], 1
	s_xor_b32 s101, s21, -1
	s_cmp_lg_u32 s99, 0
	v_cmp_gt_u32_e64 s0, 4, v42
	s_cselect_b32 s4, -1, 0
	s_lshl_b32 s16, s18, 6
	s_delay_alu instid0(SALU_CYCLE_1)
	v_dual_add_nc_u32 v30, s16, v2 :: v_dual_bitop2_b32 v17, 3, v0 bitop3:0x40
	s_ashr_i32 s17, s16, 31
	s_cmp_gt_i32 s99, 4
	s_mul_u64 s[14:15], s[2:3], s[16:17]
	s_cselect_b32 s1, -1, 0
	v_cmp_eq_u32_e64 s2, 0, v1
	s_and_b32 s103, s1, s101
	v_cmp_gt_u32_e64 s1, 16, v42
	v_cmp_eq_u32_e64 s3, 3, v17
	v_writelane_b32 v86, s4, 1
	v_cmp_ne_u32_e64 s4, 3, v17
	s_and_b32 s104, vcc_lo, s0
	s_and_b32 vcc_hi, s2, s0
	v_cmp_eq_u32_e32 vcc_lo, 2, v17
	s_and_b32 s31, s3, s1
	v_cmp_gt_u32_e64 s2, 2, v17
	v_cmp_eq_u32_e64 s3, 1, v17
	s_and_b32 s33, s4, s1
	v_cmp_eq_u32_e64 s4, 0, v17
	s_and_b32 s34, vcc_lo, s1
	s_and_b32 s35, s2, s1
	s_and_b32 s36, s3, s1
	v_cmp_gt_u32_e64 s2, 64, v42
	v_cmp_eq_u32_e32 vcc_lo, 7, v28
	v_cmp_ne_u32_e64 s3, 7, v28
	s_and_b32 s37, s4, s1
	v_cmp_eq_u32_e64 s4, 6, v28
	s_and_b32 s41, s5, s2
	s_and_b32 s38, vcc_lo, s2
	s_and_b32 s39, s3, s2
	v_cmp_gt_u32_e32 vcc_lo, 5, v28
	v_cmp_eq_u32_e64 s3, 4, v28
	s_and_b32 s40, s4, s2
	v_cmp_gt_u32_e64 s4, 4, v28
	v_cmp_eq_u32_e64 s5, 3, v28
	s_and_b32 s43, vcc_lo, s2
	s_and_b32 s44, s3, s2
	v_cmp_eq_u32_e32 vcc_lo, 2, v28
	v_cmp_gt_u32_e64 s3, 2, v28
	s_and_b32 s45, s4, s2
	v_cmp_eq_u32_e64 s4, 1, v28
	s_and_b32 s46, s5, s2
	s_and_b32 s48, vcc_lo, s2
	s_and_b32 s49, s3, s2
	v_cmp_gt_u32_e64 s3, 0x100, v42
	v_cmp_eq_u32_e32 vcc_lo, 15, v29
	v_cmp_eq_u32_e64 s5, 0, v28
	s_and_b32 s50, s4, s2
	v_cmp_ne_u32_e64 s4, 15, v29
	s_and_b32 s42, s6, s2
	s_and_b32 s7, vcc_lo, s3
	v_cmp_gt_u32_e64 s6, 3, v28
	v_writelane_b32 v86, s7, 2
	s_and_b32 s51, s5, s2
	v_cmp_eq_u32_e64 s5, 14, v29
	s_and_b32 s4, s4, s3
	s_and_b32 s47, s6, s2
	v_writelane_b32 v86, s4, 3
	v_cmp_gt_u32_e64 s6, 14, v29
	s_and_b32 s4, s5, s3
	v_cmp_eq_u32_e32 vcc_lo, 13, v29
	s_and_b32 s21, s8, s21
	v_writelane_b32 v86, s4, 4
	s_and_b32 s4, s6, s3
	v_cmp_eq_u32_e64 s6, 11, v29
	s_and_b32 s5, vcc_lo, s3
	v_cmp_eq_u32_e32 vcc_lo, 12, v29
	v_writelane_b32 v86, s4, 5
	v_cmp_gt_u32_e64 s4, 13, v29
	v_dual_add_nc_u32 v8, s16, v4 :: v_dual_add_nc_u32 v38, 16, v2
	s_and_b32 s7, vcc_lo, s3
	v_writelane_b32 v86, s5, 6
	s_and_b32 s4, s4, s3
	v_cmp_gt_u32_e64 s5, 12, v29
	v_cmp_eq_u32_e32 vcc_lo, 10, v29
	v_add_nc_u64_e32 v[24:25], s[16:17], v[6:7]
	v_writelane_b32 v86, s4, 7
	v_cmp_gt_u32_e64 s4, 11, v29
	s_and_b32 s5, s5, s3
	v_dual_lshrrev_b32 v31, 1, v42 :: v_dual_lshrrev_b32 v33, 2, v42
	v_writelane_b32 v86, s7, 8
	s_and_b32 s4, s4, s3
	s_and_b32 s7, vcc_lo, s3
	v_cmp_eq_u32_e32 vcc_lo, 8, v29
	v_dual_add_nc_u32 v26, 64, v30 :: v_dual_lshlrev_b32 v32, 9, v31
	v_writelane_b32 v86, s5, 9
	s_and_b32 s5, s6, s3
	s_and_b32 s62, vcc_lo, s3
	v_cmp_eq_u32_e32 vcc_lo, 7, v29
	v_cmp_gt_u32_e64 s6, 9, v29
	v_writelane_b32 v86, s5, 10
	v_cmp_eq_u32_e64 s5, 9, v29
	v_dual_mov_b32 v41, v7 :: v_dual_add_nc_u32 v74, 0x50, v30
	s_and_b32 s9, vcc_lo, s3
	v_writelane_b32 v86, s4, 11
	v_cmp_gt_u32_e64 s4, 10, v29
	s_and_b32 s60, s5, s3
	v_cmp_gt_u32_e64 s5, 7, v29
	v_cmp_eq_u32_e32 vcc_lo, 5, v29
	v_writelane_b32 v86, s7, 12
	s_and_b32 s4, s4, s3
	s_and_b32 s61, s6, s3
	v_cmp_eq_u32_e64 s6, 6, v29
	s_and_b32 s20, s5, s3
	v_writelane_b32 v86, s4, 13
	v_cmp_gt_u32_e64 s4, 8, v29
	v_cmp_eq_u32_e64 s5, 4, v29
	s_and_b32 s26, vcc_lo, s3
	v_cmp_eq_u32_e32 vcc_lo, 3, v29
	s_and_b32 s22, s6, s3
	s_and_b32 s63, s4, s3
	v_cmp_gt_u32_e64 s4, 6, v29
	v_cmp_gt_u32_e64 s6, 4, v29
	s_and_b32 s98, s5, s3
	s_and_b32 s52, vcc_lo, s3
	v_cmp_eq_u32_e32 vcc_lo, 2, v29
	s_and_b32 s24, s4, s3
	v_cmp_gt_u32_e64 s4, 5, v29
	v_cmp_gt_u32_e64 s5, 2, v29
	s_and_b32 s102, s6, s3
	v_cmp_eq_u32_e64 s6, 1, v29
	v_cmp_eq_u32_e64 s7, 0, v29
	s_and_b32 s28, s4, s3
	v_cmp_gt_u32_e64 s4, 3, v29
	s_and_b32 s54, vcc_lo, s3
	s_and_b32 s19, s5, s3
	s_xor_b32 s5, s21, -1
	v_cmp_le_i32_e32 vcc_lo, s29, v2
	s_and_b32 s53, s4, s3
	v_cmp_eq_u32_e64 s4, 0, v2
	s_and_b32 s23, s6, s3
	s_and_b32 s7, s7, s3
	v_cmp_le_i32_e64 s6, s29, v36
	s_add_nc_u64 s[74:75], s[74:75], s[10:11]
	s_and_b32 s25, s4, s5
	s_cmp_gt_i32 s99, 0
	v_cmp_le_i32_e64 s5, s29, v38
	s_cselect_b32 s27, -1, 0
	s_or_b32 s16, vcc_lo, s8
	v_cmp_le_i32_e32 vcc_lo, s29, v40
	v_add_nc_u32_e32 v75, 0x60, v30
	s_or_b32 s17, s5, s8
	v_cmp_gt_i32_e64 s5, s86, v8
	v_dual_lshlrev_b32 v60, 3, v1 :: v_dual_lshlrev_b32 v64, 3, v28
	s_or_b32 s30, vcc_lo, s8
	v_cmp_gt_i32_e32 vcc_lo, s29, v4
	s_or_b32 s8, s6, s8
	v_cmp_gt_i32_e64 s6, s86, v26
	v_dual_lshlrev_b32 v62, 3, v17 :: v_dual_sub_nc_u32 v63, v60, v32
	s_and_b32 s10, s4, vcc_lo
	v_cmp_gt_i32_e32 vcc_lo, s86, v74
	v_writelane_b32 v86, s10, 14
	s_and_b32 s6, s5, s6
	v_add_nc_u32_e32 v17, 0x70, v30
                                        ; implicit-def: $vgpr85 : SGPR spill to VGPR lane
	v_dual_ashrrev_i32 v27, 31, v26 :: v_dual_lshrrev_b32 v34, 10, v0
	v_writelane_b32 v86, s6, 15
	s_and_b32 s6, s5, vcc_lo
	v_cmp_gt_i32_e32 vcc_lo, s86, v75
	v_ashrrev_i32_e32 v9, 31, v8
	v_mul_u64_e32 v[10:11], s[68:69], v[26:27]
	v_writelane_b32 v86, s6, 16
	v_dual_sub_nc_u32 v5, 0, v32 :: v_dual_lshlrev_b32 v3, 6, v42
	s_and_b32 s6, s5, vcc_lo
	v_cmp_gt_i32_e32 vcc_lo, s86, v17
	v_writelane_b32 v86, s6, 17
	v_dual_lshlrev_b32 v27, 9, v33 :: v_dual_lshrrev_b32 v43, 5, v42
	v_dual_lshrrev_b32 v35, 4, v42 :: v_dual_lshlrev_b32 v46, 3, v4
	s_and_b32 s6, s5, vcc_lo
	s_delay_alu instid0(VALU_DEP_2)
	v_sub_nc_u32_e32 v47, 0, v27
	v_writelane_b32 v86, s6, 18
	v_cmp_le_u32_e64 s6, v2, v4
	v_and_b32_e32 v44, 0xfffffe00, v3
	v_lshlrev_b32_e32 v73, 9, v43
	v_dual_mov_b32 v39, v7 :: v_dual_add_nc_u32 v56, 0x8000, v46
	s_delay_alu instid0(VALU_DEP_4) | instskip(SKIP_1) | instid1(VALU_DEP_3)
	v_writelane_b32 v86, s6, 19
	s_or_b32 s6, s16, s6
	v_dual_sub_nc_u32 v49, 0, v44 :: v_dual_sub_nc_u32 v52, 0, v73
	v_mov_b32_e32 v3, v7
	v_writelane_b32 v86, s6, 20
	v_cmp_le_u32_e64 s6, v38, v4
	v_dual_mov_b32 v37, v7 :: v_dual_bitop2_b32 v79, v38, v4 bitop3:0x54
	v_dual_lshlrev_b32 v45, 9, v35 :: v_dual_bitop2_b32 v48, 31, v0 bitop3:0x40
	s_delay_alu instid0(VALU_DEP_3)
	v_writelane_b32 v86, s6, 21
	s_or_b32 s6, s17, s6
	v_mul_u64_e32 v[12:13], s[78:79], v[8:9]
	v_mul_u64_e32 v[14:15], s[68:69], v[2:3]
	;; [unrolled: 1-line block ×3, first 2 shown]
	v_writelane_b32 v86, s6, 22
	v_cmp_le_u32_e64 s6, v40, v4
	v_mul_u64_e32 v[20:21], s[68:69], v[40:41]
	v_mul_u64_e32 v[22:23], s[68:69], v[36:37]
	v_bitop3_b32 v39, v0, v34, 0x3ff bitop3:0xa8
	v_mul_u64_e32 v[0:1], s[78:79], v[24:25]
	v_writelane_b32 v86, s6, 23
	s_or_b32 s6, s30, s6
                                        ; implicit-def: $vgpr84 : SGPR spill to VGPR lane
	v_lshl_add_u32 v54, v2, 3, 0xa000
	v_or_b32_e32 v80, v40, v4
	v_and_b32_e32 v68, 0x1fff8, v42
	v_writelane_b32 v86, s6, 24
	v_cmp_le_u32_e64 s6, v36, v4
	v_dual_add_nc_u32 v58, v54, v46 :: v_dual_sub_nc_u32 v50, 0, v45
	v_lshlrev_b32_e32 v51, 3, v48
	v_dual_lshlrev_b32 v16, 3, v4 :: v_dual_bitop2_b32 v37, v36, v4 bitop3:0x54
	s_delay_alu instid0(VALU_DEP_4)
	v_writelane_b32 v86, s6, 25
	s_or_b32 s6, s8, s6
	v_cmp_gt_u32_e64 s8, 0xf0, v42
	v_dual_lshlrev_b32 v66, 3, v29 :: v_dual_sub_nc_u32 v67, v62, v27
	v_writelane_b32 v86, s6, 26
	v_mov_b64_e32 v[24:25], 0
	v_mov_b64_e32 v[26:27], 1.0
	v_cmp_lt_u32_e32 vcc_lo, 0x3ff, v42
	v_lshl_add_u32 v53, v6, 3, 0xa000
	v_writelane_b32 v86, s8, 27
	v_cmp_gt_u32_e64 s8, 0xe0, v42
	v_lshl_add_u32 v55, v42, 3, 0x8000
	v_lshl_add_u32 v57, v2, 9, v46
	v_lshl_add_u32 v3, v38, 9, v46
	v_lshl_add_u32 v59, v40, 9, v46
	v_writelane_b32 v86, s8, 28
	v_cmp_gt_u32_e64 s8, 0xd0, v42
	s_add_nc_u64 s[66:67], s[64:65], s[12:13]
	v_lshl_add_u32 v61, v31, 3, 0x8000
	v_lshl_add_u32 v65, v33, 3, 0x8000
	v_dual_mov_b32 v17, v7 :: v_dual_add_nc_u32 v68, 0x8000, v68
	v_writelane_b32 v86, s8, 29
	v_cmp_gt_u32_e64 s8, 0xc0, v42
	v_dual_sub_nc_u32 v69, v64, v44 :: v_dual_sub_nc_u32 v71, v66, v45
	v_lshl_add_u32 v70, v35, 3, 0x8000
	v_lshl_add_u32 v72, v43, 3, 0x8000
	s_delay_alu instid0(VALU_DEP_4)
	v_writelane_b32 v86, s8, 30
	v_cmp_gt_u32_e64 s8, 0xb0, v42
	v_sub_nc_u32_e32 v73, v51, v73
	s_add_co_i32 s64, s18, 1
	v_lshl_add_u32 v74, v36, 9, v46
	v_or_b32_e32 v75, 0x3800, v51
	v_writelane_b32 v86, s8, 31
	v_cmp_gt_u32_e64 s8, 0xa0, v42
	v_subrev_nc_u32_e32 v76, 31, v48
	v_add_nc_u32_e32 v77, 0x7800, v46
	s_lshl_b64 s[76:77], s[14:15], 3
	v_subrev_nc_u32_e32 v78, 63, v4
	v_writelane_b32 v85, s8, 0
	v_cmp_gt_u32_e64 s8, 0x90, v42
	v_cmp_eq_u32_e64 s10, 0, v39
	v_cmp_gt_u32_e64 s11, 2, v42
	v_cmp_gt_u32_e64 s12, 12, v42
	;; [unrolled: 1-line block ×3, first 2 shown]
	v_writelane_b32 v85, s8, 1
	v_cmp_gt_u32_e64 s8, 0x80, v42
	v_cmp_gt_u32_e64 s14, 56, v42
	;; [unrolled: 1-line block ×5, first 2 shown]
	v_writelane_b32 v85, s8, 2
	v_cmp_gt_u32_e64 s8, 0x70, v42
	v_cmp_gt_u32_e64 s18, 24, v42
	;; [unrolled: 1-line block ×3, first 2 shown]
	v_cmp_eq_u32_e64 s55, 0, v6
	v_cmp_gt_u32_e64 s56, 64, v6
	v_writelane_b32 v85, s8, 3
	v_cmp_gt_u32_e64 s8, 0x60, v42
	s_xor_b32 s6, vcc_lo, -1
	s_lshl_b64 s[88:89], s[68:69], 7
	s_lshl_b64 s[90:91], s[68:69], 8
	s_mul_u64 s[92:93], s[68:69], 0x180
	v_writelane_b32 v85, s8, 4
	v_cmp_gt_u32_e64 s8, 0x50, v42
                                        ; implicit-def: $vgpr28_vgpr29
                                        ; implicit-def: $vgpr30_vgpr31
                                        ; implicit-def: $vgpr32_vgpr33
                                        ; implicit-def: $vgpr34_vgpr35
	s_delay_alu instid0(VALU_DEP_1) | instskip(SKIP_1) | instid1(VALU_DEP_1)
	v_writelane_b32 v85, s8, 5
	v_cmp_gt_u32_e64 s8, 0x3e0, v42
	v_writelane_b32 v85, s8, 6
	v_cmp_gt_u32_e64 s8, 0x3c0, v42
	s_delay_alu instid0(VALU_DEP_1) | instskip(SKIP_1) | instid1(VALU_DEP_1)
	v_writelane_b32 v85, s8, 7
	v_cmp_gt_u32_e64 s8, 0x3a0, v42
	v_writelane_b32 v85, s8, 8
	v_cmp_gt_u32_e64 s8, 0x380, v42
	;; [unrolled: 5-line block ×11, first 2 shown]
	s_delay_alu instid0(VALU_DEP_1) | instskip(SKIP_1) | instid1(VALU_DEP_1)
	v_writelane_b32 v85, s8, 27
	v_cmp_gt_u32_e64 s8, 0x120, v42
	v_writelane_b32 v85, s8, 28
	v_cmp_le_u32_e64 s8, v4, v2
	s_delay_alu instid0(VALU_DEP_1) | instskip(SKIP_1) | instid1(VALU_DEP_1)
	v_writelane_b32 v85, s8, 29
	v_cmp_le_u32_e64 s8, v4, v38
	v_writelane_b32 v85, s8, 30
	v_cmp_le_u32_e64 s8, v4, v40
	s_delay_alu instid0(VALU_DEP_1) | instskip(SKIP_1) | instid1(VALU_DEP_1)
	v_writelane_b32 v85, s8, 31
	v_cmp_le_u32_e64 s8, v4, v36
	v_writelane_b32 v84, s8, 0
	v_cmp_gt_u32_e64 s8, 64, v39
	s_delay_alu instid0(VALU_DEP_1) | instskip(SKIP_1) | instid1(VALU_DEP_1)
	v_writelane_b32 v84, s8, 1
	v_cmp_gt_u32_e64 s8, 64, v79
	v_writelane_b32 v84, s8, 2
	v_cmp_gt_u32_e64 s8, 64, v80
	s_delay_alu instid0(VALU_DEP_1) | instskip(SKIP_1) | instid1(VALU_DEP_1)
	v_writelane_b32 v84, s8, 3
	v_cmp_gt_u32_e64 s8, 64, v37
	v_writelane_b32 v84, s8, 4
	s_branch .LBB25_3
.LBB25_2:                               ;   in Loop: Header=BB25_3 Depth=1
	s_wait_xcnt 0x0
	s_or_b32 exec_lo, exec_lo, s8
	v_readlane_b32 s8, v86, 0
	s_add_co_i32 s84, s84, 0x10000
	global_wb scope:SCOPE_DEV
	s_wait_storecnt 0x0
	global_inv scope:SCOPE_DEV
	s_cmp_lt_u32 s84, s8
	s_cbranch_scc0 .LBB25_1055
.LBB25_3:                               ; =>This Loop Header: Depth=1
                                        ;     Child Loop BB25_518 Depth 2
                                        ;     Child Loop BB25_935 Depth 2
                                        ;       Child Loop BB25_937 Depth 3
                                        ;     Child Loop BB25_975 Depth 2
	global_load_b64 v[36:37], v7, s[72:73]
	v_readlane_b32 s8, v86, 1
	s_mul_u64 s[94:95], s[70:71], s[84:85]
	s_delay_alu instid0(SALU_CYCLE_1)
	s_lshl_b64 s[94:95], s[94:95], 3
	s_and_not1_b32 vcc_lo, exec_lo, s8
	s_add_nc_u64 s[94:95], s[66:67], s[94:95]
	s_cbranch_vccnz .LBB25_13
; %bb.4:                                ;   in Loop: Header=BB25_3 Depth=1
	v_lshl_add_u64 v[32:33], v[10:11], 3, s[94:95]
	v_mov_b64_e32 v[30:31], 0
	v_mov_b64_e32 v[28:29], 0
	s_wait_loadcnt 0x0
	s_barrier_signal -1
	v_lshl_add_u64 v[38:39], v[8:9], 3, v[32:33]
	s_barrier_wait -1
	s_wait_xcnt 0x0
	s_mov_b32 s8, exec_lo
	v_readlane_b32 s29, v86, 15
	s_and_b32 s29, s8, s29
	s_delay_alu instid0(SALU_CYCLE_1)
	s_mov_b32 exec_lo, s29
	s_cbranch_execz .LBB25_6
; %bb.5:                                ;   in Loop: Header=BB25_3 Depth=1
	global_load_b64 v[28:29], v[38:39], off
.LBB25_6:                               ;   in Loop: Header=BB25_3 Depth=1
	s_wait_xcnt 0x0
	s_or_b32 exec_lo, exec_lo, s8
	s_wait_loadcnt 0x0
	s_barrier_signal -1
	s_barrier_wait -1
	s_mov_b32 s8, exec_lo
	v_readlane_b32 s29, v86, 16
	s_and_b32 s29, s8, s29
	s_delay_alu instid0(SALU_CYCLE_1)
	s_mov_b32 exec_lo, s29
	s_cbranch_execz .LBB25_8
; %bb.7:                                ;   in Loop: Header=BB25_3 Depth=1
	v_add_nc_u64_e32 v[30:31], s[88:89], v[38:39]
	global_load_b64 v[30:31], v[30:31], off
.LBB25_8:                               ;   in Loop: Header=BB25_3 Depth=1
	s_wait_xcnt 0x0
	s_or_b32 exec_lo, exec_lo, s8
	v_mov_b64_e32 v[34:35], 0
	v_mov_b64_e32 v[32:33], 0
	s_wait_loadcnt 0x0
	s_barrier_signal -1
	s_barrier_wait -1
	s_mov_b32 s8, exec_lo
	v_readlane_b32 s29, v86, 17
	s_and_b32 s29, s8, s29
	s_delay_alu instid0(SALU_CYCLE_1)
	s_mov_b32 exec_lo, s29
	s_cbranch_execz .LBB25_10
; %bb.9:                                ;   in Loop: Header=BB25_3 Depth=1
	v_add_nc_u64_e32 v[32:33], s[90:91], v[38:39]
	global_load_b64 v[32:33], v[32:33], off
.LBB25_10:                              ;   in Loop: Header=BB25_3 Depth=1
	s_wait_xcnt 0x0
	s_or_b32 exec_lo, exec_lo, s8
	s_wait_loadcnt 0x0
	s_barrier_signal -1
	s_barrier_wait -1
	s_mov_b32 s8, exec_lo
	v_readlane_b32 s29, v86, 18
	s_and_b32 s29, s8, s29
	s_delay_alu instid0(SALU_CYCLE_1)
	s_mov_b32 exec_lo, s29
	s_cbranch_execz .LBB25_12
; %bb.11:                               ;   in Loop: Header=BB25_3 Depth=1
	v_add_nc_u64_e32 v[34:35], s[92:93], v[38:39]
	global_load_b64 v[34:35], v[34:35], off
.LBB25_12:                              ;   in Loop: Header=BB25_3 Depth=1
	s_wait_xcnt 0x0
	s_or_b32 exec_lo, exec_lo, s8
.LBB25_13:                              ;   in Loop: Header=BB25_3 Depth=1
	s_add_nc_u64 s[96:97], s[94:95], s[76:77]
	s_and_not1_b32 vcc_lo, exec_lo, s101
	v_add_nc_u64_e32 v[38:39], s[96:97], v[16:17]
	s_mov_b32 s8, -1
	s_cbranch_vccnz .LBB25_37
; %bb.14:                               ;   in Loop: Header=BB25_3 Depth=1
	s_mov_b32 s8, 0
	s_wait_xcnt 0x0
	s_mov_b32 s29, exec_lo
	v_readlane_b32 s57, v86, 19
	s_and_b32 s57, s29, s57
	s_delay_alu instid0(SALU_CYCLE_1)
	s_xor_b32 s29, s57, s29
	s_mov_b32 exec_lo, s57
	s_cbranch_execnz .LBB25_997
; %bb.15:                               ;   in Loop: Header=BB25_3 Depth=1
	s_or_saveexec_b32 s29, s29
	v_mov_b64_e32 v[40:41], 0
	s_xor_b32 exec_lo, exec_lo, s29
	s_cbranch_execnz .LBB25_998
.LBB25_16:                              ;   in Loop: Header=BB25_3 Depth=1
	s_or_b32 exec_lo, exec_lo, s29
	s_and_saveexec_b32 s29, s8
.LBB25_17:                              ;   in Loop: Header=BB25_3 Depth=1
	ds_store_b64 v57, v[40:41]
.LBB25_18:                              ;   in Loop: Header=BB25_3 Depth=1
	s_or_b32 exec_lo, exec_lo, s29
	s_delay_alu instid0(SALU_CYCLE_1) | instskip(SKIP_2) | instid1(SALU_CYCLE_1)
	s_mov_b32 s8, exec_lo
	v_readlane_b32 s29, v86, 21
	s_and_b32 s29, s8, s29
	s_xor_b32 s8, s29, s8
	s_mov_b32 exec_lo, s29
	s_cbranch_execz .LBB25_22
; %bb.19:                               ;   in Loop: Header=BB25_3 Depth=1
	s_mov_b32 s29, exec_lo
	v_readlane_b32 s57, v84, 2
	s_and_b32 s57, s29, s57
	s_delay_alu instid0(SALU_CYCLE_1)
	s_mov_b32 exec_lo, s57
; %bb.20:                               ;   in Loop: Header=BB25_3 Depth=1
	ds_store_b64 v3, v[24:25]
; %bb.21:                               ;   in Loop: Header=BB25_3 Depth=1
	s_or_b32 exec_lo, exec_lo, s29
.LBB25_22:                              ;   in Loop: Header=BB25_3 Depth=1
	s_and_not1_saveexec_b32 s8, s8
	s_cbranch_execz .LBB25_24
; %bb.23:                               ;   in Loop: Header=BB25_3 Depth=1
	v_lshl_add_u64 v[40:41], v[18:19], 3, v[38:39]
	global_load_b64 v[40:41], v[40:41], off
	s_wait_loadcnt 0x0
	v_xor_b32_e32 v41, 0x80000000, v41
	ds_store_b64 v3, v[40:41]
.LBB25_24:                              ;   in Loop: Header=BB25_3 Depth=1
	s_or_b32 exec_lo, exec_lo, s8
	s_delay_alu instid0(SALU_CYCLE_1) | instskip(SKIP_2) | instid1(SALU_CYCLE_1)
	s_mov_b32 s8, exec_lo
	v_readlane_b32 s29, v86, 23
	s_and_b32 s29, s8, s29
	s_xor_b32 s8, s29, s8
	s_mov_b32 exec_lo, s29
	s_cbranch_execz .LBB25_28
; %bb.25:                               ;   in Loop: Header=BB25_3 Depth=1
	s_mov_b32 s29, exec_lo
	v_readlane_b32 s57, v84, 3
	s_and_b32 s57, s29, s57
	s_delay_alu instid0(SALU_CYCLE_1)
	s_mov_b32 exec_lo, s57
; %bb.26:                               ;   in Loop: Header=BB25_3 Depth=1
	ds_store_b64 v59, v[24:25]
; %bb.27:                               ;   in Loop: Header=BB25_3 Depth=1
	s_or_b32 exec_lo, exec_lo, s29
.LBB25_28:                              ;   in Loop: Header=BB25_3 Depth=1
	s_and_not1_saveexec_b32 s8, s8
	s_cbranch_execz .LBB25_30
; %bb.29:                               ;   in Loop: Header=BB25_3 Depth=1
	v_lshl_add_u64 v[40:41], v[20:21], 3, v[38:39]
	global_load_b64 v[40:41], v[40:41], off
	s_wait_loadcnt 0x0
	v_xor_b32_e32 v41, 0x80000000, v41
	ds_store_b64 v59, v[40:41]
.LBB25_30:                              ;   in Loop: Header=BB25_3 Depth=1
	;; [unrolled: 28-line block ×3, first 2 shown]
	s_or_b32 exec_lo, exec_lo, s8
	s_mov_b32 s8, 0
.LBB25_37:                              ;   in Loop: Header=BB25_3 Depth=1
	s_delay_alu instid0(SALU_CYCLE_1)
	s_and_b32 vcc_lo, exec_lo, s8
	s_cbranch_vccz .LBB25_61
; %bb.38:                               ;   in Loop: Header=BB25_3 Depth=1
	s_mov_b32 s8, 0
	s_wait_xcnt 0x0
	s_mov_b32 s29, exec_lo
	v_readlane_b32 s57, v86, 20
	s_and_b32 s57, s29, s57
	s_delay_alu instid0(SALU_CYCLE_1)
	s_xor_b32 s29, s57, s29
	s_mov_b32 exec_lo, s57
	s_cbranch_execnz .LBB25_999
; %bb.39:                               ;   in Loop: Header=BB25_3 Depth=1
	s_or_saveexec_b32 s29, s29
	v_mov_b64_e32 v[40:41], 0
	s_xor_b32 exec_lo, exec_lo, s29
	s_cbranch_execnz .LBB25_1000
.LBB25_40:                              ;   in Loop: Header=BB25_3 Depth=1
	s_or_b32 exec_lo, exec_lo, s29
	s_and_saveexec_b32 s29, s8
.LBB25_41:                              ;   in Loop: Header=BB25_3 Depth=1
	ds_store_b64 v57, v[40:41]
.LBB25_42:                              ;   in Loop: Header=BB25_3 Depth=1
	s_or_b32 exec_lo, exec_lo, s29
	s_delay_alu instid0(SALU_CYCLE_1) | instskip(SKIP_2) | instid1(SALU_CYCLE_1)
	s_mov_b32 s8, exec_lo
	v_readlane_b32 s29, v86, 22
	s_and_b32 s29, s8, s29
	s_xor_b32 s8, s29, s8
	s_mov_b32 exec_lo, s29
	s_cbranch_execz .LBB25_46
; %bb.43:                               ;   in Loop: Header=BB25_3 Depth=1
	s_mov_b32 s29, exec_lo
	v_readlane_b32 s57, v84, 2
	s_and_b32 s57, s29, s57
	s_delay_alu instid0(SALU_CYCLE_1)
	s_mov_b32 exec_lo, s57
; %bb.44:                               ;   in Loop: Header=BB25_3 Depth=1
	ds_store_b64 v3, v[24:25]
; %bb.45:                               ;   in Loop: Header=BB25_3 Depth=1
	s_or_b32 exec_lo, exec_lo, s29
.LBB25_46:                              ;   in Loop: Header=BB25_3 Depth=1
	s_and_not1_saveexec_b32 s8, s8
	s_cbranch_execz .LBB25_48
; %bb.47:                               ;   in Loop: Header=BB25_3 Depth=1
	v_lshl_add_u64 v[40:41], v[18:19], 3, v[38:39]
	global_load_b64 v[40:41], v[40:41], off
	s_wait_loadcnt 0x0
	v_xor_b32_e32 v41, 0x80000000, v41
	ds_store_b64 v3, v[40:41]
.LBB25_48:                              ;   in Loop: Header=BB25_3 Depth=1
	s_or_b32 exec_lo, exec_lo, s8
	s_delay_alu instid0(SALU_CYCLE_1) | instskip(SKIP_2) | instid1(SALU_CYCLE_1)
	s_mov_b32 s8, exec_lo
	v_readlane_b32 s29, v86, 24
	s_and_b32 s29, s8, s29
	s_xor_b32 s8, s29, s8
	s_mov_b32 exec_lo, s29
	s_cbranch_execz .LBB25_52
; %bb.49:                               ;   in Loop: Header=BB25_3 Depth=1
	s_mov_b32 s29, exec_lo
	v_readlane_b32 s57, v84, 3
	s_and_b32 s57, s29, s57
	s_delay_alu instid0(SALU_CYCLE_1)
	s_mov_b32 exec_lo, s57
; %bb.50:                               ;   in Loop: Header=BB25_3 Depth=1
	ds_store_b64 v59, v[24:25]
; %bb.51:                               ;   in Loop: Header=BB25_3 Depth=1
	s_or_b32 exec_lo, exec_lo, s29
.LBB25_52:                              ;   in Loop: Header=BB25_3 Depth=1
	s_and_not1_saveexec_b32 s8, s8
	s_cbranch_execz .LBB25_54
; %bb.53:                               ;   in Loop: Header=BB25_3 Depth=1
	v_lshl_add_u64 v[40:41], v[20:21], 3, v[38:39]
	global_load_b64 v[40:41], v[40:41], off
	s_wait_loadcnt 0x0
	v_xor_b32_e32 v41, 0x80000000, v41
	ds_store_b64 v59, v[40:41]
.LBB25_54:                              ;   in Loop: Header=BB25_3 Depth=1
	s_or_b32 exec_lo, exec_lo, s8
	s_delay_alu instid0(SALU_CYCLE_1) | instskip(SKIP_2) | instid1(SALU_CYCLE_1)
	s_mov_b32 s8, exec_lo
	v_readlane_b32 s29, v86, 26
	s_and_b32 s29, s8, s29
	s_xor_b32 s8, s29, s8
	s_mov_b32 exec_lo, s29
	s_cbranch_execz .LBB25_58
; %bb.55:                               ;   in Loop: Header=BB25_3 Depth=1
	s_mov_b32 s29, exec_lo
	v_readlane_b32 s57, v84, 4
	s_and_b32 s57, s29, s57
	s_delay_alu instid0(SALU_CYCLE_1)
	s_mov_b32 exec_lo, s57
; %bb.56:                               ;   in Loop: Header=BB25_3 Depth=1
	ds_store_b64 v74, v[24:25]
; %bb.57:                               ;   in Loop: Header=BB25_3 Depth=1
	s_or_b32 exec_lo, exec_lo, s29
                                        ; implicit-def: $vgpr38_vgpr39
.LBB25_58:                              ;   in Loop: Header=BB25_3 Depth=1
	s_and_not1_saveexec_b32 s8, s8
	s_cbranch_execz .LBB25_60
; %bb.59:                               ;   in Loop: Header=BB25_3 Depth=1
	v_lshl_add_u64 v[38:39], v[22:23], 3, v[38:39]
	global_load_b64 v[38:39], v[38:39], off
	s_wait_loadcnt 0x0
	v_xor_b32_e32 v39, 0x80000000, v39
	ds_store_b64 v74, v[38:39]
.LBB25_60:                              ;   in Loop: Header=BB25_3 Depth=1
	s_or_b32 exec_lo, exec_lo, s8
.LBB25_61:                              ;   in Loop: Header=BB25_3 Depth=1
	s_delay_alu instid0(SALU_CYCLE_1)
	s_and_not1_b32 vcc_lo, exec_lo, s103
	s_wait_loadcnt_dscnt 0x0
	s_barrier_signal -1
	s_barrier_wait -1
	s_cbranch_vccnz .LBB25_929
; %bb.62:                               ;   in Loop: Header=BB25_3 Depth=1
	s_and_saveexec_b32 s8, s10
; %bb.63:                               ;   in Loop: Header=BB25_3 Depth=1
	v_add_nc_u32_e64 v38, 0x7800, 0
	ds_store_2addr_b64 v38, v[26:27], v[26:27] offset0:190 offset1:255
; %bb.64:                               ;   in Loop: Header=BB25_3 Depth=1
	s_or_b32 exec_lo, exec_lo, s8
	v_mov_b64_e32 v[38:39], 0
	s_wait_dscnt 0x0
	s_barrier_signal -1
	s_barrier_wait -1
	global_wb scope:SCOPE_DEV
	s_wait_storecnt 0x0
	global_inv scope:SCOPE_DEV
	s_and_saveexec_b32 s8, s0
	s_cbranch_execz .LBB25_68
; %bb.65:                               ;   in Loop: Header=BB25_3 Depth=1
	ds_load_b64 v[38:39], v60 offset:32224
	ds_load_b64 v[40:41], v5 offset:32752
	s_wait_dscnt 0x0
	v_fma_f64 v[38:39], v[38:39], v[40:41], 0
	s_and_saveexec_b32 s29, s11
	s_cbranch_execz .LBB25_67
; %bb.66:                               ;   in Loop: Header=BB25_3 Depth=1
	ds_load_b64 v[40:41], v46 offset:32736
	ds_load_b64 v[42:43], v7 offset:32760
	s_wait_dscnt 0x0
	v_fmac_f64_e32 v[38:39], v[40:41], v[42:43]
.LBB25_67:                              ;   in Loop: Header=BB25_3 Depth=1
	s_or_b32 exec_lo, exec_lo, s29
.LBB25_68:                              ;   in Loop: Header=BB25_3 Depth=1
	s_delay_alu instid0(SALU_CYCLE_1)
	s_or_b32 exec_lo, exec_lo, s8
	s_and_saveexec_b32 s8, s104
; %bb.69:                               ;   in Loop: Header=BB25_3 Depth=1
	s_delay_alu instid0(VALU_DEP_1) | instskip(NEXT) | instid1(VALU_DEP_2)
	v_xor_b32_e32 v41, 0x80000000, v39
	v_mov_b32_e32 v40, v38
	ds_store_b64 v61, v[40:41]
; %bb.70:                               ;   in Loop: Header=BB25_3 Depth=1
	s_or_b32 exec_lo, exec_lo, s8
	s_wait_loadcnt_dscnt 0x0
	s_barrier_signal -1
	s_barrier_wait -1
	s_and_saveexec_b32 s8, vcc_hi
	s_cbranch_execz .LBB25_72
; %bb.71:                               ;   in Loop: Header=BB25_3 Depth=1
	ds_load_b64 v[40:41], v7 offset:31712
	ds_load_b64 v[42:43], v61
	s_wait_dscnt 0x0
	v_fma_f64 v[38:39], -v[40:41], v[42:43], v[38:39]
.LBB25_72:                              ;   in Loop: Header=BB25_3 Depth=1
	s_or_b32 exec_lo, exec_lo, s8
	s_barrier_signal -1
	s_barrier_wait -1
	s_and_saveexec_b32 s8, vcc_hi
; %bb.73:                               ;   in Loop: Header=BB25_3 Depth=1
	s_delay_alu instid0(VALU_DEP_1) | instskip(NEXT) | instid1(VALU_DEP_2)
	v_xor_b32_e32 v41, 0x80000000, v39
	v_mov_b32_e32 v40, v38
	ds_store_b64 v61, v[40:41]
; %bb.74:                               ;   in Loop: Header=BB25_3 Depth=1
	s_or_b32 exec_lo, exec_lo, s8
	s_wait_dscnt 0x0
	s_barrier_signal -1
	s_barrier_wait -1
	s_barrier_signal -1
	s_barrier_wait -1
	s_and_saveexec_b32 s8, s0
; %bb.75:                               ;   in Loop: Header=BB25_3 Depth=1
	ds_store_b64 v63, v[38:39] offset:32736
; %bb.76:                               ;   in Loop: Header=BB25_3 Depth=1
	s_or_b32 exec_lo, exec_lo, s8
	s_wait_dscnt 0x0
	s_barrier_signal -1
	s_barrier_wait -1
	s_barrier_signal -1
	s_barrier_wait -1
	s_and_saveexec_b32 s8, s10
; %bb.77:                               ;   in Loop: Header=BB25_3 Depth=1
	v_add_nc_u32_e64 v38, 0x7800, 0
	ds_store_2addr_b64 v38, v[26:27], v[26:27] offset0:60 offset1:125
; %bb.78:                               ;   in Loop: Header=BB25_3 Depth=1
	s_or_b32 exec_lo, exec_lo, s8
	v_mov_b64_e32 v[38:39], 0
	s_wait_dscnt 0x0
	s_barrier_signal -1
	s_barrier_wait -1
	global_wb scope:SCOPE_DEV
	s_wait_storecnt 0x0
	global_inv scope:SCOPE_DEV
	s_and_saveexec_b32 s8, s1
	s_cbranch_execz .LBB25_84
; %bb.79:                               ;   in Loop: Header=BB25_3 Depth=1
	ds_load_b64 v[38:39], v62 offset:31168
	ds_load_b64 v[40:41], v47 offset:32736
	s_wait_dscnt 0x0
	v_fma_f64 v[38:39], v[38:39], v[40:41], 0
	s_and_saveexec_b32 s29, s12
	s_cbranch_execnz .LBB25_1005
; %bb.80:                               ;   in Loop: Header=BB25_3 Depth=1
	s_or_b32 exec_lo, exec_lo, s29
	s_and_saveexec_b32 s29, s13
	s_cbranch_execnz .LBB25_1006
.LBB25_81:                              ;   in Loop: Header=BB25_3 Depth=1
	s_or_b32 exec_lo, exec_lo, s29
	s_and_saveexec_b32 s29, s0
	s_cbranch_execz .LBB25_83
.LBB25_82:                              ;   in Loop: Header=BB25_3 Depth=1
	ds_load_b64 v[40:41], v46 offset:32704
	ds_load_b64 v[42:43], v7 offset:32760
	s_wait_dscnt 0x0
	v_fmac_f64_e32 v[38:39], v[40:41], v[42:43]
.LBB25_83:                              ;   in Loop: Header=BB25_3 Depth=1
	s_or_b32 exec_lo, exec_lo, s29
.LBB25_84:                              ;   in Loop: Header=BB25_3 Depth=1
	s_delay_alu instid0(SALU_CYCLE_1)
	s_or_b32 exec_lo, exec_lo, s8
	s_and_saveexec_b32 s8, s31
; %bb.85:                               ;   in Loop: Header=BB25_3 Depth=1
	s_delay_alu instid0(VALU_DEP_1) | instskip(NEXT) | instid1(VALU_DEP_2)
	v_xor_b32_e32 v41, 0x80000000, v39
	v_mov_b32_e32 v40, v38
	ds_store_b64 v65, v[40:41]
; %bb.86:                               ;   in Loop: Header=BB25_3 Depth=1
	s_or_b32 exec_lo, exec_lo, s8
	s_wait_loadcnt_dscnt 0x0
	s_barrier_signal -1
	s_barrier_wait -1
	s_and_saveexec_b32 s8, s33
	s_cbranch_execz .LBB25_88
; %bb.87:                               ;   in Loop: Header=BB25_3 Depth=1
	ds_load_b64 v[40:41], v62 offset:30656
	ds_load_b64 v[42:43], v65
	s_wait_dscnt 0x0
	v_fma_f64 v[38:39], -v[40:41], v[42:43], v[38:39]
.LBB25_88:                              ;   in Loop: Header=BB25_3 Depth=1
	s_or_b32 exec_lo, exec_lo, s8
	s_barrier_signal -1
	s_barrier_wait -1
	s_and_saveexec_b32 s8, s34
; %bb.89:                               ;   in Loop: Header=BB25_3 Depth=1
	s_delay_alu instid0(VALU_DEP_1) | instskip(NEXT) | instid1(VALU_DEP_2)
	v_xor_b32_e32 v41, 0x80000000, v39
	v_mov_b32_e32 v40, v38
	ds_store_b64 v65, v[40:41]
; %bb.90:                               ;   in Loop: Header=BB25_3 Depth=1
	s_or_b32 exec_lo, exec_lo, s8
	s_wait_dscnt 0x0
	s_barrier_signal -1
	s_barrier_wait -1
	s_and_saveexec_b32 s8, s35
	s_cbranch_execz .LBB25_92
; %bb.91:                               ;   in Loop: Header=BB25_3 Depth=1
	ds_load_b64 v[40:41], v62 offset:30144
	ds_load_b64 v[42:43], v65
	s_wait_dscnt 0x0
	v_fma_f64 v[38:39], -v[40:41], v[42:43], v[38:39]
.LBB25_92:                              ;   in Loop: Header=BB25_3 Depth=1
	s_or_b32 exec_lo, exec_lo, s8
	s_barrier_signal -1
	s_barrier_wait -1
	s_and_saveexec_b32 s8, s36
; %bb.93:                               ;   in Loop: Header=BB25_3 Depth=1
	s_delay_alu instid0(VALU_DEP_1) | instskip(NEXT) | instid1(VALU_DEP_2)
	v_xor_b32_e32 v41, 0x80000000, v39
	v_mov_b32_e32 v40, v38
	ds_store_b64 v65, v[40:41]
; %bb.94:                               ;   in Loop: Header=BB25_3 Depth=1
	s_or_b32 exec_lo, exec_lo, s8
	s_wait_dscnt 0x0
	;; [unrolled: 22-line block ×3, first 2 shown]
	s_barrier_signal -1
	s_barrier_wait -1
	s_barrier_signal -1
	s_barrier_wait -1
	s_and_saveexec_b32 s8, s1
; %bb.99:                               ;   in Loop: Header=BB25_3 Depth=1
	ds_store_b64 v67, v[38:39] offset:32704
; %bb.100:                              ;   in Loop: Header=BB25_3 Depth=1
	s_or_b32 exec_lo, exec_lo, s8
	s_wait_dscnt 0x0
	s_barrier_signal -1
	s_barrier_wait -1
	s_barrier_signal -1
	s_barrier_wait -1
	s_and_saveexec_b32 s8, s10
; %bb.101:                              ;   in Loop: Header=BB25_3 Depth=1
	v_add_nc_u32_e64 v38, 0x7000, 0
	ds_store_2addr_b64 v38, v[26:27], v[26:27] offset0:186 offset1:251
; %bb.102:                              ;   in Loop: Header=BB25_3 Depth=1
	s_or_b32 exec_lo, exec_lo, s8
	v_mov_b64_e32 v[38:39], 0
	s_wait_dscnt 0x0
	s_barrier_signal -1
	s_barrier_wait -1
	global_wb scope:SCOPE_DEV
	s_wait_storecnt 0x0
	global_inv scope:SCOPE_DEV
	s_and_saveexec_b32 s8, s0
	s_cbranch_execz .LBB25_106
; %bb.103:                              ;   in Loop: Header=BB25_3 Depth=1
	ds_load_b64 v[38:39], v60 offset:30144
	ds_load_b64 v[40:41], v5 offset:30672
	s_wait_dscnt 0x0
	v_fma_f64 v[38:39], v[38:39], v[40:41], 0
	s_and_saveexec_b32 s29, s11
	s_cbranch_execz .LBB25_105
; %bb.104:                              ;   in Loop: Header=BB25_3 Depth=1
	ds_load_b64 v[40:41], v46 offset:30656
	ds_load_b64 v[42:43], v7 offset:30680
	s_wait_dscnt 0x0
	v_fmac_f64_e32 v[38:39], v[40:41], v[42:43]
.LBB25_105:                             ;   in Loop: Header=BB25_3 Depth=1
	s_or_b32 exec_lo, exec_lo, s29
.LBB25_106:                             ;   in Loop: Header=BB25_3 Depth=1
	s_delay_alu instid0(SALU_CYCLE_1)
	s_or_b32 exec_lo, exec_lo, s8
	s_and_saveexec_b32 s8, s104
; %bb.107:                              ;   in Loop: Header=BB25_3 Depth=1
	s_delay_alu instid0(VALU_DEP_1) | instskip(NEXT) | instid1(VALU_DEP_2)
	v_xor_b32_e32 v41, 0x80000000, v39
	v_mov_b32_e32 v40, v38
	ds_store_b64 v61, v[40:41]
; %bb.108:                              ;   in Loop: Header=BB25_3 Depth=1
	s_or_b32 exec_lo, exec_lo, s8
	s_wait_loadcnt_dscnt 0x0
	s_barrier_signal -1
	s_barrier_wait -1
	s_and_saveexec_b32 s8, vcc_hi
	s_cbranch_execz .LBB25_110
; %bb.109:                              ;   in Loop: Header=BB25_3 Depth=1
	ds_load_b64 v[40:41], v7 offset:29632
	ds_load_b64 v[42:43], v61
	s_wait_dscnt 0x0
	v_fma_f64 v[38:39], -v[40:41], v[42:43], v[38:39]
.LBB25_110:                             ;   in Loop: Header=BB25_3 Depth=1
	s_or_b32 exec_lo, exec_lo, s8
	s_barrier_signal -1
	s_barrier_wait -1
	s_and_saveexec_b32 s8, vcc_hi
; %bb.111:                              ;   in Loop: Header=BB25_3 Depth=1
	s_delay_alu instid0(VALU_DEP_1) | instskip(NEXT) | instid1(VALU_DEP_2)
	v_xor_b32_e32 v41, 0x80000000, v39
	v_mov_b32_e32 v40, v38
	ds_store_b64 v61, v[40:41]
; %bb.112:                              ;   in Loop: Header=BB25_3 Depth=1
	s_or_b32 exec_lo, exec_lo, s8
	s_wait_dscnt 0x0
	s_barrier_signal -1
	s_barrier_wait -1
	s_barrier_signal -1
	s_barrier_wait -1
	s_and_saveexec_b32 s8, s0
; %bb.113:                              ;   in Loop: Header=BB25_3 Depth=1
	ds_store_b64 v63, v[38:39] offset:30656
; %bb.114:                              ;   in Loop: Header=BB25_3 Depth=1
	s_or_b32 exec_lo, exec_lo, s8
	s_wait_dscnt 0x0
	s_barrier_signal -1
	s_barrier_wait -1
	s_barrier_signal -1
	s_barrier_wait -1
	s_and_saveexec_b32 s8, s10
; %bb.115:                              ;   in Loop: Header=BB25_3 Depth=1
	v_add_nc_u32_e64 v38, 0x7000, 0
	ds_store_2addr_b64 v38, v[26:27], v[26:27] offset0:56 offset1:121
; %bb.116:                              ;   in Loop: Header=BB25_3 Depth=1
	s_or_b32 exec_lo, exec_lo, s8
	v_mov_b64_e32 v[38:39], 0
	s_wait_dscnt 0x0
	s_barrier_signal -1
	s_barrier_wait -1
	global_wb scope:SCOPE_DEV
	s_wait_storecnt 0x0
	global_inv scope:SCOPE_DEV
	s_and_saveexec_b32 s8, s2
	s_cbranch_execz .LBB25_126
; %bb.117:                              ;   in Loop: Header=BB25_3 Depth=1
	ds_load_b64 v[38:39], v64 offset:29056
	ds_load_b64 v[40:41], v49 offset:32704
	s_wait_dscnt 0x0
	v_fma_f64 v[38:39], v[38:39], v[40:41], 0
	s_and_saveexec_b32 s29, s14
	s_cbranch_execnz .LBB25_1007
; %bb.118:                              ;   in Loop: Header=BB25_3 Depth=1
	s_or_b32 exec_lo, exec_lo, s29
	s_and_saveexec_b32 s29, s15
	s_cbranch_execnz .LBB25_1008
.LBB25_119:                             ;   in Loop: Header=BB25_3 Depth=1
	s_or_b32 exec_lo, exec_lo, s29
	s_and_saveexec_b32 s29, s16
	s_cbranch_execnz .LBB25_1009
.LBB25_120:                             ;   in Loop: Header=BB25_3 Depth=1
	s_or_b32 exec_lo, exec_lo, s29
	s_and_saveexec_b32 s29, s17
	s_cbranch_execnz .LBB25_1010
.LBB25_121:                             ;   in Loop: Header=BB25_3 Depth=1
	s_or_b32 exec_lo, exec_lo, s29
	s_and_saveexec_b32 s29, s18
	s_cbranch_execnz .LBB25_1011
.LBB25_122:                             ;   in Loop: Header=BB25_3 Depth=1
	s_or_b32 exec_lo, exec_lo, s29
	s_and_saveexec_b32 s29, s1
	s_cbranch_execnz .LBB25_1012
.LBB25_123:                             ;   in Loop: Header=BB25_3 Depth=1
	s_or_b32 exec_lo, exec_lo, s29
	s_and_saveexec_b32 s29, s13
	s_cbranch_execz .LBB25_125
.LBB25_124:                             ;   in Loop: Header=BB25_3 Depth=1
	ds_load_b64 v[40:41], v46 offset:32640
	ds_load_b64 v[42:43], v7 offset:32760
	s_wait_dscnt 0x0
	v_fmac_f64_e32 v[38:39], v[40:41], v[42:43]
.LBB25_125:                             ;   in Loop: Header=BB25_3 Depth=1
	s_or_b32 exec_lo, exec_lo, s29
.LBB25_126:                             ;   in Loop: Header=BB25_3 Depth=1
	s_delay_alu instid0(SALU_CYCLE_1)
	s_or_b32 exec_lo, exec_lo, s8
	s_and_saveexec_b32 s8, s38
; %bb.127:                              ;   in Loop: Header=BB25_3 Depth=1
	s_delay_alu instid0(VALU_DEP_1) | instskip(NEXT) | instid1(VALU_DEP_2)
	v_xor_b32_e32 v41, 0x80000000, v39
	v_mov_b32_e32 v40, v38
	ds_store_b64 v68, v[40:41]
; %bb.128:                              ;   in Loop: Header=BB25_3 Depth=1
	s_or_b32 exec_lo, exec_lo, s8
	s_wait_loadcnt_dscnt 0x0
	s_barrier_signal -1
	s_barrier_wait -1
	s_and_saveexec_b32 s8, s39
	s_cbranch_execz .LBB25_130
; %bb.129:                              ;   in Loop: Header=BB25_3 Depth=1
	ds_load_b64 v[40:41], v64 offset:28544
	ds_load_b64 v[42:43], v68
	s_wait_dscnt 0x0
	v_fma_f64 v[38:39], -v[40:41], v[42:43], v[38:39]
.LBB25_130:                             ;   in Loop: Header=BB25_3 Depth=1
	s_or_b32 exec_lo, exec_lo, s8
	s_barrier_signal -1
	s_barrier_wait -1
	s_and_saveexec_b32 s8, s40
; %bb.131:                              ;   in Loop: Header=BB25_3 Depth=1
	s_delay_alu instid0(VALU_DEP_1) | instskip(NEXT) | instid1(VALU_DEP_2)
	v_xor_b32_e32 v41, 0x80000000, v39
	v_mov_b32_e32 v40, v38
	ds_store_b64 v68, v[40:41]
; %bb.132:                              ;   in Loop: Header=BB25_3 Depth=1
	s_or_b32 exec_lo, exec_lo, s8
	s_wait_dscnt 0x0
	s_barrier_signal -1
	s_barrier_wait -1
	s_and_saveexec_b32 s8, s41
	s_cbranch_execz .LBB25_134
; %bb.133:                              ;   in Loop: Header=BB25_3 Depth=1
	ds_load_b64 v[40:41], v64 offset:28032
	ds_load_b64 v[42:43], v68
	s_wait_dscnt 0x0
	v_fma_f64 v[38:39], -v[40:41], v[42:43], v[38:39]
.LBB25_134:                             ;   in Loop: Header=BB25_3 Depth=1
	s_or_b32 exec_lo, exec_lo, s8
	s_barrier_signal -1
	s_barrier_wait -1
	s_and_saveexec_b32 s8, s42
; %bb.135:                              ;   in Loop: Header=BB25_3 Depth=1
	s_delay_alu instid0(VALU_DEP_1) | instskip(NEXT) | instid1(VALU_DEP_2)
	v_xor_b32_e32 v41, 0x80000000, v39
	v_mov_b32_e32 v40, v38
	ds_store_b64 v68, v[40:41]
; %bb.136:                              ;   in Loop: Header=BB25_3 Depth=1
	s_or_b32 exec_lo, exec_lo, s8
	s_wait_dscnt 0x0
	;; [unrolled: 22-line block ×7, first 2 shown]
	s_barrier_signal -1
	s_barrier_wait -1
	s_barrier_signal -1
	s_barrier_wait -1
	s_and_saveexec_b32 s8, s2
; %bb.157:                              ;   in Loop: Header=BB25_3 Depth=1
	ds_store_b64 v69, v[38:39] offset:32640
; %bb.158:                              ;   in Loop: Header=BB25_3 Depth=1
	s_or_b32 exec_lo, exec_lo, s8
	s_wait_dscnt 0x0
	s_barrier_signal -1
	s_barrier_wait -1
	s_barrier_signal -1
	s_barrier_wait -1
	s_and_saveexec_b32 s8, s10
; %bb.159:                              ;   in Loop: Header=BB25_3 Depth=1
	v_add_nc_u32_e64 v38, 0x6800, 0
	ds_store_2addr_b64 v38, v[26:27], v[26:27] offset0:182 offset1:247
; %bb.160:                              ;   in Loop: Header=BB25_3 Depth=1
	s_or_b32 exec_lo, exec_lo, s8
	v_mov_b64_e32 v[38:39], 0
	s_wait_dscnt 0x0
	s_barrier_signal -1
	s_barrier_wait -1
	global_wb scope:SCOPE_DEV
	s_wait_storecnt 0x0
	global_inv scope:SCOPE_DEV
	s_and_saveexec_b32 s8, s0
	s_cbranch_execz .LBB25_164
; %bb.161:                              ;   in Loop: Header=BB25_3 Depth=1
	ds_load_b64 v[38:39], v60 offset:28064
	ds_load_b64 v[40:41], v5 offset:28592
	s_wait_dscnt 0x0
	v_fma_f64 v[38:39], v[38:39], v[40:41], 0
	s_and_saveexec_b32 s29, s11
	s_cbranch_execz .LBB25_163
; %bb.162:                              ;   in Loop: Header=BB25_3 Depth=1
	ds_load_b64 v[40:41], v46 offset:28576
	ds_load_b64 v[42:43], v7 offset:28600
	s_wait_dscnt 0x0
	v_fmac_f64_e32 v[38:39], v[40:41], v[42:43]
.LBB25_163:                             ;   in Loop: Header=BB25_3 Depth=1
	s_or_b32 exec_lo, exec_lo, s29
.LBB25_164:                             ;   in Loop: Header=BB25_3 Depth=1
	s_delay_alu instid0(SALU_CYCLE_1)
	s_or_b32 exec_lo, exec_lo, s8
	s_and_saveexec_b32 s8, s104
; %bb.165:                              ;   in Loop: Header=BB25_3 Depth=1
	s_delay_alu instid0(VALU_DEP_1) | instskip(NEXT) | instid1(VALU_DEP_2)
	v_xor_b32_e32 v41, 0x80000000, v39
	v_mov_b32_e32 v40, v38
	ds_store_b64 v61, v[40:41]
; %bb.166:                              ;   in Loop: Header=BB25_3 Depth=1
	s_or_b32 exec_lo, exec_lo, s8
	s_wait_loadcnt_dscnt 0x0
	s_barrier_signal -1
	s_barrier_wait -1
	s_and_saveexec_b32 s8, vcc_hi
	s_cbranch_execz .LBB25_168
; %bb.167:                              ;   in Loop: Header=BB25_3 Depth=1
	ds_load_b64 v[40:41], v7 offset:27552
	ds_load_b64 v[42:43], v61
	s_wait_dscnt 0x0
	v_fma_f64 v[38:39], -v[40:41], v[42:43], v[38:39]
.LBB25_168:                             ;   in Loop: Header=BB25_3 Depth=1
	s_or_b32 exec_lo, exec_lo, s8
	s_barrier_signal -1
	s_barrier_wait -1
	s_and_saveexec_b32 s8, vcc_hi
; %bb.169:                              ;   in Loop: Header=BB25_3 Depth=1
	s_delay_alu instid0(VALU_DEP_1) | instskip(NEXT) | instid1(VALU_DEP_2)
	v_xor_b32_e32 v41, 0x80000000, v39
	v_mov_b32_e32 v40, v38
	ds_store_b64 v61, v[40:41]
; %bb.170:                              ;   in Loop: Header=BB25_3 Depth=1
	s_or_b32 exec_lo, exec_lo, s8
	s_wait_dscnt 0x0
	s_barrier_signal -1
	s_barrier_wait -1
	s_barrier_signal -1
	s_barrier_wait -1
	s_and_saveexec_b32 s8, s0
; %bb.171:                              ;   in Loop: Header=BB25_3 Depth=1
	ds_store_b64 v63, v[38:39] offset:28576
; %bb.172:                              ;   in Loop: Header=BB25_3 Depth=1
	s_or_b32 exec_lo, exec_lo, s8
	s_wait_dscnt 0x0
	s_barrier_signal -1
	s_barrier_wait -1
	s_barrier_signal -1
	s_barrier_wait -1
	s_and_saveexec_b32 s8, s10
; %bb.173:                              ;   in Loop: Header=BB25_3 Depth=1
	v_add_nc_u32_e64 v38, 0x6800, 0
	ds_store_2addr_b64 v38, v[26:27], v[26:27] offset0:52 offset1:117
; %bb.174:                              ;   in Loop: Header=BB25_3 Depth=1
	s_or_b32 exec_lo, exec_lo, s8
	v_mov_b64_e32 v[38:39], 0
	s_wait_dscnt 0x0
	s_barrier_signal -1
	s_barrier_wait -1
	global_wb scope:SCOPE_DEV
	s_wait_storecnt 0x0
	global_inv scope:SCOPE_DEV
	s_and_saveexec_b32 s8, s1
	s_cbranch_execz .LBB25_180
; %bb.175:                              ;   in Loop: Header=BB25_3 Depth=1
	ds_load_b64 v[38:39], v62 offset:27008
	ds_load_b64 v[40:41], v47 offset:28576
	s_wait_dscnt 0x0
	v_fma_f64 v[38:39], v[38:39], v[40:41], 0
	s_and_saveexec_b32 s29, s12
	s_cbranch_execnz .LBB25_1013
; %bb.176:                              ;   in Loop: Header=BB25_3 Depth=1
	s_or_b32 exec_lo, exec_lo, s29
	s_and_saveexec_b32 s29, s13
	s_cbranch_execnz .LBB25_1014
.LBB25_177:                             ;   in Loop: Header=BB25_3 Depth=1
	s_or_b32 exec_lo, exec_lo, s29
	s_and_saveexec_b32 s29, s0
	s_cbranch_execz .LBB25_179
.LBB25_178:                             ;   in Loop: Header=BB25_3 Depth=1
	ds_load_b64 v[40:41], v46 offset:28544
	ds_load_b64 v[42:43], v7 offset:28600
	s_wait_dscnt 0x0
	v_fmac_f64_e32 v[38:39], v[40:41], v[42:43]
.LBB25_179:                             ;   in Loop: Header=BB25_3 Depth=1
	s_or_b32 exec_lo, exec_lo, s29
.LBB25_180:                             ;   in Loop: Header=BB25_3 Depth=1
	s_delay_alu instid0(SALU_CYCLE_1)
	s_or_b32 exec_lo, exec_lo, s8
	s_and_saveexec_b32 s8, s31
; %bb.181:                              ;   in Loop: Header=BB25_3 Depth=1
	s_delay_alu instid0(VALU_DEP_1) | instskip(NEXT) | instid1(VALU_DEP_2)
	v_xor_b32_e32 v41, 0x80000000, v39
	v_mov_b32_e32 v40, v38
	ds_store_b64 v65, v[40:41]
; %bb.182:                              ;   in Loop: Header=BB25_3 Depth=1
	s_or_b32 exec_lo, exec_lo, s8
	s_wait_loadcnt_dscnt 0x0
	s_barrier_signal -1
	s_barrier_wait -1
	s_and_saveexec_b32 s8, s33
	s_cbranch_execz .LBB25_184
; %bb.183:                              ;   in Loop: Header=BB25_3 Depth=1
	ds_load_b64 v[40:41], v62 offset:26496
	ds_load_b64 v[42:43], v65
	s_wait_dscnt 0x0
	v_fma_f64 v[38:39], -v[40:41], v[42:43], v[38:39]
.LBB25_184:                             ;   in Loop: Header=BB25_3 Depth=1
	s_or_b32 exec_lo, exec_lo, s8
	s_barrier_signal -1
	s_barrier_wait -1
	s_and_saveexec_b32 s8, s34
; %bb.185:                              ;   in Loop: Header=BB25_3 Depth=1
	s_delay_alu instid0(VALU_DEP_1) | instskip(NEXT) | instid1(VALU_DEP_2)
	v_xor_b32_e32 v41, 0x80000000, v39
	v_mov_b32_e32 v40, v38
	ds_store_b64 v65, v[40:41]
; %bb.186:                              ;   in Loop: Header=BB25_3 Depth=1
	s_or_b32 exec_lo, exec_lo, s8
	s_wait_dscnt 0x0
	s_barrier_signal -1
	s_barrier_wait -1
	s_and_saveexec_b32 s8, s35
	s_cbranch_execz .LBB25_188
; %bb.187:                              ;   in Loop: Header=BB25_3 Depth=1
	ds_load_b64 v[40:41], v62 offset:25984
	ds_load_b64 v[42:43], v65
	s_wait_dscnt 0x0
	v_fma_f64 v[38:39], -v[40:41], v[42:43], v[38:39]
.LBB25_188:                             ;   in Loop: Header=BB25_3 Depth=1
	s_or_b32 exec_lo, exec_lo, s8
	s_barrier_signal -1
	s_barrier_wait -1
	s_and_saveexec_b32 s8, s36
; %bb.189:                              ;   in Loop: Header=BB25_3 Depth=1
	s_delay_alu instid0(VALU_DEP_1) | instskip(NEXT) | instid1(VALU_DEP_2)
	v_xor_b32_e32 v41, 0x80000000, v39
	v_mov_b32_e32 v40, v38
	ds_store_b64 v65, v[40:41]
; %bb.190:                              ;   in Loop: Header=BB25_3 Depth=1
	s_or_b32 exec_lo, exec_lo, s8
	s_wait_dscnt 0x0
	;; [unrolled: 22-line block ×3, first 2 shown]
	s_barrier_signal -1
	s_barrier_wait -1
	s_barrier_signal -1
	s_barrier_wait -1
	s_and_saveexec_b32 s8, s1
; %bb.195:                              ;   in Loop: Header=BB25_3 Depth=1
	ds_store_b64 v67, v[38:39] offset:28544
; %bb.196:                              ;   in Loop: Header=BB25_3 Depth=1
	s_or_b32 exec_lo, exec_lo, s8
	s_wait_dscnt 0x0
	s_barrier_signal -1
	s_barrier_wait -1
	s_barrier_signal -1
	s_barrier_wait -1
	s_and_saveexec_b32 s8, s10
; %bb.197:                              ;   in Loop: Header=BB25_3 Depth=1
	v_add_nc_u32_e64 v38, 0x6000, 0
	ds_store_2addr_b64 v38, v[26:27], v[26:27] offset0:178 offset1:243
; %bb.198:                              ;   in Loop: Header=BB25_3 Depth=1
	s_or_b32 exec_lo, exec_lo, s8
	v_mov_b64_e32 v[38:39], 0
	s_wait_dscnt 0x0
	s_barrier_signal -1
	s_barrier_wait -1
	global_wb scope:SCOPE_DEV
	s_wait_storecnt 0x0
	global_inv scope:SCOPE_DEV
	s_and_saveexec_b32 s8, s0
	s_cbranch_execz .LBB25_202
; %bb.199:                              ;   in Loop: Header=BB25_3 Depth=1
	ds_load_b64 v[38:39], v60 offset:25984
	ds_load_b64 v[40:41], v5 offset:26512
	s_wait_dscnt 0x0
	v_fma_f64 v[38:39], v[38:39], v[40:41], 0
	s_and_saveexec_b32 s29, s11
	s_cbranch_execz .LBB25_201
; %bb.200:                              ;   in Loop: Header=BB25_3 Depth=1
	ds_load_b64 v[40:41], v46 offset:26496
	ds_load_b64 v[42:43], v7 offset:26520
	s_wait_dscnt 0x0
	v_fmac_f64_e32 v[38:39], v[40:41], v[42:43]
.LBB25_201:                             ;   in Loop: Header=BB25_3 Depth=1
	s_or_b32 exec_lo, exec_lo, s29
.LBB25_202:                             ;   in Loop: Header=BB25_3 Depth=1
	s_delay_alu instid0(SALU_CYCLE_1)
	s_or_b32 exec_lo, exec_lo, s8
	s_and_saveexec_b32 s8, s104
; %bb.203:                              ;   in Loop: Header=BB25_3 Depth=1
	s_delay_alu instid0(VALU_DEP_1) | instskip(NEXT) | instid1(VALU_DEP_2)
	v_xor_b32_e32 v41, 0x80000000, v39
	v_mov_b32_e32 v40, v38
	ds_store_b64 v61, v[40:41]
; %bb.204:                              ;   in Loop: Header=BB25_3 Depth=1
	s_or_b32 exec_lo, exec_lo, s8
	s_wait_loadcnt_dscnt 0x0
	s_barrier_signal -1
	s_barrier_wait -1
	s_and_saveexec_b32 s8, vcc_hi
	s_cbranch_execz .LBB25_206
; %bb.205:                              ;   in Loop: Header=BB25_3 Depth=1
	ds_load_b64 v[40:41], v7 offset:25472
	ds_load_b64 v[42:43], v61
	s_wait_dscnt 0x0
	v_fma_f64 v[38:39], -v[40:41], v[42:43], v[38:39]
.LBB25_206:                             ;   in Loop: Header=BB25_3 Depth=1
	s_or_b32 exec_lo, exec_lo, s8
	s_barrier_signal -1
	s_barrier_wait -1
	s_and_saveexec_b32 s8, vcc_hi
; %bb.207:                              ;   in Loop: Header=BB25_3 Depth=1
	s_delay_alu instid0(VALU_DEP_1) | instskip(NEXT) | instid1(VALU_DEP_2)
	v_xor_b32_e32 v41, 0x80000000, v39
	v_mov_b32_e32 v40, v38
	ds_store_b64 v61, v[40:41]
; %bb.208:                              ;   in Loop: Header=BB25_3 Depth=1
	s_or_b32 exec_lo, exec_lo, s8
	s_wait_dscnt 0x0
	s_barrier_signal -1
	s_barrier_wait -1
	s_barrier_signal -1
	s_barrier_wait -1
	s_and_saveexec_b32 s8, s0
; %bb.209:                              ;   in Loop: Header=BB25_3 Depth=1
	ds_store_b64 v63, v[38:39] offset:26496
; %bb.210:                              ;   in Loop: Header=BB25_3 Depth=1
	s_or_b32 exec_lo, exec_lo, s8
	s_wait_dscnt 0x0
	s_barrier_signal -1
	s_barrier_wait -1
	s_barrier_signal -1
	s_barrier_wait -1
	s_and_saveexec_b32 s8, s10
; %bb.211:                              ;   in Loop: Header=BB25_3 Depth=1
	v_add_nc_u32_e64 v38, 0x6000, 0
	ds_store_2addr_b64 v38, v[26:27], v[26:27] offset0:48 offset1:113
; %bb.212:                              ;   in Loop: Header=BB25_3 Depth=1
	s_or_b32 exec_lo, exec_lo, s8
	v_mov_b64_e32 v[38:39], 0
	s_wait_dscnt 0x0
	s_barrier_signal -1
	s_barrier_wait -1
	global_wb scope:SCOPE_DEV
	s_wait_storecnt 0x0
	global_inv scope:SCOPE_DEV
	s_and_saveexec_b32 s8, s3
	s_cbranch_execz .LBB25_240
; %bb.213:                              ;   in Loop: Header=BB25_3 Depth=1
	ds_load_b64 v[38:39], v66 offset:24832
	ds_load_b64 v[40:41], v50 offset:32640
	s_wait_dscnt 0x0
	v_fma_f64 v[38:39], v[38:39], v[40:41], 0
	s_mov_b32 s29, exec_lo
	v_readlane_b32 s57, v86, 27
	s_and_b32 s57, s29, s57
	s_delay_alu instid0(SALU_CYCLE_1)
	s_mov_b32 exec_lo, s57
	s_cbranch_execz .LBB25_215
; %bb.214:                              ;   in Loop: Header=BB25_3 Depth=1
	ds_load_b64 v[40:41], v66 offset:25344
	ds_load_b64 v[42:43], v50 offset:32648
	s_wait_dscnt 0x0
	v_fmac_f64_e32 v[38:39], v[40:41], v[42:43]
.LBB25_215:                             ;   in Loop: Header=BB25_3 Depth=1
	s_or_b32 exec_lo, exec_lo, s29
	s_delay_alu instid0(SALU_CYCLE_1) | instskip(SKIP_2) | instid1(SALU_CYCLE_1)
	s_mov_b32 s29, exec_lo
	v_readlane_b32 s57, v86, 28
	s_and_b32 s57, s29, s57
	s_mov_b32 exec_lo, s57
	s_cbranch_execz .LBB25_217
; %bb.216:                              ;   in Loop: Header=BB25_3 Depth=1
	ds_load_b64 v[40:41], v66 offset:25856
	ds_load_b64 v[42:43], v50 offset:32656
	s_wait_dscnt 0x0
	v_fmac_f64_e32 v[38:39], v[40:41], v[42:43]
.LBB25_217:                             ;   in Loop: Header=BB25_3 Depth=1
	s_or_b32 exec_lo, exec_lo, s29
	s_delay_alu instid0(SALU_CYCLE_1) | instskip(SKIP_2) | instid1(SALU_CYCLE_1)
	s_mov_b32 s29, exec_lo
	v_readlane_b32 s57, v86, 29
	s_and_b32 s57, s29, s57
	;; [unrolled: 13-line block ×10, first 2 shown]
	s_mov_b32 exec_lo, s57
	s_cbranch_execnz .LBB25_1015
; %bb.234:                              ;   in Loop: Header=BB25_3 Depth=1
	s_or_b32 exec_lo, exec_lo, s29
	s_and_saveexec_b32 s29, s2
	s_cbranch_execnz .LBB25_1016
.LBB25_235:                             ;   in Loop: Header=BB25_3 Depth=1
	s_or_b32 exec_lo, exec_lo, s29
	s_and_saveexec_b32 s29, s15
	s_cbranch_execnz .LBB25_1017
.LBB25_236:                             ;   in Loop: Header=BB25_3 Depth=1
	s_or_b32 exec_lo, exec_lo, s29
	s_and_saveexec_b32 s29, s17
	s_cbranch_execnz .LBB25_1018
.LBB25_237:                             ;   in Loop: Header=BB25_3 Depth=1
	s_or_b32 exec_lo, exec_lo, s29
	s_and_saveexec_b32 s29, s1
	s_cbranch_execz .LBB25_239
.LBB25_238:                             ;   in Loop: Header=BB25_3 Depth=1
	ds_load_b64 v[40:41], v46 offset:32512
	ds_load_b64 v[42:43], v7 offset:32760
	s_wait_dscnt 0x0
	v_fmac_f64_e32 v[38:39], v[40:41], v[42:43]
.LBB25_239:                             ;   in Loop: Header=BB25_3 Depth=1
	s_or_b32 exec_lo, exec_lo, s29
.LBB25_240:                             ;   in Loop: Header=BB25_3 Depth=1
	s_delay_alu instid0(SALU_CYCLE_1) | instskip(NEXT) | instid1(SALU_CYCLE_1)
	s_or_b32 exec_lo, exec_lo, s8
	s_mov_b32 s8, exec_lo
	v_readlane_b32 s29, v86, 2
	s_and_b32 s29, s8, s29
	s_delay_alu instid0(SALU_CYCLE_1)
	s_mov_b32 exec_lo, s29
; %bb.241:                              ;   in Loop: Header=BB25_3 Depth=1
	v_xor_b32_e32 v41, 0x80000000, v39
	v_mov_b32_e32 v40, v38
	ds_store_b64 v70, v[40:41]
; %bb.242:                              ;   in Loop: Header=BB25_3 Depth=1
	s_or_b32 exec_lo, exec_lo, s8
	s_wait_loadcnt_dscnt 0x0
	s_barrier_signal -1
	s_barrier_wait -1
	s_mov_b32 s8, exec_lo
	v_readlane_b32 s29, v86, 3
	s_and_b32 s29, s8, s29
	s_delay_alu instid0(SALU_CYCLE_1)
	s_mov_b32 exec_lo, s29
	s_cbranch_execz .LBB25_244
; %bb.243:                              ;   in Loop: Header=BB25_3 Depth=1
	ds_load_b64 v[40:41], v66 offset:24320
	ds_load_b64 v[42:43], v70
	s_wait_dscnt 0x0
	v_fma_f64 v[38:39], -v[40:41], v[42:43], v[38:39]
.LBB25_244:                             ;   in Loop: Header=BB25_3 Depth=1
	s_or_b32 exec_lo, exec_lo, s8
	s_barrier_signal -1
	s_barrier_wait -1
	s_mov_b32 s8, exec_lo
	v_readlane_b32 s29, v86, 4
	s_and_b32 s29, s8, s29
	s_delay_alu instid0(SALU_CYCLE_1)
	s_mov_b32 exec_lo, s29
; %bb.245:                              ;   in Loop: Header=BB25_3 Depth=1
	v_xor_b32_e32 v41, 0x80000000, v39
	v_mov_b32_e32 v40, v38
	ds_store_b64 v70, v[40:41]
; %bb.246:                              ;   in Loop: Header=BB25_3 Depth=1
	s_or_b32 exec_lo, exec_lo, s8
	s_wait_dscnt 0x0
	s_barrier_signal -1
	s_barrier_wait -1
	s_mov_b32 s8, exec_lo
	v_readlane_b32 s29, v86, 5
	s_and_b32 s29, s8, s29
	s_delay_alu instid0(SALU_CYCLE_1)
	s_mov_b32 exec_lo, s29
	s_cbranch_execz .LBB25_248
; %bb.247:                              ;   in Loop: Header=BB25_3 Depth=1
	ds_load_b64 v[40:41], v66 offset:23808
	ds_load_b64 v[42:43], v70
	s_wait_dscnt 0x0
	v_fma_f64 v[38:39], -v[40:41], v[42:43], v[38:39]
.LBB25_248:                             ;   in Loop: Header=BB25_3 Depth=1
	s_or_b32 exec_lo, exec_lo, s8
	s_barrier_signal -1
	s_barrier_wait -1
	s_mov_b32 s8, exec_lo
	v_readlane_b32 s29, v86, 6
	s_and_b32 s29, s8, s29
	s_delay_alu instid0(SALU_CYCLE_1)
	s_mov_b32 exec_lo, s29
; %bb.249:                              ;   in Loop: Header=BB25_3 Depth=1
	v_xor_b32_e32 v41, 0x80000000, v39
	v_mov_b32_e32 v40, v38
	ds_store_b64 v70, v[40:41]
; %bb.250:                              ;   in Loop: Header=BB25_3 Depth=1
	s_or_b32 exec_lo, exec_lo, s8
	s_wait_dscnt 0x0
	;; [unrolled: 29-line block ×5, first 2 shown]
	s_barrier_signal -1
	s_barrier_wait -1
	s_mov_b32 s8, exec_lo
	v_readlane_b32 s29, v86, 13
	s_and_b32 s29, s8, s29
	s_delay_alu instid0(SALU_CYCLE_1)
	s_mov_b32 exec_lo, s29
	s_cbranch_execz .LBB25_264
; %bb.263:                              ;   in Loop: Header=BB25_3 Depth=1
	ds_load_b64 v[40:41], v66 offset:21760
	ds_load_b64 v[42:43], v70
	s_wait_dscnt 0x0
	v_fma_f64 v[38:39], -v[40:41], v[42:43], v[38:39]
.LBB25_264:                             ;   in Loop: Header=BB25_3 Depth=1
	s_or_b32 exec_lo, exec_lo, s8
	s_barrier_signal -1
	s_barrier_wait -1
	s_and_saveexec_b32 s8, s60
; %bb.265:                              ;   in Loop: Header=BB25_3 Depth=1
	s_delay_alu instid0(VALU_DEP_1) | instskip(NEXT) | instid1(VALU_DEP_2)
	v_xor_b32_e32 v41, 0x80000000, v39
	v_mov_b32_e32 v40, v38
	ds_store_b64 v70, v[40:41]
; %bb.266:                              ;   in Loop: Header=BB25_3 Depth=1
	s_or_b32 exec_lo, exec_lo, s8
	s_wait_dscnt 0x0
	s_barrier_signal -1
	s_barrier_wait -1
	s_and_saveexec_b32 s8, s61
	s_cbranch_execz .LBB25_268
; %bb.267:                              ;   in Loop: Header=BB25_3 Depth=1
	ds_load_b64 v[40:41], v66 offset:21248
	ds_load_b64 v[42:43], v70
	s_wait_dscnt 0x0
	v_fma_f64 v[38:39], -v[40:41], v[42:43], v[38:39]
.LBB25_268:                             ;   in Loop: Header=BB25_3 Depth=1
	s_or_b32 exec_lo, exec_lo, s8
	s_barrier_signal -1
	s_barrier_wait -1
	s_and_saveexec_b32 s8, s62
; %bb.269:                              ;   in Loop: Header=BB25_3 Depth=1
	s_delay_alu instid0(VALU_DEP_1) | instskip(NEXT) | instid1(VALU_DEP_2)
	v_xor_b32_e32 v41, 0x80000000, v39
	v_mov_b32_e32 v40, v38
	ds_store_b64 v70, v[40:41]
; %bb.270:                              ;   in Loop: Header=BB25_3 Depth=1
	s_or_b32 exec_lo, exec_lo, s8
	s_wait_dscnt 0x0
	s_barrier_signal -1
	s_barrier_wait -1
	s_and_saveexec_b32 s8, s63
	s_cbranch_execz .LBB25_272
; %bb.271:                              ;   in Loop: Header=BB25_3 Depth=1
	ds_load_b64 v[40:41], v66 offset:20736
	ds_load_b64 v[42:43], v70
	s_wait_dscnt 0x0
	v_fma_f64 v[38:39], -v[40:41], v[42:43], v[38:39]
.LBB25_272:                             ;   in Loop: Header=BB25_3 Depth=1
	s_or_b32 exec_lo, exec_lo, s8
	s_barrier_signal -1
	s_barrier_wait -1
	s_and_saveexec_b32 s8, s9
; %bb.273:                              ;   in Loop: Header=BB25_3 Depth=1
	s_delay_alu instid0(VALU_DEP_1) | instskip(NEXT) | instid1(VALU_DEP_2)
	v_xor_b32_e32 v41, 0x80000000, v39
	v_mov_b32_e32 v40, v38
	ds_store_b64 v70, v[40:41]
; %bb.274:                              ;   in Loop: Header=BB25_3 Depth=1
	s_or_b32 exec_lo, exec_lo, s8
	s_wait_dscnt 0x0
	s_barrier_signal -1
	s_barrier_wait -1
	s_and_saveexec_b32 s8, s20
	s_cbranch_execz .LBB25_276
; %bb.275:                              ;   in Loop: Header=BB25_3 Depth=1
	ds_load_b64 v[40:41], v66 offset:20224
	ds_load_b64 v[42:43], v70
	s_wait_dscnt 0x0
	v_fma_f64 v[38:39], -v[40:41], v[42:43], v[38:39]
.LBB25_276:                             ;   in Loop: Header=BB25_3 Depth=1
	s_or_b32 exec_lo, exec_lo, s8
	s_barrier_signal -1
	s_barrier_wait -1
	s_and_saveexec_b32 s8, s22
; %bb.277:                              ;   in Loop: Header=BB25_3 Depth=1
	s_delay_alu instid0(VALU_DEP_1) | instskip(NEXT) | instid1(VALU_DEP_2)
	v_xor_b32_e32 v41, 0x80000000, v39
	v_mov_b32_e32 v40, v38
	ds_store_b64 v70, v[40:41]
; %bb.278:                              ;   in Loop: Header=BB25_3 Depth=1
	s_or_b32 exec_lo, exec_lo, s8
	s_wait_dscnt 0x0
	s_barrier_signal -1
	s_barrier_wait -1
	s_and_saveexec_b32 s8, s24
	s_cbranch_execz .LBB25_280
; %bb.279:                              ;   in Loop: Header=BB25_3 Depth=1
	ds_load_b64 v[40:41], v66 offset:19712
	ds_load_b64 v[42:43], v70
	s_wait_dscnt 0x0
	v_fma_f64 v[38:39], -v[40:41], v[42:43], v[38:39]
.LBB25_280:                             ;   in Loop: Header=BB25_3 Depth=1
	s_or_b32 exec_lo, exec_lo, s8
	s_barrier_signal -1
	s_barrier_wait -1
	s_and_saveexec_b32 s8, s26
; %bb.281:                              ;   in Loop: Header=BB25_3 Depth=1
	s_delay_alu instid0(VALU_DEP_1) | instskip(NEXT) | instid1(VALU_DEP_2)
	v_xor_b32_e32 v41, 0x80000000, v39
	v_mov_b32_e32 v40, v38
	ds_store_b64 v70, v[40:41]
; %bb.282:                              ;   in Loop: Header=BB25_3 Depth=1
	s_or_b32 exec_lo, exec_lo, s8
	s_wait_dscnt 0x0
	s_barrier_signal -1
	s_barrier_wait -1
	s_and_saveexec_b32 s8, s28
	s_cbranch_execz .LBB25_284
; %bb.283:                              ;   in Loop: Header=BB25_3 Depth=1
	ds_load_b64 v[40:41], v66 offset:19200
	ds_load_b64 v[42:43], v70
	s_wait_dscnt 0x0
	v_fma_f64 v[38:39], -v[40:41], v[42:43], v[38:39]
.LBB25_284:                             ;   in Loop: Header=BB25_3 Depth=1
	s_or_b32 exec_lo, exec_lo, s8
	s_barrier_signal -1
	s_barrier_wait -1
	s_and_saveexec_b32 s8, s98
; %bb.285:                              ;   in Loop: Header=BB25_3 Depth=1
	s_delay_alu instid0(VALU_DEP_1) | instskip(NEXT) | instid1(VALU_DEP_2)
	v_xor_b32_e32 v41, 0x80000000, v39
	v_mov_b32_e32 v40, v38
	ds_store_b64 v70, v[40:41]
; %bb.286:                              ;   in Loop: Header=BB25_3 Depth=1
	s_or_b32 exec_lo, exec_lo, s8
	s_wait_dscnt 0x0
	s_barrier_signal -1
	s_barrier_wait -1
	s_and_saveexec_b32 s8, s102
	s_cbranch_execz .LBB25_288
; %bb.287:                              ;   in Loop: Header=BB25_3 Depth=1
	ds_load_b64 v[40:41], v66 offset:18688
	ds_load_b64 v[42:43], v70
	s_wait_dscnt 0x0
	v_fma_f64 v[38:39], -v[40:41], v[42:43], v[38:39]
.LBB25_288:                             ;   in Loop: Header=BB25_3 Depth=1
	s_or_b32 exec_lo, exec_lo, s8
	s_barrier_signal -1
	s_barrier_wait -1
	s_and_saveexec_b32 s8, s52
; %bb.289:                              ;   in Loop: Header=BB25_3 Depth=1
	s_delay_alu instid0(VALU_DEP_1) | instskip(NEXT) | instid1(VALU_DEP_2)
	v_xor_b32_e32 v41, 0x80000000, v39
	v_mov_b32_e32 v40, v38
	ds_store_b64 v70, v[40:41]
; %bb.290:                              ;   in Loop: Header=BB25_3 Depth=1
	s_or_b32 exec_lo, exec_lo, s8
	s_wait_dscnt 0x0
	s_barrier_signal -1
	s_barrier_wait -1
	s_and_saveexec_b32 s8, s53
	s_cbranch_execz .LBB25_292
; %bb.291:                              ;   in Loop: Header=BB25_3 Depth=1
	ds_load_b64 v[40:41], v66 offset:18176
	ds_load_b64 v[42:43], v70
	s_wait_dscnt 0x0
	v_fma_f64 v[38:39], -v[40:41], v[42:43], v[38:39]
.LBB25_292:                             ;   in Loop: Header=BB25_3 Depth=1
	s_or_b32 exec_lo, exec_lo, s8
	s_barrier_signal -1
	s_barrier_wait -1
	s_and_saveexec_b32 s8, s54
; %bb.293:                              ;   in Loop: Header=BB25_3 Depth=1
	s_delay_alu instid0(VALU_DEP_1) | instskip(NEXT) | instid1(VALU_DEP_2)
	v_xor_b32_e32 v41, 0x80000000, v39
	v_mov_b32_e32 v40, v38
	ds_store_b64 v70, v[40:41]
; %bb.294:                              ;   in Loop: Header=BB25_3 Depth=1
	s_or_b32 exec_lo, exec_lo, s8
	s_wait_dscnt 0x0
	s_barrier_signal -1
	s_barrier_wait -1
	s_and_saveexec_b32 s8, s19
	s_cbranch_execz .LBB25_296
; %bb.295:                              ;   in Loop: Header=BB25_3 Depth=1
	ds_load_b64 v[40:41], v66 offset:17664
	ds_load_b64 v[42:43], v70
	s_wait_dscnt 0x0
	v_fma_f64 v[38:39], -v[40:41], v[42:43], v[38:39]
.LBB25_296:                             ;   in Loop: Header=BB25_3 Depth=1
	s_or_b32 exec_lo, exec_lo, s8
	s_barrier_signal -1
	s_barrier_wait -1
	s_and_saveexec_b32 s8, s23
; %bb.297:                              ;   in Loop: Header=BB25_3 Depth=1
	s_delay_alu instid0(VALU_DEP_1) | instskip(NEXT) | instid1(VALU_DEP_2)
	v_xor_b32_e32 v41, 0x80000000, v39
	v_mov_b32_e32 v40, v38
	ds_store_b64 v70, v[40:41]
; %bb.298:                              ;   in Loop: Header=BB25_3 Depth=1
	s_or_b32 exec_lo, exec_lo, s8
	s_wait_dscnt 0x0
	s_barrier_signal -1
	s_barrier_wait -1
	s_and_saveexec_b32 s8, s7
	s_cbranch_execz .LBB25_300
; %bb.299:                              ;   in Loop: Header=BB25_3 Depth=1
	ds_load_b64 v[40:41], v7 offset:17152
	ds_load_b64 v[42:43], v70
	s_wait_dscnt 0x0
	v_fma_f64 v[38:39], -v[40:41], v[42:43], v[38:39]
.LBB25_300:                             ;   in Loop: Header=BB25_3 Depth=1
	s_or_b32 exec_lo, exec_lo, s8
	s_barrier_signal -1
	s_barrier_wait -1
	s_and_saveexec_b32 s8, s7
; %bb.301:                              ;   in Loop: Header=BB25_3 Depth=1
	s_delay_alu instid0(VALU_DEP_1) | instskip(NEXT) | instid1(VALU_DEP_2)
	v_xor_b32_e32 v41, 0x80000000, v39
	v_mov_b32_e32 v40, v38
	ds_store_b64 v70, v[40:41]
; %bb.302:                              ;   in Loop: Header=BB25_3 Depth=1
	s_or_b32 exec_lo, exec_lo, s8
	s_wait_dscnt 0x0
	s_barrier_signal -1
	s_barrier_wait -1
	s_barrier_signal -1
	s_barrier_wait -1
	s_and_saveexec_b32 s8, s3
; %bb.303:                              ;   in Loop: Header=BB25_3 Depth=1
	ds_store_b64 v71, v[38:39] offset:32512
; %bb.304:                              ;   in Loop: Header=BB25_3 Depth=1
	s_or_b32 exec_lo, exec_lo, s8
	s_wait_dscnt 0x0
	s_barrier_signal -1
	s_barrier_wait -1
	s_barrier_signal -1
	s_barrier_wait -1
	s_and_saveexec_b32 s8, s10
; %bb.305:                              ;   in Loop: Header=BB25_3 Depth=1
	v_add_nc_u32_e64 v38, 0x5800, 0
	ds_store_2addr_b64 v38, v[26:27], v[26:27] offset0:174 offset1:239
; %bb.306:                              ;   in Loop: Header=BB25_3 Depth=1
	s_or_b32 exec_lo, exec_lo, s8
	v_mov_b64_e32 v[38:39], 0
	s_wait_dscnt 0x0
	s_barrier_signal -1
	s_barrier_wait -1
	global_wb scope:SCOPE_DEV
	s_wait_storecnt 0x0
	global_inv scope:SCOPE_DEV
	s_and_saveexec_b32 s8, s0
	s_cbranch_execz .LBB25_310
; %bb.307:                              ;   in Loop: Header=BB25_3 Depth=1
	ds_load_b64 v[38:39], v60 offset:23904
	ds_load_b64 v[40:41], v5 offset:24432
	s_wait_dscnt 0x0
	v_fma_f64 v[38:39], v[38:39], v[40:41], 0
	s_and_saveexec_b32 s29, s11
	s_cbranch_execz .LBB25_309
; %bb.308:                              ;   in Loop: Header=BB25_3 Depth=1
	ds_load_b64 v[40:41], v46 offset:24416
	ds_load_b64 v[42:43], v7 offset:24440
	s_wait_dscnt 0x0
	v_fmac_f64_e32 v[38:39], v[40:41], v[42:43]
.LBB25_309:                             ;   in Loop: Header=BB25_3 Depth=1
	s_or_b32 exec_lo, exec_lo, s29
.LBB25_310:                             ;   in Loop: Header=BB25_3 Depth=1
	s_delay_alu instid0(SALU_CYCLE_1)
	s_or_b32 exec_lo, exec_lo, s8
	s_and_saveexec_b32 s8, s104
; %bb.311:                              ;   in Loop: Header=BB25_3 Depth=1
	s_delay_alu instid0(VALU_DEP_1) | instskip(NEXT) | instid1(VALU_DEP_2)
	v_xor_b32_e32 v41, 0x80000000, v39
	v_mov_b32_e32 v40, v38
	ds_store_b64 v61, v[40:41]
; %bb.312:                              ;   in Loop: Header=BB25_3 Depth=1
	s_or_b32 exec_lo, exec_lo, s8
	s_wait_loadcnt_dscnt 0x0
	s_barrier_signal -1
	s_barrier_wait -1
	s_and_saveexec_b32 s8, vcc_hi
	s_cbranch_execz .LBB25_314
; %bb.313:                              ;   in Loop: Header=BB25_3 Depth=1
	ds_load_b64 v[40:41], v7 offset:23392
	ds_load_b64 v[42:43], v61
	s_wait_dscnt 0x0
	v_fma_f64 v[38:39], -v[40:41], v[42:43], v[38:39]
.LBB25_314:                             ;   in Loop: Header=BB25_3 Depth=1
	s_or_b32 exec_lo, exec_lo, s8
	s_barrier_signal -1
	s_barrier_wait -1
	s_and_saveexec_b32 s8, vcc_hi
; %bb.315:                              ;   in Loop: Header=BB25_3 Depth=1
	s_delay_alu instid0(VALU_DEP_1) | instskip(NEXT) | instid1(VALU_DEP_2)
	v_xor_b32_e32 v41, 0x80000000, v39
	v_mov_b32_e32 v40, v38
	ds_store_b64 v61, v[40:41]
; %bb.316:                              ;   in Loop: Header=BB25_3 Depth=1
	s_or_b32 exec_lo, exec_lo, s8
	s_wait_dscnt 0x0
	s_barrier_signal -1
	s_barrier_wait -1
	s_barrier_signal -1
	s_barrier_wait -1
	s_and_saveexec_b32 s8, s0
; %bb.317:                              ;   in Loop: Header=BB25_3 Depth=1
	ds_store_b64 v63, v[38:39] offset:24416
; %bb.318:                              ;   in Loop: Header=BB25_3 Depth=1
	s_or_b32 exec_lo, exec_lo, s8
	s_wait_dscnt 0x0
	s_barrier_signal -1
	s_barrier_wait -1
	s_barrier_signal -1
	s_barrier_wait -1
	s_and_saveexec_b32 s8, s10
; %bb.319:                              ;   in Loop: Header=BB25_3 Depth=1
	v_add_nc_u32_e64 v38, 0x5800, 0
	ds_store_2addr_b64 v38, v[26:27], v[26:27] offset0:44 offset1:109
; %bb.320:                              ;   in Loop: Header=BB25_3 Depth=1
	s_or_b32 exec_lo, exec_lo, s8
	v_mov_b64_e32 v[38:39], 0
	s_wait_dscnt 0x0
	s_barrier_signal -1
	s_barrier_wait -1
	global_wb scope:SCOPE_DEV
	s_wait_storecnt 0x0
	global_inv scope:SCOPE_DEV
	s_and_saveexec_b32 s8, s1
	s_cbranch_execz .LBB25_326
; %bb.321:                              ;   in Loop: Header=BB25_3 Depth=1
	ds_load_b64 v[38:39], v62 offset:22848
	ds_load_b64 v[40:41], v47 offset:24416
	s_wait_dscnt 0x0
	v_fma_f64 v[38:39], v[38:39], v[40:41], 0
	s_and_saveexec_b32 s29, s12
	s_cbranch_execnz .LBB25_1019
; %bb.322:                              ;   in Loop: Header=BB25_3 Depth=1
	s_or_b32 exec_lo, exec_lo, s29
	s_and_saveexec_b32 s29, s13
	s_cbranch_execnz .LBB25_1020
.LBB25_323:                             ;   in Loop: Header=BB25_3 Depth=1
	s_or_b32 exec_lo, exec_lo, s29
	s_and_saveexec_b32 s29, s0
	s_cbranch_execz .LBB25_325
.LBB25_324:                             ;   in Loop: Header=BB25_3 Depth=1
	ds_load_b64 v[40:41], v46 offset:24384
	ds_load_b64 v[42:43], v7 offset:24440
	s_wait_dscnt 0x0
	v_fmac_f64_e32 v[38:39], v[40:41], v[42:43]
.LBB25_325:                             ;   in Loop: Header=BB25_3 Depth=1
	s_or_b32 exec_lo, exec_lo, s29
.LBB25_326:                             ;   in Loop: Header=BB25_3 Depth=1
	s_delay_alu instid0(SALU_CYCLE_1)
	s_or_b32 exec_lo, exec_lo, s8
	s_and_saveexec_b32 s8, s31
; %bb.327:                              ;   in Loop: Header=BB25_3 Depth=1
	s_delay_alu instid0(VALU_DEP_1) | instskip(NEXT) | instid1(VALU_DEP_2)
	v_xor_b32_e32 v41, 0x80000000, v39
	v_mov_b32_e32 v40, v38
	ds_store_b64 v65, v[40:41]
; %bb.328:                              ;   in Loop: Header=BB25_3 Depth=1
	s_or_b32 exec_lo, exec_lo, s8
	s_wait_loadcnt_dscnt 0x0
	s_barrier_signal -1
	s_barrier_wait -1
	s_and_saveexec_b32 s8, s33
	s_cbranch_execz .LBB25_330
; %bb.329:                              ;   in Loop: Header=BB25_3 Depth=1
	ds_load_b64 v[40:41], v62 offset:22336
	ds_load_b64 v[42:43], v65
	s_wait_dscnt 0x0
	v_fma_f64 v[38:39], -v[40:41], v[42:43], v[38:39]
.LBB25_330:                             ;   in Loop: Header=BB25_3 Depth=1
	s_or_b32 exec_lo, exec_lo, s8
	s_barrier_signal -1
	s_barrier_wait -1
	s_and_saveexec_b32 s8, s34
; %bb.331:                              ;   in Loop: Header=BB25_3 Depth=1
	s_delay_alu instid0(VALU_DEP_1) | instskip(NEXT) | instid1(VALU_DEP_2)
	v_xor_b32_e32 v41, 0x80000000, v39
	v_mov_b32_e32 v40, v38
	ds_store_b64 v65, v[40:41]
; %bb.332:                              ;   in Loop: Header=BB25_3 Depth=1
	s_or_b32 exec_lo, exec_lo, s8
	s_wait_dscnt 0x0
	s_barrier_signal -1
	s_barrier_wait -1
	s_and_saveexec_b32 s8, s35
	s_cbranch_execz .LBB25_334
; %bb.333:                              ;   in Loop: Header=BB25_3 Depth=1
	ds_load_b64 v[40:41], v62 offset:21824
	ds_load_b64 v[42:43], v65
	s_wait_dscnt 0x0
	v_fma_f64 v[38:39], -v[40:41], v[42:43], v[38:39]
.LBB25_334:                             ;   in Loop: Header=BB25_3 Depth=1
	s_or_b32 exec_lo, exec_lo, s8
	s_barrier_signal -1
	s_barrier_wait -1
	s_and_saveexec_b32 s8, s36
; %bb.335:                              ;   in Loop: Header=BB25_3 Depth=1
	s_delay_alu instid0(VALU_DEP_1) | instskip(NEXT) | instid1(VALU_DEP_2)
	v_xor_b32_e32 v41, 0x80000000, v39
	v_mov_b32_e32 v40, v38
	ds_store_b64 v65, v[40:41]
; %bb.336:                              ;   in Loop: Header=BB25_3 Depth=1
	s_or_b32 exec_lo, exec_lo, s8
	s_wait_dscnt 0x0
	;; [unrolled: 22-line block ×3, first 2 shown]
	s_barrier_signal -1
	s_barrier_wait -1
	s_barrier_signal -1
	s_barrier_wait -1
	s_and_saveexec_b32 s8, s1
; %bb.341:                              ;   in Loop: Header=BB25_3 Depth=1
	ds_store_b64 v67, v[38:39] offset:24384
; %bb.342:                              ;   in Loop: Header=BB25_3 Depth=1
	s_or_b32 exec_lo, exec_lo, s8
	s_wait_dscnt 0x0
	s_barrier_signal -1
	s_barrier_wait -1
	s_barrier_signal -1
	s_barrier_wait -1
	s_and_saveexec_b32 s8, s10
; %bb.343:                              ;   in Loop: Header=BB25_3 Depth=1
	v_add_nc_u32_e64 v38, 0x5000, 0
	ds_store_2addr_b64 v38, v[26:27], v[26:27] offset0:170 offset1:235
; %bb.344:                              ;   in Loop: Header=BB25_3 Depth=1
	s_or_b32 exec_lo, exec_lo, s8
	v_mov_b64_e32 v[38:39], 0
	s_wait_dscnt 0x0
	s_barrier_signal -1
	s_barrier_wait -1
	global_wb scope:SCOPE_DEV
	s_wait_storecnt 0x0
	global_inv scope:SCOPE_DEV
	s_and_saveexec_b32 s8, s0
	s_cbranch_execz .LBB25_348
; %bb.345:                              ;   in Loop: Header=BB25_3 Depth=1
	ds_load_b64 v[38:39], v60 offset:21824
	ds_load_b64 v[40:41], v5 offset:22352
	s_wait_dscnt 0x0
	v_fma_f64 v[38:39], v[38:39], v[40:41], 0
	s_and_saveexec_b32 s29, s11
	s_cbranch_execz .LBB25_347
; %bb.346:                              ;   in Loop: Header=BB25_3 Depth=1
	ds_load_b64 v[40:41], v46 offset:22336
	ds_load_b64 v[42:43], v7 offset:22360
	s_wait_dscnt 0x0
	v_fmac_f64_e32 v[38:39], v[40:41], v[42:43]
.LBB25_347:                             ;   in Loop: Header=BB25_3 Depth=1
	s_or_b32 exec_lo, exec_lo, s29
.LBB25_348:                             ;   in Loop: Header=BB25_3 Depth=1
	s_delay_alu instid0(SALU_CYCLE_1)
	s_or_b32 exec_lo, exec_lo, s8
	s_and_saveexec_b32 s8, s104
; %bb.349:                              ;   in Loop: Header=BB25_3 Depth=1
	s_delay_alu instid0(VALU_DEP_1) | instskip(NEXT) | instid1(VALU_DEP_2)
	v_xor_b32_e32 v41, 0x80000000, v39
	v_mov_b32_e32 v40, v38
	ds_store_b64 v61, v[40:41]
; %bb.350:                              ;   in Loop: Header=BB25_3 Depth=1
	s_or_b32 exec_lo, exec_lo, s8
	s_wait_loadcnt_dscnt 0x0
	s_barrier_signal -1
	s_barrier_wait -1
	s_and_saveexec_b32 s8, vcc_hi
	s_cbranch_execz .LBB25_352
; %bb.351:                              ;   in Loop: Header=BB25_3 Depth=1
	ds_load_b64 v[40:41], v7 offset:21312
	ds_load_b64 v[42:43], v61
	s_wait_dscnt 0x0
	v_fma_f64 v[38:39], -v[40:41], v[42:43], v[38:39]
.LBB25_352:                             ;   in Loop: Header=BB25_3 Depth=1
	s_or_b32 exec_lo, exec_lo, s8
	s_barrier_signal -1
	s_barrier_wait -1
	s_and_saveexec_b32 s8, vcc_hi
; %bb.353:                              ;   in Loop: Header=BB25_3 Depth=1
	s_delay_alu instid0(VALU_DEP_1) | instskip(NEXT) | instid1(VALU_DEP_2)
	v_xor_b32_e32 v41, 0x80000000, v39
	v_mov_b32_e32 v40, v38
	ds_store_b64 v61, v[40:41]
; %bb.354:                              ;   in Loop: Header=BB25_3 Depth=1
	s_or_b32 exec_lo, exec_lo, s8
	s_wait_dscnt 0x0
	s_barrier_signal -1
	s_barrier_wait -1
	s_barrier_signal -1
	s_barrier_wait -1
	s_and_saveexec_b32 s8, s0
; %bb.355:                              ;   in Loop: Header=BB25_3 Depth=1
	ds_store_b64 v63, v[38:39] offset:22336
; %bb.356:                              ;   in Loop: Header=BB25_3 Depth=1
	s_or_b32 exec_lo, exec_lo, s8
	s_wait_dscnt 0x0
	s_barrier_signal -1
	s_barrier_wait -1
	s_barrier_signal -1
	s_barrier_wait -1
	s_and_saveexec_b32 s8, s10
; %bb.357:                              ;   in Loop: Header=BB25_3 Depth=1
	v_add_nc_u32_e64 v38, 0x5000, 0
	ds_store_2addr_b64 v38, v[26:27], v[26:27] offset0:40 offset1:105
; %bb.358:                              ;   in Loop: Header=BB25_3 Depth=1
	s_or_b32 exec_lo, exec_lo, s8
	v_mov_b64_e32 v[38:39], 0
	s_wait_dscnt 0x0
	s_barrier_signal -1
	s_barrier_wait -1
	global_wb scope:SCOPE_DEV
	s_wait_storecnt 0x0
	global_inv scope:SCOPE_DEV
	s_and_saveexec_b32 s8, s2
	s_cbranch_execz .LBB25_368
; %bb.359:                              ;   in Loop: Header=BB25_3 Depth=1
	ds_load_b64 v[38:39], v64 offset:20736
	ds_load_b64 v[40:41], v49 offset:24384
	s_wait_dscnt 0x0
	v_fma_f64 v[38:39], v[38:39], v[40:41], 0
	s_and_saveexec_b32 s29, s14
	s_cbranch_execnz .LBB25_1021
; %bb.360:                              ;   in Loop: Header=BB25_3 Depth=1
	s_or_b32 exec_lo, exec_lo, s29
	s_and_saveexec_b32 s29, s15
	s_cbranch_execnz .LBB25_1022
.LBB25_361:                             ;   in Loop: Header=BB25_3 Depth=1
	s_or_b32 exec_lo, exec_lo, s29
	s_and_saveexec_b32 s29, s16
	s_cbranch_execnz .LBB25_1023
.LBB25_362:                             ;   in Loop: Header=BB25_3 Depth=1
	s_or_b32 exec_lo, exec_lo, s29
	s_and_saveexec_b32 s29, s17
	s_cbranch_execnz .LBB25_1024
.LBB25_363:                             ;   in Loop: Header=BB25_3 Depth=1
	s_or_b32 exec_lo, exec_lo, s29
	s_and_saveexec_b32 s29, s18
	s_cbranch_execnz .LBB25_1025
.LBB25_364:                             ;   in Loop: Header=BB25_3 Depth=1
	s_or_b32 exec_lo, exec_lo, s29
	s_and_saveexec_b32 s29, s1
	s_cbranch_execnz .LBB25_1026
.LBB25_365:                             ;   in Loop: Header=BB25_3 Depth=1
	s_or_b32 exec_lo, exec_lo, s29
	s_and_saveexec_b32 s29, s13
	s_cbranch_execz .LBB25_367
.LBB25_366:                             ;   in Loop: Header=BB25_3 Depth=1
	ds_load_b64 v[40:41], v46 offset:24320
	ds_load_b64 v[42:43], v7 offset:24440
	s_wait_dscnt 0x0
	v_fmac_f64_e32 v[38:39], v[40:41], v[42:43]
.LBB25_367:                             ;   in Loop: Header=BB25_3 Depth=1
	s_or_b32 exec_lo, exec_lo, s29
.LBB25_368:                             ;   in Loop: Header=BB25_3 Depth=1
	s_delay_alu instid0(SALU_CYCLE_1)
	s_or_b32 exec_lo, exec_lo, s8
	s_and_saveexec_b32 s8, s38
; %bb.369:                              ;   in Loop: Header=BB25_3 Depth=1
	s_delay_alu instid0(VALU_DEP_1) | instskip(NEXT) | instid1(VALU_DEP_2)
	v_xor_b32_e32 v41, 0x80000000, v39
	v_mov_b32_e32 v40, v38
	ds_store_b64 v68, v[40:41]
; %bb.370:                              ;   in Loop: Header=BB25_3 Depth=1
	s_or_b32 exec_lo, exec_lo, s8
	s_wait_loadcnt_dscnt 0x0
	s_barrier_signal -1
	s_barrier_wait -1
	s_and_saveexec_b32 s8, s39
	s_cbranch_execz .LBB25_372
; %bb.371:                              ;   in Loop: Header=BB25_3 Depth=1
	ds_load_b64 v[40:41], v64 offset:20224
	ds_load_b64 v[42:43], v68
	s_wait_dscnt 0x0
	v_fma_f64 v[38:39], -v[40:41], v[42:43], v[38:39]
.LBB25_372:                             ;   in Loop: Header=BB25_3 Depth=1
	s_or_b32 exec_lo, exec_lo, s8
	s_barrier_signal -1
	s_barrier_wait -1
	s_and_saveexec_b32 s8, s40
; %bb.373:                              ;   in Loop: Header=BB25_3 Depth=1
	s_delay_alu instid0(VALU_DEP_1) | instskip(NEXT) | instid1(VALU_DEP_2)
	v_xor_b32_e32 v41, 0x80000000, v39
	v_mov_b32_e32 v40, v38
	ds_store_b64 v68, v[40:41]
; %bb.374:                              ;   in Loop: Header=BB25_3 Depth=1
	s_or_b32 exec_lo, exec_lo, s8
	s_wait_dscnt 0x0
	s_barrier_signal -1
	s_barrier_wait -1
	s_and_saveexec_b32 s8, s41
	s_cbranch_execz .LBB25_376
; %bb.375:                              ;   in Loop: Header=BB25_3 Depth=1
	ds_load_b64 v[40:41], v64 offset:19712
	ds_load_b64 v[42:43], v68
	s_wait_dscnt 0x0
	v_fma_f64 v[38:39], -v[40:41], v[42:43], v[38:39]
.LBB25_376:                             ;   in Loop: Header=BB25_3 Depth=1
	s_or_b32 exec_lo, exec_lo, s8
	s_barrier_signal -1
	s_barrier_wait -1
	s_and_saveexec_b32 s8, s42
; %bb.377:                              ;   in Loop: Header=BB25_3 Depth=1
	s_delay_alu instid0(VALU_DEP_1) | instskip(NEXT) | instid1(VALU_DEP_2)
	v_xor_b32_e32 v41, 0x80000000, v39
	v_mov_b32_e32 v40, v38
	ds_store_b64 v68, v[40:41]
; %bb.378:                              ;   in Loop: Header=BB25_3 Depth=1
	s_or_b32 exec_lo, exec_lo, s8
	s_wait_dscnt 0x0
	s_barrier_signal -1
	s_barrier_wait -1
	s_and_saveexec_b32 s8, s43
	s_cbranch_execz .LBB25_380
; %bb.379:                              ;   in Loop: Header=BB25_3 Depth=1
	ds_load_b64 v[40:41], v64 offset:19200
	ds_load_b64 v[42:43], v68
	s_wait_dscnt 0x0
	v_fma_f64 v[38:39], -v[40:41], v[42:43], v[38:39]
.LBB25_380:                             ;   in Loop: Header=BB25_3 Depth=1
	s_or_b32 exec_lo, exec_lo, s8
	s_barrier_signal -1
	s_barrier_wait -1
	s_and_saveexec_b32 s8, s44
; %bb.381:                              ;   in Loop: Header=BB25_3 Depth=1
	s_delay_alu instid0(VALU_DEP_1) | instskip(NEXT) | instid1(VALU_DEP_2)
	v_xor_b32_e32 v41, 0x80000000, v39
	v_mov_b32_e32 v40, v38
	ds_store_b64 v68, v[40:41]
; %bb.382:                              ;   in Loop: Header=BB25_3 Depth=1
	s_or_b32 exec_lo, exec_lo, s8
	s_wait_dscnt 0x0
	s_barrier_signal -1
	s_barrier_wait -1
	s_and_saveexec_b32 s8, s45
	s_cbranch_execz .LBB25_384
; %bb.383:                              ;   in Loop: Header=BB25_3 Depth=1
	ds_load_b64 v[40:41], v64 offset:18688
	ds_load_b64 v[42:43], v68
	s_wait_dscnt 0x0
	v_fma_f64 v[38:39], -v[40:41], v[42:43], v[38:39]
.LBB25_384:                             ;   in Loop: Header=BB25_3 Depth=1
	s_or_b32 exec_lo, exec_lo, s8
	s_barrier_signal -1
	s_barrier_wait -1
	s_and_saveexec_b32 s8, s46
; %bb.385:                              ;   in Loop: Header=BB25_3 Depth=1
	s_delay_alu instid0(VALU_DEP_1) | instskip(NEXT) | instid1(VALU_DEP_2)
	v_xor_b32_e32 v41, 0x80000000, v39
	v_mov_b32_e32 v40, v38
	ds_store_b64 v68, v[40:41]
; %bb.386:                              ;   in Loop: Header=BB25_3 Depth=1
	s_or_b32 exec_lo, exec_lo, s8
	s_wait_dscnt 0x0
	s_barrier_signal -1
	s_barrier_wait -1
	s_and_saveexec_b32 s8, s47
	s_cbranch_execz .LBB25_388
; %bb.387:                              ;   in Loop: Header=BB25_3 Depth=1
	ds_load_b64 v[40:41], v64 offset:18176
	ds_load_b64 v[42:43], v68
	s_wait_dscnt 0x0
	v_fma_f64 v[38:39], -v[40:41], v[42:43], v[38:39]
.LBB25_388:                             ;   in Loop: Header=BB25_3 Depth=1
	s_or_b32 exec_lo, exec_lo, s8
	s_barrier_signal -1
	s_barrier_wait -1
	s_and_saveexec_b32 s8, s48
; %bb.389:                              ;   in Loop: Header=BB25_3 Depth=1
	s_delay_alu instid0(VALU_DEP_1) | instskip(NEXT) | instid1(VALU_DEP_2)
	v_xor_b32_e32 v41, 0x80000000, v39
	v_mov_b32_e32 v40, v38
	ds_store_b64 v68, v[40:41]
; %bb.390:                              ;   in Loop: Header=BB25_3 Depth=1
	s_or_b32 exec_lo, exec_lo, s8
	s_wait_dscnt 0x0
	s_barrier_signal -1
	s_barrier_wait -1
	s_and_saveexec_b32 s8, s49
	s_cbranch_execz .LBB25_392
; %bb.391:                              ;   in Loop: Header=BB25_3 Depth=1
	ds_load_b64 v[40:41], v64 offset:17664
	ds_load_b64 v[42:43], v68
	s_wait_dscnt 0x0
	v_fma_f64 v[38:39], -v[40:41], v[42:43], v[38:39]
.LBB25_392:                             ;   in Loop: Header=BB25_3 Depth=1
	s_or_b32 exec_lo, exec_lo, s8
	s_barrier_signal -1
	s_barrier_wait -1
	s_and_saveexec_b32 s8, s50
; %bb.393:                              ;   in Loop: Header=BB25_3 Depth=1
	s_delay_alu instid0(VALU_DEP_1) | instskip(NEXT) | instid1(VALU_DEP_2)
	v_xor_b32_e32 v41, 0x80000000, v39
	v_mov_b32_e32 v40, v38
	ds_store_b64 v68, v[40:41]
; %bb.394:                              ;   in Loop: Header=BB25_3 Depth=1
	s_or_b32 exec_lo, exec_lo, s8
	s_wait_dscnt 0x0
	s_barrier_signal -1
	s_barrier_wait -1
	s_and_saveexec_b32 s8, s51
	s_cbranch_execz .LBB25_396
; %bb.395:                              ;   in Loop: Header=BB25_3 Depth=1
	ds_load_b64 v[40:41], v7 offset:17152
	ds_load_b64 v[42:43], v68
	s_wait_dscnt 0x0
	v_fma_f64 v[38:39], -v[40:41], v[42:43], v[38:39]
.LBB25_396:                             ;   in Loop: Header=BB25_3 Depth=1
	s_or_b32 exec_lo, exec_lo, s8
	s_barrier_signal -1
	s_barrier_wait -1
	s_and_saveexec_b32 s8, s51
; %bb.397:                              ;   in Loop: Header=BB25_3 Depth=1
	s_delay_alu instid0(VALU_DEP_1) | instskip(NEXT) | instid1(VALU_DEP_2)
	v_xor_b32_e32 v41, 0x80000000, v39
	v_mov_b32_e32 v40, v38
	ds_store_b64 v68, v[40:41]
; %bb.398:                              ;   in Loop: Header=BB25_3 Depth=1
	s_or_b32 exec_lo, exec_lo, s8
	s_wait_dscnt 0x0
	s_barrier_signal -1
	s_barrier_wait -1
	s_barrier_signal -1
	s_barrier_wait -1
	s_and_saveexec_b32 s8, s2
; %bb.399:                              ;   in Loop: Header=BB25_3 Depth=1
	ds_store_b64 v69, v[38:39] offset:24320
; %bb.400:                              ;   in Loop: Header=BB25_3 Depth=1
	s_or_b32 exec_lo, exec_lo, s8
	s_wait_dscnt 0x0
	s_barrier_signal -1
	s_barrier_wait -1
	s_barrier_signal -1
	s_barrier_wait -1
	s_and_saveexec_b32 s8, s10
; %bb.401:                              ;   in Loop: Header=BB25_3 Depth=1
	v_add_nc_u32_e64 v38, 0x4800, 0
	ds_store_2addr_b64 v38, v[26:27], v[26:27] offset0:166 offset1:231
; %bb.402:                              ;   in Loop: Header=BB25_3 Depth=1
	s_or_b32 exec_lo, exec_lo, s8
	v_mov_b64_e32 v[38:39], 0
	s_wait_dscnt 0x0
	s_barrier_signal -1
	s_barrier_wait -1
	global_wb scope:SCOPE_DEV
	s_wait_storecnt 0x0
	global_inv scope:SCOPE_DEV
	s_and_saveexec_b32 s8, s0
	s_cbranch_execz .LBB25_406
; %bb.403:                              ;   in Loop: Header=BB25_3 Depth=1
	ds_load_b64 v[38:39], v60 offset:19744
	ds_load_b64 v[40:41], v5 offset:20272
	s_wait_dscnt 0x0
	v_fma_f64 v[38:39], v[38:39], v[40:41], 0
	s_and_saveexec_b32 s29, s11
	s_cbranch_execz .LBB25_405
; %bb.404:                              ;   in Loop: Header=BB25_3 Depth=1
	ds_load_b64 v[40:41], v46 offset:20256
	ds_load_b64 v[42:43], v7 offset:20280
	s_wait_dscnt 0x0
	v_fmac_f64_e32 v[38:39], v[40:41], v[42:43]
.LBB25_405:                             ;   in Loop: Header=BB25_3 Depth=1
	s_or_b32 exec_lo, exec_lo, s29
.LBB25_406:                             ;   in Loop: Header=BB25_3 Depth=1
	s_delay_alu instid0(SALU_CYCLE_1)
	s_or_b32 exec_lo, exec_lo, s8
	s_and_saveexec_b32 s8, s104
; %bb.407:                              ;   in Loop: Header=BB25_3 Depth=1
	s_delay_alu instid0(VALU_DEP_1) | instskip(NEXT) | instid1(VALU_DEP_2)
	v_xor_b32_e32 v41, 0x80000000, v39
	v_mov_b32_e32 v40, v38
	ds_store_b64 v61, v[40:41]
; %bb.408:                              ;   in Loop: Header=BB25_3 Depth=1
	s_or_b32 exec_lo, exec_lo, s8
	s_wait_loadcnt_dscnt 0x0
	s_barrier_signal -1
	s_barrier_wait -1
	s_and_saveexec_b32 s8, vcc_hi
	s_cbranch_execz .LBB25_410
; %bb.409:                              ;   in Loop: Header=BB25_3 Depth=1
	ds_load_b64 v[40:41], v7 offset:19232
	ds_load_b64 v[42:43], v61
	s_wait_dscnt 0x0
	v_fma_f64 v[38:39], -v[40:41], v[42:43], v[38:39]
.LBB25_410:                             ;   in Loop: Header=BB25_3 Depth=1
	s_or_b32 exec_lo, exec_lo, s8
	s_barrier_signal -1
	s_barrier_wait -1
	s_and_saveexec_b32 s8, vcc_hi
; %bb.411:                              ;   in Loop: Header=BB25_3 Depth=1
	s_delay_alu instid0(VALU_DEP_1) | instskip(NEXT) | instid1(VALU_DEP_2)
	v_xor_b32_e32 v41, 0x80000000, v39
	v_mov_b32_e32 v40, v38
	ds_store_b64 v61, v[40:41]
; %bb.412:                              ;   in Loop: Header=BB25_3 Depth=1
	s_or_b32 exec_lo, exec_lo, s8
	s_wait_dscnt 0x0
	s_barrier_signal -1
	s_barrier_wait -1
	s_barrier_signal -1
	s_barrier_wait -1
	s_and_saveexec_b32 s8, s0
; %bb.413:                              ;   in Loop: Header=BB25_3 Depth=1
	ds_store_b64 v63, v[38:39] offset:20256
; %bb.414:                              ;   in Loop: Header=BB25_3 Depth=1
	s_or_b32 exec_lo, exec_lo, s8
	s_wait_dscnt 0x0
	s_barrier_signal -1
	s_barrier_wait -1
	s_barrier_signal -1
	s_barrier_wait -1
	s_and_saveexec_b32 s8, s10
; %bb.415:                              ;   in Loop: Header=BB25_3 Depth=1
	v_add_nc_u32_e64 v38, 0x4800, 0
	ds_store_2addr_b64 v38, v[26:27], v[26:27] offset0:36 offset1:101
; %bb.416:                              ;   in Loop: Header=BB25_3 Depth=1
	s_or_b32 exec_lo, exec_lo, s8
	v_mov_b64_e32 v[38:39], 0
	s_wait_dscnt 0x0
	s_barrier_signal -1
	s_barrier_wait -1
	global_wb scope:SCOPE_DEV
	s_wait_storecnt 0x0
	global_inv scope:SCOPE_DEV
	s_and_saveexec_b32 s8, s1
	s_cbranch_execz .LBB25_422
; %bb.417:                              ;   in Loop: Header=BB25_3 Depth=1
	ds_load_b64 v[38:39], v62 offset:18688
	ds_load_b64 v[40:41], v47 offset:20256
	s_wait_dscnt 0x0
	v_fma_f64 v[38:39], v[38:39], v[40:41], 0
	s_and_saveexec_b32 s29, s12
	s_cbranch_execnz .LBB25_1027
; %bb.418:                              ;   in Loop: Header=BB25_3 Depth=1
	s_or_b32 exec_lo, exec_lo, s29
	s_and_saveexec_b32 s29, s13
	s_cbranch_execnz .LBB25_1028
.LBB25_419:                             ;   in Loop: Header=BB25_3 Depth=1
	s_or_b32 exec_lo, exec_lo, s29
	s_and_saveexec_b32 s29, s0
	s_cbranch_execz .LBB25_421
.LBB25_420:                             ;   in Loop: Header=BB25_3 Depth=1
	ds_load_b64 v[40:41], v46 offset:20224
	ds_load_b64 v[42:43], v7 offset:20280
	s_wait_dscnt 0x0
	v_fmac_f64_e32 v[38:39], v[40:41], v[42:43]
.LBB25_421:                             ;   in Loop: Header=BB25_3 Depth=1
	s_or_b32 exec_lo, exec_lo, s29
.LBB25_422:                             ;   in Loop: Header=BB25_3 Depth=1
	s_delay_alu instid0(SALU_CYCLE_1)
	s_or_b32 exec_lo, exec_lo, s8
	s_and_saveexec_b32 s8, s31
; %bb.423:                              ;   in Loop: Header=BB25_3 Depth=1
	s_delay_alu instid0(VALU_DEP_1) | instskip(NEXT) | instid1(VALU_DEP_2)
	v_xor_b32_e32 v41, 0x80000000, v39
	v_mov_b32_e32 v40, v38
	ds_store_b64 v65, v[40:41]
; %bb.424:                              ;   in Loop: Header=BB25_3 Depth=1
	s_or_b32 exec_lo, exec_lo, s8
	s_wait_loadcnt_dscnt 0x0
	s_barrier_signal -1
	s_barrier_wait -1
	s_and_saveexec_b32 s8, s33
	s_cbranch_execz .LBB25_426
; %bb.425:                              ;   in Loop: Header=BB25_3 Depth=1
	ds_load_b64 v[40:41], v62 offset:18176
	ds_load_b64 v[42:43], v65
	s_wait_dscnt 0x0
	v_fma_f64 v[38:39], -v[40:41], v[42:43], v[38:39]
.LBB25_426:                             ;   in Loop: Header=BB25_3 Depth=1
	s_or_b32 exec_lo, exec_lo, s8
	s_barrier_signal -1
	s_barrier_wait -1
	s_and_saveexec_b32 s8, s34
; %bb.427:                              ;   in Loop: Header=BB25_3 Depth=1
	s_delay_alu instid0(VALU_DEP_1) | instskip(NEXT) | instid1(VALU_DEP_2)
	v_xor_b32_e32 v41, 0x80000000, v39
	v_mov_b32_e32 v40, v38
	ds_store_b64 v65, v[40:41]
; %bb.428:                              ;   in Loop: Header=BB25_3 Depth=1
	s_or_b32 exec_lo, exec_lo, s8
	s_wait_dscnt 0x0
	s_barrier_signal -1
	s_barrier_wait -1
	s_and_saveexec_b32 s8, s35
	s_cbranch_execz .LBB25_430
; %bb.429:                              ;   in Loop: Header=BB25_3 Depth=1
	ds_load_b64 v[40:41], v62 offset:17664
	ds_load_b64 v[42:43], v65
	s_wait_dscnt 0x0
	v_fma_f64 v[38:39], -v[40:41], v[42:43], v[38:39]
.LBB25_430:                             ;   in Loop: Header=BB25_3 Depth=1
	s_or_b32 exec_lo, exec_lo, s8
	s_barrier_signal -1
	s_barrier_wait -1
	s_and_saveexec_b32 s8, s36
; %bb.431:                              ;   in Loop: Header=BB25_3 Depth=1
	s_delay_alu instid0(VALU_DEP_1) | instskip(NEXT) | instid1(VALU_DEP_2)
	v_xor_b32_e32 v41, 0x80000000, v39
	v_mov_b32_e32 v40, v38
	ds_store_b64 v65, v[40:41]
; %bb.432:                              ;   in Loop: Header=BB25_3 Depth=1
	s_or_b32 exec_lo, exec_lo, s8
	s_wait_dscnt 0x0
	;; [unrolled: 22-line block ×3, first 2 shown]
	s_barrier_signal -1
	s_barrier_wait -1
	s_barrier_signal -1
	s_barrier_wait -1
	s_and_saveexec_b32 s8, s1
; %bb.437:                              ;   in Loop: Header=BB25_3 Depth=1
	ds_store_b64 v67, v[38:39] offset:20224
; %bb.438:                              ;   in Loop: Header=BB25_3 Depth=1
	s_or_b32 exec_lo, exec_lo, s8
	s_wait_dscnt 0x0
	s_barrier_signal -1
	s_barrier_wait -1
	s_barrier_signal -1
	s_barrier_wait -1
	s_and_saveexec_b32 s8, s10
; %bb.439:                              ;   in Loop: Header=BB25_3 Depth=1
	v_add_nc_u32_e64 v38, 0x4000, 0
	ds_store_2addr_b64 v38, v[26:27], v[26:27] offset0:162 offset1:227
; %bb.440:                              ;   in Loop: Header=BB25_3 Depth=1
	s_or_b32 exec_lo, exec_lo, s8
	v_mov_b64_e32 v[38:39], 0
	s_wait_dscnt 0x0
	s_barrier_signal -1
	s_barrier_wait -1
	global_wb scope:SCOPE_DEV
	s_wait_storecnt 0x0
	global_inv scope:SCOPE_DEV
	s_and_saveexec_b32 s8, s0
	s_cbranch_execz .LBB25_444
; %bb.441:                              ;   in Loop: Header=BB25_3 Depth=1
	ds_load_b64 v[38:39], v60 offset:17664
	ds_load_b64 v[40:41], v5 offset:18192
	s_wait_dscnt 0x0
	v_fma_f64 v[38:39], v[38:39], v[40:41], 0
	s_and_saveexec_b32 s29, s11
	s_cbranch_execz .LBB25_443
; %bb.442:                              ;   in Loop: Header=BB25_3 Depth=1
	ds_load_b64 v[40:41], v46 offset:18176
	ds_load_b64 v[42:43], v7 offset:18200
	s_wait_dscnt 0x0
	v_fmac_f64_e32 v[38:39], v[40:41], v[42:43]
.LBB25_443:                             ;   in Loop: Header=BB25_3 Depth=1
	s_or_b32 exec_lo, exec_lo, s29
.LBB25_444:                             ;   in Loop: Header=BB25_3 Depth=1
	s_delay_alu instid0(SALU_CYCLE_1)
	s_or_b32 exec_lo, exec_lo, s8
	s_and_saveexec_b32 s8, s104
; %bb.445:                              ;   in Loop: Header=BB25_3 Depth=1
	s_delay_alu instid0(VALU_DEP_1) | instskip(NEXT) | instid1(VALU_DEP_2)
	v_xor_b32_e32 v41, 0x80000000, v39
	v_mov_b32_e32 v40, v38
	ds_store_b64 v61, v[40:41]
; %bb.446:                              ;   in Loop: Header=BB25_3 Depth=1
	s_or_b32 exec_lo, exec_lo, s8
	s_wait_loadcnt_dscnt 0x0
	s_barrier_signal -1
	s_barrier_wait -1
	s_and_saveexec_b32 s8, vcc_hi
	s_cbranch_execz .LBB25_448
; %bb.447:                              ;   in Loop: Header=BB25_3 Depth=1
	ds_load_b64 v[40:41], v7 offset:17152
	ds_load_b64 v[42:43], v61
	s_wait_dscnt 0x0
	v_fma_f64 v[38:39], -v[40:41], v[42:43], v[38:39]
.LBB25_448:                             ;   in Loop: Header=BB25_3 Depth=1
	s_or_b32 exec_lo, exec_lo, s8
	s_barrier_signal -1
	s_barrier_wait -1
	s_and_saveexec_b32 s8, vcc_hi
; %bb.449:                              ;   in Loop: Header=BB25_3 Depth=1
	s_delay_alu instid0(VALU_DEP_1) | instskip(NEXT) | instid1(VALU_DEP_2)
	v_xor_b32_e32 v41, 0x80000000, v39
	v_mov_b32_e32 v40, v38
	ds_store_b64 v61, v[40:41]
; %bb.450:                              ;   in Loop: Header=BB25_3 Depth=1
	s_or_b32 exec_lo, exec_lo, s8
	s_wait_dscnt 0x0
	s_barrier_signal -1
	s_barrier_wait -1
	s_barrier_signal -1
	s_barrier_wait -1
	s_and_saveexec_b32 s8, s0
; %bb.451:                              ;   in Loop: Header=BB25_3 Depth=1
	ds_store_b64 v63, v[38:39] offset:18176
; %bb.452:                              ;   in Loop: Header=BB25_3 Depth=1
	s_or_b32 exec_lo, exec_lo, s8
	s_wait_dscnt 0x0
	s_barrier_signal -1
	s_barrier_wait -1
	s_barrier_signal -1
	s_barrier_wait -1
	s_and_saveexec_b32 s8, s10
; %bb.453:                              ;   in Loop: Header=BB25_3 Depth=1
	v_add_nc_u32_e64 v38, 0x4000, 0
	ds_store_2addr_b64 v38, v[26:27], v[26:27] offset0:32 offset1:97
; %bb.454:                              ;   in Loop: Header=BB25_3 Depth=1
	s_or_b32 exec_lo, exec_lo, s8
	v_mov_b64_e32 v[38:39], 0
	s_wait_dscnt 0x0
	s_barrier_signal -1
	s_barrier_wait -1
	global_wb scope:SCOPE_DEV
	s_wait_storecnt 0x0
	global_inv scope:SCOPE_DEV
	s_and_saveexec_b32 s96, s30
	s_cbranch_execz .LBB25_516
; %bb.455:                              ;   in Loop: Header=BB25_3 Depth=1
	ds_load_b64 v[38:39], v51 offset:16384
	ds_load_b64 v[40:41], v52 offset:32512
	s_wait_dscnt 0x0
	v_fma_f64 v[38:39], v[38:39], v[40:41], 0
	s_mov_b32 s8, exec_lo
	v_readlane_b32 s29, v85, 6
	s_and_b32 s29, s8, s29
	s_delay_alu instid0(SALU_CYCLE_1)
	s_mov_b32 exec_lo, s29
	s_cbranch_execz .LBB25_457
; %bb.456:                              ;   in Loop: Header=BB25_3 Depth=1
	ds_load_b64 v[40:41], v51 offset:16896
	ds_load_b64 v[42:43], v52 offset:32520
	s_wait_dscnt 0x0
	v_fmac_f64_e32 v[38:39], v[40:41], v[42:43]
.LBB25_457:                             ;   in Loop: Header=BB25_3 Depth=1
	s_or_b32 exec_lo, exec_lo, s8
	s_delay_alu instid0(SALU_CYCLE_1) | instskip(SKIP_2) | instid1(SALU_CYCLE_1)
	s_mov_b32 s8, exec_lo
	v_readlane_b32 s29, v85, 7
	s_and_b32 s29, s8, s29
	s_mov_b32 exec_lo, s29
	s_cbranch_execz .LBB25_459
; %bb.458:                              ;   in Loop: Header=BB25_3 Depth=1
	ds_load_b64 v[40:41], v51 offset:17408
	ds_load_b64 v[42:43], v52 offset:32528
	s_wait_dscnt 0x0
	v_fmac_f64_e32 v[38:39], v[40:41], v[42:43]
.LBB25_459:                             ;   in Loop: Header=BB25_3 Depth=1
	s_or_b32 exec_lo, exec_lo, s8
	s_delay_alu instid0(SALU_CYCLE_1) | instskip(SKIP_2) | instid1(SALU_CYCLE_1)
	s_mov_b32 s8, exec_lo
	v_readlane_b32 s29, v85, 8
	s_and_b32 s29, s8, s29
	;; [unrolled: 13-line block ×22, first 2 shown]
	s_mov_b32 exec_lo, s29
	s_cbranch_execz .LBB25_501
; %bb.500:                              ;   in Loop: Header=BB25_3 Depth=1
	ds_load_b64 v[40:41], v51 offset:28160
	ds_load_b64 v[42:43], v52 offset:32696
	s_wait_dscnt 0x0
	v_fmac_f64_e32 v[38:39], v[40:41], v[42:43]
.LBB25_501:                             ;   in Loop: Header=BB25_3 Depth=1
	s_or_b32 exec_lo, exec_lo, s8
	s_and_saveexec_b32 s8, s3
	s_cbranch_execz .LBB25_503
; %bb.502:                              ;   in Loop: Header=BB25_3 Depth=1
	ds_load_b64 v[40:41], v51 offset:28672
	ds_load_b64 v[42:43], v52 offset:32704
	s_wait_dscnt 0x0
	v_fmac_f64_e32 v[38:39], v[40:41], v[42:43]
.LBB25_503:                             ;   in Loop: Header=BB25_3 Depth=1
	s_or_b32 exec_lo, exec_lo, s8
	s_delay_alu instid0(SALU_CYCLE_1) | instskip(SKIP_2) | instid1(SALU_CYCLE_1)
	s_mov_b32 s8, exec_lo
	v_readlane_b32 s29, v86, 28
	s_and_b32 s29, s8, s29
	s_mov_b32 exec_lo, s29
	s_cbranch_execz .LBB25_505
; %bb.504:                              ;   in Loop: Header=BB25_3 Depth=1
	ds_load_b64 v[40:41], v51 offset:29184
	ds_load_b64 v[42:43], v52 offset:32712
	s_wait_dscnt 0x0
	v_fmac_f64_e32 v[38:39], v[40:41], v[42:43]
.LBB25_505:                             ;   in Loop: Header=BB25_3 Depth=1
	s_or_b32 exec_lo, exec_lo, s8
	s_delay_alu instid0(SALU_CYCLE_1) | instskip(SKIP_2) | instid1(SALU_CYCLE_1)
	s_mov_b32 s8, exec_lo
	v_readlane_b32 s29, v86, 30
	s_and_b32 s29, s8, s29
	s_mov_b32 exec_lo, s29
	;; [unrolled: 13-line block ×5, first 2 shown]
	s_cbranch_execnz .LBB25_1029
; %bb.512:                              ;   in Loop: Header=BB25_3 Depth=1
	s_or_b32 exec_lo, exec_lo, s8
	s_and_saveexec_b32 s8, s2
	s_cbranch_execnz .LBB25_1030
.LBB25_513:                             ;   in Loop: Header=BB25_3 Depth=1
	s_or_b32 exec_lo, exec_lo, s8
	s_and_saveexec_b32 s8, s17
	s_delay_alu instid0(SALU_CYCLE_1)
	s_xor_b32 s8, exec_lo, s8
	s_cbranch_execz .LBB25_515
.LBB25_514:                             ;   in Loop: Header=BB25_3 Depth=1
	ds_load_b64 v[40:41], v46 offset:32256
	ds_load_b64 v[42:43], v7 offset:32760
	s_wait_dscnt 0x0
	v_fmac_f64_e32 v[38:39], v[40:41], v[42:43]
.LBB25_515:                             ;   in Loop: Header=BB25_3 Depth=1
	s_or_b32 exec_lo, exec_lo, s8
.LBB25_516:                             ;   in Loop: Header=BB25_3 Depth=1
	s_delay_alu instid0(SALU_CYCLE_1)
	s_or_b32 exec_lo, exec_lo, s96
	v_dual_mov_b32 v40, v76 :: v_dual_mov_b32 v41, v75
	s_mov_b32 s8, 31
	s_branch .LBB25_518
.LBB25_517:                             ;   in Loop: Header=BB25_518 Depth=2
	s_or_b32 exec_lo, exec_lo, s29
	v_add_nc_u32_e32 v41, 0xfffff800, v41
	v_add_nc_u32_e32 v40, 4, v40
	s_add_co_i32 s8, s8, -4
	s_cmp_eq_u32 s65, 0
	s_barrier_signal -1
	s_barrier_wait -1
	s_cbranch_scc1 .LBB25_534
.LBB25_518:                             ;   Parent Loop BB25_3 Depth=1
                                        ; =>  This Inner Loop Header: Depth=2
	s_delay_alu instid0(VALU_DEP_1) | instskip(SKIP_1) | instid1(SALU_CYCLE_1)
	v_cmp_eq_u32_e32 vcc_lo, 0, v40
	s_and_b32 s57, s6, vcc_lo
	s_and_saveexec_b32 s29, s57
; %bb.519:                              ;   in Loop: Header=BB25_518 Depth=2
	s_delay_alu instid0(VALU_DEP_3) | instskip(NEXT) | instid1(VALU_DEP_4)
	v_xor_b32_e32 v43, 0x80000000, v39
	v_mov_b32_e32 v42, v38
	ds_store_b64 v72, v[42:43]
; %bb.520:                              ;   in Loop: Header=BB25_518 Depth=2
	s_or_b32 exec_lo, exec_lo, s29
	v_cmp_gt_u32_e32 vcc_lo, s8, v48
	s_wait_loadcnt_dscnt 0x0
	s_barrier_signal -1
	s_barrier_wait -1
	s_and_b32 s57, s6, vcc_lo
	s_delay_alu instid0(SALU_CYCLE_1)
	s_and_saveexec_b32 s29, s57
	s_cbranch_execz .LBB25_522
; %bb.521:                              ;   in Loop: Header=BB25_518 Depth=2
	ds_load_b64 v[42:43], v41 offset:1536
	ds_load_b64 v[44:45], v72
	s_wait_dscnt 0x0
	v_fma_f64 v[38:39], -v[42:43], v[44:45], v[38:39]
.LBB25_522:                             ;   in Loop: Header=BB25_518 Depth=2
	s_or_b32 exec_lo, exec_lo, s29
	s_add_co_i32 s29, s8, -1
	s_delay_alu instid0(SALU_CYCLE_1) | instskip(SKIP_3) | instid1(SALU_CYCLE_1)
	v_cmp_eq_u32_e32 vcc_lo, s29, v48
	s_barrier_signal -1
	s_barrier_wait -1
	s_and_b32 s58, s6, vcc_lo
	s_and_saveexec_b32 s57, s58
; %bb.523:                              ;   in Loop: Header=BB25_518 Depth=2
	s_delay_alu instid0(VALU_DEP_2) | instskip(NEXT) | instid1(VALU_DEP_3)
	v_xor_b32_e32 v43, 0x80000000, v39
	v_mov_b32_e32 v42, v38
	ds_store_b64 v72, v[42:43]
; %bb.524:                              ;   in Loop: Header=BB25_518 Depth=2
	s_or_b32 exec_lo, exec_lo, s57
	v_cmp_gt_u32_e32 vcc_lo, s29, v48
	s_wait_dscnt 0x0
	s_barrier_signal -1
	s_barrier_wait -1
	s_and_b32 s57, s6, vcc_lo
	s_delay_alu instid0(SALU_CYCLE_1)
	s_and_saveexec_b32 s29, s57
	s_cbranch_execz .LBB25_526
; %bb.525:                              ;   in Loop: Header=BB25_518 Depth=2
	ds_load_b64 v[42:43], v41 offset:1024
	ds_load_b64 v[44:45], v72
	s_wait_dscnt 0x0
	v_fma_f64 v[38:39], -v[42:43], v[44:45], v[38:39]
.LBB25_526:                             ;   in Loop: Header=BB25_518 Depth=2
	s_or_b32 exec_lo, exec_lo, s29
	s_add_co_i32 s29, s8, -2
	s_delay_alu instid0(SALU_CYCLE_1) | instskip(SKIP_3) | instid1(SALU_CYCLE_1)
	v_cmp_eq_u32_e32 vcc_lo, s29, v48
	s_barrier_signal -1
	s_barrier_wait -1
	s_and_b32 s58, s6, vcc_lo
	s_and_saveexec_b32 s57, s58
; %bb.527:                              ;   in Loop: Header=BB25_518 Depth=2
	s_delay_alu instid0(VALU_DEP_2) | instskip(NEXT) | instid1(VALU_DEP_3)
	v_xor_b32_e32 v43, 0x80000000, v39
	v_mov_b32_e32 v42, v38
	ds_store_b64 v72, v[42:43]
; %bb.528:                              ;   in Loop: Header=BB25_518 Depth=2
	s_or_b32 exec_lo, exec_lo, s57
	v_cmp_gt_u32_e32 vcc_lo, s29, v48
	s_wait_dscnt 0x0
	;; [unrolled: 29-line block ×3, first 2 shown]
	s_barrier_signal -1
	s_barrier_wait -1
	s_and_b32 s57, s6, vcc_lo
	s_delay_alu instid0(SALU_CYCLE_1)
	s_and_saveexec_b32 s29, s57
	s_cbranch_execz .LBB25_517
; %bb.533:                              ;   in Loop: Header=BB25_518 Depth=2
	ds_load_b64 v[42:43], v41
	ds_load_b64 v[44:45], v72
	s_wait_dscnt 0x0
	v_fma_f64 v[38:39], -v[42:43], v[44:45], v[38:39]
	s_branch .LBB25_517
.LBB25_534:                             ;   in Loop: Header=BB25_3 Depth=1
	s_and_saveexec_b32 s8, s30
; %bb.535:                              ;   in Loop: Header=BB25_3 Depth=1
	ds_store_b64 v73, v[38:39] offset:32256
; %bb.536:                              ;   in Loop: Header=BB25_3 Depth=1
	s_or_b32 exec_lo, exec_lo, s8
	s_wait_dscnt 0x0
	s_barrier_signal -1
	s_barrier_wait -1
	s_barrier_signal -1
	s_barrier_wait -1
	s_and_saveexec_b32 s8, s10
; %bb.537:                              ;   in Loop: Header=BB25_3 Depth=1
	v_add_nc_u32_e64 v38, 0x3800, 0
	ds_store_2addr_b64 v38, v[26:27], v[26:27] offset0:158 offset1:223
; %bb.538:                              ;   in Loop: Header=BB25_3 Depth=1
	s_or_b32 exec_lo, exec_lo, s8
	v_mov_b64_e32 v[38:39], 0
	s_wait_dscnt 0x0
	s_barrier_signal -1
	s_barrier_wait -1
	global_wb scope:SCOPE_DEV
	s_wait_storecnt 0x0
	global_inv scope:SCOPE_DEV
	s_and_saveexec_b32 s8, s0
	s_cbranch_execz .LBB25_542
; %bb.539:                              ;   in Loop: Header=BB25_3 Depth=1
	ds_load_b64 v[38:39], v60 offset:15584
	ds_load_b64 v[40:41], v5 offset:16112
	s_wait_dscnt 0x0
	v_fma_f64 v[38:39], v[38:39], v[40:41], 0
	s_and_saveexec_b32 s29, s11
	s_cbranch_execz .LBB25_541
; %bb.540:                              ;   in Loop: Header=BB25_3 Depth=1
	ds_load_b64 v[40:41], v46 offset:16096
	ds_load_b64 v[42:43], v7 offset:16120
	s_wait_dscnt 0x0
	v_fmac_f64_e32 v[38:39], v[40:41], v[42:43]
.LBB25_541:                             ;   in Loop: Header=BB25_3 Depth=1
	s_or_b32 exec_lo, exec_lo, s29
.LBB25_542:                             ;   in Loop: Header=BB25_3 Depth=1
	s_delay_alu instid0(SALU_CYCLE_1)
	s_or_b32 exec_lo, exec_lo, s8
	s_and_saveexec_b32 s8, s104
; %bb.543:                              ;   in Loop: Header=BB25_3 Depth=1
	s_delay_alu instid0(VALU_DEP_1) | instskip(NEXT) | instid1(VALU_DEP_2)
	v_xor_b32_e32 v41, 0x80000000, v39
	v_mov_b32_e32 v40, v38
	ds_store_b64 v61, v[40:41]
; %bb.544:                              ;   in Loop: Header=BB25_3 Depth=1
	s_or_b32 exec_lo, exec_lo, s8
	s_wait_loadcnt_dscnt 0x0
	s_barrier_signal -1
	s_barrier_wait -1
	s_and_saveexec_b32 s8, vcc_hi
	s_cbranch_execz .LBB25_546
; %bb.545:                              ;   in Loop: Header=BB25_3 Depth=1
	ds_load_b64 v[40:41], v7 offset:15072
	ds_load_b64 v[42:43], v61
	s_wait_dscnt 0x0
	v_fma_f64 v[38:39], -v[40:41], v[42:43], v[38:39]
.LBB25_546:                             ;   in Loop: Header=BB25_3 Depth=1
	s_or_b32 exec_lo, exec_lo, s8
	s_barrier_signal -1
	s_barrier_wait -1
	s_and_saveexec_b32 s8, vcc_hi
; %bb.547:                              ;   in Loop: Header=BB25_3 Depth=1
	s_delay_alu instid0(VALU_DEP_1) | instskip(NEXT) | instid1(VALU_DEP_2)
	v_xor_b32_e32 v41, 0x80000000, v39
	v_mov_b32_e32 v40, v38
	ds_store_b64 v61, v[40:41]
; %bb.548:                              ;   in Loop: Header=BB25_3 Depth=1
	s_or_b32 exec_lo, exec_lo, s8
	s_wait_dscnt 0x0
	s_barrier_signal -1
	s_barrier_wait -1
	s_barrier_signal -1
	s_barrier_wait -1
	s_and_saveexec_b32 s8, s0
; %bb.549:                              ;   in Loop: Header=BB25_3 Depth=1
	ds_store_b64 v63, v[38:39] offset:16096
; %bb.550:                              ;   in Loop: Header=BB25_3 Depth=1
	s_or_b32 exec_lo, exec_lo, s8
	s_wait_dscnt 0x0
	s_barrier_signal -1
	s_barrier_wait -1
	s_barrier_signal -1
	s_barrier_wait -1
	s_and_saveexec_b32 s8, s10
; %bb.551:                              ;   in Loop: Header=BB25_3 Depth=1
	v_add_nc_u32_e64 v38, 0x3800, 0
	ds_store_2addr_b64 v38, v[26:27], v[26:27] offset0:28 offset1:93
; %bb.552:                              ;   in Loop: Header=BB25_3 Depth=1
	s_or_b32 exec_lo, exec_lo, s8
	v_mov_b64_e32 v[38:39], 0
	s_wait_dscnt 0x0
	s_barrier_signal -1
	s_barrier_wait -1
	global_wb scope:SCOPE_DEV
	s_wait_storecnt 0x0
	global_inv scope:SCOPE_DEV
	s_and_saveexec_b32 s8, s1
	s_cbranch_execz .LBB25_558
; %bb.553:                              ;   in Loop: Header=BB25_3 Depth=1
	ds_load_b64 v[38:39], v62 offset:14528
	ds_load_b64 v[40:41], v47 offset:16096
	s_wait_dscnt 0x0
	v_fma_f64 v[38:39], v[38:39], v[40:41], 0
	s_and_saveexec_b32 s29, s12
	s_cbranch_execnz .LBB25_1031
; %bb.554:                              ;   in Loop: Header=BB25_3 Depth=1
	s_or_b32 exec_lo, exec_lo, s29
	s_and_saveexec_b32 s29, s13
	s_cbranch_execnz .LBB25_1032
.LBB25_555:                             ;   in Loop: Header=BB25_3 Depth=1
	s_or_b32 exec_lo, exec_lo, s29
	s_and_saveexec_b32 s29, s0
	s_cbranch_execz .LBB25_557
.LBB25_556:                             ;   in Loop: Header=BB25_3 Depth=1
	ds_load_b64 v[40:41], v46 offset:16064
	ds_load_b64 v[42:43], v7 offset:16120
	s_wait_dscnt 0x0
	v_fmac_f64_e32 v[38:39], v[40:41], v[42:43]
.LBB25_557:                             ;   in Loop: Header=BB25_3 Depth=1
	s_or_b32 exec_lo, exec_lo, s29
.LBB25_558:                             ;   in Loop: Header=BB25_3 Depth=1
	s_delay_alu instid0(SALU_CYCLE_1)
	s_or_b32 exec_lo, exec_lo, s8
	s_and_saveexec_b32 s8, s31
; %bb.559:                              ;   in Loop: Header=BB25_3 Depth=1
	s_delay_alu instid0(VALU_DEP_1) | instskip(NEXT) | instid1(VALU_DEP_2)
	v_xor_b32_e32 v41, 0x80000000, v39
	v_mov_b32_e32 v40, v38
	ds_store_b64 v65, v[40:41]
; %bb.560:                              ;   in Loop: Header=BB25_3 Depth=1
	s_or_b32 exec_lo, exec_lo, s8
	s_wait_loadcnt_dscnt 0x0
	s_barrier_signal -1
	s_barrier_wait -1
	s_and_saveexec_b32 s8, s33
	s_cbranch_execz .LBB25_562
; %bb.561:                              ;   in Loop: Header=BB25_3 Depth=1
	ds_load_b64 v[40:41], v62 offset:14016
	ds_load_b64 v[42:43], v65
	s_wait_dscnt 0x0
	v_fma_f64 v[38:39], -v[40:41], v[42:43], v[38:39]
.LBB25_562:                             ;   in Loop: Header=BB25_3 Depth=1
	s_or_b32 exec_lo, exec_lo, s8
	s_barrier_signal -1
	s_barrier_wait -1
	s_and_saveexec_b32 s8, s34
; %bb.563:                              ;   in Loop: Header=BB25_3 Depth=1
	s_delay_alu instid0(VALU_DEP_1) | instskip(NEXT) | instid1(VALU_DEP_2)
	v_xor_b32_e32 v41, 0x80000000, v39
	v_mov_b32_e32 v40, v38
	ds_store_b64 v65, v[40:41]
; %bb.564:                              ;   in Loop: Header=BB25_3 Depth=1
	s_or_b32 exec_lo, exec_lo, s8
	s_wait_dscnt 0x0
	s_barrier_signal -1
	s_barrier_wait -1
	s_and_saveexec_b32 s8, s35
	s_cbranch_execz .LBB25_566
; %bb.565:                              ;   in Loop: Header=BB25_3 Depth=1
	ds_load_b64 v[40:41], v62 offset:13504
	ds_load_b64 v[42:43], v65
	s_wait_dscnt 0x0
	v_fma_f64 v[38:39], -v[40:41], v[42:43], v[38:39]
.LBB25_566:                             ;   in Loop: Header=BB25_3 Depth=1
	s_or_b32 exec_lo, exec_lo, s8
	s_barrier_signal -1
	s_barrier_wait -1
	s_and_saveexec_b32 s8, s36
; %bb.567:                              ;   in Loop: Header=BB25_3 Depth=1
	s_delay_alu instid0(VALU_DEP_1) | instskip(NEXT) | instid1(VALU_DEP_2)
	v_xor_b32_e32 v41, 0x80000000, v39
	v_mov_b32_e32 v40, v38
	ds_store_b64 v65, v[40:41]
; %bb.568:                              ;   in Loop: Header=BB25_3 Depth=1
	s_or_b32 exec_lo, exec_lo, s8
	s_wait_dscnt 0x0
	;; [unrolled: 22-line block ×3, first 2 shown]
	s_barrier_signal -1
	s_barrier_wait -1
	s_barrier_signal -1
	s_barrier_wait -1
	s_and_saveexec_b32 s8, s1
; %bb.573:                              ;   in Loop: Header=BB25_3 Depth=1
	ds_store_b64 v67, v[38:39] offset:16064
; %bb.574:                              ;   in Loop: Header=BB25_3 Depth=1
	s_or_b32 exec_lo, exec_lo, s8
	s_wait_dscnt 0x0
	s_barrier_signal -1
	s_barrier_wait -1
	s_barrier_signal -1
	s_barrier_wait -1
	s_and_saveexec_b32 s8, s10
; %bb.575:                              ;   in Loop: Header=BB25_3 Depth=1
	v_add_nc_u32_e64 v38, 0x3000, 0
	ds_store_2addr_b64 v38, v[26:27], v[26:27] offset0:154 offset1:219
; %bb.576:                              ;   in Loop: Header=BB25_3 Depth=1
	s_or_b32 exec_lo, exec_lo, s8
	v_mov_b64_e32 v[38:39], 0
	s_wait_dscnt 0x0
	s_barrier_signal -1
	s_barrier_wait -1
	global_wb scope:SCOPE_DEV
	s_wait_storecnt 0x0
	global_inv scope:SCOPE_DEV
	s_and_saveexec_b32 s8, s0
	s_cbranch_execz .LBB25_580
; %bb.577:                              ;   in Loop: Header=BB25_3 Depth=1
	ds_load_b64 v[38:39], v60 offset:13504
	ds_load_b64 v[40:41], v5 offset:14032
	s_wait_dscnt 0x0
	v_fma_f64 v[38:39], v[38:39], v[40:41], 0
	s_and_saveexec_b32 s29, s11
	s_cbranch_execz .LBB25_579
; %bb.578:                              ;   in Loop: Header=BB25_3 Depth=1
	ds_load_b64 v[40:41], v46 offset:14016
	ds_load_b64 v[42:43], v7 offset:14040
	s_wait_dscnt 0x0
	v_fmac_f64_e32 v[38:39], v[40:41], v[42:43]
.LBB25_579:                             ;   in Loop: Header=BB25_3 Depth=1
	s_or_b32 exec_lo, exec_lo, s29
.LBB25_580:                             ;   in Loop: Header=BB25_3 Depth=1
	s_delay_alu instid0(SALU_CYCLE_1)
	s_or_b32 exec_lo, exec_lo, s8
	s_and_saveexec_b32 s8, s104
; %bb.581:                              ;   in Loop: Header=BB25_3 Depth=1
	s_delay_alu instid0(VALU_DEP_1) | instskip(NEXT) | instid1(VALU_DEP_2)
	v_xor_b32_e32 v41, 0x80000000, v39
	v_mov_b32_e32 v40, v38
	ds_store_b64 v61, v[40:41]
; %bb.582:                              ;   in Loop: Header=BB25_3 Depth=1
	s_or_b32 exec_lo, exec_lo, s8
	s_wait_loadcnt_dscnt 0x0
	s_barrier_signal -1
	s_barrier_wait -1
	s_and_saveexec_b32 s8, vcc_hi
	s_cbranch_execz .LBB25_584
; %bb.583:                              ;   in Loop: Header=BB25_3 Depth=1
	ds_load_b64 v[40:41], v7 offset:12992
	ds_load_b64 v[42:43], v61
	s_wait_dscnt 0x0
	v_fma_f64 v[38:39], -v[40:41], v[42:43], v[38:39]
.LBB25_584:                             ;   in Loop: Header=BB25_3 Depth=1
	s_or_b32 exec_lo, exec_lo, s8
	s_barrier_signal -1
	s_barrier_wait -1
	s_and_saveexec_b32 s8, vcc_hi
; %bb.585:                              ;   in Loop: Header=BB25_3 Depth=1
	s_delay_alu instid0(VALU_DEP_1) | instskip(NEXT) | instid1(VALU_DEP_2)
	v_xor_b32_e32 v41, 0x80000000, v39
	v_mov_b32_e32 v40, v38
	ds_store_b64 v61, v[40:41]
; %bb.586:                              ;   in Loop: Header=BB25_3 Depth=1
	s_or_b32 exec_lo, exec_lo, s8
	s_wait_dscnt 0x0
	s_barrier_signal -1
	s_barrier_wait -1
	s_barrier_signal -1
	s_barrier_wait -1
	s_and_saveexec_b32 s8, s0
; %bb.587:                              ;   in Loop: Header=BB25_3 Depth=1
	ds_store_b64 v63, v[38:39] offset:14016
; %bb.588:                              ;   in Loop: Header=BB25_3 Depth=1
	s_or_b32 exec_lo, exec_lo, s8
	s_wait_dscnt 0x0
	s_barrier_signal -1
	s_barrier_wait -1
	s_barrier_signal -1
	s_barrier_wait -1
	s_and_saveexec_b32 s8, s10
; %bb.589:                              ;   in Loop: Header=BB25_3 Depth=1
	v_add_nc_u32_e64 v38, 0x3000, 0
	ds_store_2addr_b64 v38, v[26:27], v[26:27] offset0:24 offset1:89
; %bb.590:                              ;   in Loop: Header=BB25_3 Depth=1
	s_or_b32 exec_lo, exec_lo, s8
	v_mov_b64_e32 v[38:39], 0
	s_wait_dscnt 0x0
	s_barrier_signal -1
	s_barrier_wait -1
	global_wb scope:SCOPE_DEV
	s_wait_storecnt 0x0
	global_inv scope:SCOPE_DEV
	s_and_saveexec_b32 s8, s2
	s_cbranch_execz .LBB25_600
; %bb.591:                              ;   in Loop: Header=BB25_3 Depth=1
	ds_load_b64 v[38:39], v64 offset:12416
	ds_load_b64 v[40:41], v49 offset:16064
	s_wait_dscnt 0x0
	v_fma_f64 v[38:39], v[38:39], v[40:41], 0
	s_and_saveexec_b32 s29, s14
	s_cbranch_execnz .LBB25_1033
; %bb.592:                              ;   in Loop: Header=BB25_3 Depth=1
	s_or_b32 exec_lo, exec_lo, s29
	s_and_saveexec_b32 s29, s15
	s_cbranch_execnz .LBB25_1034
.LBB25_593:                             ;   in Loop: Header=BB25_3 Depth=1
	s_or_b32 exec_lo, exec_lo, s29
	s_and_saveexec_b32 s29, s16
	s_cbranch_execnz .LBB25_1035
.LBB25_594:                             ;   in Loop: Header=BB25_3 Depth=1
	s_or_b32 exec_lo, exec_lo, s29
	s_and_saveexec_b32 s29, s17
	s_cbranch_execnz .LBB25_1036
.LBB25_595:                             ;   in Loop: Header=BB25_3 Depth=1
	s_or_b32 exec_lo, exec_lo, s29
	s_and_saveexec_b32 s29, s18
	s_cbranch_execnz .LBB25_1037
.LBB25_596:                             ;   in Loop: Header=BB25_3 Depth=1
	s_or_b32 exec_lo, exec_lo, s29
	s_and_saveexec_b32 s29, s1
	s_cbranch_execnz .LBB25_1038
.LBB25_597:                             ;   in Loop: Header=BB25_3 Depth=1
	s_or_b32 exec_lo, exec_lo, s29
	s_and_saveexec_b32 s29, s13
	s_cbranch_execz .LBB25_599
.LBB25_598:                             ;   in Loop: Header=BB25_3 Depth=1
	ds_load_b64 v[40:41], v46 offset:16000
	ds_load_b64 v[42:43], v7 offset:16120
	s_wait_dscnt 0x0
	v_fmac_f64_e32 v[38:39], v[40:41], v[42:43]
.LBB25_599:                             ;   in Loop: Header=BB25_3 Depth=1
	s_or_b32 exec_lo, exec_lo, s29
.LBB25_600:                             ;   in Loop: Header=BB25_3 Depth=1
	s_delay_alu instid0(SALU_CYCLE_1)
	s_or_b32 exec_lo, exec_lo, s8
	s_and_saveexec_b32 s8, s38
; %bb.601:                              ;   in Loop: Header=BB25_3 Depth=1
	s_delay_alu instid0(VALU_DEP_1) | instskip(NEXT) | instid1(VALU_DEP_2)
	v_xor_b32_e32 v41, 0x80000000, v39
	v_mov_b32_e32 v40, v38
	ds_store_b64 v68, v[40:41]
; %bb.602:                              ;   in Loop: Header=BB25_3 Depth=1
	s_or_b32 exec_lo, exec_lo, s8
	s_wait_loadcnt_dscnt 0x0
	s_barrier_signal -1
	s_barrier_wait -1
	s_and_saveexec_b32 s8, s39
	s_cbranch_execz .LBB25_604
; %bb.603:                              ;   in Loop: Header=BB25_3 Depth=1
	ds_load_b64 v[40:41], v64 offset:11904
	ds_load_b64 v[42:43], v68
	s_wait_dscnt 0x0
	v_fma_f64 v[38:39], -v[40:41], v[42:43], v[38:39]
.LBB25_604:                             ;   in Loop: Header=BB25_3 Depth=1
	s_or_b32 exec_lo, exec_lo, s8
	s_barrier_signal -1
	s_barrier_wait -1
	s_and_saveexec_b32 s8, s40
; %bb.605:                              ;   in Loop: Header=BB25_3 Depth=1
	s_delay_alu instid0(VALU_DEP_1) | instskip(NEXT) | instid1(VALU_DEP_2)
	v_xor_b32_e32 v41, 0x80000000, v39
	v_mov_b32_e32 v40, v38
	ds_store_b64 v68, v[40:41]
; %bb.606:                              ;   in Loop: Header=BB25_3 Depth=1
	s_or_b32 exec_lo, exec_lo, s8
	s_wait_dscnt 0x0
	s_barrier_signal -1
	s_barrier_wait -1
	s_and_saveexec_b32 s8, s41
	s_cbranch_execz .LBB25_608
; %bb.607:                              ;   in Loop: Header=BB25_3 Depth=1
	ds_load_b64 v[40:41], v64 offset:11392
	ds_load_b64 v[42:43], v68
	s_wait_dscnt 0x0
	v_fma_f64 v[38:39], -v[40:41], v[42:43], v[38:39]
.LBB25_608:                             ;   in Loop: Header=BB25_3 Depth=1
	s_or_b32 exec_lo, exec_lo, s8
	s_barrier_signal -1
	s_barrier_wait -1
	s_and_saveexec_b32 s8, s42
; %bb.609:                              ;   in Loop: Header=BB25_3 Depth=1
	s_delay_alu instid0(VALU_DEP_1) | instskip(NEXT) | instid1(VALU_DEP_2)
	v_xor_b32_e32 v41, 0x80000000, v39
	v_mov_b32_e32 v40, v38
	ds_store_b64 v68, v[40:41]
; %bb.610:                              ;   in Loop: Header=BB25_3 Depth=1
	s_or_b32 exec_lo, exec_lo, s8
	s_wait_dscnt 0x0
	;; [unrolled: 22-line block ×7, first 2 shown]
	s_barrier_signal -1
	s_barrier_wait -1
	s_barrier_signal -1
	s_barrier_wait -1
	s_and_saveexec_b32 s8, s2
; %bb.631:                              ;   in Loop: Header=BB25_3 Depth=1
	ds_store_b64 v69, v[38:39] offset:16000
; %bb.632:                              ;   in Loop: Header=BB25_3 Depth=1
	s_or_b32 exec_lo, exec_lo, s8
	s_wait_dscnt 0x0
	s_barrier_signal -1
	s_barrier_wait -1
	s_barrier_signal -1
	s_barrier_wait -1
	s_and_saveexec_b32 s8, s10
; %bb.633:                              ;   in Loop: Header=BB25_3 Depth=1
	v_add_nc_u32_e64 v38, 0x2800, 0
	ds_store_2addr_b64 v38, v[26:27], v[26:27] offset0:150 offset1:215
; %bb.634:                              ;   in Loop: Header=BB25_3 Depth=1
	s_or_b32 exec_lo, exec_lo, s8
	v_mov_b64_e32 v[38:39], 0
	s_wait_dscnt 0x0
	s_barrier_signal -1
	s_barrier_wait -1
	global_wb scope:SCOPE_DEV
	s_wait_storecnt 0x0
	global_inv scope:SCOPE_DEV
	s_and_saveexec_b32 s8, s0
	s_cbranch_execz .LBB25_638
; %bb.635:                              ;   in Loop: Header=BB25_3 Depth=1
	ds_load_b64 v[38:39], v60 offset:11424
	ds_load_b64 v[40:41], v5 offset:11952
	s_wait_dscnt 0x0
	v_fma_f64 v[38:39], v[38:39], v[40:41], 0
	s_and_saveexec_b32 s29, s11
	s_cbranch_execz .LBB25_637
; %bb.636:                              ;   in Loop: Header=BB25_3 Depth=1
	ds_load_b64 v[40:41], v46 offset:11936
	ds_load_b64 v[42:43], v7 offset:11960
	s_wait_dscnt 0x0
	v_fmac_f64_e32 v[38:39], v[40:41], v[42:43]
.LBB25_637:                             ;   in Loop: Header=BB25_3 Depth=1
	s_or_b32 exec_lo, exec_lo, s29
.LBB25_638:                             ;   in Loop: Header=BB25_3 Depth=1
	s_delay_alu instid0(SALU_CYCLE_1)
	s_or_b32 exec_lo, exec_lo, s8
	s_and_saveexec_b32 s8, s104
; %bb.639:                              ;   in Loop: Header=BB25_3 Depth=1
	s_delay_alu instid0(VALU_DEP_1) | instskip(NEXT) | instid1(VALU_DEP_2)
	v_xor_b32_e32 v41, 0x80000000, v39
	v_mov_b32_e32 v40, v38
	ds_store_b64 v61, v[40:41]
; %bb.640:                              ;   in Loop: Header=BB25_3 Depth=1
	s_or_b32 exec_lo, exec_lo, s8
	s_wait_loadcnt_dscnt 0x0
	s_barrier_signal -1
	s_barrier_wait -1
	s_and_saveexec_b32 s8, vcc_hi
	s_cbranch_execz .LBB25_642
; %bb.641:                              ;   in Loop: Header=BB25_3 Depth=1
	ds_load_b64 v[40:41], v7 offset:10912
	ds_load_b64 v[42:43], v61
	s_wait_dscnt 0x0
	v_fma_f64 v[38:39], -v[40:41], v[42:43], v[38:39]
.LBB25_642:                             ;   in Loop: Header=BB25_3 Depth=1
	s_or_b32 exec_lo, exec_lo, s8
	s_barrier_signal -1
	s_barrier_wait -1
	s_and_saveexec_b32 s8, vcc_hi
; %bb.643:                              ;   in Loop: Header=BB25_3 Depth=1
	s_delay_alu instid0(VALU_DEP_1) | instskip(NEXT) | instid1(VALU_DEP_2)
	v_xor_b32_e32 v41, 0x80000000, v39
	v_mov_b32_e32 v40, v38
	ds_store_b64 v61, v[40:41]
; %bb.644:                              ;   in Loop: Header=BB25_3 Depth=1
	s_or_b32 exec_lo, exec_lo, s8
	s_wait_dscnt 0x0
	s_barrier_signal -1
	s_barrier_wait -1
	s_barrier_signal -1
	s_barrier_wait -1
	s_and_saveexec_b32 s8, s0
; %bb.645:                              ;   in Loop: Header=BB25_3 Depth=1
	ds_store_b64 v63, v[38:39] offset:11936
; %bb.646:                              ;   in Loop: Header=BB25_3 Depth=1
	s_or_b32 exec_lo, exec_lo, s8
	s_wait_dscnt 0x0
	s_barrier_signal -1
	s_barrier_wait -1
	s_barrier_signal -1
	s_barrier_wait -1
	s_and_saveexec_b32 s8, s10
; %bb.647:                              ;   in Loop: Header=BB25_3 Depth=1
	v_add_nc_u32_e64 v38, 0x2800, 0
	ds_store_2addr_b64 v38, v[26:27], v[26:27] offset0:20 offset1:85
; %bb.648:                              ;   in Loop: Header=BB25_3 Depth=1
	s_or_b32 exec_lo, exec_lo, s8
	v_mov_b64_e32 v[38:39], 0
	s_wait_dscnt 0x0
	s_barrier_signal -1
	s_barrier_wait -1
	global_wb scope:SCOPE_DEV
	s_wait_storecnt 0x0
	global_inv scope:SCOPE_DEV
	s_and_saveexec_b32 s8, s1
	s_cbranch_execz .LBB25_654
; %bb.649:                              ;   in Loop: Header=BB25_3 Depth=1
	ds_load_b64 v[38:39], v62 offset:10368
	ds_load_b64 v[40:41], v47 offset:11936
	s_wait_dscnt 0x0
	v_fma_f64 v[38:39], v[38:39], v[40:41], 0
	s_and_saveexec_b32 s29, s12
	s_cbranch_execnz .LBB25_1039
; %bb.650:                              ;   in Loop: Header=BB25_3 Depth=1
	s_or_b32 exec_lo, exec_lo, s29
	s_and_saveexec_b32 s29, s13
	s_cbranch_execnz .LBB25_1040
.LBB25_651:                             ;   in Loop: Header=BB25_3 Depth=1
	s_or_b32 exec_lo, exec_lo, s29
	s_and_saveexec_b32 s29, s0
	s_cbranch_execz .LBB25_653
.LBB25_652:                             ;   in Loop: Header=BB25_3 Depth=1
	ds_load_b64 v[40:41], v46 offset:11904
	ds_load_b64 v[42:43], v7 offset:11960
	s_wait_dscnt 0x0
	v_fmac_f64_e32 v[38:39], v[40:41], v[42:43]
.LBB25_653:                             ;   in Loop: Header=BB25_3 Depth=1
	s_or_b32 exec_lo, exec_lo, s29
.LBB25_654:                             ;   in Loop: Header=BB25_3 Depth=1
	s_delay_alu instid0(SALU_CYCLE_1)
	s_or_b32 exec_lo, exec_lo, s8
	s_and_saveexec_b32 s8, s31
; %bb.655:                              ;   in Loop: Header=BB25_3 Depth=1
	s_delay_alu instid0(VALU_DEP_1) | instskip(NEXT) | instid1(VALU_DEP_2)
	v_xor_b32_e32 v41, 0x80000000, v39
	v_mov_b32_e32 v40, v38
	ds_store_b64 v65, v[40:41]
; %bb.656:                              ;   in Loop: Header=BB25_3 Depth=1
	s_or_b32 exec_lo, exec_lo, s8
	s_wait_loadcnt_dscnt 0x0
	s_barrier_signal -1
	s_barrier_wait -1
	s_and_saveexec_b32 s8, s33
	s_cbranch_execz .LBB25_658
; %bb.657:                              ;   in Loop: Header=BB25_3 Depth=1
	ds_load_b64 v[40:41], v62 offset:9856
	ds_load_b64 v[42:43], v65
	s_wait_dscnt 0x0
	v_fma_f64 v[38:39], -v[40:41], v[42:43], v[38:39]
.LBB25_658:                             ;   in Loop: Header=BB25_3 Depth=1
	s_or_b32 exec_lo, exec_lo, s8
	s_barrier_signal -1
	s_barrier_wait -1
	s_and_saveexec_b32 s8, s34
; %bb.659:                              ;   in Loop: Header=BB25_3 Depth=1
	s_delay_alu instid0(VALU_DEP_1) | instskip(NEXT) | instid1(VALU_DEP_2)
	v_xor_b32_e32 v41, 0x80000000, v39
	v_mov_b32_e32 v40, v38
	ds_store_b64 v65, v[40:41]
; %bb.660:                              ;   in Loop: Header=BB25_3 Depth=1
	s_or_b32 exec_lo, exec_lo, s8
	s_wait_dscnt 0x0
	s_barrier_signal -1
	s_barrier_wait -1
	s_and_saveexec_b32 s8, s35
	s_cbranch_execz .LBB25_662
; %bb.661:                              ;   in Loop: Header=BB25_3 Depth=1
	ds_load_b64 v[40:41], v62 offset:9344
	ds_load_b64 v[42:43], v65
	s_wait_dscnt 0x0
	v_fma_f64 v[38:39], -v[40:41], v[42:43], v[38:39]
.LBB25_662:                             ;   in Loop: Header=BB25_3 Depth=1
	s_or_b32 exec_lo, exec_lo, s8
	s_barrier_signal -1
	s_barrier_wait -1
	s_and_saveexec_b32 s8, s36
; %bb.663:                              ;   in Loop: Header=BB25_3 Depth=1
	s_delay_alu instid0(VALU_DEP_1) | instskip(NEXT) | instid1(VALU_DEP_2)
	v_xor_b32_e32 v41, 0x80000000, v39
	v_mov_b32_e32 v40, v38
	ds_store_b64 v65, v[40:41]
; %bb.664:                              ;   in Loop: Header=BB25_3 Depth=1
	s_or_b32 exec_lo, exec_lo, s8
	s_wait_dscnt 0x0
	;; [unrolled: 22-line block ×3, first 2 shown]
	s_barrier_signal -1
	s_barrier_wait -1
	s_barrier_signal -1
	s_barrier_wait -1
	s_and_saveexec_b32 s8, s1
; %bb.669:                              ;   in Loop: Header=BB25_3 Depth=1
	ds_store_b64 v67, v[38:39] offset:11904
; %bb.670:                              ;   in Loop: Header=BB25_3 Depth=1
	s_or_b32 exec_lo, exec_lo, s8
	s_wait_dscnt 0x0
	s_barrier_signal -1
	s_barrier_wait -1
	s_barrier_signal -1
	s_barrier_wait -1
	s_and_saveexec_b32 s8, s10
; %bb.671:                              ;   in Loop: Header=BB25_3 Depth=1
	v_add_nc_u32_e64 v38, 0x2000, 0
	ds_store_2addr_b64 v38, v[26:27], v[26:27] offset0:146 offset1:211
; %bb.672:                              ;   in Loop: Header=BB25_3 Depth=1
	s_or_b32 exec_lo, exec_lo, s8
	v_mov_b64_e32 v[38:39], 0
	s_wait_dscnt 0x0
	s_barrier_signal -1
	s_barrier_wait -1
	global_wb scope:SCOPE_DEV
	s_wait_storecnt 0x0
	global_inv scope:SCOPE_DEV
	s_and_saveexec_b32 s8, s0
	s_cbranch_execz .LBB25_676
; %bb.673:                              ;   in Loop: Header=BB25_3 Depth=1
	ds_load_b64 v[38:39], v60 offset:9344
	ds_load_b64 v[40:41], v5 offset:9872
	s_wait_dscnt 0x0
	v_fma_f64 v[38:39], v[38:39], v[40:41], 0
	s_and_saveexec_b32 s29, s11
	s_cbranch_execz .LBB25_675
; %bb.674:                              ;   in Loop: Header=BB25_3 Depth=1
	ds_load_b64 v[40:41], v46 offset:9856
	ds_load_b64 v[42:43], v7 offset:9880
	s_wait_dscnt 0x0
	v_fmac_f64_e32 v[38:39], v[40:41], v[42:43]
.LBB25_675:                             ;   in Loop: Header=BB25_3 Depth=1
	s_or_b32 exec_lo, exec_lo, s29
.LBB25_676:                             ;   in Loop: Header=BB25_3 Depth=1
	s_delay_alu instid0(SALU_CYCLE_1)
	s_or_b32 exec_lo, exec_lo, s8
	s_and_saveexec_b32 s8, s104
; %bb.677:                              ;   in Loop: Header=BB25_3 Depth=1
	s_delay_alu instid0(VALU_DEP_1) | instskip(NEXT) | instid1(VALU_DEP_2)
	v_xor_b32_e32 v41, 0x80000000, v39
	v_mov_b32_e32 v40, v38
	ds_store_b64 v61, v[40:41]
; %bb.678:                              ;   in Loop: Header=BB25_3 Depth=1
	s_or_b32 exec_lo, exec_lo, s8
	s_wait_loadcnt_dscnt 0x0
	s_barrier_signal -1
	s_barrier_wait -1
	s_and_saveexec_b32 s8, vcc_hi
	s_cbranch_execz .LBB25_680
; %bb.679:                              ;   in Loop: Header=BB25_3 Depth=1
	ds_load_b64 v[40:41], v7 offset:8832
	ds_load_b64 v[42:43], v61
	s_wait_dscnt 0x0
	v_fma_f64 v[38:39], -v[40:41], v[42:43], v[38:39]
.LBB25_680:                             ;   in Loop: Header=BB25_3 Depth=1
	s_or_b32 exec_lo, exec_lo, s8
	s_barrier_signal -1
	s_barrier_wait -1
	s_and_saveexec_b32 s8, vcc_hi
; %bb.681:                              ;   in Loop: Header=BB25_3 Depth=1
	s_delay_alu instid0(VALU_DEP_1) | instskip(NEXT) | instid1(VALU_DEP_2)
	v_xor_b32_e32 v41, 0x80000000, v39
	v_mov_b32_e32 v40, v38
	ds_store_b64 v61, v[40:41]
; %bb.682:                              ;   in Loop: Header=BB25_3 Depth=1
	s_or_b32 exec_lo, exec_lo, s8
	s_wait_dscnt 0x0
	s_barrier_signal -1
	s_barrier_wait -1
	s_barrier_signal -1
	s_barrier_wait -1
	s_and_saveexec_b32 s8, s0
; %bb.683:                              ;   in Loop: Header=BB25_3 Depth=1
	ds_store_b64 v63, v[38:39] offset:9856
; %bb.684:                              ;   in Loop: Header=BB25_3 Depth=1
	s_or_b32 exec_lo, exec_lo, s8
	s_wait_dscnt 0x0
	s_barrier_signal -1
	s_barrier_wait -1
	s_barrier_signal -1
	s_barrier_wait -1
	s_and_saveexec_b32 s8, s10
; %bb.685:                              ;   in Loop: Header=BB25_3 Depth=1
	v_add_nc_u32_e64 v38, 0x2000, 0
	ds_store_2addr_b64 v38, v[26:27], v[26:27] offset0:16 offset1:81
; %bb.686:                              ;   in Loop: Header=BB25_3 Depth=1
	s_or_b32 exec_lo, exec_lo, s8
	v_mov_b64_e32 v[38:39], 0
	s_wait_dscnt 0x0
	s_barrier_signal -1
	s_barrier_wait -1
	global_wb scope:SCOPE_DEV
	s_wait_storecnt 0x0
	global_inv scope:SCOPE_DEV
	s_and_saveexec_b32 s8, s3
	s_cbranch_execz .LBB25_714
; %bb.687:                              ;   in Loop: Header=BB25_3 Depth=1
	ds_load_b64 v[38:39], v66 offset:8192
	ds_load_b64 v[40:41], v50 offset:16000
	s_wait_dscnt 0x0
	v_fma_f64 v[38:39], v[38:39], v[40:41], 0
	s_mov_b32 s29, exec_lo
	v_readlane_b32 s57, v86, 27
	s_and_b32 s57, s29, s57
	s_delay_alu instid0(SALU_CYCLE_1)
	s_mov_b32 exec_lo, s57
	s_cbranch_execz .LBB25_689
; %bb.688:                              ;   in Loop: Header=BB25_3 Depth=1
	ds_load_b64 v[40:41], v66 offset:8704
	ds_load_b64 v[42:43], v50 offset:16008
	s_wait_dscnt 0x0
	v_fmac_f64_e32 v[38:39], v[40:41], v[42:43]
.LBB25_689:                             ;   in Loop: Header=BB25_3 Depth=1
	s_or_b32 exec_lo, exec_lo, s29
	s_delay_alu instid0(SALU_CYCLE_1) | instskip(SKIP_2) | instid1(SALU_CYCLE_1)
	s_mov_b32 s29, exec_lo
	v_readlane_b32 s57, v86, 28
	s_and_b32 s57, s29, s57
	s_mov_b32 exec_lo, s57
	s_cbranch_execz .LBB25_691
; %bb.690:                              ;   in Loop: Header=BB25_3 Depth=1
	ds_load_b64 v[40:41], v66 offset:9216
	ds_load_b64 v[42:43], v50 offset:16016
	s_wait_dscnt 0x0
	v_fmac_f64_e32 v[38:39], v[40:41], v[42:43]
.LBB25_691:                             ;   in Loop: Header=BB25_3 Depth=1
	s_or_b32 exec_lo, exec_lo, s29
	s_delay_alu instid0(SALU_CYCLE_1) | instskip(SKIP_2) | instid1(SALU_CYCLE_1)
	s_mov_b32 s29, exec_lo
	v_readlane_b32 s57, v86, 29
	s_and_b32 s57, s29, s57
	;; [unrolled: 13-line block ×10, first 2 shown]
	s_mov_b32 exec_lo, s57
	s_cbranch_execnz .LBB25_1041
; %bb.708:                              ;   in Loop: Header=BB25_3 Depth=1
	s_or_b32 exec_lo, exec_lo, s29
	s_and_saveexec_b32 s29, s2
	s_cbranch_execnz .LBB25_1042
.LBB25_709:                             ;   in Loop: Header=BB25_3 Depth=1
	s_or_b32 exec_lo, exec_lo, s29
	s_and_saveexec_b32 s29, s15
	s_cbranch_execnz .LBB25_1043
.LBB25_710:                             ;   in Loop: Header=BB25_3 Depth=1
	s_or_b32 exec_lo, exec_lo, s29
	s_and_saveexec_b32 s29, s17
	s_cbranch_execnz .LBB25_1044
.LBB25_711:                             ;   in Loop: Header=BB25_3 Depth=1
	s_or_b32 exec_lo, exec_lo, s29
	s_and_saveexec_b32 s29, s1
	s_cbranch_execz .LBB25_713
.LBB25_712:                             ;   in Loop: Header=BB25_3 Depth=1
	ds_load_b64 v[40:41], v46 offset:15872
	ds_load_b64 v[42:43], v7 offset:16120
	s_wait_dscnt 0x0
	v_fmac_f64_e32 v[38:39], v[40:41], v[42:43]
.LBB25_713:                             ;   in Loop: Header=BB25_3 Depth=1
	s_or_b32 exec_lo, exec_lo, s29
.LBB25_714:                             ;   in Loop: Header=BB25_3 Depth=1
	s_delay_alu instid0(SALU_CYCLE_1) | instskip(NEXT) | instid1(SALU_CYCLE_1)
	s_or_b32 exec_lo, exec_lo, s8
	s_mov_b32 s8, exec_lo
	v_readlane_b32 s29, v86, 2
	s_and_b32 s29, s8, s29
	s_delay_alu instid0(SALU_CYCLE_1)
	s_mov_b32 exec_lo, s29
; %bb.715:                              ;   in Loop: Header=BB25_3 Depth=1
	v_xor_b32_e32 v41, 0x80000000, v39
	v_mov_b32_e32 v40, v38
	ds_store_b64 v70, v[40:41]
; %bb.716:                              ;   in Loop: Header=BB25_3 Depth=1
	s_or_b32 exec_lo, exec_lo, s8
	s_wait_loadcnt_dscnt 0x0
	s_barrier_signal -1
	s_barrier_wait -1
	s_mov_b32 s8, exec_lo
	v_readlane_b32 s29, v86, 3
	s_and_b32 s29, s8, s29
	s_delay_alu instid0(SALU_CYCLE_1)
	s_mov_b32 exec_lo, s29
	s_cbranch_execz .LBB25_718
; %bb.717:                              ;   in Loop: Header=BB25_3 Depth=1
	ds_load_b64 v[40:41], v66 offset:7680
	ds_load_b64 v[42:43], v70
	s_wait_dscnt 0x0
	v_fma_f64 v[38:39], -v[40:41], v[42:43], v[38:39]
.LBB25_718:                             ;   in Loop: Header=BB25_3 Depth=1
	s_or_b32 exec_lo, exec_lo, s8
	s_barrier_signal -1
	s_barrier_wait -1
	s_mov_b32 s8, exec_lo
	v_readlane_b32 s29, v86, 4
	s_and_b32 s29, s8, s29
	s_delay_alu instid0(SALU_CYCLE_1)
	s_mov_b32 exec_lo, s29
; %bb.719:                              ;   in Loop: Header=BB25_3 Depth=1
	v_xor_b32_e32 v41, 0x80000000, v39
	v_mov_b32_e32 v40, v38
	ds_store_b64 v70, v[40:41]
; %bb.720:                              ;   in Loop: Header=BB25_3 Depth=1
	s_or_b32 exec_lo, exec_lo, s8
	s_wait_dscnt 0x0
	s_barrier_signal -1
	s_barrier_wait -1
	s_mov_b32 s8, exec_lo
	v_readlane_b32 s29, v86, 5
	s_and_b32 s29, s8, s29
	s_delay_alu instid0(SALU_CYCLE_1)
	s_mov_b32 exec_lo, s29
	s_cbranch_execz .LBB25_722
; %bb.721:                              ;   in Loop: Header=BB25_3 Depth=1
	ds_load_b64 v[40:41], v66 offset:7168
	ds_load_b64 v[42:43], v70
	s_wait_dscnt 0x0
	v_fma_f64 v[38:39], -v[40:41], v[42:43], v[38:39]
.LBB25_722:                             ;   in Loop: Header=BB25_3 Depth=1
	s_or_b32 exec_lo, exec_lo, s8
	s_barrier_signal -1
	s_barrier_wait -1
	s_mov_b32 s8, exec_lo
	v_readlane_b32 s29, v86, 6
	s_and_b32 s29, s8, s29
	s_delay_alu instid0(SALU_CYCLE_1)
	s_mov_b32 exec_lo, s29
; %bb.723:                              ;   in Loop: Header=BB25_3 Depth=1
	v_xor_b32_e32 v41, 0x80000000, v39
	v_mov_b32_e32 v40, v38
	ds_store_b64 v70, v[40:41]
; %bb.724:                              ;   in Loop: Header=BB25_3 Depth=1
	s_or_b32 exec_lo, exec_lo, s8
	s_wait_dscnt 0x0
	;; [unrolled: 29-line block ×5, first 2 shown]
	s_barrier_signal -1
	s_barrier_wait -1
	s_mov_b32 s8, exec_lo
	v_readlane_b32 s29, v86, 13
	s_and_b32 s29, s8, s29
	s_delay_alu instid0(SALU_CYCLE_1)
	s_mov_b32 exec_lo, s29
	s_cbranch_execz .LBB25_738
; %bb.737:                              ;   in Loop: Header=BB25_3 Depth=1
	ds_load_b64 v[40:41], v66 offset:5120
	ds_load_b64 v[42:43], v70
	s_wait_dscnt 0x0
	v_fma_f64 v[38:39], -v[40:41], v[42:43], v[38:39]
.LBB25_738:                             ;   in Loop: Header=BB25_3 Depth=1
	s_or_b32 exec_lo, exec_lo, s8
	s_barrier_signal -1
	s_barrier_wait -1
	s_and_saveexec_b32 s8, s60
; %bb.739:                              ;   in Loop: Header=BB25_3 Depth=1
	s_delay_alu instid0(VALU_DEP_1) | instskip(NEXT) | instid1(VALU_DEP_2)
	v_xor_b32_e32 v41, 0x80000000, v39
	v_mov_b32_e32 v40, v38
	ds_store_b64 v70, v[40:41]
; %bb.740:                              ;   in Loop: Header=BB25_3 Depth=1
	s_or_b32 exec_lo, exec_lo, s8
	s_wait_dscnt 0x0
	s_barrier_signal -1
	s_barrier_wait -1
	s_and_saveexec_b32 s8, s61
	s_cbranch_execz .LBB25_742
; %bb.741:                              ;   in Loop: Header=BB25_3 Depth=1
	ds_load_b64 v[40:41], v66 offset:4608
	ds_load_b64 v[42:43], v70
	s_wait_dscnt 0x0
	v_fma_f64 v[38:39], -v[40:41], v[42:43], v[38:39]
.LBB25_742:                             ;   in Loop: Header=BB25_3 Depth=1
	s_or_b32 exec_lo, exec_lo, s8
	s_barrier_signal -1
	s_barrier_wait -1
	s_and_saveexec_b32 s8, s62
; %bb.743:                              ;   in Loop: Header=BB25_3 Depth=1
	s_delay_alu instid0(VALU_DEP_1) | instskip(NEXT) | instid1(VALU_DEP_2)
	v_xor_b32_e32 v41, 0x80000000, v39
	v_mov_b32_e32 v40, v38
	ds_store_b64 v70, v[40:41]
; %bb.744:                              ;   in Loop: Header=BB25_3 Depth=1
	s_or_b32 exec_lo, exec_lo, s8
	s_wait_dscnt 0x0
	s_barrier_signal -1
	s_barrier_wait -1
	s_and_saveexec_b32 s8, s63
	;; [unrolled: 22-line block ×9, first 2 shown]
	s_cbranch_execz .LBB25_774
; %bb.773:                              ;   in Loop: Header=BB25_3 Depth=1
	ds_load_b64 v[40:41], v7 offset:512
	ds_load_b64 v[42:43], v70
	s_wait_dscnt 0x0
	v_fma_f64 v[38:39], -v[40:41], v[42:43], v[38:39]
.LBB25_774:                             ;   in Loop: Header=BB25_3 Depth=1
	s_or_b32 exec_lo, exec_lo, s8
	s_barrier_signal -1
	s_barrier_wait -1
	s_and_saveexec_b32 s8, s7
; %bb.775:                              ;   in Loop: Header=BB25_3 Depth=1
	s_delay_alu instid0(VALU_DEP_1) | instskip(NEXT) | instid1(VALU_DEP_2)
	v_xor_b32_e32 v41, 0x80000000, v39
	v_mov_b32_e32 v40, v38
	ds_store_b64 v70, v[40:41]
; %bb.776:                              ;   in Loop: Header=BB25_3 Depth=1
	s_or_b32 exec_lo, exec_lo, s8
	s_wait_dscnt 0x0
	s_barrier_signal -1
	s_barrier_wait -1
	s_barrier_signal -1
	s_barrier_wait -1
	s_and_saveexec_b32 s8, s3
; %bb.777:                              ;   in Loop: Header=BB25_3 Depth=1
	ds_store_b64 v71, v[38:39] offset:15872
; %bb.778:                              ;   in Loop: Header=BB25_3 Depth=1
	s_or_b32 exec_lo, exec_lo, s8
	s_wait_dscnt 0x0
	s_barrier_signal -1
	s_barrier_wait -1
	s_barrier_signal -1
	s_barrier_wait -1
	s_and_saveexec_b32 s8, s10
; %bb.779:                              ;   in Loop: Header=BB25_3 Depth=1
	v_add_nc_u32_e64 v38, 0x1800, 0
	ds_store_2addr_b64 v38, v[26:27], v[26:27] offset0:142 offset1:207
; %bb.780:                              ;   in Loop: Header=BB25_3 Depth=1
	s_or_b32 exec_lo, exec_lo, s8
	v_mov_b64_e32 v[38:39], 0
	s_wait_dscnt 0x0
	s_barrier_signal -1
	s_barrier_wait -1
	global_wb scope:SCOPE_DEV
	s_wait_storecnt 0x0
	global_inv scope:SCOPE_DEV
	s_and_saveexec_b32 s8, s0
	s_cbranch_execz .LBB25_784
; %bb.781:                              ;   in Loop: Header=BB25_3 Depth=1
	ds_load_b64 v[38:39], v60 offset:7264
	ds_load_b64 v[40:41], v5 offset:7792
	s_wait_dscnt 0x0
	v_fma_f64 v[38:39], v[38:39], v[40:41], 0
	s_and_saveexec_b32 s29, s11
	s_cbranch_execz .LBB25_783
; %bb.782:                              ;   in Loop: Header=BB25_3 Depth=1
	ds_load_b64 v[40:41], v46 offset:7776
	ds_load_b64 v[42:43], v7 offset:7800
	s_wait_dscnt 0x0
	v_fmac_f64_e32 v[38:39], v[40:41], v[42:43]
.LBB25_783:                             ;   in Loop: Header=BB25_3 Depth=1
	s_or_b32 exec_lo, exec_lo, s29
.LBB25_784:                             ;   in Loop: Header=BB25_3 Depth=1
	s_delay_alu instid0(SALU_CYCLE_1)
	s_or_b32 exec_lo, exec_lo, s8
	s_and_saveexec_b32 s8, s104
; %bb.785:                              ;   in Loop: Header=BB25_3 Depth=1
	s_delay_alu instid0(VALU_DEP_1) | instskip(NEXT) | instid1(VALU_DEP_2)
	v_xor_b32_e32 v41, 0x80000000, v39
	v_mov_b32_e32 v40, v38
	ds_store_b64 v61, v[40:41]
; %bb.786:                              ;   in Loop: Header=BB25_3 Depth=1
	s_or_b32 exec_lo, exec_lo, s8
	s_wait_loadcnt_dscnt 0x0
	s_barrier_signal -1
	s_barrier_wait -1
	s_and_saveexec_b32 s8, vcc_hi
	s_cbranch_execz .LBB25_788
; %bb.787:                              ;   in Loop: Header=BB25_3 Depth=1
	ds_load_b64 v[40:41], v7 offset:6752
	ds_load_b64 v[42:43], v61
	s_wait_dscnt 0x0
	v_fma_f64 v[38:39], -v[40:41], v[42:43], v[38:39]
.LBB25_788:                             ;   in Loop: Header=BB25_3 Depth=1
	s_or_b32 exec_lo, exec_lo, s8
	s_barrier_signal -1
	s_barrier_wait -1
	s_and_saveexec_b32 s8, vcc_hi
; %bb.789:                              ;   in Loop: Header=BB25_3 Depth=1
	s_delay_alu instid0(VALU_DEP_1) | instskip(NEXT) | instid1(VALU_DEP_2)
	v_xor_b32_e32 v41, 0x80000000, v39
	v_mov_b32_e32 v40, v38
	ds_store_b64 v61, v[40:41]
; %bb.790:                              ;   in Loop: Header=BB25_3 Depth=1
	s_or_b32 exec_lo, exec_lo, s8
	s_wait_dscnt 0x0
	s_barrier_signal -1
	s_barrier_wait -1
	s_barrier_signal -1
	s_barrier_wait -1
	s_and_saveexec_b32 s8, s0
; %bb.791:                              ;   in Loop: Header=BB25_3 Depth=1
	ds_store_b64 v63, v[38:39] offset:7776
; %bb.792:                              ;   in Loop: Header=BB25_3 Depth=1
	s_or_b32 exec_lo, exec_lo, s8
	s_wait_dscnt 0x0
	s_barrier_signal -1
	s_barrier_wait -1
	s_barrier_signal -1
	s_barrier_wait -1
	s_and_saveexec_b32 s8, s10
; %bb.793:                              ;   in Loop: Header=BB25_3 Depth=1
	v_add_nc_u32_e64 v38, 0x1800, 0
	ds_store_2addr_b64 v38, v[26:27], v[26:27] offset0:12 offset1:77
; %bb.794:                              ;   in Loop: Header=BB25_3 Depth=1
	s_or_b32 exec_lo, exec_lo, s8
	v_mov_b64_e32 v[38:39], 0
	s_wait_dscnt 0x0
	s_barrier_signal -1
	s_barrier_wait -1
	global_wb scope:SCOPE_DEV
	s_wait_storecnt 0x0
	global_inv scope:SCOPE_DEV
	s_and_saveexec_b32 s8, s1
	s_cbranch_execz .LBB25_800
; %bb.795:                              ;   in Loop: Header=BB25_3 Depth=1
	ds_load_b64 v[38:39], v62 offset:6208
	ds_load_b64 v[40:41], v47 offset:7776
	s_wait_dscnt 0x0
	v_fma_f64 v[38:39], v[38:39], v[40:41], 0
	s_and_saveexec_b32 s29, s12
	s_cbranch_execnz .LBB25_1045
; %bb.796:                              ;   in Loop: Header=BB25_3 Depth=1
	s_or_b32 exec_lo, exec_lo, s29
	s_and_saveexec_b32 s29, s13
	s_cbranch_execnz .LBB25_1046
.LBB25_797:                             ;   in Loop: Header=BB25_3 Depth=1
	s_or_b32 exec_lo, exec_lo, s29
	s_and_saveexec_b32 s29, s0
	s_cbranch_execz .LBB25_799
.LBB25_798:                             ;   in Loop: Header=BB25_3 Depth=1
	ds_load_b64 v[40:41], v46 offset:7744
	ds_load_b64 v[42:43], v7 offset:7800
	s_wait_dscnt 0x0
	v_fmac_f64_e32 v[38:39], v[40:41], v[42:43]
.LBB25_799:                             ;   in Loop: Header=BB25_3 Depth=1
	s_or_b32 exec_lo, exec_lo, s29
.LBB25_800:                             ;   in Loop: Header=BB25_3 Depth=1
	s_delay_alu instid0(SALU_CYCLE_1)
	s_or_b32 exec_lo, exec_lo, s8
	s_and_saveexec_b32 s8, s31
; %bb.801:                              ;   in Loop: Header=BB25_3 Depth=1
	s_delay_alu instid0(VALU_DEP_1) | instskip(NEXT) | instid1(VALU_DEP_2)
	v_xor_b32_e32 v41, 0x80000000, v39
	v_mov_b32_e32 v40, v38
	ds_store_b64 v65, v[40:41]
; %bb.802:                              ;   in Loop: Header=BB25_3 Depth=1
	s_or_b32 exec_lo, exec_lo, s8
	s_wait_loadcnt_dscnt 0x0
	s_barrier_signal -1
	s_barrier_wait -1
	s_and_saveexec_b32 s8, s33
	s_cbranch_execz .LBB25_804
; %bb.803:                              ;   in Loop: Header=BB25_3 Depth=1
	ds_load_b64 v[40:41], v62 offset:5696
	ds_load_b64 v[42:43], v65
	s_wait_dscnt 0x0
	v_fma_f64 v[38:39], -v[40:41], v[42:43], v[38:39]
.LBB25_804:                             ;   in Loop: Header=BB25_3 Depth=1
	s_or_b32 exec_lo, exec_lo, s8
	s_barrier_signal -1
	s_barrier_wait -1
	s_and_saveexec_b32 s8, s34
; %bb.805:                              ;   in Loop: Header=BB25_3 Depth=1
	s_delay_alu instid0(VALU_DEP_1) | instskip(NEXT) | instid1(VALU_DEP_2)
	v_xor_b32_e32 v41, 0x80000000, v39
	v_mov_b32_e32 v40, v38
	ds_store_b64 v65, v[40:41]
; %bb.806:                              ;   in Loop: Header=BB25_3 Depth=1
	s_or_b32 exec_lo, exec_lo, s8
	s_wait_dscnt 0x0
	s_barrier_signal -1
	s_barrier_wait -1
	s_and_saveexec_b32 s8, s35
	s_cbranch_execz .LBB25_808
; %bb.807:                              ;   in Loop: Header=BB25_3 Depth=1
	ds_load_b64 v[40:41], v62 offset:5184
	ds_load_b64 v[42:43], v65
	s_wait_dscnt 0x0
	v_fma_f64 v[38:39], -v[40:41], v[42:43], v[38:39]
.LBB25_808:                             ;   in Loop: Header=BB25_3 Depth=1
	s_or_b32 exec_lo, exec_lo, s8
	s_barrier_signal -1
	s_barrier_wait -1
	s_and_saveexec_b32 s8, s36
; %bb.809:                              ;   in Loop: Header=BB25_3 Depth=1
	s_delay_alu instid0(VALU_DEP_1) | instskip(NEXT) | instid1(VALU_DEP_2)
	v_xor_b32_e32 v41, 0x80000000, v39
	v_mov_b32_e32 v40, v38
	ds_store_b64 v65, v[40:41]
; %bb.810:                              ;   in Loop: Header=BB25_3 Depth=1
	s_or_b32 exec_lo, exec_lo, s8
	s_wait_dscnt 0x0
	;; [unrolled: 22-line block ×3, first 2 shown]
	s_barrier_signal -1
	s_barrier_wait -1
	s_barrier_signal -1
	s_barrier_wait -1
	s_and_saveexec_b32 s8, s1
; %bb.815:                              ;   in Loop: Header=BB25_3 Depth=1
	ds_store_b64 v67, v[38:39] offset:7744
; %bb.816:                              ;   in Loop: Header=BB25_3 Depth=1
	s_or_b32 exec_lo, exec_lo, s8
	s_wait_dscnt 0x0
	s_barrier_signal -1
	s_barrier_wait -1
	s_barrier_signal -1
	s_barrier_wait -1
	s_and_saveexec_b32 s8, s10
; %bb.817:                              ;   in Loop: Header=BB25_3 Depth=1
	v_add_nc_u32_e64 v38, 0x1000, 0
	ds_store_2addr_b64 v38, v[26:27], v[26:27] offset0:138 offset1:203
; %bb.818:                              ;   in Loop: Header=BB25_3 Depth=1
	s_or_b32 exec_lo, exec_lo, s8
	v_mov_b64_e32 v[38:39], 0
	s_wait_dscnt 0x0
	s_barrier_signal -1
	s_barrier_wait -1
	global_wb scope:SCOPE_DEV
	s_wait_storecnt 0x0
	global_inv scope:SCOPE_DEV
	s_and_saveexec_b32 s8, s0
	s_cbranch_execz .LBB25_822
; %bb.819:                              ;   in Loop: Header=BB25_3 Depth=1
	ds_load_b64 v[38:39], v60 offset:5184
	ds_load_b64 v[40:41], v5 offset:5712
	s_wait_dscnt 0x0
	v_fma_f64 v[38:39], v[38:39], v[40:41], 0
	s_and_saveexec_b32 s29, s11
	s_cbranch_execz .LBB25_821
; %bb.820:                              ;   in Loop: Header=BB25_3 Depth=1
	ds_load_b64 v[40:41], v46 offset:5696
	ds_load_b64 v[42:43], v7 offset:5720
	s_wait_dscnt 0x0
	v_fmac_f64_e32 v[38:39], v[40:41], v[42:43]
.LBB25_821:                             ;   in Loop: Header=BB25_3 Depth=1
	s_or_b32 exec_lo, exec_lo, s29
.LBB25_822:                             ;   in Loop: Header=BB25_3 Depth=1
	s_delay_alu instid0(SALU_CYCLE_1)
	s_or_b32 exec_lo, exec_lo, s8
	s_and_saveexec_b32 s8, s104
; %bb.823:                              ;   in Loop: Header=BB25_3 Depth=1
	s_delay_alu instid0(VALU_DEP_1) | instskip(NEXT) | instid1(VALU_DEP_2)
	v_xor_b32_e32 v41, 0x80000000, v39
	v_mov_b32_e32 v40, v38
	ds_store_b64 v61, v[40:41]
; %bb.824:                              ;   in Loop: Header=BB25_3 Depth=1
	s_or_b32 exec_lo, exec_lo, s8
	s_wait_loadcnt_dscnt 0x0
	s_barrier_signal -1
	s_barrier_wait -1
	s_and_saveexec_b32 s8, vcc_hi
	s_cbranch_execz .LBB25_826
; %bb.825:                              ;   in Loop: Header=BB25_3 Depth=1
	ds_load_b64 v[40:41], v7 offset:4672
	ds_load_b64 v[42:43], v61
	s_wait_dscnt 0x0
	v_fma_f64 v[38:39], -v[40:41], v[42:43], v[38:39]
.LBB25_826:                             ;   in Loop: Header=BB25_3 Depth=1
	s_or_b32 exec_lo, exec_lo, s8
	s_barrier_signal -1
	s_barrier_wait -1
	s_and_saveexec_b32 s8, vcc_hi
; %bb.827:                              ;   in Loop: Header=BB25_3 Depth=1
	s_delay_alu instid0(VALU_DEP_1) | instskip(NEXT) | instid1(VALU_DEP_2)
	v_xor_b32_e32 v41, 0x80000000, v39
	v_mov_b32_e32 v40, v38
	ds_store_b64 v61, v[40:41]
; %bb.828:                              ;   in Loop: Header=BB25_3 Depth=1
	s_or_b32 exec_lo, exec_lo, s8
	s_wait_dscnt 0x0
	s_barrier_signal -1
	s_barrier_wait -1
	s_barrier_signal -1
	s_barrier_wait -1
	s_and_saveexec_b32 s8, s0
; %bb.829:                              ;   in Loop: Header=BB25_3 Depth=1
	ds_store_b64 v63, v[38:39] offset:5696
; %bb.830:                              ;   in Loop: Header=BB25_3 Depth=1
	s_or_b32 exec_lo, exec_lo, s8
	s_wait_dscnt 0x0
	s_barrier_signal -1
	s_barrier_wait -1
	s_barrier_signal -1
	s_barrier_wait -1
	s_and_saveexec_b32 s8, s10
; %bb.831:                              ;   in Loop: Header=BB25_3 Depth=1
	v_add_nc_u32_e64 v38, 0x1000, 0
	ds_store_2addr_b64 v38, v[26:27], v[26:27] offset0:8 offset1:73
; %bb.832:                              ;   in Loop: Header=BB25_3 Depth=1
	s_or_b32 exec_lo, exec_lo, s8
	v_mov_b64_e32 v[38:39], 0
	s_wait_dscnt 0x0
	s_barrier_signal -1
	s_barrier_wait -1
	global_wb scope:SCOPE_DEV
	s_wait_storecnt 0x0
	global_inv scope:SCOPE_DEV
	s_and_saveexec_b32 s8, s2
	s_cbranch_execz .LBB25_842
; %bb.833:                              ;   in Loop: Header=BB25_3 Depth=1
	ds_load_b64 v[38:39], v64 offset:4096
	ds_load_b64 v[40:41], v49 offset:7744
	s_wait_dscnt 0x0
	v_fma_f64 v[38:39], v[38:39], v[40:41], 0
	s_and_saveexec_b32 s29, s14
	s_cbranch_execnz .LBB25_1047
; %bb.834:                              ;   in Loop: Header=BB25_3 Depth=1
	s_or_b32 exec_lo, exec_lo, s29
	s_and_saveexec_b32 s29, s15
	s_cbranch_execnz .LBB25_1048
.LBB25_835:                             ;   in Loop: Header=BB25_3 Depth=1
	s_or_b32 exec_lo, exec_lo, s29
	s_and_saveexec_b32 s29, s16
	s_cbranch_execnz .LBB25_1049
.LBB25_836:                             ;   in Loop: Header=BB25_3 Depth=1
	s_or_b32 exec_lo, exec_lo, s29
	s_and_saveexec_b32 s29, s17
	s_cbranch_execnz .LBB25_1050
.LBB25_837:                             ;   in Loop: Header=BB25_3 Depth=1
	s_or_b32 exec_lo, exec_lo, s29
	s_and_saveexec_b32 s29, s18
	s_cbranch_execnz .LBB25_1051
.LBB25_838:                             ;   in Loop: Header=BB25_3 Depth=1
	s_or_b32 exec_lo, exec_lo, s29
	s_and_saveexec_b32 s29, s1
	s_cbranch_execnz .LBB25_1052
.LBB25_839:                             ;   in Loop: Header=BB25_3 Depth=1
	s_or_b32 exec_lo, exec_lo, s29
	s_and_saveexec_b32 s29, s13
	s_cbranch_execz .LBB25_841
.LBB25_840:                             ;   in Loop: Header=BB25_3 Depth=1
	ds_load_b64 v[40:41], v46 offset:7680
	ds_load_b64 v[42:43], v7 offset:7800
	s_wait_dscnt 0x0
	v_fmac_f64_e32 v[38:39], v[40:41], v[42:43]
.LBB25_841:                             ;   in Loop: Header=BB25_3 Depth=1
	s_or_b32 exec_lo, exec_lo, s29
.LBB25_842:                             ;   in Loop: Header=BB25_3 Depth=1
	s_delay_alu instid0(SALU_CYCLE_1)
	s_or_b32 exec_lo, exec_lo, s8
	s_and_saveexec_b32 s8, s38
; %bb.843:                              ;   in Loop: Header=BB25_3 Depth=1
	s_delay_alu instid0(VALU_DEP_1) | instskip(NEXT) | instid1(VALU_DEP_2)
	v_xor_b32_e32 v41, 0x80000000, v39
	v_mov_b32_e32 v40, v38
	ds_store_b64 v68, v[40:41]
; %bb.844:                              ;   in Loop: Header=BB25_3 Depth=1
	s_or_b32 exec_lo, exec_lo, s8
	s_wait_loadcnt_dscnt 0x0
	s_barrier_signal -1
	s_barrier_wait -1
	s_and_saveexec_b32 s8, s39
	s_cbranch_execz .LBB25_846
; %bb.845:                              ;   in Loop: Header=BB25_3 Depth=1
	ds_load_b64 v[40:41], v64 offset:3584
	ds_load_b64 v[42:43], v68
	s_wait_dscnt 0x0
	v_fma_f64 v[38:39], -v[40:41], v[42:43], v[38:39]
.LBB25_846:                             ;   in Loop: Header=BB25_3 Depth=1
	s_or_b32 exec_lo, exec_lo, s8
	s_barrier_signal -1
	s_barrier_wait -1
	s_and_saveexec_b32 s8, s40
; %bb.847:                              ;   in Loop: Header=BB25_3 Depth=1
	s_delay_alu instid0(VALU_DEP_1) | instskip(NEXT) | instid1(VALU_DEP_2)
	v_xor_b32_e32 v41, 0x80000000, v39
	v_mov_b32_e32 v40, v38
	ds_store_b64 v68, v[40:41]
; %bb.848:                              ;   in Loop: Header=BB25_3 Depth=1
	s_or_b32 exec_lo, exec_lo, s8
	s_wait_dscnt 0x0
	s_barrier_signal -1
	s_barrier_wait -1
	s_and_saveexec_b32 s8, s41
	s_cbranch_execz .LBB25_850
; %bb.849:                              ;   in Loop: Header=BB25_3 Depth=1
	ds_load_b64 v[40:41], v64 offset:3072
	ds_load_b64 v[42:43], v68
	s_wait_dscnt 0x0
	v_fma_f64 v[38:39], -v[40:41], v[42:43], v[38:39]
.LBB25_850:                             ;   in Loop: Header=BB25_3 Depth=1
	s_or_b32 exec_lo, exec_lo, s8
	s_barrier_signal -1
	s_barrier_wait -1
	s_and_saveexec_b32 s8, s42
; %bb.851:                              ;   in Loop: Header=BB25_3 Depth=1
	s_delay_alu instid0(VALU_DEP_1) | instskip(NEXT) | instid1(VALU_DEP_2)
	v_xor_b32_e32 v41, 0x80000000, v39
	v_mov_b32_e32 v40, v38
	ds_store_b64 v68, v[40:41]
; %bb.852:                              ;   in Loop: Header=BB25_3 Depth=1
	s_or_b32 exec_lo, exec_lo, s8
	s_wait_dscnt 0x0
	s_barrier_signal -1
	s_barrier_wait -1
	s_and_saveexec_b32 s8, s43
	s_cbranch_execz .LBB25_854
; %bb.853:                              ;   in Loop: Header=BB25_3 Depth=1
	ds_load_b64 v[40:41], v64 offset:2560
	ds_load_b64 v[42:43], v68
	s_wait_dscnt 0x0
	v_fma_f64 v[38:39], -v[40:41], v[42:43], v[38:39]
.LBB25_854:                             ;   in Loop: Header=BB25_3 Depth=1
	s_or_b32 exec_lo, exec_lo, s8
	s_barrier_signal -1
	s_barrier_wait -1
	s_and_saveexec_b32 s8, s44
; %bb.855:                              ;   in Loop: Header=BB25_3 Depth=1
	s_delay_alu instid0(VALU_DEP_1) | instskip(NEXT) | instid1(VALU_DEP_2)
	v_xor_b32_e32 v41, 0x80000000, v39
	v_mov_b32_e32 v40, v38
	ds_store_b64 v68, v[40:41]
; %bb.856:                              ;   in Loop: Header=BB25_3 Depth=1
	s_or_b32 exec_lo, exec_lo, s8
	s_wait_dscnt 0x0
	s_barrier_signal -1
	s_barrier_wait -1
	s_and_saveexec_b32 s8, s45
	s_cbranch_execz .LBB25_858
; %bb.857:                              ;   in Loop: Header=BB25_3 Depth=1
	ds_load_b64 v[40:41], v64 offset:2048
	ds_load_b64 v[42:43], v68
	s_wait_dscnt 0x0
	v_fma_f64 v[38:39], -v[40:41], v[42:43], v[38:39]
.LBB25_858:                             ;   in Loop: Header=BB25_3 Depth=1
	s_or_b32 exec_lo, exec_lo, s8
	s_barrier_signal -1
	s_barrier_wait -1
	s_and_saveexec_b32 s8, s46
; %bb.859:                              ;   in Loop: Header=BB25_3 Depth=1
	s_delay_alu instid0(VALU_DEP_1) | instskip(NEXT) | instid1(VALU_DEP_2)
	v_xor_b32_e32 v41, 0x80000000, v39
	v_mov_b32_e32 v40, v38
	ds_store_b64 v68, v[40:41]
; %bb.860:                              ;   in Loop: Header=BB25_3 Depth=1
	s_or_b32 exec_lo, exec_lo, s8
	s_wait_dscnt 0x0
	s_barrier_signal -1
	s_barrier_wait -1
	s_and_saveexec_b32 s8, s47
	s_cbranch_execz .LBB25_862
; %bb.861:                              ;   in Loop: Header=BB25_3 Depth=1
	ds_load_b64 v[40:41], v64 offset:1536
	ds_load_b64 v[42:43], v68
	s_wait_dscnt 0x0
	v_fma_f64 v[38:39], -v[40:41], v[42:43], v[38:39]
.LBB25_862:                             ;   in Loop: Header=BB25_3 Depth=1
	s_or_b32 exec_lo, exec_lo, s8
	s_barrier_signal -1
	s_barrier_wait -1
	s_and_saveexec_b32 s8, s48
; %bb.863:                              ;   in Loop: Header=BB25_3 Depth=1
	s_delay_alu instid0(VALU_DEP_1) | instskip(NEXT) | instid1(VALU_DEP_2)
	v_xor_b32_e32 v41, 0x80000000, v39
	v_mov_b32_e32 v40, v38
	ds_store_b64 v68, v[40:41]
; %bb.864:                              ;   in Loop: Header=BB25_3 Depth=1
	s_or_b32 exec_lo, exec_lo, s8
	s_wait_dscnt 0x0
	s_barrier_signal -1
	s_barrier_wait -1
	s_and_saveexec_b32 s8, s49
	s_cbranch_execz .LBB25_866
; %bb.865:                              ;   in Loop: Header=BB25_3 Depth=1
	ds_load_b64 v[40:41], v64 offset:1024
	ds_load_b64 v[42:43], v68
	s_wait_dscnt 0x0
	v_fma_f64 v[38:39], -v[40:41], v[42:43], v[38:39]
.LBB25_866:                             ;   in Loop: Header=BB25_3 Depth=1
	s_or_b32 exec_lo, exec_lo, s8
	s_barrier_signal -1
	s_barrier_wait -1
	s_and_saveexec_b32 s8, s50
; %bb.867:                              ;   in Loop: Header=BB25_3 Depth=1
	s_delay_alu instid0(VALU_DEP_1) | instskip(NEXT) | instid1(VALU_DEP_2)
	v_xor_b32_e32 v41, 0x80000000, v39
	v_mov_b32_e32 v40, v38
	ds_store_b64 v68, v[40:41]
; %bb.868:                              ;   in Loop: Header=BB25_3 Depth=1
	s_or_b32 exec_lo, exec_lo, s8
	s_wait_dscnt 0x0
	s_barrier_signal -1
	s_barrier_wait -1
	s_and_saveexec_b32 s8, s51
	s_cbranch_execz .LBB25_870
; %bb.869:                              ;   in Loop: Header=BB25_3 Depth=1
	ds_load_b64 v[40:41], v7 offset:512
	ds_load_b64 v[42:43], v68
	s_wait_dscnt 0x0
	v_fma_f64 v[38:39], -v[40:41], v[42:43], v[38:39]
.LBB25_870:                             ;   in Loop: Header=BB25_3 Depth=1
	s_or_b32 exec_lo, exec_lo, s8
	s_barrier_signal -1
	s_barrier_wait -1
	s_and_saveexec_b32 s8, s51
; %bb.871:                              ;   in Loop: Header=BB25_3 Depth=1
	s_delay_alu instid0(VALU_DEP_1) | instskip(NEXT) | instid1(VALU_DEP_2)
	v_xor_b32_e32 v41, 0x80000000, v39
	v_mov_b32_e32 v40, v38
	ds_store_b64 v68, v[40:41]
; %bb.872:                              ;   in Loop: Header=BB25_3 Depth=1
	s_or_b32 exec_lo, exec_lo, s8
	s_wait_dscnt 0x0
	s_barrier_signal -1
	s_barrier_wait -1
	s_barrier_signal -1
	s_barrier_wait -1
	s_and_saveexec_b32 s8, s2
; %bb.873:                              ;   in Loop: Header=BB25_3 Depth=1
	ds_store_b64 v69, v[38:39] offset:7680
; %bb.874:                              ;   in Loop: Header=BB25_3 Depth=1
	s_or_b32 exec_lo, exec_lo, s8
	s_wait_dscnt 0x0
	s_barrier_signal -1
	s_barrier_wait -1
	s_barrier_signal -1
	s_barrier_wait -1
	s_and_saveexec_b32 s8, s10
; %bb.875:                              ;   in Loop: Header=BB25_3 Depth=1
	v_add_nc_u32_e64 v38, 0x800, 0
	ds_store_2addr_b64 v38, v[26:27], v[26:27] offset0:134 offset1:199
; %bb.876:                              ;   in Loop: Header=BB25_3 Depth=1
	s_or_b32 exec_lo, exec_lo, s8
	v_mov_b64_e32 v[38:39], 0
	s_wait_dscnt 0x0
	s_barrier_signal -1
	s_barrier_wait -1
	global_wb scope:SCOPE_DEV
	s_wait_storecnt 0x0
	global_inv scope:SCOPE_DEV
	s_and_saveexec_b32 s8, s0
	s_cbranch_execz .LBB25_880
; %bb.877:                              ;   in Loop: Header=BB25_3 Depth=1
	ds_load_b64 v[38:39], v60 offset:3104
	ds_load_b64 v[40:41], v5 offset:3632
	s_wait_dscnt 0x0
	v_fma_f64 v[38:39], v[38:39], v[40:41], 0
	s_and_saveexec_b32 s29, s11
	s_cbranch_execz .LBB25_879
; %bb.878:                              ;   in Loop: Header=BB25_3 Depth=1
	ds_load_b64 v[40:41], v46 offset:3616
	ds_load_b64 v[42:43], v7 offset:3640
	s_wait_dscnt 0x0
	v_fmac_f64_e32 v[38:39], v[40:41], v[42:43]
.LBB25_879:                             ;   in Loop: Header=BB25_3 Depth=1
	s_or_b32 exec_lo, exec_lo, s29
.LBB25_880:                             ;   in Loop: Header=BB25_3 Depth=1
	s_delay_alu instid0(SALU_CYCLE_1)
	s_or_b32 exec_lo, exec_lo, s8
	s_and_saveexec_b32 s8, s104
; %bb.881:                              ;   in Loop: Header=BB25_3 Depth=1
	s_delay_alu instid0(VALU_DEP_1) | instskip(NEXT) | instid1(VALU_DEP_2)
	v_xor_b32_e32 v41, 0x80000000, v39
	v_mov_b32_e32 v40, v38
	ds_store_b64 v61, v[40:41]
; %bb.882:                              ;   in Loop: Header=BB25_3 Depth=1
	s_or_b32 exec_lo, exec_lo, s8
	s_wait_loadcnt_dscnt 0x0
	s_barrier_signal -1
	s_barrier_wait -1
	s_and_saveexec_b32 s8, vcc_hi
	s_cbranch_execz .LBB25_884
; %bb.883:                              ;   in Loop: Header=BB25_3 Depth=1
	ds_load_b64 v[40:41], v7 offset:2592
	ds_load_b64 v[42:43], v61
	s_wait_dscnt 0x0
	v_fma_f64 v[38:39], -v[40:41], v[42:43], v[38:39]
.LBB25_884:                             ;   in Loop: Header=BB25_3 Depth=1
	s_or_b32 exec_lo, exec_lo, s8
	s_barrier_signal -1
	s_barrier_wait -1
	s_and_saveexec_b32 s8, vcc_hi
; %bb.885:                              ;   in Loop: Header=BB25_3 Depth=1
	s_delay_alu instid0(VALU_DEP_1) | instskip(NEXT) | instid1(VALU_DEP_2)
	v_xor_b32_e32 v41, 0x80000000, v39
	v_mov_b32_e32 v40, v38
	ds_store_b64 v61, v[40:41]
; %bb.886:                              ;   in Loop: Header=BB25_3 Depth=1
	s_or_b32 exec_lo, exec_lo, s8
	s_wait_dscnt 0x0
	s_barrier_signal -1
	s_barrier_wait -1
	s_barrier_signal -1
	s_barrier_wait -1
	s_and_saveexec_b32 s8, s0
; %bb.887:                              ;   in Loop: Header=BB25_3 Depth=1
	ds_store_b64 v63, v[38:39] offset:3616
; %bb.888:                              ;   in Loop: Header=BB25_3 Depth=1
	s_or_b32 exec_lo, exec_lo, s8
	s_wait_dscnt 0x0
	s_barrier_signal -1
	s_barrier_wait -1
	s_barrier_signal -1
	s_barrier_wait -1
	s_and_saveexec_b32 s8, s10
; %bb.889:                              ;   in Loop: Header=BB25_3 Depth=1
	v_add_nc_u32_e64 v38, 0x800, 0
	ds_store_2addr_b64 v38, v[26:27], v[26:27] offset0:4 offset1:69
; %bb.890:                              ;   in Loop: Header=BB25_3 Depth=1
	s_or_b32 exec_lo, exec_lo, s8
	v_mov_b64_e32 v[38:39], 0
	s_wait_dscnt 0x0
	s_barrier_signal -1
	s_barrier_wait -1
	global_wb scope:SCOPE_DEV
	s_wait_storecnt 0x0
	global_inv scope:SCOPE_DEV
	s_and_saveexec_b32 s8, s1
	s_cbranch_execz .LBB25_896
; %bb.891:                              ;   in Loop: Header=BB25_3 Depth=1
	ds_load_b64 v[38:39], v62 offset:2048
	ds_load_b64 v[40:41], v47 offset:3616
	s_wait_dscnt 0x0
	v_fma_f64 v[38:39], v[38:39], v[40:41], 0
	s_and_saveexec_b32 s29, s12
	s_cbranch_execnz .LBB25_1053
; %bb.892:                              ;   in Loop: Header=BB25_3 Depth=1
	s_or_b32 exec_lo, exec_lo, s29
	s_and_saveexec_b32 s29, s13
	s_cbranch_execnz .LBB25_1054
.LBB25_893:                             ;   in Loop: Header=BB25_3 Depth=1
	s_or_b32 exec_lo, exec_lo, s29
	s_and_saveexec_b32 s29, s0
	s_cbranch_execz .LBB25_895
.LBB25_894:                             ;   in Loop: Header=BB25_3 Depth=1
	ds_load_b64 v[40:41], v46 offset:3584
	ds_load_b64 v[42:43], v7 offset:3640
	s_wait_dscnt 0x0
	v_fmac_f64_e32 v[38:39], v[40:41], v[42:43]
.LBB25_895:                             ;   in Loop: Header=BB25_3 Depth=1
	s_or_b32 exec_lo, exec_lo, s29
.LBB25_896:                             ;   in Loop: Header=BB25_3 Depth=1
	s_delay_alu instid0(SALU_CYCLE_1)
	s_or_b32 exec_lo, exec_lo, s8
	s_and_saveexec_b32 s8, s31
; %bb.897:                              ;   in Loop: Header=BB25_3 Depth=1
	s_delay_alu instid0(VALU_DEP_1) | instskip(NEXT) | instid1(VALU_DEP_2)
	v_xor_b32_e32 v41, 0x80000000, v39
	v_mov_b32_e32 v40, v38
	ds_store_b64 v65, v[40:41]
; %bb.898:                              ;   in Loop: Header=BB25_3 Depth=1
	s_or_b32 exec_lo, exec_lo, s8
	s_wait_loadcnt_dscnt 0x0
	s_barrier_signal -1
	s_barrier_wait -1
	s_and_saveexec_b32 s8, s33
	s_cbranch_execz .LBB25_900
; %bb.899:                              ;   in Loop: Header=BB25_3 Depth=1
	ds_load_b64 v[40:41], v62 offset:1536
	ds_load_b64 v[42:43], v65
	s_wait_dscnt 0x0
	v_fma_f64 v[38:39], -v[40:41], v[42:43], v[38:39]
.LBB25_900:                             ;   in Loop: Header=BB25_3 Depth=1
	s_or_b32 exec_lo, exec_lo, s8
	s_barrier_signal -1
	s_barrier_wait -1
	s_and_saveexec_b32 s8, s34
; %bb.901:                              ;   in Loop: Header=BB25_3 Depth=1
	s_delay_alu instid0(VALU_DEP_1) | instskip(NEXT) | instid1(VALU_DEP_2)
	v_xor_b32_e32 v41, 0x80000000, v39
	v_mov_b32_e32 v40, v38
	ds_store_b64 v65, v[40:41]
; %bb.902:                              ;   in Loop: Header=BB25_3 Depth=1
	s_or_b32 exec_lo, exec_lo, s8
	s_wait_dscnt 0x0
	s_barrier_signal -1
	s_barrier_wait -1
	s_and_saveexec_b32 s8, s35
	s_cbranch_execz .LBB25_904
; %bb.903:                              ;   in Loop: Header=BB25_3 Depth=1
	ds_load_b64 v[40:41], v62 offset:1024
	ds_load_b64 v[42:43], v65
	s_wait_dscnt 0x0
	v_fma_f64 v[38:39], -v[40:41], v[42:43], v[38:39]
.LBB25_904:                             ;   in Loop: Header=BB25_3 Depth=1
	s_or_b32 exec_lo, exec_lo, s8
	s_barrier_signal -1
	s_barrier_wait -1
	s_and_saveexec_b32 s8, s36
; %bb.905:                              ;   in Loop: Header=BB25_3 Depth=1
	s_delay_alu instid0(VALU_DEP_1) | instskip(NEXT) | instid1(VALU_DEP_2)
	v_xor_b32_e32 v41, 0x80000000, v39
	v_mov_b32_e32 v40, v38
	ds_store_b64 v65, v[40:41]
; %bb.906:                              ;   in Loop: Header=BB25_3 Depth=1
	s_or_b32 exec_lo, exec_lo, s8
	s_wait_dscnt 0x0
	;; [unrolled: 22-line block ×3, first 2 shown]
	s_barrier_signal -1
	s_barrier_wait -1
	s_barrier_signal -1
	s_barrier_wait -1
	s_and_saveexec_b32 s8, s1
; %bb.911:                              ;   in Loop: Header=BB25_3 Depth=1
	ds_store_b64 v67, v[38:39] offset:3584
; %bb.912:                              ;   in Loop: Header=BB25_3 Depth=1
	s_or_b32 exec_lo, exec_lo, s8
	s_wait_dscnt 0x0
	s_barrier_signal -1
	s_barrier_wait -1
	s_barrier_signal -1
	s_barrier_wait -1
	s_and_saveexec_b32 s8, s10
; %bb.913:                              ;   in Loop: Header=BB25_3 Depth=1
	ds_store_2addr_b64 v7, v[26:27], v[26:27] offset0:130 offset1:195
; %bb.914:                              ;   in Loop: Header=BB25_3 Depth=1
	s_or_b32 exec_lo, exec_lo, s8
	v_mov_b64_e32 v[38:39], 0
	s_wait_dscnt 0x0
	s_barrier_signal -1
	s_barrier_wait -1
	global_wb scope:SCOPE_DEV
	s_wait_storecnt 0x0
	global_inv scope:SCOPE_DEV
	s_and_saveexec_b32 s8, s0
	s_cbranch_execz .LBB25_918
; %bb.915:                              ;   in Loop: Header=BB25_3 Depth=1
	ds_load_b64 v[38:39], v60 offset:1024
	ds_load_b64 v[40:41], v5 offset:1552
	s_wait_dscnt 0x0
	v_fma_f64 v[38:39], v[38:39], v[40:41], 0
	s_and_saveexec_b32 s29, s11
	s_cbranch_execz .LBB25_917
; %bb.916:                              ;   in Loop: Header=BB25_3 Depth=1
	ds_load_b64 v[40:41], v46 offset:1536
	ds_load_b64 v[42:43], v7 offset:1560
	s_wait_dscnt 0x0
	v_fmac_f64_e32 v[38:39], v[40:41], v[42:43]
.LBB25_917:                             ;   in Loop: Header=BB25_3 Depth=1
	s_or_b32 exec_lo, exec_lo, s29
.LBB25_918:                             ;   in Loop: Header=BB25_3 Depth=1
	s_delay_alu instid0(SALU_CYCLE_1)
	s_or_b32 exec_lo, exec_lo, s8
	s_and_saveexec_b32 s8, s104
; %bb.919:                              ;   in Loop: Header=BB25_3 Depth=1
	s_delay_alu instid0(VALU_DEP_1) | instskip(NEXT) | instid1(VALU_DEP_2)
	v_xor_b32_e32 v41, 0x80000000, v39
	v_mov_b32_e32 v40, v38
	ds_store_b64 v61, v[40:41]
; %bb.920:                              ;   in Loop: Header=BB25_3 Depth=1
	s_or_b32 exec_lo, exec_lo, s8
	s_wait_loadcnt_dscnt 0x0
	s_barrier_signal -1
	s_barrier_wait -1
	s_and_saveexec_b32 s8, vcc_hi
	s_cbranch_execz .LBB25_922
; %bb.921:                              ;   in Loop: Header=BB25_3 Depth=1
	ds_load_b64 v[40:41], v7 offset:512
	ds_load_b64 v[42:43], v61
	s_wait_dscnt 0x0
	v_fma_f64 v[38:39], -v[40:41], v[42:43], v[38:39]
.LBB25_922:                             ;   in Loop: Header=BB25_3 Depth=1
	s_or_b32 exec_lo, exec_lo, s8
	s_barrier_signal -1
	s_barrier_wait -1
	s_and_saveexec_b32 s8, vcc_hi
; %bb.923:                              ;   in Loop: Header=BB25_3 Depth=1
	s_delay_alu instid0(VALU_DEP_1) | instskip(NEXT) | instid1(VALU_DEP_2)
	v_xor_b32_e32 v41, 0x80000000, v39
	v_mov_b32_e32 v40, v38
	ds_store_b64 v61, v[40:41]
; %bb.924:                              ;   in Loop: Header=BB25_3 Depth=1
	s_or_b32 exec_lo, exec_lo, s8
	s_wait_dscnt 0x0
	s_barrier_signal -1
	s_barrier_wait -1
	s_barrier_signal -1
	s_barrier_wait -1
	s_and_saveexec_b32 s8, s0
; %bb.925:                              ;   in Loop: Header=BB25_3 Depth=1
	ds_store_b64 v63, v[38:39] offset:1536
; %bb.926:                              ;   in Loop: Header=BB25_3 Depth=1
	s_or_b32 exec_lo, exec_lo, s8
	s_wait_dscnt 0x0
	s_barrier_signal -1
	s_barrier_wait -1
	s_barrier_signal -1
	s_barrier_wait -1
	s_and_saveexec_b32 s8, s10
; %bb.927:                              ;   in Loop: Header=BB25_3 Depth=1
	ds_store_2addr_b64 v7, v[26:27], v[26:27] offset1:65
; %bb.928:                              ;   in Loop: Header=BB25_3 Depth=1
	s_or_b32 exec_lo, exec_lo, s8
.LBB25_929:                             ;   in Loop: Header=BB25_3 Depth=1
	v_mov_b64_e32 v[38:39], 0
	s_mul_u64 s[96:97], s[80:81], s[84:85]
	s_wait_dscnt 0x0
	s_lshl_b64 s[96:97], s[96:97], 3
	s_barrier_signal -1
	s_add_nc_u64 s[96:97], s[74:75], s[96:97]
	s_barrier_wait -1
	s_and_saveexec_b32 s8, s25
	s_cbranch_execz .LBB25_931
; %bb.930:                              ;   in Loop: Header=BB25_3 Depth=1
	v_lshl_add_u64 v[38:39], v[12:13], 3, s[96:97]
	global_load_b64 v[38:39], v[38:39], off
	s_wait_loadcnt 0x0
	v_mul_f64_e64 v[38:39], v[38:39], -v[36:37]
.LBB25_931:                             ;   in Loop: Header=BB25_3 Depth=1
	s_or_b32 exec_lo, exec_lo, s8
	s_delay_alu instid0(SALU_CYCLE_1)
	s_and_not1_b32 vcc_lo, exec_lo, s27
	s_cbranch_vccnz .LBB25_957
; %bb.932:                              ;   in Loop: Header=BB25_3 Depth=1
	v_lshl_add_u64 v[36:37], v[8:9], 3, s[94:95]
	v_mov_b32_e32 v79, -1
	s_lshl_b64 s[58:59], s[84:85], 2
	s_mov_b32 s8, 0
	s_add_nc_u64 s[94:95], s[82:83], s[58:59]
	s_branch .LBB25_935
.LBB25_933:                             ;   in Loop: Header=BB25_935 Depth=2
	s_wait_xcnt 0x0
	ds_load_b64 v[40:41], v54 offset:384
	s_wait_loadcnt_dscnt 0x0
	v_fmac_f64_e32 v[38:39], v[42:43], v[40:41]
.LBB25_934:                             ;   in Loop: Header=BB25_935 Depth=2
	s_or_b32 exec_lo, exec_lo, s29
	s_add_co_i32 s8, s8, 1
	s_delay_alu instid0(SALU_CYCLE_1)
	s_cmp_eq_u32 s8, s99
	s_cbranch_scc1 .LBB25_957
.LBB25_935:                             ;   Parent Loop BB25_3 Depth=1
                                        ; =>  This Loop Header: Depth=2
                                        ;       Child Loop BB25_937 Depth 3
	v_cmp_gt_i32_e32 vcc_lo, s8, v79
	s_and_b32 s57, s55, vcc_lo
	s_delay_alu instid0(SALU_CYCLE_1)
	s_and_saveexec_b32 s29, s57
	s_cbranch_execz .LBB25_938
; %bb.936:                              ;   in Loop: Header=BB25_935 Depth=2
	global_load_b32 v79, v7, s[94:95]
	s_wait_loadcnt 0x0
	v_cmp_le_i32_e32 vcc_lo, s8, v79
	s_cbranch_vccnz .LBB25_938
.LBB25_937:                             ;   Parent Loop BB25_3 Depth=1
                                        ;     Parent Loop BB25_935 Depth=2
                                        ; =>    This Inner Loop Header: Depth=3
	global_wb scope:SCOPE_DEV
	s_wait_storecnt 0x0
	global_inv scope:SCOPE_DEV
	global_load_b32 v79, v7, s[94:95]
	s_wait_loadcnt 0x0
	v_cmp_gt_i32_e32 vcc_lo, s8, v79
	s_cbranch_vccnz .LBB25_937
.LBB25_938:                             ;   in Loop: Header=BB25_935 Depth=2
	s_or_b32 exec_lo, exec_lo, s29
	s_sub_co_i32 s65, s100, s8
	global_wb scope:SCOPE_DEV
	s_wait_storecnt 0x0
	global_inv scope:SCOPE_DEV
	s_lshl_b32 s29, s65, 6
	s_wait_loadcnt 0x0
	s_barrier_signal -1
	s_barrier_wait -1
	s_and_saveexec_b32 s57, s56
	s_cbranch_execz .LBB25_942
; %bb.939:                              ;   in Loop: Header=BB25_935 Depth=2
	s_ashr_i32 s58, s29, 31
	v_mov_b64_e32 v[42:43], 0
	v_dual_mov_b32 v41, s58 :: v_dual_bitop2_b32 v40, s29, v6 bitop3:0x54
	s_mov_b32 s58, exec_lo
	s_delay_alu instid0(VALU_DEP_1)
	v_cmpx_gt_i64_e64 s[86:87], v[40:41]
	s_cbranch_execz .LBB25_941
; %bb.940:                              ;   in Loop: Header=BB25_935 Depth=2
	v_mul_u64_e32 v[40:41], s[78:79], v[40:41]
	s_delay_alu instid0(VALU_DEP_1)
	v_lshl_add_u64 v[40:41], v[40:41], 3, s[96:97]
	global_load_b64 v[42:43], v[40:41], off
.LBB25_941:                             ;   in Loop: Header=BB25_935 Depth=2
	s_wait_xcnt 0x0
	s_or_b32 exec_lo, exec_lo, s58
	s_wait_loadcnt 0x0
	ds_store_b64 v53, v[42:43]
.LBB25_942:                             ;   in Loop: Header=BB25_935 Depth=2
	s_or_b32 exec_lo, exec_lo, s57
	v_add_nc_u32_e32 v42, s29, v2
	s_cmp_lg_u32 s65, s64
	s_wait_dscnt 0x0
	s_cselect_b32 s57, -1, 0
	s_barrier_signal -1
	v_ashrrev_i32_e32 v43, 31, v42
	v_cmp_gt_i32_e32 vcc_lo, s86, v42
	s_barrier_wait -1
	s_delay_alu instid0(VALU_DEP_2) | instskip(SKIP_2) | instid1(VALU_DEP_2)
	v_mul_u64_e32 v[40:41], s[68:69], v[42:43]
	v_cndmask_b32_e64 v43, 0, 1, s57
	s_and_b32 s58, s5, vcc_lo
	v_lshl_add_u64 v[40:41], v[40:41], 3, v[36:37]
	s_and_saveexec_b32 s29, s58
	s_cbranch_execz .LBB25_946
; %bb.943:                              ;   in Loop: Header=BB25_935 Depth=2
	v_mov_b64_e32 v[44:45], v[28:29]
	s_and_not1_b32 vcc_lo, exec_lo, s57
	s_cbranch_vccnz .LBB25_945
; %bb.944:                              ;   in Loop: Header=BB25_935 Depth=2
	global_load_b64 v[44:45], v[40:41], off
.LBB25_945:                             ;   in Loop: Header=BB25_935 Depth=2
	ds_load_b64 v[80:81], v54
	s_wait_loadcnt_dscnt 0x0
	v_fmac_f64_e32 v[38:39], v[44:45], v[80:81]
.LBB25_946:                             ;   in Loop: Header=BB25_935 Depth=2
	s_or_b32 exec_lo, exec_lo, s29
	v_add_nc_u32_e32 v44, 16, v42
	s_delay_alu instid0(VALU_DEP_1) | instskip(SKIP_1) | instid1(SALU_CYCLE_1)
	v_cmp_gt_i32_e32 vcc_lo, s86, v44
	s_and_b32 s57, s5, vcc_lo
	s_and_saveexec_b32 s29, s57
	s_cbranch_execz .LBB25_950
; %bb.947:                              ;   in Loop: Header=BB25_935 Depth=2
	v_cmp_ne_u32_e32 vcc_lo, 1, v43
	v_mov_b64_e32 v[44:45], v[30:31]
	s_cbranch_vccnz .LBB25_949
; %bb.948:                              ;   in Loop: Header=BB25_935 Depth=2
	v_add_nc_u64_e32 v[44:45], s[88:89], v[40:41]
	global_load_b64 v[44:45], v[44:45], off
.LBB25_949:                             ;   in Loop: Header=BB25_935 Depth=2
	ds_load_b64 v[80:81], v54 offset:128
	s_wait_loadcnt_dscnt 0x0
	v_fmac_f64_e32 v[38:39], v[44:45], v[80:81]
.LBB25_950:                             ;   in Loop: Header=BB25_935 Depth=2
	s_or_b32 exec_lo, exec_lo, s29
	v_add_nc_u32_e32 v44, 32, v42
	s_delay_alu instid0(VALU_DEP_1) | instskip(SKIP_1) | instid1(SALU_CYCLE_1)
	v_cmp_gt_i32_e32 vcc_lo, s86, v44
	s_and_b32 s57, s5, vcc_lo
	s_and_saveexec_b32 s29, s57
	s_cbranch_execz .LBB25_954
; %bb.951:                              ;   in Loop: Header=BB25_935 Depth=2
	v_cmp_ne_u32_e32 vcc_lo, 1, v43
	v_mov_b64_e32 v[44:45], v[32:33]
	s_cbranch_vccnz .LBB25_953
; %bb.952:                              ;   in Loop: Header=BB25_935 Depth=2
	v_add_nc_u64_e32 v[44:45], s[90:91], v[40:41]
	global_load_b64 v[44:45], v[44:45], off
.LBB25_953:                             ;   in Loop: Header=BB25_935 Depth=2
	ds_load_b64 v[80:81], v54 offset:256
	s_wait_loadcnt_dscnt 0x0
	v_fmac_f64_e32 v[38:39], v[44:45], v[80:81]
.LBB25_954:                             ;   in Loop: Header=BB25_935 Depth=2
	s_or_b32 exec_lo, exec_lo, s29
	v_add_nc_u32_e32 v42, 48, v42
	s_delay_alu instid0(VALU_DEP_1) | instskip(SKIP_1) | instid1(SALU_CYCLE_1)
	v_cmp_gt_i32_e32 vcc_lo, s86, v42
	s_and_b32 s57, s5, vcc_lo
	s_and_saveexec_b32 s29, s57
	s_cbranch_execz .LBB25_934
; %bb.955:                              ;   in Loop: Header=BB25_935 Depth=2
	v_cmp_ne_u32_e32 vcc_lo, 1, v43
	v_mov_b64_e32 v[42:43], v[34:35]
	s_cbranch_vccnz .LBB25_933
; %bb.956:                              ;   in Loop: Header=BB25_935 Depth=2
	v_add_nc_u64_e32 v[40:41], s[92:93], v[40:41]
	global_load_b64 v[42:43], v[40:41], off
	s_branch .LBB25_933
.LBB25_957:                             ;   in Loop: Header=BB25_3 Depth=1
	ds_store_b64 v55, v[38:39]
	s_wait_dscnt 0x0
	s_barrier_signal -1
	s_barrier_wait -1
	s_and_saveexec_b32 s8, s4
	s_cbranch_execz .LBB25_959
; %bb.958:                              ;   in Loop: Header=BB25_3 Depth=1
	ds_load_2addr_stride64_b64 v[40:43], v56 offset0:1 offset1:2
	ds_load_2addr_stride64_b64 v[80:83], v56 offset0:3 offset1:4
	s_wait_dscnt 0x1
	v_add_f64_e32 v[36:37], v[38:39], v[40:41]
	s_delay_alu instid0(VALU_DEP_1) | instskip(SKIP_1) | instid1(VALU_DEP_1)
	v_add_f64_e32 v[36:37], v[36:37], v[42:43]
	s_wait_dscnt 0x0
	v_add_f64_e32 v[36:37], v[36:37], v[80:81]
	s_delay_alu instid0(VALU_DEP_1) | instskip(SKIP_4) | instid1(VALU_DEP_1)
	v_add_f64_e32 v[44:45], v[36:37], v[82:83]
	ds_load_2addr_stride64_b64 v[36:39], v56 offset0:5 offset1:6
	ds_load_2addr_stride64_b64 v[40:43], v56 offset0:7 offset1:8
	s_wait_dscnt 0x1
	v_add_f64_e32 v[36:37], v[44:45], v[36:37]
	v_add_f64_e32 v[36:37], v[36:37], v[38:39]
	s_wait_dscnt 0x0
	s_delay_alu instid0(VALU_DEP_1) | instskip(NEXT) | instid1(VALU_DEP_1)
	v_add_f64_e32 v[36:37], v[36:37], v[40:41]
	v_add_f64_e32 v[44:45], v[36:37], v[42:43]
	ds_load_2addr_stride64_b64 v[36:39], v56 offset0:9 offset1:10
	ds_load_2addr_stride64_b64 v[40:43], v56 offset0:11 offset1:12
	s_wait_dscnt 0x1
	v_add_f64_e32 v[36:37], v[44:45], v[36:37]
	s_delay_alu instid0(VALU_DEP_1) | instskip(SKIP_1) | instid1(VALU_DEP_1)
	v_add_f64_e32 v[36:37], v[36:37], v[38:39]
	s_wait_dscnt 0x0
	v_add_f64_e32 v[36:37], v[36:37], v[40:41]
	s_delay_alu instid0(VALU_DEP_1) | instskip(SKIP_4) | instid1(VALU_DEP_1)
	v_add_f64_e32 v[40:41], v[36:37], v[42:43]
	ds_load_2addr_stride64_b64 v[36:39], v56 offset0:13 offset1:14
	ds_load_b64 v[42:43], v56 offset:7680
	s_wait_dscnt 0x1
	v_add_f64_e32 v[36:37], v[40:41], v[36:37]
	v_add_f64_e32 v[36:37], v[36:37], v[38:39]
	s_wait_dscnt 0x0
	s_delay_alu instid0(VALU_DEP_1) | instskip(NEXT) | instid1(VALU_DEP_1)
	v_add_f64_e32 v[36:37], v[36:37], v[42:43]
	v_xor_b32_e32 v37, 0x80000000, v37
	s_delay_alu instid0(VALU_DEP_2) | instskip(NEXT) | instid1(VALU_DEP_2)
	v_cndmask_b32_e64 v38, v36, 0, s21
	v_cndmask_b32_e64 v39, v37, 0, s21
.LBB25_959:                             ;   in Loop: Header=BB25_3 Depth=1
	s_or_b32 exec_lo, exec_lo, s8
	s_delay_alu instid0(SALU_CYCLE_1)
	s_and_not1_b32 vcc_lo, exec_lo, s103
	s_cbranch_vccnz .LBB25_972
; %bb.960:                              ;   in Loop: Header=BB25_3 Depth=1
	s_and_saveexec_b32 s8, s4
; %bb.961:                              ;   in Loop: Header=BB25_3 Depth=1
	ds_store_b64 v58, v[38:39]
; %bb.962:                              ;   in Loop: Header=BB25_3 Depth=1
	s_or_b32 exec_lo, exec_lo, s8
	v_mov_b64_e32 v[36:37], 0
	s_wait_dscnt 0x0
	s_barrier_signal -1
	s_barrier_wait -1
	s_mov_b32 s8, exec_lo
	v_readlane_b32 s29, v85, 29
	s_and_b32 s29, s8, s29
	s_delay_alu instid0(SALU_CYCLE_1)
	s_mov_b32 exec_lo, s29
	s_cbranch_execz .LBB25_964
; %bb.963:                              ;   in Loop: Header=BB25_3 Depth=1
	ds_load_b64 v[36:37], v57
	ds_load_b64 v[40:41], v54
	s_wait_dscnt 0x0
	v_fma_f64 v[36:37], v[36:37], v[40:41], 0
.LBB25_964:                             ;   in Loop: Header=BB25_3 Depth=1
	s_or_b32 exec_lo, exec_lo, s8
	s_delay_alu instid0(SALU_CYCLE_1) | instskip(SKIP_2) | instid1(SALU_CYCLE_1)
	s_mov_b32 s8, exec_lo
	v_readlane_b32 s29, v85, 30
	s_and_b32 s29, s8, s29
	s_mov_b32 exec_lo, s29
	s_cbranch_execz .LBB25_966
; %bb.965:                              ;   in Loop: Header=BB25_3 Depth=1
	ds_load_b64 v[40:41], v57 offset:8192
	ds_load_b64 v[42:43], v54 offset:128
	s_wait_dscnt 0x0
	v_fmac_f64_e32 v[36:37], v[40:41], v[42:43]
.LBB25_966:                             ;   in Loop: Header=BB25_3 Depth=1
	s_or_b32 exec_lo, exec_lo, s8
	s_delay_alu instid0(SALU_CYCLE_1) | instskip(SKIP_2) | instid1(SALU_CYCLE_1)
	s_mov_b32 s8, exec_lo
	v_readlane_b32 s29, v85, 31
	s_and_b32 s29, s8, s29
	s_mov_b32 exec_lo, s29
	s_cbranch_execz .LBB25_968
; %bb.967:                              ;   in Loop: Header=BB25_3 Depth=1
	ds_load_b64 v[40:41], v57 offset:16384
	ds_load_b64 v[42:43], v54 offset:256
	s_wait_dscnt 0x0
	v_fmac_f64_e32 v[36:37], v[40:41], v[42:43]
.LBB25_968:                             ;   in Loop: Header=BB25_3 Depth=1
	;; [unrolled: 13-line block ×3, first 2 shown]
	s_or_b32 exec_lo, exec_lo, s8
	s_mov_b32 s8, 0
	s_mov_b32 s94, 0
	ds_store_b64 v55, v[36:37]
	s_wait_dscnt 0x0
	s_barrier_signal -1
	s_barrier_wait -1
                                        ; implicit-def: $vgpr40_vgpr41
	s_and_saveexec_b32 s95, s4
	s_cbranch_execz .LBB25_1001
; %bb.971:                              ;   in Loop: Header=BB25_3 Depth=1
	ds_load_2addr_stride64_b64 v[40:43], v56 offset0:1 offset1:2
	ds_load_2addr_stride64_b64 v[80:83], v56 offset0:3 offset1:4
	s_mov_b32 s94, exec_lo
	s_wait_dscnt 0x1
	v_add_f64_e32 v[36:37], v[36:37], v[40:41]
	s_delay_alu instid0(VALU_DEP_1) | instskip(SKIP_1) | instid1(VALU_DEP_1)
	v_add_f64_e32 v[36:37], v[42:43], v[36:37]
	s_wait_dscnt 0x0
	v_add_f64_e32 v[36:37], v[80:81], v[36:37]
	s_delay_alu instid0(VALU_DEP_1) | instskip(SKIP_4) | instid1(VALU_DEP_1)
	v_add_f64_e32 v[36:37], v[82:83], v[36:37]
	ds_load_2addr_stride64_b64 v[40:43], v56 offset0:5 offset1:6
	ds_load_2addr_stride64_b64 v[80:83], v56 offset0:7 offset1:8
	s_wait_dscnt 0x1
	v_add_f64_e32 v[36:37], v[40:41], v[36:37]
	v_add_f64_e32 v[36:37], v[42:43], v[36:37]
	s_wait_dscnt 0x0
	s_delay_alu instid0(VALU_DEP_1) | instskip(NEXT) | instid1(VALU_DEP_1)
	v_add_f64_e32 v[36:37], v[80:81], v[36:37]
	v_add_f64_e32 v[36:37], v[82:83], v[36:37]
	ds_load_2addr_stride64_b64 v[40:43], v56 offset0:9 offset1:10
	ds_load_2addr_stride64_b64 v[80:83], v56 offset0:11 offset1:12
	s_wait_dscnt 0x1
	v_add_f64_e32 v[36:37], v[40:41], v[36:37]
	s_delay_alu instid0(VALU_DEP_1) | instskip(SKIP_4) | instid1(VALU_DEP_1)
	v_add_f64_e32 v[36:37], v[42:43], v[36:37]
	ds_load_2addr_stride64_b64 v[40:43], v56 offset0:13 offset1:14
	ds_load_b64 v[44:45], v56 offset:7680
	s_wait_dscnt 0x2
	v_add_f64_e32 v[36:37], v[80:81], v[36:37]
	v_add_f64_e32 v[36:37], v[82:83], v[36:37]
	s_wait_dscnt 0x1
	s_delay_alu instid0(VALU_DEP_1) | instskip(NEXT) | instid1(VALU_DEP_1)
	v_add_f64_e32 v[36:37], v[40:41], v[36:37]
	v_add_f64_e32 v[36:37], v[42:43], v[36:37]
	s_wait_dscnt 0x0
	s_delay_alu instid0(VALU_DEP_1) | instskip(SKIP_1) | instid1(SALU_CYCLE_1)
	v_add_f64_e32 v[40:41], v[44:45], v[36:37]
	s_or_b32 exec_lo, exec_lo, s95
	s_and_b32 vcc_lo, exec_lo, s8
	s_cbranch_vccnz .LBB25_973
	s_branch .LBB25_1002
.LBB25_972:                             ;   in Loop: Header=BB25_3 Depth=1
	s_mov_b32 s94, 0
                                        ; implicit-def: $vgpr40_vgpr41
	s_cbranch_execz .LBB25_1002
.LBB25_973:                             ;   in Loop: Header=BB25_3 Depth=1
	v_dual_mov_b32 v36, v78 :: v_dual_mov_b32 v37, v77
	s_mov_b32 s8, 63
	s_branch .LBB25_975
.LBB25_974:                             ;   in Loop: Header=BB25_975 Depth=2
	s_or_b32 exec_lo, exec_lo, s29
	v_add_nc_u32_e32 v37, 0xfffff800, v37
	v_add_nc_u32_e32 v36, 4, v36
	s_add_co_i32 s8, s8, -4
	s_cmp_lg_u32 s65, 0
	s_barrier_signal -1
	s_barrier_wait -1
	s_cbranch_scc0 .LBB25_991
.LBB25_975:                             ;   Parent Loop BB25_3 Depth=1
                                        ; =>  This Inner Loop Header: Depth=2
	s_delay_alu instid0(VALU_DEP_1) | instskip(SKIP_1) | instid1(SALU_CYCLE_1)
	v_cmp_eq_u32_e32 vcc_lo, 0, v36
	s_and_b32 s57, s4, vcc_lo
	s_and_saveexec_b32 s29, s57
; %bb.976:                              ;   in Loop: Header=BB25_975 Depth=2
	ds_store_b64 v7, v[38:39] offset:41472
; %bb.977:                              ;   in Loop: Header=BB25_975 Depth=2
	s_or_b32 exec_lo, exec_lo, s29
	v_cmp_gt_u32_e32 vcc_lo, s8, v4
	s_wait_dscnt 0x0
	s_barrier_signal -1
	s_barrier_wait -1
	s_and_b32 s57, s4, vcc_lo
	s_delay_alu instid0(SALU_CYCLE_1)
	s_and_saveexec_b32 s29, s57
	s_cbranch_execz .LBB25_979
; %bb.978:                              ;   in Loop: Header=BB25_975 Depth=2
	ds_load_b64 v[40:41], v37 offset:1536
	ds_load_b64 v[42:43], v7 offset:41472
	s_wait_dscnt 0x0
	v_fmac_f64_e32 v[38:39], v[40:41], v[42:43]
.LBB25_979:                             ;   in Loop: Header=BB25_975 Depth=2
	s_or_b32 exec_lo, exec_lo, s29
	s_add_co_i32 s29, s8, -1
	s_delay_alu instid0(SALU_CYCLE_1) | instskip(SKIP_3) | instid1(SALU_CYCLE_1)
	v_cmp_eq_u32_e32 vcc_lo, s29, v4
	s_barrier_signal -1
	s_barrier_wait -1
	s_and_b32 s58, s4, vcc_lo
	s_and_saveexec_b32 s57, s58
; %bb.980:                              ;   in Loop: Header=BB25_975 Depth=2
	ds_store_b64 v7, v[38:39] offset:41472
; %bb.981:                              ;   in Loop: Header=BB25_975 Depth=2
	s_or_b32 exec_lo, exec_lo, s57
	v_cmp_gt_u32_e32 vcc_lo, s29, v4
	s_wait_dscnt 0x0
	s_barrier_signal -1
	s_barrier_wait -1
	s_and_b32 s57, s4, vcc_lo
	s_delay_alu instid0(SALU_CYCLE_1)
	s_and_saveexec_b32 s29, s57
	s_cbranch_execz .LBB25_983
; %bb.982:                              ;   in Loop: Header=BB25_975 Depth=2
	ds_load_b64 v[40:41], v37 offset:1024
	ds_load_b64 v[42:43], v7 offset:41472
	s_wait_dscnt 0x0
	v_fmac_f64_e32 v[38:39], v[40:41], v[42:43]
.LBB25_983:                             ;   in Loop: Header=BB25_975 Depth=2
	s_or_b32 exec_lo, exec_lo, s29
	s_add_co_i32 s29, s8, -2
	s_delay_alu instid0(SALU_CYCLE_1) | instskip(SKIP_3) | instid1(SALU_CYCLE_1)
	v_cmp_eq_u32_e32 vcc_lo, s29, v4
	s_barrier_signal -1
	s_barrier_wait -1
	;; [unrolled: 26-line block ×3, first 2 shown]
	s_and_b32 s57, s4, vcc_lo
	s_and_saveexec_b32 s29, s57
; %bb.988:                              ;   in Loop: Header=BB25_975 Depth=2
	ds_store_b64 v7, v[38:39] offset:41472
; %bb.989:                              ;   in Loop: Header=BB25_975 Depth=2
	s_or_b32 exec_lo, exec_lo, s29
	v_cmp_gt_u32_e32 vcc_lo, s65, v4
	s_wait_dscnt 0x0
	s_barrier_signal -1
	s_barrier_wait -1
	s_and_b32 s57, s4, vcc_lo
	s_delay_alu instid0(SALU_CYCLE_1)
	s_and_saveexec_b32 s29, s57
	s_cbranch_execz .LBB25_974
; %bb.990:                              ;   in Loop: Header=BB25_975 Depth=2
	ds_load_b64 v[40:41], v37
	ds_load_b64 v[42:43], v7 offset:41472
	s_wait_dscnt 0x0
	v_fmac_f64_e32 v[38:39], v[40:41], v[42:43]
	s_branch .LBB25_974
.LBB25_991:                             ;   in Loop: Header=BB25_3 Depth=1
	s_and_b32 vcc_lo, exec_lo, s101
	s_mov_b32 s8, -1
	s_cbranch_vccnz .LBB25_1003
; %bb.992:                              ;   in Loop: Header=BB25_3 Depth=1
	s_and_not1_b32 vcc_lo, exec_lo, s8
	s_cbranch_vccz .LBB25_1004
.LBB25_993:                             ;   in Loop: Header=BB25_3 Depth=1
	s_and_saveexec_b32 s8, s94
	s_cbranch_execz .LBB25_995
.LBB25_994:                             ;   in Loop: Header=BB25_3 Depth=1
	v_lshl_add_u64 v[36:37], v[0:1], 3, s[96:97]
	global_store_b64 v[36:37], v[38:39], off
.LBB25_995:                             ;   in Loop: Header=BB25_3 Depth=1
	s_wait_xcnt 0x0
	s_or_b32 exec_lo, exec_lo, s8
	global_wb scope:SCOPE_DEV
	s_wait_storecnt 0x0
	global_inv scope:SCOPE_DEV
	s_wait_loadcnt 0x0
	s_barrier_signal -1
	s_barrier_wait -1
	s_and_saveexec_b32 s8, s55
	s_cbranch_execz .LBB25_2
; %bb.996:                              ;   in Loop: Header=BB25_3 Depth=1
	s_lshl_b64 s[58:59], s[84:85], 2
	s_delay_alu instid0(SALU_CYCLE_1)
	s_add_nc_u64 s[58:59], s[82:83], s[58:59]
	global_load_b32 v36, v7, s[58:59]
	s_wait_loadcnt 0x0
	v_add_nc_u32_e32 v36, 1, v36
	global_store_b32 v7, v36, s[58:59]
	s_branch .LBB25_2
.LBB25_997:                             ;   in Loop: Header=BB25_3 Depth=1
	v_readlane_b32 s8, v84, 1
	s_and_b32 s8, s8, exec_lo
	s_or_saveexec_b32 s29, s29
	v_mov_b64_e32 v[40:41], 0
	s_xor_b32 exec_lo, exec_lo, s29
	s_cbranch_execz .LBB25_16
.LBB25_998:                             ;   in Loop: Header=BB25_3 Depth=1
	v_lshl_add_u64 v[40:41], v[14:15], 3, v[38:39]
	s_or_b32 s8, s8, exec_lo
	global_load_b64 v[40:41], v[40:41], off
	s_wait_loadcnt 0x0
	v_xor_b32_e32 v41, 0x80000000, v41
	s_or_b32 exec_lo, exec_lo, s29
	s_and_saveexec_b32 s29, s8
	s_cbranch_execnz .LBB25_17
	s_branch .LBB25_18
.LBB25_999:                             ;   in Loop: Header=BB25_3 Depth=1
	v_readlane_b32 s8, v84, 1
	s_and_b32 s8, s8, exec_lo
	s_or_saveexec_b32 s29, s29
	v_mov_b64_e32 v[40:41], 0
	s_xor_b32 exec_lo, exec_lo, s29
	s_cbranch_execz .LBB25_40
.LBB25_1000:                            ;   in Loop: Header=BB25_3 Depth=1
	v_lshl_add_u64 v[40:41], v[14:15], 3, v[38:39]
	s_or_b32 s8, s8, exec_lo
	global_load_b64 v[40:41], v[40:41], off
	s_wait_loadcnt 0x0
	v_xor_b32_e32 v41, 0x80000000, v41
	s_or_b32 exec_lo, exec_lo, s29
	s_and_saveexec_b32 s29, s8
	s_cbranch_execnz .LBB25_41
	s_branch .LBB25_42
.LBB25_1001:                            ;   in Loop: Header=BB25_3 Depth=1
	s_or_b32 exec_lo, exec_lo, s95
	s_delay_alu instid0(SALU_CYCLE_1)
	s_and_b32 vcc_lo, exec_lo, s8
	s_cbranch_vccnz .LBB25_973
.LBB25_1002:                            ;   in Loop: Header=BB25_3 Depth=1
	s_delay_alu instid0(VALU_DEP_1)
	v_mov_b64_e32 v[38:39], v[40:41]
	s_and_saveexec_b32 s8, s94
	s_cbranch_execnz .LBB25_994
	s_branch .LBB25_995
.LBB25_1003:                            ;   in Loop: Header=BB25_3 Depth=1
	s_and_not1_b32 s29, s94, exec_lo
	s_and_b32 s57, s4, exec_lo
	s_delay_alu instid0(SALU_CYCLE_1)
	s_or_b32 s94, s29, s57
	s_cbranch_execnz .LBB25_993
.LBB25_1004:                            ;   in Loop: Header=BB25_3 Depth=1
	v_readlane_b32 s29, v86, 14
	s_and_not1_b32 s8, s94, exec_lo
	s_and_b32 s29, s29, exec_lo
	s_delay_alu instid0(SALU_CYCLE_1) | instskip(NEXT) | instid1(SALU_CYCLE_1)
	s_or_b32 s94, s8, s29
	s_and_saveexec_b32 s8, s94
	s_cbranch_execnz .LBB25_994
	s_branch .LBB25_995
.LBB25_1005:                            ;   in Loop: Header=BB25_3 Depth=1
	ds_load_b64 v[40:41], v62 offset:31680
	ds_load_b64 v[42:43], v47 offset:32744
	s_wait_dscnt 0x0
	v_fmac_f64_e32 v[38:39], v[40:41], v[42:43]
	s_or_b32 exec_lo, exec_lo, s29
	s_and_saveexec_b32 s29, s13
	s_cbranch_execz .LBB25_81
.LBB25_1006:                            ;   in Loop: Header=BB25_3 Depth=1
	ds_load_b64 v[40:41], v62 offset:32192
	ds_load_b64 v[42:43], v47 offset:32752
	s_wait_dscnt 0x0
	v_fmac_f64_e32 v[38:39], v[40:41], v[42:43]
	s_or_b32 exec_lo, exec_lo, s29
	s_and_saveexec_b32 s29, s0
	s_cbranch_execnz .LBB25_82
	s_branch .LBB25_83
.LBB25_1007:                            ;   in Loop: Header=BB25_3 Depth=1
	ds_load_b64 v[40:41], v64 offset:29568
	ds_load_b64 v[42:43], v49 offset:32712
	s_wait_dscnt 0x0
	v_fmac_f64_e32 v[38:39], v[40:41], v[42:43]
	s_or_b32 exec_lo, exec_lo, s29
	s_and_saveexec_b32 s29, s15
	s_cbranch_execz .LBB25_119
.LBB25_1008:                            ;   in Loop: Header=BB25_3 Depth=1
	ds_load_b64 v[40:41], v64 offset:30080
	ds_load_b64 v[42:43], v49 offset:32720
	s_wait_dscnt 0x0
	v_fmac_f64_e32 v[38:39], v[40:41], v[42:43]
	s_or_b32 exec_lo, exec_lo, s29
	s_and_saveexec_b32 s29, s16
	s_cbranch_execz .LBB25_120
.LBB25_1009:                            ;   in Loop: Header=BB25_3 Depth=1
	ds_load_b64 v[40:41], v64 offset:30592
	ds_load_b64 v[42:43], v49 offset:32728
	s_wait_dscnt 0x0
	v_fmac_f64_e32 v[38:39], v[40:41], v[42:43]
	s_or_b32 exec_lo, exec_lo, s29
	s_and_saveexec_b32 s29, s17
	s_cbranch_execz .LBB25_121
.LBB25_1010:                            ;   in Loop: Header=BB25_3 Depth=1
	ds_load_b64 v[40:41], v64 offset:31104
	ds_load_b64 v[42:43], v49 offset:32736
	s_wait_dscnt 0x0
	v_fmac_f64_e32 v[38:39], v[40:41], v[42:43]
	s_or_b32 exec_lo, exec_lo, s29
	s_and_saveexec_b32 s29, s18
	s_cbranch_execz .LBB25_122
.LBB25_1011:                            ;   in Loop: Header=BB25_3 Depth=1
	ds_load_b64 v[40:41], v64 offset:31616
	ds_load_b64 v[42:43], v49 offset:32744
	s_wait_dscnt 0x0
	v_fmac_f64_e32 v[38:39], v[40:41], v[42:43]
	s_or_b32 exec_lo, exec_lo, s29
	s_and_saveexec_b32 s29, s1
	s_cbranch_execz .LBB25_123
.LBB25_1012:                            ;   in Loop: Header=BB25_3 Depth=1
	ds_load_b64 v[40:41], v64 offset:32128
	ds_load_b64 v[42:43], v49 offset:32752
	s_wait_dscnt 0x0
	v_fmac_f64_e32 v[38:39], v[40:41], v[42:43]
	s_or_b32 exec_lo, exec_lo, s29
	s_and_saveexec_b32 s29, s13
	s_cbranch_execnz .LBB25_124
	s_branch .LBB25_125
.LBB25_1013:                            ;   in Loop: Header=BB25_3 Depth=1
	ds_load_b64 v[40:41], v62 offset:27520
	ds_load_b64 v[42:43], v47 offset:28584
	s_wait_dscnt 0x0
	v_fmac_f64_e32 v[38:39], v[40:41], v[42:43]
	s_or_b32 exec_lo, exec_lo, s29
	s_and_saveexec_b32 s29, s13
	s_cbranch_execz .LBB25_177
.LBB25_1014:                            ;   in Loop: Header=BB25_3 Depth=1
	ds_load_b64 v[40:41], v62 offset:28032
	ds_load_b64 v[42:43], v47 offset:28592
	s_wait_dscnt 0x0
	v_fmac_f64_e32 v[38:39], v[40:41], v[42:43]
	s_or_b32 exec_lo, exec_lo, s29
	s_and_saveexec_b32 s29, s0
	s_cbranch_execnz .LBB25_178
	s_branch .LBB25_179
.LBB25_1015:                            ;   in Loop: Header=BB25_3 Depth=1
	ds_load_b64 v[40:41], v66 offset:30464
	ds_load_b64 v[42:43], v50 offset:32728
	s_wait_dscnt 0x0
	v_fmac_f64_e32 v[38:39], v[40:41], v[42:43]
	s_or_b32 exec_lo, exec_lo, s29
	s_and_saveexec_b32 s29, s2
	s_cbranch_execz .LBB25_235
.LBB25_1016:                            ;   in Loop: Header=BB25_3 Depth=1
	ds_load_b64 v[40:41], v66 offset:30976
	ds_load_b64 v[42:43], v50 offset:32736
	s_wait_dscnt 0x0
	v_fmac_f64_e32 v[38:39], v[40:41], v[42:43]
	s_or_b32 exec_lo, exec_lo, s29
	s_and_saveexec_b32 s29, s15
	s_cbranch_execz .LBB25_236
.LBB25_1017:                            ;   in Loop: Header=BB25_3 Depth=1
	ds_load_b64 v[40:41], v66 offset:31488
	ds_load_b64 v[42:43], v50 offset:32744
	s_wait_dscnt 0x0
	v_fmac_f64_e32 v[38:39], v[40:41], v[42:43]
	s_or_b32 exec_lo, exec_lo, s29
	s_and_saveexec_b32 s29, s17
	s_cbranch_execz .LBB25_237
.LBB25_1018:                            ;   in Loop: Header=BB25_3 Depth=1
	ds_load_b64 v[40:41], v66 offset:32000
	ds_load_b64 v[42:43], v50 offset:32752
	s_wait_dscnt 0x0
	v_fmac_f64_e32 v[38:39], v[40:41], v[42:43]
	s_or_b32 exec_lo, exec_lo, s29
	s_and_saveexec_b32 s29, s1
	s_cbranch_execnz .LBB25_238
	s_branch .LBB25_239
.LBB25_1019:                            ;   in Loop: Header=BB25_3 Depth=1
	ds_load_b64 v[40:41], v62 offset:23360
	ds_load_b64 v[42:43], v47 offset:24424
	s_wait_dscnt 0x0
	v_fmac_f64_e32 v[38:39], v[40:41], v[42:43]
	s_or_b32 exec_lo, exec_lo, s29
	s_and_saveexec_b32 s29, s13
	s_cbranch_execz .LBB25_323
.LBB25_1020:                            ;   in Loop: Header=BB25_3 Depth=1
	ds_load_b64 v[40:41], v62 offset:23872
	ds_load_b64 v[42:43], v47 offset:24432
	s_wait_dscnt 0x0
	v_fmac_f64_e32 v[38:39], v[40:41], v[42:43]
	s_or_b32 exec_lo, exec_lo, s29
	s_and_saveexec_b32 s29, s0
	s_cbranch_execnz .LBB25_324
	s_branch .LBB25_325
.LBB25_1021:                            ;   in Loop: Header=BB25_3 Depth=1
	ds_load_b64 v[40:41], v64 offset:21248
	ds_load_b64 v[42:43], v49 offset:24392
	s_wait_dscnt 0x0
	v_fmac_f64_e32 v[38:39], v[40:41], v[42:43]
	s_or_b32 exec_lo, exec_lo, s29
	s_and_saveexec_b32 s29, s15
	s_cbranch_execz .LBB25_361
.LBB25_1022:                            ;   in Loop: Header=BB25_3 Depth=1
	ds_load_b64 v[40:41], v64 offset:21760
	ds_load_b64 v[42:43], v49 offset:24400
	s_wait_dscnt 0x0
	v_fmac_f64_e32 v[38:39], v[40:41], v[42:43]
	s_or_b32 exec_lo, exec_lo, s29
	s_and_saveexec_b32 s29, s16
	s_cbranch_execz .LBB25_362
.LBB25_1023:                            ;   in Loop: Header=BB25_3 Depth=1
	ds_load_b64 v[40:41], v64 offset:22272
	ds_load_b64 v[42:43], v49 offset:24408
	s_wait_dscnt 0x0
	v_fmac_f64_e32 v[38:39], v[40:41], v[42:43]
	s_or_b32 exec_lo, exec_lo, s29
	s_and_saveexec_b32 s29, s17
	s_cbranch_execz .LBB25_363
.LBB25_1024:                            ;   in Loop: Header=BB25_3 Depth=1
	ds_load_b64 v[40:41], v64 offset:22784
	ds_load_b64 v[42:43], v49 offset:24416
	s_wait_dscnt 0x0
	v_fmac_f64_e32 v[38:39], v[40:41], v[42:43]
	s_or_b32 exec_lo, exec_lo, s29
	s_and_saveexec_b32 s29, s18
	s_cbranch_execz .LBB25_364
.LBB25_1025:                            ;   in Loop: Header=BB25_3 Depth=1
	ds_load_b64 v[40:41], v64 offset:23296
	ds_load_b64 v[42:43], v49 offset:24424
	s_wait_dscnt 0x0
	v_fmac_f64_e32 v[38:39], v[40:41], v[42:43]
	s_or_b32 exec_lo, exec_lo, s29
	s_and_saveexec_b32 s29, s1
	s_cbranch_execz .LBB25_365
.LBB25_1026:                            ;   in Loop: Header=BB25_3 Depth=1
	ds_load_b64 v[40:41], v64 offset:23808
	ds_load_b64 v[42:43], v49 offset:24432
	s_wait_dscnt 0x0
	v_fmac_f64_e32 v[38:39], v[40:41], v[42:43]
	s_or_b32 exec_lo, exec_lo, s29
	s_and_saveexec_b32 s29, s13
	s_cbranch_execnz .LBB25_366
	s_branch .LBB25_367
.LBB25_1027:                            ;   in Loop: Header=BB25_3 Depth=1
	ds_load_b64 v[40:41], v62 offset:19200
	ds_load_b64 v[42:43], v47 offset:20264
	s_wait_dscnt 0x0
	v_fmac_f64_e32 v[38:39], v[40:41], v[42:43]
	s_or_b32 exec_lo, exec_lo, s29
	s_and_saveexec_b32 s29, s13
	s_cbranch_execz .LBB25_419
.LBB25_1028:                            ;   in Loop: Header=BB25_3 Depth=1
	ds_load_b64 v[40:41], v62 offset:19712
	ds_load_b64 v[42:43], v47 offset:20272
	s_wait_dscnt 0x0
	v_fmac_f64_e32 v[38:39], v[40:41], v[42:43]
	s_or_b32 exec_lo, exec_lo, s29
	s_and_saveexec_b32 s29, s0
	s_cbranch_execnz .LBB25_420
	s_branch .LBB25_421
.LBB25_1029:                            ;   in Loop: Header=BB25_3 Depth=1
	ds_load_b64 v[40:41], v51 offset:31232
	ds_load_b64 v[42:43], v52 offset:32744
	s_wait_dscnt 0x0
	v_fmac_f64_e32 v[38:39], v[40:41], v[42:43]
	s_or_b32 exec_lo, exec_lo, s8
	s_and_saveexec_b32 s8, s2
	s_cbranch_execz .LBB25_513
.LBB25_1030:                            ;   in Loop: Header=BB25_3 Depth=1
	ds_load_b64 v[40:41], v51 offset:31744
	ds_load_b64 v[42:43], v52 offset:32752
	s_wait_dscnt 0x0
	v_fmac_f64_e32 v[38:39], v[40:41], v[42:43]
	s_or_b32 exec_lo, exec_lo, s8
	s_and_saveexec_b32 s8, s17
	s_delay_alu instid0(SALU_CYCLE_1)
	s_xor_b32 s8, exec_lo, s8
	s_cbranch_execnz .LBB25_514
	s_branch .LBB25_515
.LBB25_1031:                            ;   in Loop: Header=BB25_3 Depth=1
	ds_load_b64 v[40:41], v62 offset:15040
	ds_load_b64 v[42:43], v47 offset:16104
	s_wait_dscnt 0x0
	v_fmac_f64_e32 v[38:39], v[40:41], v[42:43]
	s_or_b32 exec_lo, exec_lo, s29
	s_and_saveexec_b32 s29, s13
	s_cbranch_execz .LBB25_555
.LBB25_1032:                            ;   in Loop: Header=BB25_3 Depth=1
	ds_load_b64 v[40:41], v62 offset:15552
	ds_load_b64 v[42:43], v47 offset:16112
	s_wait_dscnt 0x0
	v_fmac_f64_e32 v[38:39], v[40:41], v[42:43]
	s_or_b32 exec_lo, exec_lo, s29
	s_and_saveexec_b32 s29, s0
	s_cbranch_execnz .LBB25_556
	s_branch .LBB25_557
.LBB25_1033:                            ;   in Loop: Header=BB25_3 Depth=1
	ds_load_b64 v[40:41], v64 offset:12928
	ds_load_b64 v[42:43], v49 offset:16072
	s_wait_dscnt 0x0
	v_fmac_f64_e32 v[38:39], v[40:41], v[42:43]
	s_or_b32 exec_lo, exec_lo, s29
	s_and_saveexec_b32 s29, s15
	s_cbranch_execz .LBB25_593
.LBB25_1034:                            ;   in Loop: Header=BB25_3 Depth=1
	ds_load_b64 v[40:41], v64 offset:13440
	ds_load_b64 v[42:43], v49 offset:16080
	s_wait_dscnt 0x0
	v_fmac_f64_e32 v[38:39], v[40:41], v[42:43]
	s_or_b32 exec_lo, exec_lo, s29
	s_and_saveexec_b32 s29, s16
	s_cbranch_execz .LBB25_594
.LBB25_1035:                            ;   in Loop: Header=BB25_3 Depth=1
	ds_load_b64 v[40:41], v64 offset:13952
	ds_load_b64 v[42:43], v49 offset:16088
	s_wait_dscnt 0x0
	v_fmac_f64_e32 v[38:39], v[40:41], v[42:43]
	s_or_b32 exec_lo, exec_lo, s29
	s_and_saveexec_b32 s29, s17
	s_cbranch_execz .LBB25_595
.LBB25_1036:                            ;   in Loop: Header=BB25_3 Depth=1
	ds_load_b64 v[40:41], v64 offset:14464
	ds_load_b64 v[42:43], v49 offset:16096
	s_wait_dscnt 0x0
	v_fmac_f64_e32 v[38:39], v[40:41], v[42:43]
	s_or_b32 exec_lo, exec_lo, s29
	s_and_saveexec_b32 s29, s18
	s_cbranch_execz .LBB25_596
.LBB25_1037:                            ;   in Loop: Header=BB25_3 Depth=1
	ds_load_b64 v[40:41], v64 offset:14976
	ds_load_b64 v[42:43], v49 offset:16104
	s_wait_dscnt 0x0
	v_fmac_f64_e32 v[38:39], v[40:41], v[42:43]
	s_or_b32 exec_lo, exec_lo, s29
	s_and_saveexec_b32 s29, s1
	s_cbranch_execz .LBB25_597
.LBB25_1038:                            ;   in Loop: Header=BB25_3 Depth=1
	ds_load_b64 v[40:41], v64 offset:15488
	ds_load_b64 v[42:43], v49 offset:16112
	s_wait_dscnt 0x0
	v_fmac_f64_e32 v[38:39], v[40:41], v[42:43]
	s_or_b32 exec_lo, exec_lo, s29
	s_and_saveexec_b32 s29, s13
	s_cbranch_execnz .LBB25_598
	s_branch .LBB25_599
.LBB25_1039:                            ;   in Loop: Header=BB25_3 Depth=1
	ds_load_b64 v[40:41], v62 offset:10880
	ds_load_b64 v[42:43], v47 offset:11944
	s_wait_dscnt 0x0
	v_fmac_f64_e32 v[38:39], v[40:41], v[42:43]
	s_or_b32 exec_lo, exec_lo, s29
	s_and_saveexec_b32 s29, s13
	s_cbranch_execz .LBB25_651
.LBB25_1040:                            ;   in Loop: Header=BB25_3 Depth=1
	ds_load_b64 v[40:41], v62 offset:11392
	ds_load_b64 v[42:43], v47 offset:11952
	s_wait_dscnt 0x0
	v_fmac_f64_e32 v[38:39], v[40:41], v[42:43]
	s_or_b32 exec_lo, exec_lo, s29
	s_and_saveexec_b32 s29, s0
	s_cbranch_execnz .LBB25_652
	s_branch .LBB25_653
.LBB25_1041:                            ;   in Loop: Header=BB25_3 Depth=1
	ds_load_b64 v[40:41], v66 offset:13824
	ds_load_b64 v[42:43], v50 offset:16088
	s_wait_dscnt 0x0
	v_fmac_f64_e32 v[38:39], v[40:41], v[42:43]
	s_or_b32 exec_lo, exec_lo, s29
	s_and_saveexec_b32 s29, s2
	s_cbranch_execz .LBB25_709
.LBB25_1042:                            ;   in Loop: Header=BB25_3 Depth=1
	ds_load_b64 v[40:41], v66 offset:14336
	ds_load_b64 v[42:43], v50 offset:16096
	s_wait_dscnt 0x0
	v_fmac_f64_e32 v[38:39], v[40:41], v[42:43]
	s_or_b32 exec_lo, exec_lo, s29
	s_and_saveexec_b32 s29, s15
	s_cbranch_execz .LBB25_710
.LBB25_1043:                            ;   in Loop: Header=BB25_3 Depth=1
	ds_load_b64 v[40:41], v66 offset:14848
	ds_load_b64 v[42:43], v50 offset:16104
	s_wait_dscnt 0x0
	v_fmac_f64_e32 v[38:39], v[40:41], v[42:43]
	s_or_b32 exec_lo, exec_lo, s29
	s_and_saveexec_b32 s29, s17
	s_cbranch_execz .LBB25_711
.LBB25_1044:                            ;   in Loop: Header=BB25_3 Depth=1
	ds_load_b64 v[40:41], v66 offset:15360
	ds_load_b64 v[42:43], v50 offset:16112
	s_wait_dscnt 0x0
	v_fmac_f64_e32 v[38:39], v[40:41], v[42:43]
	s_or_b32 exec_lo, exec_lo, s29
	s_and_saveexec_b32 s29, s1
	s_cbranch_execnz .LBB25_712
	s_branch .LBB25_713
.LBB25_1045:                            ;   in Loop: Header=BB25_3 Depth=1
	ds_load_b64 v[40:41], v62 offset:6720
	ds_load_b64 v[42:43], v47 offset:7784
	s_wait_dscnt 0x0
	v_fmac_f64_e32 v[38:39], v[40:41], v[42:43]
	s_or_b32 exec_lo, exec_lo, s29
	s_and_saveexec_b32 s29, s13
	s_cbranch_execz .LBB25_797
.LBB25_1046:                            ;   in Loop: Header=BB25_3 Depth=1
	ds_load_b64 v[40:41], v62 offset:7232
	ds_load_b64 v[42:43], v47 offset:7792
	s_wait_dscnt 0x0
	v_fmac_f64_e32 v[38:39], v[40:41], v[42:43]
	s_or_b32 exec_lo, exec_lo, s29
	s_and_saveexec_b32 s29, s0
	s_cbranch_execnz .LBB25_798
	s_branch .LBB25_799
.LBB25_1047:                            ;   in Loop: Header=BB25_3 Depth=1
	ds_load_b64 v[40:41], v64 offset:4608
	ds_load_b64 v[42:43], v49 offset:7752
	s_wait_dscnt 0x0
	v_fmac_f64_e32 v[38:39], v[40:41], v[42:43]
	s_or_b32 exec_lo, exec_lo, s29
	s_and_saveexec_b32 s29, s15
	s_cbranch_execz .LBB25_835
.LBB25_1048:                            ;   in Loop: Header=BB25_3 Depth=1
	ds_load_b64 v[40:41], v64 offset:5120
	ds_load_b64 v[42:43], v49 offset:7760
	s_wait_dscnt 0x0
	v_fmac_f64_e32 v[38:39], v[40:41], v[42:43]
	s_or_b32 exec_lo, exec_lo, s29
	s_and_saveexec_b32 s29, s16
	s_cbranch_execz .LBB25_836
.LBB25_1049:                            ;   in Loop: Header=BB25_3 Depth=1
	ds_load_b64 v[40:41], v64 offset:5632
	ds_load_b64 v[42:43], v49 offset:7768
	s_wait_dscnt 0x0
	v_fmac_f64_e32 v[38:39], v[40:41], v[42:43]
	s_or_b32 exec_lo, exec_lo, s29
	s_and_saveexec_b32 s29, s17
	s_cbranch_execz .LBB25_837
.LBB25_1050:                            ;   in Loop: Header=BB25_3 Depth=1
	ds_load_b64 v[40:41], v64 offset:6144
	ds_load_b64 v[42:43], v49 offset:7776
	s_wait_dscnt 0x0
	v_fmac_f64_e32 v[38:39], v[40:41], v[42:43]
	s_or_b32 exec_lo, exec_lo, s29
	s_and_saveexec_b32 s29, s18
	s_cbranch_execz .LBB25_838
.LBB25_1051:                            ;   in Loop: Header=BB25_3 Depth=1
	ds_load_b64 v[40:41], v64 offset:6656
	ds_load_b64 v[42:43], v49 offset:7784
	s_wait_dscnt 0x0
	v_fmac_f64_e32 v[38:39], v[40:41], v[42:43]
	s_or_b32 exec_lo, exec_lo, s29
	s_and_saveexec_b32 s29, s1
	s_cbranch_execz .LBB25_839
.LBB25_1052:                            ;   in Loop: Header=BB25_3 Depth=1
	ds_load_b64 v[40:41], v64 offset:7168
	ds_load_b64 v[42:43], v49 offset:7792
	s_wait_dscnt 0x0
	v_fmac_f64_e32 v[38:39], v[40:41], v[42:43]
	s_or_b32 exec_lo, exec_lo, s29
	s_and_saveexec_b32 s29, s13
	s_cbranch_execnz .LBB25_840
	s_branch .LBB25_841
.LBB25_1053:                            ;   in Loop: Header=BB25_3 Depth=1
	ds_load_b64 v[40:41], v62 offset:2560
	ds_load_b64 v[42:43], v47 offset:3624
	s_wait_dscnt 0x0
	v_fmac_f64_e32 v[38:39], v[40:41], v[42:43]
	s_or_b32 exec_lo, exec_lo, s29
	s_and_saveexec_b32 s29, s13
	s_cbranch_execz .LBB25_893
.LBB25_1054:                            ;   in Loop: Header=BB25_3 Depth=1
	ds_load_b64 v[40:41], v62 offset:3072
	ds_load_b64 v[42:43], v47 offset:3632
	s_wait_dscnt 0x0
	v_fmac_f64_e32 v[38:39], v[40:41], v[42:43]
	s_or_b32 exec_lo, exec_lo, s29
	s_and_saveexec_b32 s29, s0
	s_cbranch_execnz .LBB25_894
	s_branch .LBB25_895
.LBB25_1055:
	s_endpgm
	.section	.rodata,"a",@progbits
	.p2align	6, 0x0
	.amdhsa_kernel _ZL19rocblas_trsv_deviceILi64ELi16ELb0ELb0ELb0ELb1EdPKdS1_PdEviT7_lllT6_T8_lllPii
		.amdhsa_group_segment_fixed_size 41480
		.amdhsa_private_segment_fixed_size 0
		.amdhsa_kernarg_size 352
		.amdhsa_user_sgpr_count 2
		.amdhsa_user_sgpr_dispatch_ptr 0
		.amdhsa_user_sgpr_queue_ptr 0
		.amdhsa_user_sgpr_kernarg_segment_ptr 1
		.amdhsa_user_sgpr_dispatch_id 0
		.amdhsa_user_sgpr_kernarg_preload_length 0
		.amdhsa_user_sgpr_kernarg_preload_offset 0
		.amdhsa_user_sgpr_private_segment_size 0
		.amdhsa_wavefront_size32 1
		.amdhsa_uses_dynamic_stack 0
		.amdhsa_enable_private_segment 0
		.amdhsa_system_sgpr_workgroup_id_x 1
		.amdhsa_system_sgpr_workgroup_id_y 0
		.amdhsa_system_sgpr_workgroup_id_z 1
		.amdhsa_system_sgpr_workgroup_info 0
		.amdhsa_system_vgpr_workitem_id 1
		.amdhsa_next_free_vgpr 87
		.amdhsa_next_free_sgpr 105
		.amdhsa_named_barrier_count 0
		.amdhsa_reserve_vcc 1
		.amdhsa_float_round_mode_32 0
		.amdhsa_float_round_mode_16_64 0
		.amdhsa_float_denorm_mode_32 3
		.amdhsa_float_denorm_mode_16_64 3
		.amdhsa_fp16_overflow 0
		.amdhsa_memory_ordered 1
		.amdhsa_forward_progress 1
		.amdhsa_inst_pref_size 228
		.amdhsa_round_robin_scheduling 0
		.amdhsa_exception_fp_ieee_invalid_op 0
		.amdhsa_exception_fp_denorm_src 0
		.amdhsa_exception_fp_ieee_div_zero 0
		.amdhsa_exception_fp_ieee_overflow 0
		.amdhsa_exception_fp_ieee_underflow 0
		.amdhsa_exception_fp_ieee_inexact 0
		.amdhsa_exception_int_div_zero 0
	.end_amdhsa_kernel
	.section	.text._ZL19rocblas_trsv_deviceILi64ELi16ELb0ELb0ELb0ELb1EdPKdS1_PdEviT7_lllT6_T8_lllPii,"axG",@progbits,_ZL19rocblas_trsv_deviceILi64ELi16ELb0ELb0ELb0ELb1EdPKdS1_PdEviT7_lllT6_T8_lllPii,comdat
.Lfunc_end25:
	.size	_ZL19rocblas_trsv_deviceILi64ELi16ELb0ELb0ELb0ELb1EdPKdS1_PdEviT7_lllT6_T8_lllPii, .Lfunc_end25-_ZL19rocblas_trsv_deviceILi64ELi16ELb0ELb0ELb0ELb1EdPKdS1_PdEviT7_lllT6_T8_lllPii
                                        ; -- End function
	.set _ZL19rocblas_trsv_deviceILi64ELi16ELb0ELb0ELb0ELb1EdPKdS1_PdEviT7_lllT6_T8_lllPii.num_vgpr, 87
	.set _ZL19rocblas_trsv_deviceILi64ELi16ELb0ELb0ELb0ELb1EdPKdS1_PdEviT7_lllT6_T8_lllPii.num_agpr, 0
	.set _ZL19rocblas_trsv_deviceILi64ELi16ELb0ELb0ELb0ELb1EdPKdS1_PdEviT7_lllT6_T8_lllPii.numbered_sgpr, 105
	.set _ZL19rocblas_trsv_deviceILi64ELi16ELb0ELb0ELb0ELb1EdPKdS1_PdEviT7_lllT6_T8_lllPii.num_named_barrier, 0
	.set _ZL19rocblas_trsv_deviceILi64ELi16ELb0ELb0ELb0ELb1EdPKdS1_PdEviT7_lllT6_T8_lllPii.private_seg_size, 0
	.set _ZL19rocblas_trsv_deviceILi64ELi16ELb0ELb0ELb0ELb1EdPKdS1_PdEviT7_lllT6_T8_lllPii.uses_vcc, 1
	.set _ZL19rocblas_trsv_deviceILi64ELi16ELb0ELb0ELb0ELb1EdPKdS1_PdEviT7_lllT6_T8_lllPii.uses_flat_scratch, 0
	.set _ZL19rocblas_trsv_deviceILi64ELi16ELb0ELb0ELb0ELb1EdPKdS1_PdEviT7_lllT6_T8_lllPii.has_dyn_sized_stack, 0
	.set _ZL19rocblas_trsv_deviceILi64ELi16ELb0ELb0ELb0ELb1EdPKdS1_PdEviT7_lllT6_T8_lllPii.has_recursion, 0
	.set _ZL19rocblas_trsv_deviceILi64ELi16ELb0ELb0ELb0ELb1EdPKdS1_PdEviT7_lllT6_T8_lllPii.has_indirect_call, 0
	.section	.AMDGPU.csdata,"",@progbits
; Kernel info:
; codeLenInByte = 29084
; TotalNumSgprs: 107
; NumVgprs: 87
; ScratchSize: 0
; MemoryBound: 0
; FloatMode: 240
; IeeeMode: 1
; LDSByteSize: 41480 bytes/workgroup (compile time only)
; SGPRBlocks: 0
; VGPRBlocks: 5
; NumSGPRsForWavesPerEU: 107
; NumVGPRsForWavesPerEU: 87
; NamedBarCnt: 0
; Occupancy: 10
; WaveLimiterHint : 0
; COMPUTE_PGM_RSRC2:SCRATCH_EN: 0
; COMPUTE_PGM_RSRC2:USER_SGPR: 2
; COMPUTE_PGM_RSRC2:TRAP_HANDLER: 0
; COMPUTE_PGM_RSRC2:TGID_X_EN: 1
; COMPUTE_PGM_RSRC2:TGID_Y_EN: 0
; COMPUTE_PGM_RSRC2:TGID_Z_EN: 1
; COMPUTE_PGM_RSRC2:TIDIG_COMP_CNT: 1
	.section	.text._ZL19rocblas_trsv_deviceILi64ELi16ELb0ELb1ELb0ELb1EdPKdS1_PdEviT7_lllT6_T8_lllPii,"axG",@progbits,_ZL19rocblas_trsv_deviceILi64ELi16ELb0ELb1ELb0ELb1EdPKdS1_PdEviT7_lllT6_T8_lllPii,comdat
	.globl	_ZL19rocblas_trsv_deviceILi64ELi16ELb0ELb1ELb0ELb1EdPKdS1_PdEviT7_lllT6_T8_lllPii ; -- Begin function _ZL19rocblas_trsv_deviceILi64ELi16ELb0ELb1ELb0ELb1EdPKdS1_PdEviT7_lllT6_T8_lllPii
	.p2align	8
	.type	_ZL19rocblas_trsv_deviceILi64ELi16ELb0ELb1ELb0ELb1EdPKdS1_PdEviT7_lllT6_T8_lllPii,@function
_ZL19rocblas_trsv_deviceILi64ELi16ELb0ELb1ELb0ELb1EdPKdS1_PdEviT7_lllT6_T8_lllPii: ; @_ZL19rocblas_trsv_deviceILi64ELi16ELb0ELb1ELb0ELb1EdPKdS1_PdEviT7_lllT6_T8_lllPii
; %bb.0:
	s_load_b32 s6, s[0:1], 0x58
	s_bfe_u32 s2, ttmp6, 0x40014
	s_lshr_b32 s3, ttmp7, 16
	s_add_co_i32 s2, s2, 1
	s_bfe_u32 s5, ttmp6, 0x40008
	s_mul_i32 s4, s3, s2
	s_getreg_b32 s2, hwreg(HW_REG_IB_STS2, 6, 4)
	s_add_co_i32 s5, s5, s4
	s_cmp_eq_u32 s2, 0
	s_mov_b32 s77, 0
	s_cselect_b32 s76, s3, s5
                                        ; implicit-def: $vgpr103 : SGPR spill to VGPR lane
	s_wait_kmcnt 0x0
	s_cmp_ge_u32 s76, s6
	v_writelane_b32 v103, s6, 0
	s_cbranch_scc1 .LBB26_1117
; %bb.1:
	s_clause 0x2
	s_load_b512 s[56:71], s[0:1], 0x8
	s_load_b32 s3, s[0:1], 0x6c
	s_load_b32 s85, s[0:1], 0x0
	s_bfe_u32 s5, ttmp6, 0x4000c
	s_and_b32 s4, ttmp6, 15
	s_add_co_i32 s5, s5, 1
	s_load_b128 s[72:75], s[0:1], 0x48
	s_wait_xcnt 0x0
	s_mul_i32 s0, ttmp9, s5
	v_and_b32_e32 v8, 0x3ff, v0
	s_add_co_i32 s4, s4, s0
	v_bfe_u32 v4, v0, 10, 10
	v_dual_mov_b32 v7, 0 :: v_dual_lshrrev_b32 v49, 10, v0
	s_delay_alu instid0(VALU_DEP_3) | instskip(SKIP_1) | instid1(VALU_DEP_4)
	v_lshlrev_b32_e32 v1, 6, v8
                                        ; implicit-def: $vgpr102 : SGPR spill to VGPR lane
	v_lshlrev_b32_e32 v28, 3, v8
	v_lshl_add_u32 v29, v4, 6, v8
	s_delay_alu instid0(VALU_DEP_4)
	v_dual_mov_b32 v11, v7 :: v_dual_add_nc_u32 v2, 16, v4
	v_dual_add_nc_u32 v42, 32, v4 :: v_dual_add_nc_u32 v44, 48, v4
	s_wait_kmcnt 0x0
	s_lshl_b64 s[12:13], s[58:59], 3
	s_lshl_b64 s[14:15], s[68:69], 3
	s_cmp_eq_u32 s2, 0
	v_and_b32_e32 v13, 1, v0
	s_cselect_b32 s86, ttmp9, s4
	s_add_co_i32 s1, s85, -1
	s_ashr_i32 s2, s85, 31
	s_and_b32 s0, s3, 0xffff
	s_ashr_i32 s3, s1, 31
	s_lshr_b32 s2, s2, 26
	s_lshr_b32 s3, s3, 26
	s_add_co_i32 s2, s85, s2
	s_add_co_i32 s1, s1, s3
	s_and_not1_b32 s2, s2, 63
	s_ashr_i32 s1, s1, 6
	s_sub_co_i32 s18, s85, s2
	s_cmp_eq_u32 s1, s86
	v_mad_u32_u24 v10, v4, s0, v8
	s_cselect_b32 s1, -1, 0
	s_cmp_lg_u32 s18, 0
	v_sub_co_u32 v9, s2, s86, 1
	s_cselect_b32 s0, -1, 0
	s_lshl_b32 s16, s86, 6
	s_and_b32 s30, s0, s1
	v_dual_add_nc_u32 v3, v4, v1 :: v_dual_add_nc_u32 v34, s16, v4
	s_xor_b32 s0, s2, -1
	s_xor_b32 s88, s30, -1
	s_cmp_lt_i32 s86, 5
	v_writelane_b32 v103, s0, 1
	s_cselect_b32 vcc_lo, -1, 0
	s_add_nc_u64 s[0:1], s[60:61], 1
	s_ashr_i32 s17, s16, 31
	v_dual_add_nc_u32 v5, v2, v1 :: v_dual_add_nc_u32 v32, s16, v8
	v_lshl_add_u32 v6, v2, 6, v8
	v_cndmask_b32_e32 v38, v29, v3, vcc_lo
	s_mul_u64 s[10:11], s[0:1], s[16:17]
	v_cmp_gt_u32_e64 s0, 4, v29
	v_dual_add_nc_u32 v3, v42, v1 :: v_dual_bitop2_b32 v35, 3, v0 bitop3:0x40
	v_cmp_eq_u32_e64 s2, 1, v13
	v_cmp_eq_u32_e64 s3, 0, v13
	;; [unrolled: 1-line block ×3, first 2 shown]
	v_cmp_gt_u32_e64 s4, 2, v8
	v_and_b32_e32 v36, 7, v0
	s_and_b32 s90, s2, s0
	s_and_b32 s91, s3, s0
	v_cmp_gt_u32_e64 s2, 16, v29
	v_add_nc_u32_e32 v1, v44, v1
	v_cmp_eq_u32_e64 s3, 3, v35
	v_cmp_ne_u32_e64 s5, 3, v35
	v_cmp_eq_u32_e64 s6, 2, v35
	s_or_b32 vcc_lo, vcc_lo, s30
	s_and_b32 s92, s1, s4
	v_cndmask_b32_e32 v39, v6, v5, vcc_lo
	s_and_b32 s93, s3, s2
	s_and_b32 s94, s5, s2
	;; [unrolled: 1-line block ×3, first 2 shown]
	v_cmp_eq_u32_e64 s4, 1, v35
	v_cmp_eq_u32_e64 s5, 0, v35
	v_cmp_gt_u32_e64 s6, 4, v8
	v_cmp_gt_u32_e64 s3, 64, v29
	v_add_nc_u32_e32 v6, s16, v10
	v_cmp_ne_u32_e64 s8, 7, v36
	s_and_b32 s97, s4, s2
	s_and_b32 s98, s5, s2
	;; [unrolled: 1-line block ×3, first 2 shown]
	v_cmp_eq_u32_e64 s4, 6, v36
	s_and_b32 s101, s8, s3
	v_cmp_gt_u32_e64 s5, 6, v36
	v_cmp_eq_u32_e64 s6, 5, v36
	v_cmp_eq_u32_e64 s8, 4, v36
	v_cmp_gt_u32_e64 s7, 2, v35
	s_and_b32 s102, s4, s3
	s_and_b32 s103, s5, s3
	;; [unrolled: 1-line block ×4, first 2 shown]
	v_cmp_gt_u32_e64 s4, 4, v36
	v_cmp_eq_u32_e64 s5, 3, v36
	v_cmp_gt_u32_e64 s6, 3, v36
	v_cmp_gt_u32_e64 s8, 2, v36
	v_lshl_add_u32 v5, v42, 6, v8
	v_and_b32_e32 v37, 15, v0
	s_and_b32 s96, s7, s2
	v_cmp_eq_u32_e64 s7, 7, v36
	s_and_b32 s33, s4, s3
	s_and_b32 s34, s5, s3
	;; [unrolled: 1-line block ×4, first 2 shown]
	v_cmp_eq_u32_e64 s5, 1, v36
	v_cmp_eq_u32_e64 s6, 0, v36
	v_cmp_gt_u32_e64 s4, 0x100, v29
	v_cndmask_b32_e32 v40, v5, v3, vcc_lo
	v_cmp_eq_u32_e64 s8, 15, v37
	s_and_b32 s100, s7, s3
	v_cmp_gt_u32_e64 s7, 5, v36
	s_and_b32 s38, s5, s3
	v_cmp_ne_u32_e64 s5, 15, v37
	s_and_b32 s39, s6, s3
	s_and_b32 s6, s8, s4
	s_and_b32 vcc_hi, s7, s3
	v_writelane_b32 v103, s6, 2
	v_cmp_eq_u32_e64 s7, 2, v36
	v_cmp_eq_u32_e64 s6, 14, v37
	s_and_b32 s5, s5, s4
	v_cmp_gt_u32_e64 s8, 13, v37
	v_writelane_b32 v103, s5, 3
	s_and_b32 s36, s7, s3
	v_cmp_gt_u32_e64 s7, 8, v8
	v_cmp_gt_u32_e64 s5, 14, v37
	s_and_b32 s6, s6, s4
	v_cmp_le_i32_e64 s9, s18, v8
	v_writelane_b32 v103, s6, 4
	s_and_b32 s40, s1, s7
	v_cmp_eq_u32_e64 s7, 13, v37
	s_and_b32 s5, s5, s4
	v_cmp_eq_u32_e64 s6, 12, v37
	v_writelane_b32 v103, s5, 5
	v_lshl_add_u32 v12, v44, 6, v8
	s_and_b32 s5, s7, s4
	v_cmp_gt_u32_e64 s7, 11, v37
	s_and_b32 s6, s6, s4
	v_writelane_b32 v103, s5, 6
	s_and_b32 s5, s8, s4
	v_cmp_eq_u32_e64 s8, 10, v37
	s_and_b32 s50, s7, s4
	v_cmp_eq_u32_e64 s7, 8, v37
	v_writelane_b32 v103, s5, 7
	v_cmp_gt_u32_e64 s5, 12, v37
	s_and_b32 s51, s8, s4
	v_cmp_gt_u32_e64 s8, 8, v37
	s_and_b32 s19, s7, s4
	v_writelane_b32 v103, s6, 8
	v_cmp_eq_u32_e64 s6, 11, v37
	s_and_b32 s48, s5, s4
	v_cmp_gt_u32_e64 s5, 10, v37
	s_and_b32 s21, s8, s4
	v_cmp_gt_u32_e64 s7, 6, v37
	s_and_b32 s49, s6, s4
	v_cmp_eq_u32_e64 s6, 9, v37
	s_and_b32 s52, s5, s4
	v_cmp_gt_u32_e64 s5, 9, v37
	v_cmp_eq_u32_e64 s8, 5, v37
	s_and_b32 s29, s7, s4
	s_and_b32 s53, s6, s4
	v_cmp_eq_u32_e64 s6, 7, v37
	s_and_b32 s54, s5, s4
	v_cmp_gt_u32_e64 s5, 7, v37
	s_and_b32 s58, s8, s4
	v_cmp_eq_u32_e64 s7, 3, v37
	s_and_b32 s23, s6, s4
	v_cmp_eq_u32_e64 s6, 6, v37
	s_and_b32 s25, s5, s4
	v_cmp_gt_u32_e64 s5, 5, v37
	v_cmp_gt_u32_e64 s8, 3, v37
	s_and_b32 s24, s7, s4
	s_and_b32 s27, s6, s4
	v_cmp_eq_u32_e64 s6, 4, v37
	s_and_b32 s59, s5, s4
	v_cmp_gt_u32_e64 s5, 4, v37
	s_and_b32 s26, s8, s4
	v_cmp_eq_u32_e64 s7, 0, v37
	s_and_b32 s20, s6, s4
	v_cmp_eq_u32_e64 s6, 2, v37
	s_and_b32 s22, s5, s4
	v_cmp_gt_u32_e64 s5, 2, v37
	v_cmp_gt_u32_e64 s8, 16, v8
	s_and_b32 s42, s9, s30
	s_and_b32 s28, s6, s4
	v_cmp_eq_u32_e64 s6, 1, v37
	s_and_b32 s87, s5, s4
	v_cmp_gt_u32_e64 s5, 32, v8
	s_xor_b32 s89, vcc_lo, -1
	v_cndmask_b32_e32 v41, v12, v1, vcc_lo
	s_and_b32 s84, s6, s4
	s_xor_b32 s6, s42, -1
	v_cmp_le_i32_e32 vcc_lo, s18, v42
	s_and_b32 s41, s7, s4
	s_and_b32 s43, s1, s8
	;; [unrolled: 1-line block ×4, first 2 shown]
	s_cmp_gt_i32 s86, 0
	v_add_nc_u64_e32 v[30:31], s[16:17], v[10:11]
	s_cselect_b32 s45, -1, 0
	s_or_b32 s16, vcc_lo, s9
	v_cmp_le_i32_e32 vcc_lo, s18, v44
	v_writelane_b32 v103, s5, 9
	v_cmp_le_i32_e64 s5, s18, v4
	v_subrev_nc_u32_e32 v12, 64, v34
	v_cmp_le_i32_e64 s6, s18, v2
	s_or_b32 s17, vcc_lo, s9
	v_cmp_gt_i32_e32 vcc_lo, s18, v8
	s_or_b32 s7, s5, s9
	v_subrev_nc_u32_e32 v86, 48, v34
	s_or_b32 s8, s6, s9
	v_dual_lshrrev_b32 v1, 1, v29 :: v_dual_ashrrev_i32 v33, 31, v32
	s_and_b32 s5, s1, vcc_lo
	v_cmp_gt_i32_e32 vcc_lo, s85, v12
	v_writelane_b32 v103, s5, 10
	v_cmp_gt_i32_e64 s5, s85, v32
	v_subrev_nc_u32_e32 v87, 32, v34
	v_lshrrev_b32_e32 v46, 2, v29
	v_lshlrev_b32_e32 v47, 9, v1
	v_mul_u64_e32 v[24:25], s[70:71], v[6:7]
	s_and_b32 s6, vcc_lo, s5
	v_cmp_gt_i32_e32 vcc_lo, s85, v86
	v_writelane_b32 v103, s6, 11
	v_lshl_add_u32 v73, v1, 3, 0x8000
	v_dual_mov_b32 v1, 0x3ff00000 :: v_dual_add_nc_u32 v6, -16, v34
	s_and_b32 s6, vcc_lo, s5
	v_cmp_gt_i32_e32 vcc_lo, s85, v87
	v_writelane_b32 v103, s6, 12
	s_add_nc_u64 s[68:69], s[56:57], s[12:13]
	v_cmp_gt_u32_e64 s30, 0xf0, v29
	v_cmp_gt_u32_e64 s46, 0x3e0, v29
	s_and_b32 s6, vcc_lo, s5
	v_cmp_gt_i32_e32 vcc_lo, s85, v6
	v_writelane_b32 v103, s6, 13
	v_dual_lshlrev_b32 v11, 3, v8 :: v_dual_lshlrev_b32 v48, 9, v46
	v_dual_sub_nc_u32 v57, 0, v47 :: v_dual_lshlrev_b32 v3, 6, v29
	s_and_b32 s6, vcc_lo, s5
	s_delay_alu instid0(VALU_DEP_2) | instskip(SKIP_3) | instid1(VALU_DEP_4)
	v_mad_u32_u24 v50, 0x1f8, v8, v11
	v_writelane_b32 v103, s6, 14
	v_cmp_ge_u32_e64 s6, v8, v4
	v_dual_lshrrev_b32 v82, 4, v29 :: v_dual_lshrrev_b32 v84, 5, v29
	v_mad_i32_i24 v51, 0xfffffe08, v8, v50
	v_and_b32_e32 v81, 0xfffffe00, v3
	s_or_b32 s7, s7, s6
	v_mov_b32_e32 v5, v7
	v_writelane_b32 v103, s7, 15
	v_cmp_ge_u32_e64 s7, v8, v2
	v_mad_u32_u24 v52, 0x1f8, v8, v51
	v_dual_lshlrev_b32 v85, 9, v84 :: v_dual_sub_nc_u32 v63, 0, v81
	v_dual_lshlrev_b32 v91, 3, v4 :: v_dual_mov_b32 v3, v7
	s_or_b32 s8, s8, s7
	s_delay_alu instid0(VALU_DEP_3)
	v_mad_i32_i24 v53, 0xfffffe08, v8, v52
	v_writelane_b32 v103, s8, 16
	v_cmp_ge_u32_e64 s8, v8, v42
	v_dual_mov_b32 v43, v7 :: v_dual_sub_nc_u32 v66, 0, v85
	v_mov_b32_e32 v45, v7
	v_mad_u32_u24 v54, 0x1f8, v8, v53
	s_or_b32 s9, s16, s8
	v_mul_u64_e32 v[14:15], s[60:61], v[32:33]
	v_writelane_b32 v103, s9, 17
	v_cmp_ge_u32_e64 s9, v8, v44
	v_mad_i32_i24 v55, 0xfffffe08, v8, v54
	v_mul_u64_e32 v[16:17], s[70:71], v[32:33]
	v_mul_u64_e32 v[18:19], s[60:61], v[2:3]
	;; [unrolled: 1-line block ×3, first 2 shown]
	s_or_b32 s12, s17, s9
	v_mad_u32_u24 v56, 0x1f8, v8, v55
	v_writelane_b32 v103, s12, 18
	v_mul_u64_e32 v[22:23], s[60:61], v[44:45]
	v_mul_u64_e32 v[26:27], s[60:61], v[4:5]
	;; [unrolled: 1-line block ×3, first 2 shown]
	v_mad_i32_i24 v58, 0xfffffe08, v8, v56
	v_writelane_b32 v103, s30, 19
	v_cmp_gt_u32_e64 s30, 0xe0, v29
	v_dual_lshlrev_b32 v83, 9, v82 :: v_dual_bitop2_b32 v61, 31, v0 bitop3:0x40
	s_delay_alu instid0(VALU_DEP_4) | instskip(SKIP_1) | instid1(VALU_DEP_4)
	v_mad_u32_u24 v60, 0x1f8, v8, v58
	v_bitop3_b32 v0, v0, v49, 0x3ff bitop3:0xa8
	v_writelane_b32 v103, s30, 20
	v_cmp_gt_u32_e64 s30, 0xd0, v29
	v_mul_i32_i24_e32 v43, 0xfffffe08, v8
	v_mad_i32_i24 v62, 0xfffffe08, v8, v60
	v_or_b32_e32 v97, v2, v8
	v_dual_lshlrev_b32 v72, 3, v13 :: v_dual_bitop2_b32 v3, v42, v8 bitop3:0x54
	v_writelane_b32 v103, s30, 21
	v_cmp_gt_u32_e64 s30, 0xc0, v29
	v_mad_u32_u24 v67, 0x1f8, v8, v62
	v_mad_u32_u24 v2, 0x1f8, v8, v43
	v_dual_sub_nc_u32 v59, 0, v48 :: v_dual_bitop2_b32 v80, -8, v29 bitop3:0x40
	s_delay_alu instid0(VALU_DEP_4) | instskip(SKIP_4) | instid1(VALU_DEP_4)
	v_writelane_b32 v103, s30, 22
	v_cmp_gt_u32_e64 s30, 0xb0, v29
	v_mad_i32_i24 v68, 0xfffffe08, v8, v67
	v_mad_u32 v95, v2, 7, v11
	v_dual_lshlrev_b32 v64, 3, v61 :: v_dual_sub_nc_u32 v65, 0, v83
	v_writelane_b32 v103, s30, 23
	v_cmp_gt_u32_e64 s30, 0xa0, v29
	v_mad_u32_u24 v69, 0x1f8, v8, v68
	v_or_b32_e32 v70, 0xa000, v91
	v_dual_lshlrev_b32 v74, 3, v35 :: v_dual_bitop2_b32 v98, v44, v8 bitop3:0x54
	s_delay_alu instid0(VALU_DEP_4) | instskip(SKIP_4) | instid1(VALU_DEP_4)
	v_writelane_b32 v103, s30, 24
	v_cmp_gt_u32_e64 s30, 0x90, v29
	v_dual_lshlrev_b32 v76, 3, v36 :: v_dual_lshlrev_b32 v78, 3, v37
	v_mov_b64_e32 v[32:33], 0
	v_mov_b64_e32 v[34:35], 1.0
	v_writelane_b32 v103, s30, 25
	v_cmp_gt_u32_e64 s30, 0x80, v29
	v_cmp_lt_u32_e32 vcc_lo, 0x3ff, v29
	v_lshl_add_u32 v71, v10, 3, 0xa000
	v_lshl_add_u32 v5, v29, 3, 0x8000
	s_add_nc_u64 s[66:67], s[66:67], s[14:15]
	v_writelane_b32 v103, s30, 26
	v_cmp_gt_u32_e64 s30, 0x70, v29
	v_dual_ashrrev_i32 v13, 31, v12 :: v_dual_sub_nc_u32 v75, v72, v47
	v_lshl_add_u32 v77, v46, 3, 0x8000
	v_dual_sub_nc_u32 v79, v74, v48 :: v_dual_sub_nc_u32 v81, v76, v81
	s_delay_alu instid0(VALU_DEP_4) | instskip(SKIP_4) | instid1(VALU_DEP_4)
	v_writelane_b32 v103, s30, 27
	v_cmp_gt_u32_e64 s30, 0x60, v29
	v_add_nc_u32_e32 v80, 0x8000, v80
	v_lshl_add_u32 v82, v82, 3, 0x8000
	v_dual_sub_nc_u32 v83, v78, v83 :: v_dual_sub_nc_u32 v85, v64, v85
	v_writelane_b32 v103, s30, 28
	v_cmp_gt_u32_e64 s30, 0x50, v29
	v_lshl_add_u32 v84, v84, 3, 0x8000
	v_dual_lshlrev_b32 v86, 3, v38 :: v_dual_lshlrev_b32 v87, 3, v39
	v_dual_lshlrev_b32 v88, 3, v40 :: v_dual_lshlrev_b32 v89, 3, v41
	s_delay_alu instid0(VALU_DEP_4)
	v_writelane_b32 v103, s30, 29
	v_add_nc_u32_e32 v90, 0x8000, v11
	v_add_nc_u32_e32 v91, v69, v91
	v_lshl_add_u32 v92, v4, 9, v62
	v_add_nc_u32_e32 v93, v70, v11
	v_writelane_b32 v103, s46, 30
	v_cmp_gt_u32_e64 s46, 0x3c0, v29
	v_or_b32_e32 v94, 0x3800, v64
	s_lshl_b64 s[78:79], s[10:11], 3
	v_subrev_nc_u32_e32 v96, 31, v61
	v_cmp_eq_u32_e64 s10, 0, v0
	v_writelane_b32 v103, s46, 31
	v_cmp_gt_u32_e64 s46, 0x3a0, v29
	v_cmp_gt_u32_e64 s11, 2, v29
	;; [unrolled: 1-line block ×5, first 2 shown]
	v_writelane_b32 v102, s46, 0
	v_cmp_gt_u32_e64 s46, 0x380, v29
	v_cmp_gt_u32_e64 s15, 48, v29
	;; [unrolled: 1-line block ×5, first 2 shown]
	v_writelane_b32 v102, s46, 1
	v_cmp_gt_u32_e64 s46, 0x360, v29
	v_cmp_gt_u32_e64 s30, 0x400, v29
	v_cmp_eq_u32_e64 s55, 0, v10
	v_cmp_gt_u32_e64 s56, 64, v10
	s_xor_b32 s60, vcc_lo, -1
	v_writelane_b32 v102, s46, 2
	v_cmp_gt_u32_e64 s46, 0x340, v29
                                        ; implicit-def: $vgpr36_vgpr37
                                        ; implicit-def: $vgpr38_vgpr39
                                        ; implicit-def: $vgpr40_vgpr41
                                        ; implicit-def: $vgpr42_vgpr43
	s_delay_alu instid0(VALU_DEP_1) | instskip(SKIP_1) | instid1(VALU_DEP_1)
	v_writelane_b32 v102, s46, 3
	v_cmp_gt_u32_e64 s46, 0x320, v29
	v_writelane_b32 v102, s46, 4
	v_cmp_gt_u32_e64 s46, 0x300, v29
	s_delay_alu instid0(VALU_DEP_1) | instskip(SKIP_1) | instid1(VALU_DEP_1)
	v_writelane_b32 v102, s46, 5
	v_cmp_gt_u32_e64 s46, 0x2e0, v29
	v_writelane_b32 v102, s46, 6
	v_cmp_gt_u32_e64 s46, 0x2c0, v29
	;; [unrolled: 5-line block ×10, first 2 shown]
	s_delay_alu instid0(VALU_DEP_1) | instskip(SKIP_1) | instid1(VALU_DEP_1)
	v_writelane_b32 v102, s46, 23
	v_cmp_gt_u32_e64 s46, 64, v98
	v_writelane_b32 v102, s46, 24
	s_branch .LBB26_3
.LBB26_2:                               ;   in Loop: Header=BB26_3 Depth=1
	s_wait_xcnt 0x0
	s_or_b32 exec_lo, exec_lo, s46
	v_readlane_b32 s46, v103, 0
	s_add_co_i32 s76, s76, 0x10000
	global_wb scope:SCOPE_DEV
	s_wait_storecnt 0x0
	global_inv scope:SCOPE_DEV
	s_cmp_lt_u32 s76, s46
	s_cbranch_scc0 .LBB26_1117
.LBB26_3:                               ; =>This Loop Header: Depth=1
                                        ;     Child Loop BB26_537 Depth 2
                                        ;     Child Loop BB26_986 Depth 2
                                        ;       Child Loop BB26_988 Depth 3
                                        ;     Child Loop BB26_1023 Depth 2
	global_load_b64 v[46:47], v7, s[64:65]
	s_mul_u64 s[46:47], s[62:63], s[76:77]
	s_delay_alu instid0(SALU_CYCLE_1) | instskip(NEXT) | instid1(SALU_CYCLE_1)
	s_lshl_b64 s[46:47], s[46:47], 3
	s_add_nc_u64 s[80:81], s[68:69], s[46:47]
	v_readlane_b32 s46, v103, 1
	v_lshl_add_u64 v[44:45], v[14:15], 3, s[80:81]
	s_and_not1_b32 vcc_lo, exec_lo, s46
	s_cbranch_vccnz .LBB26_13
; %bb.4:                                ;   in Loop: Header=BB26_3 Depth=1
	v_mov_b64_e32 v[38:39], 0
	v_mov_b64_e32 v[36:37], 0
	v_lshl_add_u64 v[2:3], v[12:13], 3, v[44:45]
	s_wait_loadcnt 0x0
	s_barrier_signal -1
	s_barrier_wait -1
	s_wait_xcnt 0x0
	s_mov_b32 s46, exec_lo
	v_readlane_b32 s47, v103, 11
	s_and_b32 s47, s46, s47
	s_delay_alu instid0(SALU_CYCLE_1)
	s_mov_b32 exec_lo, s47
	s_cbranch_execz .LBB26_6
; %bb.5:                                ;   in Loop: Header=BB26_3 Depth=1
	global_load_b64 v[36:37], v[2:3], off
.LBB26_6:                               ;   in Loop: Header=BB26_3 Depth=1
	s_wait_xcnt 0x0
	s_or_b32 exec_lo, exec_lo, s46
	s_wait_loadcnt 0x0
	s_barrier_signal -1
	s_barrier_wait -1
	s_mov_b32 s46, exec_lo
	v_readlane_b32 s47, v103, 12
	s_and_b32 s47, s46, s47
	s_delay_alu instid0(SALU_CYCLE_1)
	s_mov_b32 exec_lo, s47
	s_cbranch_execz .LBB26_8
; %bb.7:                                ;   in Loop: Header=BB26_3 Depth=1
	global_load_b64 v[38:39], v[2:3], off offset:128
.LBB26_8:                               ;   in Loop: Header=BB26_3 Depth=1
	s_wait_xcnt 0x0
	s_or_b32 exec_lo, exec_lo, s46
	v_mov_b64_e32 v[42:43], 0
	v_mov_b64_e32 v[40:41], 0
	s_wait_loadcnt 0x0
	s_barrier_signal -1
	s_barrier_wait -1
	s_mov_b32 s46, exec_lo
	v_readlane_b32 s47, v103, 13
	s_and_b32 s47, s46, s47
	s_delay_alu instid0(SALU_CYCLE_1)
	s_mov_b32 exec_lo, s47
	s_cbranch_execz .LBB26_10
; %bb.9:                                ;   in Loop: Header=BB26_3 Depth=1
	global_load_b64 v[40:41], v[2:3], off offset:256
.LBB26_10:                              ;   in Loop: Header=BB26_3 Depth=1
	s_wait_xcnt 0x0
	s_or_b32 exec_lo, exec_lo, s46
	s_wait_loadcnt 0x0
	s_barrier_signal -1
	s_barrier_wait -1
	s_mov_b32 s46, exec_lo
	v_readlane_b32 s47, v103, 14
	s_and_b32 s47, s46, s47
	s_delay_alu instid0(SALU_CYCLE_1)
	s_mov_b32 exec_lo, s47
	s_cbranch_execz .LBB26_12
; %bb.11:                               ;   in Loop: Header=BB26_3 Depth=1
	global_load_b64 v[42:43], v[2:3], off offset:384
.LBB26_12:                              ;   in Loop: Header=BB26_3 Depth=1
	s_wait_xcnt 0x0
	s_or_b32 exec_lo, exec_lo, s46
.LBB26_13:                              ;   in Loop: Header=BB26_3 Depth=1
	v_mov_b32_e32 v29, v7
	s_add_nc_u64 s[46:47], s[80:81], s[78:79]
	s_and_not1_b32 vcc_lo, exec_lo, s88
	s_delay_alu instid0(VALU_DEP_1)
	v_add_nc_u64_e32 v[2:3], s[46:47], v[28:29]
	s_mov_b32 s46, -1
	s_cbranch_vccnz .LBB26_24
; %bb.14:                               ;   in Loop: Header=BB26_3 Depth=1
	s_wait_xcnt 0x0
	s_and_saveexec_b32 s46, s6
	s_delay_alu instid0(SALU_CYCLE_1)
	s_xor_b32 s46, exec_lo, s46
	s_cbranch_execnz .LBB26_1044
; %bb.15:                               ;   in Loop: Header=BB26_3 Depth=1
	s_and_not1_saveexec_b32 s46, s46
	s_cbranch_execnz .LBB26_1047
.LBB26_16:                              ;   in Loop: Header=BB26_3 Depth=1
	s_or_b32 exec_lo, exec_lo, s46
	s_and_saveexec_b32 s46, s7
	s_delay_alu instid0(SALU_CYCLE_1)
	s_xor_b32 s46, exec_lo, s46
	s_cbranch_execnz .LBB26_1048
.LBB26_17:                              ;   in Loop: Header=BB26_3 Depth=1
	s_and_not1_saveexec_b32 s46, s46
	s_cbranch_execnz .LBB26_1051
.LBB26_18:                              ;   in Loop: Header=BB26_3 Depth=1
	s_or_b32 exec_lo, exec_lo, s46
	s_and_saveexec_b32 s46, s8
	s_delay_alu instid0(SALU_CYCLE_1)
	s_xor_b32 s46, exec_lo, s46
	s_cbranch_execnz .LBB26_1052
.LBB26_19:                              ;   in Loop: Header=BB26_3 Depth=1
	s_and_not1_saveexec_b32 s46, s46
	s_cbranch_execnz .LBB26_1055
.LBB26_20:                              ;   in Loop: Header=BB26_3 Depth=1
	s_or_b32 exec_lo, exec_lo, s46
	s_and_saveexec_b32 s46, s9
	s_delay_alu instid0(SALU_CYCLE_1)
	s_xor_b32 s46, exec_lo, s46
	s_cbranch_execnz .LBB26_1056
.LBB26_21:                              ;   in Loop: Header=BB26_3 Depth=1
	s_and_not1_saveexec_b32 s46, s46
	s_cbranch_execz .LBB26_23
.LBB26_22:                              ;   in Loop: Header=BB26_3 Depth=1
	v_lshl_add_u64 v[48:49], v[22:23], 3, v[2:3]
	global_load_b64 v[48:49], v[48:49], off
	s_wait_loadcnt 0x0
	v_xor_b32_e32 v49, 0x80000000, v49
	ds_store_b64 v89, v[48:49]
.LBB26_23:                              ;   in Loop: Header=BB26_3 Depth=1
	s_or_b32 exec_lo, exec_lo, s46
	s_mov_b32 s46, 0
.LBB26_24:                              ;   in Loop: Header=BB26_3 Depth=1
	s_delay_alu instid0(SALU_CYCLE_1)
	s_and_b32 vcc_lo, exec_lo, s46
	s_cbranch_vccz .LBB26_50
; %bb.25:                               ;   in Loop: Header=BB26_3 Depth=1
	s_wait_xcnt 0x0
	s_mov_b32 s46, exec_lo
	v_readlane_b32 s47, v103, 15
	s_and_b32 s47, s46, s47
	s_delay_alu instid0(SALU_CYCLE_1)
	s_xor_b32 s46, s47, s46
	s_mov_b32 exec_lo, s47
	s_cbranch_execz .LBB26_29
; %bb.26:                               ;   in Loop: Header=BB26_3 Depth=1
	s_mov_b32 s47, exec_lo
	v_readlane_b32 s57, v102, 21
	s_and_b32 s57, s47, s57
	s_delay_alu instid0(SALU_CYCLE_1)
	s_mov_b32 exec_lo, s57
; %bb.27:                               ;   in Loop: Header=BB26_3 Depth=1
	ds_store_b64 v91, v[32:33]
; %bb.28:                               ;   in Loop: Header=BB26_3 Depth=1
	s_or_b32 exec_lo, exec_lo, s47
.LBB26_29:                              ;   in Loop: Header=BB26_3 Depth=1
	s_and_not1_saveexec_b32 s46, s46
	s_cbranch_execz .LBB26_31
; %bb.30:                               ;   in Loop: Header=BB26_3 Depth=1
	v_lshl_add_u64 v[48:49], v[26:27], 3, v[2:3]
	global_load_b64 v[48:49], v[48:49], off
	s_wait_loadcnt 0x0
	v_xor_b32_e32 v49, 0x80000000, v49
	ds_store_b64 v91, v[48:49]
.LBB26_31:                              ;   in Loop: Header=BB26_3 Depth=1
	s_or_b32 exec_lo, exec_lo, s46
	s_delay_alu instid0(SALU_CYCLE_1) | instskip(SKIP_2) | instid1(SALU_CYCLE_1)
	s_mov_b32 s46, exec_lo
	v_readlane_b32 s47, v103, 16
	s_and_b32 s47, s46, s47
	s_xor_b32 s46, s47, s46
	s_mov_b32 exec_lo, s47
	s_cbranch_execz .LBB26_35
; %bb.32:                               ;   in Loop: Header=BB26_3 Depth=1
	s_mov_b32 s47, exec_lo
	v_readlane_b32 s57, v102, 22
	s_and_b32 s57, s47, s57
	s_delay_alu instid0(SALU_CYCLE_1)
	s_mov_b32 exec_lo, s57
; %bb.33:                               ;   in Loop: Header=BB26_3 Depth=1
	ds_store_b64 v87, v[32:33]
; %bb.34:                               ;   in Loop: Header=BB26_3 Depth=1
	s_or_b32 exec_lo, exec_lo, s47
.LBB26_35:                              ;   in Loop: Header=BB26_3 Depth=1
	s_and_not1_saveexec_b32 s46, s46
	s_cbranch_execz .LBB26_37
; %bb.36:                               ;   in Loop: Header=BB26_3 Depth=1
	v_lshl_add_u64 v[48:49], v[18:19], 3, v[2:3]
	global_load_b64 v[48:49], v[48:49], off
	s_wait_loadcnt 0x0
	v_xor_b32_e32 v49, 0x80000000, v49
	ds_store_b64 v87, v[48:49]
.LBB26_37:                              ;   in Loop: Header=BB26_3 Depth=1
	s_or_b32 exec_lo, exec_lo, s46
	s_delay_alu instid0(SALU_CYCLE_1) | instskip(SKIP_2) | instid1(SALU_CYCLE_1)
	s_mov_b32 s46, exec_lo
	v_readlane_b32 s47, v103, 17
	s_and_b32 s47, s46, s47
	s_xor_b32 s46, s47, s46
	s_mov_b32 exec_lo, s47
	s_cbranch_execz .LBB26_41
; %bb.38:                               ;   in Loop: Header=BB26_3 Depth=1
	s_mov_b32 s47, exec_lo
	v_readlane_b32 s57, v102, 23
	s_and_b32 s57, s47, s57
	s_delay_alu instid0(SALU_CYCLE_1)
	s_mov_b32 exec_lo, s57
; %bb.39:                               ;   in Loop: Header=BB26_3 Depth=1
	ds_store_b64 v88, v[32:33]
; %bb.40:                               ;   in Loop: Header=BB26_3 Depth=1
	s_or_b32 exec_lo, exec_lo, s47
.LBB26_41:                              ;   in Loop: Header=BB26_3 Depth=1
	s_and_not1_saveexec_b32 s46, s46
	s_cbranch_execz .LBB26_43
; %bb.42:                               ;   in Loop: Header=BB26_3 Depth=1
	v_lshl_add_u64 v[48:49], v[20:21], 3, v[2:3]
	global_load_b64 v[48:49], v[48:49], off
	s_wait_loadcnt 0x0
	v_xor_b32_e32 v49, 0x80000000, v49
	ds_store_b64 v88, v[48:49]
.LBB26_43:                              ;   in Loop: Header=BB26_3 Depth=1
	s_or_b32 exec_lo, exec_lo, s46
	s_delay_alu instid0(SALU_CYCLE_1) | instskip(SKIP_2) | instid1(SALU_CYCLE_1)
	s_mov_b32 s46, exec_lo
	v_readlane_b32 s47, v103, 18
	s_and_b32 s47, s46, s47
	s_xor_b32 s46, s47, s46
	s_mov_b32 exec_lo, s47
	s_cbranch_execz .LBB26_47
; %bb.44:                               ;   in Loop: Header=BB26_3 Depth=1
	s_mov_b32 s47, exec_lo
	v_readlane_b32 s57, v102, 24
	s_and_b32 s57, s47, s57
	s_delay_alu instid0(SALU_CYCLE_1)
	s_mov_b32 exec_lo, s57
; %bb.45:                               ;   in Loop: Header=BB26_3 Depth=1
	ds_store_b64 v89, v[32:33]
; %bb.46:                               ;   in Loop: Header=BB26_3 Depth=1
	s_or_b32 exec_lo, exec_lo, s47
                                        ; implicit-def: $vgpr2_vgpr3
.LBB26_47:                              ;   in Loop: Header=BB26_3 Depth=1
	s_and_not1_saveexec_b32 s46, s46
	s_cbranch_execz .LBB26_49
; %bb.48:                               ;   in Loop: Header=BB26_3 Depth=1
	v_lshl_add_u64 v[2:3], v[22:23], 3, v[2:3]
	global_load_b64 v[2:3], v[2:3], off
	s_wait_loadcnt 0x0
	v_xor_b32_e32 v3, 0x80000000, v3
	ds_store_b64 v89, v[2:3]
.LBB26_49:                              ;   in Loop: Header=BB26_3 Depth=1
	s_or_b32 exec_lo, exec_lo, s46
.LBB26_50:                              ;   in Loop: Header=BB26_3 Depth=1
	s_delay_alu instid0(SALU_CYCLE_1)
	s_and_not1_b32 vcc_lo, exec_lo, s89
	s_wait_loadcnt_dscnt 0x0
	s_barrier_signal -1
	s_barrier_wait -1
	s_cbranch_vccnz .LBB26_980
; %bb.51:                               ;   in Loop: Header=BB26_3 Depth=1
	s_and_saveexec_b32 s46, s10
	s_cbranch_execz .LBB26_53
; %bb.52:                               ;   in Loop: Header=BB26_3 Depth=1
	ds_load_b64 v[2:3], v7 offset:32752
	v_mov_b32_e32 v0, v7
	ds_store_b64 v7, v[34:35] offset:32760
	s_wait_dscnt 0x1
	ds_store_b128 v7, v[0:3] offset:32240
.LBB26_53:                              ;   in Loop: Header=BB26_3 Depth=1
	s_or_b32 exec_lo, exec_lo, s46
	v_mov_b64_e32 v[2:3], 0
	s_wait_dscnt 0x0
	s_barrier_signal -1
	s_barrier_wait -1
	global_wb scope:SCOPE_DEV
	s_wait_storecnt 0x0
	global_inv scope:SCOPE_DEV
	s_and_saveexec_b32 s46, s0
	s_cbranch_execz .LBB26_57
; %bb.54:                               ;   in Loop: Header=BB26_3 Depth=1
	ds_load_b64 v[2:3], v72 offset:32224
	ds_load_b64 v[48:49], v57 offset:32752
	s_wait_dscnt 0x0
	v_fma_f64 v[2:3], v[2:3], v[48:49], 0
	s_and_saveexec_b32 s47, s11
	s_cbranch_execz .LBB26_56
; %bb.55:                               ;   in Loop: Header=BB26_3 Depth=1
	ds_load_b64 v[48:49], v11 offset:32736
	ds_load_b64 v[98:99], v7 offset:32760
	s_wait_dscnt 0x0
	v_fmac_f64_e32 v[2:3], v[48:49], v[98:99]
.LBB26_56:                              ;   in Loop: Header=BB26_3 Depth=1
	s_or_b32 exec_lo, exec_lo, s47
.LBB26_57:                              ;   in Loop: Header=BB26_3 Depth=1
	s_delay_alu instid0(SALU_CYCLE_1)
	s_or_b32 exec_lo, exec_lo, s46
	s_and_saveexec_b32 s46, s90
; %bb.58:                               ;   in Loop: Header=BB26_3 Depth=1
	s_delay_alu instid0(VALU_DEP_1) | instskip(NEXT) | instid1(VALU_DEP_2)
	v_xor_b32_e32 v49, 0x80000000, v3
	v_mov_b32_e32 v48, v2
	ds_store_b64 v73, v[48:49]
; %bb.59:                               ;   in Loop: Header=BB26_3 Depth=1
	s_or_b32 exec_lo, exec_lo, s46
	s_wait_loadcnt_dscnt 0x0
	s_barrier_signal -1
	s_barrier_wait -1
	s_and_saveexec_b32 s46, s91
	s_cbranch_execz .LBB26_61
; %bb.60:                               ;   in Loop: Header=BB26_3 Depth=1
	ds_load_b64 v[48:49], v7 offset:31712
	ds_load_b64 v[98:99], v73
	s_wait_dscnt 0x0
	v_fma_f64 v[2:3], -v[48:49], v[98:99], v[2:3]
.LBB26_61:                              ;   in Loop: Header=BB26_3 Depth=1
	s_or_b32 exec_lo, exec_lo, s46
	s_barrier_signal -1
	s_barrier_wait -1
	s_and_saveexec_b32 s46, s91
; %bb.62:                               ;   in Loop: Header=BB26_3 Depth=1
	s_delay_alu instid0(VALU_DEP_1) | instskip(NEXT) | instid1(VALU_DEP_2)
	v_xor_b32_e32 v49, 0x80000000, v3
	v_mov_b32_e32 v48, v2
	ds_store_b64 v73, v[48:49]
; %bb.63:                               ;   in Loop: Header=BB26_3 Depth=1
	s_or_b32 exec_lo, exec_lo, s46
	s_wait_dscnt 0x0
	s_barrier_signal -1
	s_barrier_wait -1
	s_barrier_signal -1
	s_barrier_wait -1
	s_and_saveexec_b32 s46, s0
; %bb.64:                               ;   in Loop: Header=BB26_3 Depth=1
	ds_store_b64 v75, v[2:3] offset:32736
; %bb.65:                               ;   in Loop: Header=BB26_3 Depth=1
	s_or_b32 exec_lo, exec_lo, s46
	s_wait_dscnt 0x0
	s_barrier_signal -1
	s_barrier_wait -1
	s_barrier_signal -1
	s_barrier_wait -1
	s_and_saveexec_b32 s46, s92
	s_cbranch_execz .LBB26_67
; %bb.66:                               ;   in Loop: Header=BB26_3 Depth=1
	ds_load_b64 v[2:3], v50 offset:32224
	s_wait_dscnt 0x0
	ds_store_b64 v11, v[2:3] offset:31216
	ds_load_b64 v[2:3], v50 offset:32232
	s_wait_dscnt 0x0
	ds_store_b64 v11, v[2:3] offset:31728
.LBB26_67:                              ;   in Loop: Header=BB26_3 Depth=1
	s_or_b32 exec_lo, exec_lo, s46
	s_wait_dscnt 0x0
	s_barrier_signal -1
	s_barrier_wait -1
	s_and_saveexec_b32 s46, s10
	s_cbranch_execz .LBB26_69
; %bb.68:                               ;   in Loop: Header=BB26_3 Depth=1
	ds_load_b64 v[2:3], v7 offset:31712
	v_mov_b32_e32 v0, v7
	ds_store_b64 v7, v[34:35] offset:31720
	s_wait_dscnt 0x1
	ds_store_b128 v7, v[0:3] offset:31200
.LBB26_69:                              ;   in Loop: Header=BB26_3 Depth=1
	s_or_b32 exec_lo, exec_lo, s46
	v_mov_b64_e32 v[2:3], 0
	s_wait_dscnt 0x0
	s_barrier_signal -1
	s_barrier_wait -1
	global_wb scope:SCOPE_DEV
	s_wait_storecnt 0x0
	global_inv scope:SCOPE_DEV
	s_and_saveexec_b32 s57, s2
	s_cbranch_execz .LBB26_75
; %bb.70:                               ;   in Loop: Header=BB26_3 Depth=1
	ds_load_b64 v[2:3], v74 offset:31168
	ds_load_b64 v[48:49], v59 offset:32736
	s_wait_dscnt 0x0
	v_fma_f64 v[2:3], v[2:3], v[48:49], 0
	s_and_saveexec_b32 s46, s12
	s_cbranch_execnz .LBB26_1067
; %bb.71:                               ;   in Loop: Header=BB26_3 Depth=1
	s_or_b32 exec_lo, exec_lo, s46
	s_and_saveexec_b32 s46, s13
	s_cbranch_execnz .LBB26_1068
.LBB26_72:                              ;   in Loop: Header=BB26_3 Depth=1
	s_or_b32 exec_lo, exec_lo, s46
	s_and_saveexec_b32 s46, s0
	s_cbranch_execz .LBB26_74
.LBB26_73:                              ;   in Loop: Header=BB26_3 Depth=1
	ds_load_b64 v[48:49], v51 offset:32704
	ds_load_b64 v[98:99], v7 offset:32760
	s_wait_dscnt 0x0
	v_fmac_f64_e32 v[2:3], v[48:49], v[98:99]
.LBB26_74:                              ;   in Loop: Header=BB26_3 Depth=1
	s_or_b32 exec_lo, exec_lo, s46
.LBB26_75:                              ;   in Loop: Header=BB26_3 Depth=1
	s_delay_alu instid0(SALU_CYCLE_1)
	s_or_b32 exec_lo, exec_lo, s57
	s_and_saveexec_b32 s46, s93
; %bb.76:                               ;   in Loop: Header=BB26_3 Depth=1
	s_delay_alu instid0(VALU_DEP_1) | instskip(NEXT) | instid1(VALU_DEP_2)
	v_xor_b32_e32 v49, 0x80000000, v3
	v_mov_b32_e32 v48, v2
	ds_store_b64 v77, v[48:49]
; %bb.77:                               ;   in Loop: Header=BB26_3 Depth=1
	s_or_b32 exec_lo, exec_lo, s46
	s_wait_loadcnt_dscnt 0x0
	s_barrier_signal -1
	s_barrier_wait -1
	s_and_saveexec_b32 s46, s94
	s_cbranch_execz .LBB26_79
; %bb.78:                               ;   in Loop: Header=BB26_3 Depth=1
	ds_load_b64 v[48:49], v74 offset:30656
	ds_load_b64 v[98:99], v77
	s_wait_dscnt 0x0
	v_fma_f64 v[2:3], -v[48:49], v[98:99], v[2:3]
.LBB26_79:                              ;   in Loop: Header=BB26_3 Depth=1
	s_or_b32 exec_lo, exec_lo, s46
	s_barrier_signal -1
	s_barrier_wait -1
	s_and_saveexec_b32 s46, s95
; %bb.80:                               ;   in Loop: Header=BB26_3 Depth=1
	s_delay_alu instid0(VALU_DEP_1) | instskip(NEXT) | instid1(VALU_DEP_2)
	v_xor_b32_e32 v49, 0x80000000, v3
	v_mov_b32_e32 v48, v2
	ds_store_b64 v77, v[48:49]
; %bb.81:                               ;   in Loop: Header=BB26_3 Depth=1
	s_or_b32 exec_lo, exec_lo, s46
	s_wait_dscnt 0x0
	s_barrier_signal -1
	s_barrier_wait -1
	s_and_saveexec_b32 s46, s96
	s_cbranch_execz .LBB26_83
; %bb.82:                               ;   in Loop: Header=BB26_3 Depth=1
	ds_load_b64 v[48:49], v74 offset:30144
	ds_load_b64 v[98:99], v77
	s_wait_dscnt 0x0
	v_fma_f64 v[2:3], -v[48:49], v[98:99], v[2:3]
.LBB26_83:                              ;   in Loop: Header=BB26_3 Depth=1
	s_or_b32 exec_lo, exec_lo, s46
	s_barrier_signal -1
	s_barrier_wait -1
	s_and_saveexec_b32 s46, s97
; %bb.84:                               ;   in Loop: Header=BB26_3 Depth=1
	s_delay_alu instid0(VALU_DEP_1) | instskip(NEXT) | instid1(VALU_DEP_2)
	v_xor_b32_e32 v49, 0x80000000, v3
	v_mov_b32_e32 v48, v2
	ds_store_b64 v77, v[48:49]
; %bb.85:                               ;   in Loop: Header=BB26_3 Depth=1
	s_or_b32 exec_lo, exec_lo, s46
	s_wait_dscnt 0x0
	;; [unrolled: 22-line block ×3, first 2 shown]
	s_barrier_signal -1
	s_barrier_wait -1
	s_barrier_signal -1
	s_barrier_wait -1
	s_and_saveexec_b32 s46, s2
; %bb.90:                               ;   in Loop: Header=BB26_3 Depth=1
	ds_store_b64 v79, v[2:3] offset:32704
; %bb.91:                               ;   in Loop: Header=BB26_3 Depth=1
	s_or_b32 exec_lo, exec_lo, s46
	s_wait_dscnt 0x0
	s_barrier_signal -1
	s_barrier_wait -1
	s_barrier_signal -1
	s_barrier_wait -1
	s_and_saveexec_b32 s46, s99
	s_cbranch_execz .LBB26_93
; %bb.92:                               ;   in Loop: Header=BB26_3 Depth=1
	ds_load_b64 v[2:3], v52 offset:31168
	s_wait_dscnt 0x0
	ds_store_b64 v53, v[2:3] offset:29152
	ds_load_b64 v[2:3], v52 offset:31176
	s_wait_dscnt 0x0
	ds_store_b64 v53, v[2:3] offset:29664
	;; [unrolled: 3-line block ×4, first 2 shown]
.LBB26_93:                              ;   in Loop: Header=BB26_3 Depth=1
	s_or_b32 exec_lo, exec_lo, s46
	s_wait_dscnt 0x0
	s_barrier_signal -1
	s_barrier_wait -1
	s_and_saveexec_b32 s46, s10
	s_cbranch_execz .LBB26_95
; %bb.94:                               ;   in Loop: Header=BB26_3 Depth=1
	ds_load_b64 v[2:3], v7 offset:30672
	v_mov_b32_e32 v0, v7
	ds_store_b64 v7, v[34:35] offset:30680
	s_wait_dscnt 0x1
	ds_store_b128 v7, v[0:3] offset:30160
.LBB26_95:                              ;   in Loop: Header=BB26_3 Depth=1
	s_or_b32 exec_lo, exec_lo, s46
	v_mov_b64_e32 v[2:3], 0
	s_wait_dscnt 0x0
	s_barrier_signal -1
	s_barrier_wait -1
	global_wb scope:SCOPE_DEV
	s_wait_storecnt 0x0
	global_inv scope:SCOPE_DEV
	s_and_saveexec_b32 s46, s0
	s_cbranch_execz .LBB26_99
; %bb.96:                               ;   in Loop: Header=BB26_3 Depth=1
	ds_load_b64 v[2:3], v72 offset:30144
	ds_load_b64 v[48:49], v57 offset:30672
	s_wait_dscnt 0x0
	v_fma_f64 v[2:3], v[2:3], v[48:49], 0
	s_and_saveexec_b32 s47, s11
	s_cbranch_execz .LBB26_98
; %bb.97:                               ;   in Loop: Header=BB26_3 Depth=1
	ds_load_b64 v[48:49], v53 offset:30656
	ds_load_b64 v[98:99], v7 offset:30680
	s_wait_dscnt 0x0
	v_fmac_f64_e32 v[2:3], v[48:49], v[98:99]
.LBB26_98:                              ;   in Loop: Header=BB26_3 Depth=1
	s_or_b32 exec_lo, exec_lo, s47
.LBB26_99:                              ;   in Loop: Header=BB26_3 Depth=1
	s_delay_alu instid0(SALU_CYCLE_1)
	s_or_b32 exec_lo, exec_lo, s46
	s_and_saveexec_b32 s46, s90
; %bb.100:                              ;   in Loop: Header=BB26_3 Depth=1
	s_delay_alu instid0(VALU_DEP_1) | instskip(NEXT) | instid1(VALU_DEP_2)
	v_xor_b32_e32 v49, 0x80000000, v3
	v_mov_b32_e32 v48, v2
	ds_store_b64 v73, v[48:49]
; %bb.101:                              ;   in Loop: Header=BB26_3 Depth=1
	s_or_b32 exec_lo, exec_lo, s46
	s_wait_loadcnt_dscnt 0x0
	s_barrier_signal -1
	s_barrier_wait -1
	s_and_saveexec_b32 s46, s91
	s_cbranch_execz .LBB26_103
; %bb.102:                              ;   in Loop: Header=BB26_3 Depth=1
	ds_load_b64 v[48:49], v7 offset:29632
	ds_load_b64 v[98:99], v73
	s_wait_dscnt 0x0
	v_fma_f64 v[2:3], -v[48:49], v[98:99], v[2:3]
.LBB26_103:                             ;   in Loop: Header=BB26_3 Depth=1
	s_or_b32 exec_lo, exec_lo, s46
	s_barrier_signal -1
	s_barrier_wait -1
	s_and_saveexec_b32 s46, s91
; %bb.104:                              ;   in Loop: Header=BB26_3 Depth=1
	s_delay_alu instid0(VALU_DEP_1) | instskip(NEXT) | instid1(VALU_DEP_2)
	v_xor_b32_e32 v49, 0x80000000, v3
	v_mov_b32_e32 v48, v2
	ds_store_b64 v73, v[48:49]
; %bb.105:                              ;   in Loop: Header=BB26_3 Depth=1
	s_or_b32 exec_lo, exec_lo, s46
	s_wait_dscnt 0x0
	s_barrier_signal -1
	s_barrier_wait -1
	s_barrier_signal -1
	s_barrier_wait -1
	s_and_saveexec_b32 s46, s0
; %bb.106:                              ;   in Loop: Header=BB26_3 Depth=1
	ds_store_b64 v75, v[2:3] offset:30656
; %bb.107:                              ;   in Loop: Header=BB26_3 Depth=1
	s_or_b32 exec_lo, exec_lo, s46
	s_wait_dscnt 0x0
	s_barrier_signal -1
	s_barrier_wait -1
	s_barrier_signal -1
	s_barrier_wait -1
	s_and_saveexec_b32 s46, s92
	s_cbranch_execz .LBB26_109
; %bb.108:                              ;   in Loop: Header=BB26_3 Depth=1
	ds_load_b64 v[2:3], v54 offset:30144
	s_wait_dscnt 0x0
	ds_store_b64 v53, v[2:3] offset:29136
	ds_load_b64 v[2:3], v54 offset:30152
	s_wait_dscnt 0x0
	ds_store_b64 v53, v[2:3] offset:29648
.LBB26_109:                             ;   in Loop: Header=BB26_3 Depth=1
	s_or_b32 exec_lo, exec_lo, s46
	s_wait_dscnt 0x0
	s_barrier_signal -1
	s_barrier_wait -1
	s_and_saveexec_b32 s46, s10
	s_cbranch_execz .LBB26_111
; %bb.110:                              ;   in Loop: Header=BB26_3 Depth=1
	ds_load_b64 v[2:3], v7 offset:29632
	v_mov_b32_e32 v0, v7
	ds_store_b64 v7, v[34:35] offset:29640
	s_wait_dscnt 0x1
	ds_store_b128 v7, v[0:3] offset:29120
.LBB26_111:                             ;   in Loop: Header=BB26_3 Depth=1
	s_or_b32 exec_lo, exec_lo, s46
	v_mov_b64_e32 v[2:3], 0
	s_wait_dscnt 0x0
	s_barrier_signal -1
	s_barrier_wait -1
	global_wb scope:SCOPE_DEV
	s_wait_storecnt 0x0
	global_inv scope:SCOPE_DEV
	s_and_saveexec_b32 s57, s3
	s_cbranch_execz .LBB26_121
; %bb.112:                              ;   in Loop: Header=BB26_3 Depth=1
	ds_load_b64 v[2:3], v76 offset:29056
	ds_load_b64 v[48:49], v63 offset:32704
	s_wait_dscnt 0x0
	v_fma_f64 v[2:3], v[2:3], v[48:49], 0
	s_and_saveexec_b32 s46, s14
	s_cbranch_execnz .LBB26_1069
; %bb.113:                              ;   in Loop: Header=BB26_3 Depth=1
	s_or_b32 exec_lo, exec_lo, s46
	s_and_saveexec_b32 s46, s15
	s_cbranch_execnz .LBB26_1070
.LBB26_114:                             ;   in Loop: Header=BB26_3 Depth=1
	s_or_b32 exec_lo, exec_lo, s46
	s_and_saveexec_b32 s46, s16
	s_cbranch_execnz .LBB26_1071
.LBB26_115:                             ;   in Loop: Header=BB26_3 Depth=1
	s_or_b32 exec_lo, exec_lo, s46
	s_and_saveexec_b32 s46, s17
	s_cbranch_execnz .LBB26_1072
.LBB26_116:                             ;   in Loop: Header=BB26_3 Depth=1
	s_or_b32 exec_lo, exec_lo, s46
	s_and_saveexec_b32 s46, s18
	s_cbranch_execnz .LBB26_1073
.LBB26_117:                             ;   in Loop: Header=BB26_3 Depth=1
	s_or_b32 exec_lo, exec_lo, s46
	s_and_saveexec_b32 s46, s2
	s_cbranch_execnz .LBB26_1074
.LBB26_118:                             ;   in Loop: Header=BB26_3 Depth=1
	s_or_b32 exec_lo, exec_lo, s46
	s_and_saveexec_b32 s46, s13
	s_cbranch_execz .LBB26_120
.LBB26_119:                             ;   in Loop: Header=BB26_3 Depth=1
	ds_load_b64 v[48:49], v55 offset:32640
	ds_load_b64 v[98:99], v7 offset:32760
	s_wait_dscnt 0x0
	v_fmac_f64_e32 v[2:3], v[48:49], v[98:99]
.LBB26_120:                             ;   in Loop: Header=BB26_3 Depth=1
	s_or_b32 exec_lo, exec_lo, s46
.LBB26_121:                             ;   in Loop: Header=BB26_3 Depth=1
	s_delay_alu instid0(SALU_CYCLE_1)
	s_or_b32 exec_lo, exec_lo, s57
	s_and_saveexec_b32 s46, s100
; %bb.122:                              ;   in Loop: Header=BB26_3 Depth=1
	s_delay_alu instid0(VALU_DEP_1) | instskip(NEXT) | instid1(VALU_DEP_2)
	v_xor_b32_e32 v49, 0x80000000, v3
	v_mov_b32_e32 v48, v2
	ds_store_b64 v80, v[48:49]
; %bb.123:                              ;   in Loop: Header=BB26_3 Depth=1
	s_or_b32 exec_lo, exec_lo, s46
	s_wait_loadcnt_dscnt 0x0
	s_barrier_signal -1
	s_barrier_wait -1
	s_and_saveexec_b32 s46, s101
	s_cbranch_execz .LBB26_125
; %bb.124:                              ;   in Loop: Header=BB26_3 Depth=1
	ds_load_b64 v[48:49], v76 offset:28544
	ds_load_b64 v[98:99], v80
	s_wait_dscnt 0x0
	v_fma_f64 v[2:3], -v[48:49], v[98:99], v[2:3]
.LBB26_125:                             ;   in Loop: Header=BB26_3 Depth=1
	s_or_b32 exec_lo, exec_lo, s46
	s_barrier_signal -1
	s_barrier_wait -1
	s_and_saveexec_b32 s46, s102
; %bb.126:                              ;   in Loop: Header=BB26_3 Depth=1
	s_delay_alu instid0(VALU_DEP_1) | instskip(NEXT) | instid1(VALU_DEP_2)
	v_xor_b32_e32 v49, 0x80000000, v3
	v_mov_b32_e32 v48, v2
	ds_store_b64 v80, v[48:49]
; %bb.127:                              ;   in Loop: Header=BB26_3 Depth=1
	s_or_b32 exec_lo, exec_lo, s46
	s_wait_dscnt 0x0
	s_barrier_signal -1
	s_barrier_wait -1
	s_and_saveexec_b32 s46, s103
	s_cbranch_execz .LBB26_129
; %bb.128:                              ;   in Loop: Header=BB26_3 Depth=1
	ds_load_b64 v[48:49], v76 offset:28032
	ds_load_b64 v[98:99], v80
	s_wait_dscnt 0x0
	v_fma_f64 v[2:3], -v[48:49], v[98:99], v[2:3]
.LBB26_129:                             ;   in Loop: Header=BB26_3 Depth=1
	s_or_b32 exec_lo, exec_lo, s46
	s_barrier_signal -1
	s_barrier_wait -1
	s_and_saveexec_b32 s46, s104
; %bb.130:                              ;   in Loop: Header=BB26_3 Depth=1
	s_delay_alu instid0(VALU_DEP_1) | instskip(NEXT) | instid1(VALU_DEP_2)
	v_xor_b32_e32 v49, 0x80000000, v3
	v_mov_b32_e32 v48, v2
	ds_store_b64 v80, v[48:49]
; %bb.131:                              ;   in Loop: Header=BB26_3 Depth=1
	s_or_b32 exec_lo, exec_lo, s46
	s_wait_dscnt 0x0
	s_barrier_signal -1
	s_barrier_wait -1
	s_and_saveexec_b32 s46, vcc_hi
	s_cbranch_execz .LBB26_133
; %bb.132:                              ;   in Loop: Header=BB26_3 Depth=1
	ds_load_b64 v[48:49], v76 offset:27520
	ds_load_b64 v[98:99], v80
	s_wait_dscnt 0x0
	v_fma_f64 v[2:3], -v[48:49], v[98:99], v[2:3]
.LBB26_133:                             ;   in Loop: Header=BB26_3 Depth=1
	s_or_b32 exec_lo, exec_lo, s46
	s_barrier_signal -1
	s_barrier_wait -1
	s_and_saveexec_b32 s46, s31
; %bb.134:                              ;   in Loop: Header=BB26_3 Depth=1
	s_delay_alu instid0(VALU_DEP_1) | instskip(NEXT) | instid1(VALU_DEP_2)
	v_xor_b32_e32 v49, 0x80000000, v3
	v_mov_b32_e32 v48, v2
	ds_store_b64 v80, v[48:49]
; %bb.135:                              ;   in Loop: Header=BB26_3 Depth=1
	s_or_b32 exec_lo, exec_lo, s46
	s_wait_dscnt 0x0
	s_barrier_signal -1
	s_barrier_wait -1
	s_and_saveexec_b32 s46, s33
	s_cbranch_execz .LBB26_137
; %bb.136:                              ;   in Loop: Header=BB26_3 Depth=1
	ds_load_b64 v[48:49], v76 offset:27008
	ds_load_b64 v[98:99], v80
	s_wait_dscnt 0x0
	v_fma_f64 v[2:3], -v[48:49], v[98:99], v[2:3]
.LBB26_137:                             ;   in Loop: Header=BB26_3 Depth=1
	s_or_b32 exec_lo, exec_lo, s46
	s_barrier_signal -1
	s_barrier_wait -1
	s_and_saveexec_b32 s46, s34
; %bb.138:                              ;   in Loop: Header=BB26_3 Depth=1
	s_delay_alu instid0(VALU_DEP_1) | instskip(NEXT) | instid1(VALU_DEP_2)
	v_xor_b32_e32 v49, 0x80000000, v3
	v_mov_b32_e32 v48, v2
	ds_store_b64 v80, v[48:49]
; %bb.139:                              ;   in Loop: Header=BB26_3 Depth=1
	s_or_b32 exec_lo, exec_lo, s46
	s_wait_dscnt 0x0
	s_barrier_signal -1
	s_barrier_wait -1
	s_and_saveexec_b32 s46, s35
	;; [unrolled: 22-line block ×4, first 2 shown]
	s_cbranch_execz .LBB26_149
; %bb.148:                              ;   in Loop: Header=BB26_3 Depth=1
	ds_load_b64 v[48:49], v7 offset:25472
	ds_load_b64 v[98:99], v80
	s_wait_dscnt 0x0
	v_fma_f64 v[2:3], -v[48:49], v[98:99], v[2:3]
.LBB26_149:                             ;   in Loop: Header=BB26_3 Depth=1
	s_or_b32 exec_lo, exec_lo, s46
	s_barrier_signal -1
	s_barrier_wait -1
	s_and_saveexec_b32 s46, s39
; %bb.150:                              ;   in Loop: Header=BB26_3 Depth=1
	s_delay_alu instid0(VALU_DEP_1) | instskip(NEXT) | instid1(VALU_DEP_2)
	v_xor_b32_e32 v49, 0x80000000, v3
	v_mov_b32_e32 v48, v2
	ds_store_b64 v80, v[48:49]
; %bb.151:                              ;   in Loop: Header=BB26_3 Depth=1
	s_or_b32 exec_lo, exec_lo, s46
	s_wait_dscnt 0x0
	s_barrier_signal -1
	s_barrier_wait -1
	s_barrier_signal -1
	s_barrier_wait -1
	s_and_saveexec_b32 s46, s3
; %bb.152:                              ;   in Loop: Header=BB26_3 Depth=1
	ds_store_b64 v81, v[2:3] offset:32640
; %bb.153:                              ;   in Loop: Header=BB26_3 Depth=1
	s_or_b32 exec_lo, exec_lo, s46
	s_wait_dscnt 0x0
	s_barrier_signal -1
	s_barrier_wait -1
	s_barrier_signal -1
	s_barrier_wait -1
	s_and_saveexec_b32 s46, s40
	s_cbranch_execz .LBB26_155
; %bb.154:                              ;   in Loop: Header=BB26_3 Depth=1
	ds_load_b64 v[2:3], v56 offset:29056
	s_wait_dscnt 0x0
	ds_store_b64 v58, v[2:3] offset:25024
	ds_load_b64 v[2:3], v56 offset:29064
	s_wait_dscnt 0x0
	ds_store_b64 v58, v[2:3] offset:25536
	ds_load_b64 v[2:3], v56 offset:29072
	s_wait_dscnt 0x0
	ds_store_b64 v58, v[2:3] offset:26048
	ds_load_b64 v[2:3], v56 offset:29080
	s_wait_dscnt 0x0
	ds_store_b64 v58, v[2:3] offset:26560
	ds_load_b64 v[2:3], v56 offset:29088
	s_wait_dscnt 0x0
	ds_store_b64 v58, v[2:3] offset:27072
	ds_load_b64 v[2:3], v56 offset:29096
	s_wait_dscnt 0x0
	ds_store_b64 v58, v[2:3] offset:27584
	ds_load_b64 v[2:3], v56 offset:29104
	s_wait_dscnt 0x0
	ds_store_b64 v58, v[2:3] offset:28096
	ds_load_b64 v[2:3], v56 offset:29112
	s_wait_dscnt 0x0
	ds_store_b64 v58, v[2:3] offset:28608
.LBB26_155:                             ;   in Loop: Header=BB26_3 Depth=1
	s_or_b32 exec_lo, exec_lo, s46
	s_wait_dscnt 0x0
	s_barrier_signal -1
	s_barrier_wait -1
	s_and_saveexec_b32 s46, s10
	s_cbranch_execz .LBB26_157
; %bb.156:                              ;   in Loop: Header=BB26_3 Depth=1
	ds_load_b64 v[2:3], v7 offset:28592
	v_mov_b32_e32 v0, v7
	ds_store_b64 v7, v[34:35] offset:28600
	s_wait_dscnt 0x1
	ds_store_b128 v7, v[0:3] offset:28080
.LBB26_157:                             ;   in Loop: Header=BB26_3 Depth=1
	s_or_b32 exec_lo, exec_lo, s46
	v_mov_b64_e32 v[2:3], 0
	s_wait_dscnt 0x0
	s_barrier_signal -1
	s_barrier_wait -1
	global_wb scope:SCOPE_DEV
	s_wait_storecnt 0x0
	global_inv scope:SCOPE_DEV
	s_and_saveexec_b32 s46, s0
	s_cbranch_execz .LBB26_161
; %bb.158:                              ;   in Loop: Header=BB26_3 Depth=1
	ds_load_b64 v[2:3], v72 offset:28064
	ds_load_b64 v[48:49], v57 offset:28592
	s_wait_dscnt 0x0
	v_fma_f64 v[2:3], v[2:3], v[48:49], 0
	s_and_saveexec_b32 s47, s11
	s_cbranch_execz .LBB26_160
; %bb.159:                              ;   in Loop: Header=BB26_3 Depth=1
	ds_load_b64 v[48:49], v58 offset:28576
	ds_load_b64 v[98:99], v7 offset:28600
	s_wait_dscnt 0x0
	v_fmac_f64_e32 v[2:3], v[48:49], v[98:99]
.LBB26_160:                             ;   in Loop: Header=BB26_3 Depth=1
	s_or_b32 exec_lo, exec_lo, s47
.LBB26_161:                             ;   in Loop: Header=BB26_3 Depth=1
	s_delay_alu instid0(SALU_CYCLE_1)
	s_or_b32 exec_lo, exec_lo, s46
	s_and_saveexec_b32 s46, s90
; %bb.162:                              ;   in Loop: Header=BB26_3 Depth=1
	s_delay_alu instid0(VALU_DEP_1) | instskip(NEXT) | instid1(VALU_DEP_2)
	v_xor_b32_e32 v49, 0x80000000, v3
	v_mov_b32_e32 v48, v2
	ds_store_b64 v73, v[48:49]
; %bb.163:                              ;   in Loop: Header=BB26_3 Depth=1
	s_or_b32 exec_lo, exec_lo, s46
	s_wait_loadcnt_dscnt 0x0
	s_barrier_signal -1
	s_barrier_wait -1
	s_and_saveexec_b32 s46, s91
	s_cbranch_execz .LBB26_165
; %bb.164:                              ;   in Loop: Header=BB26_3 Depth=1
	ds_load_b64 v[48:49], v7 offset:27552
	ds_load_b64 v[98:99], v73
	s_wait_dscnt 0x0
	v_fma_f64 v[2:3], -v[48:49], v[98:99], v[2:3]
.LBB26_165:                             ;   in Loop: Header=BB26_3 Depth=1
	s_or_b32 exec_lo, exec_lo, s46
	s_barrier_signal -1
	s_barrier_wait -1
	s_and_saveexec_b32 s46, s91
; %bb.166:                              ;   in Loop: Header=BB26_3 Depth=1
	s_delay_alu instid0(VALU_DEP_1) | instskip(NEXT) | instid1(VALU_DEP_2)
	v_xor_b32_e32 v49, 0x80000000, v3
	v_mov_b32_e32 v48, v2
	ds_store_b64 v73, v[48:49]
; %bb.167:                              ;   in Loop: Header=BB26_3 Depth=1
	s_or_b32 exec_lo, exec_lo, s46
	s_wait_dscnt 0x0
	s_barrier_signal -1
	s_barrier_wait -1
	s_barrier_signal -1
	s_barrier_wait -1
	s_and_saveexec_b32 s46, s0
; %bb.168:                              ;   in Loop: Header=BB26_3 Depth=1
	ds_store_b64 v75, v[2:3] offset:28576
; %bb.169:                              ;   in Loop: Header=BB26_3 Depth=1
	s_or_b32 exec_lo, exec_lo, s46
	s_wait_dscnt 0x0
	s_barrier_signal -1
	s_barrier_wait -1
	s_barrier_signal -1
	s_barrier_wait -1
	s_and_saveexec_b32 s46, s92
	s_cbranch_execz .LBB26_171
; %bb.170:                              ;   in Loop: Header=BB26_3 Depth=1
	ds_load_b64 v[2:3], v60 offset:28064
	s_wait_dscnt 0x0
	ds_store_b64 v58, v[2:3] offset:27056
	ds_load_b64 v[2:3], v60 offset:28072
	s_wait_dscnt 0x0
	ds_store_b64 v58, v[2:3] offset:27568
.LBB26_171:                             ;   in Loop: Header=BB26_3 Depth=1
	s_or_b32 exec_lo, exec_lo, s46
	s_wait_dscnt 0x0
	s_barrier_signal -1
	s_barrier_wait -1
	s_and_saveexec_b32 s46, s10
	s_cbranch_execz .LBB26_173
; %bb.172:                              ;   in Loop: Header=BB26_3 Depth=1
	ds_load_b64 v[2:3], v7 offset:27552
	v_mov_b32_e32 v0, v7
	ds_store_b64 v7, v[34:35] offset:27560
	s_wait_dscnt 0x1
	ds_store_b128 v7, v[0:3] offset:27040
.LBB26_173:                             ;   in Loop: Header=BB26_3 Depth=1
	s_or_b32 exec_lo, exec_lo, s46
	v_mov_b64_e32 v[2:3], 0
	s_wait_dscnt 0x0
	s_barrier_signal -1
	s_barrier_wait -1
	global_wb scope:SCOPE_DEV
	s_wait_storecnt 0x0
	global_inv scope:SCOPE_DEV
	s_and_saveexec_b32 s57, s2
	s_cbranch_execz .LBB26_179
; %bb.174:                              ;   in Loop: Header=BB26_3 Depth=1
	ds_load_b64 v[2:3], v74 offset:27008
	ds_load_b64 v[48:49], v59 offset:28576
	s_wait_dscnt 0x0
	v_fma_f64 v[2:3], v[2:3], v[48:49], 0
	s_and_saveexec_b32 s46, s12
	s_cbranch_execnz .LBB26_1075
; %bb.175:                              ;   in Loop: Header=BB26_3 Depth=1
	s_or_b32 exec_lo, exec_lo, s46
	s_and_saveexec_b32 s46, s13
	s_cbranch_execnz .LBB26_1076
.LBB26_176:                             ;   in Loop: Header=BB26_3 Depth=1
	s_or_b32 exec_lo, exec_lo, s46
	s_and_saveexec_b32 s46, s0
	s_cbranch_execz .LBB26_178
.LBB26_177:                             ;   in Loop: Header=BB26_3 Depth=1
	ds_load_b64 v[48:49], v62 offset:28544
	ds_load_b64 v[98:99], v7 offset:28600
	s_wait_dscnt 0x0
	v_fmac_f64_e32 v[2:3], v[48:49], v[98:99]
.LBB26_178:                             ;   in Loop: Header=BB26_3 Depth=1
	s_or_b32 exec_lo, exec_lo, s46
.LBB26_179:                             ;   in Loop: Header=BB26_3 Depth=1
	s_delay_alu instid0(SALU_CYCLE_1)
	s_or_b32 exec_lo, exec_lo, s57
	s_and_saveexec_b32 s46, s93
; %bb.180:                              ;   in Loop: Header=BB26_3 Depth=1
	s_delay_alu instid0(VALU_DEP_1) | instskip(NEXT) | instid1(VALU_DEP_2)
	v_xor_b32_e32 v49, 0x80000000, v3
	v_mov_b32_e32 v48, v2
	ds_store_b64 v77, v[48:49]
; %bb.181:                              ;   in Loop: Header=BB26_3 Depth=1
	s_or_b32 exec_lo, exec_lo, s46
	s_wait_loadcnt_dscnt 0x0
	s_barrier_signal -1
	s_barrier_wait -1
	s_and_saveexec_b32 s46, s94
	s_cbranch_execz .LBB26_183
; %bb.182:                              ;   in Loop: Header=BB26_3 Depth=1
	ds_load_b64 v[48:49], v74 offset:26496
	ds_load_b64 v[98:99], v77
	s_wait_dscnt 0x0
	v_fma_f64 v[2:3], -v[48:49], v[98:99], v[2:3]
.LBB26_183:                             ;   in Loop: Header=BB26_3 Depth=1
	s_or_b32 exec_lo, exec_lo, s46
	s_barrier_signal -1
	s_barrier_wait -1
	s_and_saveexec_b32 s46, s95
; %bb.184:                              ;   in Loop: Header=BB26_3 Depth=1
	s_delay_alu instid0(VALU_DEP_1) | instskip(NEXT) | instid1(VALU_DEP_2)
	v_xor_b32_e32 v49, 0x80000000, v3
	v_mov_b32_e32 v48, v2
	ds_store_b64 v77, v[48:49]
; %bb.185:                              ;   in Loop: Header=BB26_3 Depth=1
	s_or_b32 exec_lo, exec_lo, s46
	s_wait_dscnt 0x0
	s_barrier_signal -1
	s_barrier_wait -1
	s_and_saveexec_b32 s46, s96
	s_cbranch_execz .LBB26_187
; %bb.186:                              ;   in Loop: Header=BB26_3 Depth=1
	ds_load_b64 v[48:49], v74 offset:25984
	ds_load_b64 v[98:99], v77
	s_wait_dscnt 0x0
	v_fma_f64 v[2:3], -v[48:49], v[98:99], v[2:3]
.LBB26_187:                             ;   in Loop: Header=BB26_3 Depth=1
	s_or_b32 exec_lo, exec_lo, s46
	s_barrier_signal -1
	s_barrier_wait -1
	s_and_saveexec_b32 s46, s97
; %bb.188:                              ;   in Loop: Header=BB26_3 Depth=1
	s_delay_alu instid0(VALU_DEP_1) | instskip(NEXT) | instid1(VALU_DEP_2)
	v_xor_b32_e32 v49, 0x80000000, v3
	v_mov_b32_e32 v48, v2
	ds_store_b64 v77, v[48:49]
; %bb.189:                              ;   in Loop: Header=BB26_3 Depth=1
	s_or_b32 exec_lo, exec_lo, s46
	s_wait_dscnt 0x0
	s_barrier_signal -1
	s_barrier_wait -1
	s_and_saveexec_b32 s46, s98
	s_cbranch_execz .LBB26_191
; %bb.190:                              ;   in Loop: Header=BB26_3 Depth=1
	ds_load_b64 v[48:49], v7 offset:25472
	ds_load_b64 v[98:99], v77
	s_wait_dscnt 0x0
	v_fma_f64 v[2:3], -v[48:49], v[98:99], v[2:3]
.LBB26_191:                             ;   in Loop: Header=BB26_3 Depth=1
	s_or_b32 exec_lo, exec_lo, s46
	s_barrier_signal -1
	s_barrier_wait -1
	s_and_saveexec_b32 s46, s98
; %bb.192:                              ;   in Loop: Header=BB26_3 Depth=1
	s_delay_alu instid0(VALU_DEP_1) | instskip(NEXT) | instid1(VALU_DEP_2)
	v_xor_b32_e32 v49, 0x80000000, v3
	v_mov_b32_e32 v48, v2
	ds_store_b64 v77, v[48:49]
; %bb.193:                              ;   in Loop: Header=BB26_3 Depth=1
	s_or_b32 exec_lo, exec_lo, s46
	s_wait_dscnt 0x0
	s_barrier_signal -1
	s_barrier_wait -1
	s_barrier_signal -1
	s_barrier_wait -1
	s_and_saveexec_b32 s46, s2
; %bb.194:                              ;   in Loop: Header=BB26_3 Depth=1
	ds_store_b64 v79, v[2:3] offset:28544
; %bb.195:                              ;   in Loop: Header=BB26_3 Depth=1
	s_or_b32 exec_lo, exec_lo, s46
	s_wait_dscnt 0x0
	s_barrier_signal -1
	s_barrier_wait -1
	s_barrier_signal -1
	s_barrier_wait -1
	s_and_saveexec_b32 s46, s99
	s_cbranch_execz .LBB26_197
; %bb.196:                              ;   in Loop: Header=BB26_3 Depth=1
	ds_load_b64 v[2:3], v67 offset:27008
	s_wait_dscnt 0x0
	ds_store_b64 v68, v[2:3] offset:24992
	ds_load_b64 v[2:3], v67 offset:27016
	s_wait_dscnt 0x0
	ds_store_b64 v68, v[2:3] offset:25504
	;; [unrolled: 3-line block ×4, first 2 shown]
.LBB26_197:                             ;   in Loop: Header=BB26_3 Depth=1
	s_or_b32 exec_lo, exec_lo, s46
	s_wait_dscnt 0x0
	s_barrier_signal -1
	s_barrier_wait -1
	s_and_saveexec_b32 s46, s10
	s_cbranch_execz .LBB26_199
; %bb.198:                              ;   in Loop: Header=BB26_3 Depth=1
	ds_load_b64 v[2:3], v7 offset:26512
	v_mov_b32_e32 v0, v7
	ds_store_b64 v7, v[34:35] offset:26520
	s_wait_dscnt 0x1
	ds_store_b128 v7, v[0:3] offset:26000
.LBB26_199:                             ;   in Loop: Header=BB26_3 Depth=1
	s_or_b32 exec_lo, exec_lo, s46
	v_mov_b64_e32 v[2:3], 0
	s_wait_dscnt 0x0
	s_barrier_signal -1
	s_barrier_wait -1
	global_wb scope:SCOPE_DEV
	s_wait_storecnt 0x0
	global_inv scope:SCOPE_DEV
	s_and_saveexec_b32 s46, s0
	s_cbranch_execz .LBB26_203
; %bb.200:                              ;   in Loop: Header=BB26_3 Depth=1
	ds_load_b64 v[2:3], v72 offset:25984
	ds_load_b64 v[48:49], v57 offset:26512
	s_wait_dscnt 0x0
	v_fma_f64 v[2:3], v[2:3], v[48:49], 0
	s_and_saveexec_b32 s47, s11
	s_cbranch_execz .LBB26_202
; %bb.201:                              ;   in Loop: Header=BB26_3 Depth=1
	ds_load_b64 v[48:49], v68 offset:26496
	ds_load_b64 v[98:99], v7 offset:26520
	s_wait_dscnt 0x0
	v_fmac_f64_e32 v[2:3], v[48:49], v[98:99]
.LBB26_202:                             ;   in Loop: Header=BB26_3 Depth=1
	s_or_b32 exec_lo, exec_lo, s47
.LBB26_203:                             ;   in Loop: Header=BB26_3 Depth=1
	s_delay_alu instid0(SALU_CYCLE_1)
	s_or_b32 exec_lo, exec_lo, s46
	s_and_saveexec_b32 s46, s90
; %bb.204:                              ;   in Loop: Header=BB26_3 Depth=1
	s_delay_alu instid0(VALU_DEP_1) | instskip(NEXT) | instid1(VALU_DEP_2)
	v_xor_b32_e32 v49, 0x80000000, v3
	v_mov_b32_e32 v48, v2
	ds_store_b64 v73, v[48:49]
; %bb.205:                              ;   in Loop: Header=BB26_3 Depth=1
	s_or_b32 exec_lo, exec_lo, s46
	s_wait_loadcnt_dscnt 0x0
	s_barrier_signal -1
	s_barrier_wait -1
	s_and_saveexec_b32 s46, s91
	s_cbranch_execz .LBB26_207
; %bb.206:                              ;   in Loop: Header=BB26_3 Depth=1
	ds_load_b64 v[48:49], v7 offset:25472
	ds_load_b64 v[98:99], v73
	s_wait_dscnt 0x0
	v_fma_f64 v[2:3], -v[48:49], v[98:99], v[2:3]
.LBB26_207:                             ;   in Loop: Header=BB26_3 Depth=1
	s_or_b32 exec_lo, exec_lo, s46
	s_barrier_signal -1
	s_barrier_wait -1
	s_and_saveexec_b32 s46, s91
; %bb.208:                              ;   in Loop: Header=BB26_3 Depth=1
	s_delay_alu instid0(VALU_DEP_1) | instskip(NEXT) | instid1(VALU_DEP_2)
	v_xor_b32_e32 v49, 0x80000000, v3
	v_mov_b32_e32 v48, v2
	ds_store_b64 v73, v[48:49]
; %bb.209:                              ;   in Loop: Header=BB26_3 Depth=1
	s_or_b32 exec_lo, exec_lo, s46
	s_wait_dscnt 0x0
	s_barrier_signal -1
	s_barrier_wait -1
	s_barrier_signal -1
	s_barrier_wait -1
	s_and_saveexec_b32 s46, s0
; %bb.210:                              ;   in Loop: Header=BB26_3 Depth=1
	ds_store_b64 v75, v[2:3] offset:26496
; %bb.211:                              ;   in Loop: Header=BB26_3 Depth=1
	s_or_b32 exec_lo, exec_lo, s46
	s_wait_dscnt 0x0
	s_barrier_signal -1
	s_barrier_wait -1
	s_barrier_signal -1
	s_barrier_wait -1
	s_and_saveexec_b32 s46, s92
	s_cbranch_execz .LBB26_213
; %bb.212:                              ;   in Loop: Header=BB26_3 Depth=1
	ds_load_b64 v[2:3], v69 offset:25984
	s_wait_dscnt 0x0
	ds_store_b64 v68, v[2:3] offset:24976
	ds_load_b64 v[2:3], v69 offset:25992
	s_wait_dscnt 0x0
	ds_store_b64 v68, v[2:3] offset:25488
.LBB26_213:                             ;   in Loop: Header=BB26_3 Depth=1
	s_or_b32 exec_lo, exec_lo, s46
	s_wait_dscnt 0x0
	s_barrier_signal -1
	s_barrier_wait -1
	s_and_saveexec_b32 s46, s10
	s_cbranch_execz .LBB26_215
; %bb.214:                              ;   in Loop: Header=BB26_3 Depth=1
	ds_load_b64 v[2:3], v7 offset:25472
	v_mov_b32_e32 v0, v7
	ds_store_b64 v7, v[34:35] offset:25480
	s_wait_dscnt 0x1
	ds_store_b128 v7, v[0:3] offset:24960
.LBB26_215:                             ;   in Loop: Header=BB26_3 Depth=1
	s_or_b32 exec_lo, exec_lo, s46
	v_mov_b64_e32 v[2:3], 0
	s_wait_dscnt 0x0
	s_barrier_signal -1
	s_barrier_wait -1
	global_wb scope:SCOPE_DEV
	s_wait_storecnt 0x0
	global_inv scope:SCOPE_DEV
	s_and_saveexec_b32 s61, s4
	s_cbranch_execz .LBB26_243
; %bb.216:                              ;   in Loop: Header=BB26_3 Depth=1
	ds_load_b64 v[2:3], v78 offset:24832
	ds_load_b64 v[48:49], v65 offset:32640
	s_wait_dscnt 0x0
	v_fma_f64 v[2:3], v[2:3], v[48:49], 0
	s_mov_b32 s46, exec_lo
	v_readlane_b32 s47, v103, 19
	s_and_b32 s47, s46, s47
	s_delay_alu instid0(SALU_CYCLE_1)
	s_mov_b32 exec_lo, s47
	s_cbranch_execz .LBB26_218
; %bb.217:                              ;   in Loop: Header=BB26_3 Depth=1
	ds_load_b64 v[48:49], v78 offset:25344
	ds_load_b64 v[98:99], v65 offset:32648
	s_wait_dscnt 0x0
	v_fmac_f64_e32 v[2:3], v[48:49], v[98:99]
.LBB26_218:                             ;   in Loop: Header=BB26_3 Depth=1
	s_or_b32 exec_lo, exec_lo, s46
	s_delay_alu instid0(SALU_CYCLE_1) | instskip(SKIP_2) | instid1(SALU_CYCLE_1)
	s_mov_b32 s46, exec_lo
	v_readlane_b32 s47, v103, 20
	s_and_b32 s47, s46, s47
	s_mov_b32 exec_lo, s47
	s_cbranch_execz .LBB26_220
; %bb.219:                              ;   in Loop: Header=BB26_3 Depth=1
	ds_load_b64 v[48:49], v78 offset:25856
	ds_load_b64 v[98:99], v65 offset:32656
	s_wait_dscnt 0x0
	v_fmac_f64_e32 v[2:3], v[48:49], v[98:99]
.LBB26_220:                             ;   in Loop: Header=BB26_3 Depth=1
	s_or_b32 exec_lo, exec_lo, s46
	s_delay_alu instid0(SALU_CYCLE_1) | instskip(SKIP_2) | instid1(SALU_CYCLE_1)
	s_mov_b32 s46, exec_lo
	v_readlane_b32 s47, v103, 21
	s_and_b32 s47, s46, s47
	;; [unrolled: 13-line block ×10, first 2 shown]
	s_mov_b32 exec_lo, s47
	s_cbranch_execnz .LBB26_1077
; %bb.237:                              ;   in Loop: Header=BB26_3 Depth=1
	s_or_b32 exec_lo, exec_lo, s46
	s_and_saveexec_b32 s46, s3
	s_cbranch_execnz .LBB26_1078
.LBB26_238:                             ;   in Loop: Header=BB26_3 Depth=1
	s_or_b32 exec_lo, exec_lo, s46
	s_and_saveexec_b32 s46, s15
	s_cbranch_execnz .LBB26_1079
.LBB26_239:                             ;   in Loop: Header=BB26_3 Depth=1
	s_or_b32 exec_lo, exec_lo, s46
	s_and_saveexec_b32 s46, s17
	s_cbranch_execnz .LBB26_1080
.LBB26_240:                             ;   in Loop: Header=BB26_3 Depth=1
	s_or_b32 exec_lo, exec_lo, s46
	s_and_saveexec_b32 s46, s2
	s_cbranch_execz .LBB26_242
.LBB26_241:                             ;   in Loop: Header=BB26_3 Depth=1
	ds_load_b64 v[48:49], v11 offset:32512
	ds_load_b64 v[98:99], v7 offset:32760
	s_wait_dscnt 0x0
	v_fmac_f64_e32 v[2:3], v[48:49], v[98:99]
.LBB26_242:                             ;   in Loop: Header=BB26_3 Depth=1
	s_or_b32 exec_lo, exec_lo, s46
.LBB26_243:                             ;   in Loop: Header=BB26_3 Depth=1
	s_delay_alu instid0(SALU_CYCLE_1) | instskip(NEXT) | instid1(SALU_CYCLE_1)
	s_or_b32 exec_lo, exec_lo, s61
	s_mov_b32 s46, exec_lo
	v_readlane_b32 s47, v103, 2
	s_and_b32 s47, s46, s47
	s_delay_alu instid0(SALU_CYCLE_1)
	s_mov_b32 exec_lo, s47
; %bb.244:                              ;   in Loop: Header=BB26_3 Depth=1
	v_xor_b32_e32 v49, 0x80000000, v3
	v_mov_b32_e32 v48, v2
	ds_store_b64 v82, v[48:49]
; %bb.245:                              ;   in Loop: Header=BB26_3 Depth=1
	s_or_b32 exec_lo, exec_lo, s46
	s_wait_loadcnt_dscnt 0x0
	s_barrier_signal -1
	s_barrier_wait -1
	s_mov_b32 s46, exec_lo
	v_readlane_b32 s47, v103, 3
	s_and_b32 s47, s46, s47
	s_delay_alu instid0(SALU_CYCLE_1)
	s_mov_b32 exec_lo, s47
	s_cbranch_execz .LBB26_247
; %bb.246:                              ;   in Loop: Header=BB26_3 Depth=1
	ds_load_b64 v[48:49], v78 offset:24320
	ds_load_b64 v[98:99], v82
	s_wait_dscnt 0x0
	v_fma_f64 v[2:3], -v[48:49], v[98:99], v[2:3]
.LBB26_247:                             ;   in Loop: Header=BB26_3 Depth=1
	s_or_b32 exec_lo, exec_lo, s46
	s_barrier_signal -1
	s_barrier_wait -1
	s_mov_b32 s46, exec_lo
	v_readlane_b32 s47, v103, 4
	s_and_b32 s47, s46, s47
	s_delay_alu instid0(SALU_CYCLE_1)
	s_mov_b32 exec_lo, s47
; %bb.248:                              ;   in Loop: Header=BB26_3 Depth=1
	v_xor_b32_e32 v49, 0x80000000, v3
	v_mov_b32_e32 v48, v2
	ds_store_b64 v82, v[48:49]
; %bb.249:                              ;   in Loop: Header=BB26_3 Depth=1
	s_or_b32 exec_lo, exec_lo, s46
	s_wait_dscnt 0x0
	s_barrier_signal -1
	s_barrier_wait -1
	s_mov_b32 s46, exec_lo
	v_readlane_b32 s47, v103, 5
	s_and_b32 s47, s46, s47
	s_delay_alu instid0(SALU_CYCLE_1)
	s_mov_b32 exec_lo, s47
	s_cbranch_execz .LBB26_251
; %bb.250:                              ;   in Loop: Header=BB26_3 Depth=1
	ds_load_b64 v[48:49], v78 offset:23808
	ds_load_b64 v[98:99], v82
	s_wait_dscnt 0x0
	v_fma_f64 v[2:3], -v[48:49], v[98:99], v[2:3]
.LBB26_251:                             ;   in Loop: Header=BB26_3 Depth=1
	s_or_b32 exec_lo, exec_lo, s46
	s_barrier_signal -1
	s_barrier_wait -1
	s_mov_b32 s46, exec_lo
	v_readlane_b32 s47, v103, 6
	s_and_b32 s47, s46, s47
	s_delay_alu instid0(SALU_CYCLE_1)
	s_mov_b32 exec_lo, s47
; %bb.252:                              ;   in Loop: Header=BB26_3 Depth=1
	v_xor_b32_e32 v49, 0x80000000, v3
	v_mov_b32_e32 v48, v2
	ds_store_b64 v82, v[48:49]
; %bb.253:                              ;   in Loop: Header=BB26_3 Depth=1
	s_or_b32 exec_lo, exec_lo, s46
	s_wait_dscnt 0x0
	;; [unrolled: 29-line block ×3, first 2 shown]
	s_barrier_signal -1
	s_barrier_wait -1
	s_and_saveexec_b32 s46, s48
	s_cbranch_execz .LBB26_259
; %bb.258:                              ;   in Loop: Header=BB26_3 Depth=1
	ds_load_b64 v[48:49], v78 offset:22784
	ds_load_b64 v[98:99], v82
	s_wait_dscnt 0x0
	v_fma_f64 v[2:3], -v[48:49], v[98:99], v[2:3]
.LBB26_259:                             ;   in Loop: Header=BB26_3 Depth=1
	s_or_b32 exec_lo, exec_lo, s46
	s_barrier_signal -1
	s_barrier_wait -1
	s_and_saveexec_b32 s46, s49
; %bb.260:                              ;   in Loop: Header=BB26_3 Depth=1
	s_delay_alu instid0(VALU_DEP_1) | instskip(NEXT) | instid1(VALU_DEP_2)
	v_xor_b32_e32 v49, 0x80000000, v3
	v_mov_b32_e32 v48, v2
	ds_store_b64 v82, v[48:49]
; %bb.261:                              ;   in Loop: Header=BB26_3 Depth=1
	s_or_b32 exec_lo, exec_lo, s46
	s_wait_dscnt 0x0
	s_barrier_signal -1
	s_barrier_wait -1
	s_and_saveexec_b32 s46, s50
	s_cbranch_execz .LBB26_263
; %bb.262:                              ;   in Loop: Header=BB26_3 Depth=1
	ds_load_b64 v[48:49], v78 offset:22272
	ds_load_b64 v[98:99], v82
	s_wait_dscnt 0x0
	v_fma_f64 v[2:3], -v[48:49], v[98:99], v[2:3]
.LBB26_263:                             ;   in Loop: Header=BB26_3 Depth=1
	s_or_b32 exec_lo, exec_lo, s46
	s_barrier_signal -1
	s_barrier_wait -1
	s_and_saveexec_b32 s46, s51
; %bb.264:                              ;   in Loop: Header=BB26_3 Depth=1
	s_delay_alu instid0(VALU_DEP_1) | instskip(NEXT) | instid1(VALU_DEP_2)
	v_xor_b32_e32 v49, 0x80000000, v3
	v_mov_b32_e32 v48, v2
	ds_store_b64 v82, v[48:49]
; %bb.265:                              ;   in Loop: Header=BB26_3 Depth=1
	s_or_b32 exec_lo, exec_lo, s46
	s_wait_dscnt 0x0
	;; [unrolled: 22-line block ×12, first 2 shown]
	s_barrier_signal -1
	s_barrier_wait -1
	s_barrier_signal -1
	s_barrier_wait -1
	s_and_saveexec_b32 s46, s4
; %bb.306:                              ;   in Loop: Header=BB26_3 Depth=1
	ds_store_b64 v83, v[2:3] offset:32512
; %bb.307:                              ;   in Loop: Header=BB26_3 Depth=1
	s_or_b32 exec_lo, exec_lo, s46
	s_wait_dscnt 0x0
	s_barrier_signal -1
	s_barrier_wait -1
	s_barrier_signal -1
	s_barrier_wait -1
	s_and_saveexec_b32 s57, s43
	s_cbranch_execz .LBB26_309
; %bb.308:                              ;   in Loop: Header=BB26_3 Depth=1
	ds_load_b64 v[2:3], v50 offset:24832
	s_wait_dscnt 0x0
	ds_store_b64 v51, v[2:3] offset:16768
	ds_load_b64 v[2:3], v50 offset:24840
	s_wait_dscnt 0x0
	ds_store_b64 v51, v[2:3] offset:17280
	;; [unrolled: 3-line block ×16, first 2 shown]
.LBB26_309:                             ;   in Loop: Header=BB26_3 Depth=1
	s_or_b32 exec_lo, exec_lo, s57
	s_wait_dscnt 0x0
	s_barrier_signal -1
	s_barrier_wait -1
	s_and_saveexec_b32 s46, s10
	s_cbranch_execz .LBB26_311
; %bb.310:                              ;   in Loop: Header=BB26_3 Depth=1
	ds_load_b64 v[2:3], v7 offset:24432
	v_mov_b32_e32 v0, v7
	ds_store_b64 v7, v[34:35] offset:24440
	s_wait_dscnt 0x1
	ds_store_b128 v7, v[0:3] offset:23920
.LBB26_311:                             ;   in Loop: Header=BB26_3 Depth=1
	s_or_b32 exec_lo, exec_lo, s46
	v_mov_b64_e32 v[2:3], 0
	s_wait_dscnt 0x0
	s_barrier_signal -1
	s_barrier_wait -1
	global_wb scope:SCOPE_DEV
	s_wait_storecnt 0x0
	global_inv scope:SCOPE_DEV
	s_and_saveexec_b32 s46, s0
	s_cbranch_execz .LBB26_315
; %bb.312:                              ;   in Loop: Header=BB26_3 Depth=1
	ds_load_b64 v[2:3], v72 offset:23904
	ds_load_b64 v[48:49], v57 offset:24432
	s_wait_dscnt 0x0
	v_fma_f64 v[2:3], v[2:3], v[48:49], 0
	s_and_saveexec_b32 s47, s11
	s_cbranch_execz .LBB26_314
; %bb.313:                              ;   in Loop: Header=BB26_3 Depth=1
	ds_load_b64 v[48:49], v11 offset:24416
	ds_load_b64 v[98:99], v7 offset:24440
	s_wait_dscnt 0x0
	v_fmac_f64_e32 v[2:3], v[48:49], v[98:99]
.LBB26_314:                             ;   in Loop: Header=BB26_3 Depth=1
	s_or_b32 exec_lo, exec_lo, s47
.LBB26_315:                             ;   in Loop: Header=BB26_3 Depth=1
	s_delay_alu instid0(SALU_CYCLE_1)
	s_or_b32 exec_lo, exec_lo, s46
	s_and_saveexec_b32 s46, s90
; %bb.316:                              ;   in Loop: Header=BB26_3 Depth=1
	s_delay_alu instid0(VALU_DEP_1) | instskip(NEXT) | instid1(VALU_DEP_2)
	v_xor_b32_e32 v49, 0x80000000, v3
	v_mov_b32_e32 v48, v2
	ds_store_b64 v73, v[48:49]
; %bb.317:                              ;   in Loop: Header=BB26_3 Depth=1
	s_or_b32 exec_lo, exec_lo, s46
	s_wait_loadcnt_dscnt 0x0
	s_barrier_signal -1
	s_barrier_wait -1
	s_and_saveexec_b32 s46, s91
	s_cbranch_execz .LBB26_319
; %bb.318:                              ;   in Loop: Header=BB26_3 Depth=1
	ds_load_b64 v[48:49], v7 offset:23392
	ds_load_b64 v[98:99], v73
	s_wait_dscnt 0x0
	v_fma_f64 v[2:3], -v[48:49], v[98:99], v[2:3]
.LBB26_319:                             ;   in Loop: Header=BB26_3 Depth=1
	s_or_b32 exec_lo, exec_lo, s46
	s_barrier_signal -1
	s_barrier_wait -1
	s_and_saveexec_b32 s46, s91
; %bb.320:                              ;   in Loop: Header=BB26_3 Depth=1
	s_delay_alu instid0(VALU_DEP_1) | instskip(NEXT) | instid1(VALU_DEP_2)
	v_xor_b32_e32 v49, 0x80000000, v3
	v_mov_b32_e32 v48, v2
	ds_store_b64 v73, v[48:49]
; %bb.321:                              ;   in Loop: Header=BB26_3 Depth=1
	s_or_b32 exec_lo, exec_lo, s46
	s_wait_dscnt 0x0
	s_barrier_signal -1
	s_barrier_wait -1
	s_barrier_signal -1
	s_barrier_wait -1
	s_and_saveexec_b32 s46, s0
; %bb.322:                              ;   in Loop: Header=BB26_3 Depth=1
	ds_store_b64 v75, v[2:3] offset:24416
; %bb.323:                              ;   in Loop: Header=BB26_3 Depth=1
	s_or_b32 exec_lo, exec_lo, s46
	s_wait_dscnt 0x0
	s_barrier_signal -1
	s_barrier_wait -1
	s_barrier_signal -1
	s_barrier_wait -1
	s_and_saveexec_b32 s46, s92
	s_cbranch_execz .LBB26_325
; %bb.324:                              ;   in Loop: Header=BB26_3 Depth=1
	ds_load_b64 v[2:3], v50 offset:23904
	s_wait_dscnt 0x0
	ds_store_b64 v11, v[2:3] offset:22896
	ds_load_b64 v[2:3], v50 offset:23912
	s_wait_dscnt 0x0
	ds_store_b64 v11, v[2:3] offset:23408
.LBB26_325:                             ;   in Loop: Header=BB26_3 Depth=1
	s_or_b32 exec_lo, exec_lo, s46
	s_wait_dscnt 0x0
	s_barrier_signal -1
	s_barrier_wait -1
	s_and_saveexec_b32 s46, s10
	s_cbranch_execz .LBB26_327
; %bb.326:                              ;   in Loop: Header=BB26_3 Depth=1
	ds_load_b64 v[2:3], v7 offset:23392
	v_mov_b32_e32 v0, v7
	ds_store_b64 v7, v[34:35] offset:23400
	s_wait_dscnt 0x1
	ds_store_b128 v7, v[0:3] offset:22880
.LBB26_327:                             ;   in Loop: Header=BB26_3 Depth=1
	s_or_b32 exec_lo, exec_lo, s46
	v_mov_b64_e32 v[2:3], 0
	s_wait_dscnt 0x0
	s_barrier_signal -1
	s_barrier_wait -1
	global_wb scope:SCOPE_DEV
	s_wait_storecnt 0x0
	global_inv scope:SCOPE_DEV
	s_and_saveexec_b32 s57, s2
	s_cbranch_execz .LBB26_333
; %bb.328:                              ;   in Loop: Header=BB26_3 Depth=1
	ds_load_b64 v[2:3], v74 offset:22848
	ds_load_b64 v[48:49], v59 offset:24416
	s_wait_dscnt 0x0
	v_fma_f64 v[2:3], v[2:3], v[48:49], 0
	s_and_saveexec_b32 s46, s12
	s_cbranch_execnz .LBB26_1081
; %bb.329:                              ;   in Loop: Header=BB26_3 Depth=1
	s_or_b32 exec_lo, exec_lo, s46
	s_and_saveexec_b32 s46, s13
	s_cbranch_execnz .LBB26_1082
.LBB26_330:                             ;   in Loop: Header=BB26_3 Depth=1
	s_or_b32 exec_lo, exec_lo, s46
	s_and_saveexec_b32 s46, s0
	s_cbranch_execz .LBB26_332
.LBB26_331:                             ;   in Loop: Header=BB26_3 Depth=1
	ds_load_b64 v[48:49], v51 offset:24384
	ds_load_b64 v[98:99], v7 offset:24440
	s_wait_dscnt 0x0
	v_fmac_f64_e32 v[2:3], v[48:49], v[98:99]
.LBB26_332:                             ;   in Loop: Header=BB26_3 Depth=1
	s_or_b32 exec_lo, exec_lo, s46
.LBB26_333:                             ;   in Loop: Header=BB26_3 Depth=1
	s_delay_alu instid0(SALU_CYCLE_1)
	s_or_b32 exec_lo, exec_lo, s57
	s_and_saveexec_b32 s46, s93
; %bb.334:                              ;   in Loop: Header=BB26_3 Depth=1
	s_delay_alu instid0(VALU_DEP_1) | instskip(NEXT) | instid1(VALU_DEP_2)
	v_xor_b32_e32 v49, 0x80000000, v3
	v_mov_b32_e32 v48, v2
	ds_store_b64 v77, v[48:49]
; %bb.335:                              ;   in Loop: Header=BB26_3 Depth=1
	s_or_b32 exec_lo, exec_lo, s46
	s_wait_loadcnt_dscnt 0x0
	s_barrier_signal -1
	s_barrier_wait -1
	s_and_saveexec_b32 s46, s94
	s_cbranch_execz .LBB26_337
; %bb.336:                              ;   in Loop: Header=BB26_3 Depth=1
	ds_load_b64 v[48:49], v74 offset:22336
	ds_load_b64 v[98:99], v77
	s_wait_dscnt 0x0
	v_fma_f64 v[2:3], -v[48:49], v[98:99], v[2:3]
.LBB26_337:                             ;   in Loop: Header=BB26_3 Depth=1
	s_or_b32 exec_lo, exec_lo, s46
	s_barrier_signal -1
	s_barrier_wait -1
	s_and_saveexec_b32 s46, s95
; %bb.338:                              ;   in Loop: Header=BB26_3 Depth=1
	s_delay_alu instid0(VALU_DEP_1) | instskip(NEXT) | instid1(VALU_DEP_2)
	v_xor_b32_e32 v49, 0x80000000, v3
	v_mov_b32_e32 v48, v2
	ds_store_b64 v77, v[48:49]
; %bb.339:                              ;   in Loop: Header=BB26_3 Depth=1
	s_or_b32 exec_lo, exec_lo, s46
	s_wait_dscnt 0x0
	s_barrier_signal -1
	s_barrier_wait -1
	s_and_saveexec_b32 s46, s96
	s_cbranch_execz .LBB26_341
; %bb.340:                              ;   in Loop: Header=BB26_3 Depth=1
	ds_load_b64 v[48:49], v74 offset:21824
	ds_load_b64 v[98:99], v77
	s_wait_dscnt 0x0
	v_fma_f64 v[2:3], -v[48:49], v[98:99], v[2:3]
.LBB26_341:                             ;   in Loop: Header=BB26_3 Depth=1
	s_or_b32 exec_lo, exec_lo, s46
	s_barrier_signal -1
	s_barrier_wait -1
	s_and_saveexec_b32 s46, s97
; %bb.342:                              ;   in Loop: Header=BB26_3 Depth=1
	s_delay_alu instid0(VALU_DEP_1) | instskip(NEXT) | instid1(VALU_DEP_2)
	v_xor_b32_e32 v49, 0x80000000, v3
	v_mov_b32_e32 v48, v2
	ds_store_b64 v77, v[48:49]
; %bb.343:                              ;   in Loop: Header=BB26_3 Depth=1
	s_or_b32 exec_lo, exec_lo, s46
	s_wait_dscnt 0x0
	;; [unrolled: 22-line block ×3, first 2 shown]
	s_barrier_signal -1
	s_barrier_wait -1
	s_barrier_signal -1
	s_barrier_wait -1
	s_and_saveexec_b32 s46, s2
; %bb.348:                              ;   in Loop: Header=BB26_3 Depth=1
	ds_store_b64 v79, v[2:3] offset:24384
; %bb.349:                              ;   in Loop: Header=BB26_3 Depth=1
	s_or_b32 exec_lo, exec_lo, s46
	s_wait_dscnt 0x0
	s_barrier_signal -1
	s_barrier_wait -1
	s_barrier_signal -1
	s_barrier_wait -1
	s_and_saveexec_b32 s46, s99
	s_cbranch_execz .LBB26_351
; %bb.350:                              ;   in Loop: Header=BB26_3 Depth=1
	ds_load_b64 v[2:3], v52 offset:22848
	s_wait_dscnt 0x0
	ds_store_b64 v53, v[2:3] offset:20832
	ds_load_b64 v[2:3], v52 offset:22856
	s_wait_dscnt 0x0
	ds_store_b64 v53, v[2:3] offset:21344
	;; [unrolled: 3-line block ×4, first 2 shown]
.LBB26_351:                             ;   in Loop: Header=BB26_3 Depth=1
	s_or_b32 exec_lo, exec_lo, s46
	s_wait_dscnt 0x0
	s_barrier_signal -1
	s_barrier_wait -1
	s_and_saveexec_b32 s46, s10
	s_cbranch_execz .LBB26_353
; %bb.352:                              ;   in Loop: Header=BB26_3 Depth=1
	ds_load_b64 v[2:3], v7 offset:22352
	v_mov_b32_e32 v0, v7
	ds_store_b64 v7, v[34:35] offset:22360
	s_wait_dscnt 0x1
	ds_store_b128 v7, v[0:3] offset:21840
.LBB26_353:                             ;   in Loop: Header=BB26_3 Depth=1
	s_or_b32 exec_lo, exec_lo, s46
	v_mov_b64_e32 v[2:3], 0
	s_wait_dscnt 0x0
	s_barrier_signal -1
	s_barrier_wait -1
	global_wb scope:SCOPE_DEV
	s_wait_storecnt 0x0
	global_inv scope:SCOPE_DEV
	s_and_saveexec_b32 s46, s0
	s_cbranch_execz .LBB26_357
; %bb.354:                              ;   in Loop: Header=BB26_3 Depth=1
	ds_load_b64 v[2:3], v72 offset:21824
	ds_load_b64 v[48:49], v57 offset:22352
	s_wait_dscnt 0x0
	v_fma_f64 v[2:3], v[2:3], v[48:49], 0
	s_and_saveexec_b32 s47, s11
	s_cbranch_execz .LBB26_356
; %bb.355:                              ;   in Loop: Header=BB26_3 Depth=1
	ds_load_b64 v[48:49], v53 offset:22336
	ds_load_b64 v[98:99], v7 offset:22360
	s_wait_dscnt 0x0
	v_fmac_f64_e32 v[2:3], v[48:49], v[98:99]
.LBB26_356:                             ;   in Loop: Header=BB26_3 Depth=1
	s_or_b32 exec_lo, exec_lo, s47
.LBB26_357:                             ;   in Loop: Header=BB26_3 Depth=1
	s_delay_alu instid0(SALU_CYCLE_1)
	s_or_b32 exec_lo, exec_lo, s46
	s_and_saveexec_b32 s46, s90
; %bb.358:                              ;   in Loop: Header=BB26_3 Depth=1
	s_delay_alu instid0(VALU_DEP_1) | instskip(NEXT) | instid1(VALU_DEP_2)
	v_xor_b32_e32 v49, 0x80000000, v3
	v_mov_b32_e32 v48, v2
	ds_store_b64 v73, v[48:49]
; %bb.359:                              ;   in Loop: Header=BB26_3 Depth=1
	s_or_b32 exec_lo, exec_lo, s46
	s_wait_loadcnt_dscnt 0x0
	s_barrier_signal -1
	s_barrier_wait -1
	s_and_saveexec_b32 s46, s91
	s_cbranch_execz .LBB26_361
; %bb.360:                              ;   in Loop: Header=BB26_3 Depth=1
	ds_load_b64 v[48:49], v7 offset:21312
	ds_load_b64 v[98:99], v73
	s_wait_dscnt 0x0
	v_fma_f64 v[2:3], -v[48:49], v[98:99], v[2:3]
.LBB26_361:                             ;   in Loop: Header=BB26_3 Depth=1
	s_or_b32 exec_lo, exec_lo, s46
	s_barrier_signal -1
	s_barrier_wait -1
	s_and_saveexec_b32 s46, s91
; %bb.362:                              ;   in Loop: Header=BB26_3 Depth=1
	s_delay_alu instid0(VALU_DEP_1) | instskip(NEXT) | instid1(VALU_DEP_2)
	v_xor_b32_e32 v49, 0x80000000, v3
	v_mov_b32_e32 v48, v2
	ds_store_b64 v73, v[48:49]
; %bb.363:                              ;   in Loop: Header=BB26_3 Depth=1
	s_or_b32 exec_lo, exec_lo, s46
	s_wait_dscnt 0x0
	s_barrier_signal -1
	s_barrier_wait -1
	s_barrier_signal -1
	s_barrier_wait -1
	s_and_saveexec_b32 s46, s0
; %bb.364:                              ;   in Loop: Header=BB26_3 Depth=1
	ds_store_b64 v75, v[2:3] offset:22336
; %bb.365:                              ;   in Loop: Header=BB26_3 Depth=1
	s_or_b32 exec_lo, exec_lo, s46
	s_wait_dscnt 0x0
	s_barrier_signal -1
	s_barrier_wait -1
	s_barrier_signal -1
	s_barrier_wait -1
	s_and_saveexec_b32 s46, s92
	s_cbranch_execz .LBB26_367
; %bb.366:                              ;   in Loop: Header=BB26_3 Depth=1
	ds_load_b64 v[2:3], v54 offset:21824
	s_wait_dscnt 0x0
	ds_store_b64 v53, v[2:3] offset:20816
	ds_load_b64 v[2:3], v54 offset:21832
	s_wait_dscnt 0x0
	ds_store_b64 v53, v[2:3] offset:21328
.LBB26_367:                             ;   in Loop: Header=BB26_3 Depth=1
	s_or_b32 exec_lo, exec_lo, s46
	s_wait_dscnt 0x0
	s_barrier_signal -1
	s_barrier_wait -1
	s_and_saveexec_b32 s46, s10
	s_cbranch_execz .LBB26_369
; %bb.368:                              ;   in Loop: Header=BB26_3 Depth=1
	ds_load_b64 v[2:3], v7 offset:21312
	v_mov_b32_e32 v0, v7
	ds_store_b64 v7, v[34:35] offset:21320
	s_wait_dscnt 0x1
	ds_store_b128 v7, v[0:3] offset:20800
.LBB26_369:                             ;   in Loop: Header=BB26_3 Depth=1
	s_or_b32 exec_lo, exec_lo, s46
	v_mov_b64_e32 v[2:3], 0
	s_wait_dscnt 0x0
	s_barrier_signal -1
	s_barrier_wait -1
	global_wb scope:SCOPE_DEV
	s_wait_storecnt 0x0
	global_inv scope:SCOPE_DEV
	s_and_saveexec_b32 s57, s3
	s_cbranch_execz .LBB26_379
; %bb.370:                              ;   in Loop: Header=BB26_3 Depth=1
	ds_load_b64 v[2:3], v76 offset:20736
	ds_load_b64 v[48:49], v63 offset:24384
	s_wait_dscnt 0x0
	v_fma_f64 v[2:3], v[2:3], v[48:49], 0
	s_and_saveexec_b32 s46, s14
	s_cbranch_execnz .LBB26_1083
; %bb.371:                              ;   in Loop: Header=BB26_3 Depth=1
	s_or_b32 exec_lo, exec_lo, s46
	s_and_saveexec_b32 s46, s15
	s_cbranch_execnz .LBB26_1084
.LBB26_372:                             ;   in Loop: Header=BB26_3 Depth=1
	s_or_b32 exec_lo, exec_lo, s46
	s_and_saveexec_b32 s46, s16
	s_cbranch_execnz .LBB26_1085
.LBB26_373:                             ;   in Loop: Header=BB26_3 Depth=1
	s_or_b32 exec_lo, exec_lo, s46
	s_and_saveexec_b32 s46, s17
	s_cbranch_execnz .LBB26_1086
.LBB26_374:                             ;   in Loop: Header=BB26_3 Depth=1
	s_or_b32 exec_lo, exec_lo, s46
	s_and_saveexec_b32 s46, s18
	s_cbranch_execnz .LBB26_1087
.LBB26_375:                             ;   in Loop: Header=BB26_3 Depth=1
	s_or_b32 exec_lo, exec_lo, s46
	s_and_saveexec_b32 s46, s2
	s_cbranch_execnz .LBB26_1088
.LBB26_376:                             ;   in Loop: Header=BB26_3 Depth=1
	s_or_b32 exec_lo, exec_lo, s46
	s_and_saveexec_b32 s46, s13
	s_cbranch_execz .LBB26_378
.LBB26_377:                             ;   in Loop: Header=BB26_3 Depth=1
	ds_load_b64 v[48:49], v55 offset:24320
	ds_load_b64 v[98:99], v7 offset:24440
	s_wait_dscnt 0x0
	v_fmac_f64_e32 v[2:3], v[48:49], v[98:99]
.LBB26_378:                             ;   in Loop: Header=BB26_3 Depth=1
	s_or_b32 exec_lo, exec_lo, s46
.LBB26_379:                             ;   in Loop: Header=BB26_3 Depth=1
	s_delay_alu instid0(SALU_CYCLE_1)
	s_or_b32 exec_lo, exec_lo, s57
	s_and_saveexec_b32 s46, s100
; %bb.380:                              ;   in Loop: Header=BB26_3 Depth=1
	s_delay_alu instid0(VALU_DEP_1) | instskip(NEXT) | instid1(VALU_DEP_2)
	v_xor_b32_e32 v49, 0x80000000, v3
	v_mov_b32_e32 v48, v2
	ds_store_b64 v80, v[48:49]
; %bb.381:                              ;   in Loop: Header=BB26_3 Depth=1
	s_or_b32 exec_lo, exec_lo, s46
	s_wait_loadcnt_dscnt 0x0
	s_barrier_signal -1
	s_barrier_wait -1
	s_and_saveexec_b32 s46, s101
	s_cbranch_execz .LBB26_383
; %bb.382:                              ;   in Loop: Header=BB26_3 Depth=1
	ds_load_b64 v[48:49], v76 offset:20224
	ds_load_b64 v[98:99], v80
	s_wait_dscnt 0x0
	v_fma_f64 v[2:3], -v[48:49], v[98:99], v[2:3]
.LBB26_383:                             ;   in Loop: Header=BB26_3 Depth=1
	s_or_b32 exec_lo, exec_lo, s46
	s_barrier_signal -1
	s_barrier_wait -1
	s_and_saveexec_b32 s46, s102
; %bb.384:                              ;   in Loop: Header=BB26_3 Depth=1
	s_delay_alu instid0(VALU_DEP_1) | instskip(NEXT) | instid1(VALU_DEP_2)
	v_xor_b32_e32 v49, 0x80000000, v3
	v_mov_b32_e32 v48, v2
	ds_store_b64 v80, v[48:49]
; %bb.385:                              ;   in Loop: Header=BB26_3 Depth=1
	s_or_b32 exec_lo, exec_lo, s46
	s_wait_dscnt 0x0
	s_barrier_signal -1
	s_barrier_wait -1
	s_and_saveexec_b32 s46, s103
	s_cbranch_execz .LBB26_387
; %bb.386:                              ;   in Loop: Header=BB26_3 Depth=1
	ds_load_b64 v[48:49], v76 offset:19712
	ds_load_b64 v[98:99], v80
	s_wait_dscnt 0x0
	v_fma_f64 v[2:3], -v[48:49], v[98:99], v[2:3]
.LBB26_387:                             ;   in Loop: Header=BB26_3 Depth=1
	s_or_b32 exec_lo, exec_lo, s46
	s_barrier_signal -1
	s_barrier_wait -1
	s_and_saveexec_b32 s46, s104
; %bb.388:                              ;   in Loop: Header=BB26_3 Depth=1
	s_delay_alu instid0(VALU_DEP_1) | instskip(NEXT) | instid1(VALU_DEP_2)
	v_xor_b32_e32 v49, 0x80000000, v3
	v_mov_b32_e32 v48, v2
	ds_store_b64 v80, v[48:49]
; %bb.389:                              ;   in Loop: Header=BB26_3 Depth=1
	s_or_b32 exec_lo, exec_lo, s46
	s_wait_dscnt 0x0
	s_barrier_signal -1
	s_barrier_wait -1
	s_and_saveexec_b32 s46, vcc_hi
	s_cbranch_execz .LBB26_391
; %bb.390:                              ;   in Loop: Header=BB26_3 Depth=1
	ds_load_b64 v[48:49], v76 offset:19200
	ds_load_b64 v[98:99], v80
	s_wait_dscnt 0x0
	v_fma_f64 v[2:3], -v[48:49], v[98:99], v[2:3]
.LBB26_391:                             ;   in Loop: Header=BB26_3 Depth=1
	s_or_b32 exec_lo, exec_lo, s46
	s_barrier_signal -1
	s_barrier_wait -1
	s_and_saveexec_b32 s46, s31
; %bb.392:                              ;   in Loop: Header=BB26_3 Depth=1
	s_delay_alu instid0(VALU_DEP_1) | instskip(NEXT) | instid1(VALU_DEP_2)
	v_xor_b32_e32 v49, 0x80000000, v3
	v_mov_b32_e32 v48, v2
	ds_store_b64 v80, v[48:49]
; %bb.393:                              ;   in Loop: Header=BB26_3 Depth=1
	s_or_b32 exec_lo, exec_lo, s46
	s_wait_dscnt 0x0
	s_barrier_signal -1
	s_barrier_wait -1
	s_and_saveexec_b32 s46, s33
	s_cbranch_execz .LBB26_395
; %bb.394:                              ;   in Loop: Header=BB26_3 Depth=1
	ds_load_b64 v[48:49], v76 offset:18688
	ds_load_b64 v[98:99], v80
	s_wait_dscnt 0x0
	v_fma_f64 v[2:3], -v[48:49], v[98:99], v[2:3]
.LBB26_395:                             ;   in Loop: Header=BB26_3 Depth=1
	s_or_b32 exec_lo, exec_lo, s46
	s_barrier_signal -1
	s_barrier_wait -1
	s_and_saveexec_b32 s46, s34
; %bb.396:                              ;   in Loop: Header=BB26_3 Depth=1
	s_delay_alu instid0(VALU_DEP_1) | instskip(NEXT) | instid1(VALU_DEP_2)
	v_xor_b32_e32 v49, 0x80000000, v3
	v_mov_b32_e32 v48, v2
	ds_store_b64 v80, v[48:49]
; %bb.397:                              ;   in Loop: Header=BB26_3 Depth=1
	s_or_b32 exec_lo, exec_lo, s46
	s_wait_dscnt 0x0
	s_barrier_signal -1
	s_barrier_wait -1
	s_and_saveexec_b32 s46, s35
	s_cbranch_execz .LBB26_399
; %bb.398:                              ;   in Loop: Header=BB26_3 Depth=1
	ds_load_b64 v[48:49], v76 offset:18176
	ds_load_b64 v[98:99], v80
	s_wait_dscnt 0x0
	v_fma_f64 v[2:3], -v[48:49], v[98:99], v[2:3]
.LBB26_399:                             ;   in Loop: Header=BB26_3 Depth=1
	s_or_b32 exec_lo, exec_lo, s46
	s_barrier_signal -1
	s_barrier_wait -1
	s_and_saveexec_b32 s46, s36
; %bb.400:                              ;   in Loop: Header=BB26_3 Depth=1
	s_delay_alu instid0(VALU_DEP_1) | instskip(NEXT) | instid1(VALU_DEP_2)
	v_xor_b32_e32 v49, 0x80000000, v3
	v_mov_b32_e32 v48, v2
	ds_store_b64 v80, v[48:49]
; %bb.401:                              ;   in Loop: Header=BB26_3 Depth=1
	s_or_b32 exec_lo, exec_lo, s46
	s_wait_dscnt 0x0
	s_barrier_signal -1
	s_barrier_wait -1
	s_and_saveexec_b32 s46, s37
	s_cbranch_execz .LBB26_403
; %bb.402:                              ;   in Loop: Header=BB26_3 Depth=1
	ds_load_b64 v[48:49], v76 offset:17664
	ds_load_b64 v[98:99], v80
	s_wait_dscnt 0x0
	v_fma_f64 v[2:3], -v[48:49], v[98:99], v[2:3]
.LBB26_403:                             ;   in Loop: Header=BB26_3 Depth=1
	s_or_b32 exec_lo, exec_lo, s46
	s_barrier_signal -1
	s_barrier_wait -1
	s_and_saveexec_b32 s46, s38
; %bb.404:                              ;   in Loop: Header=BB26_3 Depth=1
	s_delay_alu instid0(VALU_DEP_1) | instskip(NEXT) | instid1(VALU_DEP_2)
	v_xor_b32_e32 v49, 0x80000000, v3
	v_mov_b32_e32 v48, v2
	ds_store_b64 v80, v[48:49]
; %bb.405:                              ;   in Loop: Header=BB26_3 Depth=1
	s_or_b32 exec_lo, exec_lo, s46
	s_wait_dscnt 0x0
	s_barrier_signal -1
	s_barrier_wait -1
	s_and_saveexec_b32 s46, s39
	s_cbranch_execz .LBB26_407
; %bb.406:                              ;   in Loop: Header=BB26_3 Depth=1
	ds_load_b64 v[48:49], v7 offset:17152
	ds_load_b64 v[98:99], v80
	s_wait_dscnt 0x0
	v_fma_f64 v[2:3], -v[48:49], v[98:99], v[2:3]
.LBB26_407:                             ;   in Loop: Header=BB26_3 Depth=1
	s_or_b32 exec_lo, exec_lo, s46
	s_barrier_signal -1
	s_barrier_wait -1
	s_and_saveexec_b32 s46, s39
; %bb.408:                              ;   in Loop: Header=BB26_3 Depth=1
	s_delay_alu instid0(VALU_DEP_1) | instskip(NEXT) | instid1(VALU_DEP_2)
	v_xor_b32_e32 v49, 0x80000000, v3
	v_mov_b32_e32 v48, v2
	ds_store_b64 v80, v[48:49]
; %bb.409:                              ;   in Loop: Header=BB26_3 Depth=1
	s_or_b32 exec_lo, exec_lo, s46
	s_wait_dscnt 0x0
	s_barrier_signal -1
	s_barrier_wait -1
	s_barrier_signal -1
	s_barrier_wait -1
	s_and_saveexec_b32 s46, s3
; %bb.410:                              ;   in Loop: Header=BB26_3 Depth=1
	ds_store_b64 v81, v[2:3] offset:24320
; %bb.411:                              ;   in Loop: Header=BB26_3 Depth=1
	s_or_b32 exec_lo, exec_lo, s46
	s_wait_dscnt 0x0
	s_barrier_signal -1
	s_barrier_wait -1
	s_barrier_signal -1
	s_barrier_wait -1
	s_and_saveexec_b32 s46, s40
	s_cbranch_execz .LBB26_413
; %bb.412:                              ;   in Loop: Header=BB26_3 Depth=1
	ds_load_b64 v[2:3], v56 offset:20736
	s_wait_dscnt 0x0
	ds_store_b64 v58, v[2:3] offset:16704
	ds_load_b64 v[2:3], v56 offset:20744
	s_wait_dscnt 0x0
	ds_store_b64 v58, v[2:3] offset:17216
	;; [unrolled: 3-line block ×8, first 2 shown]
.LBB26_413:                             ;   in Loop: Header=BB26_3 Depth=1
	s_or_b32 exec_lo, exec_lo, s46
	s_wait_dscnt 0x0
	s_barrier_signal -1
	s_barrier_wait -1
	s_and_saveexec_b32 s46, s10
	s_cbranch_execz .LBB26_415
; %bb.414:                              ;   in Loop: Header=BB26_3 Depth=1
	ds_load_b64 v[2:3], v7 offset:20272
	v_mov_b32_e32 v0, v7
	ds_store_b64 v7, v[34:35] offset:20280
	s_wait_dscnt 0x1
	ds_store_b128 v7, v[0:3] offset:19760
.LBB26_415:                             ;   in Loop: Header=BB26_3 Depth=1
	s_or_b32 exec_lo, exec_lo, s46
	v_mov_b64_e32 v[2:3], 0
	s_wait_dscnt 0x0
	s_barrier_signal -1
	s_barrier_wait -1
	global_wb scope:SCOPE_DEV
	s_wait_storecnt 0x0
	global_inv scope:SCOPE_DEV
	s_and_saveexec_b32 s46, s0
	s_cbranch_execz .LBB26_419
; %bb.416:                              ;   in Loop: Header=BB26_3 Depth=1
	ds_load_b64 v[2:3], v72 offset:19744
	ds_load_b64 v[48:49], v57 offset:20272
	s_wait_dscnt 0x0
	v_fma_f64 v[2:3], v[2:3], v[48:49], 0
	s_and_saveexec_b32 s47, s11
	s_cbranch_execz .LBB26_418
; %bb.417:                              ;   in Loop: Header=BB26_3 Depth=1
	ds_load_b64 v[48:49], v58 offset:20256
	ds_load_b64 v[98:99], v7 offset:20280
	s_wait_dscnt 0x0
	v_fmac_f64_e32 v[2:3], v[48:49], v[98:99]
.LBB26_418:                             ;   in Loop: Header=BB26_3 Depth=1
	s_or_b32 exec_lo, exec_lo, s47
.LBB26_419:                             ;   in Loop: Header=BB26_3 Depth=1
	s_delay_alu instid0(SALU_CYCLE_1)
	s_or_b32 exec_lo, exec_lo, s46
	s_and_saveexec_b32 s46, s90
; %bb.420:                              ;   in Loop: Header=BB26_3 Depth=1
	s_delay_alu instid0(VALU_DEP_1) | instskip(NEXT) | instid1(VALU_DEP_2)
	v_xor_b32_e32 v49, 0x80000000, v3
	v_mov_b32_e32 v48, v2
	ds_store_b64 v73, v[48:49]
; %bb.421:                              ;   in Loop: Header=BB26_3 Depth=1
	s_or_b32 exec_lo, exec_lo, s46
	s_wait_loadcnt_dscnt 0x0
	s_barrier_signal -1
	s_barrier_wait -1
	s_and_saveexec_b32 s46, s91
	s_cbranch_execz .LBB26_423
; %bb.422:                              ;   in Loop: Header=BB26_3 Depth=1
	ds_load_b64 v[48:49], v7 offset:19232
	ds_load_b64 v[98:99], v73
	s_wait_dscnt 0x0
	v_fma_f64 v[2:3], -v[48:49], v[98:99], v[2:3]
.LBB26_423:                             ;   in Loop: Header=BB26_3 Depth=1
	s_or_b32 exec_lo, exec_lo, s46
	s_barrier_signal -1
	s_barrier_wait -1
	s_and_saveexec_b32 s46, s91
; %bb.424:                              ;   in Loop: Header=BB26_3 Depth=1
	s_delay_alu instid0(VALU_DEP_1) | instskip(NEXT) | instid1(VALU_DEP_2)
	v_xor_b32_e32 v49, 0x80000000, v3
	v_mov_b32_e32 v48, v2
	ds_store_b64 v73, v[48:49]
; %bb.425:                              ;   in Loop: Header=BB26_3 Depth=1
	s_or_b32 exec_lo, exec_lo, s46
	s_wait_dscnt 0x0
	s_barrier_signal -1
	s_barrier_wait -1
	s_barrier_signal -1
	s_barrier_wait -1
	s_and_saveexec_b32 s46, s0
; %bb.426:                              ;   in Loop: Header=BB26_3 Depth=1
	ds_store_b64 v75, v[2:3] offset:20256
; %bb.427:                              ;   in Loop: Header=BB26_3 Depth=1
	s_or_b32 exec_lo, exec_lo, s46
	s_wait_dscnt 0x0
	s_barrier_signal -1
	s_barrier_wait -1
	s_barrier_signal -1
	s_barrier_wait -1
	s_and_saveexec_b32 s46, s92
	s_cbranch_execz .LBB26_429
; %bb.428:                              ;   in Loop: Header=BB26_3 Depth=1
	ds_load_b64 v[2:3], v60 offset:19744
	s_wait_dscnt 0x0
	ds_store_b64 v58, v[2:3] offset:18736
	ds_load_b64 v[2:3], v60 offset:19752
	s_wait_dscnt 0x0
	ds_store_b64 v58, v[2:3] offset:19248
.LBB26_429:                             ;   in Loop: Header=BB26_3 Depth=1
	s_or_b32 exec_lo, exec_lo, s46
	s_wait_dscnt 0x0
	s_barrier_signal -1
	s_barrier_wait -1
	s_and_saveexec_b32 s46, s10
	s_cbranch_execz .LBB26_431
; %bb.430:                              ;   in Loop: Header=BB26_3 Depth=1
	ds_load_b64 v[2:3], v7 offset:19232
	v_mov_b32_e32 v0, v7
	ds_store_b64 v7, v[34:35] offset:19240
	s_wait_dscnt 0x1
	ds_store_b128 v7, v[0:3] offset:18720
.LBB26_431:                             ;   in Loop: Header=BB26_3 Depth=1
	s_or_b32 exec_lo, exec_lo, s46
	v_mov_b64_e32 v[2:3], 0
	s_wait_dscnt 0x0
	s_barrier_signal -1
	s_barrier_wait -1
	global_wb scope:SCOPE_DEV
	s_wait_storecnt 0x0
	global_inv scope:SCOPE_DEV
	s_and_saveexec_b32 s57, s2
	s_cbranch_execz .LBB26_437
; %bb.432:                              ;   in Loop: Header=BB26_3 Depth=1
	ds_load_b64 v[2:3], v74 offset:18688
	ds_load_b64 v[48:49], v59 offset:20256
	s_wait_dscnt 0x0
	v_fma_f64 v[2:3], v[2:3], v[48:49], 0
	s_and_saveexec_b32 s46, s12
	s_cbranch_execnz .LBB26_1089
; %bb.433:                              ;   in Loop: Header=BB26_3 Depth=1
	s_or_b32 exec_lo, exec_lo, s46
	s_and_saveexec_b32 s46, s13
	s_cbranch_execnz .LBB26_1090
.LBB26_434:                             ;   in Loop: Header=BB26_3 Depth=1
	s_or_b32 exec_lo, exec_lo, s46
	s_and_saveexec_b32 s46, s0
	s_cbranch_execz .LBB26_436
.LBB26_435:                             ;   in Loop: Header=BB26_3 Depth=1
	ds_load_b64 v[48:49], v62 offset:20224
	ds_load_b64 v[98:99], v7 offset:20280
	s_wait_dscnt 0x0
	v_fmac_f64_e32 v[2:3], v[48:49], v[98:99]
.LBB26_436:                             ;   in Loop: Header=BB26_3 Depth=1
	s_or_b32 exec_lo, exec_lo, s46
.LBB26_437:                             ;   in Loop: Header=BB26_3 Depth=1
	s_delay_alu instid0(SALU_CYCLE_1)
	s_or_b32 exec_lo, exec_lo, s57
	s_and_saveexec_b32 s46, s93
; %bb.438:                              ;   in Loop: Header=BB26_3 Depth=1
	s_delay_alu instid0(VALU_DEP_1) | instskip(NEXT) | instid1(VALU_DEP_2)
	v_xor_b32_e32 v49, 0x80000000, v3
	v_mov_b32_e32 v48, v2
	ds_store_b64 v77, v[48:49]
; %bb.439:                              ;   in Loop: Header=BB26_3 Depth=1
	s_or_b32 exec_lo, exec_lo, s46
	s_wait_loadcnt_dscnt 0x0
	s_barrier_signal -1
	s_barrier_wait -1
	s_and_saveexec_b32 s46, s94
	s_cbranch_execz .LBB26_441
; %bb.440:                              ;   in Loop: Header=BB26_3 Depth=1
	ds_load_b64 v[48:49], v74 offset:18176
	ds_load_b64 v[98:99], v77
	s_wait_dscnt 0x0
	v_fma_f64 v[2:3], -v[48:49], v[98:99], v[2:3]
.LBB26_441:                             ;   in Loop: Header=BB26_3 Depth=1
	s_or_b32 exec_lo, exec_lo, s46
	s_barrier_signal -1
	s_barrier_wait -1
	s_and_saveexec_b32 s46, s95
; %bb.442:                              ;   in Loop: Header=BB26_3 Depth=1
	s_delay_alu instid0(VALU_DEP_1) | instskip(NEXT) | instid1(VALU_DEP_2)
	v_xor_b32_e32 v49, 0x80000000, v3
	v_mov_b32_e32 v48, v2
	ds_store_b64 v77, v[48:49]
; %bb.443:                              ;   in Loop: Header=BB26_3 Depth=1
	s_or_b32 exec_lo, exec_lo, s46
	s_wait_dscnt 0x0
	s_barrier_signal -1
	s_barrier_wait -1
	s_and_saveexec_b32 s46, s96
	s_cbranch_execz .LBB26_445
; %bb.444:                              ;   in Loop: Header=BB26_3 Depth=1
	ds_load_b64 v[48:49], v74 offset:17664
	ds_load_b64 v[98:99], v77
	s_wait_dscnt 0x0
	v_fma_f64 v[2:3], -v[48:49], v[98:99], v[2:3]
.LBB26_445:                             ;   in Loop: Header=BB26_3 Depth=1
	s_or_b32 exec_lo, exec_lo, s46
	s_barrier_signal -1
	s_barrier_wait -1
	s_and_saveexec_b32 s46, s97
; %bb.446:                              ;   in Loop: Header=BB26_3 Depth=1
	s_delay_alu instid0(VALU_DEP_1) | instskip(NEXT) | instid1(VALU_DEP_2)
	v_xor_b32_e32 v49, 0x80000000, v3
	v_mov_b32_e32 v48, v2
	ds_store_b64 v77, v[48:49]
; %bb.447:                              ;   in Loop: Header=BB26_3 Depth=1
	s_or_b32 exec_lo, exec_lo, s46
	s_wait_dscnt 0x0
	;; [unrolled: 22-line block ×3, first 2 shown]
	s_barrier_signal -1
	s_barrier_wait -1
	s_barrier_signal -1
	s_barrier_wait -1
	s_and_saveexec_b32 s46, s2
; %bb.452:                              ;   in Loop: Header=BB26_3 Depth=1
	ds_store_b64 v79, v[2:3] offset:20224
; %bb.453:                              ;   in Loop: Header=BB26_3 Depth=1
	s_or_b32 exec_lo, exec_lo, s46
	s_wait_dscnt 0x0
	s_barrier_signal -1
	s_barrier_wait -1
	s_barrier_signal -1
	s_barrier_wait -1
	s_and_saveexec_b32 s46, s99
	s_cbranch_execz .LBB26_455
; %bb.454:                              ;   in Loop: Header=BB26_3 Depth=1
	ds_load_b64 v[2:3], v67 offset:18688
	s_wait_dscnt 0x0
	ds_store_b64 v68, v[2:3] offset:16672
	ds_load_b64 v[2:3], v67 offset:18696
	s_wait_dscnt 0x0
	ds_store_b64 v68, v[2:3] offset:17184
	;; [unrolled: 3-line block ×4, first 2 shown]
.LBB26_455:                             ;   in Loop: Header=BB26_3 Depth=1
	s_or_b32 exec_lo, exec_lo, s46
	s_wait_dscnt 0x0
	s_barrier_signal -1
	s_barrier_wait -1
	s_and_saveexec_b32 s46, s10
	s_cbranch_execz .LBB26_457
; %bb.456:                              ;   in Loop: Header=BB26_3 Depth=1
	ds_load_b64 v[2:3], v7 offset:18192
	v_mov_b32_e32 v0, v7
	ds_store_b64 v7, v[34:35] offset:18200
	s_wait_dscnt 0x1
	ds_store_b128 v7, v[0:3] offset:17680
.LBB26_457:                             ;   in Loop: Header=BB26_3 Depth=1
	s_or_b32 exec_lo, exec_lo, s46
	v_mov_b64_e32 v[2:3], 0
	s_wait_dscnt 0x0
	s_barrier_signal -1
	s_barrier_wait -1
	global_wb scope:SCOPE_DEV
	s_wait_storecnt 0x0
	global_inv scope:SCOPE_DEV
	s_and_saveexec_b32 s46, s0
	s_cbranch_execz .LBB26_461
; %bb.458:                              ;   in Loop: Header=BB26_3 Depth=1
	ds_load_b64 v[2:3], v72 offset:17664
	ds_load_b64 v[48:49], v57 offset:18192
	s_wait_dscnt 0x0
	v_fma_f64 v[2:3], v[2:3], v[48:49], 0
	s_and_saveexec_b32 s47, s11
	s_cbranch_execz .LBB26_460
; %bb.459:                              ;   in Loop: Header=BB26_3 Depth=1
	ds_load_b64 v[48:49], v68 offset:18176
	ds_load_b64 v[98:99], v7 offset:18200
	s_wait_dscnt 0x0
	v_fmac_f64_e32 v[2:3], v[48:49], v[98:99]
.LBB26_460:                             ;   in Loop: Header=BB26_3 Depth=1
	s_or_b32 exec_lo, exec_lo, s47
.LBB26_461:                             ;   in Loop: Header=BB26_3 Depth=1
	s_delay_alu instid0(SALU_CYCLE_1)
	s_or_b32 exec_lo, exec_lo, s46
	s_and_saveexec_b32 s46, s90
; %bb.462:                              ;   in Loop: Header=BB26_3 Depth=1
	s_delay_alu instid0(VALU_DEP_1) | instskip(NEXT) | instid1(VALU_DEP_2)
	v_xor_b32_e32 v49, 0x80000000, v3
	v_mov_b32_e32 v48, v2
	ds_store_b64 v73, v[48:49]
; %bb.463:                              ;   in Loop: Header=BB26_3 Depth=1
	s_or_b32 exec_lo, exec_lo, s46
	s_wait_loadcnt_dscnt 0x0
	s_barrier_signal -1
	s_barrier_wait -1
	s_and_saveexec_b32 s46, s91
	s_cbranch_execz .LBB26_465
; %bb.464:                              ;   in Loop: Header=BB26_3 Depth=1
	ds_load_b64 v[48:49], v7 offset:17152
	ds_load_b64 v[98:99], v73
	s_wait_dscnt 0x0
	v_fma_f64 v[2:3], -v[48:49], v[98:99], v[2:3]
.LBB26_465:                             ;   in Loop: Header=BB26_3 Depth=1
	s_or_b32 exec_lo, exec_lo, s46
	s_barrier_signal -1
	s_barrier_wait -1
	s_and_saveexec_b32 s46, s91
; %bb.466:                              ;   in Loop: Header=BB26_3 Depth=1
	s_delay_alu instid0(VALU_DEP_1) | instskip(NEXT) | instid1(VALU_DEP_2)
	v_xor_b32_e32 v49, 0x80000000, v3
	v_mov_b32_e32 v48, v2
	ds_store_b64 v73, v[48:49]
; %bb.467:                              ;   in Loop: Header=BB26_3 Depth=1
	s_or_b32 exec_lo, exec_lo, s46
	s_wait_dscnt 0x0
	s_barrier_signal -1
	s_barrier_wait -1
	s_barrier_signal -1
	s_barrier_wait -1
	s_and_saveexec_b32 s46, s0
; %bb.468:                              ;   in Loop: Header=BB26_3 Depth=1
	ds_store_b64 v75, v[2:3] offset:18176
; %bb.469:                              ;   in Loop: Header=BB26_3 Depth=1
	s_or_b32 exec_lo, exec_lo, s46
	s_wait_dscnt 0x0
	s_barrier_signal -1
	s_barrier_wait -1
	s_barrier_signal -1
	s_barrier_wait -1
	s_and_saveexec_b32 s46, s92
	s_cbranch_execz .LBB26_471
; %bb.470:                              ;   in Loop: Header=BB26_3 Depth=1
	ds_load_b64 v[2:3], v69 offset:17664
	s_wait_dscnt 0x0
	ds_store_b64 v68, v[2:3] offset:16656
	ds_load_b64 v[2:3], v69 offset:17672
	s_wait_dscnt 0x0
	ds_store_b64 v68, v[2:3] offset:17168
.LBB26_471:                             ;   in Loop: Header=BB26_3 Depth=1
	s_or_b32 exec_lo, exec_lo, s46
	s_wait_dscnt 0x0
	s_barrier_signal -1
	s_barrier_wait -1
	s_and_saveexec_b32 s46, s10
	s_cbranch_execz .LBB26_473
; %bb.472:                              ;   in Loop: Header=BB26_3 Depth=1
	ds_load_b64 v[2:3], v7 offset:17152
	v_mov_b32_e32 v0, v7
	ds_store_b64 v7, v[34:35] offset:17160
	s_wait_dscnt 0x1
	ds_store_b128 v7, v[0:3] offset:16640
.LBB26_473:                             ;   in Loop: Header=BB26_3 Depth=1
	s_or_b32 exec_lo, exec_lo, s46
	v_mov_b64_e32 v[2:3], 0
	s_wait_dscnt 0x0
	s_barrier_signal -1
	s_barrier_wait -1
	global_wb scope:SCOPE_DEV
	s_wait_storecnt 0x0
	global_inv scope:SCOPE_DEV
	s_and_saveexec_b32 s61, s30
	s_cbranch_execz .LBB26_535
; %bb.474:                              ;   in Loop: Header=BB26_3 Depth=1
	ds_load_b64 v[2:3], v64 offset:16384
	ds_load_b64 v[48:49], v66 offset:32512
	s_wait_dscnt 0x0
	v_fma_f64 v[2:3], v[2:3], v[48:49], 0
	s_mov_b32 s46, exec_lo
	v_readlane_b32 s47, v103, 30
	s_and_b32 s47, s46, s47
	s_delay_alu instid0(SALU_CYCLE_1)
	s_mov_b32 exec_lo, s47
	s_cbranch_execz .LBB26_476
; %bb.475:                              ;   in Loop: Header=BB26_3 Depth=1
	ds_load_b64 v[48:49], v64 offset:16896
	ds_load_b64 v[98:99], v66 offset:32520
	s_wait_dscnt 0x0
	v_fmac_f64_e32 v[2:3], v[48:49], v[98:99]
.LBB26_476:                             ;   in Loop: Header=BB26_3 Depth=1
	s_or_b32 exec_lo, exec_lo, s46
	s_delay_alu instid0(SALU_CYCLE_1) | instskip(SKIP_2) | instid1(SALU_CYCLE_1)
	s_mov_b32 s46, exec_lo
	v_readlane_b32 s47, v103, 31
	s_and_b32 s47, s46, s47
	s_mov_b32 exec_lo, s47
	s_cbranch_execz .LBB26_478
; %bb.477:                              ;   in Loop: Header=BB26_3 Depth=1
	ds_load_b64 v[48:49], v64 offset:17408
	ds_load_b64 v[98:99], v66 offset:32528
	s_wait_dscnt 0x0
	v_fmac_f64_e32 v[2:3], v[48:49], v[98:99]
.LBB26_478:                             ;   in Loop: Header=BB26_3 Depth=1
	s_or_b32 exec_lo, exec_lo, s46
	s_delay_alu instid0(SALU_CYCLE_1) | instskip(SKIP_2) | instid1(SALU_CYCLE_1)
	s_mov_b32 s46, exec_lo
	v_readlane_b32 s47, v102, 0
	s_and_b32 s47, s46, s47
	;; [unrolled: 13-line block ×22, first 2 shown]
	s_mov_b32 exec_lo, s47
	s_cbranch_execz .LBB26_520
; %bb.519:                              ;   in Loop: Header=BB26_3 Depth=1
	ds_load_b64 v[48:49], v64 offset:28160
	ds_load_b64 v[98:99], v66 offset:32696
	s_wait_dscnt 0x0
	v_fmac_f64_e32 v[2:3], v[48:49], v[98:99]
.LBB26_520:                             ;   in Loop: Header=BB26_3 Depth=1
	s_or_b32 exec_lo, exec_lo, s46
	s_and_saveexec_b32 s46, s4
	s_cbranch_execz .LBB26_522
; %bb.521:                              ;   in Loop: Header=BB26_3 Depth=1
	ds_load_b64 v[48:49], v64 offset:28672
	ds_load_b64 v[98:99], v66 offset:32704
	s_wait_dscnt 0x0
	v_fmac_f64_e32 v[2:3], v[48:49], v[98:99]
.LBB26_522:                             ;   in Loop: Header=BB26_3 Depth=1
	s_or_b32 exec_lo, exec_lo, s46
	s_delay_alu instid0(SALU_CYCLE_1) | instskip(SKIP_2) | instid1(SALU_CYCLE_1)
	s_mov_b32 s46, exec_lo
	v_readlane_b32 s47, v103, 20
	s_and_b32 s47, s46, s47
	s_mov_b32 exec_lo, s47
	s_cbranch_execz .LBB26_524
; %bb.523:                              ;   in Loop: Header=BB26_3 Depth=1
	ds_load_b64 v[48:49], v64 offset:29184
	ds_load_b64 v[98:99], v66 offset:32712
	s_wait_dscnt 0x0
	v_fmac_f64_e32 v[2:3], v[48:49], v[98:99]
.LBB26_524:                             ;   in Loop: Header=BB26_3 Depth=1
	s_or_b32 exec_lo, exec_lo, s46
	s_delay_alu instid0(SALU_CYCLE_1) | instskip(SKIP_2) | instid1(SALU_CYCLE_1)
	s_mov_b32 s46, exec_lo
	v_readlane_b32 s47, v103, 22
	s_and_b32 s47, s46, s47
	s_mov_b32 exec_lo, s47
	;; [unrolled: 13-line block ×5, first 2 shown]
	s_cbranch_execnz .LBB26_1091
; %bb.531:                              ;   in Loop: Header=BB26_3 Depth=1
	s_or_b32 exec_lo, exec_lo, s46
	s_and_saveexec_b32 s46, s3
	s_cbranch_execnz .LBB26_1092
.LBB26_532:                             ;   in Loop: Header=BB26_3 Depth=1
	s_or_b32 exec_lo, exec_lo, s46
	s_and_saveexec_b32 s46, s17
	s_delay_alu instid0(SALU_CYCLE_1)
	s_xor_b32 s46, exec_lo, s46
	s_cbranch_execz .LBB26_534
.LBB26_533:                             ;   in Loop: Header=BB26_3 Depth=1
	ds_load_b64 v[48:49], v11 offset:32256
	ds_load_b64 v[98:99], v7 offset:32760
	s_wait_dscnt 0x0
	v_fmac_f64_e32 v[2:3], v[48:49], v[98:99]
.LBB26_534:                             ;   in Loop: Header=BB26_3 Depth=1
	s_or_b32 exec_lo, exec_lo, s46
.LBB26_535:                             ;   in Loop: Header=BB26_3 Depth=1
	s_delay_alu instid0(SALU_CYCLE_1)
	s_or_b32 exec_lo, exec_lo, s61
	v_dual_mov_b32 v0, v96 :: v_dual_mov_b32 v6, v94
	s_mov_b32 s57, 31
	s_branch .LBB26_537
.LBB26_536:                             ;   in Loop: Header=BB26_537 Depth=2
	s_or_b32 exec_lo, exec_lo, s46
	v_add_nc_u32_e32 v6, 0xfffff800, v6
	v_add_nc_u32_e32 v0, 4, v0
	s_add_co_i32 s57, s57, -4
	s_cmp_eq_u32 s61, 0
	s_barrier_signal -1
	s_barrier_wait -1
	s_cbranch_scc1 .LBB26_553
.LBB26_537:                             ;   Parent Loop BB26_3 Depth=1
                                        ; =>  This Inner Loop Header: Depth=2
	s_delay_alu instid0(VALU_DEP_1) | instskip(SKIP_1) | instid1(SALU_CYCLE_1)
	v_cmp_eq_u32_e32 vcc_lo, 0, v0
	s_and_b32 s47, s60, vcc_lo
	s_and_saveexec_b32 s46, s47
; %bb.538:                              ;   in Loop: Header=BB26_537 Depth=2
	s_delay_alu instid0(VALU_DEP_3) | instskip(NEXT) | instid1(VALU_DEP_4)
	v_xor_b32_e32 v49, 0x80000000, v3
	v_mov_b32_e32 v48, v2
	ds_store_b64 v84, v[48:49]
; %bb.539:                              ;   in Loop: Header=BB26_537 Depth=2
	s_or_b32 exec_lo, exec_lo, s46
	v_cmp_gt_u32_e32 vcc_lo, s57, v61
	s_wait_loadcnt_dscnt 0x0
	s_barrier_signal -1
	s_barrier_wait -1
	s_and_b32 s47, s60, vcc_lo
	s_delay_alu instid0(SALU_CYCLE_1)
	s_and_saveexec_b32 s46, s47
	s_cbranch_execz .LBB26_541
; %bb.540:                              ;   in Loop: Header=BB26_537 Depth=2
	ds_load_b64 v[48:49], v6 offset:1536
	ds_load_b64 v[98:99], v84
	s_wait_dscnt 0x0
	v_fma_f64 v[2:3], -v[48:49], v[98:99], v[2:3]
.LBB26_541:                             ;   in Loop: Header=BB26_537 Depth=2
	s_or_b32 exec_lo, exec_lo, s46
	s_add_co_i32 s46, s57, -1
	s_delay_alu instid0(SALU_CYCLE_1) | instskip(SKIP_3) | instid1(SALU_CYCLE_1)
	v_cmp_eq_u32_e32 vcc_lo, s46, v61
	s_barrier_signal -1
	s_barrier_wait -1
	s_and_b32 s61, s60, vcc_lo
	s_and_saveexec_b32 s47, s61
; %bb.542:                              ;   in Loop: Header=BB26_537 Depth=2
	s_delay_alu instid0(VALU_DEP_2) | instskip(NEXT) | instid1(VALU_DEP_3)
	v_xor_b32_e32 v49, 0x80000000, v3
	v_mov_b32_e32 v48, v2
	ds_store_b64 v84, v[48:49]
; %bb.543:                              ;   in Loop: Header=BB26_537 Depth=2
	s_or_b32 exec_lo, exec_lo, s47
	v_cmp_gt_u32_e32 vcc_lo, s46, v61
	s_wait_dscnt 0x0
	s_barrier_signal -1
	s_barrier_wait -1
	s_and_b32 s47, s60, vcc_lo
	s_delay_alu instid0(SALU_CYCLE_1)
	s_and_saveexec_b32 s46, s47
	s_cbranch_execz .LBB26_545
; %bb.544:                              ;   in Loop: Header=BB26_537 Depth=2
	ds_load_b64 v[48:49], v6 offset:1024
	ds_load_b64 v[98:99], v84
	s_wait_dscnt 0x0
	v_fma_f64 v[2:3], -v[48:49], v[98:99], v[2:3]
.LBB26_545:                             ;   in Loop: Header=BB26_537 Depth=2
	s_or_b32 exec_lo, exec_lo, s46
	s_add_co_i32 s46, s57, -2
	s_delay_alu instid0(SALU_CYCLE_1) | instskip(SKIP_3) | instid1(SALU_CYCLE_1)
	v_cmp_eq_u32_e32 vcc_lo, s46, v61
	s_barrier_signal -1
	s_barrier_wait -1
	s_and_b32 s61, s60, vcc_lo
	s_and_saveexec_b32 s47, s61
; %bb.546:                              ;   in Loop: Header=BB26_537 Depth=2
	s_delay_alu instid0(VALU_DEP_2) | instskip(NEXT) | instid1(VALU_DEP_3)
	v_xor_b32_e32 v49, 0x80000000, v3
	v_mov_b32_e32 v48, v2
	ds_store_b64 v84, v[48:49]
; %bb.547:                              ;   in Loop: Header=BB26_537 Depth=2
	s_or_b32 exec_lo, exec_lo, s47
	v_cmp_gt_u32_e32 vcc_lo, s46, v61
	s_wait_dscnt 0x0
	;; [unrolled: 29-line block ×3, first 2 shown]
	s_barrier_signal -1
	s_barrier_wait -1
	s_and_b32 s47, s60, vcc_lo
	s_delay_alu instid0(SALU_CYCLE_1)
	s_and_saveexec_b32 s46, s47
	s_cbranch_execz .LBB26_536
; %bb.552:                              ;   in Loop: Header=BB26_537 Depth=2
	ds_load_b64 v[48:49], v6
	ds_load_b64 v[98:99], v84
	s_wait_dscnt 0x0
	v_fma_f64 v[2:3], -v[48:49], v[98:99], v[2:3]
	s_branch .LBB26_536
.LBB26_553:                             ;   in Loop: Header=BB26_3 Depth=1
	s_and_saveexec_b32 s46, s30
; %bb.554:                              ;   in Loop: Header=BB26_3 Depth=1
	ds_store_b64 v85, v[2:3] offset:32256
; %bb.555:                              ;   in Loop: Header=BB26_3 Depth=1
	s_or_b32 exec_lo, exec_lo, s46
	s_wait_dscnt 0x0
	s_barrier_signal -1
	s_barrier_wait -1
	s_barrier_signal -1
	s_barrier_wait -1
	s_mov_b32 s57, exec_lo
	v_readlane_b32 s46, v103, 9
	s_and_b32 s46, s57, s46
	s_delay_alu instid0(SALU_CYCLE_1)
	s_mov_b32 exec_lo, s46
	s_cbranch_execz .LBB26_557
; %bb.556:                              ;   in Loop: Header=BB26_3 Depth=1
	ds_load_b64 v[2:3], v50 offset:16384
	s_wait_dscnt 0x0
	ds_store_b64 v51, v[2:3] offset:256
	ds_load_b64 v[2:3], v50 offset:16392
	s_wait_dscnt 0x0
	ds_store_b64 v51, v[2:3] offset:768
	;; [unrolled: 3-line block ×32, first 2 shown]
.LBB26_557:                             ;   in Loop: Header=BB26_3 Depth=1
	s_or_b32 exec_lo, exec_lo, s57
	s_wait_dscnt 0x0
	s_barrier_signal -1
	s_barrier_wait -1
	s_and_saveexec_b32 s46, s10
	s_cbranch_execz .LBB26_559
; %bb.558:                              ;   in Loop: Header=BB26_3 Depth=1
	ds_load_b64 v[2:3], v7 offset:16112
	v_mov_b32_e32 v0, v7
	ds_store_b64 v7, v[34:35] offset:16120
	s_wait_dscnt 0x1
	ds_store_b128 v7, v[0:3] offset:15600
.LBB26_559:                             ;   in Loop: Header=BB26_3 Depth=1
	s_or_b32 exec_lo, exec_lo, s46
	v_mov_b64_e32 v[2:3], 0
	s_wait_dscnt 0x0
	s_barrier_signal -1
	s_barrier_wait -1
	global_wb scope:SCOPE_DEV
	s_wait_storecnt 0x0
	global_inv scope:SCOPE_DEV
	s_and_saveexec_b32 s46, s0
	s_cbranch_execz .LBB26_563
; %bb.560:                              ;   in Loop: Header=BB26_3 Depth=1
	ds_load_b64 v[2:3], v72 offset:15584
	ds_load_b64 v[48:49], v57 offset:16112
	s_wait_dscnt 0x0
	v_fma_f64 v[2:3], v[2:3], v[48:49], 0
	s_and_saveexec_b32 s47, s11
	s_cbranch_execz .LBB26_562
; %bb.561:                              ;   in Loop: Header=BB26_3 Depth=1
	ds_load_b64 v[48:49], v11 offset:16096
	ds_load_b64 v[98:99], v7 offset:16120
	s_wait_dscnt 0x0
	v_fmac_f64_e32 v[2:3], v[48:49], v[98:99]
.LBB26_562:                             ;   in Loop: Header=BB26_3 Depth=1
	s_or_b32 exec_lo, exec_lo, s47
.LBB26_563:                             ;   in Loop: Header=BB26_3 Depth=1
	s_delay_alu instid0(SALU_CYCLE_1)
	s_or_b32 exec_lo, exec_lo, s46
	s_and_saveexec_b32 s46, s90
; %bb.564:                              ;   in Loop: Header=BB26_3 Depth=1
	s_delay_alu instid0(VALU_DEP_1) | instskip(NEXT) | instid1(VALU_DEP_2)
	v_xor_b32_e32 v49, 0x80000000, v3
	v_mov_b32_e32 v48, v2
	ds_store_b64 v73, v[48:49]
; %bb.565:                              ;   in Loop: Header=BB26_3 Depth=1
	s_or_b32 exec_lo, exec_lo, s46
	s_wait_loadcnt_dscnt 0x0
	s_barrier_signal -1
	s_barrier_wait -1
	s_and_saveexec_b32 s46, s91
	s_cbranch_execz .LBB26_567
; %bb.566:                              ;   in Loop: Header=BB26_3 Depth=1
	ds_load_b64 v[48:49], v7 offset:15072
	ds_load_b64 v[98:99], v73
	s_wait_dscnt 0x0
	v_fma_f64 v[2:3], -v[48:49], v[98:99], v[2:3]
.LBB26_567:                             ;   in Loop: Header=BB26_3 Depth=1
	s_or_b32 exec_lo, exec_lo, s46
	s_barrier_signal -1
	s_barrier_wait -1
	s_and_saveexec_b32 s46, s91
; %bb.568:                              ;   in Loop: Header=BB26_3 Depth=1
	s_delay_alu instid0(VALU_DEP_1) | instskip(NEXT) | instid1(VALU_DEP_2)
	v_xor_b32_e32 v49, 0x80000000, v3
	v_mov_b32_e32 v48, v2
	ds_store_b64 v73, v[48:49]
; %bb.569:                              ;   in Loop: Header=BB26_3 Depth=1
	s_or_b32 exec_lo, exec_lo, s46
	s_wait_dscnt 0x0
	s_barrier_signal -1
	s_barrier_wait -1
	s_barrier_signal -1
	s_barrier_wait -1
	s_and_saveexec_b32 s46, s0
; %bb.570:                              ;   in Loop: Header=BB26_3 Depth=1
	ds_store_b64 v75, v[2:3] offset:16096
; %bb.571:                              ;   in Loop: Header=BB26_3 Depth=1
	s_or_b32 exec_lo, exec_lo, s46
	s_wait_dscnt 0x0
	s_barrier_signal -1
	s_barrier_wait -1
	s_barrier_signal -1
	s_barrier_wait -1
	s_and_saveexec_b32 s46, s92
	s_cbranch_execz .LBB26_573
; %bb.572:                              ;   in Loop: Header=BB26_3 Depth=1
	ds_load_b64 v[2:3], v50 offset:15584
	s_wait_dscnt 0x0
	ds_store_b64 v11, v[2:3] offset:14576
	ds_load_b64 v[2:3], v50 offset:15592
	s_wait_dscnt 0x0
	ds_store_b64 v11, v[2:3] offset:15088
.LBB26_573:                             ;   in Loop: Header=BB26_3 Depth=1
	s_or_b32 exec_lo, exec_lo, s46
	s_wait_dscnt 0x0
	s_barrier_signal -1
	s_barrier_wait -1
	s_and_saveexec_b32 s46, s10
	s_cbranch_execz .LBB26_575
; %bb.574:                              ;   in Loop: Header=BB26_3 Depth=1
	ds_load_b64 v[2:3], v7 offset:15072
	v_mov_b32_e32 v0, v7
	ds_store_b64 v7, v[34:35] offset:15080
	s_wait_dscnt 0x1
	ds_store_b128 v7, v[0:3] offset:14560
.LBB26_575:                             ;   in Loop: Header=BB26_3 Depth=1
	s_or_b32 exec_lo, exec_lo, s46
	v_mov_b64_e32 v[2:3], 0
	s_wait_dscnt 0x0
	s_barrier_signal -1
	s_barrier_wait -1
	global_wb scope:SCOPE_DEV
	s_wait_storecnt 0x0
	global_inv scope:SCOPE_DEV
	s_and_saveexec_b32 s57, s2
	s_cbranch_execz .LBB26_581
; %bb.576:                              ;   in Loop: Header=BB26_3 Depth=1
	ds_load_b64 v[2:3], v74 offset:14528
	ds_load_b64 v[48:49], v59 offset:16096
	s_wait_dscnt 0x0
	v_fma_f64 v[2:3], v[2:3], v[48:49], 0
	s_and_saveexec_b32 s46, s12
	s_cbranch_execnz .LBB26_1093
; %bb.577:                              ;   in Loop: Header=BB26_3 Depth=1
	s_or_b32 exec_lo, exec_lo, s46
	s_and_saveexec_b32 s46, s13
	s_cbranch_execnz .LBB26_1094
.LBB26_578:                             ;   in Loop: Header=BB26_3 Depth=1
	s_or_b32 exec_lo, exec_lo, s46
	s_and_saveexec_b32 s46, s0
	s_cbranch_execz .LBB26_580
.LBB26_579:                             ;   in Loop: Header=BB26_3 Depth=1
	ds_load_b64 v[48:49], v51 offset:16064
	ds_load_b64 v[98:99], v7 offset:16120
	s_wait_dscnt 0x0
	v_fmac_f64_e32 v[2:3], v[48:49], v[98:99]
.LBB26_580:                             ;   in Loop: Header=BB26_3 Depth=1
	s_or_b32 exec_lo, exec_lo, s46
.LBB26_581:                             ;   in Loop: Header=BB26_3 Depth=1
	s_delay_alu instid0(SALU_CYCLE_1)
	s_or_b32 exec_lo, exec_lo, s57
	s_and_saveexec_b32 s46, s93
; %bb.582:                              ;   in Loop: Header=BB26_3 Depth=1
	s_delay_alu instid0(VALU_DEP_1) | instskip(NEXT) | instid1(VALU_DEP_2)
	v_xor_b32_e32 v49, 0x80000000, v3
	v_mov_b32_e32 v48, v2
	ds_store_b64 v77, v[48:49]
; %bb.583:                              ;   in Loop: Header=BB26_3 Depth=1
	s_or_b32 exec_lo, exec_lo, s46
	s_wait_loadcnt_dscnt 0x0
	s_barrier_signal -1
	s_barrier_wait -1
	s_and_saveexec_b32 s46, s94
	s_cbranch_execz .LBB26_585
; %bb.584:                              ;   in Loop: Header=BB26_3 Depth=1
	ds_load_b64 v[48:49], v74 offset:14016
	ds_load_b64 v[98:99], v77
	s_wait_dscnt 0x0
	v_fma_f64 v[2:3], -v[48:49], v[98:99], v[2:3]
.LBB26_585:                             ;   in Loop: Header=BB26_3 Depth=1
	s_or_b32 exec_lo, exec_lo, s46
	s_barrier_signal -1
	s_barrier_wait -1
	s_and_saveexec_b32 s46, s95
; %bb.586:                              ;   in Loop: Header=BB26_3 Depth=1
	s_delay_alu instid0(VALU_DEP_1) | instskip(NEXT) | instid1(VALU_DEP_2)
	v_xor_b32_e32 v49, 0x80000000, v3
	v_mov_b32_e32 v48, v2
	ds_store_b64 v77, v[48:49]
; %bb.587:                              ;   in Loop: Header=BB26_3 Depth=1
	s_or_b32 exec_lo, exec_lo, s46
	s_wait_dscnt 0x0
	s_barrier_signal -1
	s_barrier_wait -1
	s_and_saveexec_b32 s46, s96
	s_cbranch_execz .LBB26_589
; %bb.588:                              ;   in Loop: Header=BB26_3 Depth=1
	ds_load_b64 v[48:49], v74 offset:13504
	ds_load_b64 v[98:99], v77
	s_wait_dscnt 0x0
	v_fma_f64 v[2:3], -v[48:49], v[98:99], v[2:3]
.LBB26_589:                             ;   in Loop: Header=BB26_3 Depth=1
	s_or_b32 exec_lo, exec_lo, s46
	s_barrier_signal -1
	s_barrier_wait -1
	s_and_saveexec_b32 s46, s97
; %bb.590:                              ;   in Loop: Header=BB26_3 Depth=1
	s_delay_alu instid0(VALU_DEP_1) | instskip(NEXT) | instid1(VALU_DEP_2)
	v_xor_b32_e32 v49, 0x80000000, v3
	v_mov_b32_e32 v48, v2
	ds_store_b64 v77, v[48:49]
; %bb.591:                              ;   in Loop: Header=BB26_3 Depth=1
	s_or_b32 exec_lo, exec_lo, s46
	s_wait_dscnt 0x0
	;; [unrolled: 22-line block ×3, first 2 shown]
	s_barrier_signal -1
	s_barrier_wait -1
	s_barrier_signal -1
	s_barrier_wait -1
	s_and_saveexec_b32 s46, s2
; %bb.596:                              ;   in Loop: Header=BB26_3 Depth=1
	ds_store_b64 v79, v[2:3] offset:16064
; %bb.597:                              ;   in Loop: Header=BB26_3 Depth=1
	s_or_b32 exec_lo, exec_lo, s46
	s_wait_dscnt 0x0
	s_barrier_signal -1
	s_barrier_wait -1
	s_barrier_signal -1
	s_barrier_wait -1
	s_and_saveexec_b32 s46, s99
	s_cbranch_execz .LBB26_599
; %bb.598:                              ;   in Loop: Header=BB26_3 Depth=1
	ds_load_b64 v[2:3], v52 offset:14528
	s_wait_dscnt 0x0
	ds_store_b64 v53, v[2:3] offset:12512
	ds_load_b64 v[2:3], v52 offset:14536
	s_wait_dscnt 0x0
	ds_store_b64 v53, v[2:3] offset:13024
	;; [unrolled: 3-line block ×4, first 2 shown]
.LBB26_599:                             ;   in Loop: Header=BB26_3 Depth=1
	s_or_b32 exec_lo, exec_lo, s46
	s_wait_dscnt 0x0
	s_barrier_signal -1
	s_barrier_wait -1
	s_and_saveexec_b32 s46, s10
	s_cbranch_execz .LBB26_601
; %bb.600:                              ;   in Loop: Header=BB26_3 Depth=1
	ds_load_b64 v[2:3], v7 offset:14032
	v_mov_b32_e32 v0, v7
	ds_store_b64 v7, v[34:35] offset:14040
	s_wait_dscnt 0x1
	ds_store_b128 v7, v[0:3] offset:13520
.LBB26_601:                             ;   in Loop: Header=BB26_3 Depth=1
	s_or_b32 exec_lo, exec_lo, s46
	v_mov_b64_e32 v[2:3], 0
	s_wait_dscnt 0x0
	s_barrier_signal -1
	s_barrier_wait -1
	global_wb scope:SCOPE_DEV
	s_wait_storecnt 0x0
	global_inv scope:SCOPE_DEV
	s_and_saveexec_b32 s46, s0
	s_cbranch_execz .LBB26_605
; %bb.602:                              ;   in Loop: Header=BB26_3 Depth=1
	ds_load_b64 v[2:3], v72 offset:13504
	ds_load_b64 v[48:49], v57 offset:14032
	s_wait_dscnt 0x0
	v_fma_f64 v[2:3], v[2:3], v[48:49], 0
	s_and_saveexec_b32 s47, s11
	s_cbranch_execz .LBB26_604
; %bb.603:                              ;   in Loop: Header=BB26_3 Depth=1
	ds_load_b64 v[48:49], v53 offset:14016
	ds_load_b64 v[98:99], v7 offset:14040
	s_wait_dscnt 0x0
	v_fmac_f64_e32 v[2:3], v[48:49], v[98:99]
.LBB26_604:                             ;   in Loop: Header=BB26_3 Depth=1
	s_or_b32 exec_lo, exec_lo, s47
.LBB26_605:                             ;   in Loop: Header=BB26_3 Depth=1
	s_delay_alu instid0(SALU_CYCLE_1)
	s_or_b32 exec_lo, exec_lo, s46
	s_and_saveexec_b32 s46, s90
; %bb.606:                              ;   in Loop: Header=BB26_3 Depth=1
	s_delay_alu instid0(VALU_DEP_1) | instskip(NEXT) | instid1(VALU_DEP_2)
	v_xor_b32_e32 v49, 0x80000000, v3
	v_mov_b32_e32 v48, v2
	ds_store_b64 v73, v[48:49]
; %bb.607:                              ;   in Loop: Header=BB26_3 Depth=1
	s_or_b32 exec_lo, exec_lo, s46
	s_wait_loadcnt_dscnt 0x0
	s_barrier_signal -1
	s_barrier_wait -1
	s_and_saveexec_b32 s46, s91
	s_cbranch_execz .LBB26_609
; %bb.608:                              ;   in Loop: Header=BB26_3 Depth=1
	ds_load_b64 v[48:49], v7 offset:12992
	ds_load_b64 v[98:99], v73
	s_wait_dscnt 0x0
	v_fma_f64 v[2:3], -v[48:49], v[98:99], v[2:3]
.LBB26_609:                             ;   in Loop: Header=BB26_3 Depth=1
	s_or_b32 exec_lo, exec_lo, s46
	s_barrier_signal -1
	s_barrier_wait -1
	s_and_saveexec_b32 s46, s91
; %bb.610:                              ;   in Loop: Header=BB26_3 Depth=1
	s_delay_alu instid0(VALU_DEP_1) | instskip(NEXT) | instid1(VALU_DEP_2)
	v_xor_b32_e32 v49, 0x80000000, v3
	v_mov_b32_e32 v48, v2
	ds_store_b64 v73, v[48:49]
; %bb.611:                              ;   in Loop: Header=BB26_3 Depth=1
	s_or_b32 exec_lo, exec_lo, s46
	s_wait_dscnt 0x0
	s_barrier_signal -1
	s_barrier_wait -1
	s_barrier_signal -1
	s_barrier_wait -1
	s_and_saveexec_b32 s46, s0
; %bb.612:                              ;   in Loop: Header=BB26_3 Depth=1
	ds_store_b64 v75, v[2:3] offset:14016
; %bb.613:                              ;   in Loop: Header=BB26_3 Depth=1
	s_or_b32 exec_lo, exec_lo, s46
	s_wait_dscnt 0x0
	s_barrier_signal -1
	s_barrier_wait -1
	s_barrier_signal -1
	s_barrier_wait -1
	s_and_saveexec_b32 s46, s92
	s_cbranch_execz .LBB26_615
; %bb.614:                              ;   in Loop: Header=BB26_3 Depth=1
	ds_load_b64 v[2:3], v54 offset:13504
	s_wait_dscnt 0x0
	ds_store_b64 v53, v[2:3] offset:12496
	ds_load_b64 v[2:3], v54 offset:13512
	s_wait_dscnt 0x0
	ds_store_b64 v53, v[2:3] offset:13008
.LBB26_615:                             ;   in Loop: Header=BB26_3 Depth=1
	s_or_b32 exec_lo, exec_lo, s46
	s_wait_dscnt 0x0
	s_barrier_signal -1
	s_barrier_wait -1
	s_and_saveexec_b32 s46, s10
	s_cbranch_execz .LBB26_617
; %bb.616:                              ;   in Loop: Header=BB26_3 Depth=1
	ds_load_b64 v[2:3], v7 offset:12992
	v_mov_b32_e32 v0, v7
	ds_store_b64 v7, v[34:35] offset:13000
	s_wait_dscnt 0x1
	ds_store_b128 v7, v[0:3] offset:12480
.LBB26_617:                             ;   in Loop: Header=BB26_3 Depth=1
	s_or_b32 exec_lo, exec_lo, s46
	v_mov_b64_e32 v[2:3], 0
	s_wait_dscnt 0x0
	s_barrier_signal -1
	s_barrier_wait -1
	global_wb scope:SCOPE_DEV
	s_wait_storecnt 0x0
	global_inv scope:SCOPE_DEV
	s_and_saveexec_b32 s57, s3
	s_cbranch_execz .LBB26_627
; %bb.618:                              ;   in Loop: Header=BB26_3 Depth=1
	ds_load_b64 v[2:3], v76 offset:12416
	ds_load_b64 v[48:49], v63 offset:16064
	s_wait_dscnt 0x0
	v_fma_f64 v[2:3], v[2:3], v[48:49], 0
	s_and_saveexec_b32 s46, s14
	s_cbranch_execnz .LBB26_1095
; %bb.619:                              ;   in Loop: Header=BB26_3 Depth=1
	s_or_b32 exec_lo, exec_lo, s46
	s_and_saveexec_b32 s46, s15
	s_cbranch_execnz .LBB26_1096
.LBB26_620:                             ;   in Loop: Header=BB26_3 Depth=1
	s_or_b32 exec_lo, exec_lo, s46
	s_and_saveexec_b32 s46, s16
	s_cbranch_execnz .LBB26_1097
.LBB26_621:                             ;   in Loop: Header=BB26_3 Depth=1
	s_or_b32 exec_lo, exec_lo, s46
	s_and_saveexec_b32 s46, s17
	s_cbranch_execnz .LBB26_1098
.LBB26_622:                             ;   in Loop: Header=BB26_3 Depth=1
	s_or_b32 exec_lo, exec_lo, s46
	s_and_saveexec_b32 s46, s18
	s_cbranch_execnz .LBB26_1099
.LBB26_623:                             ;   in Loop: Header=BB26_3 Depth=1
	s_or_b32 exec_lo, exec_lo, s46
	s_and_saveexec_b32 s46, s2
	s_cbranch_execnz .LBB26_1100
.LBB26_624:                             ;   in Loop: Header=BB26_3 Depth=1
	s_or_b32 exec_lo, exec_lo, s46
	s_and_saveexec_b32 s46, s13
	s_cbranch_execz .LBB26_626
.LBB26_625:                             ;   in Loop: Header=BB26_3 Depth=1
	ds_load_b64 v[48:49], v55 offset:16000
	ds_load_b64 v[98:99], v7 offset:16120
	s_wait_dscnt 0x0
	v_fmac_f64_e32 v[2:3], v[48:49], v[98:99]
.LBB26_626:                             ;   in Loop: Header=BB26_3 Depth=1
	s_or_b32 exec_lo, exec_lo, s46
.LBB26_627:                             ;   in Loop: Header=BB26_3 Depth=1
	s_delay_alu instid0(SALU_CYCLE_1)
	s_or_b32 exec_lo, exec_lo, s57
	s_and_saveexec_b32 s46, s100
; %bb.628:                              ;   in Loop: Header=BB26_3 Depth=1
	s_delay_alu instid0(VALU_DEP_1) | instskip(NEXT) | instid1(VALU_DEP_2)
	v_xor_b32_e32 v49, 0x80000000, v3
	v_mov_b32_e32 v48, v2
	ds_store_b64 v80, v[48:49]
; %bb.629:                              ;   in Loop: Header=BB26_3 Depth=1
	s_or_b32 exec_lo, exec_lo, s46
	s_wait_loadcnt_dscnt 0x0
	s_barrier_signal -1
	s_barrier_wait -1
	s_and_saveexec_b32 s46, s101
	s_cbranch_execz .LBB26_631
; %bb.630:                              ;   in Loop: Header=BB26_3 Depth=1
	ds_load_b64 v[48:49], v76 offset:11904
	ds_load_b64 v[98:99], v80
	s_wait_dscnt 0x0
	v_fma_f64 v[2:3], -v[48:49], v[98:99], v[2:3]
.LBB26_631:                             ;   in Loop: Header=BB26_3 Depth=1
	s_or_b32 exec_lo, exec_lo, s46
	s_barrier_signal -1
	s_barrier_wait -1
	s_and_saveexec_b32 s46, s102
; %bb.632:                              ;   in Loop: Header=BB26_3 Depth=1
	s_delay_alu instid0(VALU_DEP_1) | instskip(NEXT) | instid1(VALU_DEP_2)
	v_xor_b32_e32 v49, 0x80000000, v3
	v_mov_b32_e32 v48, v2
	ds_store_b64 v80, v[48:49]
; %bb.633:                              ;   in Loop: Header=BB26_3 Depth=1
	s_or_b32 exec_lo, exec_lo, s46
	s_wait_dscnt 0x0
	s_barrier_signal -1
	s_barrier_wait -1
	s_and_saveexec_b32 s46, s103
	s_cbranch_execz .LBB26_635
; %bb.634:                              ;   in Loop: Header=BB26_3 Depth=1
	ds_load_b64 v[48:49], v76 offset:11392
	ds_load_b64 v[98:99], v80
	s_wait_dscnt 0x0
	v_fma_f64 v[2:3], -v[48:49], v[98:99], v[2:3]
.LBB26_635:                             ;   in Loop: Header=BB26_3 Depth=1
	s_or_b32 exec_lo, exec_lo, s46
	s_barrier_signal -1
	s_barrier_wait -1
	s_and_saveexec_b32 s46, s104
; %bb.636:                              ;   in Loop: Header=BB26_3 Depth=1
	s_delay_alu instid0(VALU_DEP_1) | instskip(NEXT) | instid1(VALU_DEP_2)
	v_xor_b32_e32 v49, 0x80000000, v3
	v_mov_b32_e32 v48, v2
	ds_store_b64 v80, v[48:49]
; %bb.637:                              ;   in Loop: Header=BB26_3 Depth=1
	s_or_b32 exec_lo, exec_lo, s46
	s_wait_dscnt 0x0
	s_barrier_signal -1
	s_barrier_wait -1
	s_and_saveexec_b32 s46, vcc_hi
	s_cbranch_execz .LBB26_639
; %bb.638:                              ;   in Loop: Header=BB26_3 Depth=1
	ds_load_b64 v[48:49], v76 offset:10880
	ds_load_b64 v[98:99], v80
	s_wait_dscnt 0x0
	v_fma_f64 v[2:3], -v[48:49], v[98:99], v[2:3]
.LBB26_639:                             ;   in Loop: Header=BB26_3 Depth=1
	s_or_b32 exec_lo, exec_lo, s46
	s_barrier_signal -1
	s_barrier_wait -1
	s_and_saveexec_b32 s46, s31
; %bb.640:                              ;   in Loop: Header=BB26_3 Depth=1
	s_delay_alu instid0(VALU_DEP_1) | instskip(NEXT) | instid1(VALU_DEP_2)
	v_xor_b32_e32 v49, 0x80000000, v3
	v_mov_b32_e32 v48, v2
	ds_store_b64 v80, v[48:49]
; %bb.641:                              ;   in Loop: Header=BB26_3 Depth=1
	s_or_b32 exec_lo, exec_lo, s46
	s_wait_dscnt 0x0
	s_barrier_signal -1
	s_barrier_wait -1
	s_and_saveexec_b32 s46, s33
	s_cbranch_execz .LBB26_643
; %bb.642:                              ;   in Loop: Header=BB26_3 Depth=1
	ds_load_b64 v[48:49], v76 offset:10368
	ds_load_b64 v[98:99], v80
	s_wait_dscnt 0x0
	v_fma_f64 v[2:3], -v[48:49], v[98:99], v[2:3]
.LBB26_643:                             ;   in Loop: Header=BB26_3 Depth=1
	s_or_b32 exec_lo, exec_lo, s46
	s_barrier_signal -1
	s_barrier_wait -1
	s_and_saveexec_b32 s46, s34
; %bb.644:                              ;   in Loop: Header=BB26_3 Depth=1
	s_delay_alu instid0(VALU_DEP_1) | instskip(NEXT) | instid1(VALU_DEP_2)
	v_xor_b32_e32 v49, 0x80000000, v3
	v_mov_b32_e32 v48, v2
	ds_store_b64 v80, v[48:49]
; %bb.645:                              ;   in Loop: Header=BB26_3 Depth=1
	s_or_b32 exec_lo, exec_lo, s46
	s_wait_dscnt 0x0
	s_barrier_signal -1
	s_barrier_wait -1
	s_and_saveexec_b32 s46, s35
	s_cbranch_execz .LBB26_647
; %bb.646:                              ;   in Loop: Header=BB26_3 Depth=1
	ds_load_b64 v[48:49], v76 offset:9856
	ds_load_b64 v[98:99], v80
	s_wait_dscnt 0x0
	v_fma_f64 v[2:3], -v[48:49], v[98:99], v[2:3]
.LBB26_647:                             ;   in Loop: Header=BB26_3 Depth=1
	s_or_b32 exec_lo, exec_lo, s46
	s_barrier_signal -1
	s_barrier_wait -1
	s_and_saveexec_b32 s46, s36
; %bb.648:                              ;   in Loop: Header=BB26_3 Depth=1
	s_delay_alu instid0(VALU_DEP_1) | instskip(NEXT) | instid1(VALU_DEP_2)
	v_xor_b32_e32 v49, 0x80000000, v3
	v_mov_b32_e32 v48, v2
	ds_store_b64 v80, v[48:49]
; %bb.649:                              ;   in Loop: Header=BB26_3 Depth=1
	s_or_b32 exec_lo, exec_lo, s46
	s_wait_dscnt 0x0
	s_barrier_signal -1
	s_barrier_wait -1
	s_and_saveexec_b32 s46, s37
	s_cbranch_execz .LBB26_651
; %bb.650:                              ;   in Loop: Header=BB26_3 Depth=1
	ds_load_b64 v[48:49], v76 offset:9344
	ds_load_b64 v[98:99], v80
	s_wait_dscnt 0x0
	v_fma_f64 v[2:3], -v[48:49], v[98:99], v[2:3]
.LBB26_651:                             ;   in Loop: Header=BB26_3 Depth=1
	s_or_b32 exec_lo, exec_lo, s46
	s_barrier_signal -1
	s_barrier_wait -1
	s_and_saveexec_b32 s46, s38
; %bb.652:                              ;   in Loop: Header=BB26_3 Depth=1
	s_delay_alu instid0(VALU_DEP_1) | instskip(NEXT) | instid1(VALU_DEP_2)
	v_xor_b32_e32 v49, 0x80000000, v3
	v_mov_b32_e32 v48, v2
	ds_store_b64 v80, v[48:49]
; %bb.653:                              ;   in Loop: Header=BB26_3 Depth=1
	s_or_b32 exec_lo, exec_lo, s46
	s_wait_dscnt 0x0
	s_barrier_signal -1
	s_barrier_wait -1
	s_and_saveexec_b32 s46, s39
	s_cbranch_execz .LBB26_655
; %bb.654:                              ;   in Loop: Header=BB26_3 Depth=1
	ds_load_b64 v[48:49], v7 offset:8832
	ds_load_b64 v[98:99], v80
	s_wait_dscnt 0x0
	v_fma_f64 v[2:3], -v[48:49], v[98:99], v[2:3]
.LBB26_655:                             ;   in Loop: Header=BB26_3 Depth=1
	s_or_b32 exec_lo, exec_lo, s46
	s_barrier_signal -1
	s_barrier_wait -1
	s_and_saveexec_b32 s46, s39
; %bb.656:                              ;   in Loop: Header=BB26_3 Depth=1
	s_delay_alu instid0(VALU_DEP_1) | instskip(NEXT) | instid1(VALU_DEP_2)
	v_xor_b32_e32 v49, 0x80000000, v3
	v_mov_b32_e32 v48, v2
	ds_store_b64 v80, v[48:49]
; %bb.657:                              ;   in Loop: Header=BB26_3 Depth=1
	s_or_b32 exec_lo, exec_lo, s46
	s_wait_dscnt 0x0
	s_barrier_signal -1
	s_barrier_wait -1
	s_barrier_signal -1
	s_barrier_wait -1
	s_and_saveexec_b32 s46, s3
; %bb.658:                              ;   in Loop: Header=BB26_3 Depth=1
	ds_store_b64 v81, v[2:3] offset:16000
; %bb.659:                              ;   in Loop: Header=BB26_3 Depth=1
	s_or_b32 exec_lo, exec_lo, s46
	s_wait_dscnt 0x0
	s_barrier_signal -1
	s_barrier_wait -1
	s_barrier_signal -1
	s_barrier_wait -1
	s_and_saveexec_b32 s46, s40
	s_cbranch_execz .LBB26_661
; %bb.660:                              ;   in Loop: Header=BB26_3 Depth=1
	ds_load_b64 v[2:3], v56 offset:12416
	s_wait_dscnt 0x0
	ds_store_b64 v58, v[2:3] offset:8384
	ds_load_b64 v[2:3], v56 offset:12424
	s_wait_dscnt 0x0
	ds_store_b64 v58, v[2:3] offset:8896
	;; [unrolled: 3-line block ×8, first 2 shown]
.LBB26_661:                             ;   in Loop: Header=BB26_3 Depth=1
	s_or_b32 exec_lo, exec_lo, s46
	s_wait_dscnt 0x0
	s_barrier_signal -1
	s_barrier_wait -1
	s_and_saveexec_b32 s46, s10
	s_cbranch_execz .LBB26_663
; %bb.662:                              ;   in Loop: Header=BB26_3 Depth=1
	ds_load_b64 v[2:3], v7 offset:11952
	v_mov_b32_e32 v0, v7
	ds_store_b64 v7, v[34:35] offset:11960
	s_wait_dscnt 0x1
	ds_store_b128 v7, v[0:3] offset:11440
.LBB26_663:                             ;   in Loop: Header=BB26_3 Depth=1
	s_or_b32 exec_lo, exec_lo, s46
	v_mov_b64_e32 v[2:3], 0
	s_wait_dscnt 0x0
	s_barrier_signal -1
	s_barrier_wait -1
	global_wb scope:SCOPE_DEV
	s_wait_storecnt 0x0
	global_inv scope:SCOPE_DEV
	s_and_saveexec_b32 s46, s0
	s_cbranch_execz .LBB26_667
; %bb.664:                              ;   in Loop: Header=BB26_3 Depth=1
	ds_load_b64 v[2:3], v72 offset:11424
	ds_load_b64 v[48:49], v57 offset:11952
	s_wait_dscnt 0x0
	v_fma_f64 v[2:3], v[2:3], v[48:49], 0
	s_and_saveexec_b32 s47, s11
	s_cbranch_execz .LBB26_666
; %bb.665:                              ;   in Loop: Header=BB26_3 Depth=1
	ds_load_b64 v[48:49], v58 offset:11936
	ds_load_b64 v[98:99], v7 offset:11960
	s_wait_dscnt 0x0
	v_fmac_f64_e32 v[2:3], v[48:49], v[98:99]
.LBB26_666:                             ;   in Loop: Header=BB26_3 Depth=1
	s_or_b32 exec_lo, exec_lo, s47
.LBB26_667:                             ;   in Loop: Header=BB26_3 Depth=1
	s_delay_alu instid0(SALU_CYCLE_1)
	s_or_b32 exec_lo, exec_lo, s46
	s_and_saveexec_b32 s46, s90
; %bb.668:                              ;   in Loop: Header=BB26_3 Depth=1
	s_delay_alu instid0(VALU_DEP_1) | instskip(NEXT) | instid1(VALU_DEP_2)
	v_xor_b32_e32 v49, 0x80000000, v3
	v_mov_b32_e32 v48, v2
	ds_store_b64 v73, v[48:49]
; %bb.669:                              ;   in Loop: Header=BB26_3 Depth=1
	s_or_b32 exec_lo, exec_lo, s46
	s_wait_loadcnt_dscnt 0x0
	s_barrier_signal -1
	s_barrier_wait -1
	s_and_saveexec_b32 s46, s91
	s_cbranch_execz .LBB26_671
; %bb.670:                              ;   in Loop: Header=BB26_3 Depth=1
	ds_load_b64 v[48:49], v7 offset:10912
	ds_load_b64 v[98:99], v73
	s_wait_dscnt 0x0
	v_fma_f64 v[2:3], -v[48:49], v[98:99], v[2:3]
.LBB26_671:                             ;   in Loop: Header=BB26_3 Depth=1
	s_or_b32 exec_lo, exec_lo, s46
	s_barrier_signal -1
	s_barrier_wait -1
	s_and_saveexec_b32 s46, s91
; %bb.672:                              ;   in Loop: Header=BB26_3 Depth=1
	s_delay_alu instid0(VALU_DEP_1) | instskip(NEXT) | instid1(VALU_DEP_2)
	v_xor_b32_e32 v49, 0x80000000, v3
	v_mov_b32_e32 v48, v2
	ds_store_b64 v73, v[48:49]
; %bb.673:                              ;   in Loop: Header=BB26_3 Depth=1
	s_or_b32 exec_lo, exec_lo, s46
	s_wait_dscnt 0x0
	s_barrier_signal -1
	s_barrier_wait -1
	s_barrier_signal -1
	s_barrier_wait -1
	s_and_saveexec_b32 s46, s0
; %bb.674:                              ;   in Loop: Header=BB26_3 Depth=1
	ds_store_b64 v75, v[2:3] offset:11936
; %bb.675:                              ;   in Loop: Header=BB26_3 Depth=1
	s_or_b32 exec_lo, exec_lo, s46
	s_wait_dscnt 0x0
	s_barrier_signal -1
	s_barrier_wait -1
	s_barrier_signal -1
	s_barrier_wait -1
	s_and_saveexec_b32 s46, s92
	s_cbranch_execz .LBB26_677
; %bb.676:                              ;   in Loop: Header=BB26_3 Depth=1
	ds_load_b64 v[2:3], v60 offset:11424
	s_wait_dscnt 0x0
	ds_store_b64 v58, v[2:3] offset:10416
	ds_load_b64 v[2:3], v60 offset:11432
	s_wait_dscnt 0x0
	ds_store_b64 v58, v[2:3] offset:10928
.LBB26_677:                             ;   in Loop: Header=BB26_3 Depth=1
	s_or_b32 exec_lo, exec_lo, s46
	s_wait_dscnt 0x0
	s_barrier_signal -1
	s_barrier_wait -1
	s_and_saveexec_b32 s46, s10
	s_cbranch_execz .LBB26_679
; %bb.678:                              ;   in Loop: Header=BB26_3 Depth=1
	ds_load_b64 v[2:3], v7 offset:10912
	v_mov_b32_e32 v0, v7
	ds_store_b64 v7, v[34:35] offset:10920
	s_wait_dscnt 0x1
	ds_store_b128 v7, v[0:3] offset:10400
.LBB26_679:                             ;   in Loop: Header=BB26_3 Depth=1
	s_or_b32 exec_lo, exec_lo, s46
	v_mov_b64_e32 v[2:3], 0
	s_wait_dscnt 0x0
	s_barrier_signal -1
	s_barrier_wait -1
	global_wb scope:SCOPE_DEV
	s_wait_storecnt 0x0
	global_inv scope:SCOPE_DEV
	s_and_saveexec_b32 s57, s2
	s_cbranch_execz .LBB26_685
; %bb.680:                              ;   in Loop: Header=BB26_3 Depth=1
	ds_load_b64 v[2:3], v74 offset:10368
	ds_load_b64 v[48:49], v59 offset:11936
	s_wait_dscnt 0x0
	v_fma_f64 v[2:3], v[2:3], v[48:49], 0
	s_and_saveexec_b32 s46, s12
	s_cbranch_execnz .LBB26_1101
; %bb.681:                              ;   in Loop: Header=BB26_3 Depth=1
	s_or_b32 exec_lo, exec_lo, s46
	s_and_saveexec_b32 s46, s13
	s_cbranch_execnz .LBB26_1102
.LBB26_682:                             ;   in Loop: Header=BB26_3 Depth=1
	s_or_b32 exec_lo, exec_lo, s46
	s_and_saveexec_b32 s46, s0
	s_cbranch_execz .LBB26_684
.LBB26_683:                             ;   in Loop: Header=BB26_3 Depth=1
	ds_load_b64 v[48:49], v62 offset:11904
	ds_load_b64 v[98:99], v7 offset:11960
	s_wait_dscnt 0x0
	v_fmac_f64_e32 v[2:3], v[48:49], v[98:99]
.LBB26_684:                             ;   in Loop: Header=BB26_3 Depth=1
	s_or_b32 exec_lo, exec_lo, s46
.LBB26_685:                             ;   in Loop: Header=BB26_3 Depth=1
	s_delay_alu instid0(SALU_CYCLE_1)
	s_or_b32 exec_lo, exec_lo, s57
	s_and_saveexec_b32 s46, s93
; %bb.686:                              ;   in Loop: Header=BB26_3 Depth=1
	s_delay_alu instid0(VALU_DEP_1) | instskip(NEXT) | instid1(VALU_DEP_2)
	v_xor_b32_e32 v49, 0x80000000, v3
	v_mov_b32_e32 v48, v2
	ds_store_b64 v77, v[48:49]
; %bb.687:                              ;   in Loop: Header=BB26_3 Depth=1
	s_or_b32 exec_lo, exec_lo, s46
	s_wait_loadcnt_dscnt 0x0
	s_barrier_signal -1
	s_barrier_wait -1
	s_and_saveexec_b32 s46, s94
	s_cbranch_execz .LBB26_689
; %bb.688:                              ;   in Loop: Header=BB26_3 Depth=1
	ds_load_b64 v[48:49], v74 offset:9856
	ds_load_b64 v[98:99], v77
	s_wait_dscnt 0x0
	v_fma_f64 v[2:3], -v[48:49], v[98:99], v[2:3]
.LBB26_689:                             ;   in Loop: Header=BB26_3 Depth=1
	s_or_b32 exec_lo, exec_lo, s46
	s_barrier_signal -1
	s_barrier_wait -1
	s_and_saveexec_b32 s46, s95
; %bb.690:                              ;   in Loop: Header=BB26_3 Depth=1
	s_delay_alu instid0(VALU_DEP_1) | instskip(NEXT) | instid1(VALU_DEP_2)
	v_xor_b32_e32 v49, 0x80000000, v3
	v_mov_b32_e32 v48, v2
	ds_store_b64 v77, v[48:49]
; %bb.691:                              ;   in Loop: Header=BB26_3 Depth=1
	s_or_b32 exec_lo, exec_lo, s46
	s_wait_dscnt 0x0
	s_barrier_signal -1
	s_barrier_wait -1
	s_and_saveexec_b32 s46, s96
	s_cbranch_execz .LBB26_693
; %bb.692:                              ;   in Loop: Header=BB26_3 Depth=1
	ds_load_b64 v[48:49], v74 offset:9344
	ds_load_b64 v[98:99], v77
	s_wait_dscnt 0x0
	v_fma_f64 v[2:3], -v[48:49], v[98:99], v[2:3]
.LBB26_693:                             ;   in Loop: Header=BB26_3 Depth=1
	s_or_b32 exec_lo, exec_lo, s46
	s_barrier_signal -1
	s_barrier_wait -1
	s_and_saveexec_b32 s46, s97
; %bb.694:                              ;   in Loop: Header=BB26_3 Depth=1
	s_delay_alu instid0(VALU_DEP_1) | instskip(NEXT) | instid1(VALU_DEP_2)
	v_xor_b32_e32 v49, 0x80000000, v3
	v_mov_b32_e32 v48, v2
	ds_store_b64 v77, v[48:49]
; %bb.695:                              ;   in Loop: Header=BB26_3 Depth=1
	s_or_b32 exec_lo, exec_lo, s46
	s_wait_dscnt 0x0
	;; [unrolled: 22-line block ×3, first 2 shown]
	s_barrier_signal -1
	s_barrier_wait -1
	s_barrier_signal -1
	s_barrier_wait -1
	s_and_saveexec_b32 s46, s2
; %bb.700:                              ;   in Loop: Header=BB26_3 Depth=1
	ds_store_b64 v79, v[2:3] offset:11904
; %bb.701:                              ;   in Loop: Header=BB26_3 Depth=1
	s_or_b32 exec_lo, exec_lo, s46
	s_wait_dscnt 0x0
	s_barrier_signal -1
	s_barrier_wait -1
	s_barrier_signal -1
	s_barrier_wait -1
	s_and_saveexec_b32 s46, s99
	s_cbranch_execz .LBB26_703
; %bb.702:                              ;   in Loop: Header=BB26_3 Depth=1
	ds_load_b64 v[2:3], v67 offset:10368
	s_wait_dscnt 0x0
	ds_store_b64 v68, v[2:3] offset:8352
	ds_load_b64 v[2:3], v67 offset:10376
	s_wait_dscnt 0x0
	ds_store_b64 v68, v[2:3] offset:8864
	;; [unrolled: 3-line block ×4, first 2 shown]
.LBB26_703:                             ;   in Loop: Header=BB26_3 Depth=1
	s_or_b32 exec_lo, exec_lo, s46
	s_wait_dscnt 0x0
	s_barrier_signal -1
	s_barrier_wait -1
	s_and_saveexec_b32 s46, s10
	s_cbranch_execz .LBB26_705
; %bb.704:                              ;   in Loop: Header=BB26_3 Depth=1
	ds_load_b64 v[2:3], v7 offset:9872
	v_mov_b32_e32 v0, v7
	ds_store_b64 v7, v[34:35] offset:9880
	s_wait_dscnt 0x1
	ds_store_b128 v7, v[0:3] offset:9360
.LBB26_705:                             ;   in Loop: Header=BB26_3 Depth=1
	s_or_b32 exec_lo, exec_lo, s46
	v_mov_b64_e32 v[2:3], 0
	s_wait_dscnt 0x0
	s_barrier_signal -1
	s_barrier_wait -1
	global_wb scope:SCOPE_DEV
	s_wait_storecnt 0x0
	global_inv scope:SCOPE_DEV
	s_and_saveexec_b32 s46, s0
	s_cbranch_execz .LBB26_709
; %bb.706:                              ;   in Loop: Header=BB26_3 Depth=1
	ds_load_b64 v[2:3], v72 offset:9344
	ds_load_b64 v[48:49], v57 offset:9872
	s_wait_dscnt 0x0
	v_fma_f64 v[2:3], v[2:3], v[48:49], 0
	s_and_saveexec_b32 s47, s11
	s_cbranch_execz .LBB26_708
; %bb.707:                              ;   in Loop: Header=BB26_3 Depth=1
	ds_load_b64 v[48:49], v68 offset:9856
	ds_load_b64 v[98:99], v7 offset:9880
	s_wait_dscnt 0x0
	v_fmac_f64_e32 v[2:3], v[48:49], v[98:99]
.LBB26_708:                             ;   in Loop: Header=BB26_3 Depth=1
	s_or_b32 exec_lo, exec_lo, s47
.LBB26_709:                             ;   in Loop: Header=BB26_3 Depth=1
	s_delay_alu instid0(SALU_CYCLE_1)
	s_or_b32 exec_lo, exec_lo, s46
	s_and_saveexec_b32 s46, s90
; %bb.710:                              ;   in Loop: Header=BB26_3 Depth=1
	s_delay_alu instid0(VALU_DEP_1) | instskip(NEXT) | instid1(VALU_DEP_2)
	v_xor_b32_e32 v49, 0x80000000, v3
	v_mov_b32_e32 v48, v2
	ds_store_b64 v73, v[48:49]
; %bb.711:                              ;   in Loop: Header=BB26_3 Depth=1
	s_or_b32 exec_lo, exec_lo, s46
	s_wait_loadcnt_dscnt 0x0
	s_barrier_signal -1
	s_barrier_wait -1
	s_and_saveexec_b32 s46, s91
	s_cbranch_execz .LBB26_713
; %bb.712:                              ;   in Loop: Header=BB26_3 Depth=1
	ds_load_b64 v[48:49], v7 offset:8832
	ds_load_b64 v[98:99], v73
	s_wait_dscnt 0x0
	v_fma_f64 v[2:3], -v[48:49], v[98:99], v[2:3]
.LBB26_713:                             ;   in Loop: Header=BB26_3 Depth=1
	s_or_b32 exec_lo, exec_lo, s46
	s_barrier_signal -1
	s_barrier_wait -1
	s_and_saveexec_b32 s46, s91
; %bb.714:                              ;   in Loop: Header=BB26_3 Depth=1
	s_delay_alu instid0(VALU_DEP_1) | instskip(NEXT) | instid1(VALU_DEP_2)
	v_xor_b32_e32 v49, 0x80000000, v3
	v_mov_b32_e32 v48, v2
	ds_store_b64 v73, v[48:49]
; %bb.715:                              ;   in Loop: Header=BB26_3 Depth=1
	s_or_b32 exec_lo, exec_lo, s46
	s_wait_dscnt 0x0
	s_barrier_signal -1
	s_barrier_wait -1
	s_barrier_signal -1
	s_barrier_wait -1
	s_and_saveexec_b32 s46, s0
; %bb.716:                              ;   in Loop: Header=BB26_3 Depth=1
	ds_store_b64 v75, v[2:3] offset:9856
; %bb.717:                              ;   in Loop: Header=BB26_3 Depth=1
	s_or_b32 exec_lo, exec_lo, s46
	s_wait_dscnt 0x0
	s_barrier_signal -1
	s_barrier_wait -1
	s_barrier_signal -1
	s_barrier_wait -1
	s_and_saveexec_b32 s46, s92
	s_cbranch_execz .LBB26_719
; %bb.718:                              ;   in Loop: Header=BB26_3 Depth=1
	ds_load_b64 v[2:3], v69 offset:9344
	s_wait_dscnt 0x0
	ds_store_b64 v68, v[2:3] offset:8336
	ds_load_b64 v[2:3], v69 offset:9352
	s_wait_dscnt 0x0
	ds_store_b64 v68, v[2:3] offset:8848
.LBB26_719:                             ;   in Loop: Header=BB26_3 Depth=1
	s_or_b32 exec_lo, exec_lo, s46
	s_wait_dscnt 0x0
	s_barrier_signal -1
	s_barrier_wait -1
	s_and_saveexec_b32 s46, s10
	s_cbranch_execz .LBB26_721
; %bb.720:                              ;   in Loop: Header=BB26_3 Depth=1
	ds_load_b64 v[2:3], v7 offset:8832
	v_mov_b32_e32 v0, v7
	ds_store_b64 v7, v[34:35] offset:8840
	s_wait_dscnt 0x1
	ds_store_b128 v7, v[0:3] offset:8320
.LBB26_721:                             ;   in Loop: Header=BB26_3 Depth=1
	s_or_b32 exec_lo, exec_lo, s46
	v_mov_b64_e32 v[2:3], 0
	s_wait_dscnt 0x0
	s_barrier_signal -1
	s_barrier_wait -1
	global_wb scope:SCOPE_DEV
	s_wait_storecnt 0x0
	global_inv scope:SCOPE_DEV
	s_and_saveexec_b32 s61, s4
	s_cbranch_execz .LBB26_749
; %bb.722:                              ;   in Loop: Header=BB26_3 Depth=1
	ds_load_b64 v[2:3], v78 offset:8192
	ds_load_b64 v[48:49], v65 offset:16000
	s_wait_dscnt 0x0
	v_fma_f64 v[2:3], v[2:3], v[48:49], 0
	s_mov_b32 s46, exec_lo
	v_readlane_b32 s47, v103, 19
	s_and_b32 s47, s46, s47
	s_delay_alu instid0(SALU_CYCLE_1)
	s_mov_b32 exec_lo, s47
	s_cbranch_execz .LBB26_724
; %bb.723:                              ;   in Loop: Header=BB26_3 Depth=1
	ds_load_b64 v[48:49], v78 offset:8704
	ds_load_b64 v[98:99], v65 offset:16008
	s_wait_dscnt 0x0
	v_fmac_f64_e32 v[2:3], v[48:49], v[98:99]
.LBB26_724:                             ;   in Loop: Header=BB26_3 Depth=1
	s_or_b32 exec_lo, exec_lo, s46
	s_delay_alu instid0(SALU_CYCLE_1) | instskip(SKIP_2) | instid1(SALU_CYCLE_1)
	s_mov_b32 s46, exec_lo
	v_readlane_b32 s47, v103, 20
	s_and_b32 s47, s46, s47
	s_mov_b32 exec_lo, s47
	s_cbranch_execz .LBB26_726
; %bb.725:                              ;   in Loop: Header=BB26_3 Depth=1
	ds_load_b64 v[48:49], v78 offset:9216
	ds_load_b64 v[98:99], v65 offset:16016
	s_wait_dscnt 0x0
	v_fmac_f64_e32 v[2:3], v[48:49], v[98:99]
.LBB26_726:                             ;   in Loop: Header=BB26_3 Depth=1
	s_or_b32 exec_lo, exec_lo, s46
	s_delay_alu instid0(SALU_CYCLE_1) | instskip(SKIP_2) | instid1(SALU_CYCLE_1)
	s_mov_b32 s46, exec_lo
	v_readlane_b32 s47, v103, 21
	s_and_b32 s47, s46, s47
	;; [unrolled: 13-line block ×10, first 2 shown]
	s_mov_b32 exec_lo, s47
	s_cbranch_execnz .LBB26_1103
; %bb.743:                              ;   in Loop: Header=BB26_3 Depth=1
	s_or_b32 exec_lo, exec_lo, s46
	s_and_saveexec_b32 s46, s3
	s_cbranch_execnz .LBB26_1104
.LBB26_744:                             ;   in Loop: Header=BB26_3 Depth=1
	s_or_b32 exec_lo, exec_lo, s46
	s_and_saveexec_b32 s46, s15
	s_cbranch_execnz .LBB26_1105
.LBB26_745:                             ;   in Loop: Header=BB26_3 Depth=1
	s_or_b32 exec_lo, exec_lo, s46
	s_and_saveexec_b32 s46, s17
	s_cbranch_execnz .LBB26_1106
.LBB26_746:                             ;   in Loop: Header=BB26_3 Depth=1
	s_or_b32 exec_lo, exec_lo, s46
	s_and_saveexec_b32 s46, s2
	s_cbranch_execz .LBB26_748
.LBB26_747:                             ;   in Loop: Header=BB26_3 Depth=1
	ds_load_b64 v[48:49], v11 offset:15872
	ds_load_b64 v[98:99], v7 offset:16120
	s_wait_dscnt 0x0
	v_fmac_f64_e32 v[2:3], v[48:49], v[98:99]
.LBB26_748:                             ;   in Loop: Header=BB26_3 Depth=1
	s_or_b32 exec_lo, exec_lo, s46
.LBB26_749:                             ;   in Loop: Header=BB26_3 Depth=1
	s_delay_alu instid0(SALU_CYCLE_1) | instskip(NEXT) | instid1(SALU_CYCLE_1)
	s_or_b32 exec_lo, exec_lo, s61
	s_mov_b32 s46, exec_lo
	v_readlane_b32 s47, v103, 2
	s_and_b32 s47, s46, s47
	s_delay_alu instid0(SALU_CYCLE_1)
	s_mov_b32 exec_lo, s47
; %bb.750:                              ;   in Loop: Header=BB26_3 Depth=1
	v_xor_b32_e32 v49, 0x80000000, v3
	v_mov_b32_e32 v48, v2
	ds_store_b64 v82, v[48:49]
; %bb.751:                              ;   in Loop: Header=BB26_3 Depth=1
	s_or_b32 exec_lo, exec_lo, s46
	s_wait_loadcnt_dscnt 0x0
	s_barrier_signal -1
	s_barrier_wait -1
	s_mov_b32 s46, exec_lo
	v_readlane_b32 s47, v103, 3
	s_and_b32 s47, s46, s47
	s_delay_alu instid0(SALU_CYCLE_1)
	s_mov_b32 exec_lo, s47
	s_cbranch_execz .LBB26_753
; %bb.752:                              ;   in Loop: Header=BB26_3 Depth=1
	ds_load_b64 v[48:49], v78 offset:7680
	ds_load_b64 v[98:99], v82
	s_wait_dscnt 0x0
	v_fma_f64 v[2:3], -v[48:49], v[98:99], v[2:3]
.LBB26_753:                             ;   in Loop: Header=BB26_3 Depth=1
	s_or_b32 exec_lo, exec_lo, s46
	s_barrier_signal -1
	s_barrier_wait -1
	s_mov_b32 s46, exec_lo
	v_readlane_b32 s47, v103, 4
	s_and_b32 s47, s46, s47
	s_delay_alu instid0(SALU_CYCLE_1)
	s_mov_b32 exec_lo, s47
; %bb.754:                              ;   in Loop: Header=BB26_3 Depth=1
	v_xor_b32_e32 v49, 0x80000000, v3
	v_mov_b32_e32 v48, v2
	ds_store_b64 v82, v[48:49]
; %bb.755:                              ;   in Loop: Header=BB26_3 Depth=1
	s_or_b32 exec_lo, exec_lo, s46
	s_wait_dscnt 0x0
	s_barrier_signal -1
	s_barrier_wait -1
	s_mov_b32 s46, exec_lo
	v_readlane_b32 s47, v103, 5
	s_and_b32 s47, s46, s47
	s_delay_alu instid0(SALU_CYCLE_1)
	s_mov_b32 exec_lo, s47
	s_cbranch_execz .LBB26_757
; %bb.756:                              ;   in Loop: Header=BB26_3 Depth=1
	ds_load_b64 v[48:49], v78 offset:7168
	ds_load_b64 v[98:99], v82
	s_wait_dscnt 0x0
	v_fma_f64 v[2:3], -v[48:49], v[98:99], v[2:3]
.LBB26_757:                             ;   in Loop: Header=BB26_3 Depth=1
	s_or_b32 exec_lo, exec_lo, s46
	s_barrier_signal -1
	s_barrier_wait -1
	s_mov_b32 s46, exec_lo
	v_readlane_b32 s47, v103, 6
	s_and_b32 s47, s46, s47
	s_delay_alu instid0(SALU_CYCLE_1)
	s_mov_b32 exec_lo, s47
; %bb.758:                              ;   in Loop: Header=BB26_3 Depth=1
	v_xor_b32_e32 v49, 0x80000000, v3
	v_mov_b32_e32 v48, v2
	ds_store_b64 v82, v[48:49]
; %bb.759:                              ;   in Loop: Header=BB26_3 Depth=1
	s_or_b32 exec_lo, exec_lo, s46
	s_wait_dscnt 0x0
	;; [unrolled: 29-line block ×3, first 2 shown]
	s_barrier_signal -1
	s_barrier_wait -1
	s_and_saveexec_b32 s46, s48
	s_cbranch_execz .LBB26_765
; %bb.764:                              ;   in Loop: Header=BB26_3 Depth=1
	ds_load_b64 v[48:49], v78 offset:6144
	ds_load_b64 v[98:99], v82
	s_wait_dscnt 0x0
	v_fma_f64 v[2:3], -v[48:49], v[98:99], v[2:3]
.LBB26_765:                             ;   in Loop: Header=BB26_3 Depth=1
	s_or_b32 exec_lo, exec_lo, s46
	s_barrier_signal -1
	s_barrier_wait -1
	s_and_saveexec_b32 s46, s49
; %bb.766:                              ;   in Loop: Header=BB26_3 Depth=1
	s_delay_alu instid0(VALU_DEP_1) | instskip(NEXT) | instid1(VALU_DEP_2)
	v_xor_b32_e32 v49, 0x80000000, v3
	v_mov_b32_e32 v48, v2
	ds_store_b64 v82, v[48:49]
; %bb.767:                              ;   in Loop: Header=BB26_3 Depth=1
	s_or_b32 exec_lo, exec_lo, s46
	s_wait_dscnt 0x0
	s_barrier_signal -1
	s_barrier_wait -1
	s_and_saveexec_b32 s46, s50
	s_cbranch_execz .LBB26_769
; %bb.768:                              ;   in Loop: Header=BB26_3 Depth=1
	ds_load_b64 v[48:49], v78 offset:5632
	ds_load_b64 v[98:99], v82
	s_wait_dscnt 0x0
	v_fma_f64 v[2:3], -v[48:49], v[98:99], v[2:3]
.LBB26_769:                             ;   in Loop: Header=BB26_3 Depth=1
	s_or_b32 exec_lo, exec_lo, s46
	s_barrier_signal -1
	s_barrier_wait -1
	s_and_saveexec_b32 s46, s51
; %bb.770:                              ;   in Loop: Header=BB26_3 Depth=1
	s_delay_alu instid0(VALU_DEP_1) | instskip(NEXT) | instid1(VALU_DEP_2)
	v_xor_b32_e32 v49, 0x80000000, v3
	v_mov_b32_e32 v48, v2
	ds_store_b64 v82, v[48:49]
; %bb.771:                              ;   in Loop: Header=BB26_3 Depth=1
	s_or_b32 exec_lo, exec_lo, s46
	s_wait_dscnt 0x0
	;; [unrolled: 22-line block ×12, first 2 shown]
	s_barrier_signal -1
	s_barrier_wait -1
	s_barrier_signal -1
	s_barrier_wait -1
	s_and_saveexec_b32 s46, s4
; %bb.812:                              ;   in Loop: Header=BB26_3 Depth=1
	ds_store_b64 v83, v[2:3] offset:15872
; %bb.813:                              ;   in Loop: Header=BB26_3 Depth=1
	s_or_b32 exec_lo, exec_lo, s46
	s_wait_dscnt 0x0
	s_barrier_signal -1
	s_barrier_wait -1
	s_barrier_signal -1
	s_barrier_wait -1
	s_and_saveexec_b32 s57, s43
	s_cbranch_execz .LBB26_815
; %bb.814:                              ;   in Loop: Header=BB26_3 Depth=1
	ds_load_b64 v[2:3], v50 offset:8192
	s_wait_dscnt 0x0
	ds_store_b64 v51, v[2:3] offset:128
	ds_load_b64 v[2:3], v50 offset:8200
	s_wait_dscnt 0x0
	ds_store_b64 v51, v[2:3] offset:640
	;; [unrolled: 3-line block ×16, first 2 shown]
.LBB26_815:                             ;   in Loop: Header=BB26_3 Depth=1
	s_or_b32 exec_lo, exec_lo, s57
	s_wait_dscnt 0x0
	s_barrier_signal -1
	s_barrier_wait -1
	s_and_saveexec_b32 s46, s10
	s_cbranch_execz .LBB26_817
; %bb.816:                              ;   in Loop: Header=BB26_3 Depth=1
	ds_load_b64 v[2:3], v7 offset:7792
	v_mov_b32_e32 v0, v7
	ds_store_b64 v7, v[34:35] offset:7800
	s_wait_dscnt 0x1
	ds_store_b128 v7, v[0:3] offset:7280
.LBB26_817:                             ;   in Loop: Header=BB26_3 Depth=1
	s_or_b32 exec_lo, exec_lo, s46
	v_mov_b64_e32 v[2:3], 0
	s_wait_dscnt 0x0
	s_barrier_signal -1
	s_barrier_wait -1
	global_wb scope:SCOPE_DEV
	s_wait_storecnt 0x0
	global_inv scope:SCOPE_DEV
	s_and_saveexec_b32 s46, s0
	s_cbranch_execz .LBB26_821
; %bb.818:                              ;   in Loop: Header=BB26_3 Depth=1
	ds_load_b64 v[2:3], v72 offset:7264
	ds_load_b64 v[48:49], v57 offset:7792
	s_wait_dscnt 0x0
	v_fma_f64 v[2:3], v[2:3], v[48:49], 0
	s_and_saveexec_b32 s47, s11
	s_cbranch_execz .LBB26_820
; %bb.819:                              ;   in Loop: Header=BB26_3 Depth=1
	ds_load_b64 v[48:49], v11 offset:7776
	ds_load_b64 v[98:99], v7 offset:7800
	s_wait_dscnt 0x0
	v_fmac_f64_e32 v[2:3], v[48:49], v[98:99]
.LBB26_820:                             ;   in Loop: Header=BB26_3 Depth=1
	s_or_b32 exec_lo, exec_lo, s47
.LBB26_821:                             ;   in Loop: Header=BB26_3 Depth=1
	s_delay_alu instid0(SALU_CYCLE_1)
	s_or_b32 exec_lo, exec_lo, s46
	s_and_saveexec_b32 s46, s90
; %bb.822:                              ;   in Loop: Header=BB26_3 Depth=1
	s_delay_alu instid0(VALU_DEP_1) | instskip(NEXT) | instid1(VALU_DEP_2)
	v_xor_b32_e32 v49, 0x80000000, v3
	v_mov_b32_e32 v48, v2
	ds_store_b64 v73, v[48:49]
; %bb.823:                              ;   in Loop: Header=BB26_3 Depth=1
	s_or_b32 exec_lo, exec_lo, s46
	s_wait_loadcnt_dscnt 0x0
	s_barrier_signal -1
	s_barrier_wait -1
	s_and_saveexec_b32 s46, s91
	s_cbranch_execz .LBB26_825
; %bb.824:                              ;   in Loop: Header=BB26_3 Depth=1
	ds_load_b64 v[48:49], v7 offset:6752
	ds_load_b64 v[98:99], v73
	s_wait_dscnt 0x0
	v_fma_f64 v[2:3], -v[48:49], v[98:99], v[2:3]
.LBB26_825:                             ;   in Loop: Header=BB26_3 Depth=1
	s_or_b32 exec_lo, exec_lo, s46
	s_barrier_signal -1
	s_barrier_wait -1
	s_and_saveexec_b32 s46, s91
; %bb.826:                              ;   in Loop: Header=BB26_3 Depth=1
	s_delay_alu instid0(VALU_DEP_1) | instskip(NEXT) | instid1(VALU_DEP_2)
	v_xor_b32_e32 v49, 0x80000000, v3
	v_mov_b32_e32 v48, v2
	ds_store_b64 v73, v[48:49]
; %bb.827:                              ;   in Loop: Header=BB26_3 Depth=1
	s_or_b32 exec_lo, exec_lo, s46
	s_wait_dscnt 0x0
	s_barrier_signal -1
	s_barrier_wait -1
	s_barrier_signal -1
	s_barrier_wait -1
	s_and_saveexec_b32 s46, s0
; %bb.828:                              ;   in Loop: Header=BB26_3 Depth=1
	ds_store_b64 v75, v[2:3] offset:7776
; %bb.829:                              ;   in Loop: Header=BB26_3 Depth=1
	s_or_b32 exec_lo, exec_lo, s46
	s_wait_dscnt 0x0
	s_barrier_signal -1
	s_barrier_wait -1
	s_barrier_signal -1
	s_barrier_wait -1
	s_and_saveexec_b32 s46, s92
	s_cbranch_execz .LBB26_831
; %bb.830:                              ;   in Loop: Header=BB26_3 Depth=1
	ds_load_b64 v[2:3], v50 offset:7264
	s_wait_dscnt 0x0
	ds_store_b64 v11, v[2:3] offset:6256
	ds_load_b64 v[2:3], v50 offset:7272
	s_wait_dscnt 0x0
	ds_store_b64 v11, v[2:3] offset:6768
.LBB26_831:                             ;   in Loop: Header=BB26_3 Depth=1
	s_or_b32 exec_lo, exec_lo, s46
	s_wait_dscnt 0x0
	s_barrier_signal -1
	s_barrier_wait -1
	s_and_saveexec_b32 s46, s10
	s_cbranch_execz .LBB26_833
; %bb.832:                              ;   in Loop: Header=BB26_3 Depth=1
	ds_load_b64 v[2:3], v7 offset:6752
	v_mov_b32_e32 v0, v7
	ds_store_b64 v7, v[34:35] offset:6760
	s_wait_dscnt 0x1
	ds_store_b128 v7, v[0:3] offset:6240
.LBB26_833:                             ;   in Loop: Header=BB26_3 Depth=1
	s_or_b32 exec_lo, exec_lo, s46
	v_mov_b64_e32 v[2:3], 0
	s_wait_dscnt 0x0
	s_barrier_signal -1
	s_barrier_wait -1
	global_wb scope:SCOPE_DEV
	s_wait_storecnt 0x0
	global_inv scope:SCOPE_DEV
	s_and_saveexec_b32 s57, s2
	s_cbranch_execz .LBB26_839
; %bb.834:                              ;   in Loop: Header=BB26_3 Depth=1
	ds_load_b64 v[2:3], v74 offset:6208
	ds_load_b64 v[48:49], v59 offset:7776
	s_wait_dscnt 0x0
	v_fma_f64 v[2:3], v[2:3], v[48:49], 0
	s_and_saveexec_b32 s46, s12
	s_cbranch_execnz .LBB26_1107
; %bb.835:                              ;   in Loop: Header=BB26_3 Depth=1
	s_or_b32 exec_lo, exec_lo, s46
	s_and_saveexec_b32 s46, s13
	s_cbranch_execnz .LBB26_1108
.LBB26_836:                             ;   in Loop: Header=BB26_3 Depth=1
	s_or_b32 exec_lo, exec_lo, s46
	s_and_saveexec_b32 s46, s0
	s_cbranch_execz .LBB26_838
.LBB26_837:                             ;   in Loop: Header=BB26_3 Depth=1
	ds_load_b64 v[48:49], v51 offset:7744
	ds_load_b64 v[98:99], v7 offset:7800
	s_wait_dscnt 0x0
	v_fmac_f64_e32 v[2:3], v[48:49], v[98:99]
.LBB26_838:                             ;   in Loop: Header=BB26_3 Depth=1
	s_or_b32 exec_lo, exec_lo, s46
.LBB26_839:                             ;   in Loop: Header=BB26_3 Depth=1
	s_delay_alu instid0(SALU_CYCLE_1)
	s_or_b32 exec_lo, exec_lo, s57
	s_and_saveexec_b32 s46, s93
; %bb.840:                              ;   in Loop: Header=BB26_3 Depth=1
	s_delay_alu instid0(VALU_DEP_1) | instskip(NEXT) | instid1(VALU_DEP_2)
	v_xor_b32_e32 v49, 0x80000000, v3
	v_mov_b32_e32 v48, v2
	ds_store_b64 v77, v[48:49]
; %bb.841:                              ;   in Loop: Header=BB26_3 Depth=1
	s_or_b32 exec_lo, exec_lo, s46
	s_wait_loadcnt_dscnt 0x0
	s_barrier_signal -1
	s_barrier_wait -1
	s_and_saveexec_b32 s46, s94
	s_cbranch_execz .LBB26_843
; %bb.842:                              ;   in Loop: Header=BB26_3 Depth=1
	ds_load_b64 v[48:49], v74 offset:5696
	ds_load_b64 v[98:99], v77
	s_wait_dscnt 0x0
	v_fma_f64 v[2:3], -v[48:49], v[98:99], v[2:3]
.LBB26_843:                             ;   in Loop: Header=BB26_3 Depth=1
	s_or_b32 exec_lo, exec_lo, s46
	s_barrier_signal -1
	s_barrier_wait -1
	s_and_saveexec_b32 s46, s95
; %bb.844:                              ;   in Loop: Header=BB26_3 Depth=1
	s_delay_alu instid0(VALU_DEP_1) | instskip(NEXT) | instid1(VALU_DEP_2)
	v_xor_b32_e32 v49, 0x80000000, v3
	v_mov_b32_e32 v48, v2
	ds_store_b64 v77, v[48:49]
; %bb.845:                              ;   in Loop: Header=BB26_3 Depth=1
	s_or_b32 exec_lo, exec_lo, s46
	s_wait_dscnt 0x0
	s_barrier_signal -1
	s_barrier_wait -1
	s_and_saveexec_b32 s46, s96
	s_cbranch_execz .LBB26_847
; %bb.846:                              ;   in Loop: Header=BB26_3 Depth=1
	ds_load_b64 v[48:49], v74 offset:5184
	ds_load_b64 v[98:99], v77
	s_wait_dscnt 0x0
	v_fma_f64 v[2:3], -v[48:49], v[98:99], v[2:3]
.LBB26_847:                             ;   in Loop: Header=BB26_3 Depth=1
	s_or_b32 exec_lo, exec_lo, s46
	s_barrier_signal -1
	s_barrier_wait -1
	s_and_saveexec_b32 s46, s97
; %bb.848:                              ;   in Loop: Header=BB26_3 Depth=1
	s_delay_alu instid0(VALU_DEP_1) | instskip(NEXT) | instid1(VALU_DEP_2)
	v_xor_b32_e32 v49, 0x80000000, v3
	v_mov_b32_e32 v48, v2
	ds_store_b64 v77, v[48:49]
; %bb.849:                              ;   in Loop: Header=BB26_3 Depth=1
	s_or_b32 exec_lo, exec_lo, s46
	s_wait_dscnt 0x0
	s_barrier_signal -1
	s_barrier_wait -1
	s_and_saveexec_b32 s46, s98
	s_cbranch_execz .LBB26_851
; %bb.850:                              ;   in Loop: Header=BB26_3 Depth=1
	ds_load_b64 v[48:49], v7 offset:4672
	ds_load_b64 v[98:99], v77
	s_wait_dscnt 0x0
	v_fma_f64 v[2:3], -v[48:49], v[98:99], v[2:3]
.LBB26_851:                             ;   in Loop: Header=BB26_3 Depth=1
	s_or_b32 exec_lo, exec_lo, s46
	s_barrier_signal -1
	s_barrier_wait -1
	s_and_saveexec_b32 s46, s98
; %bb.852:                              ;   in Loop: Header=BB26_3 Depth=1
	s_delay_alu instid0(VALU_DEP_1) | instskip(NEXT) | instid1(VALU_DEP_2)
	v_xor_b32_e32 v49, 0x80000000, v3
	v_mov_b32_e32 v48, v2
	ds_store_b64 v77, v[48:49]
; %bb.853:                              ;   in Loop: Header=BB26_3 Depth=1
	s_or_b32 exec_lo, exec_lo, s46
	s_wait_dscnt 0x0
	s_barrier_signal -1
	s_barrier_wait -1
	s_barrier_signal -1
	s_barrier_wait -1
	s_and_saveexec_b32 s46, s2
; %bb.854:                              ;   in Loop: Header=BB26_3 Depth=1
	ds_store_b64 v79, v[2:3] offset:7744
; %bb.855:                              ;   in Loop: Header=BB26_3 Depth=1
	s_or_b32 exec_lo, exec_lo, s46
	s_wait_dscnt 0x0
	s_barrier_signal -1
	s_barrier_wait -1
	s_barrier_signal -1
	s_barrier_wait -1
	s_and_saveexec_b32 s46, s99
	s_cbranch_execz .LBB26_857
; %bb.856:                              ;   in Loop: Header=BB26_3 Depth=1
	ds_load_b64 v[2:3], v52 offset:6208
	s_wait_dscnt 0x0
	ds_store_b64 v53, v[2:3] offset:4192
	ds_load_b64 v[2:3], v52 offset:6216
	s_wait_dscnt 0x0
	ds_store_b64 v53, v[2:3] offset:4704
	ds_load_b64 v[2:3], v52 offset:6224
	s_wait_dscnt 0x0
	ds_store_b64 v53, v[2:3] offset:5216
	ds_load_b64 v[2:3], v52 offset:6232
	s_wait_dscnt 0x0
	ds_store_b64 v53, v[2:3] offset:5728
.LBB26_857:                             ;   in Loop: Header=BB26_3 Depth=1
	s_or_b32 exec_lo, exec_lo, s46
	s_wait_dscnt 0x0
	s_barrier_signal -1
	s_barrier_wait -1
	s_and_saveexec_b32 s46, s10
	s_cbranch_execz .LBB26_859
; %bb.858:                              ;   in Loop: Header=BB26_3 Depth=1
	ds_load_b64 v[2:3], v7 offset:5712
	v_mov_b32_e32 v0, v7
	ds_store_b64 v7, v[34:35] offset:5720
	s_wait_dscnt 0x1
	ds_store_b128 v7, v[0:3] offset:5200
.LBB26_859:                             ;   in Loop: Header=BB26_3 Depth=1
	s_or_b32 exec_lo, exec_lo, s46
	v_mov_b64_e32 v[2:3], 0
	s_wait_dscnt 0x0
	s_barrier_signal -1
	s_barrier_wait -1
	global_wb scope:SCOPE_DEV
	s_wait_storecnt 0x0
	global_inv scope:SCOPE_DEV
	s_and_saveexec_b32 s46, s0
	s_cbranch_execz .LBB26_863
; %bb.860:                              ;   in Loop: Header=BB26_3 Depth=1
	ds_load_b64 v[2:3], v72 offset:5184
	ds_load_b64 v[48:49], v57 offset:5712
	s_wait_dscnt 0x0
	v_fma_f64 v[2:3], v[2:3], v[48:49], 0
	s_and_saveexec_b32 s47, s11
	s_cbranch_execz .LBB26_862
; %bb.861:                              ;   in Loop: Header=BB26_3 Depth=1
	ds_load_b64 v[48:49], v53 offset:5696
	ds_load_b64 v[98:99], v7 offset:5720
	s_wait_dscnt 0x0
	v_fmac_f64_e32 v[2:3], v[48:49], v[98:99]
.LBB26_862:                             ;   in Loop: Header=BB26_3 Depth=1
	s_or_b32 exec_lo, exec_lo, s47
.LBB26_863:                             ;   in Loop: Header=BB26_3 Depth=1
	s_delay_alu instid0(SALU_CYCLE_1)
	s_or_b32 exec_lo, exec_lo, s46
	s_and_saveexec_b32 s46, s90
; %bb.864:                              ;   in Loop: Header=BB26_3 Depth=1
	s_delay_alu instid0(VALU_DEP_1) | instskip(NEXT) | instid1(VALU_DEP_2)
	v_xor_b32_e32 v49, 0x80000000, v3
	v_mov_b32_e32 v48, v2
	ds_store_b64 v73, v[48:49]
; %bb.865:                              ;   in Loop: Header=BB26_3 Depth=1
	s_or_b32 exec_lo, exec_lo, s46
	s_wait_loadcnt_dscnt 0x0
	s_barrier_signal -1
	s_barrier_wait -1
	s_and_saveexec_b32 s46, s91
	s_cbranch_execz .LBB26_867
; %bb.866:                              ;   in Loop: Header=BB26_3 Depth=1
	ds_load_b64 v[48:49], v7 offset:4672
	ds_load_b64 v[98:99], v73
	s_wait_dscnt 0x0
	v_fma_f64 v[2:3], -v[48:49], v[98:99], v[2:3]
.LBB26_867:                             ;   in Loop: Header=BB26_3 Depth=1
	s_or_b32 exec_lo, exec_lo, s46
	s_barrier_signal -1
	s_barrier_wait -1
	s_and_saveexec_b32 s46, s91
; %bb.868:                              ;   in Loop: Header=BB26_3 Depth=1
	s_delay_alu instid0(VALU_DEP_1) | instskip(NEXT) | instid1(VALU_DEP_2)
	v_xor_b32_e32 v49, 0x80000000, v3
	v_mov_b32_e32 v48, v2
	ds_store_b64 v73, v[48:49]
; %bb.869:                              ;   in Loop: Header=BB26_3 Depth=1
	s_or_b32 exec_lo, exec_lo, s46
	s_wait_dscnt 0x0
	s_barrier_signal -1
	s_barrier_wait -1
	s_barrier_signal -1
	s_barrier_wait -1
	s_and_saveexec_b32 s46, s0
; %bb.870:                              ;   in Loop: Header=BB26_3 Depth=1
	ds_store_b64 v75, v[2:3] offset:5696
; %bb.871:                              ;   in Loop: Header=BB26_3 Depth=1
	s_or_b32 exec_lo, exec_lo, s46
	s_wait_dscnt 0x0
	s_barrier_signal -1
	s_barrier_wait -1
	s_barrier_signal -1
	s_barrier_wait -1
	s_and_saveexec_b32 s46, s92
	s_cbranch_execz .LBB26_873
; %bb.872:                              ;   in Loop: Header=BB26_3 Depth=1
	ds_load_b64 v[2:3], v54 offset:5184
	s_wait_dscnt 0x0
	ds_store_b64 v53, v[2:3] offset:4176
	ds_load_b64 v[2:3], v54 offset:5192
	s_wait_dscnt 0x0
	ds_store_b64 v53, v[2:3] offset:4688
.LBB26_873:                             ;   in Loop: Header=BB26_3 Depth=1
	s_or_b32 exec_lo, exec_lo, s46
	s_wait_dscnt 0x0
	s_barrier_signal -1
	s_barrier_wait -1
	s_and_saveexec_b32 s46, s10
	s_cbranch_execz .LBB26_875
; %bb.874:                              ;   in Loop: Header=BB26_3 Depth=1
	ds_load_b64 v[2:3], v7 offset:4672
	v_mov_b32_e32 v0, v7
	ds_store_b64 v7, v[34:35] offset:4680
	s_wait_dscnt 0x1
	ds_store_b128 v7, v[0:3] offset:4160
.LBB26_875:                             ;   in Loop: Header=BB26_3 Depth=1
	s_or_b32 exec_lo, exec_lo, s46
	v_mov_b64_e32 v[2:3], 0
	s_wait_dscnt 0x0
	s_barrier_signal -1
	s_barrier_wait -1
	global_wb scope:SCOPE_DEV
	s_wait_storecnt 0x0
	global_inv scope:SCOPE_DEV
	s_and_saveexec_b32 s57, s3
	s_cbranch_execz .LBB26_885
; %bb.876:                              ;   in Loop: Header=BB26_3 Depth=1
	ds_load_b64 v[2:3], v76 offset:4096
	ds_load_b64 v[48:49], v63 offset:7744
	s_wait_dscnt 0x0
	v_fma_f64 v[2:3], v[2:3], v[48:49], 0
	s_and_saveexec_b32 s46, s14
	s_cbranch_execnz .LBB26_1109
; %bb.877:                              ;   in Loop: Header=BB26_3 Depth=1
	s_or_b32 exec_lo, exec_lo, s46
	s_and_saveexec_b32 s46, s15
	s_cbranch_execnz .LBB26_1110
.LBB26_878:                             ;   in Loop: Header=BB26_3 Depth=1
	s_or_b32 exec_lo, exec_lo, s46
	s_and_saveexec_b32 s46, s16
	s_cbranch_execnz .LBB26_1111
.LBB26_879:                             ;   in Loop: Header=BB26_3 Depth=1
	s_or_b32 exec_lo, exec_lo, s46
	s_and_saveexec_b32 s46, s17
	s_cbranch_execnz .LBB26_1112
.LBB26_880:                             ;   in Loop: Header=BB26_3 Depth=1
	s_or_b32 exec_lo, exec_lo, s46
	s_and_saveexec_b32 s46, s18
	s_cbranch_execnz .LBB26_1113
.LBB26_881:                             ;   in Loop: Header=BB26_3 Depth=1
	s_or_b32 exec_lo, exec_lo, s46
	s_and_saveexec_b32 s46, s2
	s_cbranch_execnz .LBB26_1114
.LBB26_882:                             ;   in Loop: Header=BB26_3 Depth=1
	s_or_b32 exec_lo, exec_lo, s46
	s_and_saveexec_b32 s46, s13
	s_cbranch_execz .LBB26_884
.LBB26_883:                             ;   in Loop: Header=BB26_3 Depth=1
	ds_load_b64 v[48:49], v55 offset:7680
	ds_load_b64 v[98:99], v7 offset:7800
	s_wait_dscnt 0x0
	v_fmac_f64_e32 v[2:3], v[48:49], v[98:99]
.LBB26_884:                             ;   in Loop: Header=BB26_3 Depth=1
	s_or_b32 exec_lo, exec_lo, s46
.LBB26_885:                             ;   in Loop: Header=BB26_3 Depth=1
	s_delay_alu instid0(SALU_CYCLE_1)
	s_or_b32 exec_lo, exec_lo, s57
	s_and_saveexec_b32 s46, s100
; %bb.886:                              ;   in Loop: Header=BB26_3 Depth=1
	s_delay_alu instid0(VALU_DEP_1) | instskip(NEXT) | instid1(VALU_DEP_2)
	v_xor_b32_e32 v49, 0x80000000, v3
	v_mov_b32_e32 v48, v2
	ds_store_b64 v80, v[48:49]
; %bb.887:                              ;   in Loop: Header=BB26_3 Depth=1
	s_or_b32 exec_lo, exec_lo, s46
	s_wait_loadcnt_dscnt 0x0
	s_barrier_signal -1
	s_barrier_wait -1
	s_and_saveexec_b32 s46, s101
	s_cbranch_execz .LBB26_889
; %bb.888:                              ;   in Loop: Header=BB26_3 Depth=1
	ds_load_b64 v[48:49], v76 offset:3584
	ds_load_b64 v[98:99], v80
	s_wait_dscnt 0x0
	v_fma_f64 v[2:3], -v[48:49], v[98:99], v[2:3]
.LBB26_889:                             ;   in Loop: Header=BB26_3 Depth=1
	s_or_b32 exec_lo, exec_lo, s46
	s_barrier_signal -1
	s_barrier_wait -1
	s_and_saveexec_b32 s46, s102
; %bb.890:                              ;   in Loop: Header=BB26_3 Depth=1
	s_delay_alu instid0(VALU_DEP_1) | instskip(NEXT) | instid1(VALU_DEP_2)
	v_xor_b32_e32 v49, 0x80000000, v3
	v_mov_b32_e32 v48, v2
	ds_store_b64 v80, v[48:49]
; %bb.891:                              ;   in Loop: Header=BB26_3 Depth=1
	s_or_b32 exec_lo, exec_lo, s46
	s_wait_dscnt 0x0
	s_barrier_signal -1
	s_barrier_wait -1
	s_and_saveexec_b32 s46, s103
	s_cbranch_execz .LBB26_893
; %bb.892:                              ;   in Loop: Header=BB26_3 Depth=1
	ds_load_b64 v[48:49], v76 offset:3072
	ds_load_b64 v[98:99], v80
	s_wait_dscnt 0x0
	v_fma_f64 v[2:3], -v[48:49], v[98:99], v[2:3]
.LBB26_893:                             ;   in Loop: Header=BB26_3 Depth=1
	s_or_b32 exec_lo, exec_lo, s46
	s_barrier_signal -1
	s_barrier_wait -1
	s_and_saveexec_b32 s46, s104
; %bb.894:                              ;   in Loop: Header=BB26_3 Depth=1
	s_delay_alu instid0(VALU_DEP_1) | instskip(NEXT) | instid1(VALU_DEP_2)
	v_xor_b32_e32 v49, 0x80000000, v3
	v_mov_b32_e32 v48, v2
	ds_store_b64 v80, v[48:49]
; %bb.895:                              ;   in Loop: Header=BB26_3 Depth=1
	s_or_b32 exec_lo, exec_lo, s46
	s_wait_dscnt 0x0
	s_barrier_signal -1
	s_barrier_wait -1
	s_and_saveexec_b32 s46, vcc_hi
	s_cbranch_execz .LBB26_897
; %bb.896:                              ;   in Loop: Header=BB26_3 Depth=1
	ds_load_b64 v[48:49], v76 offset:2560
	ds_load_b64 v[98:99], v80
	s_wait_dscnt 0x0
	v_fma_f64 v[2:3], -v[48:49], v[98:99], v[2:3]
.LBB26_897:                             ;   in Loop: Header=BB26_3 Depth=1
	s_or_b32 exec_lo, exec_lo, s46
	s_barrier_signal -1
	s_barrier_wait -1
	s_and_saveexec_b32 s46, s31
; %bb.898:                              ;   in Loop: Header=BB26_3 Depth=1
	s_delay_alu instid0(VALU_DEP_1) | instskip(NEXT) | instid1(VALU_DEP_2)
	v_xor_b32_e32 v49, 0x80000000, v3
	v_mov_b32_e32 v48, v2
	ds_store_b64 v80, v[48:49]
; %bb.899:                              ;   in Loop: Header=BB26_3 Depth=1
	s_or_b32 exec_lo, exec_lo, s46
	s_wait_dscnt 0x0
	s_barrier_signal -1
	s_barrier_wait -1
	s_and_saveexec_b32 s46, s33
	s_cbranch_execz .LBB26_901
; %bb.900:                              ;   in Loop: Header=BB26_3 Depth=1
	ds_load_b64 v[48:49], v76 offset:2048
	ds_load_b64 v[98:99], v80
	s_wait_dscnt 0x0
	v_fma_f64 v[2:3], -v[48:49], v[98:99], v[2:3]
.LBB26_901:                             ;   in Loop: Header=BB26_3 Depth=1
	s_or_b32 exec_lo, exec_lo, s46
	s_barrier_signal -1
	s_barrier_wait -1
	s_and_saveexec_b32 s46, s34
; %bb.902:                              ;   in Loop: Header=BB26_3 Depth=1
	s_delay_alu instid0(VALU_DEP_1) | instskip(NEXT) | instid1(VALU_DEP_2)
	v_xor_b32_e32 v49, 0x80000000, v3
	v_mov_b32_e32 v48, v2
	ds_store_b64 v80, v[48:49]
; %bb.903:                              ;   in Loop: Header=BB26_3 Depth=1
	s_or_b32 exec_lo, exec_lo, s46
	s_wait_dscnt 0x0
	s_barrier_signal -1
	s_barrier_wait -1
	s_and_saveexec_b32 s46, s35
	;; [unrolled: 22-line block ×4, first 2 shown]
	s_cbranch_execz .LBB26_913
; %bb.912:                              ;   in Loop: Header=BB26_3 Depth=1
	ds_load_b64 v[48:49], v7 offset:512
	ds_load_b64 v[98:99], v80
	s_wait_dscnt 0x0
	v_fma_f64 v[2:3], -v[48:49], v[98:99], v[2:3]
.LBB26_913:                             ;   in Loop: Header=BB26_3 Depth=1
	s_or_b32 exec_lo, exec_lo, s46
	s_barrier_signal -1
	s_barrier_wait -1
	s_and_saveexec_b32 s46, s39
; %bb.914:                              ;   in Loop: Header=BB26_3 Depth=1
	s_delay_alu instid0(VALU_DEP_1) | instskip(NEXT) | instid1(VALU_DEP_2)
	v_xor_b32_e32 v49, 0x80000000, v3
	v_mov_b32_e32 v48, v2
	ds_store_b64 v80, v[48:49]
; %bb.915:                              ;   in Loop: Header=BB26_3 Depth=1
	s_or_b32 exec_lo, exec_lo, s46
	s_wait_dscnt 0x0
	s_barrier_signal -1
	s_barrier_wait -1
	s_barrier_signal -1
	s_barrier_wait -1
	s_and_saveexec_b32 s46, s3
; %bb.916:                              ;   in Loop: Header=BB26_3 Depth=1
	ds_store_b64 v81, v[2:3] offset:7680
; %bb.917:                              ;   in Loop: Header=BB26_3 Depth=1
	s_or_b32 exec_lo, exec_lo, s46
	s_wait_dscnt 0x0
	s_barrier_signal -1
	s_barrier_wait -1
	s_barrier_signal -1
	s_barrier_wait -1
	s_and_saveexec_b32 s46, s40
	s_cbranch_execz .LBB26_919
; %bb.918:                              ;   in Loop: Header=BB26_3 Depth=1
	ds_load_b64 v[2:3], v56 offset:4096
	s_wait_dscnt 0x0
	ds_store_b64 v58, v[2:3] offset:64
	ds_load_b64 v[2:3], v56 offset:4104
	s_wait_dscnt 0x0
	ds_store_b64 v58, v[2:3] offset:576
	;; [unrolled: 3-line block ×8, first 2 shown]
.LBB26_919:                             ;   in Loop: Header=BB26_3 Depth=1
	s_or_b32 exec_lo, exec_lo, s46
	s_wait_dscnt 0x0
	s_barrier_signal -1
	s_barrier_wait -1
	s_and_saveexec_b32 s46, s10
	s_cbranch_execz .LBB26_921
; %bb.920:                              ;   in Loop: Header=BB26_3 Depth=1
	ds_load_b64 v[2:3], v7 offset:3632
	v_mov_b32_e32 v0, v7
	ds_store_b64 v7, v[34:35] offset:3640
	s_wait_dscnt 0x1
	ds_store_b128 v7, v[0:3] offset:3120
.LBB26_921:                             ;   in Loop: Header=BB26_3 Depth=1
	s_or_b32 exec_lo, exec_lo, s46
	v_mov_b64_e32 v[2:3], 0
	s_wait_dscnt 0x0
	s_barrier_signal -1
	s_barrier_wait -1
	global_wb scope:SCOPE_DEV
	s_wait_storecnt 0x0
	global_inv scope:SCOPE_DEV
	s_and_saveexec_b32 s46, s0
	s_cbranch_execz .LBB26_925
; %bb.922:                              ;   in Loop: Header=BB26_3 Depth=1
	ds_load_b64 v[2:3], v72 offset:3104
	ds_load_b64 v[48:49], v57 offset:3632
	s_wait_dscnt 0x0
	v_fma_f64 v[2:3], v[2:3], v[48:49], 0
	s_and_saveexec_b32 s47, s11
	s_cbranch_execz .LBB26_924
; %bb.923:                              ;   in Loop: Header=BB26_3 Depth=1
	ds_load_b64 v[48:49], v58 offset:3616
	ds_load_b64 v[98:99], v7 offset:3640
	s_wait_dscnt 0x0
	v_fmac_f64_e32 v[2:3], v[48:49], v[98:99]
.LBB26_924:                             ;   in Loop: Header=BB26_3 Depth=1
	s_or_b32 exec_lo, exec_lo, s47
.LBB26_925:                             ;   in Loop: Header=BB26_3 Depth=1
	s_delay_alu instid0(SALU_CYCLE_1)
	s_or_b32 exec_lo, exec_lo, s46
	s_and_saveexec_b32 s46, s90
; %bb.926:                              ;   in Loop: Header=BB26_3 Depth=1
	s_delay_alu instid0(VALU_DEP_1) | instskip(NEXT) | instid1(VALU_DEP_2)
	v_xor_b32_e32 v49, 0x80000000, v3
	v_mov_b32_e32 v48, v2
	ds_store_b64 v73, v[48:49]
; %bb.927:                              ;   in Loop: Header=BB26_3 Depth=1
	s_or_b32 exec_lo, exec_lo, s46
	s_wait_loadcnt_dscnt 0x0
	s_barrier_signal -1
	s_barrier_wait -1
	s_and_saveexec_b32 s46, s91
	s_cbranch_execz .LBB26_929
; %bb.928:                              ;   in Loop: Header=BB26_3 Depth=1
	ds_load_b64 v[48:49], v7 offset:2592
	ds_load_b64 v[98:99], v73
	s_wait_dscnt 0x0
	v_fma_f64 v[2:3], -v[48:49], v[98:99], v[2:3]
.LBB26_929:                             ;   in Loop: Header=BB26_3 Depth=1
	s_or_b32 exec_lo, exec_lo, s46
	s_barrier_signal -1
	s_barrier_wait -1
	s_and_saveexec_b32 s46, s91
; %bb.930:                              ;   in Loop: Header=BB26_3 Depth=1
	s_delay_alu instid0(VALU_DEP_1) | instskip(NEXT) | instid1(VALU_DEP_2)
	v_xor_b32_e32 v49, 0x80000000, v3
	v_mov_b32_e32 v48, v2
	ds_store_b64 v73, v[48:49]
; %bb.931:                              ;   in Loop: Header=BB26_3 Depth=1
	s_or_b32 exec_lo, exec_lo, s46
	s_wait_dscnt 0x0
	s_barrier_signal -1
	s_barrier_wait -1
	s_barrier_signal -1
	s_barrier_wait -1
	s_and_saveexec_b32 s46, s0
; %bb.932:                              ;   in Loop: Header=BB26_3 Depth=1
	ds_store_b64 v75, v[2:3] offset:3616
; %bb.933:                              ;   in Loop: Header=BB26_3 Depth=1
	s_or_b32 exec_lo, exec_lo, s46
	s_wait_dscnt 0x0
	s_barrier_signal -1
	s_barrier_wait -1
	s_barrier_signal -1
	s_barrier_wait -1
	s_and_saveexec_b32 s46, s92
	s_cbranch_execz .LBB26_935
; %bb.934:                              ;   in Loop: Header=BB26_3 Depth=1
	ds_load_b64 v[2:3], v60 offset:3104
	s_wait_dscnt 0x0
	ds_store_b64 v58, v[2:3] offset:2096
	ds_load_b64 v[2:3], v60 offset:3112
	s_wait_dscnt 0x0
	ds_store_b64 v58, v[2:3] offset:2608
.LBB26_935:                             ;   in Loop: Header=BB26_3 Depth=1
	s_or_b32 exec_lo, exec_lo, s46
	s_wait_dscnt 0x0
	s_barrier_signal -1
	s_barrier_wait -1
	s_and_saveexec_b32 s46, s10
	s_cbranch_execz .LBB26_937
; %bb.936:                              ;   in Loop: Header=BB26_3 Depth=1
	ds_load_b64 v[2:3], v7 offset:2592
	v_mov_b32_e32 v0, v7
	ds_store_b64 v7, v[34:35] offset:2600
	s_wait_dscnt 0x1
	ds_store_b128 v7, v[0:3] offset:2080
.LBB26_937:                             ;   in Loop: Header=BB26_3 Depth=1
	s_or_b32 exec_lo, exec_lo, s46
	v_mov_b64_e32 v[2:3], 0
	s_wait_dscnt 0x0
	s_barrier_signal -1
	s_barrier_wait -1
	global_wb scope:SCOPE_DEV
	s_wait_storecnt 0x0
	global_inv scope:SCOPE_DEV
	s_and_saveexec_b32 s57, s2
	s_cbranch_execz .LBB26_943
; %bb.938:                              ;   in Loop: Header=BB26_3 Depth=1
	ds_load_b64 v[2:3], v74 offset:2048
	ds_load_b64 v[48:49], v59 offset:3616
	s_wait_dscnt 0x0
	v_fma_f64 v[2:3], v[2:3], v[48:49], 0
	s_and_saveexec_b32 s46, s12
	s_cbranch_execnz .LBB26_1115
; %bb.939:                              ;   in Loop: Header=BB26_3 Depth=1
	s_or_b32 exec_lo, exec_lo, s46
	s_and_saveexec_b32 s46, s13
	s_cbranch_execnz .LBB26_1116
.LBB26_940:                             ;   in Loop: Header=BB26_3 Depth=1
	s_or_b32 exec_lo, exec_lo, s46
	s_and_saveexec_b32 s46, s0
	s_cbranch_execz .LBB26_942
.LBB26_941:                             ;   in Loop: Header=BB26_3 Depth=1
	ds_load_b64 v[48:49], v62 offset:3584
	ds_load_b64 v[98:99], v7 offset:3640
	s_wait_dscnt 0x0
	v_fmac_f64_e32 v[2:3], v[48:49], v[98:99]
.LBB26_942:                             ;   in Loop: Header=BB26_3 Depth=1
	s_or_b32 exec_lo, exec_lo, s46
.LBB26_943:                             ;   in Loop: Header=BB26_3 Depth=1
	s_delay_alu instid0(SALU_CYCLE_1)
	s_or_b32 exec_lo, exec_lo, s57
	s_and_saveexec_b32 s46, s93
; %bb.944:                              ;   in Loop: Header=BB26_3 Depth=1
	s_delay_alu instid0(VALU_DEP_1) | instskip(NEXT) | instid1(VALU_DEP_2)
	v_xor_b32_e32 v49, 0x80000000, v3
	v_mov_b32_e32 v48, v2
	ds_store_b64 v77, v[48:49]
; %bb.945:                              ;   in Loop: Header=BB26_3 Depth=1
	s_or_b32 exec_lo, exec_lo, s46
	s_wait_loadcnt_dscnt 0x0
	s_barrier_signal -1
	s_barrier_wait -1
	s_and_saveexec_b32 s46, s94
	s_cbranch_execz .LBB26_947
; %bb.946:                              ;   in Loop: Header=BB26_3 Depth=1
	ds_load_b64 v[48:49], v74 offset:1536
	ds_load_b64 v[98:99], v77
	s_wait_dscnt 0x0
	v_fma_f64 v[2:3], -v[48:49], v[98:99], v[2:3]
.LBB26_947:                             ;   in Loop: Header=BB26_3 Depth=1
	s_or_b32 exec_lo, exec_lo, s46
	s_barrier_signal -1
	s_barrier_wait -1
	s_and_saveexec_b32 s46, s95
; %bb.948:                              ;   in Loop: Header=BB26_3 Depth=1
	s_delay_alu instid0(VALU_DEP_1) | instskip(NEXT) | instid1(VALU_DEP_2)
	v_xor_b32_e32 v49, 0x80000000, v3
	v_mov_b32_e32 v48, v2
	ds_store_b64 v77, v[48:49]
; %bb.949:                              ;   in Loop: Header=BB26_3 Depth=1
	s_or_b32 exec_lo, exec_lo, s46
	s_wait_dscnt 0x0
	s_barrier_signal -1
	s_barrier_wait -1
	s_and_saveexec_b32 s46, s96
	s_cbranch_execz .LBB26_951
; %bb.950:                              ;   in Loop: Header=BB26_3 Depth=1
	ds_load_b64 v[48:49], v74 offset:1024
	ds_load_b64 v[98:99], v77
	s_wait_dscnt 0x0
	v_fma_f64 v[2:3], -v[48:49], v[98:99], v[2:3]
.LBB26_951:                             ;   in Loop: Header=BB26_3 Depth=1
	s_or_b32 exec_lo, exec_lo, s46
	s_barrier_signal -1
	s_barrier_wait -1
	s_and_saveexec_b32 s46, s97
; %bb.952:                              ;   in Loop: Header=BB26_3 Depth=1
	s_delay_alu instid0(VALU_DEP_1) | instskip(NEXT) | instid1(VALU_DEP_2)
	v_xor_b32_e32 v49, 0x80000000, v3
	v_mov_b32_e32 v48, v2
	ds_store_b64 v77, v[48:49]
; %bb.953:                              ;   in Loop: Header=BB26_3 Depth=1
	s_or_b32 exec_lo, exec_lo, s46
	s_wait_dscnt 0x0
	;; [unrolled: 22-line block ×3, first 2 shown]
	s_barrier_signal -1
	s_barrier_wait -1
	s_barrier_signal -1
	s_barrier_wait -1
	s_and_saveexec_b32 s46, s2
; %bb.958:                              ;   in Loop: Header=BB26_3 Depth=1
	ds_store_b64 v79, v[2:3] offset:3584
; %bb.959:                              ;   in Loop: Header=BB26_3 Depth=1
	s_or_b32 exec_lo, exec_lo, s46
	s_wait_dscnt 0x0
	s_barrier_signal -1
	s_barrier_wait -1
	s_barrier_signal -1
	s_barrier_wait -1
	s_and_saveexec_b32 s46, s99
	s_cbranch_execz .LBB26_961
; %bb.960:                              ;   in Loop: Header=BB26_3 Depth=1
	ds_load_b64 v[2:3], v67 offset:2048
	s_wait_dscnt 0x0
	ds_store_b64 v68, v[2:3] offset:32
	ds_load_b64 v[2:3], v67 offset:2056
	s_wait_dscnt 0x0
	ds_store_b64 v68, v[2:3] offset:544
	;; [unrolled: 3-line block ×4, first 2 shown]
.LBB26_961:                             ;   in Loop: Header=BB26_3 Depth=1
	s_or_b32 exec_lo, exec_lo, s46
	s_wait_dscnt 0x0
	s_barrier_signal -1
	s_barrier_wait -1
	s_and_saveexec_b32 s46, s10
	s_cbranch_execz .LBB26_963
; %bb.962:                              ;   in Loop: Header=BB26_3 Depth=1
	ds_load_b64 v[2:3], v7 offset:1552
	v_mov_b32_e32 v0, v7
	ds_store_b64 v7, v[34:35] offset:1560
	s_wait_dscnt 0x1
	ds_store_b128 v7, v[0:3] offset:1040
.LBB26_963:                             ;   in Loop: Header=BB26_3 Depth=1
	s_or_b32 exec_lo, exec_lo, s46
	v_mov_b64_e32 v[2:3], 0
	s_wait_dscnt 0x0
	s_barrier_signal -1
	s_barrier_wait -1
	global_wb scope:SCOPE_DEV
	s_wait_storecnt 0x0
	global_inv scope:SCOPE_DEV
	s_and_saveexec_b32 s46, s0
	s_cbranch_execz .LBB26_967
; %bb.964:                              ;   in Loop: Header=BB26_3 Depth=1
	ds_load_b64 v[2:3], v72 offset:1024
	ds_load_b64 v[48:49], v57 offset:1552
	s_wait_dscnt 0x0
	v_fma_f64 v[2:3], v[2:3], v[48:49], 0
	s_and_saveexec_b32 s47, s11
	s_cbranch_execz .LBB26_966
; %bb.965:                              ;   in Loop: Header=BB26_3 Depth=1
	ds_load_b64 v[48:49], v68 offset:1536
	ds_load_b64 v[98:99], v7 offset:1560
	s_wait_dscnt 0x0
	v_fmac_f64_e32 v[2:3], v[48:49], v[98:99]
.LBB26_966:                             ;   in Loop: Header=BB26_3 Depth=1
	s_or_b32 exec_lo, exec_lo, s47
.LBB26_967:                             ;   in Loop: Header=BB26_3 Depth=1
	s_delay_alu instid0(SALU_CYCLE_1)
	s_or_b32 exec_lo, exec_lo, s46
	s_and_saveexec_b32 s46, s90
; %bb.968:                              ;   in Loop: Header=BB26_3 Depth=1
	s_delay_alu instid0(VALU_DEP_1) | instskip(NEXT) | instid1(VALU_DEP_2)
	v_xor_b32_e32 v49, 0x80000000, v3
	v_mov_b32_e32 v48, v2
	ds_store_b64 v73, v[48:49]
; %bb.969:                              ;   in Loop: Header=BB26_3 Depth=1
	s_or_b32 exec_lo, exec_lo, s46
	s_wait_loadcnt_dscnt 0x0
	s_barrier_signal -1
	s_barrier_wait -1
	s_and_saveexec_b32 s46, s91
	s_cbranch_execz .LBB26_971
; %bb.970:                              ;   in Loop: Header=BB26_3 Depth=1
	ds_load_b64 v[48:49], v7 offset:512
	ds_load_b64 v[98:99], v73
	s_wait_dscnt 0x0
	v_fma_f64 v[2:3], -v[48:49], v[98:99], v[2:3]
.LBB26_971:                             ;   in Loop: Header=BB26_3 Depth=1
	s_or_b32 exec_lo, exec_lo, s46
	s_barrier_signal -1
	s_barrier_wait -1
	s_and_saveexec_b32 s46, s91
; %bb.972:                              ;   in Loop: Header=BB26_3 Depth=1
	s_delay_alu instid0(VALU_DEP_1) | instskip(NEXT) | instid1(VALU_DEP_2)
	v_xor_b32_e32 v49, 0x80000000, v3
	v_mov_b32_e32 v48, v2
	ds_store_b64 v73, v[48:49]
; %bb.973:                              ;   in Loop: Header=BB26_3 Depth=1
	s_or_b32 exec_lo, exec_lo, s46
	s_wait_dscnt 0x0
	s_barrier_signal -1
	s_barrier_wait -1
	s_barrier_signal -1
	s_barrier_wait -1
	s_and_saveexec_b32 s46, s0
; %bb.974:                              ;   in Loop: Header=BB26_3 Depth=1
	ds_store_b64 v75, v[2:3] offset:1536
; %bb.975:                              ;   in Loop: Header=BB26_3 Depth=1
	s_or_b32 exec_lo, exec_lo, s46
	s_wait_dscnt 0x0
	s_barrier_signal -1
	s_barrier_wait -1
	s_barrier_signal -1
	s_barrier_wait -1
	s_and_saveexec_b32 s46, s92
	s_cbranch_execz .LBB26_977
; %bb.976:                              ;   in Loop: Header=BB26_3 Depth=1
	ds_load_b64 v[2:3], v69 offset:1024
	s_wait_dscnt 0x0
	ds_store_b64 v68, v[2:3] offset:16
	ds_load_b64 v[2:3], v69 offset:1032
	s_wait_dscnt 0x0
	ds_store_b64 v68, v[2:3] offset:528
.LBB26_977:                             ;   in Loop: Header=BB26_3 Depth=1
	s_or_b32 exec_lo, exec_lo, s46
	s_wait_dscnt 0x0
	s_barrier_signal -1
	s_barrier_wait -1
	s_and_saveexec_b32 s46, s10
	s_cbranch_execz .LBB26_979
; %bb.978:                              ;   in Loop: Header=BB26_3 Depth=1
	ds_load_b64 v[2:3], v7 offset:512
	v_mov_b32_e32 v0, v7
	ds_store_b64 v7, v[34:35] offset:520
	s_wait_dscnt 0x1
	ds_store_b128 v7, v[0:3]
.LBB26_979:                             ;   in Loop: Header=BB26_3 Depth=1
	s_or_b32 exec_lo, exec_lo, s46
.LBB26_980:                             ;   in Loop: Header=BB26_3 Depth=1
	v_mov_b64_e32 v[2:3], 0
	s_mul_u64 s[46:47], s[72:73], s[76:77]
	s_wait_dscnt 0x0
	s_lshl_b64 s[46:47], s[46:47], 3
	s_barrier_signal -1
	s_add_nc_u64 s[80:81], s[66:67], s[46:47]
	s_barrier_wait -1
	s_and_saveexec_b32 s46, s44
	s_cbranch_execz .LBB26_982
; %bb.981:                              ;   in Loop: Header=BB26_3 Depth=1
	v_lshl_add_u64 v[2:3], v[16:17], 3, s[80:81]
	global_load_b64 v[2:3], v[2:3], off
	s_wait_loadcnt 0x0
	v_mul_f64_e64 v[2:3], v[2:3], -v[46:47]
.LBB26_982:                             ;   in Loop: Header=BB26_3 Depth=1
	s_or_b32 exec_lo, exec_lo, s46
	s_delay_alu instid0(SALU_CYCLE_1)
	s_and_not1_b32 vcc_lo, exec_lo, s45
	s_cbranch_vccnz .LBB26_1008
; %bb.983:                              ;   in Loop: Header=BB26_3 Depth=1
	v_mov_b32_e32 v0, -1
	s_lshl_b64 s[46:47], s[76:77], 2
	s_mov_b32 s57, 0
	s_add_nc_u64 s[82:83], s[74:75], s[46:47]
	s_branch .LBB26_986
.LBB26_984:                             ;   in Loop: Header=BB26_986 Depth=2
	s_wait_xcnt 0x0
	ds_load_b64 v[46:47], v70 offset:384
	s_wait_loadcnt_dscnt 0x0
	v_fmac_f64_e32 v[2:3], v[48:49], v[46:47]
.LBB26_985:                             ;   in Loop: Header=BB26_986 Depth=2
	s_or_b32 exec_lo, exec_lo, s46
	s_add_co_i32 s57, s57, 1
	s_delay_alu instid0(SALU_CYCLE_1)
	s_cmp_eq_u32 s57, s86
	s_cbranch_scc1 .LBB26_1008
.LBB26_986:                             ;   Parent Loop BB26_3 Depth=1
                                        ; =>  This Loop Header: Depth=2
                                        ;       Child Loop BB26_988 Depth 3
	v_cmp_gt_i32_e32 vcc_lo, s57, v0
	s_and_b32 s47, s55, vcc_lo
	s_delay_alu instid0(SALU_CYCLE_1)
	s_and_saveexec_b32 s46, s47
	s_cbranch_execz .LBB26_989
; %bb.987:                              ;   in Loop: Header=BB26_986 Depth=2
	global_load_b32 v0, v7, s[82:83]
	s_wait_loadcnt 0x0
	v_cmp_le_i32_e32 vcc_lo, s57, v0
	s_cbranch_vccnz .LBB26_989
.LBB26_988:                             ;   Parent Loop BB26_3 Depth=1
                                        ;     Parent Loop BB26_986 Depth=2
                                        ; =>    This Inner Loop Header: Depth=3
	global_wb scope:SCOPE_DEV
	s_wait_storecnt 0x0
	global_inv scope:SCOPE_DEV
	global_load_b32 v0, v7, s[82:83]
	s_wait_loadcnt 0x0
	v_cmp_gt_i32_e32 vcc_lo, s57, v0
	s_cbranch_vccnz .LBB26_988
.LBB26_989:                             ;   in Loop: Header=BB26_986 Depth=2
	s_or_b32 exec_lo, exec_lo, s46
	s_lshl_b32 s61, s57, 6
	global_wb scope:SCOPE_DEV
	s_wait_storecnt 0x0
	global_inv scope:SCOPE_DEV
	s_wait_loadcnt 0x0
	s_barrier_signal -1
	s_barrier_wait -1
	s_and_saveexec_b32 s46, s56
	s_cbranch_execz .LBB26_993
; %bb.990:                              ;   in Loop: Header=BB26_986 Depth=2
	v_mov_b64_e32 v[46:47], 0
	v_or_b32_e32 v6, s61, v10
	s_mov_b32 s47, exec_lo
	s_delay_alu instid0(VALU_DEP_1)
	v_cmpx_gt_i32_e64 s85, v6
	s_cbranch_execz .LBB26_992
; %bb.991:                              ;   in Loop: Header=BB26_986 Depth=2
	v_mul_u64_e32 v[46:47], s[70:71], v[6:7]
	s_delay_alu instid0(VALU_DEP_1)
	v_lshl_add_u64 v[46:47], v[46:47], 3, s[80:81]
	global_load_b64 v[46:47], v[46:47], off
.LBB26_992:                             ;   in Loop: Header=BB26_986 Depth=2
	s_wait_xcnt 0x0
	s_or_b32 exec_lo, exec_lo, s47
	s_wait_loadcnt 0x0
	ds_store_b64 v71, v[46:47]
.LBB26_993:                             ;   in Loop: Header=BB26_986 Depth=2
	s_or_b32 exec_lo, exec_lo, s46
	v_add_nc_u32_e32 v6, s61, v4
	v_cmp_ne_u32_e32 vcc_lo, s57, v9
	s_wait_dscnt 0x0
	s_barrier_signal -1
	s_barrier_wait -1
	v_cmp_gt_i32_e64 s61, s85, v6
	v_lshl_add_u64 v[46:47], v[6:7], 3, v[44:45]
	v_cndmask_b32_e64 v29, 0, 1, vcc_lo
	s_and_b32 s47, s61, s5
	s_delay_alu instid0(SALU_CYCLE_1)
	s_and_saveexec_b32 s46, s47
	s_cbranch_execz .LBB26_997
; %bb.994:                              ;   in Loop: Header=BB26_986 Depth=2
	v_mov_b64_e32 v[48:49], v[36:37]
	s_and_not1_b32 vcc_lo, exec_lo, vcc_lo
	s_cbranch_vccnz .LBB26_996
; %bb.995:                              ;   in Loop: Header=BB26_986 Depth=2
	global_load_b64 v[48:49], v[46:47], off
.LBB26_996:                             ;   in Loop: Header=BB26_986 Depth=2
	ds_load_b64 v[98:99], v70
	s_wait_loadcnt_dscnt 0x0
	v_fmac_f64_e32 v[2:3], v[48:49], v[98:99]
.LBB26_997:                             ;   in Loop: Header=BB26_986 Depth=2
	s_or_b32 exec_lo, exec_lo, s46
	v_add_nc_u32_e32 v48, 16, v6
	s_delay_alu instid0(VALU_DEP_1) | instskip(SKIP_1) | instid1(SALU_CYCLE_1)
	v_cmp_gt_i32_e32 vcc_lo, s85, v48
	s_and_b32 s47, vcc_lo, s5
	s_and_saveexec_b32 s46, s47
	s_cbranch_execz .LBB26_1001
; %bb.998:                              ;   in Loop: Header=BB26_986 Depth=2
	v_cmp_ne_u32_e32 vcc_lo, 1, v29
	v_mov_b64_e32 v[48:49], v[38:39]
	s_cbranch_vccnz .LBB26_1000
; %bb.999:                              ;   in Loop: Header=BB26_986 Depth=2
	global_load_b64 v[48:49], v[46:47], off offset:128
.LBB26_1000:                            ;   in Loop: Header=BB26_986 Depth=2
	ds_load_b64 v[98:99], v70 offset:128
	s_wait_loadcnt_dscnt 0x0
	v_fmac_f64_e32 v[2:3], v[48:49], v[98:99]
.LBB26_1001:                            ;   in Loop: Header=BB26_986 Depth=2
	s_or_b32 exec_lo, exec_lo, s46
	v_add_nc_u32_e32 v48, 32, v6
	s_delay_alu instid0(VALU_DEP_1) | instskip(SKIP_1) | instid1(SALU_CYCLE_1)
	v_cmp_gt_i32_e32 vcc_lo, s85, v48
	s_and_b32 s47, vcc_lo, s5
	s_and_saveexec_b32 s46, s47
	s_cbranch_execz .LBB26_1005
; %bb.1002:                             ;   in Loop: Header=BB26_986 Depth=2
	v_cmp_ne_u32_e32 vcc_lo, 1, v29
	v_mov_b64_e32 v[48:49], v[40:41]
	s_cbranch_vccnz .LBB26_1004
; %bb.1003:                             ;   in Loop: Header=BB26_986 Depth=2
	global_load_b64 v[48:49], v[46:47], off offset:256
.LBB26_1004:                            ;   in Loop: Header=BB26_986 Depth=2
	ds_load_b64 v[98:99], v70 offset:256
	s_wait_loadcnt_dscnt 0x0
	v_fmac_f64_e32 v[2:3], v[48:49], v[98:99]
.LBB26_1005:                            ;   in Loop: Header=BB26_986 Depth=2
	s_or_b32 exec_lo, exec_lo, s46
	v_add_nc_u32_e32 v6, 48, v6
	s_delay_alu instid0(VALU_DEP_1) | instskip(SKIP_1) | instid1(SALU_CYCLE_1)
	v_cmp_gt_i32_e32 vcc_lo, s85, v6
	s_and_b32 s47, vcc_lo, s5
	s_and_saveexec_b32 s46, s47
	s_cbranch_execz .LBB26_985
; %bb.1006:                             ;   in Loop: Header=BB26_986 Depth=2
	v_cmp_ne_u32_e32 vcc_lo, 1, v29
	v_mov_b64_e32 v[48:49], v[42:43]
	s_cbranch_vccnz .LBB26_984
; %bb.1007:                             ;   in Loop: Header=BB26_986 Depth=2
	global_load_b64 v[48:49], v[46:47], off offset:384
	s_branch .LBB26_984
.LBB26_1008:                            ;   in Loop: Header=BB26_3 Depth=1
	ds_store_b64 v5, v[2:3]
	s_wait_dscnt 0x0
	s_barrier_signal -1
	s_barrier_wait -1
	s_and_saveexec_b32 s57, s1
	s_cbranch_execz .LBB26_1010
; %bb.1009:                             ;   in Loop: Header=BB26_3 Depth=1
	ds_load_2addr_stride64_b64 v[44:47], v90 offset0:1 offset1:2
	ds_load_2addr_stride64_b64 v[98:101], v90 offset0:3 offset1:4
	s_wait_dscnt 0x1
	v_add_f64_e32 v[2:3], v[2:3], v[44:45]
	s_delay_alu instid0(VALU_DEP_1) | instskip(SKIP_1) | instid1(VALU_DEP_1)
	v_add_f64_e32 v[2:3], v[2:3], v[46:47]
	s_wait_dscnt 0x0
	v_add_f64_e32 v[2:3], v[2:3], v[98:99]
	s_delay_alu instid0(VALU_DEP_1) | instskip(SKIP_4) | instid1(VALU_DEP_1)
	v_add_f64_e32 v[2:3], v[2:3], v[100:101]
	ds_load_2addr_stride64_b64 v[44:47], v90 offset0:5 offset1:6
	ds_load_2addr_stride64_b64 v[98:101], v90 offset0:7 offset1:8
	s_wait_dscnt 0x1
	v_add_f64_e32 v[2:3], v[2:3], v[44:45]
	v_add_f64_e32 v[2:3], v[2:3], v[46:47]
	s_wait_dscnt 0x0
	s_delay_alu instid0(VALU_DEP_1) | instskip(NEXT) | instid1(VALU_DEP_1)
	v_add_f64_e32 v[2:3], v[2:3], v[98:99]
	v_add_f64_e32 v[2:3], v[2:3], v[100:101]
	ds_load_2addr_stride64_b64 v[44:47], v90 offset0:9 offset1:10
	ds_load_2addr_stride64_b64 v[98:101], v90 offset0:11 offset1:12
	s_wait_dscnt 0x1
	v_add_f64_e32 v[2:3], v[2:3], v[44:45]
	s_delay_alu instid0(VALU_DEP_1) | instskip(SKIP_4) | instid1(VALU_DEP_1)
	v_add_f64_e32 v[2:3], v[2:3], v[46:47]
	ds_load_2addr_stride64_b64 v[44:47], v90 offset0:13 offset1:14
	ds_load_b64 v[48:49], v90 offset:7680
	s_wait_dscnt 0x2
	v_add_f64_e32 v[2:3], v[2:3], v[98:99]
	v_add_f64_e32 v[2:3], v[2:3], v[100:101]
	s_wait_dscnt 0x1
	s_delay_alu instid0(VALU_DEP_1) | instskip(NEXT) | instid1(VALU_DEP_1)
	v_add_f64_e32 v[2:3], v[2:3], v[44:45]
	v_add_f64_e32 v[2:3], v[2:3], v[46:47]
	s_wait_dscnt 0x0
	s_delay_alu instid0(VALU_DEP_1) | instskip(NEXT) | instid1(VALU_DEP_1)
	v_add_f64_e32 v[2:3], v[2:3], v[48:49]
	v_xor_b32_e32 v0, 0x80000000, v3
	s_delay_alu instid0(VALU_DEP_2) | instskip(NEXT) | instid1(VALU_DEP_2)
	v_cndmask_b32_e64 v2, v2, 0, s42
	v_cndmask_b32_e64 v3, v0, 0, s42
.LBB26_1010:                            ;   in Loop: Header=BB26_3 Depth=1
	s_or_b32 exec_lo, exec_lo, s57
	s_delay_alu instid0(SALU_CYCLE_1)
	s_and_not1_b32 vcc_lo, exec_lo, s89
	s_cbranch_vccnz .LBB26_1020
; %bb.1011:                             ;   in Loop: Header=BB26_3 Depth=1
	s_and_saveexec_b32 s46, s1
; %bb.1012:                             ;   in Loop: Header=BB26_3 Depth=1
	ds_store_b64 v93, v[2:3]
; %bb.1013:                             ;   in Loop: Header=BB26_3 Depth=1
	s_or_b32 exec_lo, exec_lo, s46
	v_mov_b64_e32 v[44:45], 0
	s_wait_dscnt 0x0
	s_barrier_signal -1
	s_barrier_wait -1
	s_and_saveexec_b32 s46, s6
	s_cbranch_execnz .LBB26_1059
; %bb.1014:                             ;   in Loop: Header=BB26_3 Depth=1
	s_or_b32 exec_lo, exec_lo, s46
	s_and_saveexec_b32 s46, s7
	s_cbranch_execnz .LBB26_1060
.LBB26_1015:                            ;   in Loop: Header=BB26_3 Depth=1
	s_or_b32 exec_lo, exec_lo, s46
	s_and_saveexec_b32 s46, s8
	s_cbranch_execnz .LBB26_1061
.LBB26_1016:                            ;   in Loop: Header=BB26_3 Depth=1
	s_or_b32 exec_lo, exec_lo, s46
	s_and_saveexec_b32 s46, s9
	s_cbranch_execz .LBB26_1018
.LBB26_1017:                            ;   in Loop: Header=BB26_3 Depth=1
	ds_load_b64 v[46:47], v92 offset:24576
	ds_load_b64 v[48:49], v70 offset:384
	s_wait_dscnt 0x0
	v_fmac_f64_e32 v[44:45], v[46:47], v[48:49]
.LBB26_1018:                            ;   in Loop: Header=BB26_3 Depth=1
	s_or_b32 exec_lo, exec_lo, s46
	s_mov_b32 s57, 0
	s_mov_b32 s61, 0
	ds_store_b64 v5, v[44:45]
	s_wait_dscnt 0x0
	s_barrier_signal -1
	s_barrier_wait -1
                                        ; implicit-def: $vgpr46_vgpr47
	s_and_saveexec_b32 s82, s1
	s_cbranch_execz .LBB26_1062
; %bb.1019:                             ;   in Loop: Header=BB26_3 Depth=1
	ds_load_2addr_stride64_b64 v[46:49], v90 offset0:1 offset1:2
	ds_load_2addr_stride64_b64 v[98:101], v90 offset0:3 offset1:4
	s_mov_b32 s61, exec_lo
	s_wait_dscnt 0x1
	v_add_f64_e32 v[44:45], v[44:45], v[46:47]
	s_delay_alu instid0(VALU_DEP_1) | instskip(SKIP_1) | instid1(VALU_DEP_1)
	v_add_f64_e32 v[44:45], v[48:49], v[44:45]
	s_wait_dscnt 0x0
	v_add_f64_e32 v[44:45], v[98:99], v[44:45]
	s_delay_alu instid0(VALU_DEP_1) | instskip(SKIP_4) | instid1(VALU_DEP_1)
	v_add_f64_e32 v[48:49], v[100:101], v[44:45]
	ds_load_2addr_stride64_b64 v[44:47], v90 offset0:5 offset1:6
	ds_load_2addr_stride64_b64 v[98:101], v90 offset0:7 offset1:8
	s_wait_dscnt 0x1
	v_add_f64_e32 v[44:45], v[44:45], v[48:49]
	v_add_f64_e32 v[44:45], v[46:47], v[44:45]
	s_wait_dscnt 0x0
	s_delay_alu instid0(VALU_DEP_1) | instskip(NEXT) | instid1(VALU_DEP_1)
	v_add_f64_e32 v[44:45], v[98:99], v[44:45]
	v_add_f64_e32 v[48:49], v[100:101], v[44:45]
	ds_load_2addr_stride64_b64 v[44:47], v90 offset0:9 offset1:10
	ds_load_2addr_stride64_b64 v[98:101], v90 offset0:11 offset1:12
	s_wait_dscnt 0x1
	v_add_f64_e32 v[44:45], v[44:45], v[48:49]
	s_delay_alu instid0(VALU_DEP_1) | instskip(SKIP_1) | instid1(VALU_DEP_1)
	v_add_f64_e32 v[44:45], v[46:47], v[44:45]
	s_wait_dscnt 0x0
	v_add_f64_e32 v[44:45], v[98:99], v[44:45]
	s_delay_alu instid0(VALU_DEP_1) | instskip(SKIP_4) | instid1(VALU_DEP_1)
	v_add_f64_e32 v[48:49], v[100:101], v[44:45]
	ds_load_2addr_stride64_b64 v[44:47], v90 offset0:13 offset1:14
	ds_load_b64 v[98:99], v90 offset:7680
	s_wait_dscnt 0x1
	v_add_f64_e32 v[44:45], v[44:45], v[48:49]
	v_add_f64_e32 v[44:45], v[46:47], v[44:45]
	s_wait_dscnt 0x0
	s_delay_alu instid0(VALU_DEP_1) | instskip(SKIP_1) | instid1(SALU_CYCLE_1)
	v_add_f64_e32 v[46:47], v[98:99], v[44:45]
	s_or_b32 exec_lo, exec_lo, s82
	s_and_b32 vcc_lo, exec_lo, s57
	s_cbranch_vccnz .LBB26_1021
	s_branch .LBB26_1063
.LBB26_1020:                            ;   in Loop: Header=BB26_3 Depth=1
	s_mov_b32 s61, 0
                                        ; implicit-def: $vgpr46_vgpr47
	s_cbranch_execz .LBB26_1063
.LBB26_1021:                            ;   in Loop: Header=BB26_3 Depth=1
	v_dual_mov_b32 v0, v8 :: v_dual_mov_b32 v6, v95
	s_mov_b32 s57, 0
	s_branch .LBB26_1023
.LBB26_1022:                            ;   in Loop: Header=BB26_1023 Depth=2
	s_or_b32 exec_lo, exec_lo, s46
	v_add_nc_u32_e32 v6, 0x800, v6
	v_add_nc_u32_e32 v0, -4, v0
	s_add_co_i32 s57, s57, 4
	s_delay_alu instid0(SALU_CYCLE_1)
	s_cmp_lg_u32 s57, 64
	s_barrier_signal -1
	s_barrier_wait -1
	s_cbranch_scc0 .LBB26_1039
.LBB26_1023:                            ;   Parent Loop BB26_3 Depth=1
                                        ; =>  This Inner Loop Header: Depth=2
	s_delay_alu instid0(VALU_DEP_1) | instskip(SKIP_1) | instid1(SALU_CYCLE_1)
	v_cmp_eq_u32_e32 vcc_lo, 0, v0
	s_and_b32 s47, s1, vcc_lo
	s_and_saveexec_b32 s46, s47
; %bb.1024:                             ;   in Loop: Header=BB26_1023 Depth=2
	ds_store_b64 v7, v[2:3] offset:41472
; %bb.1025:                             ;   in Loop: Header=BB26_1023 Depth=2
	s_or_b32 exec_lo, exec_lo, s46
	v_cmp_lt_u32_e32 vcc_lo, s57, v8
	s_wait_dscnt 0x0
	s_barrier_signal -1
	s_barrier_wait -1
	s_and_b32 s47, s1, vcc_lo
	s_delay_alu instid0(SALU_CYCLE_1)
	s_and_saveexec_b32 s46, s47
	s_cbranch_execz .LBB26_1027
; %bb.1026:                             ;   in Loop: Header=BB26_1023 Depth=2
	ds_load_b64 v[44:45], v6
	ds_load_b64 v[46:47], v7 offset:41472
	s_wait_dscnt 0x0
	v_fmac_f64_e32 v[2:3], v[44:45], v[46:47]
.LBB26_1027:                            ;   in Loop: Header=BB26_1023 Depth=2
	s_or_b32 exec_lo, exec_lo, s46
	s_or_b32 s46, s57, 1
	s_delay_alu instid0(SALU_CYCLE_1) | instskip(SKIP_3) | instid1(SALU_CYCLE_1)
	v_cmp_eq_u32_e32 vcc_lo, s46, v8
	s_barrier_signal -1
	s_barrier_wait -1
	s_and_b32 s82, s1, vcc_lo
	s_and_saveexec_b32 s47, s82
; %bb.1028:                             ;   in Loop: Header=BB26_1023 Depth=2
	ds_store_b64 v7, v[2:3] offset:41472
; %bb.1029:                             ;   in Loop: Header=BB26_1023 Depth=2
	s_or_b32 exec_lo, exec_lo, s47
	v_cmp_lt_u32_e32 vcc_lo, s46, v8
	s_wait_dscnt 0x0
	s_barrier_signal -1
	s_barrier_wait -1
	s_and_b32 s47, s1, vcc_lo
	s_delay_alu instid0(SALU_CYCLE_1)
	s_and_saveexec_b32 s46, s47
	s_cbranch_execz .LBB26_1031
; %bb.1030:                             ;   in Loop: Header=BB26_1023 Depth=2
	ds_load_b64 v[44:45], v6 offset:512
	ds_load_b64 v[46:47], v7 offset:41472
	s_wait_dscnt 0x0
	v_fmac_f64_e32 v[2:3], v[44:45], v[46:47]
.LBB26_1031:                            ;   in Loop: Header=BB26_1023 Depth=2
	s_or_b32 exec_lo, exec_lo, s46
	s_or_b32 s46, s57, 2
	s_delay_alu instid0(SALU_CYCLE_1) | instskip(SKIP_3) | instid1(SALU_CYCLE_1)
	v_cmp_eq_u32_e32 vcc_lo, s46, v8
	s_barrier_signal -1
	s_barrier_wait -1
	s_and_b32 s82, s1, vcc_lo
	s_and_saveexec_b32 s47, s82
; %bb.1032:                             ;   in Loop: Header=BB26_1023 Depth=2
	ds_store_b64 v7, v[2:3] offset:41472
; %bb.1033:                             ;   in Loop: Header=BB26_1023 Depth=2
	s_or_b32 exec_lo, exec_lo, s47
	v_cmp_lt_u32_e32 vcc_lo, s46, v8
	s_wait_dscnt 0x0
	s_barrier_signal -1
	s_barrier_wait -1
	s_and_b32 s47, s1, vcc_lo
	s_delay_alu instid0(SALU_CYCLE_1)
	s_and_saveexec_b32 s46, s47
	s_cbranch_execz .LBB26_1035
; %bb.1034:                             ;   in Loop: Header=BB26_1023 Depth=2
	ds_load_b64 v[44:45], v6 offset:1024
	ds_load_b64 v[46:47], v7 offset:41472
	s_wait_dscnt 0x0
	v_fmac_f64_e32 v[2:3], v[44:45], v[46:47]
.LBB26_1035:                            ;   in Loop: Header=BB26_1023 Depth=2
	s_or_b32 exec_lo, exec_lo, s46
	s_or_b32 s46, s57, 3
	s_delay_alu instid0(SALU_CYCLE_1) | instskip(SKIP_3) | instid1(SALU_CYCLE_1)
	v_cmp_eq_u32_e32 vcc_lo, s46, v8
	s_barrier_signal -1
	s_barrier_wait -1
	s_and_b32 s82, s1, vcc_lo
	s_and_saveexec_b32 s47, s82
; %bb.1036:                             ;   in Loop: Header=BB26_1023 Depth=2
	ds_store_b64 v7, v[2:3] offset:41472
; %bb.1037:                             ;   in Loop: Header=BB26_1023 Depth=2
	s_or_b32 exec_lo, exec_lo, s47
	v_cmp_lt_u32_e32 vcc_lo, s46, v8
	s_wait_dscnt 0x0
	s_barrier_signal -1
	s_barrier_wait -1
	s_and_b32 s47, s1, vcc_lo
	s_delay_alu instid0(SALU_CYCLE_1)
	s_and_saveexec_b32 s46, s47
	s_cbranch_execz .LBB26_1022
; %bb.1038:                             ;   in Loop: Header=BB26_1023 Depth=2
	ds_load_b64 v[44:45], v6 offset:1536
	ds_load_b64 v[46:47], v7 offset:41472
	s_wait_dscnt 0x0
	v_fmac_f64_e32 v[2:3], v[44:45], v[46:47]
	s_branch .LBB26_1022
.LBB26_1039:                            ;   in Loop: Header=BB26_3 Depth=1
	s_and_b32 vcc_lo, exec_lo, s88
	s_mov_b32 s46, -1
	s_cbranch_vccz .LBB26_1041
; %bb.1040:                             ;   in Loop: Header=BB26_3 Depth=1
	s_and_not1_b32 s47, s61, exec_lo
	s_and_b32 s57, s1, exec_lo
	s_mov_b32 s46, 0
	s_or_b32 s61, s47, s57
.LBB26_1041:                            ;   in Loop: Header=BB26_3 Depth=1
	s_and_not1_b32 vcc_lo, exec_lo, s46
	s_cbranch_vccnz .LBB26_1043
; %bb.1042:                             ;   in Loop: Header=BB26_3 Depth=1
	v_readlane_b32 s47, v103, 10
	s_and_not1_b32 s46, s61, exec_lo
	s_and_b32 s47, s47, exec_lo
	s_delay_alu instid0(SALU_CYCLE_1)
	s_or_b32 s61, s46, s47
.LBB26_1043:                            ;   in Loop: Header=BB26_3 Depth=1
	v_mov_b64_e32 v[44:45], v[30:31]
	s_and_saveexec_b32 s46, s61
	s_cbranch_execnz .LBB26_1064
	s_branch .LBB26_1065
.LBB26_1044:                            ;   in Loop: Header=BB26_3 Depth=1
	s_mov_b32 s47, exec_lo
	v_readlane_b32 s57, v102, 21
	s_and_b32 s57, s47, s57
	s_delay_alu instid0(SALU_CYCLE_1)
	s_mov_b32 exec_lo, s57
; %bb.1045:                             ;   in Loop: Header=BB26_3 Depth=1
	ds_store_b64 v86, v[32:33]
; %bb.1046:                             ;   in Loop: Header=BB26_3 Depth=1
	s_or_b32 exec_lo, exec_lo, s47
	s_and_not1_saveexec_b32 s46, s46
	s_cbranch_execz .LBB26_16
.LBB26_1047:                            ;   in Loop: Header=BB26_3 Depth=1
	v_lshl_add_u64 v[48:49], v[26:27], 3, v[2:3]
	global_load_b64 v[48:49], v[48:49], off
	s_wait_loadcnt 0x0
	v_xor_b32_e32 v49, 0x80000000, v49
	ds_store_b64 v86, v[48:49]
	s_or_b32 exec_lo, exec_lo, s46
	s_and_saveexec_b32 s46, s7
	s_delay_alu instid0(SALU_CYCLE_1)
	s_xor_b32 s46, exec_lo, s46
	s_cbranch_execz .LBB26_17
.LBB26_1048:                            ;   in Loop: Header=BB26_3 Depth=1
	s_mov_b32 s47, exec_lo
	v_readlane_b32 s57, v102, 22
	s_and_b32 s57, s47, s57
	s_delay_alu instid0(SALU_CYCLE_1)
	s_mov_b32 exec_lo, s57
; %bb.1049:                             ;   in Loop: Header=BB26_3 Depth=1
	ds_store_b64 v87, v[32:33]
; %bb.1050:                             ;   in Loop: Header=BB26_3 Depth=1
	s_or_b32 exec_lo, exec_lo, s47
	s_and_not1_saveexec_b32 s46, s46
	s_cbranch_execz .LBB26_18
.LBB26_1051:                            ;   in Loop: Header=BB26_3 Depth=1
	v_lshl_add_u64 v[48:49], v[18:19], 3, v[2:3]
	global_load_b64 v[48:49], v[48:49], off
	s_wait_loadcnt 0x0
	v_xor_b32_e32 v49, 0x80000000, v49
	ds_store_b64 v87, v[48:49]
	s_or_b32 exec_lo, exec_lo, s46
	s_and_saveexec_b32 s46, s8
	s_delay_alu instid0(SALU_CYCLE_1)
	s_xor_b32 s46, exec_lo, s46
	s_cbranch_execz .LBB26_19
.LBB26_1052:                            ;   in Loop: Header=BB26_3 Depth=1
	s_mov_b32 s47, exec_lo
	v_readlane_b32 s57, v102, 23
	s_and_b32 s57, s47, s57
	s_delay_alu instid0(SALU_CYCLE_1)
	s_mov_b32 exec_lo, s57
; %bb.1053:                             ;   in Loop: Header=BB26_3 Depth=1
	ds_store_b64 v88, v[32:33]
; %bb.1054:                             ;   in Loop: Header=BB26_3 Depth=1
	s_or_b32 exec_lo, exec_lo, s47
	s_and_not1_saveexec_b32 s46, s46
	s_cbranch_execz .LBB26_20
.LBB26_1055:                            ;   in Loop: Header=BB26_3 Depth=1
	v_lshl_add_u64 v[48:49], v[20:21], 3, v[2:3]
	global_load_b64 v[48:49], v[48:49], off
	s_wait_loadcnt 0x0
	v_xor_b32_e32 v49, 0x80000000, v49
	ds_store_b64 v88, v[48:49]
	s_or_b32 exec_lo, exec_lo, s46
	s_and_saveexec_b32 s46, s9
	s_delay_alu instid0(SALU_CYCLE_1)
	s_xor_b32 s46, exec_lo, s46
	s_cbranch_execz .LBB26_21
.LBB26_1056:                            ;   in Loop: Header=BB26_3 Depth=1
	s_mov_b32 s47, exec_lo
	v_readlane_b32 s57, v102, 24
	s_and_b32 s57, s47, s57
	s_delay_alu instid0(SALU_CYCLE_1)
	s_mov_b32 exec_lo, s57
; %bb.1057:                             ;   in Loop: Header=BB26_3 Depth=1
	ds_store_b64 v89, v[32:33]
; %bb.1058:                             ;   in Loop: Header=BB26_3 Depth=1
	s_or_b32 exec_lo, exec_lo, s47
	s_and_not1_saveexec_b32 s46, s46
	s_cbranch_execnz .LBB26_22
	s_branch .LBB26_23
.LBB26_1059:                            ;   in Loop: Header=BB26_3 Depth=1
	ds_load_b64 v[44:45], v92
	ds_load_b64 v[46:47], v70
	s_wait_dscnt 0x0
	v_fma_f64 v[44:45], v[44:45], v[46:47], 0
	s_or_b32 exec_lo, exec_lo, s46
	s_and_saveexec_b32 s46, s7
	s_cbranch_execz .LBB26_1015
.LBB26_1060:                            ;   in Loop: Header=BB26_3 Depth=1
	ds_load_b64 v[46:47], v92 offset:8192
	ds_load_b64 v[48:49], v70 offset:128
	s_wait_dscnt 0x0
	v_fmac_f64_e32 v[44:45], v[46:47], v[48:49]
	s_or_b32 exec_lo, exec_lo, s46
	s_and_saveexec_b32 s46, s8
	s_cbranch_execz .LBB26_1016
.LBB26_1061:                            ;   in Loop: Header=BB26_3 Depth=1
	ds_load_b64 v[46:47], v92 offset:16384
	ds_load_b64 v[48:49], v70 offset:256
	s_wait_dscnt 0x0
	v_fmac_f64_e32 v[44:45], v[46:47], v[48:49]
	s_or_b32 exec_lo, exec_lo, s46
	s_and_saveexec_b32 s46, s9
	s_cbranch_execnz .LBB26_1017
	s_branch .LBB26_1018
.LBB26_1062:                            ;   in Loop: Header=BB26_3 Depth=1
	s_or_b32 exec_lo, exec_lo, s82
	s_delay_alu instid0(SALU_CYCLE_1)
	s_and_b32 vcc_lo, exec_lo, s57
	s_cbranch_vccnz .LBB26_1021
.LBB26_1063:                            ;   in Loop: Header=BB26_3 Depth=1
	s_delay_alu instid0(VALU_DEP_1)
	v_mov_b64_e32 v[2:3], v[46:47]
	v_mov_b64_e32 v[44:45], v[24:25]
	s_and_saveexec_b32 s46, s61
	s_cbranch_execz .LBB26_1065
.LBB26_1064:                            ;   in Loop: Header=BB26_3 Depth=1
	s_delay_alu instid0(VALU_DEP_1)
	v_lshl_add_u64 v[44:45], v[44:45], 3, s[80:81]
	global_store_b64 v[44:45], v[2:3], off
.LBB26_1065:                            ;   in Loop: Header=BB26_3 Depth=1
	s_wait_xcnt 0x0
	s_or_b32 exec_lo, exec_lo, s46
	global_wb scope:SCOPE_DEV
	s_wait_storecnt 0x0
	global_inv scope:SCOPE_DEV
	s_wait_loadcnt 0x0
	s_barrier_signal -1
	s_barrier_wait -1
	s_and_saveexec_b32 s46, s55
	s_cbranch_execz .LBB26_2
; %bb.1066:                             ;   in Loop: Header=BB26_3 Depth=1
	s_lshl_b64 s[80:81], s[76:77], 2
	s_delay_alu instid0(SALU_CYCLE_1)
	s_add_nc_u64 s[80:81], s[74:75], s[80:81]
	global_load_b32 v0, v7, s[80:81]
	s_wait_loadcnt 0x0
	v_add_nc_u32_e32 v0, 1, v0
	global_store_b32 v7, v0, s[80:81]
	s_branch .LBB26_2
.LBB26_1067:                            ;   in Loop: Header=BB26_3 Depth=1
	ds_load_b64 v[48:49], v74 offset:31680
	ds_load_b64 v[98:99], v59 offset:32744
	s_wait_dscnt 0x0
	v_fmac_f64_e32 v[2:3], v[48:49], v[98:99]
	s_or_b32 exec_lo, exec_lo, s46
	s_and_saveexec_b32 s46, s13
	s_cbranch_execz .LBB26_72
.LBB26_1068:                            ;   in Loop: Header=BB26_3 Depth=1
	ds_load_b64 v[48:49], v74 offset:32192
	ds_load_b64 v[98:99], v59 offset:32752
	s_wait_dscnt 0x0
	v_fmac_f64_e32 v[2:3], v[48:49], v[98:99]
	s_or_b32 exec_lo, exec_lo, s46
	s_and_saveexec_b32 s46, s0
	s_cbranch_execnz .LBB26_73
	s_branch .LBB26_74
.LBB26_1069:                            ;   in Loop: Header=BB26_3 Depth=1
	ds_load_b64 v[48:49], v76 offset:29568
	ds_load_b64 v[98:99], v63 offset:32712
	s_wait_dscnt 0x0
	v_fmac_f64_e32 v[2:3], v[48:49], v[98:99]
	s_or_b32 exec_lo, exec_lo, s46
	s_and_saveexec_b32 s46, s15
	s_cbranch_execz .LBB26_114
.LBB26_1070:                            ;   in Loop: Header=BB26_3 Depth=1
	ds_load_b64 v[48:49], v76 offset:30080
	ds_load_b64 v[98:99], v63 offset:32720
	s_wait_dscnt 0x0
	v_fmac_f64_e32 v[2:3], v[48:49], v[98:99]
	s_or_b32 exec_lo, exec_lo, s46
	s_and_saveexec_b32 s46, s16
	s_cbranch_execz .LBB26_115
.LBB26_1071:                            ;   in Loop: Header=BB26_3 Depth=1
	ds_load_b64 v[48:49], v76 offset:30592
	ds_load_b64 v[98:99], v63 offset:32728
	s_wait_dscnt 0x0
	v_fmac_f64_e32 v[2:3], v[48:49], v[98:99]
	s_or_b32 exec_lo, exec_lo, s46
	s_and_saveexec_b32 s46, s17
	s_cbranch_execz .LBB26_116
.LBB26_1072:                            ;   in Loop: Header=BB26_3 Depth=1
	ds_load_b64 v[48:49], v76 offset:31104
	ds_load_b64 v[98:99], v63 offset:32736
	s_wait_dscnt 0x0
	v_fmac_f64_e32 v[2:3], v[48:49], v[98:99]
	s_or_b32 exec_lo, exec_lo, s46
	s_and_saveexec_b32 s46, s18
	s_cbranch_execz .LBB26_117
.LBB26_1073:                            ;   in Loop: Header=BB26_3 Depth=1
	ds_load_b64 v[48:49], v76 offset:31616
	ds_load_b64 v[98:99], v63 offset:32744
	s_wait_dscnt 0x0
	v_fmac_f64_e32 v[2:3], v[48:49], v[98:99]
	s_or_b32 exec_lo, exec_lo, s46
	s_and_saveexec_b32 s46, s2
	s_cbranch_execz .LBB26_118
.LBB26_1074:                            ;   in Loop: Header=BB26_3 Depth=1
	ds_load_b64 v[48:49], v76 offset:32128
	ds_load_b64 v[98:99], v63 offset:32752
	s_wait_dscnt 0x0
	v_fmac_f64_e32 v[2:3], v[48:49], v[98:99]
	s_or_b32 exec_lo, exec_lo, s46
	s_and_saveexec_b32 s46, s13
	s_cbranch_execnz .LBB26_119
	s_branch .LBB26_120
.LBB26_1075:                            ;   in Loop: Header=BB26_3 Depth=1
	ds_load_b64 v[48:49], v74 offset:27520
	ds_load_b64 v[98:99], v59 offset:28584
	s_wait_dscnt 0x0
	v_fmac_f64_e32 v[2:3], v[48:49], v[98:99]
	s_or_b32 exec_lo, exec_lo, s46
	s_and_saveexec_b32 s46, s13
	s_cbranch_execz .LBB26_176
.LBB26_1076:                            ;   in Loop: Header=BB26_3 Depth=1
	ds_load_b64 v[48:49], v74 offset:28032
	ds_load_b64 v[98:99], v59 offset:28592
	s_wait_dscnt 0x0
	v_fmac_f64_e32 v[2:3], v[48:49], v[98:99]
	s_or_b32 exec_lo, exec_lo, s46
	s_and_saveexec_b32 s46, s0
	s_cbranch_execnz .LBB26_177
	s_branch .LBB26_178
.LBB26_1077:                            ;   in Loop: Header=BB26_3 Depth=1
	ds_load_b64 v[48:49], v78 offset:30464
	ds_load_b64 v[98:99], v65 offset:32728
	s_wait_dscnt 0x0
	v_fmac_f64_e32 v[2:3], v[48:49], v[98:99]
	s_or_b32 exec_lo, exec_lo, s46
	s_and_saveexec_b32 s46, s3
	s_cbranch_execz .LBB26_238
.LBB26_1078:                            ;   in Loop: Header=BB26_3 Depth=1
	ds_load_b64 v[48:49], v78 offset:30976
	ds_load_b64 v[98:99], v65 offset:32736
	s_wait_dscnt 0x0
	v_fmac_f64_e32 v[2:3], v[48:49], v[98:99]
	s_or_b32 exec_lo, exec_lo, s46
	s_and_saveexec_b32 s46, s15
	s_cbranch_execz .LBB26_239
.LBB26_1079:                            ;   in Loop: Header=BB26_3 Depth=1
	ds_load_b64 v[48:49], v78 offset:31488
	ds_load_b64 v[98:99], v65 offset:32744
	s_wait_dscnt 0x0
	v_fmac_f64_e32 v[2:3], v[48:49], v[98:99]
	s_or_b32 exec_lo, exec_lo, s46
	s_and_saveexec_b32 s46, s17
	s_cbranch_execz .LBB26_240
.LBB26_1080:                            ;   in Loop: Header=BB26_3 Depth=1
	ds_load_b64 v[48:49], v78 offset:32000
	ds_load_b64 v[98:99], v65 offset:32752
	s_wait_dscnt 0x0
	v_fmac_f64_e32 v[2:3], v[48:49], v[98:99]
	s_or_b32 exec_lo, exec_lo, s46
	s_and_saveexec_b32 s46, s2
	s_cbranch_execnz .LBB26_241
	s_branch .LBB26_242
.LBB26_1081:                            ;   in Loop: Header=BB26_3 Depth=1
	ds_load_b64 v[48:49], v74 offset:23360
	ds_load_b64 v[98:99], v59 offset:24424
	s_wait_dscnt 0x0
	v_fmac_f64_e32 v[2:3], v[48:49], v[98:99]
	s_or_b32 exec_lo, exec_lo, s46
	s_and_saveexec_b32 s46, s13
	s_cbranch_execz .LBB26_330
.LBB26_1082:                            ;   in Loop: Header=BB26_3 Depth=1
	ds_load_b64 v[48:49], v74 offset:23872
	ds_load_b64 v[98:99], v59 offset:24432
	s_wait_dscnt 0x0
	v_fmac_f64_e32 v[2:3], v[48:49], v[98:99]
	s_or_b32 exec_lo, exec_lo, s46
	s_and_saveexec_b32 s46, s0
	s_cbranch_execnz .LBB26_331
	s_branch .LBB26_332
.LBB26_1083:                            ;   in Loop: Header=BB26_3 Depth=1
	ds_load_b64 v[48:49], v76 offset:21248
	ds_load_b64 v[98:99], v63 offset:24392
	s_wait_dscnt 0x0
	v_fmac_f64_e32 v[2:3], v[48:49], v[98:99]
	s_or_b32 exec_lo, exec_lo, s46
	s_and_saveexec_b32 s46, s15
	s_cbranch_execz .LBB26_372
.LBB26_1084:                            ;   in Loop: Header=BB26_3 Depth=1
	ds_load_b64 v[48:49], v76 offset:21760
	ds_load_b64 v[98:99], v63 offset:24400
	s_wait_dscnt 0x0
	v_fmac_f64_e32 v[2:3], v[48:49], v[98:99]
	s_or_b32 exec_lo, exec_lo, s46
	s_and_saveexec_b32 s46, s16
	s_cbranch_execz .LBB26_373
.LBB26_1085:                            ;   in Loop: Header=BB26_3 Depth=1
	ds_load_b64 v[48:49], v76 offset:22272
	ds_load_b64 v[98:99], v63 offset:24408
	s_wait_dscnt 0x0
	v_fmac_f64_e32 v[2:3], v[48:49], v[98:99]
	s_or_b32 exec_lo, exec_lo, s46
	s_and_saveexec_b32 s46, s17
	s_cbranch_execz .LBB26_374
.LBB26_1086:                            ;   in Loop: Header=BB26_3 Depth=1
	ds_load_b64 v[48:49], v76 offset:22784
	ds_load_b64 v[98:99], v63 offset:24416
	s_wait_dscnt 0x0
	v_fmac_f64_e32 v[2:3], v[48:49], v[98:99]
	s_or_b32 exec_lo, exec_lo, s46
	s_and_saveexec_b32 s46, s18
	s_cbranch_execz .LBB26_375
.LBB26_1087:                            ;   in Loop: Header=BB26_3 Depth=1
	ds_load_b64 v[48:49], v76 offset:23296
	ds_load_b64 v[98:99], v63 offset:24424
	s_wait_dscnt 0x0
	v_fmac_f64_e32 v[2:3], v[48:49], v[98:99]
	s_or_b32 exec_lo, exec_lo, s46
	s_and_saveexec_b32 s46, s2
	s_cbranch_execz .LBB26_376
.LBB26_1088:                            ;   in Loop: Header=BB26_3 Depth=1
	ds_load_b64 v[48:49], v76 offset:23808
	ds_load_b64 v[98:99], v63 offset:24432
	s_wait_dscnt 0x0
	v_fmac_f64_e32 v[2:3], v[48:49], v[98:99]
	s_or_b32 exec_lo, exec_lo, s46
	s_and_saveexec_b32 s46, s13
	s_cbranch_execnz .LBB26_377
	s_branch .LBB26_378
.LBB26_1089:                            ;   in Loop: Header=BB26_3 Depth=1
	ds_load_b64 v[48:49], v74 offset:19200
	ds_load_b64 v[98:99], v59 offset:20264
	s_wait_dscnt 0x0
	v_fmac_f64_e32 v[2:3], v[48:49], v[98:99]
	s_or_b32 exec_lo, exec_lo, s46
	s_and_saveexec_b32 s46, s13
	s_cbranch_execz .LBB26_434
.LBB26_1090:                            ;   in Loop: Header=BB26_3 Depth=1
	ds_load_b64 v[48:49], v74 offset:19712
	ds_load_b64 v[98:99], v59 offset:20272
	s_wait_dscnt 0x0
	v_fmac_f64_e32 v[2:3], v[48:49], v[98:99]
	s_or_b32 exec_lo, exec_lo, s46
	s_and_saveexec_b32 s46, s0
	s_cbranch_execnz .LBB26_435
	s_branch .LBB26_436
.LBB26_1091:                            ;   in Loop: Header=BB26_3 Depth=1
	ds_load_b64 v[48:49], v64 offset:31232
	ds_load_b64 v[98:99], v66 offset:32744
	s_wait_dscnt 0x0
	v_fmac_f64_e32 v[2:3], v[48:49], v[98:99]
	s_or_b32 exec_lo, exec_lo, s46
	s_and_saveexec_b32 s46, s3
	s_cbranch_execz .LBB26_532
.LBB26_1092:                            ;   in Loop: Header=BB26_3 Depth=1
	ds_load_b64 v[48:49], v64 offset:31744
	ds_load_b64 v[98:99], v66 offset:32752
	s_wait_dscnt 0x0
	v_fmac_f64_e32 v[2:3], v[48:49], v[98:99]
	s_or_b32 exec_lo, exec_lo, s46
	s_and_saveexec_b32 s46, s17
	s_delay_alu instid0(SALU_CYCLE_1)
	s_xor_b32 s46, exec_lo, s46
	s_cbranch_execnz .LBB26_533
	s_branch .LBB26_534
.LBB26_1093:                            ;   in Loop: Header=BB26_3 Depth=1
	ds_load_b64 v[48:49], v74 offset:15040
	ds_load_b64 v[98:99], v59 offset:16104
	s_wait_dscnt 0x0
	v_fmac_f64_e32 v[2:3], v[48:49], v[98:99]
	s_or_b32 exec_lo, exec_lo, s46
	s_and_saveexec_b32 s46, s13
	s_cbranch_execz .LBB26_578
.LBB26_1094:                            ;   in Loop: Header=BB26_3 Depth=1
	ds_load_b64 v[48:49], v74 offset:15552
	ds_load_b64 v[98:99], v59 offset:16112
	s_wait_dscnt 0x0
	v_fmac_f64_e32 v[2:3], v[48:49], v[98:99]
	s_or_b32 exec_lo, exec_lo, s46
	s_and_saveexec_b32 s46, s0
	s_cbranch_execnz .LBB26_579
	s_branch .LBB26_580
.LBB26_1095:                            ;   in Loop: Header=BB26_3 Depth=1
	ds_load_b64 v[48:49], v76 offset:12928
	ds_load_b64 v[98:99], v63 offset:16072
	s_wait_dscnt 0x0
	v_fmac_f64_e32 v[2:3], v[48:49], v[98:99]
	s_or_b32 exec_lo, exec_lo, s46
	s_and_saveexec_b32 s46, s15
	s_cbranch_execz .LBB26_620
.LBB26_1096:                            ;   in Loop: Header=BB26_3 Depth=1
	ds_load_b64 v[48:49], v76 offset:13440
	ds_load_b64 v[98:99], v63 offset:16080
	s_wait_dscnt 0x0
	v_fmac_f64_e32 v[2:3], v[48:49], v[98:99]
	s_or_b32 exec_lo, exec_lo, s46
	s_and_saveexec_b32 s46, s16
	s_cbranch_execz .LBB26_621
.LBB26_1097:                            ;   in Loop: Header=BB26_3 Depth=1
	ds_load_b64 v[48:49], v76 offset:13952
	ds_load_b64 v[98:99], v63 offset:16088
	s_wait_dscnt 0x0
	v_fmac_f64_e32 v[2:3], v[48:49], v[98:99]
	s_or_b32 exec_lo, exec_lo, s46
	s_and_saveexec_b32 s46, s17
	s_cbranch_execz .LBB26_622
.LBB26_1098:                            ;   in Loop: Header=BB26_3 Depth=1
	ds_load_b64 v[48:49], v76 offset:14464
	ds_load_b64 v[98:99], v63 offset:16096
	s_wait_dscnt 0x0
	v_fmac_f64_e32 v[2:3], v[48:49], v[98:99]
	s_or_b32 exec_lo, exec_lo, s46
	s_and_saveexec_b32 s46, s18
	s_cbranch_execz .LBB26_623
.LBB26_1099:                            ;   in Loop: Header=BB26_3 Depth=1
	ds_load_b64 v[48:49], v76 offset:14976
	ds_load_b64 v[98:99], v63 offset:16104
	s_wait_dscnt 0x0
	v_fmac_f64_e32 v[2:3], v[48:49], v[98:99]
	s_or_b32 exec_lo, exec_lo, s46
	s_and_saveexec_b32 s46, s2
	s_cbranch_execz .LBB26_624
.LBB26_1100:                            ;   in Loop: Header=BB26_3 Depth=1
	ds_load_b64 v[48:49], v76 offset:15488
	ds_load_b64 v[98:99], v63 offset:16112
	s_wait_dscnt 0x0
	v_fmac_f64_e32 v[2:3], v[48:49], v[98:99]
	s_or_b32 exec_lo, exec_lo, s46
	s_and_saveexec_b32 s46, s13
	s_cbranch_execnz .LBB26_625
	s_branch .LBB26_626
.LBB26_1101:                            ;   in Loop: Header=BB26_3 Depth=1
	ds_load_b64 v[48:49], v74 offset:10880
	ds_load_b64 v[98:99], v59 offset:11944
	s_wait_dscnt 0x0
	v_fmac_f64_e32 v[2:3], v[48:49], v[98:99]
	s_or_b32 exec_lo, exec_lo, s46
	s_and_saveexec_b32 s46, s13
	s_cbranch_execz .LBB26_682
.LBB26_1102:                            ;   in Loop: Header=BB26_3 Depth=1
	ds_load_b64 v[48:49], v74 offset:11392
	ds_load_b64 v[98:99], v59 offset:11952
	s_wait_dscnt 0x0
	v_fmac_f64_e32 v[2:3], v[48:49], v[98:99]
	s_or_b32 exec_lo, exec_lo, s46
	s_and_saveexec_b32 s46, s0
	s_cbranch_execnz .LBB26_683
	s_branch .LBB26_684
.LBB26_1103:                            ;   in Loop: Header=BB26_3 Depth=1
	ds_load_b64 v[48:49], v78 offset:13824
	ds_load_b64 v[98:99], v65 offset:16088
	s_wait_dscnt 0x0
	v_fmac_f64_e32 v[2:3], v[48:49], v[98:99]
	s_or_b32 exec_lo, exec_lo, s46
	s_and_saveexec_b32 s46, s3
	s_cbranch_execz .LBB26_744
.LBB26_1104:                            ;   in Loop: Header=BB26_3 Depth=1
	ds_load_b64 v[48:49], v78 offset:14336
	ds_load_b64 v[98:99], v65 offset:16096
	s_wait_dscnt 0x0
	v_fmac_f64_e32 v[2:3], v[48:49], v[98:99]
	s_or_b32 exec_lo, exec_lo, s46
	s_and_saveexec_b32 s46, s15
	s_cbranch_execz .LBB26_745
.LBB26_1105:                            ;   in Loop: Header=BB26_3 Depth=1
	ds_load_b64 v[48:49], v78 offset:14848
	ds_load_b64 v[98:99], v65 offset:16104
	s_wait_dscnt 0x0
	v_fmac_f64_e32 v[2:3], v[48:49], v[98:99]
	s_or_b32 exec_lo, exec_lo, s46
	s_and_saveexec_b32 s46, s17
	s_cbranch_execz .LBB26_746
.LBB26_1106:                            ;   in Loop: Header=BB26_3 Depth=1
	ds_load_b64 v[48:49], v78 offset:15360
	ds_load_b64 v[98:99], v65 offset:16112
	s_wait_dscnt 0x0
	v_fmac_f64_e32 v[2:3], v[48:49], v[98:99]
	s_or_b32 exec_lo, exec_lo, s46
	s_and_saveexec_b32 s46, s2
	s_cbranch_execnz .LBB26_747
	s_branch .LBB26_748
.LBB26_1107:                            ;   in Loop: Header=BB26_3 Depth=1
	ds_load_b64 v[48:49], v74 offset:6720
	ds_load_b64 v[98:99], v59 offset:7784
	s_wait_dscnt 0x0
	v_fmac_f64_e32 v[2:3], v[48:49], v[98:99]
	s_or_b32 exec_lo, exec_lo, s46
	s_and_saveexec_b32 s46, s13
	s_cbranch_execz .LBB26_836
.LBB26_1108:                            ;   in Loop: Header=BB26_3 Depth=1
	ds_load_b64 v[48:49], v74 offset:7232
	ds_load_b64 v[98:99], v59 offset:7792
	s_wait_dscnt 0x0
	v_fmac_f64_e32 v[2:3], v[48:49], v[98:99]
	s_or_b32 exec_lo, exec_lo, s46
	s_and_saveexec_b32 s46, s0
	s_cbranch_execnz .LBB26_837
	s_branch .LBB26_838
.LBB26_1109:                            ;   in Loop: Header=BB26_3 Depth=1
	ds_load_b64 v[48:49], v76 offset:4608
	ds_load_b64 v[98:99], v63 offset:7752
	s_wait_dscnt 0x0
	v_fmac_f64_e32 v[2:3], v[48:49], v[98:99]
	s_or_b32 exec_lo, exec_lo, s46
	s_and_saveexec_b32 s46, s15
	s_cbranch_execz .LBB26_878
.LBB26_1110:                            ;   in Loop: Header=BB26_3 Depth=1
	ds_load_b64 v[48:49], v76 offset:5120
	ds_load_b64 v[98:99], v63 offset:7760
	s_wait_dscnt 0x0
	v_fmac_f64_e32 v[2:3], v[48:49], v[98:99]
	s_or_b32 exec_lo, exec_lo, s46
	s_and_saveexec_b32 s46, s16
	s_cbranch_execz .LBB26_879
.LBB26_1111:                            ;   in Loop: Header=BB26_3 Depth=1
	ds_load_b64 v[48:49], v76 offset:5632
	ds_load_b64 v[98:99], v63 offset:7768
	s_wait_dscnt 0x0
	v_fmac_f64_e32 v[2:3], v[48:49], v[98:99]
	s_or_b32 exec_lo, exec_lo, s46
	s_and_saveexec_b32 s46, s17
	s_cbranch_execz .LBB26_880
.LBB26_1112:                            ;   in Loop: Header=BB26_3 Depth=1
	ds_load_b64 v[48:49], v76 offset:6144
	ds_load_b64 v[98:99], v63 offset:7776
	s_wait_dscnt 0x0
	v_fmac_f64_e32 v[2:3], v[48:49], v[98:99]
	s_or_b32 exec_lo, exec_lo, s46
	s_and_saveexec_b32 s46, s18
	s_cbranch_execz .LBB26_881
.LBB26_1113:                            ;   in Loop: Header=BB26_3 Depth=1
	ds_load_b64 v[48:49], v76 offset:6656
	ds_load_b64 v[98:99], v63 offset:7784
	s_wait_dscnt 0x0
	v_fmac_f64_e32 v[2:3], v[48:49], v[98:99]
	s_or_b32 exec_lo, exec_lo, s46
	s_and_saveexec_b32 s46, s2
	s_cbranch_execz .LBB26_882
.LBB26_1114:                            ;   in Loop: Header=BB26_3 Depth=1
	ds_load_b64 v[48:49], v76 offset:7168
	ds_load_b64 v[98:99], v63 offset:7792
	s_wait_dscnt 0x0
	v_fmac_f64_e32 v[2:3], v[48:49], v[98:99]
	s_or_b32 exec_lo, exec_lo, s46
	s_and_saveexec_b32 s46, s13
	s_cbranch_execnz .LBB26_883
	s_branch .LBB26_884
.LBB26_1115:                            ;   in Loop: Header=BB26_3 Depth=1
	ds_load_b64 v[48:49], v74 offset:2560
	ds_load_b64 v[98:99], v59 offset:3624
	s_wait_dscnt 0x0
	v_fmac_f64_e32 v[2:3], v[48:49], v[98:99]
	s_or_b32 exec_lo, exec_lo, s46
	s_and_saveexec_b32 s46, s13
	s_cbranch_execz .LBB26_940
.LBB26_1116:                            ;   in Loop: Header=BB26_3 Depth=1
	ds_load_b64 v[48:49], v74 offset:3072
	ds_load_b64 v[98:99], v59 offset:3632
	s_wait_dscnt 0x0
	v_fmac_f64_e32 v[2:3], v[48:49], v[98:99]
	s_or_b32 exec_lo, exec_lo, s46
	s_and_saveexec_b32 s46, s0
	s_cbranch_execnz .LBB26_941
	s_branch .LBB26_942
.LBB26_1117:
	s_endpgm
	.section	.rodata,"a",@progbits
	.p2align	6, 0x0
	.amdhsa_kernel _ZL19rocblas_trsv_deviceILi64ELi16ELb0ELb1ELb0ELb1EdPKdS1_PdEviT7_lllT6_T8_lllPii
		.amdhsa_group_segment_fixed_size 41480
		.amdhsa_private_segment_fixed_size 0
		.amdhsa_kernarg_size 352
		.amdhsa_user_sgpr_count 2
		.amdhsa_user_sgpr_dispatch_ptr 0
		.amdhsa_user_sgpr_queue_ptr 0
		.amdhsa_user_sgpr_kernarg_segment_ptr 1
		.amdhsa_user_sgpr_dispatch_id 0
		.amdhsa_user_sgpr_kernarg_preload_length 0
		.amdhsa_user_sgpr_kernarg_preload_offset 0
		.amdhsa_user_sgpr_private_segment_size 0
		.amdhsa_wavefront_size32 1
		.amdhsa_uses_dynamic_stack 0
		.amdhsa_enable_private_segment 0
		.amdhsa_system_sgpr_workgroup_id_x 1
		.amdhsa_system_sgpr_workgroup_id_y 0
		.amdhsa_system_sgpr_workgroup_id_z 1
		.amdhsa_system_sgpr_workgroup_info 0
		.amdhsa_system_vgpr_workitem_id 1
		.amdhsa_next_free_vgpr 104
		.amdhsa_next_free_sgpr 105
		.amdhsa_named_barrier_count 0
		.amdhsa_reserve_vcc 1
		.amdhsa_float_round_mode_32 0
		.amdhsa_float_round_mode_16_64 0
		.amdhsa_float_denorm_mode_32 3
		.amdhsa_float_denorm_mode_16_64 3
		.amdhsa_fp16_overflow 0
		.amdhsa_memory_ordered 1
		.amdhsa_forward_progress 1
		.amdhsa_inst_pref_size 255
		.amdhsa_round_robin_scheduling 0
		.amdhsa_exception_fp_ieee_invalid_op 0
		.amdhsa_exception_fp_denorm_src 0
		.amdhsa_exception_fp_ieee_div_zero 0
		.amdhsa_exception_fp_ieee_overflow 0
		.amdhsa_exception_fp_ieee_underflow 0
		.amdhsa_exception_fp_ieee_inexact 0
		.amdhsa_exception_int_div_zero 0
	.end_amdhsa_kernel
	.section	.text._ZL19rocblas_trsv_deviceILi64ELi16ELb0ELb1ELb0ELb1EdPKdS1_PdEviT7_lllT6_T8_lllPii,"axG",@progbits,_ZL19rocblas_trsv_deviceILi64ELi16ELb0ELb1ELb0ELb1EdPKdS1_PdEviT7_lllT6_T8_lllPii,comdat
.Lfunc_end26:
	.size	_ZL19rocblas_trsv_deviceILi64ELi16ELb0ELb1ELb0ELb1EdPKdS1_PdEviT7_lllT6_T8_lllPii, .Lfunc_end26-_ZL19rocblas_trsv_deviceILi64ELi16ELb0ELb1ELb0ELb1EdPKdS1_PdEviT7_lllT6_T8_lllPii
                                        ; -- End function
	.set _ZL19rocblas_trsv_deviceILi64ELi16ELb0ELb1ELb0ELb1EdPKdS1_PdEviT7_lllT6_T8_lllPii.num_vgpr, 104
	.set _ZL19rocblas_trsv_deviceILi64ELi16ELb0ELb1ELb0ELb1EdPKdS1_PdEviT7_lllT6_T8_lllPii.num_agpr, 0
	.set _ZL19rocblas_trsv_deviceILi64ELi16ELb0ELb1ELb0ELb1EdPKdS1_PdEviT7_lllT6_T8_lllPii.numbered_sgpr, 105
	.set _ZL19rocblas_trsv_deviceILi64ELi16ELb0ELb1ELb0ELb1EdPKdS1_PdEviT7_lllT6_T8_lllPii.num_named_barrier, 0
	.set _ZL19rocblas_trsv_deviceILi64ELi16ELb0ELb1ELb0ELb1EdPKdS1_PdEviT7_lllT6_T8_lllPii.private_seg_size, 0
	.set _ZL19rocblas_trsv_deviceILi64ELi16ELb0ELb1ELb0ELb1EdPKdS1_PdEviT7_lllT6_T8_lllPii.uses_vcc, 1
	.set _ZL19rocblas_trsv_deviceILi64ELi16ELb0ELb1ELb0ELb1EdPKdS1_PdEviT7_lllT6_T8_lllPii.uses_flat_scratch, 0
	.set _ZL19rocblas_trsv_deviceILi64ELi16ELb0ELb1ELb0ELb1EdPKdS1_PdEviT7_lllT6_T8_lllPii.has_dyn_sized_stack, 0
	.set _ZL19rocblas_trsv_deviceILi64ELi16ELb0ELb1ELb0ELb1EdPKdS1_PdEviT7_lllT6_T8_lllPii.has_recursion, 0
	.set _ZL19rocblas_trsv_deviceILi64ELi16ELb0ELb1ELb0ELb1EdPKdS1_PdEviT7_lllT6_T8_lllPii.has_indirect_call, 0
	.section	.AMDGPU.csdata,"",@progbits
; Kernel info:
; codeLenInByte = 33468
; TotalNumSgprs: 107
; NumVgprs: 104
; ScratchSize: 0
; MemoryBound: 0
; FloatMode: 240
; IeeeMode: 1
; LDSByteSize: 41480 bytes/workgroup (compile time only)
; SGPRBlocks: 0
; VGPRBlocks: 6
; NumSGPRsForWavesPerEU: 107
; NumVGPRsForWavesPerEU: 104
; NamedBarCnt: 0
; Occupancy: 9
; WaveLimiterHint : 0
; COMPUTE_PGM_RSRC2:SCRATCH_EN: 0
; COMPUTE_PGM_RSRC2:USER_SGPR: 2
; COMPUTE_PGM_RSRC2:TRAP_HANDLER: 0
; COMPUTE_PGM_RSRC2:TGID_X_EN: 1
; COMPUTE_PGM_RSRC2:TGID_Y_EN: 0
; COMPUTE_PGM_RSRC2:TGID_Z_EN: 1
; COMPUTE_PGM_RSRC2:TIDIG_COMP_CNT: 1
	.section	.text._ZL19rocblas_trsv_deviceILi64ELi16ELb0ELb1ELb1ELb1EdPKdS1_PdEviT7_lllT6_T8_lllPii,"axG",@progbits,_ZL19rocblas_trsv_deviceILi64ELi16ELb0ELb1ELb1ELb1EdPKdS1_PdEviT7_lllT6_T8_lllPii,comdat
	.globl	_ZL19rocblas_trsv_deviceILi64ELi16ELb0ELb1ELb1ELb1EdPKdS1_PdEviT7_lllT6_T8_lllPii ; -- Begin function _ZL19rocblas_trsv_deviceILi64ELi16ELb0ELb1ELb1ELb1EdPKdS1_PdEviT7_lllT6_T8_lllPii
	.p2align	8
	.type	_ZL19rocblas_trsv_deviceILi64ELi16ELb0ELb1ELb1ELb1EdPKdS1_PdEviT7_lllT6_T8_lllPii,@function
_ZL19rocblas_trsv_deviceILi64ELi16ELb0ELb1ELb1ELb1EdPKdS1_PdEviT7_lllT6_T8_lllPii: ; @_ZL19rocblas_trsv_deviceILi64ELi16ELb0ELb1ELb1ELb1EdPKdS1_PdEviT7_lllT6_T8_lllPii
; %bb.0:
	s_load_b32 s6, s[0:1], 0x58
	s_bfe_u32 s2, ttmp6, 0x40014
	s_lshr_b32 s3, ttmp7, 16
	s_add_co_i32 s2, s2, 1
	s_bfe_u32 s5, ttmp6, 0x40008
	s_mul_i32 s4, s3, s2
	s_getreg_b32 s2, hwreg(HW_REG_IB_STS2, 6, 4)
	s_add_co_i32 s5, s5, s4
	s_cmp_eq_u32 s2, 0
	s_mov_b32 s77, 0
	s_cselect_b32 s76, s3, s5
                                        ; implicit-def: $vgpr103 : SGPR spill to VGPR lane
	s_wait_kmcnt 0x0
	s_cmp_ge_u32 s76, s6
	v_writelane_b32 v103, s6, 0
	s_cbranch_scc1 .LBB27_1117
; %bb.1:
	s_clause 0x2
	s_load_b512 s[56:71], s[0:1], 0x8
	s_load_b32 s3, s[0:1], 0x6c
	s_load_b32 s85, s[0:1], 0x0
	s_bfe_u32 s5, ttmp6, 0x4000c
	s_and_b32 s4, ttmp6, 15
	s_add_co_i32 s5, s5, 1
	s_load_b128 s[72:75], s[0:1], 0x48
	s_wait_xcnt 0x0
	s_mul_i32 s0, ttmp9, s5
	v_and_b32_e32 v8, 0x3ff, v0
	s_add_co_i32 s4, s4, s0
	v_bfe_u32 v4, v0, 10, 10
	v_dual_mov_b32 v7, 0 :: v_dual_lshrrev_b32 v49, 10, v0
	s_delay_alu instid0(VALU_DEP_3) | instskip(SKIP_1) | instid1(VALU_DEP_4)
	v_lshlrev_b32_e32 v1, 6, v8
                                        ; implicit-def: $vgpr102 : SGPR spill to VGPR lane
	v_lshlrev_b32_e32 v28, 3, v8
	v_lshl_add_u32 v29, v4, 6, v8
	s_delay_alu instid0(VALU_DEP_4)
	v_dual_mov_b32 v11, v7 :: v_dual_add_nc_u32 v2, 16, v4
	v_dual_add_nc_u32 v42, 32, v4 :: v_dual_add_nc_u32 v44, 48, v4
	s_wait_kmcnt 0x0
	s_lshl_b64 s[12:13], s[58:59], 3
	s_lshl_b64 s[14:15], s[68:69], 3
	s_cmp_eq_u32 s2, 0
	v_and_b32_e32 v13, 1, v0
	s_cselect_b32 s86, ttmp9, s4
	s_add_co_i32 s1, s85, -1
	s_ashr_i32 s2, s85, 31
	s_and_b32 s0, s3, 0xffff
	s_ashr_i32 s3, s1, 31
	s_lshr_b32 s2, s2, 26
	s_lshr_b32 s3, s3, 26
	s_add_co_i32 s2, s85, s2
	s_add_co_i32 s1, s1, s3
	s_and_not1_b32 s2, s2, 63
	s_ashr_i32 s1, s1, 6
	s_sub_co_i32 s18, s85, s2
	s_cmp_eq_u32 s1, s86
	v_mad_u32_u24 v10, v4, s0, v8
	s_cselect_b32 s1, -1, 0
	s_cmp_lg_u32 s18, 0
	v_sub_co_u32 v9, s2, s86, 1
	s_cselect_b32 s0, -1, 0
	s_lshl_b32 s16, s86, 6
	s_and_b32 s30, s0, s1
	v_dual_add_nc_u32 v3, v4, v1 :: v_dual_add_nc_u32 v34, s16, v4
	s_xor_b32 s0, s2, -1
	s_xor_b32 s88, s30, -1
	s_cmp_lt_i32 s86, 5
	v_writelane_b32 v103, s0, 1
	s_cselect_b32 vcc_lo, -1, 0
	s_add_nc_u64 s[0:1], s[60:61], 1
	s_ashr_i32 s17, s16, 31
	v_dual_add_nc_u32 v5, v2, v1 :: v_dual_add_nc_u32 v32, s16, v8
	v_lshl_add_u32 v6, v2, 6, v8
	v_cndmask_b32_e32 v38, v29, v3, vcc_lo
	s_mul_u64 s[10:11], s[0:1], s[16:17]
	v_cmp_gt_u32_e64 s0, 4, v29
	v_dual_add_nc_u32 v3, v42, v1 :: v_dual_bitop2_b32 v35, 3, v0 bitop3:0x40
	v_cmp_eq_u32_e64 s2, 1, v13
	v_cmp_eq_u32_e64 s3, 0, v13
	;; [unrolled: 1-line block ×3, first 2 shown]
	v_cmp_gt_u32_e64 s4, 2, v8
	v_and_b32_e32 v36, 7, v0
	s_and_b32 s90, s2, s0
	s_and_b32 s91, s3, s0
	v_cmp_gt_u32_e64 s2, 16, v29
	v_add_nc_u32_e32 v1, v44, v1
	v_cmp_eq_u32_e64 s3, 3, v35
	v_cmp_ne_u32_e64 s5, 3, v35
	v_cmp_eq_u32_e64 s6, 2, v35
	s_or_b32 vcc_lo, vcc_lo, s30
	s_and_b32 s92, s1, s4
	v_cndmask_b32_e32 v39, v6, v5, vcc_lo
	s_and_b32 s93, s3, s2
	s_and_b32 s94, s5, s2
	;; [unrolled: 1-line block ×3, first 2 shown]
	v_cmp_eq_u32_e64 s4, 1, v35
	v_cmp_eq_u32_e64 s5, 0, v35
	v_cmp_gt_u32_e64 s6, 4, v8
	v_cmp_gt_u32_e64 s3, 64, v29
	v_add_nc_u32_e32 v6, s16, v10
	v_cmp_ne_u32_e64 s8, 7, v36
	s_and_b32 s97, s4, s2
	s_and_b32 s98, s5, s2
	;; [unrolled: 1-line block ×3, first 2 shown]
	v_cmp_eq_u32_e64 s4, 6, v36
	s_and_b32 s101, s8, s3
	v_cmp_gt_u32_e64 s5, 6, v36
	v_cmp_eq_u32_e64 s6, 5, v36
	v_cmp_eq_u32_e64 s8, 4, v36
	v_cmp_gt_u32_e64 s7, 2, v35
	s_and_b32 s102, s4, s3
	s_and_b32 s103, s5, s3
	;; [unrolled: 1-line block ×4, first 2 shown]
	v_cmp_gt_u32_e64 s4, 4, v36
	v_cmp_eq_u32_e64 s5, 3, v36
	v_cmp_gt_u32_e64 s6, 3, v36
	v_cmp_gt_u32_e64 s8, 2, v36
	v_lshl_add_u32 v5, v42, 6, v8
	v_and_b32_e32 v37, 15, v0
	s_and_b32 s96, s7, s2
	v_cmp_eq_u32_e64 s7, 7, v36
	s_and_b32 s33, s4, s3
	s_and_b32 s34, s5, s3
	;; [unrolled: 1-line block ×4, first 2 shown]
	v_cmp_eq_u32_e64 s5, 1, v36
	v_cmp_eq_u32_e64 s6, 0, v36
	v_cmp_gt_u32_e64 s4, 0x100, v29
	v_cndmask_b32_e32 v40, v5, v3, vcc_lo
	v_cmp_eq_u32_e64 s8, 15, v37
	s_and_b32 s100, s7, s3
	v_cmp_gt_u32_e64 s7, 5, v36
	s_and_b32 s38, s5, s3
	v_cmp_ne_u32_e64 s5, 15, v37
	s_and_b32 s39, s6, s3
	s_and_b32 s6, s8, s4
	s_and_b32 vcc_hi, s7, s3
	v_writelane_b32 v103, s6, 2
	v_cmp_eq_u32_e64 s7, 2, v36
	v_cmp_eq_u32_e64 s6, 14, v37
	s_and_b32 s5, s5, s4
	v_cmp_gt_u32_e64 s8, 13, v37
	v_writelane_b32 v103, s5, 3
	s_and_b32 s36, s7, s3
	v_cmp_gt_u32_e64 s7, 8, v8
	v_cmp_gt_u32_e64 s5, 14, v37
	s_and_b32 s6, s6, s4
	v_cmp_le_i32_e64 s9, s18, v8
	v_writelane_b32 v103, s6, 4
	s_and_b32 s40, s1, s7
	v_cmp_eq_u32_e64 s7, 13, v37
	s_and_b32 s5, s5, s4
	v_cmp_eq_u32_e64 s6, 12, v37
	v_writelane_b32 v103, s5, 5
	v_lshl_add_u32 v12, v44, 6, v8
	s_and_b32 s5, s7, s4
	v_cmp_gt_u32_e64 s7, 11, v37
	s_and_b32 s6, s6, s4
	v_writelane_b32 v103, s5, 6
	s_and_b32 s5, s8, s4
	v_cmp_eq_u32_e64 s8, 10, v37
	s_and_b32 s50, s7, s4
	v_cmp_eq_u32_e64 s7, 8, v37
	v_writelane_b32 v103, s5, 7
	v_cmp_gt_u32_e64 s5, 12, v37
	s_and_b32 s51, s8, s4
	v_cmp_gt_u32_e64 s8, 8, v37
	s_and_b32 s19, s7, s4
	v_writelane_b32 v103, s6, 8
	v_cmp_eq_u32_e64 s6, 11, v37
	s_and_b32 s48, s5, s4
	v_cmp_gt_u32_e64 s5, 10, v37
	s_and_b32 s21, s8, s4
	v_cmp_gt_u32_e64 s7, 6, v37
	s_and_b32 s49, s6, s4
	v_cmp_eq_u32_e64 s6, 9, v37
	s_and_b32 s52, s5, s4
	v_cmp_gt_u32_e64 s5, 9, v37
	v_cmp_eq_u32_e64 s8, 5, v37
	s_and_b32 s29, s7, s4
	s_and_b32 s53, s6, s4
	v_cmp_eq_u32_e64 s6, 7, v37
	s_and_b32 s54, s5, s4
	v_cmp_gt_u32_e64 s5, 7, v37
	s_and_b32 s58, s8, s4
	v_cmp_eq_u32_e64 s7, 3, v37
	s_and_b32 s23, s6, s4
	v_cmp_eq_u32_e64 s6, 6, v37
	s_and_b32 s25, s5, s4
	v_cmp_gt_u32_e64 s5, 5, v37
	v_cmp_gt_u32_e64 s8, 3, v37
	s_and_b32 s24, s7, s4
	s_and_b32 s27, s6, s4
	v_cmp_eq_u32_e64 s6, 4, v37
	s_and_b32 s59, s5, s4
	v_cmp_gt_u32_e64 s5, 4, v37
	s_and_b32 s26, s8, s4
	v_cmp_eq_u32_e64 s7, 0, v37
	s_and_b32 s20, s6, s4
	v_cmp_eq_u32_e64 s6, 2, v37
	s_and_b32 s22, s5, s4
	v_cmp_gt_u32_e64 s5, 2, v37
	v_cmp_gt_u32_e64 s8, 16, v8
	s_and_b32 s42, s9, s30
	s_and_b32 s28, s6, s4
	v_cmp_eq_u32_e64 s6, 1, v37
	s_and_b32 s87, s5, s4
	v_cmp_gt_u32_e64 s5, 32, v8
	s_xor_b32 s89, vcc_lo, -1
	v_cndmask_b32_e32 v41, v12, v1, vcc_lo
	s_and_b32 s84, s6, s4
	s_xor_b32 s6, s42, -1
	v_cmp_le_i32_e32 vcc_lo, s18, v42
	s_and_b32 s41, s7, s4
	s_and_b32 s43, s1, s8
	;; [unrolled: 1-line block ×4, first 2 shown]
	s_cmp_gt_i32 s86, 0
	v_add_nc_u64_e32 v[30:31], s[16:17], v[10:11]
	s_cselect_b32 s45, -1, 0
	s_or_b32 s16, vcc_lo, s9
	v_cmp_le_i32_e32 vcc_lo, s18, v44
	v_writelane_b32 v103, s5, 9
	v_cmp_le_i32_e64 s5, s18, v4
	v_subrev_nc_u32_e32 v12, 64, v34
	v_cmp_le_i32_e64 s6, s18, v2
	s_or_b32 s17, vcc_lo, s9
	v_cmp_gt_i32_e32 vcc_lo, s18, v8
	s_or_b32 s7, s5, s9
	v_subrev_nc_u32_e32 v86, 48, v34
	s_or_b32 s8, s6, s9
	v_dual_lshrrev_b32 v1, 1, v29 :: v_dual_ashrrev_i32 v33, 31, v32
	s_and_b32 s5, s1, vcc_lo
	v_cmp_gt_i32_e32 vcc_lo, s85, v12
	v_writelane_b32 v103, s5, 10
	v_cmp_gt_i32_e64 s5, s85, v32
	v_subrev_nc_u32_e32 v87, 32, v34
	v_lshrrev_b32_e32 v46, 2, v29
	v_lshlrev_b32_e32 v47, 9, v1
	v_mul_u64_e32 v[24:25], s[70:71], v[6:7]
	s_and_b32 s6, vcc_lo, s5
	v_cmp_gt_i32_e32 vcc_lo, s85, v86
	v_writelane_b32 v103, s6, 11
	v_lshl_add_u32 v73, v1, 3, 0x8000
	v_dual_mov_b32 v1, 0x3ff00000 :: v_dual_add_nc_u32 v6, -16, v34
	s_and_b32 s6, vcc_lo, s5
	v_cmp_gt_i32_e32 vcc_lo, s85, v87
	v_writelane_b32 v103, s6, 12
	s_add_nc_u64 s[68:69], s[56:57], s[12:13]
	v_cmp_gt_u32_e64 s30, 0xf0, v29
	v_cmp_gt_u32_e64 s46, 0x3e0, v29
	s_and_b32 s6, vcc_lo, s5
	v_cmp_gt_i32_e32 vcc_lo, s85, v6
	v_writelane_b32 v103, s6, 13
	v_dual_lshlrev_b32 v11, 3, v8 :: v_dual_lshlrev_b32 v48, 9, v46
	v_dual_sub_nc_u32 v57, 0, v47 :: v_dual_lshlrev_b32 v3, 6, v29
	s_and_b32 s6, vcc_lo, s5
	s_delay_alu instid0(VALU_DEP_2) | instskip(SKIP_3) | instid1(VALU_DEP_4)
	v_mad_u32_u24 v50, 0x1f8, v8, v11
	v_writelane_b32 v103, s6, 14
	v_cmp_ge_u32_e64 s6, v8, v4
	v_dual_lshrrev_b32 v82, 4, v29 :: v_dual_lshrrev_b32 v84, 5, v29
	v_mad_i32_i24 v51, 0xfffffe08, v8, v50
	v_and_b32_e32 v81, 0xfffffe00, v3
	s_or_b32 s7, s7, s6
	v_mov_b32_e32 v5, v7
	v_writelane_b32 v103, s7, 15
	v_cmp_ge_u32_e64 s7, v8, v2
	v_mad_u32_u24 v52, 0x1f8, v8, v51
	v_dual_lshlrev_b32 v85, 9, v84 :: v_dual_sub_nc_u32 v63, 0, v81
	v_dual_lshlrev_b32 v91, 3, v4 :: v_dual_mov_b32 v3, v7
	s_or_b32 s8, s8, s7
	s_delay_alu instid0(VALU_DEP_3)
	v_mad_i32_i24 v53, 0xfffffe08, v8, v52
	v_writelane_b32 v103, s8, 16
	v_cmp_ge_u32_e64 s8, v8, v42
	v_dual_mov_b32 v43, v7 :: v_dual_sub_nc_u32 v66, 0, v85
	v_mov_b32_e32 v45, v7
	v_mad_u32_u24 v54, 0x1f8, v8, v53
	s_or_b32 s9, s16, s8
	v_mul_u64_e32 v[14:15], s[60:61], v[32:33]
	v_writelane_b32 v103, s9, 17
	v_cmp_ge_u32_e64 s9, v8, v44
	v_mad_i32_i24 v55, 0xfffffe08, v8, v54
	v_mul_u64_e32 v[16:17], s[70:71], v[32:33]
	v_mul_u64_e32 v[18:19], s[60:61], v[2:3]
	;; [unrolled: 1-line block ×3, first 2 shown]
	s_or_b32 s12, s17, s9
	v_mad_u32_u24 v56, 0x1f8, v8, v55
	v_writelane_b32 v103, s12, 18
	v_mul_u64_e32 v[22:23], s[60:61], v[44:45]
	v_mul_u64_e32 v[26:27], s[60:61], v[4:5]
	;; [unrolled: 1-line block ×3, first 2 shown]
	v_mad_i32_i24 v58, 0xfffffe08, v8, v56
	v_writelane_b32 v103, s30, 19
	v_cmp_gt_u32_e64 s30, 0xe0, v29
	v_dual_lshlrev_b32 v83, 9, v82 :: v_dual_bitop2_b32 v61, 31, v0 bitop3:0x40
	s_delay_alu instid0(VALU_DEP_4) | instskip(SKIP_1) | instid1(VALU_DEP_4)
	v_mad_u32_u24 v60, 0x1f8, v8, v58
	v_bitop3_b32 v0, v0, v49, 0x3ff bitop3:0xa8
	v_writelane_b32 v103, s30, 20
	v_cmp_gt_u32_e64 s30, 0xd0, v29
	v_mul_i32_i24_e32 v43, 0xfffffe08, v8
	v_mad_i32_i24 v62, 0xfffffe08, v8, v60
	v_or_b32_e32 v97, v2, v8
	v_dual_lshlrev_b32 v72, 3, v13 :: v_dual_bitop2_b32 v3, v42, v8 bitop3:0x54
	v_writelane_b32 v103, s30, 21
	v_cmp_gt_u32_e64 s30, 0xc0, v29
	v_mad_u32_u24 v67, 0x1f8, v8, v62
	v_mad_u32_u24 v2, 0x1f8, v8, v43
	v_dual_sub_nc_u32 v59, 0, v48 :: v_dual_bitop2_b32 v80, -8, v29 bitop3:0x40
	s_delay_alu instid0(VALU_DEP_4) | instskip(SKIP_4) | instid1(VALU_DEP_4)
	v_writelane_b32 v103, s30, 22
	v_cmp_gt_u32_e64 s30, 0xb0, v29
	v_mad_i32_i24 v68, 0xfffffe08, v8, v67
	v_mad_u32 v95, v2, 7, v11
	v_dual_lshlrev_b32 v64, 3, v61 :: v_dual_sub_nc_u32 v65, 0, v83
	v_writelane_b32 v103, s30, 23
	v_cmp_gt_u32_e64 s30, 0xa0, v29
	v_mad_u32_u24 v69, 0x1f8, v8, v68
	v_or_b32_e32 v70, 0xa000, v91
	v_dual_lshlrev_b32 v74, 3, v35 :: v_dual_bitop2_b32 v98, v44, v8 bitop3:0x54
	s_delay_alu instid0(VALU_DEP_4) | instskip(SKIP_4) | instid1(VALU_DEP_4)
	v_writelane_b32 v103, s30, 24
	v_cmp_gt_u32_e64 s30, 0x90, v29
	v_dual_lshlrev_b32 v76, 3, v36 :: v_dual_lshlrev_b32 v78, 3, v37
	v_mov_b64_e32 v[32:33], 0
	v_mov_b64_e32 v[34:35], 1.0
	v_writelane_b32 v103, s30, 25
	v_cmp_gt_u32_e64 s30, 0x80, v29
	v_cmp_lt_u32_e32 vcc_lo, 0x3ff, v29
	v_lshl_add_u32 v71, v10, 3, 0xa000
	v_lshl_add_u32 v5, v29, 3, 0x8000
	s_add_nc_u64 s[66:67], s[66:67], s[14:15]
	v_writelane_b32 v103, s30, 26
	v_cmp_gt_u32_e64 s30, 0x70, v29
	v_dual_ashrrev_i32 v13, 31, v12 :: v_dual_sub_nc_u32 v75, v72, v47
	v_lshl_add_u32 v77, v46, 3, 0x8000
	v_dual_sub_nc_u32 v79, v74, v48 :: v_dual_sub_nc_u32 v81, v76, v81
	s_delay_alu instid0(VALU_DEP_4) | instskip(SKIP_4) | instid1(VALU_DEP_4)
	v_writelane_b32 v103, s30, 27
	v_cmp_gt_u32_e64 s30, 0x60, v29
	v_add_nc_u32_e32 v80, 0x8000, v80
	v_lshl_add_u32 v82, v82, 3, 0x8000
	v_dual_sub_nc_u32 v83, v78, v83 :: v_dual_sub_nc_u32 v85, v64, v85
	v_writelane_b32 v103, s30, 28
	v_cmp_gt_u32_e64 s30, 0x50, v29
	v_lshl_add_u32 v84, v84, 3, 0x8000
	v_dual_lshlrev_b32 v86, 3, v38 :: v_dual_lshlrev_b32 v87, 3, v39
	v_dual_lshlrev_b32 v88, 3, v40 :: v_dual_lshlrev_b32 v89, 3, v41
	s_delay_alu instid0(VALU_DEP_4)
	v_writelane_b32 v103, s30, 29
	v_add_nc_u32_e32 v90, 0x8000, v11
	v_add_nc_u32_e32 v91, v69, v91
	v_lshl_add_u32 v92, v4, 9, v62
	v_add_nc_u32_e32 v93, v70, v11
	v_writelane_b32 v103, s46, 30
	v_cmp_gt_u32_e64 s46, 0x3c0, v29
	v_or_b32_e32 v94, 0x3800, v64
	s_lshl_b64 s[78:79], s[10:11], 3
	v_subrev_nc_u32_e32 v96, 31, v61
	v_cmp_eq_u32_e64 s10, 0, v0
	v_writelane_b32 v103, s46, 31
	v_cmp_gt_u32_e64 s46, 0x3a0, v29
	v_cmp_gt_u32_e64 s11, 2, v29
	;; [unrolled: 1-line block ×5, first 2 shown]
	v_writelane_b32 v102, s46, 0
	v_cmp_gt_u32_e64 s46, 0x380, v29
	v_cmp_gt_u32_e64 s15, 48, v29
	;; [unrolled: 1-line block ×5, first 2 shown]
	v_writelane_b32 v102, s46, 1
	v_cmp_gt_u32_e64 s46, 0x360, v29
	v_cmp_gt_u32_e64 s30, 0x400, v29
	v_cmp_eq_u32_e64 s55, 0, v10
	v_cmp_gt_u32_e64 s56, 64, v10
	s_xor_b32 s60, vcc_lo, -1
	v_writelane_b32 v102, s46, 2
	v_cmp_gt_u32_e64 s46, 0x340, v29
                                        ; implicit-def: $vgpr36_vgpr37
                                        ; implicit-def: $vgpr38_vgpr39
                                        ; implicit-def: $vgpr40_vgpr41
                                        ; implicit-def: $vgpr42_vgpr43
	s_delay_alu instid0(VALU_DEP_1) | instskip(SKIP_1) | instid1(VALU_DEP_1)
	v_writelane_b32 v102, s46, 3
	v_cmp_gt_u32_e64 s46, 0x320, v29
	v_writelane_b32 v102, s46, 4
	v_cmp_gt_u32_e64 s46, 0x300, v29
	s_delay_alu instid0(VALU_DEP_1) | instskip(SKIP_1) | instid1(VALU_DEP_1)
	v_writelane_b32 v102, s46, 5
	v_cmp_gt_u32_e64 s46, 0x2e0, v29
	v_writelane_b32 v102, s46, 6
	v_cmp_gt_u32_e64 s46, 0x2c0, v29
	;; [unrolled: 5-line block ×10, first 2 shown]
	s_delay_alu instid0(VALU_DEP_1) | instskip(SKIP_1) | instid1(VALU_DEP_1)
	v_writelane_b32 v102, s46, 23
	v_cmp_gt_u32_e64 s46, 64, v98
	v_writelane_b32 v102, s46, 24
	s_branch .LBB27_3
.LBB27_2:                               ;   in Loop: Header=BB27_3 Depth=1
	s_wait_xcnt 0x0
	s_or_b32 exec_lo, exec_lo, s46
	v_readlane_b32 s46, v103, 0
	s_add_co_i32 s76, s76, 0x10000
	global_wb scope:SCOPE_DEV
	s_wait_storecnt 0x0
	global_inv scope:SCOPE_DEV
	s_cmp_lt_u32 s76, s46
	s_cbranch_scc0 .LBB27_1117
.LBB27_3:                               ; =>This Loop Header: Depth=1
                                        ;     Child Loop BB27_537 Depth 2
                                        ;     Child Loop BB27_986 Depth 2
                                        ;       Child Loop BB27_988 Depth 3
                                        ;     Child Loop BB27_1023 Depth 2
	global_load_b64 v[46:47], v7, s[64:65]
	s_mul_u64 s[46:47], s[62:63], s[76:77]
	s_delay_alu instid0(SALU_CYCLE_1) | instskip(NEXT) | instid1(SALU_CYCLE_1)
	s_lshl_b64 s[46:47], s[46:47], 3
	s_add_nc_u64 s[80:81], s[68:69], s[46:47]
	v_readlane_b32 s46, v103, 1
	v_lshl_add_u64 v[44:45], v[14:15], 3, s[80:81]
	s_and_not1_b32 vcc_lo, exec_lo, s46
	s_cbranch_vccnz .LBB27_13
; %bb.4:                                ;   in Loop: Header=BB27_3 Depth=1
	v_mov_b64_e32 v[38:39], 0
	v_mov_b64_e32 v[36:37], 0
	v_lshl_add_u64 v[2:3], v[12:13], 3, v[44:45]
	s_wait_loadcnt 0x0
	s_barrier_signal -1
	s_barrier_wait -1
	s_wait_xcnt 0x0
	s_mov_b32 s46, exec_lo
	v_readlane_b32 s47, v103, 11
	s_and_b32 s47, s46, s47
	s_delay_alu instid0(SALU_CYCLE_1)
	s_mov_b32 exec_lo, s47
	s_cbranch_execz .LBB27_6
; %bb.5:                                ;   in Loop: Header=BB27_3 Depth=1
	global_load_b64 v[36:37], v[2:3], off
.LBB27_6:                               ;   in Loop: Header=BB27_3 Depth=1
	s_wait_xcnt 0x0
	s_or_b32 exec_lo, exec_lo, s46
	s_wait_loadcnt 0x0
	s_barrier_signal -1
	s_barrier_wait -1
	s_mov_b32 s46, exec_lo
	v_readlane_b32 s47, v103, 12
	s_and_b32 s47, s46, s47
	s_delay_alu instid0(SALU_CYCLE_1)
	s_mov_b32 exec_lo, s47
	s_cbranch_execz .LBB27_8
; %bb.7:                                ;   in Loop: Header=BB27_3 Depth=1
	global_load_b64 v[38:39], v[2:3], off offset:128
.LBB27_8:                               ;   in Loop: Header=BB27_3 Depth=1
	s_wait_xcnt 0x0
	s_or_b32 exec_lo, exec_lo, s46
	v_mov_b64_e32 v[42:43], 0
	v_mov_b64_e32 v[40:41], 0
	s_wait_loadcnt 0x0
	s_barrier_signal -1
	s_barrier_wait -1
	s_mov_b32 s46, exec_lo
	v_readlane_b32 s47, v103, 13
	s_and_b32 s47, s46, s47
	s_delay_alu instid0(SALU_CYCLE_1)
	s_mov_b32 exec_lo, s47
	s_cbranch_execz .LBB27_10
; %bb.9:                                ;   in Loop: Header=BB27_3 Depth=1
	global_load_b64 v[40:41], v[2:3], off offset:256
.LBB27_10:                              ;   in Loop: Header=BB27_3 Depth=1
	s_wait_xcnt 0x0
	s_or_b32 exec_lo, exec_lo, s46
	s_wait_loadcnt 0x0
	s_barrier_signal -1
	s_barrier_wait -1
	s_mov_b32 s46, exec_lo
	v_readlane_b32 s47, v103, 14
	s_and_b32 s47, s46, s47
	s_delay_alu instid0(SALU_CYCLE_1)
	s_mov_b32 exec_lo, s47
	s_cbranch_execz .LBB27_12
; %bb.11:                               ;   in Loop: Header=BB27_3 Depth=1
	global_load_b64 v[42:43], v[2:3], off offset:384
.LBB27_12:                              ;   in Loop: Header=BB27_3 Depth=1
	s_wait_xcnt 0x0
	s_or_b32 exec_lo, exec_lo, s46
.LBB27_13:                              ;   in Loop: Header=BB27_3 Depth=1
	v_mov_b32_e32 v29, v7
	s_add_nc_u64 s[46:47], s[80:81], s[78:79]
	s_and_not1_b32 vcc_lo, exec_lo, s88
	s_delay_alu instid0(VALU_DEP_1)
	v_add_nc_u64_e32 v[2:3], s[46:47], v[28:29]
	s_mov_b32 s46, -1
	s_cbranch_vccnz .LBB27_24
; %bb.14:                               ;   in Loop: Header=BB27_3 Depth=1
	s_wait_xcnt 0x0
	s_and_saveexec_b32 s46, s6
	s_delay_alu instid0(SALU_CYCLE_1)
	s_xor_b32 s46, exec_lo, s46
	s_cbranch_execnz .LBB27_1044
; %bb.15:                               ;   in Loop: Header=BB27_3 Depth=1
	s_and_not1_saveexec_b32 s46, s46
	s_cbranch_execnz .LBB27_1047
.LBB27_16:                              ;   in Loop: Header=BB27_3 Depth=1
	s_or_b32 exec_lo, exec_lo, s46
	s_and_saveexec_b32 s46, s7
	s_delay_alu instid0(SALU_CYCLE_1)
	s_xor_b32 s46, exec_lo, s46
	s_cbranch_execnz .LBB27_1048
.LBB27_17:                              ;   in Loop: Header=BB27_3 Depth=1
	s_and_not1_saveexec_b32 s46, s46
	s_cbranch_execnz .LBB27_1051
.LBB27_18:                              ;   in Loop: Header=BB27_3 Depth=1
	s_or_b32 exec_lo, exec_lo, s46
	s_and_saveexec_b32 s46, s8
	s_delay_alu instid0(SALU_CYCLE_1)
	s_xor_b32 s46, exec_lo, s46
	s_cbranch_execnz .LBB27_1052
.LBB27_19:                              ;   in Loop: Header=BB27_3 Depth=1
	s_and_not1_saveexec_b32 s46, s46
	s_cbranch_execnz .LBB27_1055
.LBB27_20:                              ;   in Loop: Header=BB27_3 Depth=1
	s_or_b32 exec_lo, exec_lo, s46
	s_and_saveexec_b32 s46, s9
	s_delay_alu instid0(SALU_CYCLE_1)
	s_xor_b32 s46, exec_lo, s46
	s_cbranch_execnz .LBB27_1056
.LBB27_21:                              ;   in Loop: Header=BB27_3 Depth=1
	s_and_not1_saveexec_b32 s46, s46
	s_cbranch_execz .LBB27_23
.LBB27_22:                              ;   in Loop: Header=BB27_3 Depth=1
	v_lshl_add_u64 v[48:49], v[22:23], 3, v[2:3]
	global_load_b64 v[48:49], v[48:49], off
	s_wait_loadcnt 0x0
	v_xor_b32_e32 v49, 0x80000000, v49
	ds_store_b64 v89, v[48:49]
.LBB27_23:                              ;   in Loop: Header=BB27_3 Depth=1
	s_or_b32 exec_lo, exec_lo, s46
	s_mov_b32 s46, 0
.LBB27_24:                              ;   in Loop: Header=BB27_3 Depth=1
	s_delay_alu instid0(SALU_CYCLE_1)
	s_and_b32 vcc_lo, exec_lo, s46
	s_cbranch_vccz .LBB27_50
; %bb.25:                               ;   in Loop: Header=BB27_3 Depth=1
	s_wait_xcnt 0x0
	s_mov_b32 s46, exec_lo
	v_readlane_b32 s47, v103, 15
	s_and_b32 s47, s46, s47
	s_delay_alu instid0(SALU_CYCLE_1)
	s_xor_b32 s46, s47, s46
	s_mov_b32 exec_lo, s47
	s_cbranch_execz .LBB27_29
; %bb.26:                               ;   in Loop: Header=BB27_3 Depth=1
	s_mov_b32 s47, exec_lo
	v_readlane_b32 s57, v102, 21
	s_and_b32 s57, s47, s57
	s_delay_alu instid0(SALU_CYCLE_1)
	s_mov_b32 exec_lo, s57
; %bb.27:                               ;   in Loop: Header=BB27_3 Depth=1
	ds_store_b64 v91, v[32:33]
; %bb.28:                               ;   in Loop: Header=BB27_3 Depth=1
	s_or_b32 exec_lo, exec_lo, s47
.LBB27_29:                              ;   in Loop: Header=BB27_3 Depth=1
	s_and_not1_saveexec_b32 s46, s46
	s_cbranch_execz .LBB27_31
; %bb.30:                               ;   in Loop: Header=BB27_3 Depth=1
	v_lshl_add_u64 v[48:49], v[26:27], 3, v[2:3]
	global_load_b64 v[48:49], v[48:49], off
	s_wait_loadcnt 0x0
	v_xor_b32_e32 v49, 0x80000000, v49
	ds_store_b64 v91, v[48:49]
.LBB27_31:                              ;   in Loop: Header=BB27_3 Depth=1
	s_or_b32 exec_lo, exec_lo, s46
	s_delay_alu instid0(SALU_CYCLE_1) | instskip(SKIP_2) | instid1(SALU_CYCLE_1)
	s_mov_b32 s46, exec_lo
	v_readlane_b32 s47, v103, 16
	s_and_b32 s47, s46, s47
	s_xor_b32 s46, s47, s46
	s_mov_b32 exec_lo, s47
	s_cbranch_execz .LBB27_35
; %bb.32:                               ;   in Loop: Header=BB27_3 Depth=1
	s_mov_b32 s47, exec_lo
	v_readlane_b32 s57, v102, 22
	s_and_b32 s57, s47, s57
	s_delay_alu instid0(SALU_CYCLE_1)
	s_mov_b32 exec_lo, s57
; %bb.33:                               ;   in Loop: Header=BB27_3 Depth=1
	ds_store_b64 v87, v[32:33]
; %bb.34:                               ;   in Loop: Header=BB27_3 Depth=1
	s_or_b32 exec_lo, exec_lo, s47
.LBB27_35:                              ;   in Loop: Header=BB27_3 Depth=1
	s_and_not1_saveexec_b32 s46, s46
	s_cbranch_execz .LBB27_37
; %bb.36:                               ;   in Loop: Header=BB27_3 Depth=1
	v_lshl_add_u64 v[48:49], v[18:19], 3, v[2:3]
	global_load_b64 v[48:49], v[48:49], off
	s_wait_loadcnt 0x0
	v_xor_b32_e32 v49, 0x80000000, v49
	ds_store_b64 v87, v[48:49]
.LBB27_37:                              ;   in Loop: Header=BB27_3 Depth=1
	s_or_b32 exec_lo, exec_lo, s46
	s_delay_alu instid0(SALU_CYCLE_1) | instskip(SKIP_2) | instid1(SALU_CYCLE_1)
	s_mov_b32 s46, exec_lo
	v_readlane_b32 s47, v103, 17
	s_and_b32 s47, s46, s47
	s_xor_b32 s46, s47, s46
	s_mov_b32 exec_lo, s47
	s_cbranch_execz .LBB27_41
; %bb.38:                               ;   in Loop: Header=BB27_3 Depth=1
	s_mov_b32 s47, exec_lo
	v_readlane_b32 s57, v102, 23
	s_and_b32 s57, s47, s57
	s_delay_alu instid0(SALU_CYCLE_1)
	s_mov_b32 exec_lo, s57
; %bb.39:                               ;   in Loop: Header=BB27_3 Depth=1
	ds_store_b64 v88, v[32:33]
; %bb.40:                               ;   in Loop: Header=BB27_3 Depth=1
	s_or_b32 exec_lo, exec_lo, s47
.LBB27_41:                              ;   in Loop: Header=BB27_3 Depth=1
	s_and_not1_saveexec_b32 s46, s46
	s_cbranch_execz .LBB27_43
; %bb.42:                               ;   in Loop: Header=BB27_3 Depth=1
	v_lshl_add_u64 v[48:49], v[20:21], 3, v[2:3]
	global_load_b64 v[48:49], v[48:49], off
	s_wait_loadcnt 0x0
	v_xor_b32_e32 v49, 0x80000000, v49
	ds_store_b64 v88, v[48:49]
.LBB27_43:                              ;   in Loop: Header=BB27_3 Depth=1
	s_or_b32 exec_lo, exec_lo, s46
	s_delay_alu instid0(SALU_CYCLE_1) | instskip(SKIP_2) | instid1(SALU_CYCLE_1)
	s_mov_b32 s46, exec_lo
	v_readlane_b32 s47, v103, 18
	s_and_b32 s47, s46, s47
	s_xor_b32 s46, s47, s46
	s_mov_b32 exec_lo, s47
	s_cbranch_execz .LBB27_47
; %bb.44:                               ;   in Loop: Header=BB27_3 Depth=1
	s_mov_b32 s47, exec_lo
	v_readlane_b32 s57, v102, 24
	s_and_b32 s57, s47, s57
	s_delay_alu instid0(SALU_CYCLE_1)
	s_mov_b32 exec_lo, s57
; %bb.45:                               ;   in Loop: Header=BB27_3 Depth=1
	ds_store_b64 v89, v[32:33]
; %bb.46:                               ;   in Loop: Header=BB27_3 Depth=1
	s_or_b32 exec_lo, exec_lo, s47
                                        ; implicit-def: $vgpr2_vgpr3
.LBB27_47:                              ;   in Loop: Header=BB27_3 Depth=1
	s_and_not1_saveexec_b32 s46, s46
	s_cbranch_execz .LBB27_49
; %bb.48:                               ;   in Loop: Header=BB27_3 Depth=1
	v_lshl_add_u64 v[2:3], v[22:23], 3, v[2:3]
	global_load_b64 v[2:3], v[2:3], off
	s_wait_loadcnt 0x0
	v_xor_b32_e32 v3, 0x80000000, v3
	ds_store_b64 v89, v[2:3]
.LBB27_49:                              ;   in Loop: Header=BB27_3 Depth=1
	s_or_b32 exec_lo, exec_lo, s46
.LBB27_50:                              ;   in Loop: Header=BB27_3 Depth=1
	s_delay_alu instid0(SALU_CYCLE_1)
	s_and_not1_b32 vcc_lo, exec_lo, s89
	s_wait_loadcnt_dscnt 0x0
	s_barrier_signal -1
	s_barrier_wait -1
	s_cbranch_vccnz .LBB27_980
; %bb.51:                               ;   in Loop: Header=BB27_3 Depth=1
	s_and_saveexec_b32 s46, s10
	s_cbranch_execz .LBB27_53
; %bb.52:                               ;   in Loop: Header=BB27_3 Depth=1
	ds_load_b64 v[2:3], v7 offset:32752
	v_mov_b32_e32 v0, v7
	ds_store_b64 v7, v[34:35] offset:32760
	s_wait_dscnt 0x1
	ds_store_b128 v7, v[0:3] offset:32240
.LBB27_53:                              ;   in Loop: Header=BB27_3 Depth=1
	s_or_b32 exec_lo, exec_lo, s46
	v_mov_b64_e32 v[2:3], 0
	s_wait_dscnt 0x0
	s_barrier_signal -1
	s_barrier_wait -1
	global_wb scope:SCOPE_DEV
	s_wait_storecnt 0x0
	global_inv scope:SCOPE_DEV
	s_and_saveexec_b32 s46, s0
	s_cbranch_execz .LBB27_57
; %bb.54:                               ;   in Loop: Header=BB27_3 Depth=1
	ds_load_b64 v[2:3], v72 offset:32224
	ds_load_b64 v[48:49], v57 offset:32752
	s_wait_dscnt 0x0
	v_fma_f64 v[2:3], v[2:3], v[48:49], 0
	s_and_saveexec_b32 s47, s11
	s_cbranch_execz .LBB27_56
; %bb.55:                               ;   in Loop: Header=BB27_3 Depth=1
	ds_load_b64 v[48:49], v11 offset:32736
	ds_load_b64 v[98:99], v7 offset:32760
	s_wait_dscnt 0x0
	v_fmac_f64_e32 v[2:3], v[48:49], v[98:99]
.LBB27_56:                              ;   in Loop: Header=BB27_3 Depth=1
	s_or_b32 exec_lo, exec_lo, s47
.LBB27_57:                              ;   in Loop: Header=BB27_3 Depth=1
	s_delay_alu instid0(SALU_CYCLE_1)
	s_or_b32 exec_lo, exec_lo, s46
	s_and_saveexec_b32 s46, s90
; %bb.58:                               ;   in Loop: Header=BB27_3 Depth=1
	s_delay_alu instid0(VALU_DEP_1) | instskip(NEXT) | instid1(VALU_DEP_2)
	v_xor_b32_e32 v49, 0x80000000, v3
	v_mov_b32_e32 v48, v2
	ds_store_b64 v73, v[48:49]
; %bb.59:                               ;   in Loop: Header=BB27_3 Depth=1
	s_or_b32 exec_lo, exec_lo, s46
	s_wait_loadcnt_dscnt 0x0
	s_barrier_signal -1
	s_barrier_wait -1
	s_and_saveexec_b32 s46, s91
	s_cbranch_execz .LBB27_61
; %bb.60:                               ;   in Loop: Header=BB27_3 Depth=1
	ds_load_b64 v[48:49], v7 offset:31712
	ds_load_b64 v[98:99], v73
	s_wait_dscnt 0x0
	v_fma_f64 v[2:3], -v[48:49], v[98:99], v[2:3]
.LBB27_61:                              ;   in Loop: Header=BB27_3 Depth=1
	s_or_b32 exec_lo, exec_lo, s46
	s_barrier_signal -1
	s_barrier_wait -1
	s_and_saveexec_b32 s46, s91
; %bb.62:                               ;   in Loop: Header=BB27_3 Depth=1
	s_delay_alu instid0(VALU_DEP_1) | instskip(NEXT) | instid1(VALU_DEP_2)
	v_xor_b32_e32 v49, 0x80000000, v3
	v_mov_b32_e32 v48, v2
	ds_store_b64 v73, v[48:49]
; %bb.63:                               ;   in Loop: Header=BB27_3 Depth=1
	s_or_b32 exec_lo, exec_lo, s46
	s_wait_dscnt 0x0
	s_barrier_signal -1
	s_barrier_wait -1
	s_barrier_signal -1
	s_barrier_wait -1
	s_and_saveexec_b32 s46, s0
; %bb.64:                               ;   in Loop: Header=BB27_3 Depth=1
	ds_store_b64 v75, v[2:3] offset:32736
; %bb.65:                               ;   in Loop: Header=BB27_3 Depth=1
	s_or_b32 exec_lo, exec_lo, s46
	s_wait_dscnt 0x0
	s_barrier_signal -1
	s_barrier_wait -1
	s_barrier_signal -1
	s_barrier_wait -1
	s_and_saveexec_b32 s46, s92
	s_cbranch_execz .LBB27_67
; %bb.66:                               ;   in Loop: Header=BB27_3 Depth=1
	ds_load_b64 v[2:3], v50 offset:32224
	s_wait_dscnt 0x0
	ds_store_b64 v11, v[2:3] offset:31216
	ds_load_b64 v[2:3], v50 offset:32232
	s_wait_dscnt 0x0
	ds_store_b64 v11, v[2:3] offset:31728
.LBB27_67:                              ;   in Loop: Header=BB27_3 Depth=1
	s_or_b32 exec_lo, exec_lo, s46
	s_wait_dscnt 0x0
	s_barrier_signal -1
	s_barrier_wait -1
	s_and_saveexec_b32 s46, s10
	s_cbranch_execz .LBB27_69
; %bb.68:                               ;   in Loop: Header=BB27_3 Depth=1
	ds_load_b64 v[2:3], v7 offset:31712
	v_mov_b32_e32 v0, v7
	ds_store_b64 v7, v[34:35] offset:31720
	s_wait_dscnt 0x1
	ds_store_b128 v7, v[0:3] offset:31200
.LBB27_69:                              ;   in Loop: Header=BB27_3 Depth=1
	s_or_b32 exec_lo, exec_lo, s46
	v_mov_b64_e32 v[2:3], 0
	s_wait_dscnt 0x0
	s_barrier_signal -1
	s_barrier_wait -1
	global_wb scope:SCOPE_DEV
	s_wait_storecnt 0x0
	global_inv scope:SCOPE_DEV
	s_and_saveexec_b32 s57, s2
	s_cbranch_execz .LBB27_75
; %bb.70:                               ;   in Loop: Header=BB27_3 Depth=1
	ds_load_b64 v[2:3], v74 offset:31168
	ds_load_b64 v[48:49], v59 offset:32736
	s_wait_dscnt 0x0
	v_fma_f64 v[2:3], v[2:3], v[48:49], 0
	s_and_saveexec_b32 s46, s12
	s_cbranch_execnz .LBB27_1067
; %bb.71:                               ;   in Loop: Header=BB27_3 Depth=1
	s_or_b32 exec_lo, exec_lo, s46
	s_and_saveexec_b32 s46, s13
	s_cbranch_execnz .LBB27_1068
.LBB27_72:                              ;   in Loop: Header=BB27_3 Depth=1
	s_or_b32 exec_lo, exec_lo, s46
	s_and_saveexec_b32 s46, s0
	s_cbranch_execz .LBB27_74
.LBB27_73:                              ;   in Loop: Header=BB27_3 Depth=1
	ds_load_b64 v[48:49], v51 offset:32704
	ds_load_b64 v[98:99], v7 offset:32760
	s_wait_dscnt 0x0
	v_fmac_f64_e32 v[2:3], v[48:49], v[98:99]
.LBB27_74:                              ;   in Loop: Header=BB27_3 Depth=1
	s_or_b32 exec_lo, exec_lo, s46
.LBB27_75:                              ;   in Loop: Header=BB27_3 Depth=1
	s_delay_alu instid0(SALU_CYCLE_1)
	s_or_b32 exec_lo, exec_lo, s57
	s_and_saveexec_b32 s46, s93
; %bb.76:                               ;   in Loop: Header=BB27_3 Depth=1
	s_delay_alu instid0(VALU_DEP_1) | instskip(NEXT) | instid1(VALU_DEP_2)
	v_xor_b32_e32 v49, 0x80000000, v3
	v_mov_b32_e32 v48, v2
	ds_store_b64 v77, v[48:49]
; %bb.77:                               ;   in Loop: Header=BB27_3 Depth=1
	s_or_b32 exec_lo, exec_lo, s46
	s_wait_loadcnt_dscnt 0x0
	s_barrier_signal -1
	s_barrier_wait -1
	s_and_saveexec_b32 s46, s94
	s_cbranch_execz .LBB27_79
; %bb.78:                               ;   in Loop: Header=BB27_3 Depth=1
	ds_load_b64 v[48:49], v74 offset:30656
	ds_load_b64 v[98:99], v77
	s_wait_dscnt 0x0
	v_fma_f64 v[2:3], -v[48:49], v[98:99], v[2:3]
.LBB27_79:                              ;   in Loop: Header=BB27_3 Depth=1
	s_or_b32 exec_lo, exec_lo, s46
	s_barrier_signal -1
	s_barrier_wait -1
	s_and_saveexec_b32 s46, s95
; %bb.80:                               ;   in Loop: Header=BB27_3 Depth=1
	s_delay_alu instid0(VALU_DEP_1) | instskip(NEXT) | instid1(VALU_DEP_2)
	v_xor_b32_e32 v49, 0x80000000, v3
	v_mov_b32_e32 v48, v2
	ds_store_b64 v77, v[48:49]
; %bb.81:                               ;   in Loop: Header=BB27_3 Depth=1
	s_or_b32 exec_lo, exec_lo, s46
	s_wait_dscnt 0x0
	s_barrier_signal -1
	s_barrier_wait -1
	s_and_saveexec_b32 s46, s96
	s_cbranch_execz .LBB27_83
; %bb.82:                               ;   in Loop: Header=BB27_3 Depth=1
	ds_load_b64 v[48:49], v74 offset:30144
	ds_load_b64 v[98:99], v77
	s_wait_dscnt 0x0
	v_fma_f64 v[2:3], -v[48:49], v[98:99], v[2:3]
.LBB27_83:                              ;   in Loop: Header=BB27_3 Depth=1
	s_or_b32 exec_lo, exec_lo, s46
	s_barrier_signal -1
	s_barrier_wait -1
	s_and_saveexec_b32 s46, s97
; %bb.84:                               ;   in Loop: Header=BB27_3 Depth=1
	s_delay_alu instid0(VALU_DEP_1) | instskip(NEXT) | instid1(VALU_DEP_2)
	v_xor_b32_e32 v49, 0x80000000, v3
	v_mov_b32_e32 v48, v2
	ds_store_b64 v77, v[48:49]
; %bb.85:                               ;   in Loop: Header=BB27_3 Depth=1
	s_or_b32 exec_lo, exec_lo, s46
	s_wait_dscnt 0x0
	;; [unrolled: 22-line block ×3, first 2 shown]
	s_barrier_signal -1
	s_barrier_wait -1
	s_barrier_signal -1
	s_barrier_wait -1
	s_and_saveexec_b32 s46, s2
; %bb.90:                               ;   in Loop: Header=BB27_3 Depth=1
	ds_store_b64 v79, v[2:3] offset:32704
; %bb.91:                               ;   in Loop: Header=BB27_3 Depth=1
	s_or_b32 exec_lo, exec_lo, s46
	s_wait_dscnt 0x0
	s_barrier_signal -1
	s_barrier_wait -1
	s_barrier_signal -1
	s_barrier_wait -1
	s_and_saveexec_b32 s46, s99
	s_cbranch_execz .LBB27_93
; %bb.92:                               ;   in Loop: Header=BB27_3 Depth=1
	ds_load_b64 v[2:3], v52 offset:31168
	s_wait_dscnt 0x0
	ds_store_b64 v53, v[2:3] offset:29152
	ds_load_b64 v[2:3], v52 offset:31176
	s_wait_dscnt 0x0
	ds_store_b64 v53, v[2:3] offset:29664
	;; [unrolled: 3-line block ×4, first 2 shown]
.LBB27_93:                              ;   in Loop: Header=BB27_3 Depth=1
	s_or_b32 exec_lo, exec_lo, s46
	s_wait_dscnt 0x0
	s_barrier_signal -1
	s_barrier_wait -1
	s_and_saveexec_b32 s46, s10
	s_cbranch_execz .LBB27_95
; %bb.94:                               ;   in Loop: Header=BB27_3 Depth=1
	ds_load_b64 v[2:3], v7 offset:30672
	v_mov_b32_e32 v0, v7
	ds_store_b64 v7, v[34:35] offset:30680
	s_wait_dscnt 0x1
	ds_store_b128 v7, v[0:3] offset:30160
.LBB27_95:                              ;   in Loop: Header=BB27_3 Depth=1
	s_or_b32 exec_lo, exec_lo, s46
	v_mov_b64_e32 v[2:3], 0
	s_wait_dscnt 0x0
	s_barrier_signal -1
	s_barrier_wait -1
	global_wb scope:SCOPE_DEV
	s_wait_storecnt 0x0
	global_inv scope:SCOPE_DEV
	s_and_saveexec_b32 s46, s0
	s_cbranch_execz .LBB27_99
; %bb.96:                               ;   in Loop: Header=BB27_3 Depth=1
	ds_load_b64 v[2:3], v72 offset:30144
	ds_load_b64 v[48:49], v57 offset:30672
	s_wait_dscnt 0x0
	v_fma_f64 v[2:3], v[2:3], v[48:49], 0
	s_and_saveexec_b32 s47, s11
	s_cbranch_execz .LBB27_98
; %bb.97:                               ;   in Loop: Header=BB27_3 Depth=1
	ds_load_b64 v[48:49], v53 offset:30656
	ds_load_b64 v[98:99], v7 offset:30680
	s_wait_dscnt 0x0
	v_fmac_f64_e32 v[2:3], v[48:49], v[98:99]
.LBB27_98:                              ;   in Loop: Header=BB27_3 Depth=1
	s_or_b32 exec_lo, exec_lo, s47
.LBB27_99:                              ;   in Loop: Header=BB27_3 Depth=1
	s_delay_alu instid0(SALU_CYCLE_1)
	s_or_b32 exec_lo, exec_lo, s46
	s_and_saveexec_b32 s46, s90
; %bb.100:                              ;   in Loop: Header=BB27_3 Depth=1
	s_delay_alu instid0(VALU_DEP_1) | instskip(NEXT) | instid1(VALU_DEP_2)
	v_xor_b32_e32 v49, 0x80000000, v3
	v_mov_b32_e32 v48, v2
	ds_store_b64 v73, v[48:49]
; %bb.101:                              ;   in Loop: Header=BB27_3 Depth=1
	s_or_b32 exec_lo, exec_lo, s46
	s_wait_loadcnt_dscnt 0x0
	s_barrier_signal -1
	s_barrier_wait -1
	s_and_saveexec_b32 s46, s91
	s_cbranch_execz .LBB27_103
; %bb.102:                              ;   in Loop: Header=BB27_3 Depth=1
	ds_load_b64 v[48:49], v7 offset:29632
	ds_load_b64 v[98:99], v73
	s_wait_dscnt 0x0
	v_fma_f64 v[2:3], -v[48:49], v[98:99], v[2:3]
.LBB27_103:                             ;   in Loop: Header=BB27_3 Depth=1
	s_or_b32 exec_lo, exec_lo, s46
	s_barrier_signal -1
	s_barrier_wait -1
	s_and_saveexec_b32 s46, s91
; %bb.104:                              ;   in Loop: Header=BB27_3 Depth=1
	s_delay_alu instid0(VALU_DEP_1) | instskip(NEXT) | instid1(VALU_DEP_2)
	v_xor_b32_e32 v49, 0x80000000, v3
	v_mov_b32_e32 v48, v2
	ds_store_b64 v73, v[48:49]
; %bb.105:                              ;   in Loop: Header=BB27_3 Depth=1
	s_or_b32 exec_lo, exec_lo, s46
	s_wait_dscnt 0x0
	s_barrier_signal -1
	s_barrier_wait -1
	s_barrier_signal -1
	s_barrier_wait -1
	s_and_saveexec_b32 s46, s0
; %bb.106:                              ;   in Loop: Header=BB27_3 Depth=1
	ds_store_b64 v75, v[2:3] offset:30656
; %bb.107:                              ;   in Loop: Header=BB27_3 Depth=1
	s_or_b32 exec_lo, exec_lo, s46
	s_wait_dscnt 0x0
	s_barrier_signal -1
	s_barrier_wait -1
	s_barrier_signal -1
	s_barrier_wait -1
	s_and_saveexec_b32 s46, s92
	s_cbranch_execz .LBB27_109
; %bb.108:                              ;   in Loop: Header=BB27_3 Depth=1
	ds_load_b64 v[2:3], v54 offset:30144
	s_wait_dscnt 0x0
	ds_store_b64 v53, v[2:3] offset:29136
	ds_load_b64 v[2:3], v54 offset:30152
	s_wait_dscnt 0x0
	ds_store_b64 v53, v[2:3] offset:29648
.LBB27_109:                             ;   in Loop: Header=BB27_3 Depth=1
	s_or_b32 exec_lo, exec_lo, s46
	s_wait_dscnt 0x0
	s_barrier_signal -1
	s_barrier_wait -1
	s_and_saveexec_b32 s46, s10
	s_cbranch_execz .LBB27_111
; %bb.110:                              ;   in Loop: Header=BB27_3 Depth=1
	ds_load_b64 v[2:3], v7 offset:29632
	v_mov_b32_e32 v0, v7
	ds_store_b64 v7, v[34:35] offset:29640
	s_wait_dscnt 0x1
	ds_store_b128 v7, v[0:3] offset:29120
.LBB27_111:                             ;   in Loop: Header=BB27_3 Depth=1
	s_or_b32 exec_lo, exec_lo, s46
	v_mov_b64_e32 v[2:3], 0
	s_wait_dscnt 0x0
	s_barrier_signal -1
	s_barrier_wait -1
	global_wb scope:SCOPE_DEV
	s_wait_storecnt 0x0
	global_inv scope:SCOPE_DEV
	s_and_saveexec_b32 s57, s3
	s_cbranch_execz .LBB27_121
; %bb.112:                              ;   in Loop: Header=BB27_3 Depth=1
	ds_load_b64 v[2:3], v76 offset:29056
	ds_load_b64 v[48:49], v63 offset:32704
	s_wait_dscnt 0x0
	v_fma_f64 v[2:3], v[2:3], v[48:49], 0
	s_and_saveexec_b32 s46, s14
	s_cbranch_execnz .LBB27_1069
; %bb.113:                              ;   in Loop: Header=BB27_3 Depth=1
	s_or_b32 exec_lo, exec_lo, s46
	s_and_saveexec_b32 s46, s15
	s_cbranch_execnz .LBB27_1070
.LBB27_114:                             ;   in Loop: Header=BB27_3 Depth=1
	s_or_b32 exec_lo, exec_lo, s46
	s_and_saveexec_b32 s46, s16
	s_cbranch_execnz .LBB27_1071
.LBB27_115:                             ;   in Loop: Header=BB27_3 Depth=1
	s_or_b32 exec_lo, exec_lo, s46
	s_and_saveexec_b32 s46, s17
	s_cbranch_execnz .LBB27_1072
.LBB27_116:                             ;   in Loop: Header=BB27_3 Depth=1
	s_or_b32 exec_lo, exec_lo, s46
	s_and_saveexec_b32 s46, s18
	s_cbranch_execnz .LBB27_1073
.LBB27_117:                             ;   in Loop: Header=BB27_3 Depth=1
	s_or_b32 exec_lo, exec_lo, s46
	s_and_saveexec_b32 s46, s2
	s_cbranch_execnz .LBB27_1074
.LBB27_118:                             ;   in Loop: Header=BB27_3 Depth=1
	s_or_b32 exec_lo, exec_lo, s46
	s_and_saveexec_b32 s46, s13
	s_cbranch_execz .LBB27_120
.LBB27_119:                             ;   in Loop: Header=BB27_3 Depth=1
	ds_load_b64 v[48:49], v55 offset:32640
	ds_load_b64 v[98:99], v7 offset:32760
	s_wait_dscnt 0x0
	v_fmac_f64_e32 v[2:3], v[48:49], v[98:99]
.LBB27_120:                             ;   in Loop: Header=BB27_3 Depth=1
	s_or_b32 exec_lo, exec_lo, s46
.LBB27_121:                             ;   in Loop: Header=BB27_3 Depth=1
	s_delay_alu instid0(SALU_CYCLE_1)
	s_or_b32 exec_lo, exec_lo, s57
	s_and_saveexec_b32 s46, s100
; %bb.122:                              ;   in Loop: Header=BB27_3 Depth=1
	s_delay_alu instid0(VALU_DEP_1) | instskip(NEXT) | instid1(VALU_DEP_2)
	v_xor_b32_e32 v49, 0x80000000, v3
	v_mov_b32_e32 v48, v2
	ds_store_b64 v80, v[48:49]
; %bb.123:                              ;   in Loop: Header=BB27_3 Depth=1
	s_or_b32 exec_lo, exec_lo, s46
	s_wait_loadcnt_dscnt 0x0
	s_barrier_signal -1
	s_barrier_wait -1
	s_and_saveexec_b32 s46, s101
	s_cbranch_execz .LBB27_125
; %bb.124:                              ;   in Loop: Header=BB27_3 Depth=1
	ds_load_b64 v[48:49], v76 offset:28544
	ds_load_b64 v[98:99], v80
	s_wait_dscnt 0x0
	v_fma_f64 v[2:3], -v[48:49], v[98:99], v[2:3]
.LBB27_125:                             ;   in Loop: Header=BB27_3 Depth=1
	s_or_b32 exec_lo, exec_lo, s46
	s_barrier_signal -1
	s_barrier_wait -1
	s_and_saveexec_b32 s46, s102
; %bb.126:                              ;   in Loop: Header=BB27_3 Depth=1
	s_delay_alu instid0(VALU_DEP_1) | instskip(NEXT) | instid1(VALU_DEP_2)
	v_xor_b32_e32 v49, 0x80000000, v3
	v_mov_b32_e32 v48, v2
	ds_store_b64 v80, v[48:49]
; %bb.127:                              ;   in Loop: Header=BB27_3 Depth=1
	s_or_b32 exec_lo, exec_lo, s46
	s_wait_dscnt 0x0
	s_barrier_signal -1
	s_barrier_wait -1
	s_and_saveexec_b32 s46, s103
	s_cbranch_execz .LBB27_129
; %bb.128:                              ;   in Loop: Header=BB27_3 Depth=1
	ds_load_b64 v[48:49], v76 offset:28032
	ds_load_b64 v[98:99], v80
	s_wait_dscnt 0x0
	v_fma_f64 v[2:3], -v[48:49], v[98:99], v[2:3]
.LBB27_129:                             ;   in Loop: Header=BB27_3 Depth=1
	s_or_b32 exec_lo, exec_lo, s46
	s_barrier_signal -1
	s_barrier_wait -1
	s_and_saveexec_b32 s46, s104
; %bb.130:                              ;   in Loop: Header=BB27_3 Depth=1
	s_delay_alu instid0(VALU_DEP_1) | instskip(NEXT) | instid1(VALU_DEP_2)
	v_xor_b32_e32 v49, 0x80000000, v3
	v_mov_b32_e32 v48, v2
	ds_store_b64 v80, v[48:49]
; %bb.131:                              ;   in Loop: Header=BB27_3 Depth=1
	s_or_b32 exec_lo, exec_lo, s46
	s_wait_dscnt 0x0
	s_barrier_signal -1
	s_barrier_wait -1
	s_and_saveexec_b32 s46, vcc_hi
	s_cbranch_execz .LBB27_133
; %bb.132:                              ;   in Loop: Header=BB27_3 Depth=1
	ds_load_b64 v[48:49], v76 offset:27520
	ds_load_b64 v[98:99], v80
	s_wait_dscnt 0x0
	v_fma_f64 v[2:3], -v[48:49], v[98:99], v[2:3]
.LBB27_133:                             ;   in Loop: Header=BB27_3 Depth=1
	s_or_b32 exec_lo, exec_lo, s46
	s_barrier_signal -1
	s_barrier_wait -1
	s_and_saveexec_b32 s46, s31
; %bb.134:                              ;   in Loop: Header=BB27_3 Depth=1
	s_delay_alu instid0(VALU_DEP_1) | instskip(NEXT) | instid1(VALU_DEP_2)
	v_xor_b32_e32 v49, 0x80000000, v3
	v_mov_b32_e32 v48, v2
	ds_store_b64 v80, v[48:49]
; %bb.135:                              ;   in Loop: Header=BB27_3 Depth=1
	s_or_b32 exec_lo, exec_lo, s46
	s_wait_dscnt 0x0
	s_barrier_signal -1
	s_barrier_wait -1
	s_and_saveexec_b32 s46, s33
	s_cbranch_execz .LBB27_137
; %bb.136:                              ;   in Loop: Header=BB27_3 Depth=1
	ds_load_b64 v[48:49], v76 offset:27008
	ds_load_b64 v[98:99], v80
	s_wait_dscnt 0x0
	v_fma_f64 v[2:3], -v[48:49], v[98:99], v[2:3]
.LBB27_137:                             ;   in Loop: Header=BB27_3 Depth=1
	s_or_b32 exec_lo, exec_lo, s46
	s_barrier_signal -1
	s_barrier_wait -1
	s_and_saveexec_b32 s46, s34
; %bb.138:                              ;   in Loop: Header=BB27_3 Depth=1
	s_delay_alu instid0(VALU_DEP_1) | instskip(NEXT) | instid1(VALU_DEP_2)
	v_xor_b32_e32 v49, 0x80000000, v3
	v_mov_b32_e32 v48, v2
	ds_store_b64 v80, v[48:49]
; %bb.139:                              ;   in Loop: Header=BB27_3 Depth=1
	s_or_b32 exec_lo, exec_lo, s46
	s_wait_dscnt 0x0
	s_barrier_signal -1
	s_barrier_wait -1
	s_and_saveexec_b32 s46, s35
	;; [unrolled: 22-line block ×4, first 2 shown]
	s_cbranch_execz .LBB27_149
; %bb.148:                              ;   in Loop: Header=BB27_3 Depth=1
	ds_load_b64 v[48:49], v7 offset:25472
	ds_load_b64 v[98:99], v80
	s_wait_dscnt 0x0
	v_fma_f64 v[2:3], -v[48:49], v[98:99], v[2:3]
.LBB27_149:                             ;   in Loop: Header=BB27_3 Depth=1
	s_or_b32 exec_lo, exec_lo, s46
	s_barrier_signal -1
	s_barrier_wait -1
	s_and_saveexec_b32 s46, s39
; %bb.150:                              ;   in Loop: Header=BB27_3 Depth=1
	s_delay_alu instid0(VALU_DEP_1) | instskip(NEXT) | instid1(VALU_DEP_2)
	v_xor_b32_e32 v49, 0x80000000, v3
	v_mov_b32_e32 v48, v2
	ds_store_b64 v80, v[48:49]
; %bb.151:                              ;   in Loop: Header=BB27_3 Depth=1
	s_or_b32 exec_lo, exec_lo, s46
	s_wait_dscnt 0x0
	s_barrier_signal -1
	s_barrier_wait -1
	s_barrier_signal -1
	s_barrier_wait -1
	s_and_saveexec_b32 s46, s3
; %bb.152:                              ;   in Loop: Header=BB27_3 Depth=1
	ds_store_b64 v81, v[2:3] offset:32640
; %bb.153:                              ;   in Loop: Header=BB27_3 Depth=1
	s_or_b32 exec_lo, exec_lo, s46
	s_wait_dscnt 0x0
	s_barrier_signal -1
	s_barrier_wait -1
	s_barrier_signal -1
	s_barrier_wait -1
	s_and_saveexec_b32 s46, s40
	s_cbranch_execz .LBB27_155
; %bb.154:                              ;   in Loop: Header=BB27_3 Depth=1
	ds_load_b64 v[2:3], v56 offset:29056
	s_wait_dscnt 0x0
	ds_store_b64 v58, v[2:3] offset:25024
	ds_load_b64 v[2:3], v56 offset:29064
	s_wait_dscnt 0x0
	ds_store_b64 v58, v[2:3] offset:25536
	ds_load_b64 v[2:3], v56 offset:29072
	s_wait_dscnt 0x0
	ds_store_b64 v58, v[2:3] offset:26048
	ds_load_b64 v[2:3], v56 offset:29080
	s_wait_dscnt 0x0
	ds_store_b64 v58, v[2:3] offset:26560
	ds_load_b64 v[2:3], v56 offset:29088
	s_wait_dscnt 0x0
	ds_store_b64 v58, v[2:3] offset:27072
	ds_load_b64 v[2:3], v56 offset:29096
	s_wait_dscnt 0x0
	ds_store_b64 v58, v[2:3] offset:27584
	ds_load_b64 v[2:3], v56 offset:29104
	s_wait_dscnt 0x0
	ds_store_b64 v58, v[2:3] offset:28096
	ds_load_b64 v[2:3], v56 offset:29112
	s_wait_dscnt 0x0
	ds_store_b64 v58, v[2:3] offset:28608
.LBB27_155:                             ;   in Loop: Header=BB27_3 Depth=1
	s_or_b32 exec_lo, exec_lo, s46
	s_wait_dscnt 0x0
	s_barrier_signal -1
	s_barrier_wait -1
	s_and_saveexec_b32 s46, s10
	s_cbranch_execz .LBB27_157
; %bb.156:                              ;   in Loop: Header=BB27_3 Depth=1
	ds_load_b64 v[2:3], v7 offset:28592
	v_mov_b32_e32 v0, v7
	ds_store_b64 v7, v[34:35] offset:28600
	s_wait_dscnt 0x1
	ds_store_b128 v7, v[0:3] offset:28080
.LBB27_157:                             ;   in Loop: Header=BB27_3 Depth=1
	s_or_b32 exec_lo, exec_lo, s46
	v_mov_b64_e32 v[2:3], 0
	s_wait_dscnt 0x0
	s_barrier_signal -1
	s_barrier_wait -1
	global_wb scope:SCOPE_DEV
	s_wait_storecnt 0x0
	global_inv scope:SCOPE_DEV
	s_and_saveexec_b32 s46, s0
	s_cbranch_execz .LBB27_161
; %bb.158:                              ;   in Loop: Header=BB27_3 Depth=1
	ds_load_b64 v[2:3], v72 offset:28064
	ds_load_b64 v[48:49], v57 offset:28592
	s_wait_dscnt 0x0
	v_fma_f64 v[2:3], v[2:3], v[48:49], 0
	s_and_saveexec_b32 s47, s11
	s_cbranch_execz .LBB27_160
; %bb.159:                              ;   in Loop: Header=BB27_3 Depth=1
	ds_load_b64 v[48:49], v58 offset:28576
	ds_load_b64 v[98:99], v7 offset:28600
	s_wait_dscnt 0x0
	v_fmac_f64_e32 v[2:3], v[48:49], v[98:99]
.LBB27_160:                             ;   in Loop: Header=BB27_3 Depth=1
	s_or_b32 exec_lo, exec_lo, s47
.LBB27_161:                             ;   in Loop: Header=BB27_3 Depth=1
	s_delay_alu instid0(SALU_CYCLE_1)
	s_or_b32 exec_lo, exec_lo, s46
	s_and_saveexec_b32 s46, s90
; %bb.162:                              ;   in Loop: Header=BB27_3 Depth=1
	s_delay_alu instid0(VALU_DEP_1) | instskip(NEXT) | instid1(VALU_DEP_2)
	v_xor_b32_e32 v49, 0x80000000, v3
	v_mov_b32_e32 v48, v2
	ds_store_b64 v73, v[48:49]
; %bb.163:                              ;   in Loop: Header=BB27_3 Depth=1
	s_or_b32 exec_lo, exec_lo, s46
	s_wait_loadcnt_dscnt 0x0
	s_barrier_signal -1
	s_barrier_wait -1
	s_and_saveexec_b32 s46, s91
	s_cbranch_execz .LBB27_165
; %bb.164:                              ;   in Loop: Header=BB27_3 Depth=1
	ds_load_b64 v[48:49], v7 offset:27552
	ds_load_b64 v[98:99], v73
	s_wait_dscnt 0x0
	v_fma_f64 v[2:3], -v[48:49], v[98:99], v[2:3]
.LBB27_165:                             ;   in Loop: Header=BB27_3 Depth=1
	s_or_b32 exec_lo, exec_lo, s46
	s_barrier_signal -1
	s_barrier_wait -1
	s_and_saveexec_b32 s46, s91
; %bb.166:                              ;   in Loop: Header=BB27_3 Depth=1
	s_delay_alu instid0(VALU_DEP_1) | instskip(NEXT) | instid1(VALU_DEP_2)
	v_xor_b32_e32 v49, 0x80000000, v3
	v_mov_b32_e32 v48, v2
	ds_store_b64 v73, v[48:49]
; %bb.167:                              ;   in Loop: Header=BB27_3 Depth=1
	s_or_b32 exec_lo, exec_lo, s46
	s_wait_dscnt 0x0
	s_barrier_signal -1
	s_barrier_wait -1
	s_barrier_signal -1
	s_barrier_wait -1
	s_and_saveexec_b32 s46, s0
; %bb.168:                              ;   in Loop: Header=BB27_3 Depth=1
	ds_store_b64 v75, v[2:3] offset:28576
; %bb.169:                              ;   in Loop: Header=BB27_3 Depth=1
	s_or_b32 exec_lo, exec_lo, s46
	s_wait_dscnt 0x0
	s_barrier_signal -1
	s_barrier_wait -1
	s_barrier_signal -1
	s_barrier_wait -1
	s_and_saveexec_b32 s46, s92
	s_cbranch_execz .LBB27_171
; %bb.170:                              ;   in Loop: Header=BB27_3 Depth=1
	ds_load_b64 v[2:3], v60 offset:28064
	s_wait_dscnt 0x0
	ds_store_b64 v58, v[2:3] offset:27056
	ds_load_b64 v[2:3], v60 offset:28072
	s_wait_dscnt 0x0
	ds_store_b64 v58, v[2:3] offset:27568
.LBB27_171:                             ;   in Loop: Header=BB27_3 Depth=1
	s_or_b32 exec_lo, exec_lo, s46
	s_wait_dscnt 0x0
	s_barrier_signal -1
	s_barrier_wait -1
	s_and_saveexec_b32 s46, s10
	s_cbranch_execz .LBB27_173
; %bb.172:                              ;   in Loop: Header=BB27_3 Depth=1
	ds_load_b64 v[2:3], v7 offset:27552
	v_mov_b32_e32 v0, v7
	ds_store_b64 v7, v[34:35] offset:27560
	s_wait_dscnt 0x1
	ds_store_b128 v7, v[0:3] offset:27040
.LBB27_173:                             ;   in Loop: Header=BB27_3 Depth=1
	s_or_b32 exec_lo, exec_lo, s46
	v_mov_b64_e32 v[2:3], 0
	s_wait_dscnt 0x0
	s_barrier_signal -1
	s_barrier_wait -1
	global_wb scope:SCOPE_DEV
	s_wait_storecnt 0x0
	global_inv scope:SCOPE_DEV
	s_and_saveexec_b32 s57, s2
	s_cbranch_execz .LBB27_179
; %bb.174:                              ;   in Loop: Header=BB27_3 Depth=1
	ds_load_b64 v[2:3], v74 offset:27008
	ds_load_b64 v[48:49], v59 offset:28576
	s_wait_dscnt 0x0
	v_fma_f64 v[2:3], v[2:3], v[48:49], 0
	s_and_saveexec_b32 s46, s12
	s_cbranch_execnz .LBB27_1075
; %bb.175:                              ;   in Loop: Header=BB27_3 Depth=1
	s_or_b32 exec_lo, exec_lo, s46
	s_and_saveexec_b32 s46, s13
	s_cbranch_execnz .LBB27_1076
.LBB27_176:                             ;   in Loop: Header=BB27_3 Depth=1
	s_or_b32 exec_lo, exec_lo, s46
	s_and_saveexec_b32 s46, s0
	s_cbranch_execz .LBB27_178
.LBB27_177:                             ;   in Loop: Header=BB27_3 Depth=1
	ds_load_b64 v[48:49], v62 offset:28544
	ds_load_b64 v[98:99], v7 offset:28600
	s_wait_dscnt 0x0
	v_fmac_f64_e32 v[2:3], v[48:49], v[98:99]
.LBB27_178:                             ;   in Loop: Header=BB27_3 Depth=1
	s_or_b32 exec_lo, exec_lo, s46
.LBB27_179:                             ;   in Loop: Header=BB27_3 Depth=1
	s_delay_alu instid0(SALU_CYCLE_1)
	s_or_b32 exec_lo, exec_lo, s57
	s_and_saveexec_b32 s46, s93
; %bb.180:                              ;   in Loop: Header=BB27_3 Depth=1
	s_delay_alu instid0(VALU_DEP_1) | instskip(NEXT) | instid1(VALU_DEP_2)
	v_xor_b32_e32 v49, 0x80000000, v3
	v_mov_b32_e32 v48, v2
	ds_store_b64 v77, v[48:49]
; %bb.181:                              ;   in Loop: Header=BB27_3 Depth=1
	s_or_b32 exec_lo, exec_lo, s46
	s_wait_loadcnt_dscnt 0x0
	s_barrier_signal -1
	s_barrier_wait -1
	s_and_saveexec_b32 s46, s94
	s_cbranch_execz .LBB27_183
; %bb.182:                              ;   in Loop: Header=BB27_3 Depth=1
	ds_load_b64 v[48:49], v74 offset:26496
	ds_load_b64 v[98:99], v77
	s_wait_dscnt 0x0
	v_fma_f64 v[2:3], -v[48:49], v[98:99], v[2:3]
.LBB27_183:                             ;   in Loop: Header=BB27_3 Depth=1
	s_or_b32 exec_lo, exec_lo, s46
	s_barrier_signal -1
	s_barrier_wait -1
	s_and_saveexec_b32 s46, s95
; %bb.184:                              ;   in Loop: Header=BB27_3 Depth=1
	s_delay_alu instid0(VALU_DEP_1) | instskip(NEXT) | instid1(VALU_DEP_2)
	v_xor_b32_e32 v49, 0x80000000, v3
	v_mov_b32_e32 v48, v2
	ds_store_b64 v77, v[48:49]
; %bb.185:                              ;   in Loop: Header=BB27_3 Depth=1
	s_or_b32 exec_lo, exec_lo, s46
	s_wait_dscnt 0x0
	s_barrier_signal -1
	s_barrier_wait -1
	s_and_saveexec_b32 s46, s96
	s_cbranch_execz .LBB27_187
; %bb.186:                              ;   in Loop: Header=BB27_3 Depth=1
	ds_load_b64 v[48:49], v74 offset:25984
	ds_load_b64 v[98:99], v77
	s_wait_dscnt 0x0
	v_fma_f64 v[2:3], -v[48:49], v[98:99], v[2:3]
.LBB27_187:                             ;   in Loop: Header=BB27_3 Depth=1
	s_or_b32 exec_lo, exec_lo, s46
	s_barrier_signal -1
	s_barrier_wait -1
	s_and_saveexec_b32 s46, s97
; %bb.188:                              ;   in Loop: Header=BB27_3 Depth=1
	s_delay_alu instid0(VALU_DEP_1) | instskip(NEXT) | instid1(VALU_DEP_2)
	v_xor_b32_e32 v49, 0x80000000, v3
	v_mov_b32_e32 v48, v2
	ds_store_b64 v77, v[48:49]
; %bb.189:                              ;   in Loop: Header=BB27_3 Depth=1
	s_or_b32 exec_lo, exec_lo, s46
	s_wait_dscnt 0x0
	;; [unrolled: 22-line block ×3, first 2 shown]
	s_barrier_signal -1
	s_barrier_wait -1
	s_barrier_signal -1
	s_barrier_wait -1
	s_and_saveexec_b32 s46, s2
; %bb.194:                              ;   in Loop: Header=BB27_3 Depth=1
	ds_store_b64 v79, v[2:3] offset:28544
; %bb.195:                              ;   in Loop: Header=BB27_3 Depth=1
	s_or_b32 exec_lo, exec_lo, s46
	s_wait_dscnt 0x0
	s_barrier_signal -1
	s_barrier_wait -1
	s_barrier_signal -1
	s_barrier_wait -1
	s_and_saveexec_b32 s46, s99
	s_cbranch_execz .LBB27_197
; %bb.196:                              ;   in Loop: Header=BB27_3 Depth=1
	ds_load_b64 v[2:3], v67 offset:27008
	s_wait_dscnt 0x0
	ds_store_b64 v68, v[2:3] offset:24992
	ds_load_b64 v[2:3], v67 offset:27016
	s_wait_dscnt 0x0
	ds_store_b64 v68, v[2:3] offset:25504
	;; [unrolled: 3-line block ×4, first 2 shown]
.LBB27_197:                             ;   in Loop: Header=BB27_3 Depth=1
	s_or_b32 exec_lo, exec_lo, s46
	s_wait_dscnt 0x0
	s_barrier_signal -1
	s_barrier_wait -1
	s_and_saveexec_b32 s46, s10
	s_cbranch_execz .LBB27_199
; %bb.198:                              ;   in Loop: Header=BB27_3 Depth=1
	ds_load_b64 v[2:3], v7 offset:26512
	v_mov_b32_e32 v0, v7
	ds_store_b64 v7, v[34:35] offset:26520
	s_wait_dscnt 0x1
	ds_store_b128 v7, v[0:3] offset:26000
.LBB27_199:                             ;   in Loop: Header=BB27_3 Depth=1
	s_or_b32 exec_lo, exec_lo, s46
	v_mov_b64_e32 v[2:3], 0
	s_wait_dscnt 0x0
	s_barrier_signal -1
	s_barrier_wait -1
	global_wb scope:SCOPE_DEV
	s_wait_storecnt 0x0
	global_inv scope:SCOPE_DEV
	s_and_saveexec_b32 s46, s0
	s_cbranch_execz .LBB27_203
; %bb.200:                              ;   in Loop: Header=BB27_3 Depth=1
	ds_load_b64 v[2:3], v72 offset:25984
	ds_load_b64 v[48:49], v57 offset:26512
	s_wait_dscnt 0x0
	v_fma_f64 v[2:3], v[2:3], v[48:49], 0
	s_and_saveexec_b32 s47, s11
	s_cbranch_execz .LBB27_202
; %bb.201:                              ;   in Loop: Header=BB27_3 Depth=1
	ds_load_b64 v[48:49], v68 offset:26496
	ds_load_b64 v[98:99], v7 offset:26520
	s_wait_dscnt 0x0
	v_fmac_f64_e32 v[2:3], v[48:49], v[98:99]
.LBB27_202:                             ;   in Loop: Header=BB27_3 Depth=1
	s_or_b32 exec_lo, exec_lo, s47
.LBB27_203:                             ;   in Loop: Header=BB27_3 Depth=1
	s_delay_alu instid0(SALU_CYCLE_1)
	s_or_b32 exec_lo, exec_lo, s46
	s_and_saveexec_b32 s46, s90
; %bb.204:                              ;   in Loop: Header=BB27_3 Depth=1
	s_delay_alu instid0(VALU_DEP_1) | instskip(NEXT) | instid1(VALU_DEP_2)
	v_xor_b32_e32 v49, 0x80000000, v3
	v_mov_b32_e32 v48, v2
	ds_store_b64 v73, v[48:49]
; %bb.205:                              ;   in Loop: Header=BB27_3 Depth=1
	s_or_b32 exec_lo, exec_lo, s46
	s_wait_loadcnt_dscnt 0x0
	s_barrier_signal -1
	s_barrier_wait -1
	s_and_saveexec_b32 s46, s91
	s_cbranch_execz .LBB27_207
; %bb.206:                              ;   in Loop: Header=BB27_3 Depth=1
	ds_load_b64 v[48:49], v7 offset:25472
	ds_load_b64 v[98:99], v73
	s_wait_dscnt 0x0
	v_fma_f64 v[2:3], -v[48:49], v[98:99], v[2:3]
.LBB27_207:                             ;   in Loop: Header=BB27_3 Depth=1
	s_or_b32 exec_lo, exec_lo, s46
	s_barrier_signal -1
	s_barrier_wait -1
	s_and_saveexec_b32 s46, s91
; %bb.208:                              ;   in Loop: Header=BB27_3 Depth=1
	s_delay_alu instid0(VALU_DEP_1) | instskip(NEXT) | instid1(VALU_DEP_2)
	v_xor_b32_e32 v49, 0x80000000, v3
	v_mov_b32_e32 v48, v2
	ds_store_b64 v73, v[48:49]
; %bb.209:                              ;   in Loop: Header=BB27_3 Depth=1
	s_or_b32 exec_lo, exec_lo, s46
	s_wait_dscnt 0x0
	s_barrier_signal -1
	s_barrier_wait -1
	s_barrier_signal -1
	s_barrier_wait -1
	s_and_saveexec_b32 s46, s0
; %bb.210:                              ;   in Loop: Header=BB27_3 Depth=1
	ds_store_b64 v75, v[2:3] offset:26496
; %bb.211:                              ;   in Loop: Header=BB27_3 Depth=1
	s_or_b32 exec_lo, exec_lo, s46
	s_wait_dscnt 0x0
	s_barrier_signal -1
	s_barrier_wait -1
	s_barrier_signal -1
	s_barrier_wait -1
	s_and_saveexec_b32 s46, s92
	s_cbranch_execz .LBB27_213
; %bb.212:                              ;   in Loop: Header=BB27_3 Depth=1
	ds_load_b64 v[2:3], v69 offset:25984
	s_wait_dscnt 0x0
	ds_store_b64 v68, v[2:3] offset:24976
	ds_load_b64 v[2:3], v69 offset:25992
	s_wait_dscnt 0x0
	ds_store_b64 v68, v[2:3] offset:25488
.LBB27_213:                             ;   in Loop: Header=BB27_3 Depth=1
	s_or_b32 exec_lo, exec_lo, s46
	s_wait_dscnt 0x0
	s_barrier_signal -1
	s_barrier_wait -1
	s_and_saveexec_b32 s46, s10
	s_cbranch_execz .LBB27_215
; %bb.214:                              ;   in Loop: Header=BB27_3 Depth=1
	ds_load_b64 v[2:3], v7 offset:25472
	v_mov_b32_e32 v0, v7
	ds_store_b64 v7, v[34:35] offset:25480
	s_wait_dscnt 0x1
	ds_store_b128 v7, v[0:3] offset:24960
.LBB27_215:                             ;   in Loop: Header=BB27_3 Depth=1
	s_or_b32 exec_lo, exec_lo, s46
	v_mov_b64_e32 v[2:3], 0
	s_wait_dscnt 0x0
	s_barrier_signal -1
	s_barrier_wait -1
	global_wb scope:SCOPE_DEV
	s_wait_storecnt 0x0
	global_inv scope:SCOPE_DEV
	s_and_saveexec_b32 s61, s4
	s_cbranch_execz .LBB27_243
; %bb.216:                              ;   in Loop: Header=BB27_3 Depth=1
	ds_load_b64 v[2:3], v78 offset:24832
	ds_load_b64 v[48:49], v65 offset:32640
	s_wait_dscnt 0x0
	v_fma_f64 v[2:3], v[2:3], v[48:49], 0
	s_mov_b32 s46, exec_lo
	v_readlane_b32 s47, v103, 19
	s_and_b32 s47, s46, s47
	s_delay_alu instid0(SALU_CYCLE_1)
	s_mov_b32 exec_lo, s47
	s_cbranch_execz .LBB27_218
; %bb.217:                              ;   in Loop: Header=BB27_3 Depth=1
	ds_load_b64 v[48:49], v78 offset:25344
	ds_load_b64 v[98:99], v65 offset:32648
	s_wait_dscnt 0x0
	v_fmac_f64_e32 v[2:3], v[48:49], v[98:99]
.LBB27_218:                             ;   in Loop: Header=BB27_3 Depth=1
	s_or_b32 exec_lo, exec_lo, s46
	s_delay_alu instid0(SALU_CYCLE_1) | instskip(SKIP_2) | instid1(SALU_CYCLE_1)
	s_mov_b32 s46, exec_lo
	v_readlane_b32 s47, v103, 20
	s_and_b32 s47, s46, s47
	s_mov_b32 exec_lo, s47
	s_cbranch_execz .LBB27_220
; %bb.219:                              ;   in Loop: Header=BB27_3 Depth=1
	ds_load_b64 v[48:49], v78 offset:25856
	ds_load_b64 v[98:99], v65 offset:32656
	s_wait_dscnt 0x0
	v_fmac_f64_e32 v[2:3], v[48:49], v[98:99]
.LBB27_220:                             ;   in Loop: Header=BB27_3 Depth=1
	s_or_b32 exec_lo, exec_lo, s46
	s_delay_alu instid0(SALU_CYCLE_1) | instskip(SKIP_2) | instid1(SALU_CYCLE_1)
	s_mov_b32 s46, exec_lo
	v_readlane_b32 s47, v103, 21
	s_and_b32 s47, s46, s47
	;; [unrolled: 13-line block ×10, first 2 shown]
	s_mov_b32 exec_lo, s47
	s_cbranch_execnz .LBB27_1077
; %bb.237:                              ;   in Loop: Header=BB27_3 Depth=1
	s_or_b32 exec_lo, exec_lo, s46
	s_and_saveexec_b32 s46, s3
	s_cbranch_execnz .LBB27_1078
.LBB27_238:                             ;   in Loop: Header=BB27_3 Depth=1
	s_or_b32 exec_lo, exec_lo, s46
	s_and_saveexec_b32 s46, s15
	s_cbranch_execnz .LBB27_1079
.LBB27_239:                             ;   in Loop: Header=BB27_3 Depth=1
	s_or_b32 exec_lo, exec_lo, s46
	s_and_saveexec_b32 s46, s17
	s_cbranch_execnz .LBB27_1080
.LBB27_240:                             ;   in Loop: Header=BB27_3 Depth=1
	s_or_b32 exec_lo, exec_lo, s46
	s_and_saveexec_b32 s46, s2
	s_cbranch_execz .LBB27_242
.LBB27_241:                             ;   in Loop: Header=BB27_3 Depth=1
	ds_load_b64 v[48:49], v11 offset:32512
	ds_load_b64 v[98:99], v7 offset:32760
	s_wait_dscnt 0x0
	v_fmac_f64_e32 v[2:3], v[48:49], v[98:99]
.LBB27_242:                             ;   in Loop: Header=BB27_3 Depth=1
	s_or_b32 exec_lo, exec_lo, s46
.LBB27_243:                             ;   in Loop: Header=BB27_3 Depth=1
	s_delay_alu instid0(SALU_CYCLE_1) | instskip(NEXT) | instid1(SALU_CYCLE_1)
	s_or_b32 exec_lo, exec_lo, s61
	s_mov_b32 s46, exec_lo
	v_readlane_b32 s47, v103, 2
	s_and_b32 s47, s46, s47
	s_delay_alu instid0(SALU_CYCLE_1)
	s_mov_b32 exec_lo, s47
; %bb.244:                              ;   in Loop: Header=BB27_3 Depth=1
	v_xor_b32_e32 v49, 0x80000000, v3
	v_mov_b32_e32 v48, v2
	ds_store_b64 v82, v[48:49]
; %bb.245:                              ;   in Loop: Header=BB27_3 Depth=1
	s_or_b32 exec_lo, exec_lo, s46
	s_wait_loadcnt_dscnt 0x0
	s_barrier_signal -1
	s_barrier_wait -1
	s_mov_b32 s46, exec_lo
	v_readlane_b32 s47, v103, 3
	s_and_b32 s47, s46, s47
	s_delay_alu instid0(SALU_CYCLE_1)
	s_mov_b32 exec_lo, s47
	s_cbranch_execz .LBB27_247
; %bb.246:                              ;   in Loop: Header=BB27_3 Depth=1
	ds_load_b64 v[48:49], v78 offset:24320
	ds_load_b64 v[98:99], v82
	s_wait_dscnt 0x0
	v_fma_f64 v[2:3], -v[48:49], v[98:99], v[2:3]
.LBB27_247:                             ;   in Loop: Header=BB27_3 Depth=1
	s_or_b32 exec_lo, exec_lo, s46
	s_barrier_signal -1
	s_barrier_wait -1
	s_mov_b32 s46, exec_lo
	v_readlane_b32 s47, v103, 4
	s_and_b32 s47, s46, s47
	s_delay_alu instid0(SALU_CYCLE_1)
	s_mov_b32 exec_lo, s47
; %bb.248:                              ;   in Loop: Header=BB27_3 Depth=1
	v_xor_b32_e32 v49, 0x80000000, v3
	v_mov_b32_e32 v48, v2
	ds_store_b64 v82, v[48:49]
; %bb.249:                              ;   in Loop: Header=BB27_3 Depth=1
	s_or_b32 exec_lo, exec_lo, s46
	s_wait_dscnt 0x0
	s_barrier_signal -1
	s_barrier_wait -1
	s_mov_b32 s46, exec_lo
	v_readlane_b32 s47, v103, 5
	s_and_b32 s47, s46, s47
	s_delay_alu instid0(SALU_CYCLE_1)
	s_mov_b32 exec_lo, s47
	s_cbranch_execz .LBB27_251
; %bb.250:                              ;   in Loop: Header=BB27_3 Depth=1
	ds_load_b64 v[48:49], v78 offset:23808
	ds_load_b64 v[98:99], v82
	s_wait_dscnt 0x0
	v_fma_f64 v[2:3], -v[48:49], v[98:99], v[2:3]
.LBB27_251:                             ;   in Loop: Header=BB27_3 Depth=1
	s_or_b32 exec_lo, exec_lo, s46
	s_barrier_signal -1
	s_barrier_wait -1
	s_mov_b32 s46, exec_lo
	v_readlane_b32 s47, v103, 6
	s_and_b32 s47, s46, s47
	s_delay_alu instid0(SALU_CYCLE_1)
	s_mov_b32 exec_lo, s47
; %bb.252:                              ;   in Loop: Header=BB27_3 Depth=1
	v_xor_b32_e32 v49, 0x80000000, v3
	v_mov_b32_e32 v48, v2
	ds_store_b64 v82, v[48:49]
; %bb.253:                              ;   in Loop: Header=BB27_3 Depth=1
	s_or_b32 exec_lo, exec_lo, s46
	s_wait_dscnt 0x0
	;; [unrolled: 29-line block ×3, first 2 shown]
	s_barrier_signal -1
	s_barrier_wait -1
	s_and_saveexec_b32 s46, s48
	s_cbranch_execz .LBB27_259
; %bb.258:                              ;   in Loop: Header=BB27_3 Depth=1
	ds_load_b64 v[48:49], v78 offset:22784
	ds_load_b64 v[98:99], v82
	s_wait_dscnt 0x0
	v_fma_f64 v[2:3], -v[48:49], v[98:99], v[2:3]
.LBB27_259:                             ;   in Loop: Header=BB27_3 Depth=1
	s_or_b32 exec_lo, exec_lo, s46
	s_barrier_signal -1
	s_barrier_wait -1
	s_and_saveexec_b32 s46, s49
; %bb.260:                              ;   in Loop: Header=BB27_3 Depth=1
	s_delay_alu instid0(VALU_DEP_1) | instskip(NEXT) | instid1(VALU_DEP_2)
	v_xor_b32_e32 v49, 0x80000000, v3
	v_mov_b32_e32 v48, v2
	ds_store_b64 v82, v[48:49]
; %bb.261:                              ;   in Loop: Header=BB27_3 Depth=1
	s_or_b32 exec_lo, exec_lo, s46
	s_wait_dscnt 0x0
	s_barrier_signal -1
	s_barrier_wait -1
	s_and_saveexec_b32 s46, s50
	s_cbranch_execz .LBB27_263
; %bb.262:                              ;   in Loop: Header=BB27_3 Depth=1
	ds_load_b64 v[48:49], v78 offset:22272
	ds_load_b64 v[98:99], v82
	s_wait_dscnt 0x0
	v_fma_f64 v[2:3], -v[48:49], v[98:99], v[2:3]
.LBB27_263:                             ;   in Loop: Header=BB27_3 Depth=1
	s_or_b32 exec_lo, exec_lo, s46
	s_barrier_signal -1
	s_barrier_wait -1
	s_and_saveexec_b32 s46, s51
; %bb.264:                              ;   in Loop: Header=BB27_3 Depth=1
	s_delay_alu instid0(VALU_DEP_1) | instskip(NEXT) | instid1(VALU_DEP_2)
	v_xor_b32_e32 v49, 0x80000000, v3
	v_mov_b32_e32 v48, v2
	ds_store_b64 v82, v[48:49]
; %bb.265:                              ;   in Loop: Header=BB27_3 Depth=1
	s_or_b32 exec_lo, exec_lo, s46
	s_wait_dscnt 0x0
	;; [unrolled: 22-line block ×12, first 2 shown]
	s_barrier_signal -1
	s_barrier_wait -1
	s_barrier_signal -1
	s_barrier_wait -1
	s_and_saveexec_b32 s46, s4
; %bb.306:                              ;   in Loop: Header=BB27_3 Depth=1
	ds_store_b64 v83, v[2:3] offset:32512
; %bb.307:                              ;   in Loop: Header=BB27_3 Depth=1
	s_or_b32 exec_lo, exec_lo, s46
	s_wait_dscnt 0x0
	s_barrier_signal -1
	s_barrier_wait -1
	s_barrier_signal -1
	s_barrier_wait -1
	s_and_saveexec_b32 s57, s43
	s_cbranch_execz .LBB27_309
; %bb.308:                              ;   in Loop: Header=BB27_3 Depth=1
	ds_load_b64 v[2:3], v50 offset:24832
	s_wait_dscnt 0x0
	ds_store_b64 v51, v[2:3] offset:16768
	ds_load_b64 v[2:3], v50 offset:24840
	s_wait_dscnt 0x0
	ds_store_b64 v51, v[2:3] offset:17280
	;; [unrolled: 3-line block ×16, first 2 shown]
.LBB27_309:                             ;   in Loop: Header=BB27_3 Depth=1
	s_or_b32 exec_lo, exec_lo, s57
	s_wait_dscnt 0x0
	s_barrier_signal -1
	s_barrier_wait -1
	s_and_saveexec_b32 s46, s10
	s_cbranch_execz .LBB27_311
; %bb.310:                              ;   in Loop: Header=BB27_3 Depth=1
	ds_load_b64 v[2:3], v7 offset:24432
	v_mov_b32_e32 v0, v7
	ds_store_b64 v7, v[34:35] offset:24440
	s_wait_dscnt 0x1
	ds_store_b128 v7, v[0:3] offset:23920
.LBB27_311:                             ;   in Loop: Header=BB27_3 Depth=1
	s_or_b32 exec_lo, exec_lo, s46
	v_mov_b64_e32 v[2:3], 0
	s_wait_dscnt 0x0
	s_barrier_signal -1
	s_barrier_wait -1
	global_wb scope:SCOPE_DEV
	s_wait_storecnt 0x0
	global_inv scope:SCOPE_DEV
	s_and_saveexec_b32 s46, s0
	s_cbranch_execz .LBB27_315
; %bb.312:                              ;   in Loop: Header=BB27_3 Depth=1
	ds_load_b64 v[2:3], v72 offset:23904
	ds_load_b64 v[48:49], v57 offset:24432
	s_wait_dscnt 0x0
	v_fma_f64 v[2:3], v[2:3], v[48:49], 0
	s_and_saveexec_b32 s47, s11
	s_cbranch_execz .LBB27_314
; %bb.313:                              ;   in Loop: Header=BB27_3 Depth=1
	ds_load_b64 v[48:49], v11 offset:24416
	ds_load_b64 v[98:99], v7 offset:24440
	s_wait_dscnt 0x0
	v_fmac_f64_e32 v[2:3], v[48:49], v[98:99]
.LBB27_314:                             ;   in Loop: Header=BB27_3 Depth=1
	s_or_b32 exec_lo, exec_lo, s47
.LBB27_315:                             ;   in Loop: Header=BB27_3 Depth=1
	s_delay_alu instid0(SALU_CYCLE_1)
	s_or_b32 exec_lo, exec_lo, s46
	s_and_saveexec_b32 s46, s90
; %bb.316:                              ;   in Loop: Header=BB27_3 Depth=1
	s_delay_alu instid0(VALU_DEP_1) | instskip(NEXT) | instid1(VALU_DEP_2)
	v_xor_b32_e32 v49, 0x80000000, v3
	v_mov_b32_e32 v48, v2
	ds_store_b64 v73, v[48:49]
; %bb.317:                              ;   in Loop: Header=BB27_3 Depth=1
	s_or_b32 exec_lo, exec_lo, s46
	s_wait_loadcnt_dscnt 0x0
	s_barrier_signal -1
	s_barrier_wait -1
	s_and_saveexec_b32 s46, s91
	s_cbranch_execz .LBB27_319
; %bb.318:                              ;   in Loop: Header=BB27_3 Depth=1
	ds_load_b64 v[48:49], v7 offset:23392
	ds_load_b64 v[98:99], v73
	s_wait_dscnt 0x0
	v_fma_f64 v[2:3], -v[48:49], v[98:99], v[2:3]
.LBB27_319:                             ;   in Loop: Header=BB27_3 Depth=1
	s_or_b32 exec_lo, exec_lo, s46
	s_barrier_signal -1
	s_barrier_wait -1
	s_and_saveexec_b32 s46, s91
; %bb.320:                              ;   in Loop: Header=BB27_3 Depth=1
	s_delay_alu instid0(VALU_DEP_1) | instskip(NEXT) | instid1(VALU_DEP_2)
	v_xor_b32_e32 v49, 0x80000000, v3
	v_mov_b32_e32 v48, v2
	ds_store_b64 v73, v[48:49]
; %bb.321:                              ;   in Loop: Header=BB27_3 Depth=1
	s_or_b32 exec_lo, exec_lo, s46
	s_wait_dscnt 0x0
	s_barrier_signal -1
	s_barrier_wait -1
	s_barrier_signal -1
	s_barrier_wait -1
	s_and_saveexec_b32 s46, s0
; %bb.322:                              ;   in Loop: Header=BB27_3 Depth=1
	ds_store_b64 v75, v[2:3] offset:24416
; %bb.323:                              ;   in Loop: Header=BB27_3 Depth=1
	s_or_b32 exec_lo, exec_lo, s46
	s_wait_dscnt 0x0
	s_barrier_signal -1
	s_barrier_wait -1
	s_barrier_signal -1
	s_barrier_wait -1
	s_and_saveexec_b32 s46, s92
	s_cbranch_execz .LBB27_325
; %bb.324:                              ;   in Loop: Header=BB27_3 Depth=1
	ds_load_b64 v[2:3], v50 offset:23904
	s_wait_dscnt 0x0
	ds_store_b64 v11, v[2:3] offset:22896
	ds_load_b64 v[2:3], v50 offset:23912
	s_wait_dscnt 0x0
	ds_store_b64 v11, v[2:3] offset:23408
.LBB27_325:                             ;   in Loop: Header=BB27_3 Depth=1
	s_or_b32 exec_lo, exec_lo, s46
	s_wait_dscnt 0x0
	s_barrier_signal -1
	s_barrier_wait -1
	s_and_saveexec_b32 s46, s10
	s_cbranch_execz .LBB27_327
; %bb.326:                              ;   in Loop: Header=BB27_3 Depth=1
	ds_load_b64 v[2:3], v7 offset:23392
	v_mov_b32_e32 v0, v7
	ds_store_b64 v7, v[34:35] offset:23400
	s_wait_dscnt 0x1
	ds_store_b128 v7, v[0:3] offset:22880
.LBB27_327:                             ;   in Loop: Header=BB27_3 Depth=1
	s_or_b32 exec_lo, exec_lo, s46
	v_mov_b64_e32 v[2:3], 0
	s_wait_dscnt 0x0
	s_barrier_signal -1
	s_barrier_wait -1
	global_wb scope:SCOPE_DEV
	s_wait_storecnt 0x0
	global_inv scope:SCOPE_DEV
	s_and_saveexec_b32 s57, s2
	s_cbranch_execz .LBB27_333
; %bb.328:                              ;   in Loop: Header=BB27_3 Depth=1
	ds_load_b64 v[2:3], v74 offset:22848
	ds_load_b64 v[48:49], v59 offset:24416
	s_wait_dscnt 0x0
	v_fma_f64 v[2:3], v[2:3], v[48:49], 0
	s_and_saveexec_b32 s46, s12
	s_cbranch_execnz .LBB27_1081
; %bb.329:                              ;   in Loop: Header=BB27_3 Depth=1
	s_or_b32 exec_lo, exec_lo, s46
	s_and_saveexec_b32 s46, s13
	s_cbranch_execnz .LBB27_1082
.LBB27_330:                             ;   in Loop: Header=BB27_3 Depth=1
	s_or_b32 exec_lo, exec_lo, s46
	s_and_saveexec_b32 s46, s0
	s_cbranch_execz .LBB27_332
.LBB27_331:                             ;   in Loop: Header=BB27_3 Depth=1
	ds_load_b64 v[48:49], v51 offset:24384
	ds_load_b64 v[98:99], v7 offset:24440
	s_wait_dscnt 0x0
	v_fmac_f64_e32 v[2:3], v[48:49], v[98:99]
.LBB27_332:                             ;   in Loop: Header=BB27_3 Depth=1
	s_or_b32 exec_lo, exec_lo, s46
.LBB27_333:                             ;   in Loop: Header=BB27_3 Depth=1
	s_delay_alu instid0(SALU_CYCLE_1)
	s_or_b32 exec_lo, exec_lo, s57
	s_and_saveexec_b32 s46, s93
; %bb.334:                              ;   in Loop: Header=BB27_3 Depth=1
	s_delay_alu instid0(VALU_DEP_1) | instskip(NEXT) | instid1(VALU_DEP_2)
	v_xor_b32_e32 v49, 0x80000000, v3
	v_mov_b32_e32 v48, v2
	ds_store_b64 v77, v[48:49]
; %bb.335:                              ;   in Loop: Header=BB27_3 Depth=1
	s_or_b32 exec_lo, exec_lo, s46
	s_wait_loadcnt_dscnt 0x0
	s_barrier_signal -1
	s_barrier_wait -1
	s_and_saveexec_b32 s46, s94
	s_cbranch_execz .LBB27_337
; %bb.336:                              ;   in Loop: Header=BB27_3 Depth=1
	ds_load_b64 v[48:49], v74 offset:22336
	ds_load_b64 v[98:99], v77
	s_wait_dscnt 0x0
	v_fma_f64 v[2:3], -v[48:49], v[98:99], v[2:3]
.LBB27_337:                             ;   in Loop: Header=BB27_3 Depth=1
	s_or_b32 exec_lo, exec_lo, s46
	s_barrier_signal -1
	s_barrier_wait -1
	s_and_saveexec_b32 s46, s95
; %bb.338:                              ;   in Loop: Header=BB27_3 Depth=1
	s_delay_alu instid0(VALU_DEP_1) | instskip(NEXT) | instid1(VALU_DEP_2)
	v_xor_b32_e32 v49, 0x80000000, v3
	v_mov_b32_e32 v48, v2
	ds_store_b64 v77, v[48:49]
; %bb.339:                              ;   in Loop: Header=BB27_3 Depth=1
	s_or_b32 exec_lo, exec_lo, s46
	s_wait_dscnt 0x0
	s_barrier_signal -1
	s_barrier_wait -1
	s_and_saveexec_b32 s46, s96
	s_cbranch_execz .LBB27_341
; %bb.340:                              ;   in Loop: Header=BB27_3 Depth=1
	ds_load_b64 v[48:49], v74 offset:21824
	ds_load_b64 v[98:99], v77
	s_wait_dscnt 0x0
	v_fma_f64 v[2:3], -v[48:49], v[98:99], v[2:3]
.LBB27_341:                             ;   in Loop: Header=BB27_3 Depth=1
	s_or_b32 exec_lo, exec_lo, s46
	s_barrier_signal -1
	s_barrier_wait -1
	s_and_saveexec_b32 s46, s97
; %bb.342:                              ;   in Loop: Header=BB27_3 Depth=1
	s_delay_alu instid0(VALU_DEP_1) | instskip(NEXT) | instid1(VALU_DEP_2)
	v_xor_b32_e32 v49, 0x80000000, v3
	v_mov_b32_e32 v48, v2
	ds_store_b64 v77, v[48:49]
; %bb.343:                              ;   in Loop: Header=BB27_3 Depth=1
	s_or_b32 exec_lo, exec_lo, s46
	s_wait_dscnt 0x0
	;; [unrolled: 22-line block ×3, first 2 shown]
	s_barrier_signal -1
	s_barrier_wait -1
	s_barrier_signal -1
	s_barrier_wait -1
	s_and_saveexec_b32 s46, s2
; %bb.348:                              ;   in Loop: Header=BB27_3 Depth=1
	ds_store_b64 v79, v[2:3] offset:24384
; %bb.349:                              ;   in Loop: Header=BB27_3 Depth=1
	s_or_b32 exec_lo, exec_lo, s46
	s_wait_dscnt 0x0
	s_barrier_signal -1
	s_barrier_wait -1
	s_barrier_signal -1
	s_barrier_wait -1
	s_and_saveexec_b32 s46, s99
	s_cbranch_execz .LBB27_351
; %bb.350:                              ;   in Loop: Header=BB27_3 Depth=1
	ds_load_b64 v[2:3], v52 offset:22848
	s_wait_dscnt 0x0
	ds_store_b64 v53, v[2:3] offset:20832
	ds_load_b64 v[2:3], v52 offset:22856
	s_wait_dscnt 0x0
	ds_store_b64 v53, v[2:3] offset:21344
	;; [unrolled: 3-line block ×4, first 2 shown]
.LBB27_351:                             ;   in Loop: Header=BB27_3 Depth=1
	s_or_b32 exec_lo, exec_lo, s46
	s_wait_dscnt 0x0
	s_barrier_signal -1
	s_barrier_wait -1
	s_and_saveexec_b32 s46, s10
	s_cbranch_execz .LBB27_353
; %bb.352:                              ;   in Loop: Header=BB27_3 Depth=1
	ds_load_b64 v[2:3], v7 offset:22352
	v_mov_b32_e32 v0, v7
	ds_store_b64 v7, v[34:35] offset:22360
	s_wait_dscnt 0x1
	ds_store_b128 v7, v[0:3] offset:21840
.LBB27_353:                             ;   in Loop: Header=BB27_3 Depth=1
	s_or_b32 exec_lo, exec_lo, s46
	v_mov_b64_e32 v[2:3], 0
	s_wait_dscnt 0x0
	s_barrier_signal -1
	s_barrier_wait -1
	global_wb scope:SCOPE_DEV
	s_wait_storecnt 0x0
	global_inv scope:SCOPE_DEV
	s_and_saveexec_b32 s46, s0
	s_cbranch_execz .LBB27_357
; %bb.354:                              ;   in Loop: Header=BB27_3 Depth=1
	ds_load_b64 v[2:3], v72 offset:21824
	ds_load_b64 v[48:49], v57 offset:22352
	s_wait_dscnt 0x0
	v_fma_f64 v[2:3], v[2:3], v[48:49], 0
	s_and_saveexec_b32 s47, s11
	s_cbranch_execz .LBB27_356
; %bb.355:                              ;   in Loop: Header=BB27_3 Depth=1
	ds_load_b64 v[48:49], v53 offset:22336
	ds_load_b64 v[98:99], v7 offset:22360
	s_wait_dscnt 0x0
	v_fmac_f64_e32 v[2:3], v[48:49], v[98:99]
.LBB27_356:                             ;   in Loop: Header=BB27_3 Depth=1
	s_or_b32 exec_lo, exec_lo, s47
.LBB27_357:                             ;   in Loop: Header=BB27_3 Depth=1
	s_delay_alu instid0(SALU_CYCLE_1)
	s_or_b32 exec_lo, exec_lo, s46
	s_and_saveexec_b32 s46, s90
; %bb.358:                              ;   in Loop: Header=BB27_3 Depth=1
	s_delay_alu instid0(VALU_DEP_1) | instskip(NEXT) | instid1(VALU_DEP_2)
	v_xor_b32_e32 v49, 0x80000000, v3
	v_mov_b32_e32 v48, v2
	ds_store_b64 v73, v[48:49]
; %bb.359:                              ;   in Loop: Header=BB27_3 Depth=1
	s_or_b32 exec_lo, exec_lo, s46
	s_wait_loadcnt_dscnt 0x0
	s_barrier_signal -1
	s_barrier_wait -1
	s_and_saveexec_b32 s46, s91
	s_cbranch_execz .LBB27_361
; %bb.360:                              ;   in Loop: Header=BB27_3 Depth=1
	ds_load_b64 v[48:49], v7 offset:21312
	ds_load_b64 v[98:99], v73
	s_wait_dscnt 0x0
	v_fma_f64 v[2:3], -v[48:49], v[98:99], v[2:3]
.LBB27_361:                             ;   in Loop: Header=BB27_3 Depth=1
	s_or_b32 exec_lo, exec_lo, s46
	s_barrier_signal -1
	s_barrier_wait -1
	s_and_saveexec_b32 s46, s91
; %bb.362:                              ;   in Loop: Header=BB27_3 Depth=1
	s_delay_alu instid0(VALU_DEP_1) | instskip(NEXT) | instid1(VALU_DEP_2)
	v_xor_b32_e32 v49, 0x80000000, v3
	v_mov_b32_e32 v48, v2
	ds_store_b64 v73, v[48:49]
; %bb.363:                              ;   in Loop: Header=BB27_3 Depth=1
	s_or_b32 exec_lo, exec_lo, s46
	s_wait_dscnt 0x0
	s_barrier_signal -1
	s_barrier_wait -1
	s_barrier_signal -1
	s_barrier_wait -1
	s_and_saveexec_b32 s46, s0
; %bb.364:                              ;   in Loop: Header=BB27_3 Depth=1
	ds_store_b64 v75, v[2:3] offset:22336
; %bb.365:                              ;   in Loop: Header=BB27_3 Depth=1
	s_or_b32 exec_lo, exec_lo, s46
	s_wait_dscnt 0x0
	s_barrier_signal -1
	s_barrier_wait -1
	s_barrier_signal -1
	s_barrier_wait -1
	s_and_saveexec_b32 s46, s92
	s_cbranch_execz .LBB27_367
; %bb.366:                              ;   in Loop: Header=BB27_3 Depth=1
	ds_load_b64 v[2:3], v54 offset:21824
	s_wait_dscnt 0x0
	ds_store_b64 v53, v[2:3] offset:20816
	ds_load_b64 v[2:3], v54 offset:21832
	s_wait_dscnt 0x0
	ds_store_b64 v53, v[2:3] offset:21328
.LBB27_367:                             ;   in Loop: Header=BB27_3 Depth=1
	s_or_b32 exec_lo, exec_lo, s46
	s_wait_dscnt 0x0
	s_barrier_signal -1
	s_barrier_wait -1
	s_and_saveexec_b32 s46, s10
	s_cbranch_execz .LBB27_369
; %bb.368:                              ;   in Loop: Header=BB27_3 Depth=1
	ds_load_b64 v[2:3], v7 offset:21312
	v_mov_b32_e32 v0, v7
	ds_store_b64 v7, v[34:35] offset:21320
	s_wait_dscnt 0x1
	ds_store_b128 v7, v[0:3] offset:20800
.LBB27_369:                             ;   in Loop: Header=BB27_3 Depth=1
	s_or_b32 exec_lo, exec_lo, s46
	v_mov_b64_e32 v[2:3], 0
	s_wait_dscnt 0x0
	s_barrier_signal -1
	s_barrier_wait -1
	global_wb scope:SCOPE_DEV
	s_wait_storecnt 0x0
	global_inv scope:SCOPE_DEV
	s_and_saveexec_b32 s57, s3
	s_cbranch_execz .LBB27_379
; %bb.370:                              ;   in Loop: Header=BB27_3 Depth=1
	ds_load_b64 v[2:3], v76 offset:20736
	ds_load_b64 v[48:49], v63 offset:24384
	s_wait_dscnt 0x0
	v_fma_f64 v[2:3], v[2:3], v[48:49], 0
	s_and_saveexec_b32 s46, s14
	s_cbranch_execnz .LBB27_1083
; %bb.371:                              ;   in Loop: Header=BB27_3 Depth=1
	s_or_b32 exec_lo, exec_lo, s46
	s_and_saveexec_b32 s46, s15
	s_cbranch_execnz .LBB27_1084
.LBB27_372:                             ;   in Loop: Header=BB27_3 Depth=1
	s_or_b32 exec_lo, exec_lo, s46
	s_and_saveexec_b32 s46, s16
	s_cbranch_execnz .LBB27_1085
.LBB27_373:                             ;   in Loop: Header=BB27_3 Depth=1
	s_or_b32 exec_lo, exec_lo, s46
	s_and_saveexec_b32 s46, s17
	s_cbranch_execnz .LBB27_1086
.LBB27_374:                             ;   in Loop: Header=BB27_3 Depth=1
	s_or_b32 exec_lo, exec_lo, s46
	s_and_saveexec_b32 s46, s18
	s_cbranch_execnz .LBB27_1087
.LBB27_375:                             ;   in Loop: Header=BB27_3 Depth=1
	s_or_b32 exec_lo, exec_lo, s46
	s_and_saveexec_b32 s46, s2
	s_cbranch_execnz .LBB27_1088
.LBB27_376:                             ;   in Loop: Header=BB27_3 Depth=1
	s_or_b32 exec_lo, exec_lo, s46
	s_and_saveexec_b32 s46, s13
	s_cbranch_execz .LBB27_378
.LBB27_377:                             ;   in Loop: Header=BB27_3 Depth=1
	ds_load_b64 v[48:49], v55 offset:24320
	ds_load_b64 v[98:99], v7 offset:24440
	s_wait_dscnt 0x0
	v_fmac_f64_e32 v[2:3], v[48:49], v[98:99]
.LBB27_378:                             ;   in Loop: Header=BB27_3 Depth=1
	s_or_b32 exec_lo, exec_lo, s46
.LBB27_379:                             ;   in Loop: Header=BB27_3 Depth=1
	s_delay_alu instid0(SALU_CYCLE_1)
	s_or_b32 exec_lo, exec_lo, s57
	s_and_saveexec_b32 s46, s100
; %bb.380:                              ;   in Loop: Header=BB27_3 Depth=1
	s_delay_alu instid0(VALU_DEP_1) | instskip(NEXT) | instid1(VALU_DEP_2)
	v_xor_b32_e32 v49, 0x80000000, v3
	v_mov_b32_e32 v48, v2
	ds_store_b64 v80, v[48:49]
; %bb.381:                              ;   in Loop: Header=BB27_3 Depth=1
	s_or_b32 exec_lo, exec_lo, s46
	s_wait_loadcnt_dscnt 0x0
	s_barrier_signal -1
	s_barrier_wait -1
	s_and_saveexec_b32 s46, s101
	s_cbranch_execz .LBB27_383
; %bb.382:                              ;   in Loop: Header=BB27_3 Depth=1
	ds_load_b64 v[48:49], v76 offset:20224
	ds_load_b64 v[98:99], v80
	s_wait_dscnt 0x0
	v_fma_f64 v[2:3], -v[48:49], v[98:99], v[2:3]
.LBB27_383:                             ;   in Loop: Header=BB27_3 Depth=1
	s_or_b32 exec_lo, exec_lo, s46
	s_barrier_signal -1
	s_barrier_wait -1
	s_and_saveexec_b32 s46, s102
; %bb.384:                              ;   in Loop: Header=BB27_3 Depth=1
	s_delay_alu instid0(VALU_DEP_1) | instskip(NEXT) | instid1(VALU_DEP_2)
	v_xor_b32_e32 v49, 0x80000000, v3
	v_mov_b32_e32 v48, v2
	ds_store_b64 v80, v[48:49]
; %bb.385:                              ;   in Loop: Header=BB27_3 Depth=1
	s_or_b32 exec_lo, exec_lo, s46
	s_wait_dscnt 0x0
	s_barrier_signal -1
	s_barrier_wait -1
	s_and_saveexec_b32 s46, s103
	s_cbranch_execz .LBB27_387
; %bb.386:                              ;   in Loop: Header=BB27_3 Depth=1
	ds_load_b64 v[48:49], v76 offset:19712
	ds_load_b64 v[98:99], v80
	s_wait_dscnt 0x0
	v_fma_f64 v[2:3], -v[48:49], v[98:99], v[2:3]
.LBB27_387:                             ;   in Loop: Header=BB27_3 Depth=1
	s_or_b32 exec_lo, exec_lo, s46
	s_barrier_signal -1
	s_barrier_wait -1
	s_and_saveexec_b32 s46, s104
; %bb.388:                              ;   in Loop: Header=BB27_3 Depth=1
	s_delay_alu instid0(VALU_DEP_1) | instskip(NEXT) | instid1(VALU_DEP_2)
	v_xor_b32_e32 v49, 0x80000000, v3
	v_mov_b32_e32 v48, v2
	ds_store_b64 v80, v[48:49]
; %bb.389:                              ;   in Loop: Header=BB27_3 Depth=1
	s_or_b32 exec_lo, exec_lo, s46
	s_wait_dscnt 0x0
	s_barrier_signal -1
	s_barrier_wait -1
	s_and_saveexec_b32 s46, vcc_hi
	s_cbranch_execz .LBB27_391
; %bb.390:                              ;   in Loop: Header=BB27_3 Depth=1
	ds_load_b64 v[48:49], v76 offset:19200
	ds_load_b64 v[98:99], v80
	s_wait_dscnt 0x0
	v_fma_f64 v[2:3], -v[48:49], v[98:99], v[2:3]
.LBB27_391:                             ;   in Loop: Header=BB27_3 Depth=1
	s_or_b32 exec_lo, exec_lo, s46
	s_barrier_signal -1
	s_barrier_wait -1
	s_and_saveexec_b32 s46, s31
; %bb.392:                              ;   in Loop: Header=BB27_3 Depth=1
	s_delay_alu instid0(VALU_DEP_1) | instskip(NEXT) | instid1(VALU_DEP_2)
	v_xor_b32_e32 v49, 0x80000000, v3
	v_mov_b32_e32 v48, v2
	ds_store_b64 v80, v[48:49]
; %bb.393:                              ;   in Loop: Header=BB27_3 Depth=1
	s_or_b32 exec_lo, exec_lo, s46
	s_wait_dscnt 0x0
	s_barrier_signal -1
	s_barrier_wait -1
	s_and_saveexec_b32 s46, s33
	s_cbranch_execz .LBB27_395
; %bb.394:                              ;   in Loop: Header=BB27_3 Depth=1
	ds_load_b64 v[48:49], v76 offset:18688
	ds_load_b64 v[98:99], v80
	s_wait_dscnt 0x0
	v_fma_f64 v[2:3], -v[48:49], v[98:99], v[2:3]
.LBB27_395:                             ;   in Loop: Header=BB27_3 Depth=1
	s_or_b32 exec_lo, exec_lo, s46
	s_barrier_signal -1
	s_barrier_wait -1
	s_and_saveexec_b32 s46, s34
; %bb.396:                              ;   in Loop: Header=BB27_3 Depth=1
	s_delay_alu instid0(VALU_DEP_1) | instskip(NEXT) | instid1(VALU_DEP_2)
	v_xor_b32_e32 v49, 0x80000000, v3
	v_mov_b32_e32 v48, v2
	ds_store_b64 v80, v[48:49]
; %bb.397:                              ;   in Loop: Header=BB27_3 Depth=1
	s_or_b32 exec_lo, exec_lo, s46
	s_wait_dscnt 0x0
	s_barrier_signal -1
	s_barrier_wait -1
	s_and_saveexec_b32 s46, s35
	;; [unrolled: 22-line block ×4, first 2 shown]
	s_cbranch_execz .LBB27_407
; %bb.406:                              ;   in Loop: Header=BB27_3 Depth=1
	ds_load_b64 v[48:49], v7 offset:17152
	ds_load_b64 v[98:99], v80
	s_wait_dscnt 0x0
	v_fma_f64 v[2:3], -v[48:49], v[98:99], v[2:3]
.LBB27_407:                             ;   in Loop: Header=BB27_3 Depth=1
	s_or_b32 exec_lo, exec_lo, s46
	s_barrier_signal -1
	s_barrier_wait -1
	s_and_saveexec_b32 s46, s39
; %bb.408:                              ;   in Loop: Header=BB27_3 Depth=1
	s_delay_alu instid0(VALU_DEP_1) | instskip(NEXT) | instid1(VALU_DEP_2)
	v_xor_b32_e32 v49, 0x80000000, v3
	v_mov_b32_e32 v48, v2
	ds_store_b64 v80, v[48:49]
; %bb.409:                              ;   in Loop: Header=BB27_3 Depth=1
	s_or_b32 exec_lo, exec_lo, s46
	s_wait_dscnt 0x0
	s_barrier_signal -1
	s_barrier_wait -1
	s_barrier_signal -1
	s_barrier_wait -1
	s_and_saveexec_b32 s46, s3
; %bb.410:                              ;   in Loop: Header=BB27_3 Depth=1
	ds_store_b64 v81, v[2:3] offset:24320
; %bb.411:                              ;   in Loop: Header=BB27_3 Depth=1
	s_or_b32 exec_lo, exec_lo, s46
	s_wait_dscnt 0x0
	s_barrier_signal -1
	s_barrier_wait -1
	s_barrier_signal -1
	s_barrier_wait -1
	s_and_saveexec_b32 s46, s40
	s_cbranch_execz .LBB27_413
; %bb.412:                              ;   in Loop: Header=BB27_3 Depth=1
	ds_load_b64 v[2:3], v56 offset:20736
	s_wait_dscnt 0x0
	ds_store_b64 v58, v[2:3] offset:16704
	ds_load_b64 v[2:3], v56 offset:20744
	s_wait_dscnt 0x0
	ds_store_b64 v58, v[2:3] offset:17216
	;; [unrolled: 3-line block ×8, first 2 shown]
.LBB27_413:                             ;   in Loop: Header=BB27_3 Depth=1
	s_or_b32 exec_lo, exec_lo, s46
	s_wait_dscnt 0x0
	s_barrier_signal -1
	s_barrier_wait -1
	s_and_saveexec_b32 s46, s10
	s_cbranch_execz .LBB27_415
; %bb.414:                              ;   in Loop: Header=BB27_3 Depth=1
	ds_load_b64 v[2:3], v7 offset:20272
	v_mov_b32_e32 v0, v7
	ds_store_b64 v7, v[34:35] offset:20280
	s_wait_dscnt 0x1
	ds_store_b128 v7, v[0:3] offset:19760
.LBB27_415:                             ;   in Loop: Header=BB27_3 Depth=1
	s_or_b32 exec_lo, exec_lo, s46
	v_mov_b64_e32 v[2:3], 0
	s_wait_dscnt 0x0
	s_barrier_signal -1
	s_barrier_wait -1
	global_wb scope:SCOPE_DEV
	s_wait_storecnt 0x0
	global_inv scope:SCOPE_DEV
	s_and_saveexec_b32 s46, s0
	s_cbranch_execz .LBB27_419
; %bb.416:                              ;   in Loop: Header=BB27_3 Depth=1
	ds_load_b64 v[2:3], v72 offset:19744
	ds_load_b64 v[48:49], v57 offset:20272
	s_wait_dscnt 0x0
	v_fma_f64 v[2:3], v[2:3], v[48:49], 0
	s_and_saveexec_b32 s47, s11
	s_cbranch_execz .LBB27_418
; %bb.417:                              ;   in Loop: Header=BB27_3 Depth=1
	ds_load_b64 v[48:49], v58 offset:20256
	ds_load_b64 v[98:99], v7 offset:20280
	s_wait_dscnt 0x0
	v_fmac_f64_e32 v[2:3], v[48:49], v[98:99]
.LBB27_418:                             ;   in Loop: Header=BB27_3 Depth=1
	s_or_b32 exec_lo, exec_lo, s47
.LBB27_419:                             ;   in Loop: Header=BB27_3 Depth=1
	s_delay_alu instid0(SALU_CYCLE_1)
	s_or_b32 exec_lo, exec_lo, s46
	s_and_saveexec_b32 s46, s90
; %bb.420:                              ;   in Loop: Header=BB27_3 Depth=1
	s_delay_alu instid0(VALU_DEP_1) | instskip(NEXT) | instid1(VALU_DEP_2)
	v_xor_b32_e32 v49, 0x80000000, v3
	v_mov_b32_e32 v48, v2
	ds_store_b64 v73, v[48:49]
; %bb.421:                              ;   in Loop: Header=BB27_3 Depth=1
	s_or_b32 exec_lo, exec_lo, s46
	s_wait_loadcnt_dscnt 0x0
	s_barrier_signal -1
	s_barrier_wait -1
	s_and_saveexec_b32 s46, s91
	s_cbranch_execz .LBB27_423
; %bb.422:                              ;   in Loop: Header=BB27_3 Depth=1
	ds_load_b64 v[48:49], v7 offset:19232
	ds_load_b64 v[98:99], v73
	s_wait_dscnt 0x0
	v_fma_f64 v[2:3], -v[48:49], v[98:99], v[2:3]
.LBB27_423:                             ;   in Loop: Header=BB27_3 Depth=1
	s_or_b32 exec_lo, exec_lo, s46
	s_barrier_signal -1
	s_barrier_wait -1
	s_and_saveexec_b32 s46, s91
; %bb.424:                              ;   in Loop: Header=BB27_3 Depth=1
	s_delay_alu instid0(VALU_DEP_1) | instskip(NEXT) | instid1(VALU_DEP_2)
	v_xor_b32_e32 v49, 0x80000000, v3
	v_mov_b32_e32 v48, v2
	ds_store_b64 v73, v[48:49]
; %bb.425:                              ;   in Loop: Header=BB27_3 Depth=1
	s_or_b32 exec_lo, exec_lo, s46
	s_wait_dscnt 0x0
	s_barrier_signal -1
	s_barrier_wait -1
	s_barrier_signal -1
	s_barrier_wait -1
	s_and_saveexec_b32 s46, s0
; %bb.426:                              ;   in Loop: Header=BB27_3 Depth=1
	ds_store_b64 v75, v[2:3] offset:20256
; %bb.427:                              ;   in Loop: Header=BB27_3 Depth=1
	s_or_b32 exec_lo, exec_lo, s46
	s_wait_dscnt 0x0
	s_barrier_signal -1
	s_barrier_wait -1
	s_barrier_signal -1
	s_barrier_wait -1
	s_and_saveexec_b32 s46, s92
	s_cbranch_execz .LBB27_429
; %bb.428:                              ;   in Loop: Header=BB27_3 Depth=1
	ds_load_b64 v[2:3], v60 offset:19744
	s_wait_dscnt 0x0
	ds_store_b64 v58, v[2:3] offset:18736
	ds_load_b64 v[2:3], v60 offset:19752
	s_wait_dscnt 0x0
	ds_store_b64 v58, v[2:3] offset:19248
.LBB27_429:                             ;   in Loop: Header=BB27_3 Depth=1
	s_or_b32 exec_lo, exec_lo, s46
	s_wait_dscnt 0x0
	s_barrier_signal -1
	s_barrier_wait -1
	s_and_saveexec_b32 s46, s10
	s_cbranch_execz .LBB27_431
; %bb.430:                              ;   in Loop: Header=BB27_3 Depth=1
	ds_load_b64 v[2:3], v7 offset:19232
	v_mov_b32_e32 v0, v7
	ds_store_b64 v7, v[34:35] offset:19240
	s_wait_dscnt 0x1
	ds_store_b128 v7, v[0:3] offset:18720
.LBB27_431:                             ;   in Loop: Header=BB27_3 Depth=1
	s_or_b32 exec_lo, exec_lo, s46
	v_mov_b64_e32 v[2:3], 0
	s_wait_dscnt 0x0
	s_barrier_signal -1
	s_barrier_wait -1
	global_wb scope:SCOPE_DEV
	s_wait_storecnt 0x0
	global_inv scope:SCOPE_DEV
	s_and_saveexec_b32 s57, s2
	s_cbranch_execz .LBB27_437
; %bb.432:                              ;   in Loop: Header=BB27_3 Depth=1
	ds_load_b64 v[2:3], v74 offset:18688
	ds_load_b64 v[48:49], v59 offset:20256
	s_wait_dscnt 0x0
	v_fma_f64 v[2:3], v[2:3], v[48:49], 0
	s_and_saveexec_b32 s46, s12
	s_cbranch_execnz .LBB27_1089
; %bb.433:                              ;   in Loop: Header=BB27_3 Depth=1
	s_or_b32 exec_lo, exec_lo, s46
	s_and_saveexec_b32 s46, s13
	s_cbranch_execnz .LBB27_1090
.LBB27_434:                             ;   in Loop: Header=BB27_3 Depth=1
	s_or_b32 exec_lo, exec_lo, s46
	s_and_saveexec_b32 s46, s0
	s_cbranch_execz .LBB27_436
.LBB27_435:                             ;   in Loop: Header=BB27_3 Depth=1
	ds_load_b64 v[48:49], v62 offset:20224
	ds_load_b64 v[98:99], v7 offset:20280
	s_wait_dscnt 0x0
	v_fmac_f64_e32 v[2:3], v[48:49], v[98:99]
.LBB27_436:                             ;   in Loop: Header=BB27_3 Depth=1
	s_or_b32 exec_lo, exec_lo, s46
.LBB27_437:                             ;   in Loop: Header=BB27_3 Depth=1
	s_delay_alu instid0(SALU_CYCLE_1)
	s_or_b32 exec_lo, exec_lo, s57
	s_and_saveexec_b32 s46, s93
; %bb.438:                              ;   in Loop: Header=BB27_3 Depth=1
	s_delay_alu instid0(VALU_DEP_1) | instskip(NEXT) | instid1(VALU_DEP_2)
	v_xor_b32_e32 v49, 0x80000000, v3
	v_mov_b32_e32 v48, v2
	ds_store_b64 v77, v[48:49]
; %bb.439:                              ;   in Loop: Header=BB27_3 Depth=1
	s_or_b32 exec_lo, exec_lo, s46
	s_wait_loadcnt_dscnt 0x0
	s_barrier_signal -1
	s_barrier_wait -1
	s_and_saveexec_b32 s46, s94
	s_cbranch_execz .LBB27_441
; %bb.440:                              ;   in Loop: Header=BB27_3 Depth=1
	ds_load_b64 v[48:49], v74 offset:18176
	ds_load_b64 v[98:99], v77
	s_wait_dscnt 0x0
	v_fma_f64 v[2:3], -v[48:49], v[98:99], v[2:3]
.LBB27_441:                             ;   in Loop: Header=BB27_3 Depth=1
	s_or_b32 exec_lo, exec_lo, s46
	s_barrier_signal -1
	s_barrier_wait -1
	s_and_saveexec_b32 s46, s95
; %bb.442:                              ;   in Loop: Header=BB27_3 Depth=1
	s_delay_alu instid0(VALU_DEP_1) | instskip(NEXT) | instid1(VALU_DEP_2)
	v_xor_b32_e32 v49, 0x80000000, v3
	v_mov_b32_e32 v48, v2
	ds_store_b64 v77, v[48:49]
; %bb.443:                              ;   in Loop: Header=BB27_3 Depth=1
	s_or_b32 exec_lo, exec_lo, s46
	s_wait_dscnt 0x0
	s_barrier_signal -1
	s_barrier_wait -1
	s_and_saveexec_b32 s46, s96
	s_cbranch_execz .LBB27_445
; %bb.444:                              ;   in Loop: Header=BB27_3 Depth=1
	ds_load_b64 v[48:49], v74 offset:17664
	ds_load_b64 v[98:99], v77
	s_wait_dscnt 0x0
	v_fma_f64 v[2:3], -v[48:49], v[98:99], v[2:3]
.LBB27_445:                             ;   in Loop: Header=BB27_3 Depth=1
	s_or_b32 exec_lo, exec_lo, s46
	s_barrier_signal -1
	s_barrier_wait -1
	s_and_saveexec_b32 s46, s97
; %bb.446:                              ;   in Loop: Header=BB27_3 Depth=1
	s_delay_alu instid0(VALU_DEP_1) | instskip(NEXT) | instid1(VALU_DEP_2)
	v_xor_b32_e32 v49, 0x80000000, v3
	v_mov_b32_e32 v48, v2
	ds_store_b64 v77, v[48:49]
; %bb.447:                              ;   in Loop: Header=BB27_3 Depth=1
	s_or_b32 exec_lo, exec_lo, s46
	s_wait_dscnt 0x0
	;; [unrolled: 22-line block ×3, first 2 shown]
	s_barrier_signal -1
	s_barrier_wait -1
	s_barrier_signal -1
	s_barrier_wait -1
	s_and_saveexec_b32 s46, s2
; %bb.452:                              ;   in Loop: Header=BB27_3 Depth=1
	ds_store_b64 v79, v[2:3] offset:20224
; %bb.453:                              ;   in Loop: Header=BB27_3 Depth=1
	s_or_b32 exec_lo, exec_lo, s46
	s_wait_dscnt 0x0
	s_barrier_signal -1
	s_barrier_wait -1
	s_barrier_signal -1
	s_barrier_wait -1
	s_and_saveexec_b32 s46, s99
	s_cbranch_execz .LBB27_455
; %bb.454:                              ;   in Loop: Header=BB27_3 Depth=1
	ds_load_b64 v[2:3], v67 offset:18688
	s_wait_dscnt 0x0
	ds_store_b64 v68, v[2:3] offset:16672
	ds_load_b64 v[2:3], v67 offset:18696
	s_wait_dscnt 0x0
	ds_store_b64 v68, v[2:3] offset:17184
	;; [unrolled: 3-line block ×4, first 2 shown]
.LBB27_455:                             ;   in Loop: Header=BB27_3 Depth=1
	s_or_b32 exec_lo, exec_lo, s46
	s_wait_dscnt 0x0
	s_barrier_signal -1
	s_barrier_wait -1
	s_and_saveexec_b32 s46, s10
	s_cbranch_execz .LBB27_457
; %bb.456:                              ;   in Loop: Header=BB27_3 Depth=1
	ds_load_b64 v[2:3], v7 offset:18192
	v_mov_b32_e32 v0, v7
	ds_store_b64 v7, v[34:35] offset:18200
	s_wait_dscnt 0x1
	ds_store_b128 v7, v[0:3] offset:17680
.LBB27_457:                             ;   in Loop: Header=BB27_3 Depth=1
	s_or_b32 exec_lo, exec_lo, s46
	v_mov_b64_e32 v[2:3], 0
	s_wait_dscnt 0x0
	s_barrier_signal -1
	s_barrier_wait -1
	global_wb scope:SCOPE_DEV
	s_wait_storecnt 0x0
	global_inv scope:SCOPE_DEV
	s_and_saveexec_b32 s46, s0
	s_cbranch_execz .LBB27_461
; %bb.458:                              ;   in Loop: Header=BB27_3 Depth=1
	ds_load_b64 v[2:3], v72 offset:17664
	ds_load_b64 v[48:49], v57 offset:18192
	s_wait_dscnt 0x0
	v_fma_f64 v[2:3], v[2:3], v[48:49], 0
	s_and_saveexec_b32 s47, s11
	s_cbranch_execz .LBB27_460
; %bb.459:                              ;   in Loop: Header=BB27_3 Depth=1
	ds_load_b64 v[48:49], v68 offset:18176
	ds_load_b64 v[98:99], v7 offset:18200
	s_wait_dscnt 0x0
	v_fmac_f64_e32 v[2:3], v[48:49], v[98:99]
.LBB27_460:                             ;   in Loop: Header=BB27_3 Depth=1
	s_or_b32 exec_lo, exec_lo, s47
.LBB27_461:                             ;   in Loop: Header=BB27_3 Depth=1
	s_delay_alu instid0(SALU_CYCLE_1)
	s_or_b32 exec_lo, exec_lo, s46
	s_and_saveexec_b32 s46, s90
; %bb.462:                              ;   in Loop: Header=BB27_3 Depth=1
	s_delay_alu instid0(VALU_DEP_1) | instskip(NEXT) | instid1(VALU_DEP_2)
	v_xor_b32_e32 v49, 0x80000000, v3
	v_mov_b32_e32 v48, v2
	ds_store_b64 v73, v[48:49]
; %bb.463:                              ;   in Loop: Header=BB27_3 Depth=1
	s_or_b32 exec_lo, exec_lo, s46
	s_wait_loadcnt_dscnt 0x0
	s_barrier_signal -1
	s_barrier_wait -1
	s_and_saveexec_b32 s46, s91
	s_cbranch_execz .LBB27_465
; %bb.464:                              ;   in Loop: Header=BB27_3 Depth=1
	ds_load_b64 v[48:49], v7 offset:17152
	ds_load_b64 v[98:99], v73
	s_wait_dscnt 0x0
	v_fma_f64 v[2:3], -v[48:49], v[98:99], v[2:3]
.LBB27_465:                             ;   in Loop: Header=BB27_3 Depth=1
	s_or_b32 exec_lo, exec_lo, s46
	s_barrier_signal -1
	s_barrier_wait -1
	s_and_saveexec_b32 s46, s91
; %bb.466:                              ;   in Loop: Header=BB27_3 Depth=1
	s_delay_alu instid0(VALU_DEP_1) | instskip(NEXT) | instid1(VALU_DEP_2)
	v_xor_b32_e32 v49, 0x80000000, v3
	v_mov_b32_e32 v48, v2
	ds_store_b64 v73, v[48:49]
; %bb.467:                              ;   in Loop: Header=BB27_3 Depth=1
	s_or_b32 exec_lo, exec_lo, s46
	s_wait_dscnt 0x0
	s_barrier_signal -1
	s_barrier_wait -1
	s_barrier_signal -1
	s_barrier_wait -1
	s_and_saveexec_b32 s46, s0
; %bb.468:                              ;   in Loop: Header=BB27_3 Depth=1
	ds_store_b64 v75, v[2:3] offset:18176
; %bb.469:                              ;   in Loop: Header=BB27_3 Depth=1
	s_or_b32 exec_lo, exec_lo, s46
	s_wait_dscnt 0x0
	s_barrier_signal -1
	s_barrier_wait -1
	s_barrier_signal -1
	s_barrier_wait -1
	s_and_saveexec_b32 s46, s92
	s_cbranch_execz .LBB27_471
; %bb.470:                              ;   in Loop: Header=BB27_3 Depth=1
	ds_load_b64 v[2:3], v69 offset:17664
	s_wait_dscnt 0x0
	ds_store_b64 v68, v[2:3] offset:16656
	ds_load_b64 v[2:3], v69 offset:17672
	s_wait_dscnt 0x0
	ds_store_b64 v68, v[2:3] offset:17168
.LBB27_471:                             ;   in Loop: Header=BB27_3 Depth=1
	s_or_b32 exec_lo, exec_lo, s46
	s_wait_dscnt 0x0
	s_barrier_signal -1
	s_barrier_wait -1
	s_and_saveexec_b32 s46, s10
	s_cbranch_execz .LBB27_473
; %bb.472:                              ;   in Loop: Header=BB27_3 Depth=1
	ds_load_b64 v[2:3], v7 offset:17152
	v_mov_b32_e32 v0, v7
	ds_store_b64 v7, v[34:35] offset:17160
	s_wait_dscnt 0x1
	ds_store_b128 v7, v[0:3] offset:16640
.LBB27_473:                             ;   in Loop: Header=BB27_3 Depth=1
	s_or_b32 exec_lo, exec_lo, s46
	v_mov_b64_e32 v[2:3], 0
	s_wait_dscnt 0x0
	s_barrier_signal -1
	s_barrier_wait -1
	global_wb scope:SCOPE_DEV
	s_wait_storecnt 0x0
	global_inv scope:SCOPE_DEV
	s_and_saveexec_b32 s61, s30
	s_cbranch_execz .LBB27_535
; %bb.474:                              ;   in Loop: Header=BB27_3 Depth=1
	ds_load_b64 v[2:3], v64 offset:16384
	ds_load_b64 v[48:49], v66 offset:32512
	s_wait_dscnt 0x0
	v_fma_f64 v[2:3], v[2:3], v[48:49], 0
	s_mov_b32 s46, exec_lo
	v_readlane_b32 s47, v103, 30
	s_and_b32 s47, s46, s47
	s_delay_alu instid0(SALU_CYCLE_1)
	s_mov_b32 exec_lo, s47
	s_cbranch_execz .LBB27_476
; %bb.475:                              ;   in Loop: Header=BB27_3 Depth=1
	ds_load_b64 v[48:49], v64 offset:16896
	ds_load_b64 v[98:99], v66 offset:32520
	s_wait_dscnt 0x0
	v_fmac_f64_e32 v[2:3], v[48:49], v[98:99]
.LBB27_476:                             ;   in Loop: Header=BB27_3 Depth=1
	s_or_b32 exec_lo, exec_lo, s46
	s_delay_alu instid0(SALU_CYCLE_1) | instskip(SKIP_2) | instid1(SALU_CYCLE_1)
	s_mov_b32 s46, exec_lo
	v_readlane_b32 s47, v103, 31
	s_and_b32 s47, s46, s47
	s_mov_b32 exec_lo, s47
	s_cbranch_execz .LBB27_478
; %bb.477:                              ;   in Loop: Header=BB27_3 Depth=1
	ds_load_b64 v[48:49], v64 offset:17408
	ds_load_b64 v[98:99], v66 offset:32528
	s_wait_dscnt 0x0
	v_fmac_f64_e32 v[2:3], v[48:49], v[98:99]
.LBB27_478:                             ;   in Loop: Header=BB27_3 Depth=1
	s_or_b32 exec_lo, exec_lo, s46
	s_delay_alu instid0(SALU_CYCLE_1) | instskip(SKIP_2) | instid1(SALU_CYCLE_1)
	s_mov_b32 s46, exec_lo
	v_readlane_b32 s47, v102, 0
	s_and_b32 s47, s46, s47
	;; [unrolled: 13-line block ×22, first 2 shown]
	s_mov_b32 exec_lo, s47
	s_cbranch_execz .LBB27_520
; %bb.519:                              ;   in Loop: Header=BB27_3 Depth=1
	ds_load_b64 v[48:49], v64 offset:28160
	ds_load_b64 v[98:99], v66 offset:32696
	s_wait_dscnt 0x0
	v_fmac_f64_e32 v[2:3], v[48:49], v[98:99]
.LBB27_520:                             ;   in Loop: Header=BB27_3 Depth=1
	s_or_b32 exec_lo, exec_lo, s46
	s_and_saveexec_b32 s46, s4
	s_cbranch_execz .LBB27_522
; %bb.521:                              ;   in Loop: Header=BB27_3 Depth=1
	ds_load_b64 v[48:49], v64 offset:28672
	ds_load_b64 v[98:99], v66 offset:32704
	s_wait_dscnt 0x0
	v_fmac_f64_e32 v[2:3], v[48:49], v[98:99]
.LBB27_522:                             ;   in Loop: Header=BB27_3 Depth=1
	s_or_b32 exec_lo, exec_lo, s46
	s_delay_alu instid0(SALU_CYCLE_1) | instskip(SKIP_2) | instid1(SALU_CYCLE_1)
	s_mov_b32 s46, exec_lo
	v_readlane_b32 s47, v103, 20
	s_and_b32 s47, s46, s47
	s_mov_b32 exec_lo, s47
	s_cbranch_execz .LBB27_524
; %bb.523:                              ;   in Loop: Header=BB27_3 Depth=1
	ds_load_b64 v[48:49], v64 offset:29184
	ds_load_b64 v[98:99], v66 offset:32712
	s_wait_dscnt 0x0
	v_fmac_f64_e32 v[2:3], v[48:49], v[98:99]
.LBB27_524:                             ;   in Loop: Header=BB27_3 Depth=1
	s_or_b32 exec_lo, exec_lo, s46
	s_delay_alu instid0(SALU_CYCLE_1) | instskip(SKIP_2) | instid1(SALU_CYCLE_1)
	s_mov_b32 s46, exec_lo
	v_readlane_b32 s47, v103, 22
	s_and_b32 s47, s46, s47
	s_mov_b32 exec_lo, s47
	;; [unrolled: 13-line block ×5, first 2 shown]
	s_cbranch_execnz .LBB27_1091
; %bb.531:                              ;   in Loop: Header=BB27_3 Depth=1
	s_or_b32 exec_lo, exec_lo, s46
	s_and_saveexec_b32 s46, s3
	s_cbranch_execnz .LBB27_1092
.LBB27_532:                             ;   in Loop: Header=BB27_3 Depth=1
	s_or_b32 exec_lo, exec_lo, s46
	s_and_saveexec_b32 s46, s17
	s_delay_alu instid0(SALU_CYCLE_1)
	s_xor_b32 s46, exec_lo, s46
	s_cbranch_execz .LBB27_534
.LBB27_533:                             ;   in Loop: Header=BB27_3 Depth=1
	ds_load_b64 v[48:49], v11 offset:32256
	ds_load_b64 v[98:99], v7 offset:32760
	s_wait_dscnt 0x0
	v_fmac_f64_e32 v[2:3], v[48:49], v[98:99]
.LBB27_534:                             ;   in Loop: Header=BB27_3 Depth=1
	s_or_b32 exec_lo, exec_lo, s46
.LBB27_535:                             ;   in Loop: Header=BB27_3 Depth=1
	s_delay_alu instid0(SALU_CYCLE_1)
	s_or_b32 exec_lo, exec_lo, s61
	v_dual_mov_b32 v0, v96 :: v_dual_mov_b32 v6, v94
	s_mov_b32 s57, 31
	s_branch .LBB27_537
.LBB27_536:                             ;   in Loop: Header=BB27_537 Depth=2
	s_or_b32 exec_lo, exec_lo, s46
	v_add_nc_u32_e32 v6, 0xfffff800, v6
	v_add_nc_u32_e32 v0, 4, v0
	s_add_co_i32 s57, s57, -4
	s_cmp_eq_u32 s61, 0
	s_barrier_signal -1
	s_barrier_wait -1
	s_cbranch_scc1 .LBB27_553
.LBB27_537:                             ;   Parent Loop BB27_3 Depth=1
                                        ; =>  This Inner Loop Header: Depth=2
	s_delay_alu instid0(VALU_DEP_1) | instskip(SKIP_1) | instid1(SALU_CYCLE_1)
	v_cmp_eq_u32_e32 vcc_lo, 0, v0
	s_and_b32 s47, s60, vcc_lo
	s_and_saveexec_b32 s46, s47
; %bb.538:                              ;   in Loop: Header=BB27_537 Depth=2
	s_delay_alu instid0(VALU_DEP_3) | instskip(NEXT) | instid1(VALU_DEP_4)
	v_xor_b32_e32 v49, 0x80000000, v3
	v_mov_b32_e32 v48, v2
	ds_store_b64 v84, v[48:49]
; %bb.539:                              ;   in Loop: Header=BB27_537 Depth=2
	s_or_b32 exec_lo, exec_lo, s46
	v_cmp_gt_u32_e32 vcc_lo, s57, v61
	s_wait_loadcnt_dscnt 0x0
	s_barrier_signal -1
	s_barrier_wait -1
	s_and_b32 s47, s60, vcc_lo
	s_delay_alu instid0(SALU_CYCLE_1)
	s_and_saveexec_b32 s46, s47
	s_cbranch_execz .LBB27_541
; %bb.540:                              ;   in Loop: Header=BB27_537 Depth=2
	ds_load_b64 v[48:49], v6 offset:1536
	ds_load_b64 v[98:99], v84
	s_wait_dscnt 0x0
	v_fma_f64 v[2:3], -v[48:49], v[98:99], v[2:3]
.LBB27_541:                             ;   in Loop: Header=BB27_537 Depth=2
	s_or_b32 exec_lo, exec_lo, s46
	s_add_co_i32 s46, s57, -1
	s_delay_alu instid0(SALU_CYCLE_1) | instskip(SKIP_3) | instid1(SALU_CYCLE_1)
	v_cmp_eq_u32_e32 vcc_lo, s46, v61
	s_barrier_signal -1
	s_barrier_wait -1
	s_and_b32 s61, s60, vcc_lo
	s_and_saveexec_b32 s47, s61
; %bb.542:                              ;   in Loop: Header=BB27_537 Depth=2
	s_delay_alu instid0(VALU_DEP_2) | instskip(NEXT) | instid1(VALU_DEP_3)
	v_xor_b32_e32 v49, 0x80000000, v3
	v_mov_b32_e32 v48, v2
	ds_store_b64 v84, v[48:49]
; %bb.543:                              ;   in Loop: Header=BB27_537 Depth=2
	s_or_b32 exec_lo, exec_lo, s47
	v_cmp_gt_u32_e32 vcc_lo, s46, v61
	s_wait_dscnt 0x0
	s_barrier_signal -1
	s_barrier_wait -1
	s_and_b32 s47, s60, vcc_lo
	s_delay_alu instid0(SALU_CYCLE_1)
	s_and_saveexec_b32 s46, s47
	s_cbranch_execz .LBB27_545
; %bb.544:                              ;   in Loop: Header=BB27_537 Depth=2
	ds_load_b64 v[48:49], v6 offset:1024
	ds_load_b64 v[98:99], v84
	s_wait_dscnt 0x0
	v_fma_f64 v[2:3], -v[48:49], v[98:99], v[2:3]
.LBB27_545:                             ;   in Loop: Header=BB27_537 Depth=2
	s_or_b32 exec_lo, exec_lo, s46
	s_add_co_i32 s46, s57, -2
	s_delay_alu instid0(SALU_CYCLE_1) | instskip(SKIP_3) | instid1(SALU_CYCLE_1)
	v_cmp_eq_u32_e32 vcc_lo, s46, v61
	s_barrier_signal -1
	s_barrier_wait -1
	s_and_b32 s61, s60, vcc_lo
	s_and_saveexec_b32 s47, s61
; %bb.546:                              ;   in Loop: Header=BB27_537 Depth=2
	s_delay_alu instid0(VALU_DEP_2) | instskip(NEXT) | instid1(VALU_DEP_3)
	v_xor_b32_e32 v49, 0x80000000, v3
	v_mov_b32_e32 v48, v2
	ds_store_b64 v84, v[48:49]
; %bb.547:                              ;   in Loop: Header=BB27_537 Depth=2
	s_or_b32 exec_lo, exec_lo, s47
	v_cmp_gt_u32_e32 vcc_lo, s46, v61
	s_wait_dscnt 0x0
	;; [unrolled: 29-line block ×3, first 2 shown]
	s_barrier_signal -1
	s_barrier_wait -1
	s_and_b32 s47, s60, vcc_lo
	s_delay_alu instid0(SALU_CYCLE_1)
	s_and_saveexec_b32 s46, s47
	s_cbranch_execz .LBB27_536
; %bb.552:                              ;   in Loop: Header=BB27_537 Depth=2
	ds_load_b64 v[48:49], v6
	ds_load_b64 v[98:99], v84
	s_wait_dscnt 0x0
	v_fma_f64 v[2:3], -v[48:49], v[98:99], v[2:3]
	s_branch .LBB27_536
.LBB27_553:                             ;   in Loop: Header=BB27_3 Depth=1
	s_and_saveexec_b32 s46, s30
; %bb.554:                              ;   in Loop: Header=BB27_3 Depth=1
	ds_store_b64 v85, v[2:3] offset:32256
; %bb.555:                              ;   in Loop: Header=BB27_3 Depth=1
	s_or_b32 exec_lo, exec_lo, s46
	s_wait_dscnt 0x0
	s_barrier_signal -1
	s_barrier_wait -1
	s_barrier_signal -1
	s_barrier_wait -1
	s_mov_b32 s57, exec_lo
	v_readlane_b32 s46, v103, 9
	s_and_b32 s46, s57, s46
	s_delay_alu instid0(SALU_CYCLE_1)
	s_mov_b32 exec_lo, s46
	s_cbranch_execz .LBB27_557
; %bb.556:                              ;   in Loop: Header=BB27_3 Depth=1
	ds_load_b64 v[2:3], v50 offset:16384
	s_wait_dscnt 0x0
	ds_store_b64 v51, v[2:3] offset:256
	ds_load_b64 v[2:3], v50 offset:16392
	s_wait_dscnt 0x0
	ds_store_b64 v51, v[2:3] offset:768
	;; [unrolled: 3-line block ×32, first 2 shown]
.LBB27_557:                             ;   in Loop: Header=BB27_3 Depth=1
	s_or_b32 exec_lo, exec_lo, s57
	s_wait_dscnt 0x0
	s_barrier_signal -1
	s_barrier_wait -1
	s_and_saveexec_b32 s46, s10
	s_cbranch_execz .LBB27_559
; %bb.558:                              ;   in Loop: Header=BB27_3 Depth=1
	ds_load_b64 v[2:3], v7 offset:16112
	v_mov_b32_e32 v0, v7
	ds_store_b64 v7, v[34:35] offset:16120
	s_wait_dscnt 0x1
	ds_store_b128 v7, v[0:3] offset:15600
.LBB27_559:                             ;   in Loop: Header=BB27_3 Depth=1
	s_or_b32 exec_lo, exec_lo, s46
	v_mov_b64_e32 v[2:3], 0
	s_wait_dscnt 0x0
	s_barrier_signal -1
	s_barrier_wait -1
	global_wb scope:SCOPE_DEV
	s_wait_storecnt 0x0
	global_inv scope:SCOPE_DEV
	s_and_saveexec_b32 s46, s0
	s_cbranch_execz .LBB27_563
; %bb.560:                              ;   in Loop: Header=BB27_3 Depth=1
	ds_load_b64 v[2:3], v72 offset:15584
	ds_load_b64 v[48:49], v57 offset:16112
	s_wait_dscnt 0x0
	v_fma_f64 v[2:3], v[2:3], v[48:49], 0
	s_and_saveexec_b32 s47, s11
	s_cbranch_execz .LBB27_562
; %bb.561:                              ;   in Loop: Header=BB27_3 Depth=1
	ds_load_b64 v[48:49], v11 offset:16096
	ds_load_b64 v[98:99], v7 offset:16120
	s_wait_dscnt 0x0
	v_fmac_f64_e32 v[2:3], v[48:49], v[98:99]
.LBB27_562:                             ;   in Loop: Header=BB27_3 Depth=1
	s_or_b32 exec_lo, exec_lo, s47
.LBB27_563:                             ;   in Loop: Header=BB27_3 Depth=1
	s_delay_alu instid0(SALU_CYCLE_1)
	s_or_b32 exec_lo, exec_lo, s46
	s_and_saveexec_b32 s46, s90
; %bb.564:                              ;   in Loop: Header=BB27_3 Depth=1
	s_delay_alu instid0(VALU_DEP_1) | instskip(NEXT) | instid1(VALU_DEP_2)
	v_xor_b32_e32 v49, 0x80000000, v3
	v_mov_b32_e32 v48, v2
	ds_store_b64 v73, v[48:49]
; %bb.565:                              ;   in Loop: Header=BB27_3 Depth=1
	s_or_b32 exec_lo, exec_lo, s46
	s_wait_loadcnt_dscnt 0x0
	s_barrier_signal -1
	s_barrier_wait -1
	s_and_saveexec_b32 s46, s91
	s_cbranch_execz .LBB27_567
; %bb.566:                              ;   in Loop: Header=BB27_3 Depth=1
	ds_load_b64 v[48:49], v7 offset:15072
	ds_load_b64 v[98:99], v73
	s_wait_dscnt 0x0
	v_fma_f64 v[2:3], -v[48:49], v[98:99], v[2:3]
.LBB27_567:                             ;   in Loop: Header=BB27_3 Depth=1
	s_or_b32 exec_lo, exec_lo, s46
	s_barrier_signal -1
	s_barrier_wait -1
	s_and_saveexec_b32 s46, s91
; %bb.568:                              ;   in Loop: Header=BB27_3 Depth=1
	s_delay_alu instid0(VALU_DEP_1) | instskip(NEXT) | instid1(VALU_DEP_2)
	v_xor_b32_e32 v49, 0x80000000, v3
	v_mov_b32_e32 v48, v2
	ds_store_b64 v73, v[48:49]
; %bb.569:                              ;   in Loop: Header=BB27_3 Depth=1
	s_or_b32 exec_lo, exec_lo, s46
	s_wait_dscnt 0x0
	s_barrier_signal -1
	s_barrier_wait -1
	s_barrier_signal -1
	s_barrier_wait -1
	s_and_saveexec_b32 s46, s0
; %bb.570:                              ;   in Loop: Header=BB27_3 Depth=1
	ds_store_b64 v75, v[2:3] offset:16096
; %bb.571:                              ;   in Loop: Header=BB27_3 Depth=1
	s_or_b32 exec_lo, exec_lo, s46
	s_wait_dscnt 0x0
	s_barrier_signal -1
	s_barrier_wait -1
	s_barrier_signal -1
	s_barrier_wait -1
	s_and_saveexec_b32 s46, s92
	s_cbranch_execz .LBB27_573
; %bb.572:                              ;   in Loop: Header=BB27_3 Depth=1
	ds_load_b64 v[2:3], v50 offset:15584
	s_wait_dscnt 0x0
	ds_store_b64 v11, v[2:3] offset:14576
	ds_load_b64 v[2:3], v50 offset:15592
	s_wait_dscnt 0x0
	ds_store_b64 v11, v[2:3] offset:15088
.LBB27_573:                             ;   in Loop: Header=BB27_3 Depth=1
	s_or_b32 exec_lo, exec_lo, s46
	s_wait_dscnt 0x0
	s_barrier_signal -1
	s_barrier_wait -1
	s_and_saveexec_b32 s46, s10
	s_cbranch_execz .LBB27_575
; %bb.574:                              ;   in Loop: Header=BB27_3 Depth=1
	ds_load_b64 v[2:3], v7 offset:15072
	v_mov_b32_e32 v0, v7
	ds_store_b64 v7, v[34:35] offset:15080
	s_wait_dscnt 0x1
	ds_store_b128 v7, v[0:3] offset:14560
.LBB27_575:                             ;   in Loop: Header=BB27_3 Depth=1
	s_or_b32 exec_lo, exec_lo, s46
	v_mov_b64_e32 v[2:3], 0
	s_wait_dscnt 0x0
	s_barrier_signal -1
	s_barrier_wait -1
	global_wb scope:SCOPE_DEV
	s_wait_storecnt 0x0
	global_inv scope:SCOPE_DEV
	s_and_saveexec_b32 s57, s2
	s_cbranch_execz .LBB27_581
; %bb.576:                              ;   in Loop: Header=BB27_3 Depth=1
	ds_load_b64 v[2:3], v74 offset:14528
	ds_load_b64 v[48:49], v59 offset:16096
	s_wait_dscnt 0x0
	v_fma_f64 v[2:3], v[2:3], v[48:49], 0
	s_and_saveexec_b32 s46, s12
	s_cbranch_execnz .LBB27_1093
; %bb.577:                              ;   in Loop: Header=BB27_3 Depth=1
	s_or_b32 exec_lo, exec_lo, s46
	s_and_saveexec_b32 s46, s13
	s_cbranch_execnz .LBB27_1094
.LBB27_578:                             ;   in Loop: Header=BB27_3 Depth=1
	s_or_b32 exec_lo, exec_lo, s46
	s_and_saveexec_b32 s46, s0
	s_cbranch_execz .LBB27_580
.LBB27_579:                             ;   in Loop: Header=BB27_3 Depth=1
	ds_load_b64 v[48:49], v51 offset:16064
	ds_load_b64 v[98:99], v7 offset:16120
	s_wait_dscnt 0x0
	v_fmac_f64_e32 v[2:3], v[48:49], v[98:99]
.LBB27_580:                             ;   in Loop: Header=BB27_3 Depth=1
	s_or_b32 exec_lo, exec_lo, s46
.LBB27_581:                             ;   in Loop: Header=BB27_3 Depth=1
	s_delay_alu instid0(SALU_CYCLE_1)
	s_or_b32 exec_lo, exec_lo, s57
	s_and_saveexec_b32 s46, s93
; %bb.582:                              ;   in Loop: Header=BB27_3 Depth=1
	s_delay_alu instid0(VALU_DEP_1) | instskip(NEXT) | instid1(VALU_DEP_2)
	v_xor_b32_e32 v49, 0x80000000, v3
	v_mov_b32_e32 v48, v2
	ds_store_b64 v77, v[48:49]
; %bb.583:                              ;   in Loop: Header=BB27_3 Depth=1
	s_or_b32 exec_lo, exec_lo, s46
	s_wait_loadcnt_dscnt 0x0
	s_barrier_signal -1
	s_barrier_wait -1
	s_and_saveexec_b32 s46, s94
	s_cbranch_execz .LBB27_585
; %bb.584:                              ;   in Loop: Header=BB27_3 Depth=1
	ds_load_b64 v[48:49], v74 offset:14016
	ds_load_b64 v[98:99], v77
	s_wait_dscnt 0x0
	v_fma_f64 v[2:3], -v[48:49], v[98:99], v[2:3]
.LBB27_585:                             ;   in Loop: Header=BB27_3 Depth=1
	s_or_b32 exec_lo, exec_lo, s46
	s_barrier_signal -1
	s_barrier_wait -1
	s_and_saveexec_b32 s46, s95
; %bb.586:                              ;   in Loop: Header=BB27_3 Depth=1
	s_delay_alu instid0(VALU_DEP_1) | instskip(NEXT) | instid1(VALU_DEP_2)
	v_xor_b32_e32 v49, 0x80000000, v3
	v_mov_b32_e32 v48, v2
	ds_store_b64 v77, v[48:49]
; %bb.587:                              ;   in Loop: Header=BB27_3 Depth=1
	s_or_b32 exec_lo, exec_lo, s46
	s_wait_dscnt 0x0
	s_barrier_signal -1
	s_barrier_wait -1
	s_and_saveexec_b32 s46, s96
	s_cbranch_execz .LBB27_589
; %bb.588:                              ;   in Loop: Header=BB27_3 Depth=1
	ds_load_b64 v[48:49], v74 offset:13504
	ds_load_b64 v[98:99], v77
	s_wait_dscnt 0x0
	v_fma_f64 v[2:3], -v[48:49], v[98:99], v[2:3]
.LBB27_589:                             ;   in Loop: Header=BB27_3 Depth=1
	s_or_b32 exec_lo, exec_lo, s46
	s_barrier_signal -1
	s_barrier_wait -1
	s_and_saveexec_b32 s46, s97
; %bb.590:                              ;   in Loop: Header=BB27_3 Depth=1
	s_delay_alu instid0(VALU_DEP_1) | instskip(NEXT) | instid1(VALU_DEP_2)
	v_xor_b32_e32 v49, 0x80000000, v3
	v_mov_b32_e32 v48, v2
	ds_store_b64 v77, v[48:49]
; %bb.591:                              ;   in Loop: Header=BB27_3 Depth=1
	s_or_b32 exec_lo, exec_lo, s46
	s_wait_dscnt 0x0
	;; [unrolled: 22-line block ×3, first 2 shown]
	s_barrier_signal -1
	s_barrier_wait -1
	s_barrier_signal -1
	s_barrier_wait -1
	s_and_saveexec_b32 s46, s2
; %bb.596:                              ;   in Loop: Header=BB27_3 Depth=1
	ds_store_b64 v79, v[2:3] offset:16064
; %bb.597:                              ;   in Loop: Header=BB27_3 Depth=1
	s_or_b32 exec_lo, exec_lo, s46
	s_wait_dscnt 0x0
	s_barrier_signal -1
	s_barrier_wait -1
	s_barrier_signal -1
	s_barrier_wait -1
	s_and_saveexec_b32 s46, s99
	s_cbranch_execz .LBB27_599
; %bb.598:                              ;   in Loop: Header=BB27_3 Depth=1
	ds_load_b64 v[2:3], v52 offset:14528
	s_wait_dscnt 0x0
	ds_store_b64 v53, v[2:3] offset:12512
	ds_load_b64 v[2:3], v52 offset:14536
	s_wait_dscnt 0x0
	ds_store_b64 v53, v[2:3] offset:13024
	;; [unrolled: 3-line block ×4, first 2 shown]
.LBB27_599:                             ;   in Loop: Header=BB27_3 Depth=1
	s_or_b32 exec_lo, exec_lo, s46
	s_wait_dscnt 0x0
	s_barrier_signal -1
	s_barrier_wait -1
	s_and_saveexec_b32 s46, s10
	s_cbranch_execz .LBB27_601
; %bb.600:                              ;   in Loop: Header=BB27_3 Depth=1
	ds_load_b64 v[2:3], v7 offset:14032
	v_mov_b32_e32 v0, v7
	ds_store_b64 v7, v[34:35] offset:14040
	s_wait_dscnt 0x1
	ds_store_b128 v7, v[0:3] offset:13520
.LBB27_601:                             ;   in Loop: Header=BB27_3 Depth=1
	s_or_b32 exec_lo, exec_lo, s46
	v_mov_b64_e32 v[2:3], 0
	s_wait_dscnt 0x0
	s_barrier_signal -1
	s_barrier_wait -1
	global_wb scope:SCOPE_DEV
	s_wait_storecnt 0x0
	global_inv scope:SCOPE_DEV
	s_and_saveexec_b32 s46, s0
	s_cbranch_execz .LBB27_605
; %bb.602:                              ;   in Loop: Header=BB27_3 Depth=1
	ds_load_b64 v[2:3], v72 offset:13504
	ds_load_b64 v[48:49], v57 offset:14032
	s_wait_dscnt 0x0
	v_fma_f64 v[2:3], v[2:3], v[48:49], 0
	s_and_saveexec_b32 s47, s11
	s_cbranch_execz .LBB27_604
; %bb.603:                              ;   in Loop: Header=BB27_3 Depth=1
	ds_load_b64 v[48:49], v53 offset:14016
	ds_load_b64 v[98:99], v7 offset:14040
	s_wait_dscnt 0x0
	v_fmac_f64_e32 v[2:3], v[48:49], v[98:99]
.LBB27_604:                             ;   in Loop: Header=BB27_3 Depth=1
	s_or_b32 exec_lo, exec_lo, s47
.LBB27_605:                             ;   in Loop: Header=BB27_3 Depth=1
	s_delay_alu instid0(SALU_CYCLE_1)
	s_or_b32 exec_lo, exec_lo, s46
	s_and_saveexec_b32 s46, s90
; %bb.606:                              ;   in Loop: Header=BB27_3 Depth=1
	s_delay_alu instid0(VALU_DEP_1) | instskip(NEXT) | instid1(VALU_DEP_2)
	v_xor_b32_e32 v49, 0x80000000, v3
	v_mov_b32_e32 v48, v2
	ds_store_b64 v73, v[48:49]
; %bb.607:                              ;   in Loop: Header=BB27_3 Depth=1
	s_or_b32 exec_lo, exec_lo, s46
	s_wait_loadcnt_dscnt 0x0
	s_barrier_signal -1
	s_barrier_wait -1
	s_and_saveexec_b32 s46, s91
	s_cbranch_execz .LBB27_609
; %bb.608:                              ;   in Loop: Header=BB27_3 Depth=1
	ds_load_b64 v[48:49], v7 offset:12992
	ds_load_b64 v[98:99], v73
	s_wait_dscnt 0x0
	v_fma_f64 v[2:3], -v[48:49], v[98:99], v[2:3]
.LBB27_609:                             ;   in Loop: Header=BB27_3 Depth=1
	s_or_b32 exec_lo, exec_lo, s46
	s_barrier_signal -1
	s_barrier_wait -1
	s_and_saveexec_b32 s46, s91
; %bb.610:                              ;   in Loop: Header=BB27_3 Depth=1
	s_delay_alu instid0(VALU_DEP_1) | instskip(NEXT) | instid1(VALU_DEP_2)
	v_xor_b32_e32 v49, 0x80000000, v3
	v_mov_b32_e32 v48, v2
	ds_store_b64 v73, v[48:49]
; %bb.611:                              ;   in Loop: Header=BB27_3 Depth=1
	s_or_b32 exec_lo, exec_lo, s46
	s_wait_dscnt 0x0
	s_barrier_signal -1
	s_barrier_wait -1
	s_barrier_signal -1
	s_barrier_wait -1
	s_and_saveexec_b32 s46, s0
; %bb.612:                              ;   in Loop: Header=BB27_3 Depth=1
	ds_store_b64 v75, v[2:3] offset:14016
; %bb.613:                              ;   in Loop: Header=BB27_3 Depth=1
	s_or_b32 exec_lo, exec_lo, s46
	s_wait_dscnt 0x0
	s_barrier_signal -1
	s_barrier_wait -1
	s_barrier_signal -1
	s_barrier_wait -1
	s_and_saveexec_b32 s46, s92
	s_cbranch_execz .LBB27_615
; %bb.614:                              ;   in Loop: Header=BB27_3 Depth=1
	ds_load_b64 v[2:3], v54 offset:13504
	s_wait_dscnt 0x0
	ds_store_b64 v53, v[2:3] offset:12496
	ds_load_b64 v[2:3], v54 offset:13512
	s_wait_dscnt 0x0
	ds_store_b64 v53, v[2:3] offset:13008
.LBB27_615:                             ;   in Loop: Header=BB27_3 Depth=1
	s_or_b32 exec_lo, exec_lo, s46
	s_wait_dscnt 0x0
	s_barrier_signal -1
	s_barrier_wait -1
	s_and_saveexec_b32 s46, s10
	s_cbranch_execz .LBB27_617
; %bb.616:                              ;   in Loop: Header=BB27_3 Depth=1
	ds_load_b64 v[2:3], v7 offset:12992
	v_mov_b32_e32 v0, v7
	ds_store_b64 v7, v[34:35] offset:13000
	s_wait_dscnt 0x1
	ds_store_b128 v7, v[0:3] offset:12480
.LBB27_617:                             ;   in Loop: Header=BB27_3 Depth=1
	s_or_b32 exec_lo, exec_lo, s46
	v_mov_b64_e32 v[2:3], 0
	s_wait_dscnt 0x0
	s_barrier_signal -1
	s_barrier_wait -1
	global_wb scope:SCOPE_DEV
	s_wait_storecnt 0x0
	global_inv scope:SCOPE_DEV
	s_and_saveexec_b32 s57, s3
	s_cbranch_execz .LBB27_627
; %bb.618:                              ;   in Loop: Header=BB27_3 Depth=1
	ds_load_b64 v[2:3], v76 offset:12416
	ds_load_b64 v[48:49], v63 offset:16064
	s_wait_dscnt 0x0
	v_fma_f64 v[2:3], v[2:3], v[48:49], 0
	s_and_saveexec_b32 s46, s14
	s_cbranch_execnz .LBB27_1095
; %bb.619:                              ;   in Loop: Header=BB27_3 Depth=1
	s_or_b32 exec_lo, exec_lo, s46
	s_and_saveexec_b32 s46, s15
	s_cbranch_execnz .LBB27_1096
.LBB27_620:                             ;   in Loop: Header=BB27_3 Depth=1
	s_or_b32 exec_lo, exec_lo, s46
	s_and_saveexec_b32 s46, s16
	s_cbranch_execnz .LBB27_1097
.LBB27_621:                             ;   in Loop: Header=BB27_3 Depth=1
	s_or_b32 exec_lo, exec_lo, s46
	s_and_saveexec_b32 s46, s17
	s_cbranch_execnz .LBB27_1098
.LBB27_622:                             ;   in Loop: Header=BB27_3 Depth=1
	s_or_b32 exec_lo, exec_lo, s46
	s_and_saveexec_b32 s46, s18
	s_cbranch_execnz .LBB27_1099
.LBB27_623:                             ;   in Loop: Header=BB27_3 Depth=1
	s_or_b32 exec_lo, exec_lo, s46
	s_and_saveexec_b32 s46, s2
	s_cbranch_execnz .LBB27_1100
.LBB27_624:                             ;   in Loop: Header=BB27_3 Depth=1
	s_or_b32 exec_lo, exec_lo, s46
	s_and_saveexec_b32 s46, s13
	s_cbranch_execz .LBB27_626
.LBB27_625:                             ;   in Loop: Header=BB27_3 Depth=1
	ds_load_b64 v[48:49], v55 offset:16000
	ds_load_b64 v[98:99], v7 offset:16120
	s_wait_dscnt 0x0
	v_fmac_f64_e32 v[2:3], v[48:49], v[98:99]
.LBB27_626:                             ;   in Loop: Header=BB27_3 Depth=1
	s_or_b32 exec_lo, exec_lo, s46
.LBB27_627:                             ;   in Loop: Header=BB27_3 Depth=1
	s_delay_alu instid0(SALU_CYCLE_1)
	s_or_b32 exec_lo, exec_lo, s57
	s_and_saveexec_b32 s46, s100
; %bb.628:                              ;   in Loop: Header=BB27_3 Depth=1
	s_delay_alu instid0(VALU_DEP_1) | instskip(NEXT) | instid1(VALU_DEP_2)
	v_xor_b32_e32 v49, 0x80000000, v3
	v_mov_b32_e32 v48, v2
	ds_store_b64 v80, v[48:49]
; %bb.629:                              ;   in Loop: Header=BB27_3 Depth=1
	s_or_b32 exec_lo, exec_lo, s46
	s_wait_loadcnt_dscnt 0x0
	s_barrier_signal -1
	s_barrier_wait -1
	s_and_saveexec_b32 s46, s101
	s_cbranch_execz .LBB27_631
; %bb.630:                              ;   in Loop: Header=BB27_3 Depth=1
	ds_load_b64 v[48:49], v76 offset:11904
	ds_load_b64 v[98:99], v80
	s_wait_dscnt 0x0
	v_fma_f64 v[2:3], -v[48:49], v[98:99], v[2:3]
.LBB27_631:                             ;   in Loop: Header=BB27_3 Depth=1
	s_or_b32 exec_lo, exec_lo, s46
	s_barrier_signal -1
	s_barrier_wait -1
	s_and_saveexec_b32 s46, s102
; %bb.632:                              ;   in Loop: Header=BB27_3 Depth=1
	s_delay_alu instid0(VALU_DEP_1) | instskip(NEXT) | instid1(VALU_DEP_2)
	v_xor_b32_e32 v49, 0x80000000, v3
	v_mov_b32_e32 v48, v2
	ds_store_b64 v80, v[48:49]
; %bb.633:                              ;   in Loop: Header=BB27_3 Depth=1
	s_or_b32 exec_lo, exec_lo, s46
	s_wait_dscnt 0x0
	s_barrier_signal -1
	s_barrier_wait -1
	s_and_saveexec_b32 s46, s103
	s_cbranch_execz .LBB27_635
; %bb.634:                              ;   in Loop: Header=BB27_3 Depth=1
	ds_load_b64 v[48:49], v76 offset:11392
	ds_load_b64 v[98:99], v80
	s_wait_dscnt 0x0
	v_fma_f64 v[2:3], -v[48:49], v[98:99], v[2:3]
.LBB27_635:                             ;   in Loop: Header=BB27_3 Depth=1
	s_or_b32 exec_lo, exec_lo, s46
	s_barrier_signal -1
	s_barrier_wait -1
	s_and_saveexec_b32 s46, s104
; %bb.636:                              ;   in Loop: Header=BB27_3 Depth=1
	s_delay_alu instid0(VALU_DEP_1) | instskip(NEXT) | instid1(VALU_DEP_2)
	v_xor_b32_e32 v49, 0x80000000, v3
	v_mov_b32_e32 v48, v2
	ds_store_b64 v80, v[48:49]
; %bb.637:                              ;   in Loop: Header=BB27_3 Depth=1
	s_or_b32 exec_lo, exec_lo, s46
	s_wait_dscnt 0x0
	s_barrier_signal -1
	s_barrier_wait -1
	s_and_saveexec_b32 s46, vcc_hi
	s_cbranch_execz .LBB27_639
; %bb.638:                              ;   in Loop: Header=BB27_3 Depth=1
	ds_load_b64 v[48:49], v76 offset:10880
	ds_load_b64 v[98:99], v80
	s_wait_dscnt 0x0
	v_fma_f64 v[2:3], -v[48:49], v[98:99], v[2:3]
.LBB27_639:                             ;   in Loop: Header=BB27_3 Depth=1
	s_or_b32 exec_lo, exec_lo, s46
	s_barrier_signal -1
	s_barrier_wait -1
	s_and_saveexec_b32 s46, s31
; %bb.640:                              ;   in Loop: Header=BB27_3 Depth=1
	s_delay_alu instid0(VALU_DEP_1) | instskip(NEXT) | instid1(VALU_DEP_2)
	v_xor_b32_e32 v49, 0x80000000, v3
	v_mov_b32_e32 v48, v2
	ds_store_b64 v80, v[48:49]
; %bb.641:                              ;   in Loop: Header=BB27_3 Depth=1
	s_or_b32 exec_lo, exec_lo, s46
	s_wait_dscnt 0x0
	s_barrier_signal -1
	s_barrier_wait -1
	s_and_saveexec_b32 s46, s33
	s_cbranch_execz .LBB27_643
; %bb.642:                              ;   in Loop: Header=BB27_3 Depth=1
	ds_load_b64 v[48:49], v76 offset:10368
	ds_load_b64 v[98:99], v80
	s_wait_dscnt 0x0
	v_fma_f64 v[2:3], -v[48:49], v[98:99], v[2:3]
.LBB27_643:                             ;   in Loop: Header=BB27_3 Depth=1
	s_or_b32 exec_lo, exec_lo, s46
	s_barrier_signal -1
	s_barrier_wait -1
	s_and_saveexec_b32 s46, s34
; %bb.644:                              ;   in Loop: Header=BB27_3 Depth=1
	s_delay_alu instid0(VALU_DEP_1) | instskip(NEXT) | instid1(VALU_DEP_2)
	v_xor_b32_e32 v49, 0x80000000, v3
	v_mov_b32_e32 v48, v2
	ds_store_b64 v80, v[48:49]
; %bb.645:                              ;   in Loop: Header=BB27_3 Depth=1
	s_or_b32 exec_lo, exec_lo, s46
	s_wait_dscnt 0x0
	s_barrier_signal -1
	s_barrier_wait -1
	s_and_saveexec_b32 s46, s35
	;; [unrolled: 22-line block ×4, first 2 shown]
	s_cbranch_execz .LBB27_655
; %bb.654:                              ;   in Loop: Header=BB27_3 Depth=1
	ds_load_b64 v[48:49], v7 offset:8832
	ds_load_b64 v[98:99], v80
	s_wait_dscnt 0x0
	v_fma_f64 v[2:3], -v[48:49], v[98:99], v[2:3]
.LBB27_655:                             ;   in Loop: Header=BB27_3 Depth=1
	s_or_b32 exec_lo, exec_lo, s46
	s_barrier_signal -1
	s_barrier_wait -1
	s_and_saveexec_b32 s46, s39
; %bb.656:                              ;   in Loop: Header=BB27_3 Depth=1
	s_delay_alu instid0(VALU_DEP_1) | instskip(NEXT) | instid1(VALU_DEP_2)
	v_xor_b32_e32 v49, 0x80000000, v3
	v_mov_b32_e32 v48, v2
	ds_store_b64 v80, v[48:49]
; %bb.657:                              ;   in Loop: Header=BB27_3 Depth=1
	s_or_b32 exec_lo, exec_lo, s46
	s_wait_dscnt 0x0
	s_barrier_signal -1
	s_barrier_wait -1
	s_barrier_signal -1
	s_barrier_wait -1
	s_and_saveexec_b32 s46, s3
; %bb.658:                              ;   in Loop: Header=BB27_3 Depth=1
	ds_store_b64 v81, v[2:3] offset:16000
; %bb.659:                              ;   in Loop: Header=BB27_3 Depth=1
	s_or_b32 exec_lo, exec_lo, s46
	s_wait_dscnt 0x0
	s_barrier_signal -1
	s_barrier_wait -1
	s_barrier_signal -1
	s_barrier_wait -1
	s_and_saveexec_b32 s46, s40
	s_cbranch_execz .LBB27_661
; %bb.660:                              ;   in Loop: Header=BB27_3 Depth=1
	ds_load_b64 v[2:3], v56 offset:12416
	s_wait_dscnt 0x0
	ds_store_b64 v58, v[2:3] offset:8384
	ds_load_b64 v[2:3], v56 offset:12424
	s_wait_dscnt 0x0
	ds_store_b64 v58, v[2:3] offset:8896
	;; [unrolled: 3-line block ×8, first 2 shown]
.LBB27_661:                             ;   in Loop: Header=BB27_3 Depth=1
	s_or_b32 exec_lo, exec_lo, s46
	s_wait_dscnt 0x0
	s_barrier_signal -1
	s_barrier_wait -1
	s_and_saveexec_b32 s46, s10
	s_cbranch_execz .LBB27_663
; %bb.662:                              ;   in Loop: Header=BB27_3 Depth=1
	ds_load_b64 v[2:3], v7 offset:11952
	v_mov_b32_e32 v0, v7
	ds_store_b64 v7, v[34:35] offset:11960
	s_wait_dscnt 0x1
	ds_store_b128 v7, v[0:3] offset:11440
.LBB27_663:                             ;   in Loop: Header=BB27_3 Depth=1
	s_or_b32 exec_lo, exec_lo, s46
	v_mov_b64_e32 v[2:3], 0
	s_wait_dscnt 0x0
	s_barrier_signal -1
	s_barrier_wait -1
	global_wb scope:SCOPE_DEV
	s_wait_storecnt 0x0
	global_inv scope:SCOPE_DEV
	s_and_saveexec_b32 s46, s0
	s_cbranch_execz .LBB27_667
; %bb.664:                              ;   in Loop: Header=BB27_3 Depth=1
	ds_load_b64 v[2:3], v72 offset:11424
	ds_load_b64 v[48:49], v57 offset:11952
	s_wait_dscnt 0x0
	v_fma_f64 v[2:3], v[2:3], v[48:49], 0
	s_and_saveexec_b32 s47, s11
	s_cbranch_execz .LBB27_666
; %bb.665:                              ;   in Loop: Header=BB27_3 Depth=1
	ds_load_b64 v[48:49], v58 offset:11936
	ds_load_b64 v[98:99], v7 offset:11960
	s_wait_dscnt 0x0
	v_fmac_f64_e32 v[2:3], v[48:49], v[98:99]
.LBB27_666:                             ;   in Loop: Header=BB27_3 Depth=1
	s_or_b32 exec_lo, exec_lo, s47
.LBB27_667:                             ;   in Loop: Header=BB27_3 Depth=1
	s_delay_alu instid0(SALU_CYCLE_1)
	s_or_b32 exec_lo, exec_lo, s46
	s_and_saveexec_b32 s46, s90
; %bb.668:                              ;   in Loop: Header=BB27_3 Depth=1
	s_delay_alu instid0(VALU_DEP_1) | instskip(NEXT) | instid1(VALU_DEP_2)
	v_xor_b32_e32 v49, 0x80000000, v3
	v_mov_b32_e32 v48, v2
	ds_store_b64 v73, v[48:49]
; %bb.669:                              ;   in Loop: Header=BB27_3 Depth=1
	s_or_b32 exec_lo, exec_lo, s46
	s_wait_loadcnt_dscnt 0x0
	s_barrier_signal -1
	s_barrier_wait -1
	s_and_saveexec_b32 s46, s91
	s_cbranch_execz .LBB27_671
; %bb.670:                              ;   in Loop: Header=BB27_3 Depth=1
	ds_load_b64 v[48:49], v7 offset:10912
	ds_load_b64 v[98:99], v73
	s_wait_dscnt 0x0
	v_fma_f64 v[2:3], -v[48:49], v[98:99], v[2:3]
.LBB27_671:                             ;   in Loop: Header=BB27_3 Depth=1
	s_or_b32 exec_lo, exec_lo, s46
	s_barrier_signal -1
	s_barrier_wait -1
	s_and_saveexec_b32 s46, s91
; %bb.672:                              ;   in Loop: Header=BB27_3 Depth=1
	s_delay_alu instid0(VALU_DEP_1) | instskip(NEXT) | instid1(VALU_DEP_2)
	v_xor_b32_e32 v49, 0x80000000, v3
	v_mov_b32_e32 v48, v2
	ds_store_b64 v73, v[48:49]
; %bb.673:                              ;   in Loop: Header=BB27_3 Depth=1
	s_or_b32 exec_lo, exec_lo, s46
	s_wait_dscnt 0x0
	s_barrier_signal -1
	s_barrier_wait -1
	s_barrier_signal -1
	s_barrier_wait -1
	s_and_saveexec_b32 s46, s0
; %bb.674:                              ;   in Loop: Header=BB27_3 Depth=1
	ds_store_b64 v75, v[2:3] offset:11936
; %bb.675:                              ;   in Loop: Header=BB27_3 Depth=1
	s_or_b32 exec_lo, exec_lo, s46
	s_wait_dscnt 0x0
	s_barrier_signal -1
	s_barrier_wait -1
	s_barrier_signal -1
	s_barrier_wait -1
	s_and_saveexec_b32 s46, s92
	s_cbranch_execz .LBB27_677
; %bb.676:                              ;   in Loop: Header=BB27_3 Depth=1
	ds_load_b64 v[2:3], v60 offset:11424
	s_wait_dscnt 0x0
	ds_store_b64 v58, v[2:3] offset:10416
	ds_load_b64 v[2:3], v60 offset:11432
	s_wait_dscnt 0x0
	ds_store_b64 v58, v[2:3] offset:10928
.LBB27_677:                             ;   in Loop: Header=BB27_3 Depth=1
	s_or_b32 exec_lo, exec_lo, s46
	s_wait_dscnt 0x0
	s_barrier_signal -1
	s_barrier_wait -1
	s_and_saveexec_b32 s46, s10
	s_cbranch_execz .LBB27_679
; %bb.678:                              ;   in Loop: Header=BB27_3 Depth=1
	ds_load_b64 v[2:3], v7 offset:10912
	v_mov_b32_e32 v0, v7
	ds_store_b64 v7, v[34:35] offset:10920
	s_wait_dscnt 0x1
	ds_store_b128 v7, v[0:3] offset:10400
.LBB27_679:                             ;   in Loop: Header=BB27_3 Depth=1
	s_or_b32 exec_lo, exec_lo, s46
	v_mov_b64_e32 v[2:3], 0
	s_wait_dscnt 0x0
	s_barrier_signal -1
	s_barrier_wait -1
	global_wb scope:SCOPE_DEV
	s_wait_storecnt 0x0
	global_inv scope:SCOPE_DEV
	s_and_saveexec_b32 s57, s2
	s_cbranch_execz .LBB27_685
; %bb.680:                              ;   in Loop: Header=BB27_3 Depth=1
	ds_load_b64 v[2:3], v74 offset:10368
	ds_load_b64 v[48:49], v59 offset:11936
	s_wait_dscnt 0x0
	v_fma_f64 v[2:3], v[2:3], v[48:49], 0
	s_and_saveexec_b32 s46, s12
	s_cbranch_execnz .LBB27_1101
; %bb.681:                              ;   in Loop: Header=BB27_3 Depth=1
	s_or_b32 exec_lo, exec_lo, s46
	s_and_saveexec_b32 s46, s13
	s_cbranch_execnz .LBB27_1102
.LBB27_682:                             ;   in Loop: Header=BB27_3 Depth=1
	s_or_b32 exec_lo, exec_lo, s46
	s_and_saveexec_b32 s46, s0
	s_cbranch_execz .LBB27_684
.LBB27_683:                             ;   in Loop: Header=BB27_3 Depth=1
	ds_load_b64 v[48:49], v62 offset:11904
	ds_load_b64 v[98:99], v7 offset:11960
	s_wait_dscnt 0x0
	v_fmac_f64_e32 v[2:3], v[48:49], v[98:99]
.LBB27_684:                             ;   in Loop: Header=BB27_3 Depth=1
	s_or_b32 exec_lo, exec_lo, s46
.LBB27_685:                             ;   in Loop: Header=BB27_3 Depth=1
	s_delay_alu instid0(SALU_CYCLE_1)
	s_or_b32 exec_lo, exec_lo, s57
	s_and_saveexec_b32 s46, s93
; %bb.686:                              ;   in Loop: Header=BB27_3 Depth=1
	s_delay_alu instid0(VALU_DEP_1) | instskip(NEXT) | instid1(VALU_DEP_2)
	v_xor_b32_e32 v49, 0x80000000, v3
	v_mov_b32_e32 v48, v2
	ds_store_b64 v77, v[48:49]
; %bb.687:                              ;   in Loop: Header=BB27_3 Depth=1
	s_or_b32 exec_lo, exec_lo, s46
	s_wait_loadcnt_dscnt 0x0
	s_barrier_signal -1
	s_barrier_wait -1
	s_and_saveexec_b32 s46, s94
	s_cbranch_execz .LBB27_689
; %bb.688:                              ;   in Loop: Header=BB27_3 Depth=1
	ds_load_b64 v[48:49], v74 offset:9856
	ds_load_b64 v[98:99], v77
	s_wait_dscnt 0x0
	v_fma_f64 v[2:3], -v[48:49], v[98:99], v[2:3]
.LBB27_689:                             ;   in Loop: Header=BB27_3 Depth=1
	s_or_b32 exec_lo, exec_lo, s46
	s_barrier_signal -1
	s_barrier_wait -1
	s_and_saveexec_b32 s46, s95
; %bb.690:                              ;   in Loop: Header=BB27_3 Depth=1
	s_delay_alu instid0(VALU_DEP_1) | instskip(NEXT) | instid1(VALU_DEP_2)
	v_xor_b32_e32 v49, 0x80000000, v3
	v_mov_b32_e32 v48, v2
	ds_store_b64 v77, v[48:49]
; %bb.691:                              ;   in Loop: Header=BB27_3 Depth=1
	s_or_b32 exec_lo, exec_lo, s46
	s_wait_dscnt 0x0
	s_barrier_signal -1
	s_barrier_wait -1
	s_and_saveexec_b32 s46, s96
	s_cbranch_execz .LBB27_693
; %bb.692:                              ;   in Loop: Header=BB27_3 Depth=1
	ds_load_b64 v[48:49], v74 offset:9344
	ds_load_b64 v[98:99], v77
	s_wait_dscnt 0x0
	v_fma_f64 v[2:3], -v[48:49], v[98:99], v[2:3]
.LBB27_693:                             ;   in Loop: Header=BB27_3 Depth=1
	s_or_b32 exec_lo, exec_lo, s46
	s_barrier_signal -1
	s_barrier_wait -1
	s_and_saveexec_b32 s46, s97
; %bb.694:                              ;   in Loop: Header=BB27_3 Depth=1
	s_delay_alu instid0(VALU_DEP_1) | instskip(NEXT) | instid1(VALU_DEP_2)
	v_xor_b32_e32 v49, 0x80000000, v3
	v_mov_b32_e32 v48, v2
	ds_store_b64 v77, v[48:49]
; %bb.695:                              ;   in Loop: Header=BB27_3 Depth=1
	s_or_b32 exec_lo, exec_lo, s46
	s_wait_dscnt 0x0
	;; [unrolled: 22-line block ×3, first 2 shown]
	s_barrier_signal -1
	s_barrier_wait -1
	s_barrier_signal -1
	s_barrier_wait -1
	s_and_saveexec_b32 s46, s2
; %bb.700:                              ;   in Loop: Header=BB27_3 Depth=1
	ds_store_b64 v79, v[2:3] offset:11904
; %bb.701:                              ;   in Loop: Header=BB27_3 Depth=1
	s_or_b32 exec_lo, exec_lo, s46
	s_wait_dscnt 0x0
	s_barrier_signal -1
	s_barrier_wait -1
	s_barrier_signal -1
	s_barrier_wait -1
	s_and_saveexec_b32 s46, s99
	s_cbranch_execz .LBB27_703
; %bb.702:                              ;   in Loop: Header=BB27_3 Depth=1
	ds_load_b64 v[2:3], v67 offset:10368
	s_wait_dscnt 0x0
	ds_store_b64 v68, v[2:3] offset:8352
	ds_load_b64 v[2:3], v67 offset:10376
	s_wait_dscnt 0x0
	ds_store_b64 v68, v[2:3] offset:8864
	;; [unrolled: 3-line block ×4, first 2 shown]
.LBB27_703:                             ;   in Loop: Header=BB27_3 Depth=1
	s_or_b32 exec_lo, exec_lo, s46
	s_wait_dscnt 0x0
	s_barrier_signal -1
	s_barrier_wait -1
	s_and_saveexec_b32 s46, s10
	s_cbranch_execz .LBB27_705
; %bb.704:                              ;   in Loop: Header=BB27_3 Depth=1
	ds_load_b64 v[2:3], v7 offset:9872
	v_mov_b32_e32 v0, v7
	ds_store_b64 v7, v[34:35] offset:9880
	s_wait_dscnt 0x1
	ds_store_b128 v7, v[0:3] offset:9360
.LBB27_705:                             ;   in Loop: Header=BB27_3 Depth=1
	s_or_b32 exec_lo, exec_lo, s46
	v_mov_b64_e32 v[2:3], 0
	s_wait_dscnt 0x0
	s_barrier_signal -1
	s_barrier_wait -1
	global_wb scope:SCOPE_DEV
	s_wait_storecnt 0x0
	global_inv scope:SCOPE_DEV
	s_and_saveexec_b32 s46, s0
	s_cbranch_execz .LBB27_709
; %bb.706:                              ;   in Loop: Header=BB27_3 Depth=1
	ds_load_b64 v[2:3], v72 offset:9344
	ds_load_b64 v[48:49], v57 offset:9872
	s_wait_dscnt 0x0
	v_fma_f64 v[2:3], v[2:3], v[48:49], 0
	s_and_saveexec_b32 s47, s11
	s_cbranch_execz .LBB27_708
; %bb.707:                              ;   in Loop: Header=BB27_3 Depth=1
	ds_load_b64 v[48:49], v68 offset:9856
	ds_load_b64 v[98:99], v7 offset:9880
	s_wait_dscnt 0x0
	v_fmac_f64_e32 v[2:3], v[48:49], v[98:99]
.LBB27_708:                             ;   in Loop: Header=BB27_3 Depth=1
	s_or_b32 exec_lo, exec_lo, s47
.LBB27_709:                             ;   in Loop: Header=BB27_3 Depth=1
	s_delay_alu instid0(SALU_CYCLE_1)
	s_or_b32 exec_lo, exec_lo, s46
	s_and_saveexec_b32 s46, s90
; %bb.710:                              ;   in Loop: Header=BB27_3 Depth=1
	s_delay_alu instid0(VALU_DEP_1) | instskip(NEXT) | instid1(VALU_DEP_2)
	v_xor_b32_e32 v49, 0x80000000, v3
	v_mov_b32_e32 v48, v2
	ds_store_b64 v73, v[48:49]
; %bb.711:                              ;   in Loop: Header=BB27_3 Depth=1
	s_or_b32 exec_lo, exec_lo, s46
	s_wait_loadcnt_dscnt 0x0
	s_barrier_signal -1
	s_barrier_wait -1
	s_and_saveexec_b32 s46, s91
	s_cbranch_execz .LBB27_713
; %bb.712:                              ;   in Loop: Header=BB27_3 Depth=1
	ds_load_b64 v[48:49], v7 offset:8832
	ds_load_b64 v[98:99], v73
	s_wait_dscnt 0x0
	v_fma_f64 v[2:3], -v[48:49], v[98:99], v[2:3]
.LBB27_713:                             ;   in Loop: Header=BB27_3 Depth=1
	s_or_b32 exec_lo, exec_lo, s46
	s_barrier_signal -1
	s_barrier_wait -1
	s_and_saveexec_b32 s46, s91
; %bb.714:                              ;   in Loop: Header=BB27_3 Depth=1
	s_delay_alu instid0(VALU_DEP_1) | instskip(NEXT) | instid1(VALU_DEP_2)
	v_xor_b32_e32 v49, 0x80000000, v3
	v_mov_b32_e32 v48, v2
	ds_store_b64 v73, v[48:49]
; %bb.715:                              ;   in Loop: Header=BB27_3 Depth=1
	s_or_b32 exec_lo, exec_lo, s46
	s_wait_dscnt 0x0
	s_barrier_signal -1
	s_barrier_wait -1
	s_barrier_signal -1
	s_barrier_wait -1
	s_and_saveexec_b32 s46, s0
; %bb.716:                              ;   in Loop: Header=BB27_3 Depth=1
	ds_store_b64 v75, v[2:3] offset:9856
; %bb.717:                              ;   in Loop: Header=BB27_3 Depth=1
	s_or_b32 exec_lo, exec_lo, s46
	s_wait_dscnt 0x0
	s_barrier_signal -1
	s_barrier_wait -1
	s_barrier_signal -1
	s_barrier_wait -1
	s_and_saveexec_b32 s46, s92
	s_cbranch_execz .LBB27_719
; %bb.718:                              ;   in Loop: Header=BB27_3 Depth=1
	ds_load_b64 v[2:3], v69 offset:9344
	s_wait_dscnt 0x0
	ds_store_b64 v68, v[2:3] offset:8336
	ds_load_b64 v[2:3], v69 offset:9352
	s_wait_dscnt 0x0
	ds_store_b64 v68, v[2:3] offset:8848
.LBB27_719:                             ;   in Loop: Header=BB27_3 Depth=1
	s_or_b32 exec_lo, exec_lo, s46
	s_wait_dscnt 0x0
	s_barrier_signal -1
	s_barrier_wait -1
	s_and_saveexec_b32 s46, s10
	s_cbranch_execz .LBB27_721
; %bb.720:                              ;   in Loop: Header=BB27_3 Depth=1
	ds_load_b64 v[2:3], v7 offset:8832
	v_mov_b32_e32 v0, v7
	ds_store_b64 v7, v[34:35] offset:8840
	s_wait_dscnt 0x1
	ds_store_b128 v7, v[0:3] offset:8320
.LBB27_721:                             ;   in Loop: Header=BB27_3 Depth=1
	s_or_b32 exec_lo, exec_lo, s46
	v_mov_b64_e32 v[2:3], 0
	s_wait_dscnt 0x0
	s_barrier_signal -1
	s_barrier_wait -1
	global_wb scope:SCOPE_DEV
	s_wait_storecnt 0x0
	global_inv scope:SCOPE_DEV
	s_and_saveexec_b32 s61, s4
	s_cbranch_execz .LBB27_749
; %bb.722:                              ;   in Loop: Header=BB27_3 Depth=1
	ds_load_b64 v[2:3], v78 offset:8192
	ds_load_b64 v[48:49], v65 offset:16000
	s_wait_dscnt 0x0
	v_fma_f64 v[2:3], v[2:3], v[48:49], 0
	s_mov_b32 s46, exec_lo
	v_readlane_b32 s47, v103, 19
	s_and_b32 s47, s46, s47
	s_delay_alu instid0(SALU_CYCLE_1)
	s_mov_b32 exec_lo, s47
	s_cbranch_execz .LBB27_724
; %bb.723:                              ;   in Loop: Header=BB27_3 Depth=1
	ds_load_b64 v[48:49], v78 offset:8704
	ds_load_b64 v[98:99], v65 offset:16008
	s_wait_dscnt 0x0
	v_fmac_f64_e32 v[2:3], v[48:49], v[98:99]
.LBB27_724:                             ;   in Loop: Header=BB27_3 Depth=1
	s_or_b32 exec_lo, exec_lo, s46
	s_delay_alu instid0(SALU_CYCLE_1) | instskip(SKIP_2) | instid1(SALU_CYCLE_1)
	s_mov_b32 s46, exec_lo
	v_readlane_b32 s47, v103, 20
	s_and_b32 s47, s46, s47
	s_mov_b32 exec_lo, s47
	s_cbranch_execz .LBB27_726
; %bb.725:                              ;   in Loop: Header=BB27_3 Depth=1
	ds_load_b64 v[48:49], v78 offset:9216
	ds_load_b64 v[98:99], v65 offset:16016
	s_wait_dscnt 0x0
	v_fmac_f64_e32 v[2:3], v[48:49], v[98:99]
.LBB27_726:                             ;   in Loop: Header=BB27_3 Depth=1
	s_or_b32 exec_lo, exec_lo, s46
	s_delay_alu instid0(SALU_CYCLE_1) | instskip(SKIP_2) | instid1(SALU_CYCLE_1)
	s_mov_b32 s46, exec_lo
	v_readlane_b32 s47, v103, 21
	s_and_b32 s47, s46, s47
	;; [unrolled: 13-line block ×10, first 2 shown]
	s_mov_b32 exec_lo, s47
	s_cbranch_execnz .LBB27_1103
; %bb.743:                              ;   in Loop: Header=BB27_3 Depth=1
	s_or_b32 exec_lo, exec_lo, s46
	s_and_saveexec_b32 s46, s3
	s_cbranch_execnz .LBB27_1104
.LBB27_744:                             ;   in Loop: Header=BB27_3 Depth=1
	s_or_b32 exec_lo, exec_lo, s46
	s_and_saveexec_b32 s46, s15
	s_cbranch_execnz .LBB27_1105
.LBB27_745:                             ;   in Loop: Header=BB27_3 Depth=1
	s_or_b32 exec_lo, exec_lo, s46
	s_and_saveexec_b32 s46, s17
	s_cbranch_execnz .LBB27_1106
.LBB27_746:                             ;   in Loop: Header=BB27_3 Depth=1
	s_or_b32 exec_lo, exec_lo, s46
	s_and_saveexec_b32 s46, s2
	s_cbranch_execz .LBB27_748
.LBB27_747:                             ;   in Loop: Header=BB27_3 Depth=1
	ds_load_b64 v[48:49], v11 offset:15872
	ds_load_b64 v[98:99], v7 offset:16120
	s_wait_dscnt 0x0
	v_fmac_f64_e32 v[2:3], v[48:49], v[98:99]
.LBB27_748:                             ;   in Loop: Header=BB27_3 Depth=1
	s_or_b32 exec_lo, exec_lo, s46
.LBB27_749:                             ;   in Loop: Header=BB27_3 Depth=1
	s_delay_alu instid0(SALU_CYCLE_1) | instskip(NEXT) | instid1(SALU_CYCLE_1)
	s_or_b32 exec_lo, exec_lo, s61
	s_mov_b32 s46, exec_lo
	v_readlane_b32 s47, v103, 2
	s_and_b32 s47, s46, s47
	s_delay_alu instid0(SALU_CYCLE_1)
	s_mov_b32 exec_lo, s47
; %bb.750:                              ;   in Loop: Header=BB27_3 Depth=1
	v_xor_b32_e32 v49, 0x80000000, v3
	v_mov_b32_e32 v48, v2
	ds_store_b64 v82, v[48:49]
; %bb.751:                              ;   in Loop: Header=BB27_3 Depth=1
	s_or_b32 exec_lo, exec_lo, s46
	s_wait_loadcnt_dscnt 0x0
	s_barrier_signal -1
	s_barrier_wait -1
	s_mov_b32 s46, exec_lo
	v_readlane_b32 s47, v103, 3
	s_and_b32 s47, s46, s47
	s_delay_alu instid0(SALU_CYCLE_1)
	s_mov_b32 exec_lo, s47
	s_cbranch_execz .LBB27_753
; %bb.752:                              ;   in Loop: Header=BB27_3 Depth=1
	ds_load_b64 v[48:49], v78 offset:7680
	ds_load_b64 v[98:99], v82
	s_wait_dscnt 0x0
	v_fma_f64 v[2:3], -v[48:49], v[98:99], v[2:3]
.LBB27_753:                             ;   in Loop: Header=BB27_3 Depth=1
	s_or_b32 exec_lo, exec_lo, s46
	s_barrier_signal -1
	s_barrier_wait -1
	s_mov_b32 s46, exec_lo
	v_readlane_b32 s47, v103, 4
	s_and_b32 s47, s46, s47
	s_delay_alu instid0(SALU_CYCLE_1)
	s_mov_b32 exec_lo, s47
; %bb.754:                              ;   in Loop: Header=BB27_3 Depth=1
	v_xor_b32_e32 v49, 0x80000000, v3
	v_mov_b32_e32 v48, v2
	ds_store_b64 v82, v[48:49]
; %bb.755:                              ;   in Loop: Header=BB27_3 Depth=1
	s_or_b32 exec_lo, exec_lo, s46
	s_wait_dscnt 0x0
	s_barrier_signal -1
	s_barrier_wait -1
	s_mov_b32 s46, exec_lo
	v_readlane_b32 s47, v103, 5
	s_and_b32 s47, s46, s47
	s_delay_alu instid0(SALU_CYCLE_1)
	s_mov_b32 exec_lo, s47
	s_cbranch_execz .LBB27_757
; %bb.756:                              ;   in Loop: Header=BB27_3 Depth=1
	ds_load_b64 v[48:49], v78 offset:7168
	ds_load_b64 v[98:99], v82
	s_wait_dscnt 0x0
	v_fma_f64 v[2:3], -v[48:49], v[98:99], v[2:3]
.LBB27_757:                             ;   in Loop: Header=BB27_3 Depth=1
	s_or_b32 exec_lo, exec_lo, s46
	s_barrier_signal -1
	s_barrier_wait -1
	s_mov_b32 s46, exec_lo
	v_readlane_b32 s47, v103, 6
	s_and_b32 s47, s46, s47
	s_delay_alu instid0(SALU_CYCLE_1)
	s_mov_b32 exec_lo, s47
; %bb.758:                              ;   in Loop: Header=BB27_3 Depth=1
	v_xor_b32_e32 v49, 0x80000000, v3
	v_mov_b32_e32 v48, v2
	ds_store_b64 v82, v[48:49]
; %bb.759:                              ;   in Loop: Header=BB27_3 Depth=1
	s_or_b32 exec_lo, exec_lo, s46
	s_wait_dscnt 0x0
	;; [unrolled: 29-line block ×3, first 2 shown]
	s_barrier_signal -1
	s_barrier_wait -1
	s_and_saveexec_b32 s46, s48
	s_cbranch_execz .LBB27_765
; %bb.764:                              ;   in Loop: Header=BB27_3 Depth=1
	ds_load_b64 v[48:49], v78 offset:6144
	ds_load_b64 v[98:99], v82
	s_wait_dscnt 0x0
	v_fma_f64 v[2:3], -v[48:49], v[98:99], v[2:3]
.LBB27_765:                             ;   in Loop: Header=BB27_3 Depth=1
	s_or_b32 exec_lo, exec_lo, s46
	s_barrier_signal -1
	s_barrier_wait -1
	s_and_saveexec_b32 s46, s49
; %bb.766:                              ;   in Loop: Header=BB27_3 Depth=1
	s_delay_alu instid0(VALU_DEP_1) | instskip(NEXT) | instid1(VALU_DEP_2)
	v_xor_b32_e32 v49, 0x80000000, v3
	v_mov_b32_e32 v48, v2
	ds_store_b64 v82, v[48:49]
; %bb.767:                              ;   in Loop: Header=BB27_3 Depth=1
	s_or_b32 exec_lo, exec_lo, s46
	s_wait_dscnt 0x0
	s_barrier_signal -1
	s_barrier_wait -1
	s_and_saveexec_b32 s46, s50
	s_cbranch_execz .LBB27_769
; %bb.768:                              ;   in Loop: Header=BB27_3 Depth=1
	ds_load_b64 v[48:49], v78 offset:5632
	ds_load_b64 v[98:99], v82
	s_wait_dscnt 0x0
	v_fma_f64 v[2:3], -v[48:49], v[98:99], v[2:3]
.LBB27_769:                             ;   in Loop: Header=BB27_3 Depth=1
	s_or_b32 exec_lo, exec_lo, s46
	s_barrier_signal -1
	s_barrier_wait -1
	s_and_saveexec_b32 s46, s51
; %bb.770:                              ;   in Loop: Header=BB27_3 Depth=1
	s_delay_alu instid0(VALU_DEP_1) | instskip(NEXT) | instid1(VALU_DEP_2)
	v_xor_b32_e32 v49, 0x80000000, v3
	v_mov_b32_e32 v48, v2
	ds_store_b64 v82, v[48:49]
; %bb.771:                              ;   in Loop: Header=BB27_3 Depth=1
	s_or_b32 exec_lo, exec_lo, s46
	s_wait_dscnt 0x0
	;; [unrolled: 22-line block ×12, first 2 shown]
	s_barrier_signal -1
	s_barrier_wait -1
	s_barrier_signal -1
	s_barrier_wait -1
	s_and_saveexec_b32 s46, s4
; %bb.812:                              ;   in Loop: Header=BB27_3 Depth=1
	ds_store_b64 v83, v[2:3] offset:15872
; %bb.813:                              ;   in Loop: Header=BB27_3 Depth=1
	s_or_b32 exec_lo, exec_lo, s46
	s_wait_dscnt 0x0
	s_barrier_signal -1
	s_barrier_wait -1
	s_barrier_signal -1
	s_barrier_wait -1
	s_and_saveexec_b32 s57, s43
	s_cbranch_execz .LBB27_815
; %bb.814:                              ;   in Loop: Header=BB27_3 Depth=1
	ds_load_b64 v[2:3], v50 offset:8192
	s_wait_dscnt 0x0
	ds_store_b64 v51, v[2:3] offset:128
	ds_load_b64 v[2:3], v50 offset:8200
	s_wait_dscnt 0x0
	ds_store_b64 v51, v[2:3] offset:640
	;; [unrolled: 3-line block ×16, first 2 shown]
.LBB27_815:                             ;   in Loop: Header=BB27_3 Depth=1
	s_or_b32 exec_lo, exec_lo, s57
	s_wait_dscnt 0x0
	s_barrier_signal -1
	s_barrier_wait -1
	s_and_saveexec_b32 s46, s10
	s_cbranch_execz .LBB27_817
; %bb.816:                              ;   in Loop: Header=BB27_3 Depth=1
	ds_load_b64 v[2:3], v7 offset:7792
	v_mov_b32_e32 v0, v7
	ds_store_b64 v7, v[34:35] offset:7800
	s_wait_dscnt 0x1
	ds_store_b128 v7, v[0:3] offset:7280
.LBB27_817:                             ;   in Loop: Header=BB27_3 Depth=1
	s_or_b32 exec_lo, exec_lo, s46
	v_mov_b64_e32 v[2:3], 0
	s_wait_dscnt 0x0
	s_barrier_signal -1
	s_barrier_wait -1
	global_wb scope:SCOPE_DEV
	s_wait_storecnt 0x0
	global_inv scope:SCOPE_DEV
	s_and_saveexec_b32 s46, s0
	s_cbranch_execz .LBB27_821
; %bb.818:                              ;   in Loop: Header=BB27_3 Depth=1
	ds_load_b64 v[2:3], v72 offset:7264
	ds_load_b64 v[48:49], v57 offset:7792
	s_wait_dscnt 0x0
	v_fma_f64 v[2:3], v[2:3], v[48:49], 0
	s_and_saveexec_b32 s47, s11
	s_cbranch_execz .LBB27_820
; %bb.819:                              ;   in Loop: Header=BB27_3 Depth=1
	ds_load_b64 v[48:49], v11 offset:7776
	ds_load_b64 v[98:99], v7 offset:7800
	s_wait_dscnt 0x0
	v_fmac_f64_e32 v[2:3], v[48:49], v[98:99]
.LBB27_820:                             ;   in Loop: Header=BB27_3 Depth=1
	s_or_b32 exec_lo, exec_lo, s47
.LBB27_821:                             ;   in Loop: Header=BB27_3 Depth=1
	s_delay_alu instid0(SALU_CYCLE_1)
	s_or_b32 exec_lo, exec_lo, s46
	s_and_saveexec_b32 s46, s90
; %bb.822:                              ;   in Loop: Header=BB27_3 Depth=1
	s_delay_alu instid0(VALU_DEP_1) | instskip(NEXT) | instid1(VALU_DEP_2)
	v_xor_b32_e32 v49, 0x80000000, v3
	v_mov_b32_e32 v48, v2
	ds_store_b64 v73, v[48:49]
; %bb.823:                              ;   in Loop: Header=BB27_3 Depth=1
	s_or_b32 exec_lo, exec_lo, s46
	s_wait_loadcnt_dscnt 0x0
	s_barrier_signal -1
	s_barrier_wait -1
	s_and_saveexec_b32 s46, s91
	s_cbranch_execz .LBB27_825
; %bb.824:                              ;   in Loop: Header=BB27_3 Depth=1
	ds_load_b64 v[48:49], v7 offset:6752
	ds_load_b64 v[98:99], v73
	s_wait_dscnt 0x0
	v_fma_f64 v[2:3], -v[48:49], v[98:99], v[2:3]
.LBB27_825:                             ;   in Loop: Header=BB27_3 Depth=1
	s_or_b32 exec_lo, exec_lo, s46
	s_barrier_signal -1
	s_barrier_wait -1
	s_and_saveexec_b32 s46, s91
; %bb.826:                              ;   in Loop: Header=BB27_3 Depth=1
	s_delay_alu instid0(VALU_DEP_1) | instskip(NEXT) | instid1(VALU_DEP_2)
	v_xor_b32_e32 v49, 0x80000000, v3
	v_mov_b32_e32 v48, v2
	ds_store_b64 v73, v[48:49]
; %bb.827:                              ;   in Loop: Header=BB27_3 Depth=1
	s_or_b32 exec_lo, exec_lo, s46
	s_wait_dscnt 0x0
	s_barrier_signal -1
	s_barrier_wait -1
	s_barrier_signal -1
	s_barrier_wait -1
	s_and_saveexec_b32 s46, s0
; %bb.828:                              ;   in Loop: Header=BB27_3 Depth=1
	ds_store_b64 v75, v[2:3] offset:7776
; %bb.829:                              ;   in Loop: Header=BB27_3 Depth=1
	s_or_b32 exec_lo, exec_lo, s46
	s_wait_dscnt 0x0
	s_barrier_signal -1
	s_barrier_wait -1
	s_barrier_signal -1
	s_barrier_wait -1
	s_and_saveexec_b32 s46, s92
	s_cbranch_execz .LBB27_831
; %bb.830:                              ;   in Loop: Header=BB27_3 Depth=1
	ds_load_b64 v[2:3], v50 offset:7264
	s_wait_dscnt 0x0
	ds_store_b64 v11, v[2:3] offset:6256
	ds_load_b64 v[2:3], v50 offset:7272
	s_wait_dscnt 0x0
	ds_store_b64 v11, v[2:3] offset:6768
.LBB27_831:                             ;   in Loop: Header=BB27_3 Depth=1
	s_or_b32 exec_lo, exec_lo, s46
	s_wait_dscnt 0x0
	s_barrier_signal -1
	s_barrier_wait -1
	s_and_saveexec_b32 s46, s10
	s_cbranch_execz .LBB27_833
; %bb.832:                              ;   in Loop: Header=BB27_3 Depth=1
	ds_load_b64 v[2:3], v7 offset:6752
	v_mov_b32_e32 v0, v7
	ds_store_b64 v7, v[34:35] offset:6760
	s_wait_dscnt 0x1
	ds_store_b128 v7, v[0:3] offset:6240
.LBB27_833:                             ;   in Loop: Header=BB27_3 Depth=1
	s_or_b32 exec_lo, exec_lo, s46
	v_mov_b64_e32 v[2:3], 0
	s_wait_dscnt 0x0
	s_barrier_signal -1
	s_barrier_wait -1
	global_wb scope:SCOPE_DEV
	s_wait_storecnt 0x0
	global_inv scope:SCOPE_DEV
	s_and_saveexec_b32 s57, s2
	s_cbranch_execz .LBB27_839
; %bb.834:                              ;   in Loop: Header=BB27_3 Depth=1
	ds_load_b64 v[2:3], v74 offset:6208
	ds_load_b64 v[48:49], v59 offset:7776
	s_wait_dscnt 0x0
	v_fma_f64 v[2:3], v[2:3], v[48:49], 0
	s_and_saveexec_b32 s46, s12
	s_cbranch_execnz .LBB27_1107
; %bb.835:                              ;   in Loop: Header=BB27_3 Depth=1
	s_or_b32 exec_lo, exec_lo, s46
	s_and_saveexec_b32 s46, s13
	s_cbranch_execnz .LBB27_1108
.LBB27_836:                             ;   in Loop: Header=BB27_3 Depth=1
	s_or_b32 exec_lo, exec_lo, s46
	s_and_saveexec_b32 s46, s0
	s_cbranch_execz .LBB27_838
.LBB27_837:                             ;   in Loop: Header=BB27_3 Depth=1
	ds_load_b64 v[48:49], v51 offset:7744
	ds_load_b64 v[98:99], v7 offset:7800
	s_wait_dscnt 0x0
	v_fmac_f64_e32 v[2:3], v[48:49], v[98:99]
.LBB27_838:                             ;   in Loop: Header=BB27_3 Depth=1
	s_or_b32 exec_lo, exec_lo, s46
.LBB27_839:                             ;   in Loop: Header=BB27_3 Depth=1
	s_delay_alu instid0(SALU_CYCLE_1)
	s_or_b32 exec_lo, exec_lo, s57
	s_and_saveexec_b32 s46, s93
; %bb.840:                              ;   in Loop: Header=BB27_3 Depth=1
	s_delay_alu instid0(VALU_DEP_1) | instskip(NEXT) | instid1(VALU_DEP_2)
	v_xor_b32_e32 v49, 0x80000000, v3
	v_mov_b32_e32 v48, v2
	ds_store_b64 v77, v[48:49]
; %bb.841:                              ;   in Loop: Header=BB27_3 Depth=1
	s_or_b32 exec_lo, exec_lo, s46
	s_wait_loadcnt_dscnt 0x0
	s_barrier_signal -1
	s_barrier_wait -1
	s_and_saveexec_b32 s46, s94
	s_cbranch_execz .LBB27_843
; %bb.842:                              ;   in Loop: Header=BB27_3 Depth=1
	ds_load_b64 v[48:49], v74 offset:5696
	ds_load_b64 v[98:99], v77
	s_wait_dscnt 0x0
	v_fma_f64 v[2:3], -v[48:49], v[98:99], v[2:3]
.LBB27_843:                             ;   in Loop: Header=BB27_3 Depth=1
	s_or_b32 exec_lo, exec_lo, s46
	s_barrier_signal -1
	s_barrier_wait -1
	s_and_saveexec_b32 s46, s95
; %bb.844:                              ;   in Loop: Header=BB27_3 Depth=1
	s_delay_alu instid0(VALU_DEP_1) | instskip(NEXT) | instid1(VALU_DEP_2)
	v_xor_b32_e32 v49, 0x80000000, v3
	v_mov_b32_e32 v48, v2
	ds_store_b64 v77, v[48:49]
; %bb.845:                              ;   in Loop: Header=BB27_3 Depth=1
	s_or_b32 exec_lo, exec_lo, s46
	s_wait_dscnt 0x0
	s_barrier_signal -1
	s_barrier_wait -1
	s_and_saveexec_b32 s46, s96
	s_cbranch_execz .LBB27_847
; %bb.846:                              ;   in Loop: Header=BB27_3 Depth=1
	ds_load_b64 v[48:49], v74 offset:5184
	ds_load_b64 v[98:99], v77
	s_wait_dscnt 0x0
	v_fma_f64 v[2:3], -v[48:49], v[98:99], v[2:3]
.LBB27_847:                             ;   in Loop: Header=BB27_3 Depth=1
	s_or_b32 exec_lo, exec_lo, s46
	s_barrier_signal -1
	s_barrier_wait -1
	s_and_saveexec_b32 s46, s97
; %bb.848:                              ;   in Loop: Header=BB27_3 Depth=1
	s_delay_alu instid0(VALU_DEP_1) | instskip(NEXT) | instid1(VALU_DEP_2)
	v_xor_b32_e32 v49, 0x80000000, v3
	v_mov_b32_e32 v48, v2
	ds_store_b64 v77, v[48:49]
; %bb.849:                              ;   in Loop: Header=BB27_3 Depth=1
	s_or_b32 exec_lo, exec_lo, s46
	s_wait_dscnt 0x0
	;; [unrolled: 22-line block ×3, first 2 shown]
	s_barrier_signal -1
	s_barrier_wait -1
	s_barrier_signal -1
	s_barrier_wait -1
	s_and_saveexec_b32 s46, s2
; %bb.854:                              ;   in Loop: Header=BB27_3 Depth=1
	ds_store_b64 v79, v[2:3] offset:7744
; %bb.855:                              ;   in Loop: Header=BB27_3 Depth=1
	s_or_b32 exec_lo, exec_lo, s46
	s_wait_dscnt 0x0
	s_barrier_signal -1
	s_barrier_wait -1
	s_barrier_signal -1
	s_barrier_wait -1
	s_and_saveexec_b32 s46, s99
	s_cbranch_execz .LBB27_857
; %bb.856:                              ;   in Loop: Header=BB27_3 Depth=1
	ds_load_b64 v[2:3], v52 offset:6208
	s_wait_dscnt 0x0
	ds_store_b64 v53, v[2:3] offset:4192
	ds_load_b64 v[2:3], v52 offset:6216
	s_wait_dscnt 0x0
	ds_store_b64 v53, v[2:3] offset:4704
	;; [unrolled: 3-line block ×4, first 2 shown]
.LBB27_857:                             ;   in Loop: Header=BB27_3 Depth=1
	s_or_b32 exec_lo, exec_lo, s46
	s_wait_dscnt 0x0
	s_barrier_signal -1
	s_barrier_wait -1
	s_and_saveexec_b32 s46, s10
	s_cbranch_execz .LBB27_859
; %bb.858:                              ;   in Loop: Header=BB27_3 Depth=1
	ds_load_b64 v[2:3], v7 offset:5712
	v_mov_b32_e32 v0, v7
	ds_store_b64 v7, v[34:35] offset:5720
	s_wait_dscnt 0x1
	ds_store_b128 v7, v[0:3] offset:5200
.LBB27_859:                             ;   in Loop: Header=BB27_3 Depth=1
	s_or_b32 exec_lo, exec_lo, s46
	v_mov_b64_e32 v[2:3], 0
	s_wait_dscnt 0x0
	s_barrier_signal -1
	s_barrier_wait -1
	global_wb scope:SCOPE_DEV
	s_wait_storecnt 0x0
	global_inv scope:SCOPE_DEV
	s_and_saveexec_b32 s46, s0
	s_cbranch_execz .LBB27_863
; %bb.860:                              ;   in Loop: Header=BB27_3 Depth=1
	ds_load_b64 v[2:3], v72 offset:5184
	ds_load_b64 v[48:49], v57 offset:5712
	s_wait_dscnt 0x0
	v_fma_f64 v[2:3], v[2:3], v[48:49], 0
	s_and_saveexec_b32 s47, s11
	s_cbranch_execz .LBB27_862
; %bb.861:                              ;   in Loop: Header=BB27_3 Depth=1
	ds_load_b64 v[48:49], v53 offset:5696
	ds_load_b64 v[98:99], v7 offset:5720
	s_wait_dscnt 0x0
	v_fmac_f64_e32 v[2:3], v[48:49], v[98:99]
.LBB27_862:                             ;   in Loop: Header=BB27_3 Depth=1
	s_or_b32 exec_lo, exec_lo, s47
.LBB27_863:                             ;   in Loop: Header=BB27_3 Depth=1
	s_delay_alu instid0(SALU_CYCLE_1)
	s_or_b32 exec_lo, exec_lo, s46
	s_and_saveexec_b32 s46, s90
; %bb.864:                              ;   in Loop: Header=BB27_3 Depth=1
	s_delay_alu instid0(VALU_DEP_1) | instskip(NEXT) | instid1(VALU_DEP_2)
	v_xor_b32_e32 v49, 0x80000000, v3
	v_mov_b32_e32 v48, v2
	ds_store_b64 v73, v[48:49]
; %bb.865:                              ;   in Loop: Header=BB27_3 Depth=1
	s_or_b32 exec_lo, exec_lo, s46
	s_wait_loadcnt_dscnt 0x0
	s_barrier_signal -1
	s_barrier_wait -1
	s_and_saveexec_b32 s46, s91
	s_cbranch_execz .LBB27_867
; %bb.866:                              ;   in Loop: Header=BB27_3 Depth=1
	ds_load_b64 v[48:49], v7 offset:4672
	ds_load_b64 v[98:99], v73
	s_wait_dscnt 0x0
	v_fma_f64 v[2:3], -v[48:49], v[98:99], v[2:3]
.LBB27_867:                             ;   in Loop: Header=BB27_3 Depth=1
	s_or_b32 exec_lo, exec_lo, s46
	s_barrier_signal -1
	s_barrier_wait -1
	s_and_saveexec_b32 s46, s91
; %bb.868:                              ;   in Loop: Header=BB27_3 Depth=1
	s_delay_alu instid0(VALU_DEP_1) | instskip(NEXT) | instid1(VALU_DEP_2)
	v_xor_b32_e32 v49, 0x80000000, v3
	v_mov_b32_e32 v48, v2
	ds_store_b64 v73, v[48:49]
; %bb.869:                              ;   in Loop: Header=BB27_3 Depth=1
	s_or_b32 exec_lo, exec_lo, s46
	s_wait_dscnt 0x0
	s_barrier_signal -1
	s_barrier_wait -1
	s_barrier_signal -1
	s_barrier_wait -1
	s_and_saveexec_b32 s46, s0
; %bb.870:                              ;   in Loop: Header=BB27_3 Depth=1
	ds_store_b64 v75, v[2:3] offset:5696
; %bb.871:                              ;   in Loop: Header=BB27_3 Depth=1
	s_or_b32 exec_lo, exec_lo, s46
	s_wait_dscnt 0x0
	s_barrier_signal -1
	s_barrier_wait -1
	s_barrier_signal -1
	s_barrier_wait -1
	s_and_saveexec_b32 s46, s92
	s_cbranch_execz .LBB27_873
; %bb.872:                              ;   in Loop: Header=BB27_3 Depth=1
	ds_load_b64 v[2:3], v54 offset:5184
	s_wait_dscnt 0x0
	ds_store_b64 v53, v[2:3] offset:4176
	ds_load_b64 v[2:3], v54 offset:5192
	s_wait_dscnt 0x0
	ds_store_b64 v53, v[2:3] offset:4688
.LBB27_873:                             ;   in Loop: Header=BB27_3 Depth=1
	s_or_b32 exec_lo, exec_lo, s46
	s_wait_dscnt 0x0
	s_barrier_signal -1
	s_barrier_wait -1
	s_and_saveexec_b32 s46, s10
	s_cbranch_execz .LBB27_875
; %bb.874:                              ;   in Loop: Header=BB27_3 Depth=1
	ds_load_b64 v[2:3], v7 offset:4672
	v_mov_b32_e32 v0, v7
	ds_store_b64 v7, v[34:35] offset:4680
	s_wait_dscnt 0x1
	ds_store_b128 v7, v[0:3] offset:4160
.LBB27_875:                             ;   in Loop: Header=BB27_3 Depth=1
	s_or_b32 exec_lo, exec_lo, s46
	v_mov_b64_e32 v[2:3], 0
	s_wait_dscnt 0x0
	s_barrier_signal -1
	s_barrier_wait -1
	global_wb scope:SCOPE_DEV
	s_wait_storecnt 0x0
	global_inv scope:SCOPE_DEV
	s_and_saveexec_b32 s57, s3
	s_cbranch_execz .LBB27_885
; %bb.876:                              ;   in Loop: Header=BB27_3 Depth=1
	ds_load_b64 v[2:3], v76 offset:4096
	ds_load_b64 v[48:49], v63 offset:7744
	s_wait_dscnt 0x0
	v_fma_f64 v[2:3], v[2:3], v[48:49], 0
	s_and_saveexec_b32 s46, s14
	s_cbranch_execnz .LBB27_1109
; %bb.877:                              ;   in Loop: Header=BB27_3 Depth=1
	s_or_b32 exec_lo, exec_lo, s46
	s_and_saveexec_b32 s46, s15
	s_cbranch_execnz .LBB27_1110
.LBB27_878:                             ;   in Loop: Header=BB27_3 Depth=1
	s_or_b32 exec_lo, exec_lo, s46
	s_and_saveexec_b32 s46, s16
	s_cbranch_execnz .LBB27_1111
.LBB27_879:                             ;   in Loop: Header=BB27_3 Depth=1
	s_or_b32 exec_lo, exec_lo, s46
	s_and_saveexec_b32 s46, s17
	s_cbranch_execnz .LBB27_1112
.LBB27_880:                             ;   in Loop: Header=BB27_3 Depth=1
	s_or_b32 exec_lo, exec_lo, s46
	s_and_saveexec_b32 s46, s18
	s_cbranch_execnz .LBB27_1113
.LBB27_881:                             ;   in Loop: Header=BB27_3 Depth=1
	s_or_b32 exec_lo, exec_lo, s46
	s_and_saveexec_b32 s46, s2
	s_cbranch_execnz .LBB27_1114
.LBB27_882:                             ;   in Loop: Header=BB27_3 Depth=1
	s_or_b32 exec_lo, exec_lo, s46
	s_and_saveexec_b32 s46, s13
	s_cbranch_execz .LBB27_884
.LBB27_883:                             ;   in Loop: Header=BB27_3 Depth=1
	ds_load_b64 v[48:49], v55 offset:7680
	ds_load_b64 v[98:99], v7 offset:7800
	s_wait_dscnt 0x0
	v_fmac_f64_e32 v[2:3], v[48:49], v[98:99]
.LBB27_884:                             ;   in Loop: Header=BB27_3 Depth=1
	s_or_b32 exec_lo, exec_lo, s46
.LBB27_885:                             ;   in Loop: Header=BB27_3 Depth=1
	s_delay_alu instid0(SALU_CYCLE_1)
	s_or_b32 exec_lo, exec_lo, s57
	s_and_saveexec_b32 s46, s100
; %bb.886:                              ;   in Loop: Header=BB27_3 Depth=1
	s_delay_alu instid0(VALU_DEP_1) | instskip(NEXT) | instid1(VALU_DEP_2)
	v_xor_b32_e32 v49, 0x80000000, v3
	v_mov_b32_e32 v48, v2
	ds_store_b64 v80, v[48:49]
; %bb.887:                              ;   in Loop: Header=BB27_3 Depth=1
	s_or_b32 exec_lo, exec_lo, s46
	s_wait_loadcnt_dscnt 0x0
	s_barrier_signal -1
	s_barrier_wait -1
	s_and_saveexec_b32 s46, s101
	s_cbranch_execz .LBB27_889
; %bb.888:                              ;   in Loop: Header=BB27_3 Depth=1
	ds_load_b64 v[48:49], v76 offset:3584
	ds_load_b64 v[98:99], v80
	s_wait_dscnt 0x0
	v_fma_f64 v[2:3], -v[48:49], v[98:99], v[2:3]
.LBB27_889:                             ;   in Loop: Header=BB27_3 Depth=1
	s_or_b32 exec_lo, exec_lo, s46
	s_barrier_signal -1
	s_barrier_wait -1
	s_and_saveexec_b32 s46, s102
; %bb.890:                              ;   in Loop: Header=BB27_3 Depth=1
	s_delay_alu instid0(VALU_DEP_1) | instskip(NEXT) | instid1(VALU_DEP_2)
	v_xor_b32_e32 v49, 0x80000000, v3
	v_mov_b32_e32 v48, v2
	ds_store_b64 v80, v[48:49]
; %bb.891:                              ;   in Loop: Header=BB27_3 Depth=1
	s_or_b32 exec_lo, exec_lo, s46
	s_wait_dscnt 0x0
	s_barrier_signal -1
	s_barrier_wait -1
	s_and_saveexec_b32 s46, s103
	s_cbranch_execz .LBB27_893
; %bb.892:                              ;   in Loop: Header=BB27_3 Depth=1
	ds_load_b64 v[48:49], v76 offset:3072
	ds_load_b64 v[98:99], v80
	s_wait_dscnt 0x0
	v_fma_f64 v[2:3], -v[48:49], v[98:99], v[2:3]
.LBB27_893:                             ;   in Loop: Header=BB27_3 Depth=1
	s_or_b32 exec_lo, exec_lo, s46
	s_barrier_signal -1
	s_barrier_wait -1
	s_and_saveexec_b32 s46, s104
; %bb.894:                              ;   in Loop: Header=BB27_3 Depth=1
	s_delay_alu instid0(VALU_DEP_1) | instskip(NEXT) | instid1(VALU_DEP_2)
	v_xor_b32_e32 v49, 0x80000000, v3
	v_mov_b32_e32 v48, v2
	ds_store_b64 v80, v[48:49]
; %bb.895:                              ;   in Loop: Header=BB27_3 Depth=1
	s_or_b32 exec_lo, exec_lo, s46
	s_wait_dscnt 0x0
	s_barrier_signal -1
	s_barrier_wait -1
	s_and_saveexec_b32 s46, vcc_hi
	s_cbranch_execz .LBB27_897
; %bb.896:                              ;   in Loop: Header=BB27_3 Depth=1
	ds_load_b64 v[48:49], v76 offset:2560
	ds_load_b64 v[98:99], v80
	s_wait_dscnt 0x0
	v_fma_f64 v[2:3], -v[48:49], v[98:99], v[2:3]
.LBB27_897:                             ;   in Loop: Header=BB27_3 Depth=1
	s_or_b32 exec_lo, exec_lo, s46
	s_barrier_signal -1
	s_barrier_wait -1
	s_and_saveexec_b32 s46, s31
; %bb.898:                              ;   in Loop: Header=BB27_3 Depth=1
	s_delay_alu instid0(VALU_DEP_1) | instskip(NEXT) | instid1(VALU_DEP_2)
	v_xor_b32_e32 v49, 0x80000000, v3
	v_mov_b32_e32 v48, v2
	ds_store_b64 v80, v[48:49]
; %bb.899:                              ;   in Loop: Header=BB27_3 Depth=1
	s_or_b32 exec_lo, exec_lo, s46
	s_wait_dscnt 0x0
	s_barrier_signal -1
	s_barrier_wait -1
	s_and_saveexec_b32 s46, s33
	s_cbranch_execz .LBB27_901
; %bb.900:                              ;   in Loop: Header=BB27_3 Depth=1
	ds_load_b64 v[48:49], v76 offset:2048
	ds_load_b64 v[98:99], v80
	s_wait_dscnt 0x0
	v_fma_f64 v[2:3], -v[48:49], v[98:99], v[2:3]
.LBB27_901:                             ;   in Loop: Header=BB27_3 Depth=1
	s_or_b32 exec_lo, exec_lo, s46
	s_barrier_signal -1
	s_barrier_wait -1
	s_and_saveexec_b32 s46, s34
; %bb.902:                              ;   in Loop: Header=BB27_3 Depth=1
	s_delay_alu instid0(VALU_DEP_1) | instskip(NEXT) | instid1(VALU_DEP_2)
	v_xor_b32_e32 v49, 0x80000000, v3
	v_mov_b32_e32 v48, v2
	ds_store_b64 v80, v[48:49]
; %bb.903:                              ;   in Loop: Header=BB27_3 Depth=1
	s_or_b32 exec_lo, exec_lo, s46
	s_wait_dscnt 0x0
	s_barrier_signal -1
	s_barrier_wait -1
	s_and_saveexec_b32 s46, s35
	;; [unrolled: 22-line block ×4, first 2 shown]
	s_cbranch_execz .LBB27_913
; %bb.912:                              ;   in Loop: Header=BB27_3 Depth=1
	ds_load_b64 v[48:49], v7 offset:512
	ds_load_b64 v[98:99], v80
	s_wait_dscnt 0x0
	v_fma_f64 v[2:3], -v[48:49], v[98:99], v[2:3]
.LBB27_913:                             ;   in Loop: Header=BB27_3 Depth=1
	s_or_b32 exec_lo, exec_lo, s46
	s_barrier_signal -1
	s_barrier_wait -1
	s_and_saveexec_b32 s46, s39
; %bb.914:                              ;   in Loop: Header=BB27_3 Depth=1
	s_delay_alu instid0(VALU_DEP_1) | instskip(NEXT) | instid1(VALU_DEP_2)
	v_xor_b32_e32 v49, 0x80000000, v3
	v_mov_b32_e32 v48, v2
	ds_store_b64 v80, v[48:49]
; %bb.915:                              ;   in Loop: Header=BB27_3 Depth=1
	s_or_b32 exec_lo, exec_lo, s46
	s_wait_dscnt 0x0
	s_barrier_signal -1
	s_barrier_wait -1
	s_barrier_signal -1
	s_barrier_wait -1
	s_and_saveexec_b32 s46, s3
; %bb.916:                              ;   in Loop: Header=BB27_3 Depth=1
	ds_store_b64 v81, v[2:3] offset:7680
; %bb.917:                              ;   in Loop: Header=BB27_3 Depth=1
	s_or_b32 exec_lo, exec_lo, s46
	s_wait_dscnt 0x0
	s_barrier_signal -1
	s_barrier_wait -1
	s_barrier_signal -1
	s_barrier_wait -1
	s_and_saveexec_b32 s46, s40
	s_cbranch_execz .LBB27_919
; %bb.918:                              ;   in Loop: Header=BB27_3 Depth=1
	ds_load_b64 v[2:3], v56 offset:4096
	s_wait_dscnt 0x0
	ds_store_b64 v58, v[2:3] offset:64
	ds_load_b64 v[2:3], v56 offset:4104
	s_wait_dscnt 0x0
	ds_store_b64 v58, v[2:3] offset:576
	ds_load_b64 v[2:3], v56 offset:4112
	s_wait_dscnt 0x0
	ds_store_b64 v58, v[2:3] offset:1088
	ds_load_b64 v[2:3], v56 offset:4120
	s_wait_dscnt 0x0
	ds_store_b64 v58, v[2:3] offset:1600
	ds_load_b64 v[2:3], v56 offset:4128
	s_wait_dscnt 0x0
	ds_store_b64 v58, v[2:3] offset:2112
	ds_load_b64 v[2:3], v56 offset:4136
	s_wait_dscnt 0x0
	ds_store_b64 v58, v[2:3] offset:2624
	ds_load_b64 v[2:3], v56 offset:4144
	s_wait_dscnt 0x0
	ds_store_b64 v58, v[2:3] offset:3136
	ds_load_b64 v[2:3], v56 offset:4152
	s_wait_dscnt 0x0
	ds_store_b64 v58, v[2:3] offset:3648
.LBB27_919:                             ;   in Loop: Header=BB27_3 Depth=1
	s_or_b32 exec_lo, exec_lo, s46
	s_wait_dscnt 0x0
	s_barrier_signal -1
	s_barrier_wait -1
	s_and_saveexec_b32 s46, s10
	s_cbranch_execz .LBB27_921
; %bb.920:                              ;   in Loop: Header=BB27_3 Depth=1
	ds_load_b64 v[2:3], v7 offset:3632
	v_mov_b32_e32 v0, v7
	ds_store_b64 v7, v[34:35] offset:3640
	s_wait_dscnt 0x1
	ds_store_b128 v7, v[0:3] offset:3120
.LBB27_921:                             ;   in Loop: Header=BB27_3 Depth=1
	s_or_b32 exec_lo, exec_lo, s46
	v_mov_b64_e32 v[2:3], 0
	s_wait_dscnt 0x0
	s_barrier_signal -1
	s_barrier_wait -1
	global_wb scope:SCOPE_DEV
	s_wait_storecnt 0x0
	global_inv scope:SCOPE_DEV
	s_and_saveexec_b32 s46, s0
	s_cbranch_execz .LBB27_925
; %bb.922:                              ;   in Loop: Header=BB27_3 Depth=1
	ds_load_b64 v[2:3], v72 offset:3104
	ds_load_b64 v[48:49], v57 offset:3632
	s_wait_dscnt 0x0
	v_fma_f64 v[2:3], v[2:3], v[48:49], 0
	s_and_saveexec_b32 s47, s11
	s_cbranch_execz .LBB27_924
; %bb.923:                              ;   in Loop: Header=BB27_3 Depth=1
	ds_load_b64 v[48:49], v58 offset:3616
	ds_load_b64 v[98:99], v7 offset:3640
	s_wait_dscnt 0x0
	v_fmac_f64_e32 v[2:3], v[48:49], v[98:99]
.LBB27_924:                             ;   in Loop: Header=BB27_3 Depth=1
	s_or_b32 exec_lo, exec_lo, s47
.LBB27_925:                             ;   in Loop: Header=BB27_3 Depth=1
	s_delay_alu instid0(SALU_CYCLE_1)
	s_or_b32 exec_lo, exec_lo, s46
	s_and_saveexec_b32 s46, s90
; %bb.926:                              ;   in Loop: Header=BB27_3 Depth=1
	s_delay_alu instid0(VALU_DEP_1) | instskip(NEXT) | instid1(VALU_DEP_2)
	v_xor_b32_e32 v49, 0x80000000, v3
	v_mov_b32_e32 v48, v2
	ds_store_b64 v73, v[48:49]
; %bb.927:                              ;   in Loop: Header=BB27_3 Depth=1
	s_or_b32 exec_lo, exec_lo, s46
	s_wait_loadcnt_dscnt 0x0
	s_barrier_signal -1
	s_barrier_wait -1
	s_and_saveexec_b32 s46, s91
	s_cbranch_execz .LBB27_929
; %bb.928:                              ;   in Loop: Header=BB27_3 Depth=1
	ds_load_b64 v[48:49], v7 offset:2592
	ds_load_b64 v[98:99], v73
	s_wait_dscnt 0x0
	v_fma_f64 v[2:3], -v[48:49], v[98:99], v[2:3]
.LBB27_929:                             ;   in Loop: Header=BB27_3 Depth=1
	s_or_b32 exec_lo, exec_lo, s46
	s_barrier_signal -1
	s_barrier_wait -1
	s_and_saveexec_b32 s46, s91
; %bb.930:                              ;   in Loop: Header=BB27_3 Depth=1
	s_delay_alu instid0(VALU_DEP_1) | instskip(NEXT) | instid1(VALU_DEP_2)
	v_xor_b32_e32 v49, 0x80000000, v3
	v_mov_b32_e32 v48, v2
	ds_store_b64 v73, v[48:49]
; %bb.931:                              ;   in Loop: Header=BB27_3 Depth=1
	s_or_b32 exec_lo, exec_lo, s46
	s_wait_dscnt 0x0
	s_barrier_signal -1
	s_barrier_wait -1
	s_barrier_signal -1
	s_barrier_wait -1
	s_and_saveexec_b32 s46, s0
; %bb.932:                              ;   in Loop: Header=BB27_3 Depth=1
	ds_store_b64 v75, v[2:3] offset:3616
; %bb.933:                              ;   in Loop: Header=BB27_3 Depth=1
	s_or_b32 exec_lo, exec_lo, s46
	s_wait_dscnt 0x0
	s_barrier_signal -1
	s_barrier_wait -1
	s_barrier_signal -1
	s_barrier_wait -1
	s_and_saveexec_b32 s46, s92
	s_cbranch_execz .LBB27_935
; %bb.934:                              ;   in Loop: Header=BB27_3 Depth=1
	ds_load_b64 v[2:3], v60 offset:3104
	s_wait_dscnt 0x0
	ds_store_b64 v58, v[2:3] offset:2096
	ds_load_b64 v[2:3], v60 offset:3112
	s_wait_dscnt 0x0
	ds_store_b64 v58, v[2:3] offset:2608
.LBB27_935:                             ;   in Loop: Header=BB27_3 Depth=1
	s_or_b32 exec_lo, exec_lo, s46
	s_wait_dscnt 0x0
	s_barrier_signal -1
	s_barrier_wait -1
	s_and_saveexec_b32 s46, s10
	s_cbranch_execz .LBB27_937
; %bb.936:                              ;   in Loop: Header=BB27_3 Depth=1
	ds_load_b64 v[2:3], v7 offset:2592
	v_mov_b32_e32 v0, v7
	ds_store_b64 v7, v[34:35] offset:2600
	s_wait_dscnt 0x1
	ds_store_b128 v7, v[0:3] offset:2080
.LBB27_937:                             ;   in Loop: Header=BB27_3 Depth=1
	s_or_b32 exec_lo, exec_lo, s46
	v_mov_b64_e32 v[2:3], 0
	s_wait_dscnt 0x0
	s_barrier_signal -1
	s_barrier_wait -1
	global_wb scope:SCOPE_DEV
	s_wait_storecnt 0x0
	global_inv scope:SCOPE_DEV
	s_and_saveexec_b32 s57, s2
	s_cbranch_execz .LBB27_943
; %bb.938:                              ;   in Loop: Header=BB27_3 Depth=1
	ds_load_b64 v[2:3], v74 offset:2048
	ds_load_b64 v[48:49], v59 offset:3616
	s_wait_dscnt 0x0
	v_fma_f64 v[2:3], v[2:3], v[48:49], 0
	s_and_saveexec_b32 s46, s12
	s_cbranch_execnz .LBB27_1115
; %bb.939:                              ;   in Loop: Header=BB27_3 Depth=1
	s_or_b32 exec_lo, exec_lo, s46
	s_and_saveexec_b32 s46, s13
	s_cbranch_execnz .LBB27_1116
.LBB27_940:                             ;   in Loop: Header=BB27_3 Depth=1
	s_or_b32 exec_lo, exec_lo, s46
	s_and_saveexec_b32 s46, s0
	s_cbranch_execz .LBB27_942
.LBB27_941:                             ;   in Loop: Header=BB27_3 Depth=1
	ds_load_b64 v[48:49], v62 offset:3584
	ds_load_b64 v[98:99], v7 offset:3640
	s_wait_dscnt 0x0
	v_fmac_f64_e32 v[2:3], v[48:49], v[98:99]
.LBB27_942:                             ;   in Loop: Header=BB27_3 Depth=1
	s_or_b32 exec_lo, exec_lo, s46
.LBB27_943:                             ;   in Loop: Header=BB27_3 Depth=1
	s_delay_alu instid0(SALU_CYCLE_1)
	s_or_b32 exec_lo, exec_lo, s57
	s_and_saveexec_b32 s46, s93
; %bb.944:                              ;   in Loop: Header=BB27_3 Depth=1
	s_delay_alu instid0(VALU_DEP_1) | instskip(NEXT) | instid1(VALU_DEP_2)
	v_xor_b32_e32 v49, 0x80000000, v3
	v_mov_b32_e32 v48, v2
	ds_store_b64 v77, v[48:49]
; %bb.945:                              ;   in Loop: Header=BB27_3 Depth=1
	s_or_b32 exec_lo, exec_lo, s46
	s_wait_loadcnt_dscnt 0x0
	s_barrier_signal -1
	s_barrier_wait -1
	s_and_saveexec_b32 s46, s94
	s_cbranch_execz .LBB27_947
; %bb.946:                              ;   in Loop: Header=BB27_3 Depth=1
	ds_load_b64 v[48:49], v74 offset:1536
	ds_load_b64 v[98:99], v77
	s_wait_dscnt 0x0
	v_fma_f64 v[2:3], -v[48:49], v[98:99], v[2:3]
.LBB27_947:                             ;   in Loop: Header=BB27_3 Depth=1
	s_or_b32 exec_lo, exec_lo, s46
	s_barrier_signal -1
	s_barrier_wait -1
	s_and_saveexec_b32 s46, s95
; %bb.948:                              ;   in Loop: Header=BB27_3 Depth=1
	s_delay_alu instid0(VALU_DEP_1) | instskip(NEXT) | instid1(VALU_DEP_2)
	v_xor_b32_e32 v49, 0x80000000, v3
	v_mov_b32_e32 v48, v2
	ds_store_b64 v77, v[48:49]
; %bb.949:                              ;   in Loop: Header=BB27_3 Depth=1
	s_or_b32 exec_lo, exec_lo, s46
	s_wait_dscnt 0x0
	s_barrier_signal -1
	s_barrier_wait -1
	s_and_saveexec_b32 s46, s96
	s_cbranch_execz .LBB27_951
; %bb.950:                              ;   in Loop: Header=BB27_3 Depth=1
	ds_load_b64 v[48:49], v74 offset:1024
	ds_load_b64 v[98:99], v77
	s_wait_dscnt 0x0
	v_fma_f64 v[2:3], -v[48:49], v[98:99], v[2:3]
.LBB27_951:                             ;   in Loop: Header=BB27_3 Depth=1
	s_or_b32 exec_lo, exec_lo, s46
	s_barrier_signal -1
	s_barrier_wait -1
	s_and_saveexec_b32 s46, s97
; %bb.952:                              ;   in Loop: Header=BB27_3 Depth=1
	s_delay_alu instid0(VALU_DEP_1) | instskip(NEXT) | instid1(VALU_DEP_2)
	v_xor_b32_e32 v49, 0x80000000, v3
	v_mov_b32_e32 v48, v2
	ds_store_b64 v77, v[48:49]
; %bb.953:                              ;   in Loop: Header=BB27_3 Depth=1
	s_or_b32 exec_lo, exec_lo, s46
	s_wait_dscnt 0x0
	;; [unrolled: 22-line block ×3, first 2 shown]
	s_barrier_signal -1
	s_barrier_wait -1
	s_barrier_signal -1
	s_barrier_wait -1
	s_and_saveexec_b32 s46, s2
; %bb.958:                              ;   in Loop: Header=BB27_3 Depth=1
	ds_store_b64 v79, v[2:3] offset:3584
; %bb.959:                              ;   in Loop: Header=BB27_3 Depth=1
	s_or_b32 exec_lo, exec_lo, s46
	s_wait_dscnt 0x0
	s_barrier_signal -1
	s_barrier_wait -1
	s_barrier_signal -1
	s_barrier_wait -1
	s_and_saveexec_b32 s46, s99
	s_cbranch_execz .LBB27_961
; %bb.960:                              ;   in Loop: Header=BB27_3 Depth=1
	ds_load_b64 v[2:3], v67 offset:2048
	s_wait_dscnt 0x0
	ds_store_b64 v68, v[2:3] offset:32
	ds_load_b64 v[2:3], v67 offset:2056
	s_wait_dscnt 0x0
	ds_store_b64 v68, v[2:3] offset:544
	;; [unrolled: 3-line block ×4, first 2 shown]
.LBB27_961:                             ;   in Loop: Header=BB27_3 Depth=1
	s_or_b32 exec_lo, exec_lo, s46
	s_wait_dscnt 0x0
	s_barrier_signal -1
	s_barrier_wait -1
	s_and_saveexec_b32 s46, s10
	s_cbranch_execz .LBB27_963
; %bb.962:                              ;   in Loop: Header=BB27_3 Depth=1
	ds_load_b64 v[2:3], v7 offset:1552
	v_mov_b32_e32 v0, v7
	ds_store_b64 v7, v[34:35] offset:1560
	s_wait_dscnt 0x1
	ds_store_b128 v7, v[0:3] offset:1040
.LBB27_963:                             ;   in Loop: Header=BB27_3 Depth=1
	s_or_b32 exec_lo, exec_lo, s46
	v_mov_b64_e32 v[2:3], 0
	s_wait_dscnt 0x0
	s_barrier_signal -1
	s_barrier_wait -1
	global_wb scope:SCOPE_DEV
	s_wait_storecnt 0x0
	global_inv scope:SCOPE_DEV
	s_and_saveexec_b32 s46, s0
	s_cbranch_execz .LBB27_967
; %bb.964:                              ;   in Loop: Header=BB27_3 Depth=1
	ds_load_b64 v[2:3], v72 offset:1024
	ds_load_b64 v[48:49], v57 offset:1552
	s_wait_dscnt 0x0
	v_fma_f64 v[2:3], v[2:3], v[48:49], 0
	s_and_saveexec_b32 s47, s11
	s_cbranch_execz .LBB27_966
; %bb.965:                              ;   in Loop: Header=BB27_3 Depth=1
	ds_load_b64 v[48:49], v68 offset:1536
	ds_load_b64 v[98:99], v7 offset:1560
	s_wait_dscnt 0x0
	v_fmac_f64_e32 v[2:3], v[48:49], v[98:99]
.LBB27_966:                             ;   in Loop: Header=BB27_3 Depth=1
	s_or_b32 exec_lo, exec_lo, s47
.LBB27_967:                             ;   in Loop: Header=BB27_3 Depth=1
	s_delay_alu instid0(SALU_CYCLE_1)
	s_or_b32 exec_lo, exec_lo, s46
	s_and_saveexec_b32 s46, s90
; %bb.968:                              ;   in Loop: Header=BB27_3 Depth=1
	s_delay_alu instid0(VALU_DEP_1) | instskip(NEXT) | instid1(VALU_DEP_2)
	v_xor_b32_e32 v49, 0x80000000, v3
	v_mov_b32_e32 v48, v2
	ds_store_b64 v73, v[48:49]
; %bb.969:                              ;   in Loop: Header=BB27_3 Depth=1
	s_or_b32 exec_lo, exec_lo, s46
	s_wait_loadcnt_dscnt 0x0
	s_barrier_signal -1
	s_barrier_wait -1
	s_and_saveexec_b32 s46, s91
	s_cbranch_execz .LBB27_971
; %bb.970:                              ;   in Loop: Header=BB27_3 Depth=1
	ds_load_b64 v[48:49], v7 offset:512
	ds_load_b64 v[98:99], v73
	s_wait_dscnt 0x0
	v_fma_f64 v[2:3], -v[48:49], v[98:99], v[2:3]
.LBB27_971:                             ;   in Loop: Header=BB27_3 Depth=1
	s_or_b32 exec_lo, exec_lo, s46
	s_barrier_signal -1
	s_barrier_wait -1
	s_and_saveexec_b32 s46, s91
; %bb.972:                              ;   in Loop: Header=BB27_3 Depth=1
	s_delay_alu instid0(VALU_DEP_1) | instskip(NEXT) | instid1(VALU_DEP_2)
	v_xor_b32_e32 v49, 0x80000000, v3
	v_mov_b32_e32 v48, v2
	ds_store_b64 v73, v[48:49]
; %bb.973:                              ;   in Loop: Header=BB27_3 Depth=1
	s_or_b32 exec_lo, exec_lo, s46
	s_wait_dscnt 0x0
	s_barrier_signal -1
	s_barrier_wait -1
	s_barrier_signal -1
	s_barrier_wait -1
	s_and_saveexec_b32 s46, s0
; %bb.974:                              ;   in Loop: Header=BB27_3 Depth=1
	ds_store_b64 v75, v[2:3] offset:1536
; %bb.975:                              ;   in Loop: Header=BB27_3 Depth=1
	s_or_b32 exec_lo, exec_lo, s46
	s_wait_dscnt 0x0
	s_barrier_signal -1
	s_barrier_wait -1
	s_barrier_signal -1
	s_barrier_wait -1
	s_and_saveexec_b32 s46, s92
	s_cbranch_execz .LBB27_977
; %bb.976:                              ;   in Loop: Header=BB27_3 Depth=1
	ds_load_b64 v[2:3], v69 offset:1024
	s_wait_dscnt 0x0
	ds_store_b64 v68, v[2:3] offset:16
	ds_load_b64 v[2:3], v69 offset:1032
	s_wait_dscnt 0x0
	ds_store_b64 v68, v[2:3] offset:528
.LBB27_977:                             ;   in Loop: Header=BB27_3 Depth=1
	s_or_b32 exec_lo, exec_lo, s46
	s_wait_dscnt 0x0
	s_barrier_signal -1
	s_barrier_wait -1
	s_and_saveexec_b32 s46, s10
	s_cbranch_execz .LBB27_979
; %bb.978:                              ;   in Loop: Header=BB27_3 Depth=1
	ds_load_b64 v[2:3], v7 offset:512
	v_mov_b32_e32 v0, v7
	ds_store_b64 v7, v[34:35] offset:520
	s_wait_dscnt 0x1
	ds_store_b128 v7, v[0:3]
.LBB27_979:                             ;   in Loop: Header=BB27_3 Depth=1
	s_or_b32 exec_lo, exec_lo, s46
.LBB27_980:                             ;   in Loop: Header=BB27_3 Depth=1
	v_mov_b64_e32 v[2:3], 0
	s_mul_u64 s[46:47], s[72:73], s[76:77]
	s_wait_dscnt 0x0
	s_lshl_b64 s[46:47], s[46:47], 3
	s_barrier_signal -1
	s_add_nc_u64 s[80:81], s[66:67], s[46:47]
	s_barrier_wait -1
	s_and_saveexec_b32 s46, s44
	s_cbranch_execz .LBB27_982
; %bb.981:                              ;   in Loop: Header=BB27_3 Depth=1
	v_lshl_add_u64 v[2:3], v[16:17], 3, s[80:81]
	global_load_b64 v[2:3], v[2:3], off
	s_wait_loadcnt 0x0
	v_mul_f64_e64 v[2:3], v[2:3], -v[46:47]
.LBB27_982:                             ;   in Loop: Header=BB27_3 Depth=1
	s_or_b32 exec_lo, exec_lo, s46
	s_delay_alu instid0(SALU_CYCLE_1)
	s_and_not1_b32 vcc_lo, exec_lo, s45
	s_cbranch_vccnz .LBB27_1008
; %bb.983:                              ;   in Loop: Header=BB27_3 Depth=1
	v_mov_b32_e32 v0, -1
	s_lshl_b64 s[46:47], s[76:77], 2
	s_mov_b32 s57, 0
	s_add_nc_u64 s[82:83], s[74:75], s[46:47]
	s_branch .LBB27_986
.LBB27_984:                             ;   in Loop: Header=BB27_986 Depth=2
	s_wait_xcnt 0x0
	ds_load_b64 v[46:47], v70 offset:384
	s_wait_loadcnt_dscnt 0x0
	v_fmac_f64_e32 v[2:3], v[48:49], v[46:47]
.LBB27_985:                             ;   in Loop: Header=BB27_986 Depth=2
	s_or_b32 exec_lo, exec_lo, s46
	s_add_co_i32 s57, s57, 1
	s_delay_alu instid0(SALU_CYCLE_1)
	s_cmp_eq_u32 s57, s86
	s_cbranch_scc1 .LBB27_1008
.LBB27_986:                             ;   Parent Loop BB27_3 Depth=1
                                        ; =>  This Loop Header: Depth=2
                                        ;       Child Loop BB27_988 Depth 3
	v_cmp_gt_i32_e32 vcc_lo, s57, v0
	s_and_b32 s47, s55, vcc_lo
	s_delay_alu instid0(SALU_CYCLE_1)
	s_and_saveexec_b32 s46, s47
	s_cbranch_execz .LBB27_989
; %bb.987:                              ;   in Loop: Header=BB27_986 Depth=2
	global_load_b32 v0, v7, s[82:83]
	s_wait_loadcnt 0x0
	v_cmp_le_i32_e32 vcc_lo, s57, v0
	s_cbranch_vccnz .LBB27_989
.LBB27_988:                             ;   Parent Loop BB27_3 Depth=1
                                        ;     Parent Loop BB27_986 Depth=2
                                        ; =>    This Inner Loop Header: Depth=3
	global_wb scope:SCOPE_DEV
	s_wait_storecnt 0x0
	global_inv scope:SCOPE_DEV
	global_load_b32 v0, v7, s[82:83]
	s_wait_loadcnt 0x0
	v_cmp_gt_i32_e32 vcc_lo, s57, v0
	s_cbranch_vccnz .LBB27_988
.LBB27_989:                             ;   in Loop: Header=BB27_986 Depth=2
	s_or_b32 exec_lo, exec_lo, s46
	s_lshl_b32 s61, s57, 6
	global_wb scope:SCOPE_DEV
	s_wait_storecnt 0x0
	global_inv scope:SCOPE_DEV
	s_wait_loadcnt 0x0
	s_barrier_signal -1
	s_barrier_wait -1
	s_and_saveexec_b32 s46, s56
	s_cbranch_execz .LBB27_993
; %bb.990:                              ;   in Loop: Header=BB27_986 Depth=2
	v_mov_b64_e32 v[46:47], 0
	v_or_b32_e32 v6, s61, v10
	s_mov_b32 s47, exec_lo
	s_delay_alu instid0(VALU_DEP_1)
	v_cmpx_gt_i32_e64 s85, v6
	s_cbranch_execz .LBB27_992
; %bb.991:                              ;   in Loop: Header=BB27_986 Depth=2
	v_mul_u64_e32 v[46:47], s[70:71], v[6:7]
	s_delay_alu instid0(VALU_DEP_1)
	v_lshl_add_u64 v[46:47], v[46:47], 3, s[80:81]
	global_load_b64 v[46:47], v[46:47], off
.LBB27_992:                             ;   in Loop: Header=BB27_986 Depth=2
	s_wait_xcnt 0x0
	s_or_b32 exec_lo, exec_lo, s47
	s_wait_loadcnt 0x0
	ds_store_b64 v71, v[46:47]
.LBB27_993:                             ;   in Loop: Header=BB27_986 Depth=2
	s_or_b32 exec_lo, exec_lo, s46
	v_add_nc_u32_e32 v6, s61, v4
	v_cmp_ne_u32_e32 vcc_lo, s57, v9
	s_wait_dscnt 0x0
	s_barrier_signal -1
	s_barrier_wait -1
	v_cmp_gt_i32_e64 s61, s85, v6
	v_lshl_add_u64 v[46:47], v[6:7], 3, v[44:45]
	v_cndmask_b32_e64 v29, 0, 1, vcc_lo
	s_and_b32 s47, s61, s5
	s_delay_alu instid0(SALU_CYCLE_1)
	s_and_saveexec_b32 s46, s47
	s_cbranch_execz .LBB27_997
; %bb.994:                              ;   in Loop: Header=BB27_986 Depth=2
	v_mov_b64_e32 v[48:49], v[36:37]
	s_and_not1_b32 vcc_lo, exec_lo, vcc_lo
	s_cbranch_vccnz .LBB27_996
; %bb.995:                              ;   in Loop: Header=BB27_986 Depth=2
	global_load_b64 v[48:49], v[46:47], off
.LBB27_996:                             ;   in Loop: Header=BB27_986 Depth=2
	ds_load_b64 v[98:99], v70
	s_wait_loadcnt_dscnt 0x0
	v_fmac_f64_e32 v[2:3], v[48:49], v[98:99]
.LBB27_997:                             ;   in Loop: Header=BB27_986 Depth=2
	s_or_b32 exec_lo, exec_lo, s46
	v_add_nc_u32_e32 v48, 16, v6
	s_delay_alu instid0(VALU_DEP_1) | instskip(SKIP_1) | instid1(SALU_CYCLE_1)
	v_cmp_gt_i32_e32 vcc_lo, s85, v48
	s_and_b32 s47, vcc_lo, s5
	s_and_saveexec_b32 s46, s47
	s_cbranch_execz .LBB27_1001
; %bb.998:                              ;   in Loop: Header=BB27_986 Depth=2
	v_cmp_ne_u32_e32 vcc_lo, 1, v29
	v_mov_b64_e32 v[48:49], v[38:39]
	s_cbranch_vccnz .LBB27_1000
; %bb.999:                              ;   in Loop: Header=BB27_986 Depth=2
	global_load_b64 v[48:49], v[46:47], off offset:128
.LBB27_1000:                            ;   in Loop: Header=BB27_986 Depth=2
	ds_load_b64 v[98:99], v70 offset:128
	s_wait_loadcnt_dscnt 0x0
	v_fmac_f64_e32 v[2:3], v[48:49], v[98:99]
.LBB27_1001:                            ;   in Loop: Header=BB27_986 Depth=2
	s_or_b32 exec_lo, exec_lo, s46
	v_add_nc_u32_e32 v48, 32, v6
	s_delay_alu instid0(VALU_DEP_1) | instskip(SKIP_1) | instid1(SALU_CYCLE_1)
	v_cmp_gt_i32_e32 vcc_lo, s85, v48
	s_and_b32 s47, vcc_lo, s5
	s_and_saveexec_b32 s46, s47
	s_cbranch_execz .LBB27_1005
; %bb.1002:                             ;   in Loop: Header=BB27_986 Depth=2
	v_cmp_ne_u32_e32 vcc_lo, 1, v29
	v_mov_b64_e32 v[48:49], v[40:41]
	s_cbranch_vccnz .LBB27_1004
; %bb.1003:                             ;   in Loop: Header=BB27_986 Depth=2
	global_load_b64 v[48:49], v[46:47], off offset:256
.LBB27_1004:                            ;   in Loop: Header=BB27_986 Depth=2
	ds_load_b64 v[98:99], v70 offset:256
	s_wait_loadcnt_dscnt 0x0
	v_fmac_f64_e32 v[2:3], v[48:49], v[98:99]
.LBB27_1005:                            ;   in Loop: Header=BB27_986 Depth=2
	s_or_b32 exec_lo, exec_lo, s46
	v_add_nc_u32_e32 v6, 48, v6
	s_delay_alu instid0(VALU_DEP_1) | instskip(SKIP_1) | instid1(SALU_CYCLE_1)
	v_cmp_gt_i32_e32 vcc_lo, s85, v6
	s_and_b32 s47, vcc_lo, s5
	s_and_saveexec_b32 s46, s47
	s_cbranch_execz .LBB27_985
; %bb.1006:                             ;   in Loop: Header=BB27_986 Depth=2
	v_cmp_ne_u32_e32 vcc_lo, 1, v29
	v_mov_b64_e32 v[48:49], v[42:43]
	s_cbranch_vccnz .LBB27_984
; %bb.1007:                             ;   in Loop: Header=BB27_986 Depth=2
	global_load_b64 v[48:49], v[46:47], off offset:384
	s_branch .LBB27_984
.LBB27_1008:                            ;   in Loop: Header=BB27_3 Depth=1
	ds_store_b64 v5, v[2:3]
	s_wait_dscnt 0x0
	s_barrier_signal -1
	s_barrier_wait -1
	s_and_saveexec_b32 s57, s1
	s_cbranch_execz .LBB27_1010
; %bb.1009:                             ;   in Loop: Header=BB27_3 Depth=1
	ds_load_2addr_stride64_b64 v[44:47], v90 offset0:1 offset1:2
	ds_load_2addr_stride64_b64 v[98:101], v90 offset0:3 offset1:4
	s_wait_dscnt 0x1
	v_add_f64_e32 v[2:3], v[2:3], v[44:45]
	s_delay_alu instid0(VALU_DEP_1) | instskip(SKIP_1) | instid1(VALU_DEP_1)
	v_add_f64_e32 v[2:3], v[2:3], v[46:47]
	s_wait_dscnt 0x0
	v_add_f64_e32 v[2:3], v[2:3], v[98:99]
	s_delay_alu instid0(VALU_DEP_1) | instskip(SKIP_4) | instid1(VALU_DEP_1)
	v_add_f64_e32 v[2:3], v[2:3], v[100:101]
	ds_load_2addr_stride64_b64 v[44:47], v90 offset0:5 offset1:6
	ds_load_2addr_stride64_b64 v[98:101], v90 offset0:7 offset1:8
	s_wait_dscnt 0x1
	v_add_f64_e32 v[2:3], v[2:3], v[44:45]
	v_add_f64_e32 v[2:3], v[2:3], v[46:47]
	s_wait_dscnt 0x0
	s_delay_alu instid0(VALU_DEP_1) | instskip(NEXT) | instid1(VALU_DEP_1)
	v_add_f64_e32 v[2:3], v[2:3], v[98:99]
	v_add_f64_e32 v[2:3], v[2:3], v[100:101]
	ds_load_2addr_stride64_b64 v[44:47], v90 offset0:9 offset1:10
	ds_load_2addr_stride64_b64 v[98:101], v90 offset0:11 offset1:12
	s_wait_dscnt 0x1
	v_add_f64_e32 v[2:3], v[2:3], v[44:45]
	s_delay_alu instid0(VALU_DEP_1) | instskip(SKIP_4) | instid1(VALU_DEP_1)
	v_add_f64_e32 v[2:3], v[2:3], v[46:47]
	ds_load_2addr_stride64_b64 v[44:47], v90 offset0:13 offset1:14
	ds_load_b64 v[48:49], v90 offset:7680
	s_wait_dscnt 0x2
	v_add_f64_e32 v[2:3], v[2:3], v[98:99]
	v_add_f64_e32 v[2:3], v[2:3], v[100:101]
	s_wait_dscnt 0x1
	s_delay_alu instid0(VALU_DEP_1) | instskip(NEXT) | instid1(VALU_DEP_1)
	v_add_f64_e32 v[2:3], v[2:3], v[44:45]
	v_add_f64_e32 v[2:3], v[2:3], v[46:47]
	s_wait_dscnt 0x0
	s_delay_alu instid0(VALU_DEP_1) | instskip(NEXT) | instid1(VALU_DEP_1)
	v_add_f64_e32 v[2:3], v[2:3], v[48:49]
	v_xor_b32_e32 v0, 0x80000000, v3
	s_delay_alu instid0(VALU_DEP_2) | instskip(NEXT) | instid1(VALU_DEP_2)
	v_cndmask_b32_e64 v2, v2, 0, s42
	v_cndmask_b32_e64 v3, v0, 0, s42
.LBB27_1010:                            ;   in Loop: Header=BB27_3 Depth=1
	s_or_b32 exec_lo, exec_lo, s57
	s_delay_alu instid0(SALU_CYCLE_1)
	s_and_not1_b32 vcc_lo, exec_lo, s89
	s_cbranch_vccnz .LBB27_1020
; %bb.1011:                             ;   in Loop: Header=BB27_3 Depth=1
	s_and_saveexec_b32 s46, s1
; %bb.1012:                             ;   in Loop: Header=BB27_3 Depth=1
	ds_store_b64 v93, v[2:3]
; %bb.1013:                             ;   in Loop: Header=BB27_3 Depth=1
	s_or_b32 exec_lo, exec_lo, s46
	v_mov_b64_e32 v[44:45], 0
	s_wait_dscnt 0x0
	s_barrier_signal -1
	s_barrier_wait -1
	s_and_saveexec_b32 s46, s6
	s_cbranch_execnz .LBB27_1059
; %bb.1014:                             ;   in Loop: Header=BB27_3 Depth=1
	s_or_b32 exec_lo, exec_lo, s46
	s_and_saveexec_b32 s46, s7
	s_cbranch_execnz .LBB27_1060
.LBB27_1015:                            ;   in Loop: Header=BB27_3 Depth=1
	s_or_b32 exec_lo, exec_lo, s46
	s_and_saveexec_b32 s46, s8
	s_cbranch_execnz .LBB27_1061
.LBB27_1016:                            ;   in Loop: Header=BB27_3 Depth=1
	s_or_b32 exec_lo, exec_lo, s46
	s_and_saveexec_b32 s46, s9
	s_cbranch_execz .LBB27_1018
.LBB27_1017:                            ;   in Loop: Header=BB27_3 Depth=1
	ds_load_b64 v[46:47], v92 offset:24576
	ds_load_b64 v[48:49], v70 offset:384
	s_wait_dscnt 0x0
	v_fmac_f64_e32 v[44:45], v[46:47], v[48:49]
.LBB27_1018:                            ;   in Loop: Header=BB27_3 Depth=1
	s_or_b32 exec_lo, exec_lo, s46
	s_mov_b32 s57, 0
	s_mov_b32 s61, 0
	ds_store_b64 v5, v[44:45]
	s_wait_dscnt 0x0
	s_barrier_signal -1
	s_barrier_wait -1
                                        ; implicit-def: $vgpr46_vgpr47
	s_and_saveexec_b32 s82, s1
	s_cbranch_execz .LBB27_1062
; %bb.1019:                             ;   in Loop: Header=BB27_3 Depth=1
	ds_load_2addr_stride64_b64 v[46:49], v90 offset0:1 offset1:2
	ds_load_2addr_stride64_b64 v[98:101], v90 offset0:3 offset1:4
	s_mov_b32 s61, exec_lo
	s_wait_dscnt 0x1
	v_add_f64_e32 v[44:45], v[44:45], v[46:47]
	s_delay_alu instid0(VALU_DEP_1) | instskip(SKIP_1) | instid1(VALU_DEP_1)
	v_add_f64_e32 v[44:45], v[48:49], v[44:45]
	s_wait_dscnt 0x0
	v_add_f64_e32 v[44:45], v[98:99], v[44:45]
	s_delay_alu instid0(VALU_DEP_1) | instskip(SKIP_4) | instid1(VALU_DEP_1)
	v_add_f64_e32 v[48:49], v[100:101], v[44:45]
	ds_load_2addr_stride64_b64 v[44:47], v90 offset0:5 offset1:6
	ds_load_2addr_stride64_b64 v[98:101], v90 offset0:7 offset1:8
	s_wait_dscnt 0x1
	v_add_f64_e32 v[44:45], v[44:45], v[48:49]
	v_add_f64_e32 v[44:45], v[46:47], v[44:45]
	s_wait_dscnt 0x0
	s_delay_alu instid0(VALU_DEP_1) | instskip(NEXT) | instid1(VALU_DEP_1)
	v_add_f64_e32 v[44:45], v[98:99], v[44:45]
	v_add_f64_e32 v[48:49], v[100:101], v[44:45]
	ds_load_2addr_stride64_b64 v[44:47], v90 offset0:9 offset1:10
	ds_load_2addr_stride64_b64 v[98:101], v90 offset0:11 offset1:12
	s_wait_dscnt 0x1
	v_add_f64_e32 v[44:45], v[44:45], v[48:49]
	s_delay_alu instid0(VALU_DEP_1) | instskip(SKIP_1) | instid1(VALU_DEP_1)
	v_add_f64_e32 v[44:45], v[46:47], v[44:45]
	s_wait_dscnt 0x0
	v_add_f64_e32 v[44:45], v[98:99], v[44:45]
	s_delay_alu instid0(VALU_DEP_1) | instskip(SKIP_4) | instid1(VALU_DEP_1)
	v_add_f64_e32 v[48:49], v[100:101], v[44:45]
	ds_load_2addr_stride64_b64 v[44:47], v90 offset0:13 offset1:14
	ds_load_b64 v[98:99], v90 offset:7680
	s_wait_dscnt 0x1
	v_add_f64_e32 v[44:45], v[44:45], v[48:49]
	v_add_f64_e32 v[44:45], v[46:47], v[44:45]
	s_wait_dscnt 0x0
	s_delay_alu instid0(VALU_DEP_1) | instskip(SKIP_1) | instid1(SALU_CYCLE_1)
	v_add_f64_e32 v[46:47], v[98:99], v[44:45]
	s_or_b32 exec_lo, exec_lo, s82
	s_and_b32 vcc_lo, exec_lo, s57
	s_cbranch_vccnz .LBB27_1021
	s_branch .LBB27_1063
.LBB27_1020:                            ;   in Loop: Header=BB27_3 Depth=1
	s_mov_b32 s61, 0
                                        ; implicit-def: $vgpr46_vgpr47
	s_cbranch_execz .LBB27_1063
.LBB27_1021:                            ;   in Loop: Header=BB27_3 Depth=1
	v_dual_mov_b32 v0, v8 :: v_dual_mov_b32 v6, v95
	s_mov_b32 s57, 0
	s_branch .LBB27_1023
.LBB27_1022:                            ;   in Loop: Header=BB27_1023 Depth=2
	s_or_b32 exec_lo, exec_lo, s46
	v_add_nc_u32_e32 v6, 0x800, v6
	v_add_nc_u32_e32 v0, -4, v0
	s_add_co_i32 s57, s57, 4
	s_delay_alu instid0(SALU_CYCLE_1)
	s_cmp_lg_u32 s57, 64
	s_barrier_signal -1
	s_barrier_wait -1
	s_cbranch_scc0 .LBB27_1039
.LBB27_1023:                            ;   Parent Loop BB27_3 Depth=1
                                        ; =>  This Inner Loop Header: Depth=2
	s_delay_alu instid0(VALU_DEP_1) | instskip(SKIP_1) | instid1(SALU_CYCLE_1)
	v_cmp_eq_u32_e32 vcc_lo, 0, v0
	s_and_b32 s47, s1, vcc_lo
	s_and_saveexec_b32 s46, s47
; %bb.1024:                             ;   in Loop: Header=BB27_1023 Depth=2
	ds_store_b64 v7, v[2:3] offset:41472
; %bb.1025:                             ;   in Loop: Header=BB27_1023 Depth=2
	s_or_b32 exec_lo, exec_lo, s46
	v_cmp_lt_u32_e32 vcc_lo, s57, v8
	s_wait_dscnt 0x0
	s_barrier_signal -1
	s_barrier_wait -1
	s_and_b32 s47, s1, vcc_lo
	s_delay_alu instid0(SALU_CYCLE_1)
	s_and_saveexec_b32 s46, s47
	s_cbranch_execz .LBB27_1027
; %bb.1026:                             ;   in Loop: Header=BB27_1023 Depth=2
	ds_load_b64 v[44:45], v6
	ds_load_b64 v[46:47], v7 offset:41472
	s_wait_dscnt 0x0
	v_fmac_f64_e32 v[2:3], v[44:45], v[46:47]
.LBB27_1027:                            ;   in Loop: Header=BB27_1023 Depth=2
	s_or_b32 exec_lo, exec_lo, s46
	s_or_b32 s46, s57, 1
	s_delay_alu instid0(SALU_CYCLE_1) | instskip(SKIP_3) | instid1(SALU_CYCLE_1)
	v_cmp_eq_u32_e32 vcc_lo, s46, v8
	s_barrier_signal -1
	s_barrier_wait -1
	s_and_b32 s82, s1, vcc_lo
	s_and_saveexec_b32 s47, s82
; %bb.1028:                             ;   in Loop: Header=BB27_1023 Depth=2
	ds_store_b64 v7, v[2:3] offset:41472
; %bb.1029:                             ;   in Loop: Header=BB27_1023 Depth=2
	s_or_b32 exec_lo, exec_lo, s47
	v_cmp_lt_u32_e32 vcc_lo, s46, v8
	s_wait_dscnt 0x0
	s_barrier_signal -1
	s_barrier_wait -1
	s_and_b32 s47, s1, vcc_lo
	s_delay_alu instid0(SALU_CYCLE_1)
	s_and_saveexec_b32 s46, s47
	s_cbranch_execz .LBB27_1031
; %bb.1030:                             ;   in Loop: Header=BB27_1023 Depth=2
	ds_load_b64 v[44:45], v6 offset:512
	ds_load_b64 v[46:47], v7 offset:41472
	s_wait_dscnt 0x0
	v_fmac_f64_e32 v[2:3], v[44:45], v[46:47]
.LBB27_1031:                            ;   in Loop: Header=BB27_1023 Depth=2
	s_or_b32 exec_lo, exec_lo, s46
	s_or_b32 s46, s57, 2
	s_delay_alu instid0(SALU_CYCLE_1) | instskip(SKIP_3) | instid1(SALU_CYCLE_1)
	v_cmp_eq_u32_e32 vcc_lo, s46, v8
	s_barrier_signal -1
	s_barrier_wait -1
	s_and_b32 s82, s1, vcc_lo
	s_and_saveexec_b32 s47, s82
; %bb.1032:                             ;   in Loop: Header=BB27_1023 Depth=2
	ds_store_b64 v7, v[2:3] offset:41472
; %bb.1033:                             ;   in Loop: Header=BB27_1023 Depth=2
	s_or_b32 exec_lo, exec_lo, s47
	v_cmp_lt_u32_e32 vcc_lo, s46, v8
	s_wait_dscnt 0x0
	s_barrier_signal -1
	s_barrier_wait -1
	s_and_b32 s47, s1, vcc_lo
	s_delay_alu instid0(SALU_CYCLE_1)
	s_and_saveexec_b32 s46, s47
	s_cbranch_execz .LBB27_1035
; %bb.1034:                             ;   in Loop: Header=BB27_1023 Depth=2
	ds_load_b64 v[44:45], v6 offset:1024
	ds_load_b64 v[46:47], v7 offset:41472
	s_wait_dscnt 0x0
	v_fmac_f64_e32 v[2:3], v[44:45], v[46:47]
.LBB27_1035:                            ;   in Loop: Header=BB27_1023 Depth=2
	s_or_b32 exec_lo, exec_lo, s46
	s_or_b32 s46, s57, 3
	s_delay_alu instid0(SALU_CYCLE_1) | instskip(SKIP_3) | instid1(SALU_CYCLE_1)
	v_cmp_eq_u32_e32 vcc_lo, s46, v8
	s_barrier_signal -1
	s_barrier_wait -1
	s_and_b32 s82, s1, vcc_lo
	s_and_saveexec_b32 s47, s82
; %bb.1036:                             ;   in Loop: Header=BB27_1023 Depth=2
	ds_store_b64 v7, v[2:3] offset:41472
; %bb.1037:                             ;   in Loop: Header=BB27_1023 Depth=2
	s_or_b32 exec_lo, exec_lo, s47
	v_cmp_lt_u32_e32 vcc_lo, s46, v8
	s_wait_dscnt 0x0
	s_barrier_signal -1
	s_barrier_wait -1
	s_and_b32 s47, s1, vcc_lo
	s_delay_alu instid0(SALU_CYCLE_1)
	s_and_saveexec_b32 s46, s47
	s_cbranch_execz .LBB27_1022
; %bb.1038:                             ;   in Loop: Header=BB27_1023 Depth=2
	ds_load_b64 v[44:45], v6 offset:1536
	ds_load_b64 v[46:47], v7 offset:41472
	s_wait_dscnt 0x0
	v_fmac_f64_e32 v[2:3], v[44:45], v[46:47]
	s_branch .LBB27_1022
.LBB27_1039:                            ;   in Loop: Header=BB27_3 Depth=1
	s_and_b32 vcc_lo, exec_lo, s88
	s_mov_b32 s46, -1
	s_cbranch_vccz .LBB27_1041
; %bb.1040:                             ;   in Loop: Header=BB27_3 Depth=1
	s_and_not1_b32 s47, s61, exec_lo
	s_and_b32 s57, s1, exec_lo
	s_mov_b32 s46, 0
	s_or_b32 s61, s47, s57
.LBB27_1041:                            ;   in Loop: Header=BB27_3 Depth=1
	s_and_not1_b32 vcc_lo, exec_lo, s46
	s_cbranch_vccnz .LBB27_1043
; %bb.1042:                             ;   in Loop: Header=BB27_3 Depth=1
	v_readlane_b32 s47, v103, 10
	s_and_not1_b32 s46, s61, exec_lo
	s_and_b32 s47, s47, exec_lo
	s_delay_alu instid0(SALU_CYCLE_1)
	s_or_b32 s61, s46, s47
.LBB27_1043:                            ;   in Loop: Header=BB27_3 Depth=1
	v_mov_b64_e32 v[44:45], v[30:31]
	s_and_saveexec_b32 s46, s61
	s_cbranch_execnz .LBB27_1064
	s_branch .LBB27_1065
.LBB27_1044:                            ;   in Loop: Header=BB27_3 Depth=1
	s_mov_b32 s47, exec_lo
	v_readlane_b32 s57, v102, 21
	s_and_b32 s57, s47, s57
	s_delay_alu instid0(SALU_CYCLE_1)
	s_mov_b32 exec_lo, s57
; %bb.1045:                             ;   in Loop: Header=BB27_3 Depth=1
	ds_store_b64 v86, v[32:33]
; %bb.1046:                             ;   in Loop: Header=BB27_3 Depth=1
	s_or_b32 exec_lo, exec_lo, s47
	s_and_not1_saveexec_b32 s46, s46
	s_cbranch_execz .LBB27_16
.LBB27_1047:                            ;   in Loop: Header=BB27_3 Depth=1
	v_lshl_add_u64 v[48:49], v[26:27], 3, v[2:3]
	global_load_b64 v[48:49], v[48:49], off
	s_wait_loadcnt 0x0
	v_xor_b32_e32 v49, 0x80000000, v49
	ds_store_b64 v86, v[48:49]
	s_or_b32 exec_lo, exec_lo, s46
	s_and_saveexec_b32 s46, s7
	s_delay_alu instid0(SALU_CYCLE_1)
	s_xor_b32 s46, exec_lo, s46
	s_cbranch_execz .LBB27_17
.LBB27_1048:                            ;   in Loop: Header=BB27_3 Depth=1
	s_mov_b32 s47, exec_lo
	v_readlane_b32 s57, v102, 22
	s_and_b32 s57, s47, s57
	s_delay_alu instid0(SALU_CYCLE_1)
	s_mov_b32 exec_lo, s57
; %bb.1049:                             ;   in Loop: Header=BB27_3 Depth=1
	ds_store_b64 v87, v[32:33]
; %bb.1050:                             ;   in Loop: Header=BB27_3 Depth=1
	s_or_b32 exec_lo, exec_lo, s47
	s_and_not1_saveexec_b32 s46, s46
	s_cbranch_execz .LBB27_18
.LBB27_1051:                            ;   in Loop: Header=BB27_3 Depth=1
	v_lshl_add_u64 v[48:49], v[18:19], 3, v[2:3]
	global_load_b64 v[48:49], v[48:49], off
	s_wait_loadcnt 0x0
	v_xor_b32_e32 v49, 0x80000000, v49
	ds_store_b64 v87, v[48:49]
	s_or_b32 exec_lo, exec_lo, s46
	s_and_saveexec_b32 s46, s8
	s_delay_alu instid0(SALU_CYCLE_1)
	s_xor_b32 s46, exec_lo, s46
	s_cbranch_execz .LBB27_19
.LBB27_1052:                            ;   in Loop: Header=BB27_3 Depth=1
	s_mov_b32 s47, exec_lo
	v_readlane_b32 s57, v102, 23
	s_and_b32 s57, s47, s57
	s_delay_alu instid0(SALU_CYCLE_1)
	s_mov_b32 exec_lo, s57
; %bb.1053:                             ;   in Loop: Header=BB27_3 Depth=1
	ds_store_b64 v88, v[32:33]
; %bb.1054:                             ;   in Loop: Header=BB27_3 Depth=1
	s_or_b32 exec_lo, exec_lo, s47
	s_and_not1_saveexec_b32 s46, s46
	s_cbranch_execz .LBB27_20
.LBB27_1055:                            ;   in Loop: Header=BB27_3 Depth=1
	v_lshl_add_u64 v[48:49], v[20:21], 3, v[2:3]
	global_load_b64 v[48:49], v[48:49], off
	s_wait_loadcnt 0x0
	v_xor_b32_e32 v49, 0x80000000, v49
	ds_store_b64 v88, v[48:49]
	s_or_b32 exec_lo, exec_lo, s46
	s_and_saveexec_b32 s46, s9
	s_delay_alu instid0(SALU_CYCLE_1)
	s_xor_b32 s46, exec_lo, s46
	s_cbranch_execz .LBB27_21
.LBB27_1056:                            ;   in Loop: Header=BB27_3 Depth=1
	s_mov_b32 s47, exec_lo
	v_readlane_b32 s57, v102, 24
	s_and_b32 s57, s47, s57
	s_delay_alu instid0(SALU_CYCLE_1)
	s_mov_b32 exec_lo, s57
; %bb.1057:                             ;   in Loop: Header=BB27_3 Depth=1
	ds_store_b64 v89, v[32:33]
; %bb.1058:                             ;   in Loop: Header=BB27_3 Depth=1
	s_or_b32 exec_lo, exec_lo, s47
	s_and_not1_saveexec_b32 s46, s46
	s_cbranch_execnz .LBB27_22
	s_branch .LBB27_23
.LBB27_1059:                            ;   in Loop: Header=BB27_3 Depth=1
	ds_load_b64 v[44:45], v92
	ds_load_b64 v[46:47], v70
	s_wait_dscnt 0x0
	v_fma_f64 v[44:45], v[44:45], v[46:47], 0
	s_or_b32 exec_lo, exec_lo, s46
	s_and_saveexec_b32 s46, s7
	s_cbranch_execz .LBB27_1015
.LBB27_1060:                            ;   in Loop: Header=BB27_3 Depth=1
	ds_load_b64 v[46:47], v92 offset:8192
	ds_load_b64 v[48:49], v70 offset:128
	s_wait_dscnt 0x0
	v_fmac_f64_e32 v[44:45], v[46:47], v[48:49]
	s_or_b32 exec_lo, exec_lo, s46
	s_and_saveexec_b32 s46, s8
	s_cbranch_execz .LBB27_1016
.LBB27_1061:                            ;   in Loop: Header=BB27_3 Depth=1
	ds_load_b64 v[46:47], v92 offset:16384
	ds_load_b64 v[48:49], v70 offset:256
	s_wait_dscnt 0x0
	v_fmac_f64_e32 v[44:45], v[46:47], v[48:49]
	s_or_b32 exec_lo, exec_lo, s46
	s_and_saveexec_b32 s46, s9
	s_cbranch_execnz .LBB27_1017
	s_branch .LBB27_1018
.LBB27_1062:                            ;   in Loop: Header=BB27_3 Depth=1
	s_or_b32 exec_lo, exec_lo, s82
	s_delay_alu instid0(SALU_CYCLE_1)
	s_and_b32 vcc_lo, exec_lo, s57
	s_cbranch_vccnz .LBB27_1021
.LBB27_1063:                            ;   in Loop: Header=BB27_3 Depth=1
	s_delay_alu instid0(VALU_DEP_1)
	v_mov_b64_e32 v[2:3], v[46:47]
	v_mov_b64_e32 v[44:45], v[24:25]
	s_and_saveexec_b32 s46, s61
	s_cbranch_execz .LBB27_1065
.LBB27_1064:                            ;   in Loop: Header=BB27_3 Depth=1
	s_delay_alu instid0(VALU_DEP_1)
	v_lshl_add_u64 v[44:45], v[44:45], 3, s[80:81]
	global_store_b64 v[44:45], v[2:3], off
.LBB27_1065:                            ;   in Loop: Header=BB27_3 Depth=1
	s_wait_xcnt 0x0
	s_or_b32 exec_lo, exec_lo, s46
	global_wb scope:SCOPE_DEV
	s_wait_storecnt 0x0
	global_inv scope:SCOPE_DEV
	s_wait_loadcnt 0x0
	s_barrier_signal -1
	s_barrier_wait -1
	s_and_saveexec_b32 s46, s55
	s_cbranch_execz .LBB27_2
; %bb.1066:                             ;   in Loop: Header=BB27_3 Depth=1
	s_lshl_b64 s[80:81], s[76:77], 2
	s_delay_alu instid0(SALU_CYCLE_1)
	s_add_nc_u64 s[80:81], s[74:75], s[80:81]
	global_load_b32 v0, v7, s[80:81]
	s_wait_loadcnt 0x0
	v_add_nc_u32_e32 v0, 1, v0
	global_store_b32 v7, v0, s[80:81]
	s_branch .LBB27_2
.LBB27_1067:                            ;   in Loop: Header=BB27_3 Depth=1
	ds_load_b64 v[48:49], v74 offset:31680
	ds_load_b64 v[98:99], v59 offset:32744
	s_wait_dscnt 0x0
	v_fmac_f64_e32 v[2:3], v[48:49], v[98:99]
	s_or_b32 exec_lo, exec_lo, s46
	s_and_saveexec_b32 s46, s13
	s_cbranch_execz .LBB27_72
.LBB27_1068:                            ;   in Loop: Header=BB27_3 Depth=1
	ds_load_b64 v[48:49], v74 offset:32192
	ds_load_b64 v[98:99], v59 offset:32752
	s_wait_dscnt 0x0
	v_fmac_f64_e32 v[2:3], v[48:49], v[98:99]
	s_or_b32 exec_lo, exec_lo, s46
	s_and_saveexec_b32 s46, s0
	s_cbranch_execnz .LBB27_73
	s_branch .LBB27_74
.LBB27_1069:                            ;   in Loop: Header=BB27_3 Depth=1
	ds_load_b64 v[48:49], v76 offset:29568
	ds_load_b64 v[98:99], v63 offset:32712
	s_wait_dscnt 0x0
	v_fmac_f64_e32 v[2:3], v[48:49], v[98:99]
	s_or_b32 exec_lo, exec_lo, s46
	s_and_saveexec_b32 s46, s15
	s_cbranch_execz .LBB27_114
.LBB27_1070:                            ;   in Loop: Header=BB27_3 Depth=1
	ds_load_b64 v[48:49], v76 offset:30080
	ds_load_b64 v[98:99], v63 offset:32720
	s_wait_dscnt 0x0
	v_fmac_f64_e32 v[2:3], v[48:49], v[98:99]
	s_or_b32 exec_lo, exec_lo, s46
	s_and_saveexec_b32 s46, s16
	s_cbranch_execz .LBB27_115
.LBB27_1071:                            ;   in Loop: Header=BB27_3 Depth=1
	ds_load_b64 v[48:49], v76 offset:30592
	ds_load_b64 v[98:99], v63 offset:32728
	s_wait_dscnt 0x0
	v_fmac_f64_e32 v[2:3], v[48:49], v[98:99]
	s_or_b32 exec_lo, exec_lo, s46
	s_and_saveexec_b32 s46, s17
	s_cbranch_execz .LBB27_116
.LBB27_1072:                            ;   in Loop: Header=BB27_3 Depth=1
	ds_load_b64 v[48:49], v76 offset:31104
	ds_load_b64 v[98:99], v63 offset:32736
	s_wait_dscnt 0x0
	v_fmac_f64_e32 v[2:3], v[48:49], v[98:99]
	s_or_b32 exec_lo, exec_lo, s46
	s_and_saveexec_b32 s46, s18
	s_cbranch_execz .LBB27_117
.LBB27_1073:                            ;   in Loop: Header=BB27_3 Depth=1
	ds_load_b64 v[48:49], v76 offset:31616
	ds_load_b64 v[98:99], v63 offset:32744
	s_wait_dscnt 0x0
	v_fmac_f64_e32 v[2:3], v[48:49], v[98:99]
	s_or_b32 exec_lo, exec_lo, s46
	s_and_saveexec_b32 s46, s2
	s_cbranch_execz .LBB27_118
.LBB27_1074:                            ;   in Loop: Header=BB27_3 Depth=1
	ds_load_b64 v[48:49], v76 offset:32128
	ds_load_b64 v[98:99], v63 offset:32752
	s_wait_dscnt 0x0
	v_fmac_f64_e32 v[2:3], v[48:49], v[98:99]
	s_or_b32 exec_lo, exec_lo, s46
	s_and_saveexec_b32 s46, s13
	s_cbranch_execnz .LBB27_119
	s_branch .LBB27_120
.LBB27_1075:                            ;   in Loop: Header=BB27_3 Depth=1
	ds_load_b64 v[48:49], v74 offset:27520
	ds_load_b64 v[98:99], v59 offset:28584
	s_wait_dscnt 0x0
	v_fmac_f64_e32 v[2:3], v[48:49], v[98:99]
	s_or_b32 exec_lo, exec_lo, s46
	s_and_saveexec_b32 s46, s13
	s_cbranch_execz .LBB27_176
.LBB27_1076:                            ;   in Loop: Header=BB27_3 Depth=1
	ds_load_b64 v[48:49], v74 offset:28032
	ds_load_b64 v[98:99], v59 offset:28592
	s_wait_dscnt 0x0
	v_fmac_f64_e32 v[2:3], v[48:49], v[98:99]
	s_or_b32 exec_lo, exec_lo, s46
	s_and_saveexec_b32 s46, s0
	s_cbranch_execnz .LBB27_177
	s_branch .LBB27_178
.LBB27_1077:                            ;   in Loop: Header=BB27_3 Depth=1
	ds_load_b64 v[48:49], v78 offset:30464
	ds_load_b64 v[98:99], v65 offset:32728
	s_wait_dscnt 0x0
	v_fmac_f64_e32 v[2:3], v[48:49], v[98:99]
	s_or_b32 exec_lo, exec_lo, s46
	s_and_saveexec_b32 s46, s3
	s_cbranch_execz .LBB27_238
.LBB27_1078:                            ;   in Loop: Header=BB27_3 Depth=1
	ds_load_b64 v[48:49], v78 offset:30976
	ds_load_b64 v[98:99], v65 offset:32736
	s_wait_dscnt 0x0
	v_fmac_f64_e32 v[2:3], v[48:49], v[98:99]
	s_or_b32 exec_lo, exec_lo, s46
	s_and_saveexec_b32 s46, s15
	s_cbranch_execz .LBB27_239
.LBB27_1079:                            ;   in Loop: Header=BB27_3 Depth=1
	ds_load_b64 v[48:49], v78 offset:31488
	ds_load_b64 v[98:99], v65 offset:32744
	s_wait_dscnt 0x0
	v_fmac_f64_e32 v[2:3], v[48:49], v[98:99]
	s_or_b32 exec_lo, exec_lo, s46
	s_and_saveexec_b32 s46, s17
	s_cbranch_execz .LBB27_240
.LBB27_1080:                            ;   in Loop: Header=BB27_3 Depth=1
	ds_load_b64 v[48:49], v78 offset:32000
	ds_load_b64 v[98:99], v65 offset:32752
	s_wait_dscnt 0x0
	v_fmac_f64_e32 v[2:3], v[48:49], v[98:99]
	s_or_b32 exec_lo, exec_lo, s46
	s_and_saveexec_b32 s46, s2
	s_cbranch_execnz .LBB27_241
	s_branch .LBB27_242
.LBB27_1081:                            ;   in Loop: Header=BB27_3 Depth=1
	ds_load_b64 v[48:49], v74 offset:23360
	ds_load_b64 v[98:99], v59 offset:24424
	s_wait_dscnt 0x0
	v_fmac_f64_e32 v[2:3], v[48:49], v[98:99]
	s_or_b32 exec_lo, exec_lo, s46
	s_and_saveexec_b32 s46, s13
	s_cbranch_execz .LBB27_330
.LBB27_1082:                            ;   in Loop: Header=BB27_3 Depth=1
	ds_load_b64 v[48:49], v74 offset:23872
	ds_load_b64 v[98:99], v59 offset:24432
	s_wait_dscnt 0x0
	v_fmac_f64_e32 v[2:3], v[48:49], v[98:99]
	s_or_b32 exec_lo, exec_lo, s46
	s_and_saveexec_b32 s46, s0
	s_cbranch_execnz .LBB27_331
	s_branch .LBB27_332
.LBB27_1083:                            ;   in Loop: Header=BB27_3 Depth=1
	ds_load_b64 v[48:49], v76 offset:21248
	ds_load_b64 v[98:99], v63 offset:24392
	s_wait_dscnt 0x0
	v_fmac_f64_e32 v[2:3], v[48:49], v[98:99]
	s_or_b32 exec_lo, exec_lo, s46
	s_and_saveexec_b32 s46, s15
	s_cbranch_execz .LBB27_372
.LBB27_1084:                            ;   in Loop: Header=BB27_3 Depth=1
	ds_load_b64 v[48:49], v76 offset:21760
	ds_load_b64 v[98:99], v63 offset:24400
	s_wait_dscnt 0x0
	v_fmac_f64_e32 v[2:3], v[48:49], v[98:99]
	s_or_b32 exec_lo, exec_lo, s46
	s_and_saveexec_b32 s46, s16
	s_cbranch_execz .LBB27_373
.LBB27_1085:                            ;   in Loop: Header=BB27_3 Depth=1
	ds_load_b64 v[48:49], v76 offset:22272
	ds_load_b64 v[98:99], v63 offset:24408
	s_wait_dscnt 0x0
	v_fmac_f64_e32 v[2:3], v[48:49], v[98:99]
	s_or_b32 exec_lo, exec_lo, s46
	s_and_saveexec_b32 s46, s17
	s_cbranch_execz .LBB27_374
.LBB27_1086:                            ;   in Loop: Header=BB27_3 Depth=1
	ds_load_b64 v[48:49], v76 offset:22784
	ds_load_b64 v[98:99], v63 offset:24416
	s_wait_dscnt 0x0
	v_fmac_f64_e32 v[2:3], v[48:49], v[98:99]
	s_or_b32 exec_lo, exec_lo, s46
	s_and_saveexec_b32 s46, s18
	s_cbranch_execz .LBB27_375
.LBB27_1087:                            ;   in Loop: Header=BB27_3 Depth=1
	ds_load_b64 v[48:49], v76 offset:23296
	ds_load_b64 v[98:99], v63 offset:24424
	s_wait_dscnt 0x0
	v_fmac_f64_e32 v[2:3], v[48:49], v[98:99]
	s_or_b32 exec_lo, exec_lo, s46
	s_and_saveexec_b32 s46, s2
	s_cbranch_execz .LBB27_376
.LBB27_1088:                            ;   in Loop: Header=BB27_3 Depth=1
	ds_load_b64 v[48:49], v76 offset:23808
	ds_load_b64 v[98:99], v63 offset:24432
	s_wait_dscnt 0x0
	v_fmac_f64_e32 v[2:3], v[48:49], v[98:99]
	s_or_b32 exec_lo, exec_lo, s46
	s_and_saveexec_b32 s46, s13
	s_cbranch_execnz .LBB27_377
	s_branch .LBB27_378
.LBB27_1089:                            ;   in Loop: Header=BB27_3 Depth=1
	ds_load_b64 v[48:49], v74 offset:19200
	ds_load_b64 v[98:99], v59 offset:20264
	s_wait_dscnt 0x0
	v_fmac_f64_e32 v[2:3], v[48:49], v[98:99]
	s_or_b32 exec_lo, exec_lo, s46
	s_and_saveexec_b32 s46, s13
	s_cbranch_execz .LBB27_434
.LBB27_1090:                            ;   in Loop: Header=BB27_3 Depth=1
	ds_load_b64 v[48:49], v74 offset:19712
	ds_load_b64 v[98:99], v59 offset:20272
	s_wait_dscnt 0x0
	v_fmac_f64_e32 v[2:3], v[48:49], v[98:99]
	s_or_b32 exec_lo, exec_lo, s46
	s_and_saveexec_b32 s46, s0
	s_cbranch_execnz .LBB27_435
	s_branch .LBB27_436
.LBB27_1091:                            ;   in Loop: Header=BB27_3 Depth=1
	ds_load_b64 v[48:49], v64 offset:31232
	ds_load_b64 v[98:99], v66 offset:32744
	s_wait_dscnt 0x0
	v_fmac_f64_e32 v[2:3], v[48:49], v[98:99]
	s_or_b32 exec_lo, exec_lo, s46
	s_and_saveexec_b32 s46, s3
	s_cbranch_execz .LBB27_532
.LBB27_1092:                            ;   in Loop: Header=BB27_3 Depth=1
	ds_load_b64 v[48:49], v64 offset:31744
	ds_load_b64 v[98:99], v66 offset:32752
	s_wait_dscnt 0x0
	v_fmac_f64_e32 v[2:3], v[48:49], v[98:99]
	s_or_b32 exec_lo, exec_lo, s46
	s_and_saveexec_b32 s46, s17
	s_delay_alu instid0(SALU_CYCLE_1)
	s_xor_b32 s46, exec_lo, s46
	s_cbranch_execnz .LBB27_533
	s_branch .LBB27_534
.LBB27_1093:                            ;   in Loop: Header=BB27_3 Depth=1
	ds_load_b64 v[48:49], v74 offset:15040
	ds_load_b64 v[98:99], v59 offset:16104
	s_wait_dscnt 0x0
	v_fmac_f64_e32 v[2:3], v[48:49], v[98:99]
	s_or_b32 exec_lo, exec_lo, s46
	s_and_saveexec_b32 s46, s13
	s_cbranch_execz .LBB27_578
.LBB27_1094:                            ;   in Loop: Header=BB27_3 Depth=1
	ds_load_b64 v[48:49], v74 offset:15552
	ds_load_b64 v[98:99], v59 offset:16112
	s_wait_dscnt 0x0
	v_fmac_f64_e32 v[2:3], v[48:49], v[98:99]
	s_or_b32 exec_lo, exec_lo, s46
	s_and_saveexec_b32 s46, s0
	s_cbranch_execnz .LBB27_579
	s_branch .LBB27_580
.LBB27_1095:                            ;   in Loop: Header=BB27_3 Depth=1
	ds_load_b64 v[48:49], v76 offset:12928
	ds_load_b64 v[98:99], v63 offset:16072
	s_wait_dscnt 0x0
	v_fmac_f64_e32 v[2:3], v[48:49], v[98:99]
	s_or_b32 exec_lo, exec_lo, s46
	s_and_saveexec_b32 s46, s15
	s_cbranch_execz .LBB27_620
.LBB27_1096:                            ;   in Loop: Header=BB27_3 Depth=1
	ds_load_b64 v[48:49], v76 offset:13440
	ds_load_b64 v[98:99], v63 offset:16080
	s_wait_dscnt 0x0
	v_fmac_f64_e32 v[2:3], v[48:49], v[98:99]
	s_or_b32 exec_lo, exec_lo, s46
	s_and_saveexec_b32 s46, s16
	s_cbranch_execz .LBB27_621
.LBB27_1097:                            ;   in Loop: Header=BB27_3 Depth=1
	ds_load_b64 v[48:49], v76 offset:13952
	ds_load_b64 v[98:99], v63 offset:16088
	s_wait_dscnt 0x0
	v_fmac_f64_e32 v[2:3], v[48:49], v[98:99]
	s_or_b32 exec_lo, exec_lo, s46
	s_and_saveexec_b32 s46, s17
	s_cbranch_execz .LBB27_622
.LBB27_1098:                            ;   in Loop: Header=BB27_3 Depth=1
	ds_load_b64 v[48:49], v76 offset:14464
	ds_load_b64 v[98:99], v63 offset:16096
	s_wait_dscnt 0x0
	v_fmac_f64_e32 v[2:3], v[48:49], v[98:99]
	s_or_b32 exec_lo, exec_lo, s46
	s_and_saveexec_b32 s46, s18
	s_cbranch_execz .LBB27_623
.LBB27_1099:                            ;   in Loop: Header=BB27_3 Depth=1
	ds_load_b64 v[48:49], v76 offset:14976
	ds_load_b64 v[98:99], v63 offset:16104
	s_wait_dscnt 0x0
	v_fmac_f64_e32 v[2:3], v[48:49], v[98:99]
	s_or_b32 exec_lo, exec_lo, s46
	s_and_saveexec_b32 s46, s2
	s_cbranch_execz .LBB27_624
.LBB27_1100:                            ;   in Loop: Header=BB27_3 Depth=1
	ds_load_b64 v[48:49], v76 offset:15488
	ds_load_b64 v[98:99], v63 offset:16112
	s_wait_dscnt 0x0
	v_fmac_f64_e32 v[2:3], v[48:49], v[98:99]
	s_or_b32 exec_lo, exec_lo, s46
	s_and_saveexec_b32 s46, s13
	s_cbranch_execnz .LBB27_625
	s_branch .LBB27_626
.LBB27_1101:                            ;   in Loop: Header=BB27_3 Depth=1
	ds_load_b64 v[48:49], v74 offset:10880
	ds_load_b64 v[98:99], v59 offset:11944
	s_wait_dscnt 0x0
	v_fmac_f64_e32 v[2:3], v[48:49], v[98:99]
	s_or_b32 exec_lo, exec_lo, s46
	s_and_saveexec_b32 s46, s13
	s_cbranch_execz .LBB27_682
.LBB27_1102:                            ;   in Loop: Header=BB27_3 Depth=1
	ds_load_b64 v[48:49], v74 offset:11392
	ds_load_b64 v[98:99], v59 offset:11952
	s_wait_dscnt 0x0
	v_fmac_f64_e32 v[2:3], v[48:49], v[98:99]
	s_or_b32 exec_lo, exec_lo, s46
	s_and_saveexec_b32 s46, s0
	s_cbranch_execnz .LBB27_683
	s_branch .LBB27_684
.LBB27_1103:                            ;   in Loop: Header=BB27_3 Depth=1
	ds_load_b64 v[48:49], v78 offset:13824
	ds_load_b64 v[98:99], v65 offset:16088
	s_wait_dscnt 0x0
	v_fmac_f64_e32 v[2:3], v[48:49], v[98:99]
	s_or_b32 exec_lo, exec_lo, s46
	s_and_saveexec_b32 s46, s3
	s_cbranch_execz .LBB27_744
.LBB27_1104:                            ;   in Loop: Header=BB27_3 Depth=1
	ds_load_b64 v[48:49], v78 offset:14336
	ds_load_b64 v[98:99], v65 offset:16096
	s_wait_dscnt 0x0
	v_fmac_f64_e32 v[2:3], v[48:49], v[98:99]
	s_or_b32 exec_lo, exec_lo, s46
	s_and_saveexec_b32 s46, s15
	s_cbranch_execz .LBB27_745
.LBB27_1105:                            ;   in Loop: Header=BB27_3 Depth=1
	ds_load_b64 v[48:49], v78 offset:14848
	ds_load_b64 v[98:99], v65 offset:16104
	s_wait_dscnt 0x0
	v_fmac_f64_e32 v[2:3], v[48:49], v[98:99]
	s_or_b32 exec_lo, exec_lo, s46
	s_and_saveexec_b32 s46, s17
	s_cbranch_execz .LBB27_746
.LBB27_1106:                            ;   in Loop: Header=BB27_3 Depth=1
	ds_load_b64 v[48:49], v78 offset:15360
	ds_load_b64 v[98:99], v65 offset:16112
	s_wait_dscnt 0x0
	v_fmac_f64_e32 v[2:3], v[48:49], v[98:99]
	s_or_b32 exec_lo, exec_lo, s46
	s_and_saveexec_b32 s46, s2
	s_cbranch_execnz .LBB27_747
	s_branch .LBB27_748
.LBB27_1107:                            ;   in Loop: Header=BB27_3 Depth=1
	ds_load_b64 v[48:49], v74 offset:6720
	ds_load_b64 v[98:99], v59 offset:7784
	s_wait_dscnt 0x0
	v_fmac_f64_e32 v[2:3], v[48:49], v[98:99]
	s_or_b32 exec_lo, exec_lo, s46
	s_and_saveexec_b32 s46, s13
	s_cbranch_execz .LBB27_836
.LBB27_1108:                            ;   in Loop: Header=BB27_3 Depth=1
	ds_load_b64 v[48:49], v74 offset:7232
	ds_load_b64 v[98:99], v59 offset:7792
	s_wait_dscnt 0x0
	v_fmac_f64_e32 v[2:3], v[48:49], v[98:99]
	s_or_b32 exec_lo, exec_lo, s46
	s_and_saveexec_b32 s46, s0
	s_cbranch_execnz .LBB27_837
	s_branch .LBB27_838
.LBB27_1109:                            ;   in Loop: Header=BB27_3 Depth=1
	ds_load_b64 v[48:49], v76 offset:4608
	ds_load_b64 v[98:99], v63 offset:7752
	s_wait_dscnt 0x0
	v_fmac_f64_e32 v[2:3], v[48:49], v[98:99]
	s_or_b32 exec_lo, exec_lo, s46
	s_and_saveexec_b32 s46, s15
	s_cbranch_execz .LBB27_878
.LBB27_1110:                            ;   in Loop: Header=BB27_3 Depth=1
	ds_load_b64 v[48:49], v76 offset:5120
	ds_load_b64 v[98:99], v63 offset:7760
	s_wait_dscnt 0x0
	v_fmac_f64_e32 v[2:3], v[48:49], v[98:99]
	s_or_b32 exec_lo, exec_lo, s46
	s_and_saveexec_b32 s46, s16
	s_cbranch_execz .LBB27_879
.LBB27_1111:                            ;   in Loop: Header=BB27_3 Depth=1
	ds_load_b64 v[48:49], v76 offset:5632
	ds_load_b64 v[98:99], v63 offset:7768
	s_wait_dscnt 0x0
	v_fmac_f64_e32 v[2:3], v[48:49], v[98:99]
	s_or_b32 exec_lo, exec_lo, s46
	s_and_saveexec_b32 s46, s17
	s_cbranch_execz .LBB27_880
.LBB27_1112:                            ;   in Loop: Header=BB27_3 Depth=1
	ds_load_b64 v[48:49], v76 offset:6144
	ds_load_b64 v[98:99], v63 offset:7776
	s_wait_dscnt 0x0
	v_fmac_f64_e32 v[2:3], v[48:49], v[98:99]
	s_or_b32 exec_lo, exec_lo, s46
	s_and_saveexec_b32 s46, s18
	s_cbranch_execz .LBB27_881
.LBB27_1113:                            ;   in Loop: Header=BB27_3 Depth=1
	ds_load_b64 v[48:49], v76 offset:6656
	ds_load_b64 v[98:99], v63 offset:7784
	s_wait_dscnt 0x0
	v_fmac_f64_e32 v[2:3], v[48:49], v[98:99]
	s_or_b32 exec_lo, exec_lo, s46
	s_and_saveexec_b32 s46, s2
	s_cbranch_execz .LBB27_882
.LBB27_1114:                            ;   in Loop: Header=BB27_3 Depth=1
	ds_load_b64 v[48:49], v76 offset:7168
	ds_load_b64 v[98:99], v63 offset:7792
	s_wait_dscnt 0x0
	v_fmac_f64_e32 v[2:3], v[48:49], v[98:99]
	s_or_b32 exec_lo, exec_lo, s46
	s_and_saveexec_b32 s46, s13
	s_cbranch_execnz .LBB27_883
	s_branch .LBB27_884
.LBB27_1115:                            ;   in Loop: Header=BB27_3 Depth=1
	ds_load_b64 v[48:49], v74 offset:2560
	ds_load_b64 v[98:99], v59 offset:3624
	s_wait_dscnt 0x0
	v_fmac_f64_e32 v[2:3], v[48:49], v[98:99]
	s_or_b32 exec_lo, exec_lo, s46
	s_and_saveexec_b32 s46, s13
	s_cbranch_execz .LBB27_940
.LBB27_1116:                            ;   in Loop: Header=BB27_3 Depth=1
	ds_load_b64 v[48:49], v74 offset:3072
	ds_load_b64 v[98:99], v59 offset:3632
	s_wait_dscnt 0x0
	v_fmac_f64_e32 v[2:3], v[48:49], v[98:99]
	s_or_b32 exec_lo, exec_lo, s46
	s_and_saveexec_b32 s46, s0
	s_cbranch_execnz .LBB27_941
	s_branch .LBB27_942
.LBB27_1117:
	s_endpgm
	.section	.rodata,"a",@progbits
	.p2align	6, 0x0
	.amdhsa_kernel _ZL19rocblas_trsv_deviceILi64ELi16ELb0ELb1ELb1ELb1EdPKdS1_PdEviT7_lllT6_T8_lllPii
		.amdhsa_group_segment_fixed_size 41480
		.amdhsa_private_segment_fixed_size 0
		.amdhsa_kernarg_size 352
		.amdhsa_user_sgpr_count 2
		.amdhsa_user_sgpr_dispatch_ptr 0
		.amdhsa_user_sgpr_queue_ptr 0
		.amdhsa_user_sgpr_kernarg_segment_ptr 1
		.amdhsa_user_sgpr_dispatch_id 0
		.amdhsa_user_sgpr_kernarg_preload_length 0
		.amdhsa_user_sgpr_kernarg_preload_offset 0
		.amdhsa_user_sgpr_private_segment_size 0
		.amdhsa_wavefront_size32 1
		.amdhsa_uses_dynamic_stack 0
		.amdhsa_enable_private_segment 0
		.amdhsa_system_sgpr_workgroup_id_x 1
		.amdhsa_system_sgpr_workgroup_id_y 0
		.amdhsa_system_sgpr_workgroup_id_z 1
		.amdhsa_system_sgpr_workgroup_info 0
		.amdhsa_system_vgpr_workitem_id 1
		.amdhsa_next_free_vgpr 104
		.amdhsa_next_free_sgpr 105
		.amdhsa_named_barrier_count 0
		.amdhsa_reserve_vcc 1
		.amdhsa_float_round_mode_32 0
		.amdhsa_float_round_mode_16_64 0
		.amdhsa_float_denorm_mode_32 3
		.amdhsa_float_denorm_mode_16_64 3
		.amdhsa_fp16_overflow 0
		.amdhsa_memory_ordered 1
		.amdhsa_forward_progress 1
		.amdhsa_inst_pref_size 255
		.amdhsa_round_robin_scheduling 0
		.amdhsa_exception_fp_ieee_invalid_op 0
		.amdhsa_exception_fp_denorm_src 0
		.amdhsa_exception_fp_ieee_div_zero 0
		.amdhsa_exception_fp_ieee_overflow 0
		.amdhsa_exception_fp_ieee_underflow 0
		.amdhsa_exception_fp_ieee_inexact 0
		.amdhsa_exception_int_div_zero 0
	.end_amdhsa_kernel
	.section	.text._ZL19rocblas_trsv_deviceILi64ELi16ELb0ELb1ELb1ELb1EdPKdS1_PdEviT7_lllT6_T8_lllPii,"axG",@progbits,_ZL19rocblas_trsv_deviceILi64ELi16ELb0ELb1ELb1ELb1EdPKdS1_PdEviT7_lllT6_T8_lllPii,comdat
.Lfunc_end27:
	.size	_ZL19rocblas_trsv_deviceILi64ELi16ELb0ELb1ELb1ELb1EdPKdS1_PdEviT7_lllT6_T8_lllPii, .Lfunc_end27-_ZL19rocblas_trsv_deviceILi64ELi16ELb0ELb1ELb1ELb1EdPKdS1_PdEviT7_lllT6_T8_lllPii
                                        ; -- End function
	.set _ZL19rocblas_trsv_deviceILi64ELi16ELb0ELb1ELb1ELb1EdPKdS1_PdEviT7_lllT6_T8_lllPii.num_vgpr, 104
	.set _ZL19rocblas_trsv_deviceILi64ELi16ELb0ELb1ELb1ELb1EdPKdS1_PdEviT7_lllT6_T8_lllPii.num_agpr, 0
	.set _ZL19rocblas_trsv_deviceILi64ELi16ELb0ELb1ELb1ELb1EdPKdS1_PdEviT7_lllT6_T8_lllPii.numbered_sgpr, 105
	.set _ZL19rocblas_trsv_deviceILi64ELi16ELb0ELb1ELb1ELb1EdPKdS1_PdEviT7_lllT6_T8_lllPii.num_named_barrier, 0
	.set _ZL19rocblas_trsv_deviceILi64ELi16ELb0ELb1ELb1ELb1EdPKdS1_PdEviT7_lllT6_T8_lllPii.private_seg_size, 0
	.set _ZL19rocblas_trsv_deviceILi64ELi16ELb0ELb1ELb1ELb1EdPKdS1_PdEviT7_lllT6_T8_lllPii.uses_vcc, 1
	.set _ZL19rocblas_trsv_deviceILi64ELi16ELb0ELb1ELb1ELb1EdPKdS1_PdEviT7_lllT6_T8_lllPii.uses_flat_scratch, 0
	.set _ZL19rocblas_trsv_deviceILi64ELi16ELb0ELb1ELb1ELb1EdPKdS1_PdEviT7_lllT6_T8_lllPii.has_dyn_sized_stack, 0
	.set _ZL19rocblas_trsv_deviceILi64ELi16ELb0ELb1ELb1ELb1EdPKdS1_PdEviT7_lllT6_T8_lllPii.has_recursion, 0
	.set _ZL19rocblas_trsv_deviceILi64ELi16ELb0ELb1ELb1ELb1EdPKdS1_PdEviT7_lllT6_T8_lllPii.has_indirect_call, 0
	.section	.AMDGPU.csdata,"",@progbits
; Kernel info:
; codeLenInByte = 33468
; TotalNumSgprs: 107
; NumVgprs: 104
; ScratchSize: 0
; MemoryBound: 0
; FloatMode: 240
; IeeeMode: 1
; LDSByteSize: 41480 bytes/workgroup (compile time only)
; SGPRBlocks: 0
; VGPRBlocks: 6
; NumSGPRsForWavesPerEU: 107
; NumVGPRsForWavesPerEU: 104
; NamedBarCnt: 0
; Occupancy: 9
; WaveLimiterHint : 0
; COMPUTE_PGM_RSRC2:SCRATCH_EN: 0
; COMPUTE_PGM_RSRC2:USER_SGPR: 2
; COMPUTE_PGM_RSRC2:TRAP_HANDLER: 0
; COMPUTE_PGM_RSRC2:TGID_X_EN: 1
; COMPUTE_PGM_RSRC2:TGID_Y_EN: 0
; COMPUTE_PGM_RSRC2:TGID_Z_EN: 1
; COMPUTE_PGM_RSRC2:TIDIG_COMP_CNT: 1
	.section	.text._ZL19rocblas_trsv_deviceILi64ELi16ELb0ELb0ELb0ELb0EdPKdS1_PdEviT7_lllT6_T8_lllPii,"axG",@progbits,_ZL19rocblas_trsv_deviceILi64ELi16ELb0ELb0ELb0ELb0EdPKdS1_PdEviT7_lllT6_T8_lllPii,comdat
	.globl	_ZL19rocblas_trsv_deviceILi64ELi16ELb0ELb0ELb0ELb0EdPKdS1_PdEviT7_lllT6_T8_lllPii ; -- Begin function _ZL19rocblas_trsv_deviceILi64ELi16ELb0ELb0ELb0ELb0EdPKdS1_PdEviT7_lllT6_T8_lllPii
	.p2align	8
	.type	_ZL19rocblas_trsv_deviceILi64ELi16ELb0ELb0ELb0ELb0EdPKdS1_PdEviT7_lllT6_T8_lllPii,@function
_ZL19rocblas_trsv_deviceILi64ELi16ELb0ELb0ELb0ELb0EdPKdS1_PdEviT7_lllT6_T8_lllPii: ; @_ZL19rocblas_trsv_deviceILi64ELi16ELb0ELb0ELb0ELb0EdPKdS1_PdEviT7_lllT6_T8_lllPii
; %bb.0:
	s_load_b32 s100, s[0:1], 0x58
	s_bfe_u32 s2, ttmp6, 0x40014
	s_lshr_b32 s3, ttmp7, 16
	s_add_co_i32 s2, s2, 1
	s_bfe_u32 s5, ttmp6, 0x40008
	s_mul_i32 s4, s3, s2
	s_getreg_b32 s2, hwreg(HW_REG_IB_STS2, 6, 4)
	s_add_co_i32 s5, s5, s4
	s_cmp_eq_u32 s2, 0
	s_mov_b32 s89, 0
	s_cselect_b32 s88, s3, s5
	s_wait_kmcnt 0x0
	s_cmp_ge_u32 s88, s100
	s_cbranch_scc1 .LBB28_1087
; %bb.1:
	s_clause 0x3
	s_load_b512 s[68:83], s[0:1], 0x8
	s_load_b32 s3, s[0:1], 0x6c
	s_load_b32 s102, s[0:1], 0x60
	;; [unrolled: 1-line block ×3, first 2 shown]
	s_bfe_u32 s5, ttmp6, 0x4000c
	s_and_b32 s4, ttmp6, 15
	s_add_co_i32 s5, s5, 1
	s_load_b128 s[84:87], s[0:1], 0x48
	s_mul_i32 s5, ttmp9, s5
                                        ; implicit-def: $vgpr84 : SGPR spill to VGPR lane
	v_bfe_u32 v40, v0, 10, 10
	s_add_co_i32 s6, s4, s5
	v_and_b32_e32 v2, 0x3ff, v0
	v_dual_mov_b32 v5, 0 :: v_dual_lshrrev_b32 v1, 10, v0
	s_delay_alu instid0(VALU_DEP_3) | instskip(SKIP_1) | instid1(VALU_DEP_4)
	v_lshl_add_u32 v66, v40, 3, 0xa000
	v_dual_add_nc_u32 v33, 32, v40 :: v_dual_add_nc_u32 v34, 48, v40
	v_lshl_add_u32 v30, v40, 6, v2
	s_delay_alu instid0(VALU_DEP_4)
	v_dual_mov_b32 v3, v5 :: v_dual_lshlrev_b32 v43, 3, v2
	s_wait_kmcnt 0x0
	s_lshl_b64 s[0:1], s[70:71], 3
	s_lshl_b64 s[4:5], s[80:81], 3
	s_cmp_eq_u32 s2, 0
	s_add_nc_u64 s[0:1], s[68:69], s[0:1]
	s_cselect_b32 s101, ttmp9, s6
	s_add_co_i32 s2, s90, -1
	s_ashr_i32 s91, s90, 31
	s_and_b32 s6, s3, 0xffff
	s_ashr_i32 s3, s2, 31
	s_lshr_b32 s7, s91, 26
	s_lshr_b32 s3, s3, 26
	s_add_co_i32 s7, s90, s7
	s_add_co_i32 s102, s102, -1
	s_add_co_i32 s2, s2, s3
	v_writelane_b32 v84, s0, 0
	s_and_not1_b32 s7, s7, 63
	s_sub_co_i32 s65, s102, s101
	s_ashr_i32 s2, s2, 6
	s_sub_co_i32 s15, s90, s7
	s_cmp_eq_u32 s2, s65
	v_writelane_b32 v84, s1, 1
	s_cselect_b32 s7, -1, 0
	s_cmp_lg_u32 s15, 0
	s_add_nc_u64 s[0:1], s[78:79], s[4:5]
	s_cselect_b32 s8, -1, 0
	v_writelane_b32 v84, s0, 2
	s_and_b32 s16, s8, s7
	s_add_nc_u64 s[2:3], s[72:73], 1
	s_xor_b32 s69, s16, -1
	s_cmp_lg_u32 s101, 0
	v_writelane_b32 v84, s1, 3
	s_cselect_b32 s0, -1, 0
	s_lshl_b32 s10, s65, 6
	s_delay_alu instid0(SALU_CYCLE_1) | instskip(SKIP_3) | instid1(VALU_DEP_3)
	v_dual_lshrrev_b32 v10, 1, v30 :: v_dual_add_nc_u32 v12, s10, v40
	v_add_nc_u32_e32 v6, s10, v2
	v_mad_nc_u64_u32 v[18:19], s2, s10, v[2:3]
	s_ashr_i32 s11, s10, 31
	v_dual_lshlrev_b32 v11, 9, v10 :: v_dual_add_nc_u32 v16, 64, v12
	s_delay_alu instid0(VALU_DEP_3) | instskip(SKIP_2) | instid1(VALU_DEP_2)
	v_dual_ashrrev_i32 v7, 31, v6 :: v_dual_bitop2_b32 v13, 1, v0 bitop3:0x40
	s_cmp_gt_i32 s101, 4
	s_mul_i32 s1, s3, s10
	v_ashrrev_i32_e32 v17, 31, v16
	s_mul_i32 s2, s2, s11
	s_cselect_b32 s3, -1, 0
	s_delay_alu instid0(VALU_DEP_4)
	v_add3_u32 v19, s2, s1, v19
	s_and_b32 s104, s3, s69
	v_lshl_add_u32 v3, v10, 3, 0x8000
	v_cmp_gt_u32_e64 s1, 4, v30
	v_sub_nc_u32_e32 v41, 0, v11
	v_cmp_eq_u32_e64 s2, 1, v13
	v_cmp_eq_u32_e64 s3, 0, v13
	v_and_b32_e32 v10, 3, v0
	v_bitop3_b32 v31, v0, v1, 0x3ff bitop3:0xa8
	v_dual_lshlrev_b32 v42, 3, v13 :: v_dual_lshrrev_b32 v1, 2, v30
	s_and_b32 vcc_hi, s2, s1
	s_and_b32 s36, s3, s1
	v_cmp_gt_u32_e64 s2, 16, v30
	v_cmp_eq_u32_e64 s3, 3, v10
	v_cmp_ne_u32_e64 s4, 3, v10
	v_dual_lshlrev_b32 v13, 9, v1 :: v_dual_sub_nc_u32 v44, v42, v11
	v_lshl_add_u32 v45, v1, 3, 0x8000
	v_cmp_eq_u32_e64 s5, 2, v10
	s_and_b32 s37, s3, s2
	v_cmp_gt_u32_e64 s3, 2, v10
	s_and_b32 s38, s4, s2
	v_cmp_eq_u32_e64 s4, 1, v10
	v_dual_lshlrev_b32 v1, 6, v30 :: v_dual_bitop2_b32 v11, 7, v0 bitop3:0x40
	s_and_b32 s39, s5, s2
	v_cmp_eq_u32_e64 s5, 0, v10
	s_and_b32 s40, s3, s2
	s_and_b32 s41, s4, s2
	v_cmp_gt_u32_e64 s3, 64, v30
	v_cmp_eq_u32_e64 s4, 7, v11
	s_and_b32 s42, s5, s2
	v_cmp_ne_u32_e64 s5, 7, v11
	v_mad_u32_u24 v4, v40, s6, v2
	v_cmp_eq_u32_e64 s6, 6, v11
	s_and_b32 s43, s4, s3
	v_cmp_gt_u32_e64 s4, 6, v11
	s_and_b32 s44, s5, s3
	v_cmp_gt_u32_e64 s5, 5, v11
	v_dual_sub_nc_u32 v46, 0, v13 :: v_dual_lshlrev_b32 v47, 3, v10
	s_and_b32 s46, s4, s3
	v_cmp_eq_u32_e64 s4, 4, v11
	v_and_b32_e32 v10, 0x1fff8, v30
	v_and_b32_e32 v1, 0xfffffe00, v1
	v_cmp_eq_u32_e64 s7, 5, v11
	s_and_b32 s45, s6, s3
	v_cmp_gt_u32_e64 s6, 4, v11
	s_and_b32 s48, s5, s3
	v_cmp_eq_u32_e64 s5, 3, v11
	s_and_b32 s49, s4, s3
	v_cmp_eq_u32_e64 s4, 2, v11
	v_dual_sub_nc_u32 v48, v47, v13 :: v_dual_lshlrev_b32 v51, 3, v11
	v_add_nc_u32_e32 v49, 0x8000, v10
	v_dual_sub_nc_u32 v50, 0, v1 :: v_dual_lshrrev_b32 v10, 4, v30
	s_and_b32 s47, s7, s3
	v_cmp_gt_u32_e64 s7, 3, v11
	s_and_b32 s50, s6, s3
	s_and_b32 s51, s5, s3
	v_cmp_gt_u32_e64 s5, 2, v11
	v_cmp_eq_u32_e64 s6, 1, v11
	s_and_b32 s53, s4, s3
	v_cmp_eq_u32_e64 s4, 0, v11
	v_dual_lshlrev_b32 v13, 9, v10 :: v_dual_bitop2_b32 v11, 15, v0 bitop3:0x40
	s_and_b32 s54, s5, s3
	v_writelane_b32 v84, s0, 4
	s_and_b32 s56, s4, s3
	v_cmp_gt_u32_e64 s4, 0x100, v30
	v_cmp_eq_u32_e64 s5, 15, v11
	s_and_b32 s55, s6, s3
	v_cmp_ne_u32_e64 s6, 15, v11
	s_and_b32 s52, s7, s3
	v_cmp_gt_u32_e64 s7, 14, v11
	s_and_b32 s5, s5, s4
	v_cmp_eq_u32_e64 s8, 13, v11
	v_writelane_b32 v84, s5, 5
	v_cmp_eq_u32_e64 s5, 14, v11
	s_and_b32 s6, s6, s4
	v_cmp_gt_u32_e64 s9, 13, v11
	v_dual_sub_nc_u32 v52, v51, v1 :: v_dual_lshlrev_b32 v55, 3, v11
	v_writelane_b32 v84, s6, 6
	s_and_b32 s5, s5, s4
	v_cmp_gt_u32_e64 s6, 12, v11
	v_dual_sub_nc_u32 v54, 0, v13 :: v_dual_lshrrev_b32 v1, 5, v30
	v_writelane_b32 v84, s5, 7
	s_and_b32 s5, s7, s4
	v_cmp_eq_u32_e64 s7, 11, v11
	s_and_b32 s13, s6, s4
	v_cmp_eq_u32_e64 s6, 9, v11
	v_writelane_b32 v84, s5, 8
	s_and_b32 s5, s8, s4
	v_cmp_gt_u32_e64 s8, 11, v11
	s_and_b32 s23, s7, s4
	v_cmp_gt_u32_e64 s7, 9, v11
	v_writelane_b32 v84, s5, 9
	s_and_b32 s5, s9, s4
	v_cmp_eq_u32_e64 s9, 10, v11
	s_and_b32 s25, s8, s4
	v_cmp_eq_u32_e64 s8, 8, v11
	v_writelane_b32 v84, s5, 10
	v_cmp_eq_u32_e64 s5, 12, v11
	s_and_b32 s31, s6, s4
	v_cmp_gt_u32_e64 s6, 7, v11
	s_and_b32 s27, s9, s4
	v_cmp_gt_u32_e64 s9, 8, v11
	;; [unrolled: 2-line block ×3, first 2 shown]
	s_and_b32 s34, s7, s4
	s_and_b32 s61, s8, s4
	v_cmp_eq_u32_e64 s7, 6, v11
	v_cmp_gt_u32_e64 s8, 6, v11
	s_and_b32 s29, s5, s4
	v_cmp_eq_u32_e64 s5, 7, v11
	s_and_b32 s64, s6, s4
	v_cmp_eq_u32_e64 s6, 4, v11
	;; [unrolled: 2-line block ×3, first 2 shown]
	s_and_b32 s63, s5, s4
	v_cmp_gt_u32_e64 s5, 5, v11
	s_and_b32 s24, s7, s4
	s_and_b32 s26, s8, s4
	v_cmp_gt_u32_e64 s7, 4, v11
	v_cmp_eq_u32_e64 s8, 3, v11
	s_and_b32 s30, s5, s4
	v_cmp_eq_u32_e64 s5, 2, v11
	s_and_b32 s33, s6, s4
	v_cmp_gt_u32_e64 s6, 2, v11
	v_cmp_le_i32_e64 s14, s15, v2
	v_dual_lshlrev_b32 v14, 9, v1 :: v_dual_bitop2_b32 v56, 31, v0 bitop3:0x40
	s_and_b32 s28, s9, s4
	v_cmp_gt_u32_e64 s9, 3, v11
	s_and_b32 s70, s7, s4
	s_and_b32 s71, s8, s4
	v_cmp_eq_u32_e64 s7, 1, v11
	v_cmp_eq_u32_e64 s8, 0, v11
	s_and_b32 s78, s5, s4
	v_cmp_eq_u32_e64 s5, 0, v40
	v_lshl_add_u32 v53, v10, 3, 0x8000
	s_and_b32 s79, s6, s4
	v_add_nc_u64_e32 v[10:11], s[10:11], v[4:5]
	s_and_b32 s10, s14, s16
	s_movk_i32 s6, 0x3800
	v_cmp_gt_i32_e32 vcc_lo, s15, v2
	v_mad_u32_u24 v63, 0x208, v56, s6
	s_xor_b32 s6, s10, -1
	s_and_b32 s9, s9, s4
	s_and_b32 s103, s7, s4
	;; [unrolled: 1-line block ×4, first 2 shown]
	s_cmp_gt_i32 s101, 0
	v_cmp_gt_i32_e64 s0, s90, v6
	v_mul_u64_e32 v[8:9], s[72:73], v[16:17]
	s_cselect_b32 s58, -1, 0
	v_add_nc_u32_e32 v17, 0x50, v12
	s_and_b32 s6, s5, vcc_lo
	v_cmp_gt_i32_e32 vcc_lo, s90, v16
	v_writelane_b32 v84, s6, 11
	v_add_nc_u32_e32 v20, 0x60, v12
	v_cmp_gt_i32_e64 s6, s90, v17
	v_add_nc_u32_e32 v21, 0x70, v12
	s_and_b32 s16, s0, vcc_lo
	v_cmp_le_i32_e32 vcc_lo, s15, v40
	v_writelane_b32 v84, s16, 12
	v_cmp_gt_i32_e64 s7, s90, v20
	s_and_b32 s6, s0, s6
	v_cmp_gt_i32_e64 s8, s90, v21
	v_dual_add_nc_u32 v70, v66, v43 :: v_dual_add_nc_u32 v32, 16, v40
	v_writelane_b32 v84, s6, 13
	s_and_b32 s6, s0, s7
	v_cmp_le_u32_e64 s7, v40, v2
                                        ; implicit-def: $vgpr83 : SGPR spill to VGPR lane
                                        ; implicit-def: $vgpr82 : SGPR spill to VGPR lane
	v_dual_lshlrev_b32 v0, 9, v56 :: v_dual_lshlrev_b32 v60, 3, v56
	v_writelane_b32 v84, s6, 14
	s_and_b32 s6, s0, s8
	v_lshl_add_u32 v58, v1, 3, 0x8000
	s_delay_alu instid0(VALU_DEP_3)
	v_dual_sub_nc_u32 v62, 0, v0 :: v_dual_sub_nc_u32 v64, v60, v14
	v_writelane_b32 v84, s6, 15
	s_or_b32 s6, vcc_lo, s14
	v_cmp_le_i32_e32 vcc_lo, s15, v32
	s_or_b32 s6, s6, s7
	v_mul_u64_e32 v[0:1], s[82:83], v[6:7]
	v_writelane_b32 v84, s7, 16
	v_cmp_le_u32_e64 s7, v32, v2
	v_mul_u64_e32 v[10:11], s[82:83], v[10:11]
	v_dual_sub_nc_u32 v57, v55, v13 :: v_dual_sub_nc_u32 v59, 0, v14
	v_writelane_b32 v84, s6, 17
	s_or_b32 s6, vcc_lo, s14
	v_cmp_le_i32_e32 vcc_lo, s15, v33
	s_or_b32 s6, s6, s7
	v_mad_nc_u64_u32 v[12:13], s72, v40, v[18:19]
	v_writelane_b32 v84, s7, 18
	v_cmp_le_u32_e64 s7, v33, v2
	v_mad_nc_u64_u32 v[14:15], s72, v32, v[18:19]
	v_mad_nc_u64_u32 v[16:17], s72, v33, v[18:19]
	;; [unrolled: 1-line block ×3, first 2 shown]
	v_writelane_b32 v84, s6, 19
	s_or_b32 s6, vcc_lo, s14
	v_cmp_le_i32_e32 vcc_lo, s15, v34
	s_or_b32 s6, s6, s7
	v_cmp_ne_u32_e64 s8, v2, v33
	v_writelane_b32 v84, s7, 20
	v_cmp_le_u32_e64 s7, v34, v2
	v_or_b32_e32 v35, v32, v2
	v_or_b32_e32 v36, v33, v2
	v_cmp_ne_u32_e64 s15, v2, v34
	v_writelane_b32 v84, s6, 21
	s_or_b32 s6, vcc_lo, s14
	v_mad_u32 v13, s73, v40, v13
	s_or_b32 s6, s6, s7
	v_mad_u32 v15, s73, v32, v15
	v_writelane_b32 v84, s7, 22
	v_cmp_ne_u32_e64 s7, v2, v32
	v_mad_u32 v17, s73, v33, v17
	v_mad_u32 v19, s73, v34, v19
	v_or_b32_e32 v37, v34, v2
	v_writelane_b32 v84, s6, 23
	v_cmp_ne_u32_e64 s6, v2, v40
	v_mov_b64_e32 v[20:21], 0
	v_cmp_lt_u32_e32 vcc_lo, 0x3ff, v30
	v_mul_u32_u24_e32 v61, 0x208, v56
	v_lshl_add_u32 v65, v4, 3, 0xa000
	v_writelane_b32 v84, s6, 24
	s_or_b32 s6, s14, s6
	v_lshl_add_u32 v67, v30, 3, 0x8000
	v_add_nc_u32_e32 v68, 0x8000, v43
	v_lshl_add_u32 v69, v40, 9, v43
	v_writelane_b32 v84, s6, 25
	s_or_b32 s6, s14, s7
	v_lshl_add_u32 v71, v2, 9, v43
	v_lshl_add_u32 v72, v32, 9, v43
	;; [unrolled: 1-line block ×3, first 2 shown]
	v_writelane_b32 v84, s7, 26
	v_cmp_gt_u32_e64 s7, 0xf0, v30
	v_lshl_add_u32 v74, v34, 9, v43
	v_add_nc_u32_e32 v75, 0x7800, v43
	v_subrev_nc_u32_e32 v76, 63, v2
	v_writelane_b32 v84, s6, 27
	v_writelane_b32 v83, s7, 0
	v_cmp_gt_u32_e64 s7, 0xe0, v30
	s_or_b32 s6, s14, s8
	v_cmp_gt_u32_e64 s16, 12, v30
	v_writelane_b32 v84, s8, 28
	v_cmp_gt_u32_e64 s17, 8, v30
	v_writelane_b32 v83, s7, 1
	v_cmp_gt_u32_e64 s7, 0xd0, v30
	v_cmp_gt_u32_e64 s18, 56, v30
	v_writelane_b32 v84, s6, 29
	s_or_b32 s6, s14, s15
	v_cmp_eq_u32_e64 s14, 0, v31
	v_writelane_b32 v83, s7, 2
	v_cmp_gt_u32_e64 s7, 0xc0, v30
	v_writelane_b32 v84, s15, 30
	v_cmp_gt_u32_e64 s15, 2, v30
	v_cmp_gt_u32_e64 s19, 48, v30
	;; [unrolled: 1-line block ×3, first 2 shown]
	v_writelane_b32 v83, s7, 3
	v_cmp_gt_u32_e64 s7, 0xb0, v30
	v_cmp_gt_u32_e64 s21, 32, v30
	;; [unrolled: 1-line block ×4, first 2 shown]
	v_cmp_eq_u32_e64 s59, 0, v4
	v_writelane_b32 v83, s7, 4
	v_cmp_gt_u32_e64 s7, 0xa0, v30
	v_cmp_gt_u32_e64 s60, 64, v4
	s_add_co_i32 s65, s65, 1
	v_writelane_b32 v84, s6, 31
	s_xor_b32 s6, vcc_lo, -1
	v_writelane_b32 v83, s7, 5
	v_cmp_gt_u32_e64 s7, 0x90, v30
	s_lshl_b64 s[80:81], s[72:73], 7
	s_lshl_b64 s[92:93], s[72:73], 8
	s_mul_u64 s[94:95], s[72:73], 0x180
                                        ; implicit-def: $vgpr22_vgpr23
                                        ; implicit-def: $vgpr24_vgpr25
                                        ; implicit-def: $vgpr26_vgpr27
                                        ; implicit-def: $vgpr28_vgpr29
	v_writelane_b32 v83, s7, 6
	v_cmp_gt_u32_e64 s7, 0x80, v30
	s_delay_alu instid0(VALU_DEP_1) | instskip(SKIP_1) | instid1(VALU_DEP_1)
	v_writelane_b32 v83, s7, 7
	v_cmp_gt_u32_e64 s7, 0x70, v30
	v_writelane_b32 v83, s7, 8
	v_cmp_gt_u32_e64 s7, 0x60, v30
	s_delay_alu instid0(VALU_DEP_1) | instskip(SKIP_1) | instid1(VALU_DEP_1)
	v_writelane_b32 v83, s7, 9
	v_cmp_gt_u32_e64 s7, 0x50, v30
	v_writelane_b32 v83, s7, 10
	v_cmp_gt_u32_e64 s7, 0x3e0, v30
	s_delay_alu instid0(VALU_DEP_1) | instskip(SKIP_1) | instid1(VALU_DEP_1)
	v_writelane_b32 v83, s7, 11
	v_cmp_gt_u32_e64 s7, 0x3c0, v30
	v_writelane_b32 v83, s7, 12
	v_cmp_gt_u32_e64 s7, 0x3a0, v30
	s_delay_alu instid0(VALU_DEP_1) | instskip(SKIP_1) | instid1(VALU_DEP_1)
	v_writelane_b32 v83, s7, 13
	v_cmp_gt_u32_e64 s7, 0x380, v30
	v_writelane_b32 v83, s7, 14
	v_cmp_gt_u32_e64 s7, 0x360, v30
	s_delay_alu instid0(VALU_DEP_1) | instskip(SKIP_1) | instid1(VALU_DEP_1)
	v_writelane_b32 v83, s7, 15
	v_cmp_gt_u32_e64 s7, 0x340, v30
	v_writelane_b32 v83, s7, 16
	v_cmp_gt_u32_e64 s7, 0x320, v30
	s_delay_alu instid0(VALU_DEP_1) | instskip(SKIP_1) | instid1(VALU_DEP_1)
	v_writelane_b32 v83, s7, 17
	v_cmp_gt_u32_e64 s7, 0x300, v30
	v_writelane_b32 v83, s7, 18
	v_cmp_gt_u32_e64 s7, 0x2e0, v30
	s_delay_alu instid0(VALU_DEP_1) | instskip(SKIP_1) | instid1(VALU_DEP_1)
	v_writelane_b32 v83, s7, 19
	v_cmp_gt_u32_e64 s7, 0x2c0, v30
	v_writelane_b32 v83, s7, 20
	v_cmp_gt_u32_e64 s7, 0x2a0, v30
	s_delay_alu instid0(VALU_DEP_1) | instskip(SKIP_1) | instid1(VALU_DEP_1)
	v_writelane_b32 v83, s7, 21
	v_cmp_gt_u32_e64 s7, 0x280, v30
	v_writelane_b32 v83, s7, 22
	v_cmp_gt_u32_e64 s7, 0x260, v30
	s_delay_alu instid0(VALU_DEP_1) | instskip(SKIP_1) | instid1(VALU_DEP_1)
	v_writelane_b32 v83, s7, 23
	v_cmp_gt_u32_e64 s7, 0x240, v30
	v_writelane_b32 v83, s7, 24
	v_cmp_gt_u32_e64 s7, 0x220, v30
	s_delay_alu instid0(VALU_DEP_1) | instskip(SKIP_1) | instid1(VALU_DEP_1)
	v_writelane_b32 v83, s7, 25
	v_cmp_gt_u32_e64 s7, 0x200, v30
	v_writelane_b32 v83, s7, 26
	v_cmp_gt_u32_e64 s7, 0x1e0, v30
	s_delay_alu instid0(VALU_DEP_1) | instskip(SKIP_1) | instid1(VALU_DEP_1)
	v_writelane_b32 v83, s7, 27
	v_cmp_gt_u32_e64 s7, 0x1c0, v30
	v_writelane_b32 v83, s7, 28
	v_cmp_gt_u32_e64 s7, 0x1a0, v30
	s_delay_alu instid0(VALU_DEP_1) | instskip(SKIP_1) | instid1(VALU_DEP_1)
	v_writelane_b32 v83, s7, 29
	v_cmp_gt_u32_e64 s7, 0x180, v30
	v_writelane_b32 v83, s7, 30
	v_cmp_gt_u32_e64 s7, 0x160, v30
	s_delay_alu instid0(VALU_DEP_1) | instskip(SKIP_1) | instid1(VALU_DEP_1)
	v_writelane_b32 v83, s7, 31
	v_cmp_gt_u32_e64 s7, 0x140, v30
	v_writelane_b32 v82, s7, 0
	v_cmp_gt_u32_e64 s7, 0x120, v30
	s_delay_alu instid0(VALU_DEP_1) | instskip(SKIP_1) | instid1(VALU_DEP_1)
	v_writelane_b32 v82, s7, 1
	v_cmp_le_u32_e64 s7, v2, v40
	v_writelane_b32 v82, s7, 2
	v_cmp_le_u32_e64 s7, v2, v32
	s_delay_alu instid0(VALU_DEP_1) | instskip(SKIP_1) | instid1(VALU_DEP_1)
	v_writelane_b32 v82, s7, 3
	v_cmp_le_u32_e64 s7, v2, v33
	v_writelane_b32 v82, s7, 4
	v_cmp_le_u32_e64 s7, v2, v34
	s_delay_alu instid0(VALU_DEP_1) | instskip(SKIP_1) | instid1(VALU_DEP_1)
	v_writelane_b32 v82, s7, 5
	v_cmp_gt_u32_e64 s7, 64, v31
	v_writelane_b32 v82, s7, 6
	v_cmp_gt_u32_e64 s7, 64, v35
	s_delay_alu instid0(VALU_DEP_1) | instskip(SKIP_1) | instid1(VALU_DEP_1)
	v_writelane_b32 v82, s7, 7
	v_cmp_gt_u32_e64 s7, 64, v36
	v_writelane_b32 v82, s7, 8
	v_cmp_gt_u32_e64 s7, 64, v37
	s_delay_alu instid0(VALU_DEP_1)
	v_writelane_b32 v82, s7, 9
	s_branch .LBB28_3
.LBB28_2:                               ;   in Loop: Header=BB28_3 Depth=1
	s_wait_xcnt 0x0
	s_or_b32 exec_lo, exec_lo, s7
	s_add_co_i32 s88, s88, 0x10000
	global_wb scope:SCOPE_DEV
	s_wait_storecnt 0x0
	global_inv scope:SCOPE_DEV
	s_cmp_lt_u32 s88, s100
	s_cbranch_scc0 .LBB28_1087
.LBB28_3:                               ; =>This Loop Header: Depth=1
                                        ;     Child Loop BB28_542 Depth 2
                                        ;     Child Loop BB28_959 Depth 2
                                        ;       Child Loop BB28_961 Depth 3
                                        ;     Child Loop BB28_999 Depth 2
	global_load_b64 v[30:31], v5, s[76:77]
	v_readlane_b32 s96, v84, 0
	v_readlane_b32 s7, v84, 4
	;; [unrolled: 1-line block ×3, first 2 shown]
	s_mul_u64 s[66:67], s[74:75], s[88:89]
	s_delay_alu instid0(SALU_CYCLE_1)
	s_lshl_b64 s[66:67], s[66:67], 3
	s_and_not1_b32 vcc_lo, exec_lo, s7
	s_add_nc_u64 s[96:97], s[96:97], s[66:67]
	s_cbranch_vccnz .LBB28_13
; %bb.4:                                ;   in Loop: Header=BB28_3 Depth=1
	v_lshl_add_u64 v[26:27], v[8:9], 3, s[96:97]
	v_mov_b64_e32 v[24:25], 0
	v_mov_b64_e32 v[22:23], 0
	s_wait_loadcnt 0x0
	s_barrier_signal -1
	v_lshl_add_u64 v[32:33], v[6:7], 3, v[26:27]
	s_barrier_wait -1
	s_wait_xcnt 0x0
	s_mov_b32 s7, exec_lo
	v_readlane_b32 s8, v84, 12
	s_and_b32 s8, s7, s8
	s_delay_alu instid0(SALU_CYCLE_1)
	s_mov_b32 exec_lo, s8
	s_cbranch_execz .LBB28_6
; %bb.5:                                ;   in Loop: Header=BB28_3 Depth=1
	global_load_b64 v[22:23], v[32:33], off
.LBB28_6:                               ;   in Loop: Header=BB28_3 Depth=1
	s_wait_xcnt 0x0
	s_or_b32 exec_lo, exec_lo, s7
	s_wait_loadcnt 0x0
	s_barrier_signal -1
	s_barrier_wait -1
	s_mov_b32 s7, exec_lo
	v_readlane_b32 s8, v84, 13
	s_and_b32 s8, s7, s8
	s_delay_alu instid0(SALU_CYCLE_1)
	s_mov_b32 exec_lo, s8
	s_cbranch_execz .LBB28_8
; %bb.7:                                ;   in Loop: Header=BB28_3 Depth=1
	v_add_nc_u64_e32 v[24:25], s[80:81], v[32:33]
	global_load_b64 v[24:25], v[24:25], off
.LBB28_8:                               ;   in Loop: Header=BB28_3 Depth=1
	s_wait_xcnt 0x0
	s_or_b32 exec_lo, exec_lo, s7
	v_mov_b64_e32 v[28:29], 0
	v_mov_b64_e32 v[26:27], 0
	s_wait_loadcnt 0x0
	s_barrier_signal -1
	s_barrier_wait -1
	s_mov_b32 s7, exec_lo
	v_readlane_b32 s8, v84, 14
	s_and_b32 s8, s7, s8
	s_delay_alu instid0(SALU_CYCLE_1)
	s_mov_b32 exec_lo, s8
	s_cbranch_execz .LBB28_10
; %bb.9:                                ;   in Loop: Header=BB28_3 Depth=1
	v_add_nc_u64_e32 v[26:27], s[92:93], v[32:33]
	global_load_b64 v[26:27], v[26:27], off
.LBB28_10:                              ;   in Loop: Header=BB28_3 Depth=1
	s_wait_xcnt 0x0
	s_or_b32 exec_lo, exec_lo, s7
	s_wait_loadcnt 0x0
	s_barrier_signal -1
	s_barrier_wait -1
	s_mov_b32 s7, exec_lo
	v_readlane_b32 s8, v84, 15
	s_and_b32 s8, s7, s8
	s_delay_alu instid0(SALU_CYCLE_1)
	s_mov_b32 exec_lo, s8
	s_cbranch_execz .LBB28_12
; %bb.11:                               ;   in Loop: Header=BB28_3 Depth=1
	v_add_nc_u64_e32 v[28:29], s[94:95], v[32:33]
	global_load_b64 v[28:29], v[28:29], off
.LBB28_12:                              ;   in Loop: Header=BB28_3 Depth=1
	s_wait_xcnt 0x0
	s_or_b32 exec_lo, exec_lo, s7
.LBB28_13:                              ;   in Loop: Header=BB28_3 Depth=1
	s_delay_alu instid0(SALU_CYCLE_1)
	s_and_not1_b32 vcc_lo, exec_lo, s69
	s_mov_b32 s7, -1
	s_cbranch_vccnz .LBB28_49
; %bb.14:                               ;   in Loop: Header=BB28_3 Depth=1
	s_mov_b32 s8, 0
                                        ; implicit-def: $vgpr32_vgpr33
	s_wait_xcnt 0x0
	s_mov_b32 s7, exec_lo
	v_readlane_b32 s66, v84, 16
	s_and_b32 s66, s7, s66
	s_delay_alu instid0(SALU_CYCLE_1)
	s_xor_b32 s7, s66, s7
	s_mov_b32 exec_lo, s66
	s_cbranch_execnz .LBB28_1021
; %bb.15:                               ;   in Loop: Header=BB28_3 Depth=1
	s_and_not1_saveexec_b32 s7, s7
	s_cbranch_execnz .LBB28_1026
.LBB28_16:                              ;   in Loop: Header=BB28_3 Depth=1
	s_or_b32 exec_lo, exec_lo, s7
	s_and_saveexec_b32 s7, s8
.LBB28_17:                              ;   in Loop: Header=BB28_3 Depth=1
	ds_store_b64 v69, v[32:33]
.LBB28_18:                              ;   in Loop: Header=BB28_3 Depth=1
	s_or_b32 exec_lo, exec_lo, s7
	s_delay_alu instid0(SALU_CYCLE_1) | instskip(SKIP_2) | instid1(SALU_CYCLE_1)
	s_mov_b32 s7, exec_lo
	v_readlane_b32 s8, v84, 18
	s_and_b32 s8, s7, s8
	s_xor_b32 s7, s8, s7
	s_mov_b32 exec_lo, s8
	s_cbranch_execz .LBB28_26
; %bb.19:                               ;   in Loop: Header=BB28_3 Depth=1
	s_mov_b32 s8, exec_lo
	v_readlane_b32 s66, v84, 26
	s_and_b32 s66, s8, s66
	s_delay_alu instid0(SALU_CYCLE_1)
	s_xor_b32 s8, s66, s8
	s_mov_b32 exec_lo, s66
	s_cbranch_execz .LBB28_23
; %bb.20:                               ;   in Loop: Header=BB28_3 Depth=1
	s_mov_b32 s66, exec_lo
	v_readlane_b32 s67, v82, 7
	s_and_b32 s67, s66, s67
	s_delay_alu instid0(SALU_CYCLE_1)
	s_mov_b32 exec_lo, s67
; %bb.21:                               ;   in Loop: Header=BB28_3 Depth=1
	ds_store_b64 v72, v[20:21]
; %bb.22:                               ;   in Loop: Header=BB28_3 Depth=1
	s_or_b32 exec_lo, exec_lo, s66
.LBB28_23:                              ;   in Loop: Header=BB28_3 Depth=1
	s_and_not1_saveexec_b32 s8, s8
	s_cbranch_execz .LBB28_25
; %bb.24:                               ;   in Loop: Header=BB28_3 Depth=1
	v_lshl_add_u64 v[32:33], v[14:15], 3, s[96:97]
	global_load_b64 v[32:33], v[32:33], off
	s_wait_loadcnt 0x0
	v_div_scale_f64 v[34:35], null, v[32:33], v[32:33], 1.0
	s_delay_alu instid0(VALU_DEP_1) | instskip(SKIP_1) | instid1(TRANS32_DEP_1)
	v_rcp_f64_e32 v[36:37], v[34:35]
	v_nop
	v_fma_f64 v[38:39], -v[34:35], v[36:37], 1.0
	s_delay_alu instid0(VALU_DEP_1) | instskip(NEXT) | instid1(VALU_DEP_1)
	v_fmac_f64_e32 v[36:37], v[36:37], v[38:39]
	v_fma_f64 v[38:39], -v[34:35], v[36:37], 1.0
	s_delay_alu instid0(VALU_DEP_1) | instskip(SKIP_1) | instid1(VALU_DEP_1)
	v_fmac_f64_e32 v[36:37], v[36:37], v[38:39]
	v_div_scale_f64 v[38:39], vcc_lo, 1.0, v[32:33], 1.0
	v_mul_f64_e32 v[78:79], v[38:39], v[36:37]
	s_delay_alu instid0(VALU_DEP_1) | instskip(NEXT) | instid1(VALU_DEP_1)
	v_fma_f64 v[34:35], -v[34:35], v[78:79], v[38:39]
	v_div_fmas_f64 v[34:35], v[34:35], v[36:37], v[78:79]
	s_delay_alu instid0(VALU_DEP_1)
	v_div_fixup_f64 v[32:33], v[34:35], v[32:33], 1.0
	ds_store_b64 v72, v[32:33]
.LBB28_25:                              ;   in Loop: Header=BB28_3 Depth=1
	s_or_b32 exec_lo, exec_lo, s8
.LBB28_26:                              ;   in Loop: Header=BB28_3 Depth=1
	s_and_not1_saveexec_b32 s7, s7
	s_cbranch_execz .LBB28_28
; %bb.27:                               ;   in Loop: Header=BB28_3 Depth=1
	v_lshl_add_u64 v[32:33], v[14:15], 3, s[96:97]
	global_load_b64 v[32:33], v[32:33], off
	s_wait_loadcnt 0x0
	v_xor_b32_e32 v33, 0x80000000, v33
	ds_store_b64 v72, v[32:33]
.LBB28_28:                              ;   in Loop: Header=BB28_3 Depth=1
	s_or_b32 exec_lo, exec_lo, s7
	s_delay_alu instid0(SALU_CYCLE_1) | instskip(SKIP_2) | instid1(SALU_CYCLE_1)
	s_mov_b32 s7, exec_lo
	v_readlane_b32 s8, v84, 20
	s_and_b32 s8, s7, s8
	s_xor_b32 s7, s8, s7
	s_mov_b32 exec_lo, s8
	s_cbranch_execz .LBB28_36
; %bb.29:                               ;   in Loop: Header=BB28_3 Depth=1
	s_mov_b32 s8, exec_lo
	v_readlane_b32 s66, v84, 28
	s_and_b32 s66, s8, s66
	s_delay_alu instid0(SALU_CYCLE_1)
	s_xor_b32 s8, s66, s8
	s_mov_b32 exec_lo, s66
	s_cbranch_execz .LBB28_33
; %bb.30:                               ;   in Loop: Header=BB28_3 Depth=1
	s_mov_b32 s66, exec_lo
	v_readlane_b32 s67, v82, 8
	s_and_b32 s67, s66, s67
	s_delay_alu instid0(SALU_CYCLE_1)
	s_mov_b32 exec_lo, s67
; %bb.31:                               ;   in Loop: Header=BB28_3 Depth=1
	ds_store_b64 v73, v[20:21]
; %bb.32:                               ;   in Loop: Header=BB28_3 Depth=1
	s_or_b32 exec_lo, exec_lo, s66
.LBB28_33:                              ;   in Loop: Header=BB28_3 Depth=1
	s_and_not1_saveexec_b32 s8, s8
	s_cbranch_execz .LBB28_35
; %bb.34:                               ;   in Loop: Header=BB28_3 Depth=1
	v_lshl_add_u64 v[32:33], v[16:17], 3, s[96:97]
	global_load_b64 v[32:33], v[32:33], off
	s_wait_loadcnt 0x0
	v_div_scale_f64 v[34:35], null, v[32:33], v[32:33], 1.0
	s_delay_alu instid0(VALU_DEP_1) | instskip(SKIP_1) | instid1(TRANS32_DEP_1)
	v_rcp_f64_e32 v[36:37], v[34:35]
	v_nop
	v_fma_f64 v[38:39], -v[34:35], v[36:37], 1.0
	s_delay_alu instid0(VALU_DEP_1) | instskip(NEXT) | instid1(VALU_DEP_1)
	v_fmac_f64_e32 v[36:37], v[36:37], v[38:39]
	v_fma_f64 v[38:39], -v[34:35], v[36:37], 1.0
	s_delay_alu instid0(VALU_DEP_1) | instskip(SKIP_1) | instid1(VALU_DEP_1)
	v_fmac_f64_e32 v[36:37], v[36:37], v[38:39]
	v_div_scale_f64 v[38:39], vcc_lo, 1.0, v[32:33], 1.0
	v_mul_f64_e32 v[78:79], v[38:39], v[36:37]
	s_delay_alu instid0(VALU_DEP_1) | instskip(NEXT) | instid1(VALU_DEP_1)
	v_fma_f64 v[34:35], -v[34:35], v[78:79], v[38:39]
	v_div_fmas_f64 v[34:35], v[34:35], v[36:37], v[78:79]
	s_delay_alu instid0(VALU_DEP_1)
	v_div_fixup_f64 v[32:33], v[34:35], v[32:33], 1.0
	ds_store_b64 v73, v[32:33]
.LBB28_35:                              ;   in Loop: Header=BB28_3 Depth=1
	s_or_b32 exec_lo, exec_lo, s8
.LBB28_36:                              ;   in Loop: Header=BB28_3 Depth=1
	s_and_not1_saveexec_b32 s7, s7
	s_cbranch_execz .LBB28_38
; %bb.37:                               ;   in Loop: Header=BB28_3 Depth=1
	v_lshl_add_u64 v[32:33], v[16:17], 3, s[96:97]
	global_load_b64 v[32:33], v[32:33], off
	s_wait_loadcnt 0x0
	v_xor_b32_e32 v33, 0x80000000, v33
	ds_store_b64 v73, v[32:33]
.LBB28_38:                              ;   in Loop: Header=BB28_3 Depth=1
	s_or_b32 exec_lo, exec_lo, s7
	s_delay_alu instid0(SALU_CYCLE_1) | instskip(SKIP_2) | instid1(SALU_CYCLE_1)
	s_mov_b32 s7, exec_lo
	v_readlane_b32 s8, v84, 22
	s_and_b32 s8, s7, s8
	s_xor_b32 s7, s8, s7
	s_mov_b32 exec_lo, s8
	s_cbranch_execz .LBB28_46
; %bb.39:                               ;   in Loop: Header=BB28_3 Depth=1
	s_mov_b32 s8, exec_lo
	v_readlane_b32 s66, v84, 30
	s_and_b32 s66, s8, s66
	s_delay_alu instid0(SALU_CYCLE_1)
	s_xor_b32 s8, s66, s8
	s_mov_b32 exec_lo, s66
	s_cbranch_execz .LBB28_43
; %bb.40:                               ;   in Loop: Header=BB28_3 Depth=1
	s_mov_b32 s66, exec_lo
	v_readlane_b32 s67, v82, 9
	s_and_b32 s67, s66, s67
	s_delay_alu instid0(SALU_CYCLE_1)
	s_mov_b32 exec_lo, s67
; %bb.41:                               ;   in Loop: Header=BB28_3 Depth=1
	ds_store_b64 v74, v[20:21]
; %bb.42:                               ;   in Loop: Header=BB28_3 Depth=1
	s_or_b32 exec_lo, exec_lo, s66
.LBB28_43:                              ;   in Loop: Header=BB28_3 Depth=1
	s_and_not1_saveexec_b32 s8, s8
	s_cbranch_execz .LBB28_45
; %bb.44:                               ;   in Loop: Header=BB28_3 Depth=1
	v_lshl_add_u64 v[32:33], v[18:19], 3, s[96:97]
	global_load_b64 v[32:33], v[32:33], off
	s_wait_loadcnt 0x0
	v_div_scale_f64 v[34:35], null, v[32:33], v[32:33], 1.0
	s_delay_alu instid0(VALU_DEP_1) | instskip(SKIP_1) | instid1(TRANS32_DEP_1)
	v_rcp_f64_e32 v[36:37], v[34:35]
	v_nop
	v_fma_f64 v[38:39], -v[34:35], v[36:37], 1.0
	s_delay_alu instid0(VALU_DEP_1) | instskip(NEXT) | instid1(VALU_DEP_1)
	v_fmac_f64_e32 v[36:37], v[36:37], v[38:39]
	v_fma_f64 v[38:39], -v[34:35], v[36:37], 1.0
	s_delay_alu instid0(VALU_DEP_1) | instskip(SKIP_1) | instid1(VALU_DEP_1)
	v_fmac_f64_e32 v[36:37], v[36:37], v[38:39]
	v_div_scale_f64 v[38:39], vcc_lo, 1.0, v[32:33], 1.0
	v_mul_f64_e32 v[78:79], v[38:39], v[36:37]
	s_delay_alu instid0(VALU_DEP_1) | instskip(NEXT) | instid1(VALU_DEP_1)
	v_fma_f64 v[34:35], -v[34:35], v[78:79], v[38:39]
	v_div_fmas_f64 v[34:35], v[34:35], v[36:37], v[78:79]
	s_delay_alu instid0(VALU_DEP_1)
	v_div_fixup_f64 v[32:33], v[34:35], v[32:33], 1.0
	ds_store_b64 v74, v[32:33]
.LBB28_45:                              ;   in Loop: Header=BB28_3 Depth=1
	s_or_b32 exec_lo, exec_lo, s8
.LBB28_46:                              ;   in Loop: Header=BB28_3 Depth=1
	s_and_not1_saveexec_b32 s7, s7
	s_cbranch_execz .LBB28_48
; %bb.47:                               ;   in Loop: Header=BB28_3 Depth=1
	v_lshl_add_u64 v[32:33], v[18:19], 3, s[96:97]
	global_load_b64 v[32:33], v[32:33], off
	s_wait_loadcnt 0x0
	v_xor_b32_e32 v33, 0x80000000, v33
	ds_store_b64 v74, v[32:33]
.LBB28_48:                              ;   in Loop: Header=BB28_3 Depth=1
	s_or_b32 exec_lo, exec_lo, s7
	s_mov_b32 s7, 0
.LBB28_49:                              ;   in Loop: Header=BB28_3 Depth=1
	s_delay_alu instid0(SALU_CYCLE_1)
	s_and_b32 vcc_lo, exec_lo, s7
	s_cbranch_vccz .LBB28_85
; %bb.50:                               ;   in Loop: Header=BB28_3 Depth=1
	s_mov_b32 s8, 0
                                        ; implicit-def: $vgpr32_vgpr33
	s_wait_xcnt 0x0
	s_mov_b32 s7, exec_lo
	v_readlane_b32 s66, v84, 17
	s_and_b32 s66, s7, s66
	s_delay_alu instid0(SALU_CYCLE_1)
	s_xor_b32 s7, s66, s7
	s_mov_b32 exec_lo, s66
	s_cbranch_execnz .LBB28_1027
; %bb.51:                               ;   in Loop: Header=BB28_3 Depth=1
	s_and_not1_saveexec_b32 s7, s7
	s_cbranch_execnz .LBB28_1032
.LBB28_52:                              ;   in Loop: Header=BB28_3 Depth=1
	s_or_b32 exec_lo, exec_lo, s7
	s_and_saveexec_b32 s7, s8
.LBB28_53:                              ;   in Loop: Header=BB28_3 Depth=1
	ds_store_b64 v69, v[32:33]
.LBB28_54:                              ;   in Loop: Header=BB28_3 Depth=1
	s_or_b32 exec_lo, exec_lo, s7
	s_delay_alu instid0(SALU_CYCLE_1) | instskip(SKIP_2) | instid1(SALU_CYCLE_1)
	s_mov_b32 s7, exec_lo
	v_readlane_b32 s8, v84, 19
	s_and_b32 s8, s7, s8
	s_xor_b32 s7, s8, s7
	s_mov_b32 exec_lo, s8
	s_cbranch_execz .LBB28_62
; %bb.55:                               ;   in Loop: Header=BB28_3 Depth=1
	s_mov_b32 s8, exec_lo
	v_readlane_b32 s66, v84, 27
	s_and_b32 s66, s8, s66
	s_delay_alu instid0(SALU_CYCLE_1)
	s_xor_b32 s8, s66, s8
	s_mov_b32 exec_lo, s66
	s_cbranch_execz .LBB28_59
; %bb.56:                               ;   in Loop: Header=BB28_3 Depth=1
	s_mov_b32 s66, exec_lo
	v_readlane_b32 s67, v82, 7
	s_and_b32 s67, s66, s67
	s_delay_alu instid0(SALU_CYCLE_1)
	s_mov_b32 exec_lo, s67
; %bb.57:                               ;   in Loop: Header=BB28_3 Depth=1
	ds_store_b64 v72, v[20:21]
; %bb.58:                               ;   in Loop: Header=BB28_3 Depth=1
	s_or_b32 exec_lo, exec_lo, s66
.LBB28_59:                              ;   in Loop: Header=BB28_3 Depth=1
	s_and_not1_saveexec_b32 s8, s8
	s_cbranch_execz .LBB28_61
; %bb.60:                               ;   in Loop: Header=BB28_3 Depth=1
	v_lshl_add_u64 v[32:33], v[14:15], 3, s[96:97]
	global_load_b64 v[32:33], v[32:33], off
	s_wait_loadcnt 0x0
	v_div_scale_f64 v[34:35], null, v[32:33], v[32:33], 1.0
	s_delay_alu instid0(VALU_DEP_1) | instskip(SKIP_1) | instid1(TRANS32_DEP_1)
	v_rcp_f64_e32 v[36:37], v[34:35]
	v_nop
	v_fma_f64 v[38:39], -v[34:35], v[36:37], 1.0
	s_delay_alu instid0(VALU_DEP_1) | instskip(NEXT) | instid1(VALU_DEP_1)
	v_fmac_f64_e32 v[36:37], v[36:37], v[38:39]
	v_fma_f64 v[38:39], -v[34:35], v[36:37], 1.0
	s_delay_alu instid0(VALU_DEP_1) | instskip(SKIP_1) | instid1(VALU_DEP_1)
	v_fmac_f64_e32 v[36:37], v[36:37], v[38:39]
	v_div_scale_f64 v[38:39], vcc_lo, 1.0, v[32:33], 1.0
	v_mul_f64_e32 v[78:79], v[38:39], v[36:37]
	s_delay_alu instid0(VALU_DEP_1) | instskip(NEXT) | instid1(VALU_DEP_1)
	v_fma_f64 v[34:35], -v[34:35], v[78:79], v[38:39]
	v_div_fmas_f64 v[34:35], v[34:35], v[36:37], v[78:79]
	s_delay_alu instid0(VALU_DEP_1)
	v_div_fixup_f64 v[32:33], v[34:35], v[32:33], 1.0
	ds_store_b64 v72, v[32:33]
.LBB28_61:                              ;   in Loop: Header=BB28_3 Depth=1
	s_or_b32 exec_lo, exec_lo, s8
.LBB28_62:                              ;   in Loop: Header=BB28_3 Depth=1
	s_and_not1_saveexec_b32 s7, s7
	s_cbranch_execz .LBB28_64
; %bb.63:                               ;   in Loop: Header=BB28_3 Depth=1
	v_lshl_add_u64 v[32:33], v[14:15], 3, s[96:97]
	global_load_b64 v[32:33], v[32:33], off
	s_wait_loadcnt 0x0
	v_xor_b32_e32 v33, 0x80000000, v33
	ds_store_b64 v72, v[32:33]
.LBB28_64:                              ;   in Loop: Header=BB28_3 Depth=1
	s_or_b32 exec_lo, exec_lo, s7
	s_delay_alu instid0(SALU_CYCLE_1) | instskip(SKIP_2) | instid1(SALU_CYCLE_1)
	s_mov_b32 s7, exec_lo
	v_readlane_b32 s8, v84, 21
	s_and_b32 s8, s7, s8
	s_xor_b32 s7, s8, s7
	s_mov_b32 exec_lo, s8
	s_cbranch_execz .LBB28_72
; %bb.65:                               ;   in Loop: Header=BB28_3 Depth=1
	s_mov_b32 s8, exec_lo
	v_readlane_b32 s66, v84, 29
	s_and_b32 s66, s8, s66
	s_delay_alu instid0(SALU_CYCLE_1)
	s_xor_b32 s8, s66, s8
	s_mov_b32 exec_lo, s66
	s_cbranch_execz .LBB28_69
; %bb.66:                               ;   in Loop: Header=BB28_3 Depth=1
	s_mov_b32 s66, exec_lo
	v_readlane_b32 s67, v82, 8
	s_and_b32 s67, s66, s67
	s_delay_alu instid0(SALU_CYCLE_1)
	s_mov_b32 exec_lo, s67
; %bb.67:                               ;   in Loop: Header=BB28_3 Depth=1
	ds_store_b64 v73, v[20:21]
; %bb.68:                               ;   in Loop: Header=BB28_3 Depth=1
	s_or_b32 exec_lo, exec_lo, s66
.LBB28_69:                              ;   in Loop: Header=BB28_3 Depth=1
	s_and_not1_saveexec_b32 s8, s8
	s_cbranch_execz .LBB28_71
; %bb.70:                               ;   in Loop: Header=BB28_3 Depth=1
	v_lshl_add_u64 v[32:33], v[16:17], 3, s[96:97]
	global_load_b64 v[32:33], v[32:33], off
	s_wait_loadcnt 0x0
	v_div_scale_f64 v[34:35], null, v[32:33], v[32:33], 1.0
	s_delay_alu instid0(VALU_DEP_1) | instskip(SKIP_1) | instid1(TRANS32_DEP_1)
	v_rcp_f64_e32 v[36:37], v[34:35]
	v_nop
	v_fma_f64 v[38:39], -v[34:35], v[36:37], 1.0
	s_delay_alu instid0(VALU_DEP_1) | instskip(NEXT) | instid1(VALU_DEP_1)
	v_fmac_f64_e32 v[36:37], v[36:37], v[38:39]
	v_fma_f64 v[38:39], -v[34:35], v[36:37], 1.0
	s_delay_alu instid0(VALU_DEP_1) | instskip(SKIP_1) | instid1(VALU_DEP_1)
	v_fmac_f64_e32 v[36:37], v[36:37], v[38:39]
	v_div_scale_f64 v[38:39], vcc_lo, 1.0, v[32:33], 1.0
	v_mul_f64_e32 v[78:79], v[38:39], v[36:37]
	s_delay_alu instid0(VALU_DEP_1) | instskip(NEXT) | instid1(VALU_DEP_1)
	v_fma_f64 v[34:35], -v[34:35], v[78:79], v[38:39]
	v_div_fmas_f64 v[34:35], v[34:35], v[36:37], v[78:79]
	s_delay_alu instid0(VALU_DEP_1)
	v_div_fixup_f64 v[32:33], v[34:35], v[32:33], 1.0
	ds_store_b64 v73, v[32:33]
.LBB28_71:                              ;   in Loop: Header=BB28_3 Depth=1
	s_or_b32 exec_lo, exec_lo, s8
.LBB28_72:                              ;   in Loop: Header=BB28_3 Depth=1
	s_and_not1_saveexec_b32 s7, s7
	s_cbranch_execz .LBB28_74
; %bb.73:                               ;   in Loop: Header=BB28_3 Depth=1
	v_lshl_add_u64 v[32:33], v[16:17], 3, s[96:97]
	global_load_b64 v[32:33], v[32:33], off
	s_wait_loadcnt 0x0
	v_xor_b32_e32 v33, 0x80000000, v33
	ds_store_b64 v73, v[32:33]
.LBB28_74:                              ;   in Loop: Header=BB28_3 Depth=1
	;; [unrolled: 63-line block ×3, first 2 shown]
	s_or_b32 exec_lo, exec_lo, s7
.LBB28_85:                              ;   in Loop: Header=BB28_3 Depth=1
	s_delay_alu instid0(SALU_CYCLE_1)
	s_and_not1_b32 vcc_lo, exec_lo, s104
	s_wait_loadcnt_dscnt 0x0
	s_barrier_signal -1
	s_barrier_wait -1
	s_cbranch_vccnz .LBB28_953
; %bb.86:                               ;   in Loop: Header=BB28_3 Depth=1
	s_and_saveexec_b32 s7, s14
	s_cbranch_execz .LBB28_88
; %bb.87:                               ;   in Loop: Header=BB28_3 Depth=1
	ds_load_b128 v[32:35], v5 offset:32752
	ds_load_b64 v[36:37], v5 offset:32240
	s_wait_dscnt 0x0
	v_mul_f64_e32 v[34:35], v[36:37], v[34:35]
	s_delay_alu instid0(VALU_DEP_1)
	v_mul_f64_e32 v[32:33], v[32:33], v[34:35]
	ds_store_b64 v5, v[32:33] offset:32752
.LBB28_88:                              ;   in Loop: Header=BB28_3 Depth=1
	s_or_b32 exec_lo, exec_lo, s7
	v_mov_b64_e32 v[32:33], 0
	s_wait_dscnt 0x0
	s_barrier_signal -1
	s_barrier_wait -1
	global_wb scope:SCOPE_DEV
	s_wait_storecnt 0x0
	global_inv scope:SCOPE_DEV
	s_and_saveexec_b32 s7, s1
	s_cbranch_execz .LBB28_92
; %bb.89:                               ;   in Loop: Header=BB28_3 Depth=1
	ds_load_b64 v[32:33], v42 offset:32224
	ds_load_b64 v[34:35], v41 offset:32752
	s_wait_dscnt 0x0
	v_fma_f64 v[32:33], v[32:33], v[34:35], 0
	s_and_saveexec_b32 s8, s15
	s_cbranch_execz .LBB28_91
; %bb.90:                               ;   in Loop: Header=BB28_3 Depth=1
	ds_load_b64 v[34:35], v43 offset:32736
	ds_load_b64 v[36:37], v5 offset:32760
	s_wait_dscnt 0x0
	v_fmac_f64_e32 v[32:33], v[34:35], v[36:37]
.LBB28_91:                              ;   in Loop: Header=BB28_3 Depth=1
	s_or_b32 exec_lo, exec_lo, s8
.LBB28_92:                              ;   in Loop: Header=BB28_3 Depth=1
	s_delay_alu instid0(SALU_CYCLE_1)
	s_or_b32 exec_lo, exec_lo, s7
	s_and_saveexec_b32 s7, vcc_hi
	s_cbranch_execz .LBB28_94
; %bb.93:                               ;   in Loop: Header=BB28_3 Depth=1
	ds_load_b64 v[34:35], v5 offset:31720
	s_wait_dscnt 0x0
	v_mul_f64_e32 v[32:33], v[32:33], v[34:35]
	s_delay_alu instid0(VALU_DEP_1) | instskip(NEXT) | instid1(VALU_DEP_2)
	v_xor_b32_e32 v35, 0x80000000, v33
	v_mov_b32_e32 v34, v32
	ds_store_b64 v3, v[34:35]
.LBB28_94:                              ;   in Loop: Header=BB28_3 Depth=1
	s_or_b32 exec_lo, exec_lo, s7
	s_wait_loadcnt_dscnt 0x0
	s_barrier_signal -1
	s_barrier_wait -1
	s_and_saveexec_b32 s7, s36
	s_cbranch_execz .LBB28_96
; %bb.95:                               ;   in Loop: Header=BB28_3 Depth=1
	ds_load_b64 v[34:35], v5 offset:31712
	ds_load_b64 v[36:37], v3
	s_wait_dscnt 0x0
	v_fma_f64 v[32:33], -v[34:35], v[36:37], v[32:33]
.LBB28_96:                              ;   in Loop: Header=BB28_3 Depth=1
	s_or_b32 exec_lo, exec_lo, s7
	s_barrier_signal -1
	s_barrier_wait -1
	s_and_saveexec_b32 s7, s36
	s_cbranch_execz .LBB28_98
; %bb.97:                               ;   in Loop: Header=BB28_3 Depth=1
	ds_load_b64 v[34:35], v5 offset:31200
	s_wait_dscnt 0x0
	v_mul_f64_e32 v[32:33], v[32:33], v[34:35]
	s_delay_alu instid0(VALU_DEP_1) | instskip(NEXT) | instid1(VALU_DEP_2)
	v_xor_b32_e32 v35, 0x80000000, v33
	v_mov_b32_e32 v34, v32
	ds_store_b64 v3, v[34:35]
.LBB28_98:                              ;   in Loop: Header=BB28_3 Depth=1
	s_or_b32 exec_lo, exec_lo, s7
	s_wait_dscnt 0x0
	s_barrier_signal -1
	s_barrier_wait -1
	s_barrier_signal -1
	s_barrier_wait -1
	s_and_saveexec_b32 s7, s1
; %bb.99:                               ;   in Loop: Header=BB28_3 Depth=1
	ds_store_b64 v44, v[32:33] offset:32736
; %bb.100:                              ;   in Loop: Header=BB28_3 Depth=1
	s_or_b32 exec_lo, exec_lo, s7
	s_wait_dscnt 0x0
	s_barrier_signal -1
	s_barrier_wait -1
	s_barrier_signal -1
	s_barrier_wait -1
	s_and_saveexec_b32 s7, s14
	s_cbranch_execz .LBB28_102
; %bb.101:                              ;   in Loop: Header=BB28_3 Depth=1
	ds_load_b128 v[32:35], v5 offset:31712
	ds_load_b64 v[36:37], v5 offset:31200
	s_wait_dscnt 0x0
	v_mul_f64_e32 v[34:35], v[36:37], v[34:35]
	s_delay_alu instid0(VALU_DEP_1)
	v_mul_f64_e32 v[32:33], v[32:33], v[34:35]
	ds_store_b64 v5, v[32:33] offset:31712
.LBB28_102:                             ;   in Loop: Header=BB28_3 Depth=1
	s_or_b32 exec_lo, exec_lo, s7
	v_mov_b64_e32 v[32:33], 0
	s_wait_dscnt 0x0
	s_barrier_signal -1
	s_barrier_wait -1
	global_wb scope:SCOPE_DEV
	s_wait_storecnt 0x0
	global_inv scope:SCOPE_DEV
	s_and_saveexec_b32 s7, s2
	s_cbranch_execz .LBB28_108
; %bb.103:                              ;   in Loop: Header=BB28_3 Depth=1
	ds_load_b64 v[32:33], v47 offset:31168
	ds_load_b64 v[34:35], v46 offset:32736
	s_wait_dscnt 0x0
	v_fma_f64 v[32:33], v[32:33], v[34:35], 0
	s_and_saveexec_b32 s8, s16
	s_cbranch_execnz .LBB28_1037
; %bb.104:                              ;   in Loop: Header=BB28_3 Depth=1
	s_or_b32 exec_lo, exec_lo, s8
	s_and_saveexec_b32 s8, s17
	s_cbranch_execnz .LBB28_1038
.LBB28_105:                             ;   in Loop: Header=BB28_3 Depth=1
	s_or_b32 exec_lo, exec_lo, s8
	s_and_saveexec_b32 s8, s1
	s_cbranch_execz .LBB28_107
.LBB28_106:                             ;   in Loop: Header=BB28_3 Depth=1
	ds_load_b64 v[34:35], v43 offset:32704
	ds_load_b64 v[36:37], v5 offset:32760
	s_wait_dscnt 0x0
	v_fmac_f64_e32 v[32:33], v[34:35], v[36:37]
.LBB28_107:                             ;   in Loop: Header=BB28_3 Depth=1
	s_or_b32 exec_lo, exec_lo, s8
.LBB28_108:                             ;   in Loop: Header=BB28_3 Depth=1
	s_delay_alu instid0(SALU_CYCLE_1)
	s_or_b32 exec_lo, exec_lo, s7
	s_and_saveexec_b32 s7, s37
	s_cbranch_execz .LBB28_110
; %bb.109:                              ;   in Loop: Header=BB28_3 Depth=1
	ds_load_b64 v[34:35], v5 offset:30680
	s_wait_dscnt 0x0
	v_mul_f64_e32 v[32:33], v[32:33], v[34:35]
	s_delay_alu instid0(VALU_DEP_1) | instskip(NEXT) | instid1(VALU_DEP_2)
	v_xor_b32_e32 v35, 0x80000000, v33
	v_mov_b32_e32 v34, v32
	ds_store_b64 v45, v[34:35]
.LBB28_110:                             ;   in Loop: Header=BB28_3 Depth=1
	s_or_b32 exec_lo, exec_lo, s7
	s_wait_loadcnt_dscnt 0x0
	s_barrier_signal -1
	s_barrier_wait -1
	s_and_saveexec_b32 s7, s38
	s_cbranch_execz .LBB28_112
; %bb.111:                              ;   in Loop: Header=BB28_3 Depth=1
	ds_load_b64 v[34:35], v47 offset:30656
	ds_load_b64 v[36:37], v45
	s_wait_dscnt 0x0
	v_fma_f64 v[32:33], -v[34:35], v[36:37], v[32:33]
.LBB28_112:                             ;   in Loop: Header=BB28_3 Depth=1
	s_or_b32 exec_lo, exec_lo, s7
	s_barrier_signal -1
	s_barrier_wait -1
	s_and_saveexec_b32 s7, s39
	s_cbranch_execz .LBB28_114
; %bb.113:                              ;   in Loop: Header=BB28_3 Depth=1
	ds_load_b64 v[34:35], v5 offset:30160
	s_wait_dscnt 0x0
	v_mul_f64_e32 v[32:33], v[32:33], v[34:35]
	s_delay_alu instid0(VALU_DEP_1) | instskip(NEXT) | instid1(VALU_DEP_2)
	v_xor_b32_e32 v35, 0x80000000, v33
	v_mov_b32_e32 v34, v32
	ds_store_b64 v45, v[34:35]
.LBB28_114:                             ;   in Loop: Header=BB28_3 Depth=1
	s_or_b32 exec_lo, exec_lo, s7
	s_wait_dscnt 0x0
	s_barrier_signal -1
	s_barrier_wait -1
	s_and_saveexec_b32 s7, s40
	s_cbranch_execz .LBB28_116
; %bb.115:                              ;   in Loop: Header=BB28_3 Depth=1
	ds_load_b64 v[34:35], v47 offset:30144
	ds_load_b64 v[36:37], v45
	s_wait_dscnt 0x0
	v_fma_f64 v[32:33], -v[34:35], v[36:37], v[32:33]
.LBB28_116:                             ;   in Loop: Header=BB28_3 Depth=1
	s_or_b32 exec_lo, exec_lo, s7
	s_barrier_signal -1
	s_barrier_wait -1
	s_and_saveexec_b32 s7, s41
	s_cbranch_execz .LBB28_118
; %bb.117:                              ;   in Loop: Header=BB28_3 Depth=1
	ds_load_b64 v[34:35], v5 offset:29640
	s_wait_dscnt 0x0
	v_mul_f64_e32 v[32:33], v[32:33], v[34:35]
	s_delay_alu instid0(VALU_DEP_1) | instskip(NEXT) | instid1(VALU_DEP_2)
	v_xor_b32_e32 v35, 0x80000000, v33
	v_mov_b32_e32 v34, v32
	ds_store_b64 v45, v[34:35]
.LBB28_118:                             ;   in Loop: Header=BB28_3 Depth=1
	s_or_b32 exec_lo, exec_lo, s7
	s_wait_dscnt 0x0
	;; [unrolled: 26-line block ×3, first 2 shown]
	s_barrier_signal -1
	s_barrier_wait -1
	s_barrier_signal -1
	s_barrier_wait -1
	s_and_saveexec_b32 s7, s2
; %bb.123:                              ;   in Loop: Header=BB28_3 Depth=1
	ds_store_b64 v48, v[32:33] offset:32704
; %bb.124:                              ;   in Loop: Header=BB28_3 Depth=1
	s_or_b32 exec_lo, exec_lo, s7
	s_wait_dscnt 0x0
	s_barrier_signal -1
	s_barrier_wait -1
	s_barrier_signal -1
	s_barrier_wait -1
	s_and_saveexec_b32 s7, s14
	s_cbranch_execz .LBB28_126
; %bb.125:                              ;   in Loop: Header=BB28_3 Depth=1
	ds_load_b128 v[32:35], v5 offset:30672
	ds_load_b64 v[36:37], v5 offset:30160
	s_wait_dscnt 0x0
	v_mul_f64_e32 v[34:35], v[36:37], v[34:35]
	s_delay_alu instid0(VALU_DEP_1)
	v_mul_f64_e32 v[32:33], v[32:33], v[34:35]
	ds_store_b64 v5, v[32:33] offset:30672
.LBB28_126:                             ;   in Loop: Header=BB28_3 Depth=1
	s_or_b32 exec_lo, exec_lo, s7
	v_mov_b64_e32 v[32:33], 0
	s_wait_dscnt 0x0
	s_barrier_signal -1
	s_barrier_wait -1
	global_wb scope:SCOPE_DEV
	s_wait_storecnt 0x0
	global_inv scope:SCOPE_DEV
	s_and_saveexec_b32 s7, s1
	s_cbranch_execz .LBB28_130
; %bb.127:                              ;   in Loop: Header=BB28_3 Depth=1
	ds_load_b64 v[32:33], v42 offset:30144
	ds_load_b64 v[34:35], v41 offset:30672
	s_wait_dscnt 0x0
	v_fma_f64 v[32:33], v[32:33], v[34:35], 0
	s_and_saveexec_b32 s8, s15
	s_cbranch_execz .LBB28_129
; %bb.128:                              ;   in Loop: Header=BB28_3 Depth=1
	ds_load_b64 v[34:35], v43 offset:30656
	ds_load_b64 v[36:37], v5 offset:30680
	s_wait_dscnt 0x0
	v_fmac_f64_e32 v[32:33], v[34:35], v[36:37]
.LBB28_129:                             ;   in Loop: Header=BB28_3 Depth=1
	s_or_b32 exec_lo, exec_lo, s8
.LBB28_130:                             ;   in Loop: Header=BB28_3 Depth=1
	s_delay_alu instid0(SALU_CYCLE_1)
	s_or_b32 exec_lo, exec_lo, s7
	s_and_saveexec_b32 s7, vcc_hi
	s_cbranch_execz .LBB28_132
; %bb.131:                              ;   in Loop: Header=BB28_3 Depth=1
	ds_load_b64 v[34:35], v5 offset:29640
	s_wait_dscnt 0x0
	v_mul_f64_e32 v[32:33], v[32:33], v[34:35]
	s_delay_alu instid0(VALU_DEP_1) | instskip(NEXT) | instid1(VALU_DEP_2)
	v_xor_b32_e32 v35, 0x80000000, v33
	v_mov_b32_e32 v34, v32
	ds_store_b64 v3, v[34:35]
.LBB28_132:                             ;   in Loop: Header=BB28_3 Depth=1
	s_or_b32 exec_lo, exec_lo, s7
	s_wait_loadcnt_dscnt 0x0
	s_barrier_signal -1
	s_barrier_wait -1
	s_and_saveexec_b32 s7, s36
	s_cbranch_execz .LBB28_134
; %bb.133:                              ;   in Loop: Header=BB28_3 Depth=1
	ds_load_b64 v[34:35], v5 offset:29632
	ds_load_b64 v[36:37], v3
	s_wait_dscnt 0x0
	v_fma_f64 v[32:33], -v[34:35], v[36:37], v[32:33]
.LBB28_134:                             ;   in Loop: Header=BB28_3 Depth=1
	s_or_b32 exec_lo, exec_lo, s7
	s_barrier_signal -1
	s_barrier_wait -1
	s_and_saveexec_b32 s7, s36
	s_cbranch_execz .LBB28_136
; %bb.135:                              ;   in Loop: Header=BB28_3 Depth=1
	ds_load_b64 v[34:35], v5 offset:29120
	s_wait_dscnt 0x0
	v_mul_f64_e32 v[32:33], v[32:33], v[34:35]
	s_delay_alu instid0(VALU_DEP_1) | instskip(NEXT) | instid1(VALU_DEP_2)
	v_xor_b32_e32 v35, 0x80000000, v33
	v_mov_b32_e32 v34, v32
	ds_store_b64 v3, v[34:35]
.LBB28_136:                             ;   in Loop: Header=BB28_3 Depth=1
	s_or_b32 exec_lo, exec_lo, s7
	s_wait_dscnt 0x0
	s_barrier_signal -1
	s_barrier_wait -1
	s_barrier_signal -1
	s_barrier_wait -1
	s_and_saveexec_b32 s7, s1
; %bb.137:                              ;   in Loop: Header=BB28_3 Depth=1
	ds_store_b64 v44, v[32:33] offset:30656
; %bb.138:                              ;   in Loop: Header=BB28_3 Depth=1
	s_or_b32 exec_lo, exec_lo, s7
	s_wait_dscnt 0x0
	s_barrier_signal -1
	s_barrier_wait -1
	s_barrier_signal -1
	s_barrier_wait -1
	s_and_saveexec_b32 s7, s14
	s_cbranch_execz .LBB28_140
; %bb.139:                              ;   in Loop: Header=BB28_3 Depth=1
	ds_load_b128 v[32:35], v5 offset:29632
	ds_load_b64 v[36:37], v5 offset:29120
	s_wait_dscnt 0x0
	v_mul_f64_e32 v[34:35], v[36:37], v[34:35]
	s_delay_alu instid0(VALU_DEP_1)
	v_mul_f64_e32 v[32:33], v[32:33], v[34:35]
	ds_store_b64 v5, v[32:33] offset:29632
.LBB28_140:                             ;   in Loop: Header=BB28_3 Depth=1
	s_or_b32 exec_lo, exec_lo, s7
	v_mov_b64_e32 v[32:33], 0
	s_wait_dscnt 0x0
	s_barrier_signal -1
	s_barrier_wait -1
	global_wb scope:SCOPE_DEV
	s_wait_storecnt 0x0
	global_inv scope:SCOPE_DEV
	s_and_saveexec_b32 s7, s3
	s_cbranch_execz .LBB28_150
; %bb.141:                              ;   in Loop: Header=BB28_3 Depth=1
	ds_load_b64 v[32:33], v51 offset:29056
	ds_load_b64 v[34:35], v50 offset:32704
	s_wait_dscnt 0x0
	v_fma_f64 v[32:33], v[32:33], v[34:35], 0
	s_and_saveexec_b32 s8, s18
	s_cbranch_execnz .LBB28_1039
; %bb.142:                              ;   in Loop: Header=BB28_3 Depth=1
	s_or_b32 exec_lo, exec_lo, s8
	s_and_saveexec_b32 s8, s19
	s_cbranch_execnz .LBB28_1040
.LBB28_143:                             ;   in Loop: Header=BB28_3 Depth=1
	s_or_b32 exec_lo, exec_lo, s8
	s_and_saveexec_b32 s8, s20
	s_cbranch_execnz .LBB28_1041
.LBB28_144:                             ;   in Loop: Header=BB28_3 Depth=1
	s_or_b32 exec_lo, exec_lo, s8
	s_and_saveexec_b32 s8, s21
	s_cbranch_execnz .LBB28_1042
.LBB28_145:                             ;   in Loop: Header=BB28_3 Depth=1
	s_or_b32 exec_lo, exec_lo, s8
	s_and_saveexec_b32 s8, s22
	s_cbranch_execnz .LBB28_1043
.LBB28_146:                             ;   in Loop: Header=BB28_3 Depth=1
	s_or_b32 exec_lo, exec_lo, s8
	s_and_saveexec_b32 s8, s2
	s_cbranch_execnz .LBB28_1044
.LBB28_147:                             ;   in Loop: Header=BB28_3 Depth=1
	s_or_b32 exec_lo, exec_lo, s8
	s_and_saveexec_b32 s8, s17
	s_cbranch_execz .LBB28_149
.LBB28_148:                             ;   in Loop: Header=BB28_3 Depth=1
	ds_load_b64 v[34:35], v43 offset:32640
	ds_load_b64 v[36:37], v5 offset:32760
	s_wait_dscnt 0x0
	v_fmac_f64_e32 v[32:33], v[34:35], v[36:37]
.LBB28_149:                             ;   in Loop: Header=BB28_3 Depth=1
	s_or_b32 exec_lo, exec_lo, s8
.LBB28_150:                             ;   in Loop: Header=BB28_3 Depth=1
	s_delay_alu instid0(SALU_CYCLE_1)
	s_or_b32 exec_lo, exec_lo, s7
	s_and_saveexec_b32 s7, s43
	s_cbranch_execz .LBB28_152
; %bb.151:                              ;   in Loop: Header=BB28_3 Depth=1
	ds_load_b64 v[34:35], v5 offset:28600
	s_wait_dscnt 0x0
	v_mul_f64_e32 v[32:33], v[32:33], v[34:35]
	s_delay_alu instid0(VALU_DEP_1) | instskip(NEXT) | instid1(VALU_DEP_2)
	v_xor_b32_e32 v35, 0x80000000, v33
	v_mov_b32_e32 v34, v32
	ds_store_b64 v49, v[34:35]
.LBB28_152:                             ;   in Loop: Header=BB28_3 Depth=1
	s_or_b32 exec_lo, exec_lo, s7
	s_wait_loadcnt_dscnt 0x0
	s_barrier_signal -1
	s_barrier_wait -1
	s_and_saveexec_b32 s7, s44
	s_cbranch_execz .LBB28_154
; %bb.153:                              ;   in Loop: Header=BB28_3 Depth=1
	ds_load_b64 v[34:35], v51 offset:28544
	ds_load_b64 v[36:37], v49
	s_wait_dscnt 0x0
	v_fma_f64 v[32:33], -v[34:35], v[36:37], v[32:33]
.LBB28_154:                             ;   in Loop: Header=BB28_3 Depth=1
	s_or_b32 exec_lo, exec_lo, s7
	s_barrier_signal -1
	s_barrier_wait -1
	s_and_saveexec_b32 s7, s45
	s_cbranch_execz .LBB28_156
; %bb.155:                              ;   in Loop: Header=BB28_3 Depth=1
	ds_load_b64 v[34:35], v5 offset:28080
	s_wait_dscnt 0x0
	v_mul_f64_e32 v[32:33], v[32:33], v[34:35]
	s_delay_alu instid0(VALU_DEP_1) | instskip(NEXT) | instid1(VALU_DEP_2)
	v_xor_b32_e32 v35, 0x80000000, v33
	v_mov_b32_e32 v34, v32
	ds_store_b64 v49, v[34:35]
.LBB28_156:                             ;   in Loop: Header=BB28_3 Depth=1
	s_or_b32 exec_lo, exec_lo, s7
	s_wait_dscnt 0x0
	s_barrier_signal -1
	s_barrier_wait -1
	s_and_saveexec_b32 s7, s46
	s_cbranch_execz .LBB28_158
; %bb.157:                              ;   in Loop: Header=BB28_3 Depth=1
	ds_load_b64 v[34:35], v51 offset:28032
	ds_load_b64 v[36:37], v49
	s_wait_dscnt 0x0
	v_fma_f64 v[32:33], -v[34:35], v[36:37], v[32:33]
.LBB28_158:                             ;   in Loop: Header=BB28_3 Depth=1
	s_or_b32 exec_lo, exec_lo, s7
	s_barrier_signal -1
	s_barrier_wait -1
	s_and_saveexec_b32 s7, s47
	s_cbranch_execz .LBB28_160
; %bb.159:                              ;   in Loop: Header=BB28_3 Depth=1
	ds_load_b64 v[34:35], v5 offset:27560
	s_wait_dscnt 0x0
	v_mul_f64_e32 v[32:33], v[32:33], v[34:35]
	s_delay_alu instid0(VALU_DEP_1) | instskip(NEXT) | instid1(VALU_DEP_2)
	v_xor_b32_e32 v35, 0x80000000, v33
	v_mov_b32_e32 v34, v32
	ds_store_b64 v49, v[34:35]
.LBB28_160:                             ;   in Loop: Header=BB28_3 Depth=1
	s_or_b32 exec_lo, exec_lo, s7
	s_wait_dscnt 0x0
	;; [unrolled: 26-line block ×7, first 2 shown]
	s_barrier_signal -1
	s_barrier_wait -1
	s_barrier_signal -1
	s_barrier_wait -1
	s_and_saveexec_b32 s7, s3
; %bb.181:                              ;   in Loop: Header=BB28_3 Depth=1
	ds_store_b64 v52, v[32:33] offset:32640
; %bb.182:                              ;   in Loop: Header=BB28_3 Depth=1
	s_or_b32 exec_lo, exec_lo, s7
	s_wait_dscnt 0x0
	s_barrier_signal -1
	s_barrier_wait -1
	s_barrier_signal -1
	s_barrier_wait -1
	s_and_saveexec_b32 s7, s14
	s_cbranch_execz .LBB28_184
; %bb.183:                              ;   in Loop: Header=BB28_3 Depth=1
	ds_load_b128 v[32:35], v5 offset:28592
	ds_load_b64 v[36:37], v5 offset:28080
	s_wait_dscnt 0x0
	v_mul_f64_e32 v[34:35], v[36:37], v[34:35]
	s_delay_alu instid0(VALU_DEP_1)
	v_mul_f64_e32 v[32:33], v[32:33], v[34:35]
	ds_store_b64 v5, v[32:33] offset:28592
.LBB28_184:                             ;   in Loop: Header=BB28_3 Depth=1
	s_or_b32 exec_lo, exec_lo, s7
	v_mov_b64_e32 v[32:33], 0
	s_wait_dscnt 0x0
	s_barrier_signal -1
	s_barrier_wait -1
	global_wb scope:SCOPE_DEV
	s_wait_storecnt 0x0
	global_inv scope:SCOPE_DEV
	s_and_saveexec_b32 s7, s1
	s_cbranch_execz .LBB28_188
; %bb.185:                              ;   in Loop: Header=BB28_3 Depth=1
	ds_load_b64 v[32:33], v42 offset:28064
	ds_load_b64 v[34:35], v41 offset:28592
	s_wait_dscnt 0x0
	v_fma_f64 v[32:33], v[32:33], v[34:35], 0
	s_and_saveexec_b32 s8, s15
	s_cbranch_execz .LBB28_187
; %bb.186:                              ;   in Loop: Header=BB28_3 Depth=1
	ds_load_b64 v[34:35], v43 offset:28576
	ds_load_b64 v[36:37], v5 offset:28600
	s_wait_dscnt 0x0
	v_fmac_f64_e32 v[32:33], v[34:35], v[36:37]
.LBB28_187:                             ;   in Loop: Header=BB28_3 Depth=1
	s_or_b32 exec_lo, exec_lo, s8
.LBB28_188:                             ;   in Loop: Header=BB28_3 Depth=1
	s_delay_alu instid0(SALU_CYCLE_1)
	s_or_b32 exec_lo, exec_lo, s7
	s_and_saveexec_b32 s7, vcc_hi
	s_cbranch_execz .LBB28_190
; %bb.189:                              ;   in Loop: Header=BB28_3 Depth=1
	ds_load_b64 v[34:35], v5 offset:27560
	s_wait_dscnt 0x0
	v_mul_f64_e32 v[32:33], v[32:33], v[34:35]
	s_delay_alu instid0(VALU_DEP_1) | instskip(NEXT) | instid1(VALU_DEP_2)
	v_xor_b32_e32 v35, 0x80000000, v33
	v_mov_b32_e32 v34, v32
	ds_store_b64 v3, v[34:35]
.LBB28_190:                             ;   in Loop: Header=BB28_3 Depth=1
	s_or_b32 exec_lo, exec_lo, s7
	s_wait_loadcnt_dscnt 0x0
	s_barrier_signal -1
	s_barrier_wait -1
	s_and_saveexec_b32 s7, s36
	s_cbranch_execz .LBB28_192
; %bb.191:                              ;   in Loop: Header=BB28_3 Depth=1
	ds_load_b64 v[34:35], v5 offset:27552
	ds_load_b64 v[36:37], v3
	s_wait_dscnt 0x0
	v_fma_f64 v[32:33], -v[34:35], v[36:37], v[32:33]
.LBB28_192:                             ;   in Loop: Header=BB28_3 Depth=1
	s_or_b32 exec_lo, exec_lo, s7
	s_barrier_signal -1
	s_barrier_wait -1
	s_and_saveexec_b32 s7, s36
	s_cbranch_execz .LBB28_194
; %bb.193:                              ;   in Loop: Header=BB28_3 Depth=1
	ds_load_b64 v[34:35], v5 offset:27040
	s_wait_dscnt 0x0
	v_mul_f64_e32 v[32:33], v[32:33], v[34:35]
	s_delay_alu instid0(VALU_DEP_1) | instskip(NEXT) | instid1(VALU_DEP_2)
	v_xor_b32_e32 v35, 0x80000000, v33
	v_mov_b32_e32 v34, v32
	ds_store_b64 v3, v[34:35]
.LBB28_194:                             ;   in Loop: Header=BB28_3 Depth=1
	s_or_b32 exec_lo, exec_lo, s7
	s_wait_dscnt 0x0
	s_barrier_signal -1
	s_barrier_wait -1
	s_barrier_signal -1
	s_barrier_wait -1
	s_and_saveexec_b32 s7, s1
; %bb.195:                              ;   in Loop: Header=BB28_3 Depth=1
	ds_store_b64 v44, v[32:33] offset:28576
; %bb.196:                              ;   in Loop: Header=BB28_3 Depth=1
	s_or_b32 exec_lo, exec_lo, s7
	s_wait_dscnt 0x0
	s_barrier_signal -1
	s_barrier_wait -1
	s_barrier_signal -1
	s_barrier_wait -1
	s_and_saveexec_b32 s7, s14
	s_cbranch_execz .LBB28_198
; %bb.197:                              ;   in Loop: Header=BB28_3 Depth=1
	ds_load_b128 v[32:35], v5 offset:27552
	ds_load_b64 v[36:37], v5 offset:27040
	s_wait_dscnt 0x0
	v_mul_f64_e32 v[34:35], v[36:37], v[34:35]
	s_delay_alu instid0(VALU_DEP_1)
	v_mul_f64_e32 v[32:33], v[32:33], v[34:35]
	ds_store_b64 v5, v[32:33] offset:27552
.LBB28_198:                             ;   in Loop: Header=BB28_3 Depth=1
	s_or_b32 exec_lo, exec_lo, s7
	v_mov_b64_e32 v[32:33], 0
	s_wait_dscnt 0x0
	s_barrier_signal -1
	s_barrier_wait -1
	global_wb scope:SCOPE_DEV
	s_wait_storecnt 0x0
	global_inv scope:SCOPE_DEV
	s_and_saveexec_b32 s7, s2
	s_cbranch_execz .LBB28_204
; %bb.199:                              ;   in Loop: Header=BB28_3 Depth=1
	ds_load_b64 v[32:33], v47 offset:27008
	ds_load_b64 v[34:35], v46 offset:28576
	s_wait_dscnt 0x0
	v_fma_f64 v[32:33], v[32:33], v[34:35], 0
	s_and_saveexec_b32 s8, s16
	s_cbranch_execnz .LBB28_1045
; %bb.200:                              ;   in Loop: Header=BB28_3 Depth=1
	s_or_b32 exec_lo, exec_lo, s8
	s_and_saveexec_b32 s8, s17
	s_cbranch_execnz .LBB28_1046
.LBB28_201:                             ;   in Loop: Header=BB28_3 Depth=1
	s_or_b32 exec_lo, exec_lo, s8
	s_and_saveexec_b32 s8, s1
	s_cbranch_execz .LBB28_203
.LBB28_202:                             ;   in Loop: Header=BB28_3 Depth=1
	ds_load_b64 v[34:35], v43 offset:28544
	ds_load_b64 v[36:37], v5 offset:28600
	s_wait_dscnt 0x0
	v_fmac_f64_e32 v[32:33], v[34:35], v[36:37]
.LBB28_203:                             ;   in Loop: Header=BB28_3 Depth=1
	s_or_b32 exec_lo, exec_lo, s8
.LBB28_204:                             ;   in Loop: Header=BB28_3 Depth=1
	s_delay_alu instid0(SALU_CYCLE_1)
	s_or_b32 exec_lo, exec_lo, s7
	s_and_saveexec_b32 s7, s37
	s_cbranch_execz .LBB28_206
; %bb.205:                              ;   in Loop: Header=BB28_3 Depth=1
	ds_load_b64 v[34:35], v5 offset:26520
	s_wait_dscnt 0x0
	v_mul_f64_e32 v[32:33], v[32:33], v[34:35]
	s_delay_alu instid0(VALU_DEP_1) | instskip(NEXT) | instid1(VALU_DEP_2)
	v_xor_b32_e32 v35, 0x80000000, v33
	v_mov_b32_e32 v34, v32
	ds_store_b64 v45, v[34:35]
.LBB28_206:                             ;   in Loop: Header=BB28_3 Depth=1
	s_or_b32 exec_lo, exec_lo, s7
	s_wait_loadcnt_dscnt 0x0
	s_barrier_signal -1
	s_barrier_wait -1
	s_and_saveexec_b32 s7, s38
	s_cbranch_execz .LBB28_208
; %bb.207:                              ;   in Loop: Header=BB28_3 Depth=1
	ds_load_b64 v[34:35], v47 offset:26496
	ds_load_b64 v[36:37], v45
	s_wait_dscnt 0x0
	v_fma_f64 v[32:33], -v[34:35], v[36:37], v[32:33]
.LBB28_208:                             ;   in Loop: Header=BB28_3 Depth=1
	s_or_b32 exec_lo, exec_lo, s7
	s_barrier_signal -1
	s_barrier_wait -1
	s_and_saveexec_b32 s7, s39
	s_cbranch_execz .LBB28_210
; %bb.209:                              ;   in Loop: Header=BB28_3 Depth=1
	ds_load_b64 v[34:35], v5 offset:26000
	s_wait_dscnt 0x0
	v_mul_f64_e32 v[32:33], v[32:33], v[34:35]
	s_delay_alu instid0(VALU_DEP_1) | instskip(NEXT) | instid1(VALU_DEP_2)
	v_xor_b32_e32 v35, 0x80000000, v33
	v_mov_b32_e32 v34, v32
	ds_store_b64 v45, v[34:35]
.LBB28_210:                             ;   in Loop: Header=BB28_3 Depth=1
	s_or_b32 exec_lo, exec_lo, s7
	s_wait_dscnt 0x0
	s_barrier_signal -1
	s_barrier_wait -1
	s_and_saveexec_b32 s7, s40
	s_cbranch_execz .LBB28_212
; %bb.211:                              ;   in Loop: Header=BB28_3 Depth=1
	ds_load_b64 v[34:35], v47 offset:25984
	ds_load_b64 v[36:37], v45
	s_wait_dscnt 0x0
	v_fma_f64 v[32:33], -v[34:35], v[36:37], v[32:33]
.LBB28_212:                             ;   in Loop: Header=BB28_3 Depth=1
	s_or_b32 exec_lo, exec_lo, s7
	s_barrier_signal -1
	s_barrier_wait -1
	s_and_saveexec_b32 s7, s41
	s_cbranch_execz .LBB28_214
; %bb.213:                              ;   in Loop: Header=BB28_3 Depth=1
	ds_load_b64 v[34:35], v5 offset:25480
	s_wait_dscnt 0x0
	v_mul_f64_e32 v[32:33], v[32:33], v[34:35]
	s_delay_alu instid0(VALU_DEP_1) | instskip(NEXT) | instid1(VALU_DEP_2)
	v_xor_b32_e32 v35, 0x80000000, v33
	v_mov_b32_e32 v34, v32
	ds_store_b64 v45, v[34:35]
.LBB28_214:                             ;   in Loop: Header=BB28_3 Depth=1
	s_or_b32 exec_lo, exec_lo, s7
	s_wait_dscnt 0x0
	;; [unrolled: 26-line block ×3, first 2 shown]
	s_barrier_signal -1
	s_barrier_wait -1
	s_barrier_signal -1
	s_barrier_wait -1
	s_and_saveexec_b32 s7, s2
; %bb.219:                              ;   in Loop: Header=BB28_3 Depth=1
	ds_store_b64 v48, v[32:33] offset:28544
; %bb.220:                              ;   in Loop: Header=BB28_3 Depth=1
	s_or_b32 exec_lo, exec_lo, s7
	s_wait_dscnt 0x0
	s_barrier_signal -1
	s_barrier_wait -1
	s_barrier_signal -1
	s_barrier_wait -1
	s_and_saveexec_b32 s7, s14
	s_cbranch_execz .LBB28_222
; %bb.221:                              ;   in Loop: Header=BB28_3 Depth=1
	ds_load_b128 v[32:35], v5 offset:26512
	ds_load_b64 v[36:37], v5 offset:26000
	s_wait_dscnt 0x0
	v_mul_f64_e32 v[34:35], v[36:37], v[34:35]
	s_delay_alu instid0(VALU_DEP_1)
	v_mul_f64_e32 v[32:33], v[32:33], v[34:35]
	ds_store_b64 v5, v[32:33] offset:26512
.LBB28_222:                             ;   in Loop: Header=BB28_3 Depth=1
	s_or_b32 exec_lo, exec_lo, s7
	v_mov_b64_e32 v[32:33], 0
	s_wait_dscnt 0x0
	s_barrier_signal -1
	s_barrier_wait -1
	global_wb scope:SCOPE_DEV
	s_wait_storecnt 0x0
	global_inv scope:SCOPE_DEV
	s_and_saveexec_b32 s7, s1
	s_cbranch_execz .LBB28_226
; %bb.223:                              ;   in Loop: Header=BB28_3 Depth=1
	ds_load_b64 v[32:33], v42 offset:25984
	ds_load_b64 v[34:35], v41 offset:26512
	s_wait_dscnt 0x0
	v_fma_f64 v[32:33], v[32:33], v[34:35], 0
	s_and_saveexec_b32 s8, s15
	s_cbranch_execz .LBB28_225
; %bb.224:                              ;   in Loop: Header=BB28_3 Depth=1
	ds_load_b64 v[34:35], v43 offset:26496
	ds_load_b64 v[36:37], v5 offset:26520
	s_wait_dscnt 0x0
	v_fmac_f64_e32 v[32:33], v[34:35], v[36:37]
.LBB28_225:                             ;   in Loop: Header=BB28_3 Depth=1
	s_or_b32 exec_lo, exec_lo, s8
.LBB28_226:                             ;   in Loop: Header=BB28_3 Depth=1
	s_delay_alu instid0(SALU_CYCLE_1)
	s_or_b32 exec_lo, exec_lo, s7
	s_and_saveexec_b32 s7, vcc_hi
	s_cbranch_execz .LBB28_228
; %bb.227:                              ;   in Loop: Header=BB28_3 Depth=1
	ds_load_b64 v[34:35], v5 offset:25480
	s_wait_dscnt 0x0
	v_mul_f64_e32 v[32:33], v[32:33], v[34:35]
	s_delay_alu instid0(VALU_DEP_1) | instskip(NEXT) | instid1(VALU_DEP_2)
	v_xor_b32_e32 v35, 0x80000000, v33
	v_mov_b32_e32 v34, v32
	ds_store_b64 v3, v[34:35]
.LBB28_228:                             ;   in Loop: Header=BB28_3 Depth=1
	s_or_b32 exec_lo, exec_lo, s7
	s_wait_loadcnt_dscnt 0x0
	s_barrier_signal -1
	s_barrier_wait -1
	s_and_saveexec_b32 s7, s36
	s_cbranch_execz .LBB28_230
; %bb.229:                              ;   in Loop: Header=BB28_3 Depth=1
	ds_load_b64 v[34:35], v5 offset:25472
	ds_load_b64 v[36:37], v3
	s_wait_dscnt 0x0
	v_fma_f64 v[32:33], -v[34:35], v[36:37], v[32:33]
.LBB28_230:                             ;   in Loop: Header=BB28_3 Depth=1
	s_or_b32 exec_lo, exec_lo, s7
	s_barrier_signal -1
	s_barrier_wait -1
	s_and_saveexec_b32 s7, s36
	s_cbranch_execz .LBB28_232
; %bb.231:                              ;   in Loop: Header=BB28_3 Depth=1
	ds_load_b64 v[34:35], v5 offset:24960
	s_wait_dscnt 0x0
	v_mul_f64_e32 v[32:33], v[32:33], v[34:35]
	s_delay_alu instid0(VALU_DEP_1) | instskip(NEXT) | instid1(VALU_DEP_2)
	v_xor_b32_e32 v35, 0x80000000, v33
	v_mov_b32_e32 v34, v32
	ds_store_b64 v3, v[34:35]
.LBB28_232:                             ;   in Loop: Header=BB28_3 Depth=1
	s_or_b32 exec_lo, exec_lo, s7
	s_wait_dscnt 0x0
	s_barrier_signal -1
	s_barrier_wait -1
	s_barrier_signal -1
	s_barrier_wait -1
	s_and_saveexec_b32 s7, s1
; %bb.233:                              ;   in Loop: Header=BB28_3 Depth=1
	ds_store_b64 v44, v[32:33] offset:26496
; %bb.234:                              ;   in Loop: Header=BB28_3 Depth=1
	s_or_b32 exec_lo, exec_lo, s7
	s_wait_dscnt 0x0
	s_barrier_signal -1
	s_barrier_wait -1
	s_barrier_signal -1
	s_barrier_wait -1
	s_and_saveexec_b32 s7, s14
	s_cbranch_execz .LBB28_236
; %bb.235:                              ;   in Loop: Header=BB28_3 Depth=1
	ds_load_b128 v[32:35], v5 offset:25472
	ds_load_b64 v[36:37], v5 offset:24960
	s_wait_dscnt 0x0
	v_mul_f64_e32 v[34:35], v[36:37], v[34:35]
	s_delay_alu instid0(VALU_DEP_1)
	v_mul_f64_e32 v[32:33], v[32:33], v[34:35]
	ds_store_b64 v5, v[32:33] offset:25472
.LBB28_236:                             ;   in Loop: Header=BB28_3 Depth=1
	s_or_b32 exec_lo, exec_lo, s7
	v_mov_b64_e32 v[32:33], 0
	s_wait_dscnt 0x0
	s_barrier_signal -1
	s_barrier_wait -1
	global_wb scope:SCOPE_DEV
	s_wait_storecnt 0x0
	global_inv scope:SCOPE_DEV
	s_and_saveexec_b32 s7, s4
	s_cbranch_execz .LBB28_264
; %bb.237:                              ;   in Loop: Header=BB28_3 Depth=1
	ds_load_b64 v[32:33], v55 offset:24832
	ds_load_b64 v[34:35], v54 offset:32640
	s_wait_dscnt 0x0
	v_fma_f64 v[32:33], v[32:33], v[34:35], 0
	s_mov_b32 s8, exec_lo
	v_readlane_b32 s66, v83, 0
	s_and_b32 s66, s8, s66
	s_delay_alu instid0(SALU_CYCLE_1)
	s_mov_b32 exec_lo, s66
	s_cbranch_execz .LBB28_239
; %bb.238:                              ;   in Loop: Header=BB28_3 Depth=1
	ds_load_b64 v[34:35], v55 offset:25344
	ds_load_b64 v[36:37], v54 offset:32648
	s_wait_dscnt 0x0
	v_fmac_f64_e32 v[32:33], v[34:35], v[36:37]
.LBB28_239:                             ;   in Loop: Header=BB28_3 Depth=1
	s_or_b32 exec_lo, exec_lo, s8
	s_delay_alu instid0(SALU_CYCLE_1) | instskip(SKIP_2) | instid1(SALU_CYCLE_1)
	s_mov_b32 s8, exec_lo
	v_readlane_b32 s66, v83, 1
	s_and_b32 s66, s8, s66
	s_mov_b32 exec_lo, s66
	s_cbranch_execz .LBB28_241
; %bb.240:                              ;   in Loop: Header=BB28_3 Depth=1
	ds_load_b64 v[34:35], v55 offset:25856
	ds_load_b64 v[36:37], v54 offset:32656
	s_wait_dscnt 0x0
	v_fmac_f64_e32 v[32:33], v[34:35], v[36:37]
.LBB28_241:                             ;   in Loop: Header=BB28_3 Depth=1
	s_or_b32 exec_lo, exec_lo, s8
	s_delay_alu instid0(SALU_CYCLE_1) | instskip(SKIP_2) | instid1(SALU_CYCLE_1)
	s_mov_b32 s8, exec_lo
	v_readlane_b32 s66, v83, 2
	s_and_b32 s66, s8, s66
	s_mov_b32 exec_lo, s66
	s_cbranch_execz .LBB28_243
; %bb.242:                              ;   in Loop: Header=BB28_3 Depth=1
	ds_load_b64 v[34:35], v55 offset:26368
	ds_load_b64 v[36:37], v54 offset:32664
	s_wait_dscnt 0x0
	v_fmac_f64_e32 v[32:33], v[34:35], v[36:37]
.LBB28_243:                             ;   in Loop: Header=BB28_3 Depth=1
	s_or_b32 exec_lo, exec_lo, s8
	s_delay_alu instid0(SALU_CYCLE_1) | instskip(SKIP_2) | instid1(SALU_CYCLE_1)
	s_mov_b32 s8, exec_lo
	v_readlane_b32 s66, v83, 3
	s_and_b32 s66, s8, s66
	s_mov_b32 exec_lo, s66
	s_cbranch_execz .LBB28_245
; %bb.244:                              ;   in Loop: Header=BB28_3 Depth=1
	ds_load_b64 v[34:35], v55 offset:26880
	ds_load_b64 v[36:37], v54 offset:32672
	s_wait_dscnt 0x0
	v_fmac_f64_e32 v[32:33], v[34:35], v[36:37]
.LBB28_245:                             ;   in Loop: Header=BB28_3 Depth=1
	s_or_b32 exec_lo, exec_lo, s8
	s_delay_alu instid0(SALU_CYCLE_1) | instskip(SKIP_2) | instid1(SALU_CYCLE_1)
	s_mov_b32 s8, exec_lo
	v_readlane_b32 s66, v83, 4
	s_and_b32 s66, s8, s66
	s_mov_b32 exec_lo, s66
	s_cbranch_execz .LBB28_247
; %bb.246:                              ;   in Loop: Header=BB28_3 Depth=1
	ds_load_b64 v[34:35], v55 offset:27392
	ds_load_b64 v[36:37], v54 offset:32680
	s_wait_dscnt 0x0
	v_fmac_f64_e32 v[32:33], v[34:35], v[36:37]
.LBB28_247:                             ;   in Loop: Header=BB28_3 Depth=1
	s_or_b32 exec_lo, exec_lo, s8
	s_delay_alu instid0(SALU_CYCLE_1) | instskip(SKIP_2) | instid1(SALU_CYCLE_1)
	s_mov_b32 s8, exec_lo
	v_readlane_b32 s66, v83, 5
	s_and_b32 s66, s8, s66
	s_mov_b32 exec_lo, s66
	s_cbranch_execz .LBB28_249
; %bb.248:                              ;   in Loop: Header=BB28_3 Depth=1
	ds_load_b64 v[34:35], v55 offset:27904
	ds_load_b64 v[36:37], v54 offset:32688
	s_wait_dscnt 0x0
	v_fmac_f64_e32 v[32:33], v[34:35], v[36:37]
.LBB28_249:                             ;   in Loop: Header=BB28_3 Depth=1
	s_or_b32 exec_lo, exec_lo, s8
	s_delay_alu instid0(SALU_CYCLE_1) | instskip(SKIP_2) | instid1(SALU_CYCLE_1)
	s_mov_b32 s8, exec_lo
	v_readlane_b32 s66, v83, 6
	s_and_b32 s66, s8, s66
	s_mov_b32 exec_lo, s66
	s_cbranch_execz .LBB28_251
; %bb.250:                              ;   in Loop: Header=BB28_3 Depth=1
	ds_load_b64 v[34:35], v55 offset:28416
	ds_load_b64 v[36:37], v54 offset:32696
	s_wait_dscnt 0x0
	v_fmac_f64_e32 v[32:33], v[34:35], v[36:37]
.LBB28_251:                             ;   in Loop: Header=BB28_3 Depth=1
	s_or_b32 exec_lo, exec_lo, s8
	s_delay_alu instid0(SALU_CYCLE_1) | instskip(SKIP_2) | instid1(SALU_CYCLE_1)
	s_mov_b32 s8, exec_lo
	v_readlane_b32 s66, v83, 7
	s_and_b32 s66, s8, s66
	s_mov_b32 exec_lo, s66
	s_cbranch_execz .LBB28_253
; %bb.252:                              ;   in Loop: Header=BB28_3 Depth=1
	ds_load_b64 v[34:35], v55 offset:28928
	ds_load_b64 v[36:37], v54 offset:32704
	s_wait_dscnt 0x0
	v_fmac_f64_e32 v[32:33], v[34:35], v[36:37]
.LBB28_253:                             ;   in Loop: Header=BB28_3 Depth=1
	s_or_b32 exec_lo, exec_lo, s8
	s_delay_alu instid0(SALU_CYCLE_1) | instskip(SKIP_2) | instid1(SALU_CYCLE_1)
	s_mov_b32 s8, exec_lo
	v_readlane_b32 s66, v83, 8
	s_and_b32 s66, s8, s66
	s_mov_b32 exec_lo, s66
	s_cbranch_execz .LBB28_255
; %bb.254:                              ;   in Loop: Header=BB28_3 Depth=1
	ds_load_b64 v[34:35], v55 offset:29440
	ds_load_b64 v[36:37], v54 offset:32712
	s_wait_dscnt 0x0
	v_fmac_f64_e32 v[32:33], v[34:35], v[36:37]
.LBB28_255:                             ;   in Loop: Header=BB28_3 Depth=1
	s_or_b32 exec_lo, exec_lo, s8
	s_delay_alu instid0(SALU_CYCLE_1) | instskip(SKIP_2) | instid1(SALU_CYCLE_1)
	s_mov_b32 s8, exec_lo
	v_readlane_b32 s66, v83, 9
	s_and_b32 s66, s8, s66
	s_mov_b32 exec_lo, s66
	s_cbranch_execz .LBB28_257
; %bb.256:                              ;   in Loop: Header=BB28_3 Depth=1
	ds_load_b64 v[34:35], v55 offset:29952
	ds_load_b64 v[36:37], v54 offset:32720
	s_wait_dscnt 0x0
	v_fmac_f64_e32 v[32:33], v[34:35], v[36:37]
.LBB28_257:                             ;   in Loop: Header=BB28_3 Depth=1
	s_or_b32 exec_lo, exec_lo, s8
	s_delay_alu instid0(SALU_CYCLE_1) | instskip(SKIP_2) | instid1(SALU_CYCLE_1)
	s_mov_b32 s8, exec_lo
	v_readlane_b32 s66, v83, 10
	s_and_b32 s66, s8, s66
	s_mov_b32 exec_lo, s66
	s_cbranch_execnz .LBB28_1047
; %bb.258:                              ;   in Loop: Header=BB28_3 Depth=1
	s_or_b32 exec_lo, exec_lo, s8
	s_and_saveexec_b32 s8, s3
	s_cbranch_execnz .LBB28_1048
.LBB28_259:                             ;   in Loop: Header=BB28_3 Depth=1
	s_or_b32 exec_lo, exec_lo, s8
	s_and_saveexec_b32 s8, s19
	s_cbranch_execnz .LBB28_1049
.LBB28_260:                             ;   in Loop: Header=BB28_3 Depth=1
	s_or_b32 exec_lo, exec_lo, s8
	s_and_saveexec_b32 s8, s21
	s_cbranch_execnz .LBB28_1050
.LBB28_261:                             ;   in Loop: Header=BB28_3 Depth=1
	s_or_b32 exec_lo, exec_lo, s8
	s_and_saveexec_b32 s8, s2
	s_cbranch_execz .LBB28_263
.LBB28_262:                             ;   in Loop: Header=BB28_3 Depth=1
	ds_load_b64 v[34:35], v43 offset:32512
	ds_load_b64 v[36:37], v5 offset:32760
	s_wait_dscnt 0x0
	v_fmac_f64_e32 v[32:33], v[34:35], v[36:37]
.LBB28_263:                             ;   in Loop: Header=BB28_3 Depth=1
	s_or_b32 exec_lo, exec_lo, s8
.LBB28_264:                             ;   in Loop: Header=BB28_3 Depth=1
	s_delay_alu instid0(SALU_CYCLE_1) | instskip(NEXT) | instid1(SALU_CYCLE_1)
	s_or_b32 exec_lo, exec_lo, s7
	s_mov_b32 s7, exec_lo
	v_readlane_b32 s8, v84, 5
	s_and_b32 s8, s7, s8
	s_delay_alu instid0(SALU_CYCLE_1)
	s_mov_b32 exec_lo, s8
	s_cbranch_execz .LBB28_266
; %bb.265:                              ;   in Loop: Header=BB28_3 Depth=1
	ds_load_b64 v[34:35], v5 offset:24440
	s_wait_dscnt 0x0
	v_mul_f64_e32 v[32:33], v[32:33], v[34:35]
	s_delay_alu instid0(VALU_DEP_1) | instskip(NEXT) | instid1(VALU_DEP_2)
	v_xor_b32_e32 v35, 0x80000000, v33
	v_mov_b32_e32 v34, v32
	ds_store_b64 v53, v[34:35]
.LBB28_266:                             ;   in Loop: Header=BB28_3 Depth=1
	s_or_b32 exec_lo, exec_lo, s7
	s_wait_loadcnt_dscnt 0x0
	s_barrier_signal -1
	s_barrier_wait -1
	s_mov_b32 s7, exec_lo
	v_readlane_b32 s8, v84, 6
	s_and_b32 s8, s7, s8
	s_delay_alu instid0(SALU_CYCLE_1)
	s_mov_b32 exec_lo, s8
	s_cbranch_execz .LBB28_268
; %bb.267:                              ;   in Loop: Header=BB28_3 Depth=1
	ds_load_b64 v[34:35], v55 offset:24320
	ds_load_b64 v[36:37], v53
	s_wait_dscnt 0x0
	v_fma_f64 v[32:33], -v[34:35], v[36:37], v[32:33]
.LBB28_268:                             ;   in Loop: Header=BB28_3 Depth=1
	s_or_b32 exec_lo, exec_lo, s7
	s_barrier_signal -1
	s_barrier_wait -1
	s_mov_b32 s7, exec_lo
	v_readlane_b32 s8, v84, 7
	s_and_b32 s8, s7, s8
	s_delay_alu instid0(SALU_CYCLE_1)
	s_mov_b32 exec_lo, s8
	s_cbranch_execz .LBB28_270
; %bb.269:                              ;   in Loop: Header=BB28_3 Depth=1
	ds_load_b64 v[34:35], v5 offset:23920
	s_wait_dscnt 0x0
	v_mul_f64_e32 v[32:33], v[32:33], v[34:35]
	s_delay_alu instid0(VALU_DEP_1) | instskip(NEXT) | instid1(VALU_DEP_2)
	v_xor_b32_e32 v35, 0x80000000, v33
	v_mov_b32_e32 v34, v32
	ds_store_b64 v53, v[34:35]
.LBB28_270:                             ;   in Loop: Header=BB28_3 Depth=1
	s_or_b32 exec_lo, exec_lo, s7
	s_wait_dscnt 0x0
	s_barrier_signal -1
	s_barrier_wait -1
	s_mov_b32 s7, exec_lo
	v_readlane_b32 s8, v84, 8
	s_and_b32 s8, s7, s8
	s_delay_alu instid0(SALU_CYCLE_1)
	s_mov_b32 exec_lo, s8
	s_cbranch_execz .LBB28_272
; %bb.271:                              ;   in Loop: Header=BB28_3 Depth=1
	ds_load_b64 v[34:35], v55 offset:23808
	ds_load_b64 v[36:37], v53
	s_wait_dscnt 0x0
	v_fma_f64 v[32:33], -v[34:35], v[36:37], v[32:33]
.LBB28_272:                             ;   in Loop: Header=BB28_3 Depth=1
	s_or_b32 exec_lo, exec_lo, s7
	s_barrier_signal -1
	s_barrier_wait -1
	s_mov_b32 s7, exec_lo
	v_readlane_b32 s8, v84, 9
	s_and_b32 s8, s7, s8
	s_delay_alu instid0(SALU_CYCLE_1)
	s_mov_b32 exec_lo, s8
	s_cbranch_execz .LBB28_274
; %bb.273:                              ;   in Loop: Header=BB28_3 Depth=1
	ds_load_b64 v[34:35], v5 offset:23400
	s_wait_dscnt 0x0
	v_mul_f64_e32 v[32:33], v[32:33], v[34:35]
	s_delay_alu instid0(VALU_DEP_1) | instskip(NEXT) | instid1(VALU_DEP_2)
	v_xor_b32_e32 v35, 0x80000000, v33
	v_mov_b32_e32 v34, v32
	ds_store_b64 v53, v[34:35]
.LBB28_274:                             ;   in Loop: Header=BB28_3 Depth=1
	s_or_b32 exec_lo, exec_lo, s7
	s_wait_dscnt 0x0
	s_barrier_signal -1
	s_barrier_wait -1
	s_mov_b32 s7, exec_lo
	v_readlane_b32 s8, v84, 10
	s_and_b32 s8, s7, s8
	s_delay_alu instid0(SALU_CYCLE_1)
	s_mov_b32 exec_lo, s8
	s_cbranch_execz .LBB28_276
; %bb.275:                              ;   in Loop: Header=BB28_3 Depth=1
	ds_load_b64 v[34:35], v55 offset:23296
	ds_load_b64 v[36:37], v53
	s_wait_dscnt 0x0
	v_fma_f64 v[32:33], -v[34:35], v[36:37], v[32:33]
.LBB28_276:                             ;   in Loop: Header=BB28_3 Depth=1
	s_or_b32 exec_lo, exec_lo, s7
	s_barrier_signal -1
	s_barrier_wait -1
	s_and_saveexec_b32 s7, s12
	s_cbranch_execz .LBB28_278
; %bb.277:                              ;   in Loop: Header=BB28_3 Depth=1
	ds_load_b64 v[34:35], v5 offset:22880
	s_wait_dscnt 0x0
	v_mul_f64_e32 v[32:33], v[32:33], v[34:35]
	s_delay_alu instid0(VALU_DEP_1) | instskip(NEXT) | instid1(VALU_DEP_2)
	v_xor_b32_e32 v35, 0x80000000, v33
	v_mov_b32_e32 v34, v32
	ds_store_b64 v53, v[34:35]
.LBB28_278:                             ;   in Loop: Header=BB28_3 Depth=1
	s_or_b32 exec_lo, exec_lo, s7
	s_wait_dscnt 0x0
	s_barrier_signal -1
	s_barrier_wait -1
	s_and_saveexec_b32 s7, s13
	s_cbranch_execz .LBB28_280
; %bb.279:                              ;   in Loop: Header=BB28_3 Depth=1
	ds_load_b64 v[34:35], v55 offset:22784
	ds_load_b64 v[36:37], v53
	s_wait_dscnt 0x0
	v_fma_f64 v[32:33], -v[34:35], v[36:37], v[32:33]
.LBB28_280:                             ;   in Loop: Header=BB28_3 Depth=1
	s_or_b32 exec_lo, exec_lo, s7
	s_barrier_signal -1
	s_barrier_wait -1
	s_and_saveexec_b32 s7, s23
	s_cbranch_execz .LBB28_282
; %bb.281:                              ;   in Loop: Header=BB28_3 Depth=1
	ds_load_b64 v[34:35], v5 offset:22360
	s_wait_dscnt 0x0
	v_mul_f64_e32 v[32:33], v[32:33], v[34:35]
	s_delay_alu instid0(VALU_DEP_1) | instskip(NEXT) | instid1(VALU_DEP_2)
	v_xor_b32_e32 v35, 0x80000000, v33
	v_mov_b32_e32 v34, v32
	ds_store_b64 v53, v[34:35]
.LBB28_282:                             ;   in Loop: Header=BB28_3 Depth=1
	s_or_b32 exec_lo, exec_lo, s7
	s_wait_dscnt 0x0
	s_barrier_signal -1
	s_barrier_wait -1
	s_and_saveexec_b32 s7, s25
	;; [unrolled: 26-line block ×12, first 2 shown]
	s_cbranch_execz .LBB28_324
; %bb.323:                              ;   in Loop: Header=BB28_3 Depth=1
	ds_load_b64 v[34:35], v5 offset:17152
	ds_load_b64 v[36:37], v53
	s_wait_dscnt 0x0
	v_fma_f64 v[32:33], -v[34:35], v[36:37], v[32:33]
.LBB28_324:                             ;   in Loop: Header=BB28_3 Depth=1
	s_or_b32 exec_lo, exec_lo, s7
	s_barrier_signal -1
	s_barrier_wait -1
	s_and_saveexec_b32 s7, s57
	s_cbranch_execz .LBB28_326
; %bb.325:                              ;   in Loop: Header=BB28_3 Depth=1
	ds_load_b64 v[34:35], v5 offset:16640
	s_wait_dscnt 0x0
	v_mul_f64_e32 v[32:33], v[32:33], v[34:35]
	s_delay_alu instid0(VALU_DEP_1) | instskip(NEXT) | instid1(VALU_DEP_2)
	v_xor_b32_e32 v35, 0x80000000, v33
	v_mov_b32_e32 v34, v32
	ds_store_b64 v53, v[34:35]
.LBB28_326:                             ;   in Loop: Header=BB28_3 Depth=1
	s_or_b32 exec_lo, exec_lo, s7
	s_wait_dscnt 0x0
	s_barrier_signal -1
	s_barrier_wait -1
	s_barrier_signal -1
	s_barrier_wait -1
	s_and_saveexec_b32 s7, s4
; %bb.327:                              ;   in Loop: Header=BB28_3 Depth=1
	ds_store_b64 v57, v[32:33] offset:32512
; %bb.328:                              ;   in Loop: Header=BB28_3 Depth=1
	s_or_b32 exec_lo, exec_lo, s7
	s_wait_dscnt 0x0
	s_barrier_signal -1
	s_barrier_wait -1
	s_barrier_signal -1
	s_barrier_wait -1
	s_and_saveexec_b32 s7, s14
	s_cbranch_execz .LBB28_330
; %bb.329:                              ;   in Loop: Header=BB28_3 Depth=1
	ds_load_b128 v[32:35], v5 offset:24432
	ds_load_b64 v[36:37], v5 offset:23920
	s_wait_dscnt 0x0
	v_mul_f64_e32 v[34:35], v[36:37], v[34:35]
	s_delay_alu instid0(VALU_DEP_1)
	v_mul_f64_e32 v[32:33], v[32:33], v[34:35]
	ds_store_b64 v5, v[32:33] offset:24432
.LBB28_330:                             ;   in Loop: Header=BB28_3 Depth=1
	s_or_b32 exec_lo, exec_lo, s7
	v_mov_b64_e32 v[32:33], 0
	s_wait_dscnt 0x0
	s_barrier_signal -1
	s_barrier_wait -1
	global_wb scope:SCOPE_DEV
	s_wait_storecnt 0x0
	global_inv scope:SCOPE_DEV
	s_and_saveexec_b32 s7, s1
	s_cbranch_execz .LBB28_334
; %bb.331:                              ;   in Loop: Header=BB28_3 Depth=1
	ds_load_b64 v[32:33], v42 offset:23904
	ds_load_b64 v[34:35], v41 offset:24432
	s_wait_dscnt 0x0
	v_fma_f64 v[32:33], v[32:33], v[34:35], 0
	s_and_saveexec_b32 s8, s15
	s_cbranch_execz .LBB28_333
; %bb.332:                              ;   in Loop: Header=BB28_3 Depth=1
	ds_load_b64 v[34:35], v43 offset:24416
	ds_load_b64 v[36:37], v5 offset:24440
	s_wait_dscnt 0x0
	v_fmac_f64_e32 v[32:33], v[34:35], v[36:37]
.LBB28_333:                             ;   in Loop: Header=BB28_3 Depth=1
	s_or_b32 exec_lo, exec_lo, s8
.LBB28_334:                             ;   in Loop: Header=BB28_3 Depth=1
	s_delay_alu instid0(SALU_CYCLE_1)
	s_or_b32 exec_lo, exec_lo, s7
	s_and_saveexec_b32 s7, vcc_hi
	s_cbranch_execz .LBB28_336
; %bb.335:                              ;   in Loop: Header=BB28_3 Depth=1
	ds_load_b64 v[34:35], v5 offset:23400
	s_wait_dscnt 0x0
	v_mul_f64_e32 v[32:33], v[32:33], v[34:35]
	s_delay_alu instid0(VALU_DEP_1) | instskip(NEXT) | instid1(VALU_DEP_2)
	v_xor_b32_e32 v35, 0x80000000, v33
	v_mov_b32_e32 v34, v32
	ds_store_b64 v3, v[34:35]
.LBB28_336:                             ;   in Loop: Header=BB28_3 Depth=1
	s_or_b32 exec_lo, exec_lo, s7
	s_wait_loadcnt_dscnt 0x0
	s_barrier_signal -1
	s_barrier_wait -1
	s_and_saveexec_b32 s7, s36
	s_cbranch_execz .LBB28_338
; %bb.337:                              ;   in Loop: Header=BB28_3 Depth=1
	ds_load_b64 v[34:35], v5 offset:23392
	ds_load_b64 v[36:37], v3
	s_wait_dscnt 0x0
	v_fma_f64 v[32:33], -v[34:35], v[36:37], v[32:33]
.LBB28_338:                             ;   in Loop: Header=BB28_3 Depth=1
	s_or_b32 exec_lo, exec_lo, s7
	s_barrier_signal -1
	s_barrier_wait -1
	s_and_saveexec_b32 s7, s36
	s_cbranch_execz .LBB28_340
; %bb.339:                              ;   in Loop: Header=BB28_3 Depth=1
	ds_load_b64 v[34:35], v5 offset:22880
	s_wait_dscnt 0x0
	v_mul_f64_e32 v[32:33], v[32:33], v[34:35]
	s_delay_alu instid0(VALU_DEP_1) | instskip(NEXT) | instid1(VALU_DEP_2)
	v_xor_b32_e32 v35, 0x80000000, v33
	v_mov_b32_e32 v34, v32
	ds_store_b64 v3, v[34:35]
.LBB28_340:                             ;   in Loop: Header=BB28_3 Depth=1
	s_or_b32 exec_lo, exec_lo, s7
	s_wait_dscnt 0x0
	s_barrier_signal -1
	s_barrier_wait -1
	s_barrier_signal -1
	s_barrier_wait -1
	s_and_saveexec_b32 s7, s1
; %bb.341:                              ;   in Loop: Header=BB28_3 Depth=1
	ds_store_b64 v44, v[32:33] offset:24416
; %bb.342:                              ;   in Loop: Header=BB28_3 Depth=1
	s_or_b32 exec_lo, exec_lo, s7
	s_wait_dscnt 0x0
	s_barrier_signal -1
	s_barrier_wait -1
	s_barrier_signal -1
	s_barrier_wait -1
	s_and_saveexec_b32 s7, s14
	s_cbranch_execz .LBB28_344
; %bb.343:                              ;   in Loop: Header=BB28_3 Depth=1
	ds_load_b128 v[32:35], v5 offset:23392
	ds_load_b64 v[36:37], v5 offset:22880
	s_wait_dscnt 0x0
	v_mul_f64_e32 v[34:35], v[36:37], v[34:35]
	s_delay_alu instid0(VALU_DEP_1)
	v_mul_f64_e32 v[32:33], v[32:33], v[34:35]
	ds_store_b64 v5, v[32:33] offset:23392
.LBB28_344:                             ;   in Loop: Header=BB28_3 Depth=1
	s_or_b32 exec_lo, exec_lo, s7
	v_mov_b64_e32 v[32:33], 0
	s_wait_dscnt 0x0
	s_barrier_signal -1
	s_barrier_wait -1
	global_wb scope:SCOPE_DEV
	s_wait_storecnt 0x0
	global_inv scope:SCOPE_DEV
	s_and_saveexec_b32 s7, s2
	s_cbranch_execz .LBB28_350
; %bb.345:                              ;   in Loop: Header=BB28_3 Depth=1
	ds_load_b64 v[32:33], v47 offset:22848
	ds_load_b64 v[34:35], v46 offset:24416
	s_wait_dscnt 0x0
	v_fma_f64 v[32:33], v[32:33], v[34:35], 0
	s_and_saveexec_b32 s8, s16
	s_cbranch_execnz .LBB28_1051
; %bb.346:                              ;   in Loop: Header=BB28_3 Depth=1
	s_or_b32 exec_lo, exec_lo, s8
	s_and_saveexec_b32 s8, s17
	s_cbranch_execnz .LBB28_1052
.LBB28_347:                             ;   in Loop: Header=BB28_3 Depth=1
	s_or_b32 exec_lo, exec_lo, s8
	s_and_saveexec_b32 s8, s1
	s_cbranch_execz .LBB28_349
.LBB28_348:                             ;   in Loop: Header=BB28_3 Depth=1
	ds_load_b64 v[34:35], v43 offset:24384
	ds_load_b64 v[36:37], v5 offset:24440
	s_wait_dscnt 0x0
	v_fmac_f64_e32 v[32:33], v[34:35], v[36:37]
.LBB28_349:                             ;   in Loop: Header=BB28_3 Depth=1
	s_or_b32 exec_lo, exec_lo, s8
.LBB28_350:                             ;   in Loop: Header=BB28_3 Depth=1
	s_delay_alu instid0(SALU_CYCLE_1)
	s_or_b32 exec_lo, exec_lo, s7
	s_and_saveexec_b32 s7, s37
	s_cbranch_execz .LBB28_352
; %bb.351:                              ;   in Loop: Header=BB28_3 Depth=1
	ds_load_b64 v[34:35], v5 offset:22360
	s_wait_dscnt 0x0
	v_mul_f64_e32 v[32:33], v[32:33], v[34:35]
	s_delay_alu instid0(VALU_DEP_1) | instskip(NEXT) | instid1(VALU_DEP_2)
	v_xor_b32_e32 v35, 0x80000000, v33
	v_mov_b32_e32 v34, v32
	ds_store_b64 v45, v[34:35]
.LBB28_352:                             ;   in Loop: Header=BB28_3 Depth=1
	s_or_b32 exec_lo, exec_lo, s7
	s_wait_loadcnt_dscnt 0x0
	s_barrier_signal -1
	s_barrier_wait -1
	s_and_saveexec_b32 s7, s38
	s_cbranch_execz .LBB28_354
; %bb.353:                              ;   in Loop: Header=BB28_3 Depth=1
	ds_load_b64 v[34:35], v47 offset:22336
	ds_load_b64 v[36:37], v45
	s_wait_dscnt 0x0
	v_fma_f64 v[32:33], -v[34:35], v[36:37], v[32:33]
.LBB28_354:                             ;   in Loop: Header=BB28_3 Depth=1
	s_or_b32 exec_lo, exec_lo, s7
	s_barrier_signal -1
	s_barrier_wait -1
	s_and_saveexec_b32 s7, s39
	s_cbranch_execz .LBB28_356
; %bb.355:                              ;   in Loop: Header=BB28_3 Depth=1
	ds_load_b64 v[34:35], v5 offset:21840
	s_wait_dscnt 0x0
	v_mul_f64_e32 v[32:33], v[32:33], v[34:35]
	s_delay_alu instid0(VALU_DEP_1) | instskip(NEXT) | instid1(VALU_DEP_2)
	v_xor_b32_e32 v35, 0x80000000, v33
	v_mov_b32_e32 v34, v32
	ds_store_b64 v45, v[34:35]
.LBB28_356:                             ;   in Loop: Header=BB28_3 Depth=1
	s_or_b32 exec_lo, exec_lo, s7
	s_wait_dscnt 0x0
	s_barrier_signal -1
	s_barrier_wait -1
	s_and_saveexec_b32 s7, s40
	s_cbranch_execz .LBB28_358
; %bb.357:                              ;   in Loop: Header=BB28_3 Depth=1
	ds_load_b64 v[34:35], v47 offset:21824
	ds_load_b64 v[36:37], v45
	s_wait_dscnt 0x0
	v_fma_f64 v[32:33], -v[34:35], v[36:37], v[32:33]
.LBB28_358:                             ;   in Loop: Header=BB28_3 Depth=1
	s_or_b32 exec_lo, exec_lo, s7
	s_barrier_signal -1
	s_barrier_wait -1
	s_and_saveexec_b32 s7, s41
	s_cbranch_execz .LBB28_360
; %bb.359:                              ;   in Loop: Header=BB28_3 Depth=1
	ds_load_b64 v[34:35], v5 offset:21320
	s_wait_dscnt 0x0
	v_mul_f64_e32 v[32:33], v[32:33], v[34:35]
	s_delay_alu instid0(VALU_DEP_1) | instskip(NEXT) | instid1(VALU_DEP_2)
	v_xor_b32_e32 v35, 0x80000000, v33
	v_mov_b32_e32 v34, v32
	ds_store_b64 v45, v[34:35]
.LBB28_360:                             ;   in Loop: Header=BB28_3 Depth=1
	s_or_b32 exec_lo, exec_lo, s7
	s_wait_dscnt 0x0
	;; [unrolled: 26-line block ×3, first 2 shown]
	s_barrier_signal -1
	s_barrier_wait -1
	s_barrier_signal -1
	s_barrier_wait -1
	s_and_saveexec_b32 s7, s2
; %bb.365:                              ;   in Loop: Header=BB28_3 Depth=1
	ds_store_b64 v48, v[32:33] offset:24384
; %bb.366:                              ;   in Loop: Header=BB28_3 Depth=1
	s_or_b32 exec_lo, exec_lo, s7
	s_wait_dscnt 0x0
	s_barrier_signal -1
	s_barrier_wait -1
	s_barrier_signal -1
	s_barrier_wait -1
	s_and_saveexec_b32 s7, s14
	s_cbranch_execz .LBB28_368
; %bb.367:                              ;   in Loop: Header=BB28_3 Depth=1
	ds_load_b128 v[32:35], v5 offset:22352
	ds_load_b64 v[36:37], v5 offset:21840
	s_wait_dscnt 0x0
	v_mul_f64_e32 v[34:35], v[36:37], v[34:35]
	s_delay_alu instid0(VALU_DEP_1)
	v_mul_f64_e32 v[32:33], v[32:33], v[34:35]
	ds_store_b64 v5, v[32:33] offset:22352
.LBB28_368:                             ;   in Loop: Header=BB28_3 Depth=1
	s_or_b32 exec_lo, exec_lo, s7
	v_mov_b64_e32 v[32:33], 0
	s_wait_dscnt 0x0
	s_barrier_signal -1
	s_barrier_wait -1
	global_wb scope:SCOPE_DEV
	s_wait_storecnt 0x0
	global_inv scope:SCOPE_DEV
	s_and_saveexec_b32 s7, s1
	s_cbranch_execz .LBB28_372
; %bb.369:                              ;   in Loop: Header=BB28_3 Depth=1
	ds_load_b64 v[32:33], v42 offset:21824
	ds_load_b64 v[34:35], v41 offset:22352
	s_wait_dscnt 0x0
	v_fma_f64 v[32:33], v[32:33], v[34:35], 0
	s_and_saveexec_b32 s8, s15
	s_cbranch_execz .LBB28_371
; %bb.370:                              ;   in Loop: Header=BB28_3 Depth=1
	ds_load_b64 v[34:35], v43 offset:22336
	ds_load_b64 v[36:37], v5 offset:22360
	s_wait_dscnt 0x0
	v_fmac_f64_e32 v[32:33], v[34:35], v[36:37]
.LBB28_371:                             ;   in Loop: Header=BB28_3 Depth=1
	s_or_b32 exec_lo, exec_lo, s8
.LBB28_372:                             ;   in Loop: Header=BB28_3 Depth=1
	s_delay_alu instid0(SALU_CYCLE_1)
	s_or_b32 exec_lo, exec_lo, s7
	s_and_saveexec_b32 s7, vcc_hi
	s_cbranch_execz .LBB28_374
; %bb.373:                              ;   in Loop: Header=BB28_3 Depth=1
	ds_load_b64 v[34:35], v5 offset:21320
	s_wait_dscnt 0x0
	v_mul_f64_e32 v[32:33], v[32:33], v[34:35]
	s_delay_alu instid0(VALU_DEP_1) | instskip(NEXT) | instid1(VALU_DEP_2)
	v_xor_b32_e32 v35, 0x80000000, v33
	v_mov_b32_e32 v34, v32
	ds_store_b64 v3, v[34:35]
.LBB28_374:                             ;   in Loop: Header=BB28_3 Depth=1
	s_or_b32 exec_lo, exec_lo, s7
	s_wait_loadcnt_dscnt 0x0
	s_barrier_signal -1
	s_barrier_wait -1
	s_and_saveexec_b32 s7, s36
	s_cbranch_execz .LBB28_376
; %bb.375:                              ;   in Loop: Header=BB28_3 Depth=1
	ds_load_b64 v[34:35], v5 offset:21312
	ds_load_b64 v[36:37], v3
	s_wait_dscnt 0x0
	v_fma_f64 v[32:33], -v[34:35], v[36:37], v[32:33]
.LBB28_376:                             ;   in Loop: Header=BB28_3 Depth=1
	s_or_b32 exec_lo, exec_lo, s7
	s_barrier_signal -1
	s_barrier_wait -1
	s_and_saveexec_b32 s7, s36
	s_cbranch_execz .LBB28_378
; %bb.377:                              ;   in Loop: Header=BB28_3 Depth=1
	ds_load_b64 v[34:35], v5 offset:20800
	s_wait_dscnt 0x0
	v_mul_f64_e32 v[32:33], v[32:33], v[34:35]
	s_delay_alu instid0(VALU_DEP_1) | instskip(NEXT) | instid1(VALU_DEP_2)
	v_xor_b32_e32 v35, 0x80000000, v33
	v_mov_b32_e32 v34, v32
	ds_store_b64 v3, v[34:35]
.LBB28_378:                             ;   in Loop: Header=BB28_3 Depth=1
	s_or_b32 exec_lo, exec_lo, s7
	s_wait_dscnt 0x0
	s_barrier_signal -1
	s_barrier_wait -1
	s_barrier_signal -1
	s_barrier_wait -1
	s_and_saveexec_b32 s7, s1
; %bb.379:                              ;   in Loop: Header=BB28_3 Depth=1
	ds_store_b64 v44, v[32:33] offset:22336
; %bb.380:                              ;   in Loop: Header=BB28_3 Depth=1
	s_or_b32 exec_lo, exec_lo, s7
	s_wait_dscnt 0x0
	s_barrier_signal -1
	s_barrier_wait -1
	s_barrier_signal -1
	s_barrier_wait -1
	s_and_saveexec_b32 s7, s14
	s_cbranch_execz .LBB28_382
; %bb.381:                              ;   in Loop: Header=BB28_3 Depth=1
	ds_load_b128 v[32:35], v5 offset:21312
	ds_load_b64 v[36:37], v5 offset:20800
	s_wait_dscnt 0x0
	v_mul_f64_e32 v[34:35], v[36:37], v[34:35]
	s_delay_alu instid0(VALU_DEP_1)
	v_mul_f64_e32 v[32:33], v[32:33], v[34:35]
	ds_store_b64 v5, v[32:33] offset:21312
.LBB28_382:                             ;   in Loop: Header=BB28_3 Depth=1
	s_or_b32 exec_lo, exec_lo, s7
	v_mov_b64_e32 v[32:33], 0
	s_wait_dscnt 0x0
	s_barrier_signal -1
	s_barrier_wait -1
	global_wb scope:SCOPE_DEV
	s_wait_storecnt 0x0
	global_inv scope:SCOPE_DEV
	s_and_saveexec_b32 s7, s3
	s_cbranch_execz .LBB28_392
; %bb.383:                              ;   in Loop: Header=BB28_3 Depth=1
	ds_load_b64 v[32:33], v51 offset:20736
	ds_load_b64 v[34:35], v50 offset:24384
	s_wait_dscnt 0x0
	v_fma_f64 v[32:33], v[32:33], v[34:35], 0
	s_and_saveexec_b32 s8, s18
	s_cbranch_execnz .LBB28_1053
; %bb.384:                              ;   in Loop: Header=BB28_3 Depth=1
	s_or_b32 exec_lo, exec_lo, s8
	s_and_saveexec_b32 s8, s19
	s_cbranch_execnz .LBB28_1054
.LBB28_385:                             ;   in Loop: Header=BB28_3 Depth=1
	s_or_b32 exec_lo, exec_lo, s8
	s_and_saveexec_b32 s8, s20
	s_cbranch_execnz .LBB28_1055
.LBB28_386:                             ;   in Loop: Header=BB28_3 Depth=1
	s_or_b32 exec_lo, exec_lo, s8
	s_and_saveexec_b32 s8, s21
	s_cbranch_execnz .LBB28_1056
.LBB28_387:                             ;   in Loop: Header=BB28_3 Depth=1
	s_or_b32 exec_lo, exec_lo, s8
	s_and_saveexec_b32 s8, s22
	s_cbranch_execnz .LBB28_1057
.LBB28_388:                             ;   in Loop: Header=BB28_3 Depth=1
	s_or_b32 exec_lo, exec_lo, s8
	s_and_saveexec_b32 s8, s2
	s_cbranch_execnz .LBB28_1058
.LBB28_389:                             ;   in Loop: Header=BB28_3 Depth=1
	s_or_b32 exec_lo, exec_lo, s8
	s_and_saveexec_b32 s8, s17
	s_cbranch_execz .LBB28_391
.LBB28_390:                             ;   in Loop: Header=BB28_3 Depth=1
	ds_load_b64 v[34:35], v43 offset:24320
	ds_load_b64 v[36:37], v5 offset:24440
	s_wait_dscnt 0x0
	v_fmac_f64_e32 v[32:33], v[34:35], v[36:37]
.LBB28_391:                             ;   in Loop: Header=BB28_3 Depth=1
	s_or_b32 exec_lo, exec_lo, s8
.LBB28_392:                             ;   in Loop: Header=BB28_3 Depth=1
	s_delay_alu instid0(SALU_CYCLE_1)
	s_or_b32 exec_lo, exec_lo, s7
	s_and_saveexec_b32 s7, s43
	s_cbranch_execz .LBB28_394
; %bb.393:                              ;   in Loop: Header=BB28_3 Depth=1
	ds_load_b64 v[34:35], v5 offset:20280
	s_wait_dscnt 0x0
	v_mul_f64_e32 v[32:33], v[32:33], v[34:35]
	s_delay_alu instid0(VALU_DEP_1) | instskip(NEXT) | instid1(VALU_DEP_2)
	v_xor_b32_e32 v35, 0x80000000, v33
	v_mov_b32_e32 v34, v32
	ds_store_b64 v49, v[34:35]
.LBB28_394:                             ;   in Loop: Header=BB28_3 Depth=1
	s_or_b32 exec_lo, exec_lo, s7
	s_wait_loadcnt_dscnt 0x0
	s_barrier_signal -1
	s_barrier_wait -1
	s_and_saveexec_b32 s7, s44
	s_cbranch_execz .LBB28_396
; %bb.395:                              ;   in Loop: Header=BB28_3 Depth=1
	ds_load_b64 v[34:35], v51 offset:20224
	ds_load_b64 v[36:37], v49
	s_wait_dscnt 0x0
	v_fma_f64 v[32:33], -v[34:35], v[36:37], v[32:33]
.LBB28_396:                             ;   in Loop: Header=BB28_3 Depth=1
	s_or_b32 exec_lo, exec_lo, s7
	s_barrier_signal -1
	s_barrier_wait -1
	s_and_saveexec_b32 s7, s45
	s_cbranch_execz .LBB28_398
; %bb.397:                              ;   in Loop: Header=BB28_3 Depth=1
	ds_load_b64 v[34:35], v5 offset:19760
	s_wait_dscnt 0x0
	v_mul_f64_e32 v[32:33], v[32:33], v[34:35]
	s_delay_alu instid0(VALU_DEP_1) | instskip(NEXT) | instid1(VALU_DEP_2)
	v_xor_b32_e32 v35, 0x80000000, v33
	v_mov_b32_e32 v34, v32
	ds_store_b64 v49, v[34:35]
.LBB28_398:                             ;   in Loop: Header=BB28_3 Depth=1
	s_or_b32 exec_lo, exec_lo, s7
	s_wait_dscnt 0x0
	s_barrier_signal -1
	s_barrier_wait -1
	s_and_saveexec_b32 s7, s46
	s_cbranch_execz .LBB28_400
; %bb.399:                              ;   in Loop: Header=BB28_3 Depth=1
	ds_load_b64 v[34:35], v51 offset:19712
	ds_load_b64 v[36:37], v49
	s_wait_dscnt 0x0
	v_fma_f64 v[32:33], -v[34:35], v[36:37], v[32:33]
.LBB28_400:                             ;   in Loop: Header=BB28_3 Depth=1
	s_or_b32 exec_lo, exec_lo, s7
	s_barrier_signal -1
	s_barrier_wait -1
	s_and_saveexec_b32 s7, s47
	s_cbranch_execz .LBB28_402
; %bb.401:                              ;   in Loop: Header=BB28_3 Depth=1
	ds_load_b64 v[34:35], v5 offset:19240
	s_wait_dscnt 0x0
	v_mul_f64_e32 v[32:33], v[32:33], v[34:35]
	s_delay_alu instid0(VALU_DEP_1) | instskip(NEXT) | instid1(VALU_DEP_2)
	v_xor_b32_e32 v35, 0x80000000, v33
	v_mov_b32_e32 v34, v32
	ds_store_b64 v49, v[34:35]
.LBB28_402:                             ;   in Loop: Header=BB28_3 Depth=1
	s_or_b32 exec_lo, exec_lo, s7
	s_wait_dscnt 0x0
	;; [unrolled: 26-line block ×7, first 2 shown]
	s_barrier_signal -1
	s_barrier_wait -1
	s_barrier_signal -1
	s_barrier_wait -1
	s_and_saveexec_b32 s7, s3
; %bb.423:                              ;   in Loop: Header=BB28_3 Depth=1
	ds_store_b64 v52, v[32:33] offset:24320
; %bb.424:                              ;   in Loop: Header=BB28_3 Depth=1
	s_or_b32 exec_lo, exec_lo, s7
	s_wait_dscnt 0x0
	s_barrier_signal -1
	s_barrier_wait -1
	s_barrier_signal -1
	s_barrier_wait -1
	s_and_saveexec_b32 s7, s14
	s_cbranch_execz .LBB28_426
; %bb.425:                              ;   in Loop: Header=BB28_3 Depth=1
	ds_load_b128 v[32:35], v5 offset:20272
	ds_load_b64 v[36:37], v5 offset:19760
	s_wait_dscnt 0x0
	v_mul_f64_e32 v[34:35], v[36:37], v[34:35]
	s_delay_alu instid0(VALU_DEP_1)
	v_mul_f64_e32 v[32:33], v[32:33], v[34:35]
	ds_store_b64 v5, v[32:33] offset:20272
.LBB28_426:                             ;   in Loop: Header=BB28_3 Depth=1
	s_or_b32 exec_lo, exec_lo, s7
	v_mov_b64_e32 v[32:33], 0
	s_wait_dscnt 0x0
	s_barrier_signal -1
	s_barrier_wait -1
	global_wb scope:SCOPE_DEV
	s_wait_storecnt 0x0
	global_inv scope:SCOPE_DEV
	s_and_saveexec_b32 s7, s1
	s_cbranch_execz .LBB28_430
; %bb.427:                              ;   in Loop: Header=BB28_3 Depth=1
	ds_load_b64 v[32:33], v42 offset:19744
	ds_load_b64 v[34:35], v41 offset:20272
	s_wait_dscnt 0x0
	v_fma_f64 v[32:33], v[32:33], v[34:35], 0
	s_and_saveexec_b32 s8, s15
	s_cbranch_execz .LBB28_429
; %bb.428:                              ;   in Loop: Header=BB28_3 Depth=1
	ds_load_b64 v[34:35], v43 offset:20256
	ds_load_b64 v[36:37], v5 offset:20280
	s_wait_dscnt 0x0
	v_fmac_f64_e32 v[32:33], v[34:35], v[36:37]
.LBB28_429:                             ;   in Loop: Header=BB28_3 Depth=1
	s_or_b32 exec_lo, exec_lo, s8
.LBB28_430:                             ;   in Loop: Header=BB28_3 Depth=1
	s_delay_alu instid0(SALU_CYCLE_1)
	s_or_b32 exec_lo, exec_lo, s7
	s_and_saveexec_b32 s7, vcc_hi
	s_cbranch_execz .LBB28_432
; %bb.431:                              ;   in Loop: Header=BB28_3 Depth=1
	ds_load_b64 v[34:35], v5 offset:19240
	s_wait_dscnt 0x0
	v_mul_f64_e32 v[32:33], v[32:33], v[34:35]
	s_delay_alu instid0(VALU_DEP_1) | instskip(NEXT) | instid1(VALU_DEP_2)
	v_xor_b32_e32 v35, 0x80000000, v33
	v_mov_b32_e32 v34, v32
	ds_store_b64 v3, v[34:35]
.LBB28_432:                             ;   in Loop: Header=BB28_3 Depth=1
	s_or_b32 exec_lo, exec_lo, s7
	s_wait_loadcnt_dscnt 0x0
	s_barrier_signal -1
	s_barrier_wait -1
	s_and_saveexec_b32 s7, s36
	s_cbranch_execz .LBB28_434
; %bb.433:                              ;   in Loop: Header=BB28_3 Depth=1
	ds_load_b64 v[34:35], v5 offset:19232
	ds_load_b64 v[36:37], v3
	s_wait_dscnt 0x0
	v_fma_f64 v[32:33], -v[34:35], v[36:37], v[32:33]
.LBB28_434:                             ;   in Loop: Header=BB28_3 Depth=1
	s_or_b32 exec_lo, exec_lo, s7
	s_barrier_signal -1
	s_barrier_wait -1
	s_and_saveexec_b32 s7, s36
	s_cbranch_execz .LBB28_436
; %bb.435:                              ;   in Loop: Header=BB28_3 Depth=1
	ds_load_b64 v[34:35], v5 offset:18720
	s_wait_dscnt 0x0
	v_mul_f64_e32 v[32:33], v[32:33], v[34:35]
	s_delay_alu instid0(VALU_DEP_1) | instskip(NEXT) | instid1(VALU_DEP_2)
	v_xor_b32_e32 v35, 0x80000000, v33
	v_mov_b32_e32 v34, v32
	ds_store_b64 v3, v[34:35]
.LBB28_436:                             ;   in Loop: Header=BB28_3 Depth=1
	s_or_b32 exec_lo, exec_lo, s7
	s_wait_dscnt 0x0
	s_barrier_signal -1
	s_barrier_wait -1
	s_barrier_signal -1
	s_barrier_wait -1
	s_and_saveexec_b32 s7, s1
; %bb.437:                              ;   in Loop: Header=BB28_3 Depth=1
	ds_store_b64 v44, v[32:33] offset:20256
; %bb.438:                              ;   in Loop: Header=BB28_3 Depth=1
	s_or_b32 exec_lo, exec_lo, s7
	s_wait_dscnt 0x0
	s_barrier_signal -1
	s_barrier_wait -1
	s_barrier_signal -1
	s_barrier_wait -1
	s_and_saveexec_b32 s7, s14
	s_cbranch_execz .LBB28_440
; %bb.439:                              ;   in Loop: Header=BB28_3 Depth=1
	ds_load_b128 v[32:35], v5 offset:19232
	ds_load_b64 v[36:37], v5 offset:18720
	s_wait_dscnt 0x0
	v_mul_f64_e32 v[34:35], v[36:37], v[34:35]
	s_delay_alu instid0(VALU_DEP_1)
	v_mul_f64_e32 v[32:33], v[32:33], v[34:35]
	ds_store_b64 v5, v[32:33] offset:19232
.LBB28_440:                             ;   in Loop: Header=BB28_3 Depth=1
	s_or_b32 exec_lo, exec_lo, s7
	v_mov_b64_e32 v[32:33], 0
	s_wait_dscnt 0x0
	s_barrier_signal -1
	s_barrier_wait -1
	global_wb scope:SCOPE_DEV
	s_wait_storecnt 0x0
	global_inv scope:SCOPE_DEV
	s_and_saveexec_b32 s7, s2
	s_cbranch_execz .LBB28_446
; %bb.441:                              ;   in Loop: Header=BB28_3 Depth=1
	ds_load_b64 v[32:33], v47 offset:18688
	ds_load_b64 v[34:35], v46 offset:20256
	s_wait_dscnt 0x0
	v_fma_f64 v[32:33], v[32:33], v[34:35], 0
	s_and_saveexec_b32 s8, s16
	s_cbranch_execnz .LBB28_1059
; %bb.442:                              ;   in Loop: Header=BB28_3 Depth=1
	s_or_b32 exec_lo, exec_lo, s8
	s_and_saveexec_b32 s8, s17
	s_cbranch_execnz .LBB28_1060
.LBB28_443:                             ;   in Loop: Header=BB28_3 Depth=1
	s_or_b32 exec_lo, exec_lo, s8
	s_and_saveexec_b32 s8, s1
	s_cbranch_execz .LBB28_445
.LBB28_444:                             ;   in Loop: Header=BB28_3 Depth=1
	ds_load_b64 v[34:35], v43 offset:20224
	ds_load_b64 v[36:37], v5 offset:20280
	s_wait_dscnt 0x0
	v_fmac_f64_e32 v[32:33], v[34:35], v[36:37]
.LBB28_445:                             ;   in Loop: Header=BB28_3 Depth=1
	s_or_b32 exec_lo, exec_lo, s8
.LBB28_446:                             ;   in Loop: Header=BB28_3 Depth=1
	s_delay_alu instid0(SALU_CYCLE_1)
	s_or_b32 exec_lo, exec_lo, s7
	s_and_saveexec_b32 s7, s37
	s_cbranch_execz .LBB28_448
; %bb.447:                              ;   in Loop: Header=BB28_3 Depth=1
	ds_load_b64 v[34:35], v5 offset:18200
	s_wait_dscnt 0x0
	v_mul_f64_e32 v[32:33], v[32:33], v[34:35]
	s_delay_alu instid0(VALU_DEP_1) | instskip(NEXT) | instid1(VALU_DEP_2)
	v_xor_b32_e32 v35, 0x80000000, v33
	v_mov_b32_e32 v34, v32
	ds_store_b64 v45, v[34:35]
.LBB28_448:                             ;   in Loop: Header=BB28_3 Depth=1
	s_or_b32 exec_lo, exec_lo, s7
	s_wait_loadcnt_dscnt 0x0
	s_barrier_signal -1
	s_barrier_wait -1
	s_and_saveexec_b32 s7, s38
	s_cbranch_execz .LBB28_450
; %bb.449:                              ;   in Loop: Header=BB28_3 Depth=1
	ds_load_b64 v[34:35], v47 offset:18176
	ds_load_b64 v[36:37], v45
	s_wait_dscnt 0x0
	v_fma_f64 v[32:33], -v[34:35], v[36:37], v[32:33]
.LBB28_450:                             ;   in Loop: Header=BB28_3 Depth=1
	s_or_b32 exec_lo, exec_lo, s7
	s_barrier_signal -1
	s_barrier_wait -1
	s_and_saveexec_b32 s7, s39
	s_cbranch_execz .LBB28_452
; %bb.451:                              ;   in Loop: Header=BB28_3 Depth=1
	ds_load_b64 v[34:35], v5 offset:17680
	s_wait_dscnt 0x0
	v_mul_f64_e32 v[32:33], v[32:33], v[34:35]
	s_delay_alu instid0(VALU_DEP_1) | instskip(NEXT) | instid1(VALU_DEP_2)
	v_xor_b32_e32 v35, 0x80000000, v33
	v_mov_b32_e32 v34, v32
	ds_store_b64 v45, v[34:35]
.LBB28_452:                             ;   in Loop: Header=BB28_3 Depth=1
	s_or_b32 exec_lo, exec_lo, s7
	s_wait_dscnt 0x0
	s_barrier_signal -1
	s_barrier_wait -1
	s_and_saveexec_b32 s7, s40
	s_cbranch_execz .LBB28_454
; %bb.453:                              ;   in Loop: Header=BB28_3 Depth=1
	ds_load_b64 v[34:35], v47 offset:17664
	ds_load_b64 v[36:37], v45
	s_wait_dscnt 0x0
	v_fma_f64 v[32:33], -v[34:35], v[36:37], v[32:33]
.LBB28_454:                             ;   in Loop: Header=BB28_3 Depth=1
	s_or_b32 exec_lo, exec_lo, s7
	s_barrier_signal -1
	s_barrier_wait -1
	s_and_saveexec_b32 s7, s41
	s_cbranch_execz .LBB28_456
; %bb.455:                              ;   in Loop: Header=BB28_3 Depth=1
	ds_load_b64 v[34:35], v5 offset:17160
	s_wait_dscnt 0x0
	v_mul_f64_e32 v[32:33], v[32:33], v[34:35]
	s_delay_alu instid0(VALU_DEP_1) | instskip(NEXT) | instid1(VALU_DEP_2)
	v_xor_b32_e32 v35, 0x80000000, v33
	v_mov_b32_e32 v34, v32
	ds_store_b64 v45, v[34:35]
.LBB28_456:                             ;   in Loop: Header=BB28_3 Depth=1
	s_or_b32 exec_lo, exec_lo, s7
	s_wait_dscnt 0x0
	;; [unrolled: 26-line block ×3, first 2 shown]
	s_barrier_signal -1
	s_barrier_wait -1
	s_barrier_signal -1
	s_barrier_wait -1
	s_and_saveexec_b32 s7, s2
; %bb.461:                              ;   in Loop: Header=BB28_3 Depth=1
	ds_store_b64 v48, v[32:33] offset:20224
; %bb.462:                              ;   in Loop: Header=BB28_3 Depth=1
	s_or_b32 exec_lo, exec_lo, s7
	s_wait_dscnt 0x0
	s_barrier_signal -1
	s_barrier_wait -1
	s_barrier_signal -1
	s_barrier_wait -1
	s_and_saveexec_b32 s7, s14
	s_cbranch_execz .LBB28_464
; %bb.463:                              ;   in Loop: Header=BB28_3 Depth=1
	ds_load_b128 v[32:35], v5 offset:18192
	ds_load_b64 v[36:37], v5 offset:17680
	s_wait_dscnt 0x0
	v_mul_f64_e32 v[34:35], v[36:37], v[34:35]
	s_delay_alu instid0(VALU_DEP_1)
	v_mul_f64_e32 v[32:33], v[32:33], v[34:35]
	ds_store_b64 v5, v[32:33] offset:18192
.LBB28_464:                             ;   in Loop: Header=BB28_3 Depth=1
	s_or_b32 exec_lo, exec_lo, s7
	v_mov_b64_e32 v[32:33], 0
	s_wait_dscnt 0x0
	s_barrier_signal -1
	s_barrier_wait -1
	global_wb scope:SCOPE_DEV
	s_wait_storecnt 0x0
	global_inv scope:SCOPE_DEV
	s_and_saveexec_b32 s7, s1
	s_cbranch_execz .LBB28_468
; %bb.465:                              ;   in Loop: Header=BB28_3 Depth=1
	ds_load_b64 v[32:33], v42 offset:17664
	ds_load_b64 v[34:35], v41 offset:18192
	s_wait_dscnt 0x0
	v_fma_f64 v[32:33], v[32:33], v[34:35], 0
	s_and_saveexec_b32 s8, s15
	s_cbranch_execz .LBB28_467
; %bb.466:                              ;   in Loop: Header=BB28_3 Depth=1
	ds_load_b64 v[34:35], v43 offset:18176
	ds_load_b64 v[36:37], v5 offset:18200
	s_wait_dscnt 0x0
	v_fmac_f64_e32 v[32:33], v[34:35], v[36:37]
.LBB28_467:                             ;   in Loop: Header=BB28_3 Depth=1
	s_or_b32 exec_lo, exec_lo, s8
.LBB28_468:                             ;   in Loop: Header=BB28_3 Depth=1
	s_delay_alu instid0(SALU_CYCLE_1)
	s_or_b32 exec_lo, exec_lo, s7
	s_and_saveexec_b32 s7, vcc_hi
	s_cbranch_execz .LBB28_470
; %bb.469:                              ;   in Loop: Header=BB28_3 Depth=1
	ds_load_b64 v[34:35], v5 offset:17160
	s_wait_dscnt 0x0
	v_mul_f64_e32 v[32:33], v[32:33], v[34:35]
	s_delay_alu instid0(VALU_DEP_1) | instskip(NEXT) | instid1(VALU_DEP_2)
	v_xor_b32_e32 v35, 0x80000000, v33
	v_mov_b32_e32 v34, v32
	ds_store_b64 v3, v[34:35]
.LBB28_470:                             ;   in Loop: Header=BB28_3 Depth=1
	s_or_b32 exec_lo, exec_lo, s7
	s_wait_loadcnt_dscnt 0x0
	s_barrier_signal -1
	s_barrier_wait -1
	s_and_saveexec_b32 s7, s36
	s_cbranch_execz .LBB28_472
; %bb.471:                              ;   in Loop: Header=BB28_3 Depth=1
	ds_load_b64 v[34:35], v5 offset:17152
	ds_load_b64 v[36:37], v3
	s_wait_dscnt 0x0
	v_fma_f64 v[32:33], -v[34:35], v[36:37], v[32:33]
.LBB28_472:                             ;   in Loop: Header=BB28_3 Depth=1
	s_or_b32 exec_lo, exec_lo, s7
	s_barrier_signal -1
	s_barrier_wait -1
	s_and_saveexec_b32 s7, s36
	s_cbranch_execz .LBB28_474
; %bb.473:                              ;   in Loop: Header=BB28_3 Depth=1
	ds_load_b64 v[34:35], v5 offset:16640
	s_wait_dscnt 0x0
	v_mul_f64_e32 v[32:33], v[32:33], v[34:35]
	s_delay_alu instid0(VALU_DEP_1) | instskip(NEXT) | instid1(VALU_DEP_2)
	v_xor_b32_e32 v35, 0x80000000, v33
	v_mov_b32_e32 v34, v32
	ds_store_b64 v3, v[34:35]
.LBB28_474:                             ;   in Loop: Header=BB28_3 Depth=1
	s_or_b32 exec_lo, exec_lo, s7
	s_wait_dscnt 0x0
	s_barrier_signal -1
	s_barrier_wait -1
	s_barrier_signal -1
	s_barrier_wait -1
	s_and_saveexec_b32 s7, s1
; %bb.475:                              ;   in Loop: Header=BB28_3 Depth=1
	ds_store_b64 v44, v[32:33] offset:18176
; %bb.476:                              ;   in Loop: Header=BB28_3 Depth=1
	s_or_b32 exec_lo, exec_lo, s7
	s_wait_dscnt 0x0
	s_barrier_signal -1
	s_barrier_wait -1
	s_barrier_signal -1
	s_barrier_wait -1
	s_and_saveexec_b32 s7, s14
	s_cbranch_execz .LBB28_478
; %bb.477:                              ;   in Loop: Header=BB28_3 Depth=1
	ds_load_b128 v[32:35], v5 offset:17152
	ds_load_b64 v[36:37], v5 offset:16640
	s_wait_dscnt 0x0
	v_mul_f64_e32 v[34:35], v[36:37], v[34:35]
	s_delay_alu instid0(VALU_DEP_1)
	v_mul_f64_e32 v[32:33], v[32:33], v[34:35]
	ds_store_b64 v5, v[32:33] offset:17152
.LBB28_478:                             ;   in Loop: Header=BB28_3 Depth=1
	s_or_b32 exec_lo, exec_lo, s7
	v_mov_b64_e32 v[32:33], 0
	s_wait_dscnt 0x0
	s_barrier_signal -1
	s_barrier_wait -1
	global_wb scope:SCOPE_DEV
	s_wait_storecnt 0x0
	global_inv scope:SCOPE_DEV
	s_and_saveexec_b32 s98, s35
	s_cbranch_execz .LBB28_540
; %bb.479:                              ;   in Loop: Header=BB28_3 Depth=1
	ds_load_b64 v[32:33], v60 offset:16384
	ds_load_b64 v[34:35], v59 offset:32512
	s_wait_dscnt 0x0
	v_fma_f64 v[32:33], v[32:33], v[34:35], 0
	s_mov_b32 s7, exec_lo
	v_readlane_b32 s8, v83, 11
	s_and_b32 s8, s7, s8
	s_delay_alu instid0(SALU_CYCLE_1)
	s_mov_b32 exec_lo, s8
	s_cbranch_execz .LBB28_481
; %bb.480:                              ;   in Loop: Header=BB28_3 Depth=1
	ds_load_b64 v[34:35], v60 offset:16896
	ds_load_b64 v[36:37], v59 offset:32520
	s_wait_dscnt 0x0
	v_fmac_f64_e32 v[32:33], v[34:35], v[36:37]
.LBB28_481:                             ;   in Loop: Header=BB28_3 Depth=1
	s_or_b32 exec_lo, exec_lo, s7
	s_delay_alu instid0(SALU_CYCLE_1) | instskip(SKIP_2) | instid1(SALU_CYCLE_1)
	s_mov_b32 s7, exec_lo
	v_readlane_b32 s8, v83, 12
	s_and_b32 s8, s7, s8
	s_mov_b32 exec_lo, s8
	s_cbranch_execz .LBB28_483
; %bb.482:                              ;   in Loop: Header=BB28_3 Depth=1
	ds_load_b64 v[34:35], v60 offset:17408
	ds_load_b64 v[36:37], v59 offset:32528
	s_wait_dscnt 0x0
	v_fmac_f64_e32 v[32:33], v[34:35], v[36:37]
.LBB28_483:                             ;   in Loop: Header=BB28_3 Depth=1
	s_or_b32 exec_lo, exec_lo, s7
	s_delay_alu instid0(SALU_CYCLE_1) | instskip(SKIP_2) | instid1(SALU_CYCLE_1)
	s_mov_b32 s7, exec_lo
	v_readlane_b32 s8, v83, 13
	s_and_b32 s8, s7, s8
	;; [unrolled: 13-line block ×22, first 2 shown]
	s_mov_b32 exec_lo, s8
	s_cbranch_execz .LBB28_525
; %bb.524:                              ;   in Loop: Header=BB28_3 Depth=1
	ds_load_b64 v[34:35], v60 offset:28160
	ds_load_b64 v[36:37], v59 offset:32696
	s_wait_dscnt 0x0
	v_fmac_f64_e32 v[32:33], v[34:35], v[36:37]
.LBB28_525:                             ;   in Loop: Header=BB28_3 Depth=1
	s_or_b32 exec_lo, exec_lo, s7
	s_and_saveexec_b32 s7, s4
	s_cbranch_execz .LBB28_527
; %bb.526:                              ;   in Loop: Header=BB28_3 Depth=1
	ds_load_b64 v[34:35], v60 offset:28672
	ds_load_b64 v[36:37], v59 offset:32704
	s_wait_dscnt 0x0
	v_fmac_f64_e32 v[32:33], v[34:35], v[36:37]
.LBB28_527:                             ;   in Loop: Header=BB28_3 Depth=1
	s_or_b32 exec_lo, exec_lo, s7
	s_delay_alu instid0(SALU_CYCLE_1) | instskip(SKIP_2) | instid1(SALU_CYCLE_1)
	s_mov_b32 s7, exec_lo
	v_readlane_b32 s8, v83, 1
	s_and_b32 s8, s7, s8
	s_mov_b32 exec_lo, s8
	s_cbranch_execz .LBB28_529
; %bb.528:                              ;   in Loop: Header=BB28_3 Depth=1
	ds_load_b64 v[34:35], v60 offset:29184
	ds_load_b64 v[36:37], v59 offset:32712
	s_wait_dscnt 0x0
	v_fmac_f64_e32 v[32:33], v[34:35], v[36:37]
.LBB28_529:                             ;   in Loop: Header=BB28_3 Depth=1
	s_or_b32 exec_lo, exec_lo, s7
	s_delay_alu instid0(SALU_CYCLE_1) | instskip(SKIP_2) | instid1(SALU_CYCLE_1)
	s_mov_b32 s7, exec_lo
	v_readlane_b32 s8, v83, 3
	s_and_b32 s8, s7, s8
	s_mov_b32 exec_lo, s8
	;; [unrolled: 13-line block ×5, first 2 shown]
	s_cbranch_execnz .LBB28_1061
; %bb.536:                              ;   in Loop: Header=BB28_3 Depth=1
	s_or_b32 exec_lo, exec_lo, s7
	s_and_saveexec_b32 s7, s3
	s_cbranch_execnz .LBB28_1062
.LBB28_537:                             ;   in Loop: Header=BB28_3 Depth=1
	s_or_b32 exec_lo, exec_lo, s7
	s_and_saveexec_b32 s7, s21
	s_delay_alu instid0(SALU_CYCLE_1)
	s_xor_b32 s7, exec_lo, s7
	s_cbranch_execz .LBB28_539
.LBB28_538:                             ;   in Loop: Header=BB28_3 Depth=1
	ds_load_b64 v[34:35], v43 offset:32256
	ds_load_b64 v[36:37], v5 offset:32760
	s_wait_dscnt 0x0
	v_fmac_f64_e32 v[32:33], v[34:35], v[36:37]
.LBB28_539:                             ;   in Loop: Header=BB28_3 Depth=1
	s_or_b32 exec_lo, exec_lo, s7
.LBB28_540:                             ;   in Loop: Header=BB28_3 Depth=1
	s_delay_alu instid0(SALU_CYCLE_1)
	s_or_b32 exec_lo, exec_lo, s98
	v_mov_b32_e32 v34, v62
	s_mov_b32 s7, 31
	s_branch .LBB28_542
.LBB28_541:                             ;   in Loop: Header=BB28_542 Depth=2
	s_or_b32 exec_lo, exec_lo, s8
	v_add_nc_u32_e32 v34, 0xfffff800, v34
	s_add_co_i32 s7, s7, -4
	s_cmp_eq_u32 s98, 0
	s_barrier_signal -1
	s_barrier_wait -1
	s_cbranch_scc1 .LBB28_558
.LBB28_542:                             ;   Parent Loop BB28_3 Depth=1
                                        ; =>  This Inner Loop Header: Depth=2
	s_delay_alu instid0(VALU_DEP_1) | instskip(SKIP_1) | instid1(SALU_CYCLE_1)
	v_cmp_eq_u32_e32 vcc_lo, 0xffffc200, v34
	s_and_b32 s66, s6, vcc_lo
	s_and_saveexec_b32 s8, s66
	s_cbranch_execz .LBB28_544
; %bb.543:                              ;   in Loop: Header=BB28_542 Depth=2
	ds_load_b64 v[36:37], v61
	s_wait_dscnt 0x0
	v_mul_f64_e32 v[32:33], v[32:33], v[36:37]
	s_delay_alu instid0(VALU_DEP_1) | instskip(NEXT) | instid1(VALU_DEP_2)
	v_xor_b32_e32 v37, 0x80000000, v33
	v_mov_b32_e32 v36, v32
	ds_store_b64 v58, v[36:37]
.LBB28_544:                             ;   in Loop: Header=BB28_542 Depth=2
	s_or_b32 exec_lo, exec_lo, s8
	v_cmp_gt_u32_e32 vcc_lo, s7, v56
	v_add_nc_u32_e32 v35, v63, v34
	s_wait_loadcnt_dscnt 0x0
	s_barrier_signal -1
	s_barrier_wait -1
	s_and_b32 s66, s6, vcc_lo
	s_delay_alu instid0(SALU_CYCLE_1)
	s_and_saveexec_b32 s8, s66
	s_cbranch_execz .LBB28_546
; %bb.545:                              ;   in Loop: Header=BB28_542 Depth=2
	ds_load_b64 v[36:37], v35 offset:1536
	ds_load_b64 v[38:39], v58
	s_wait_dscnt 0x0
	v_fma_f64 v[32:33], -v[36:37], v[38:39], v[32:33]
.LBB28_546:                             ;   in Loop: Header=BB28_542 Depth=2
	s_or_b32 exec_lo, exec_lo, s8
	s_add_co_i32 s8, s7, -1
	s_delay_alu instid0(SALU_CYCLE_1) | instskip(SKIP_3) | instid1(SALU_CYCLE_1)
	v_cmp_eq_u32_e32 vcc_lo, s8, v56
	s_barrier_signal -1
	s_barrier_wait -1
	s_and_b32 s67, s6, vcc_lo
	s_and_saveexec_b32 s66, s67
	s_cbranch_execz .LBB28_548
; %bb.547:                              ;   in Loop: Header=BB28_542 Depth=2
	ds_load_b64 v[36:37], v61
	s_wait_dscnt 0x0
	v_mul_f64_e32 v[32:33], v[32:33], v[36:37]
	s_delay_alu instid0(VALU_DEP_1) | instskip(NEXT) | instid1(VALU_DEP_2)
	v_xor_b32_e32 v37, 0x80000000, v33
	v_mov_b32_e32 v36, v32
	ds_store_b64 v58, v[36:37]
.LBB28_548:                             ;   in Loop: Header=BB28_542 Depth=2
	s_or_b32 exec_lo, exec_lo, s66
	v_cmp_gt_u32_e32 vcc_lo, s8, v56
	s_wait_dscnt 0x0
	s_barrier_signal -1
	s_barrier_wait -1
	s_and_b32 s66, s6, vcc_lo
	s_delay_alu instid0(SALU_CYCLE_1)
	s_and_saveexec_b32 s8, s66
	s_cbranch_execz .LBB28_550
; %bb.549:                              ;   in Loop: Header=BB28_542 Depth=2
	ds_load_b64 v[36:37], v35 offset:1024
	ds_load_b64 v[38:39], v58
	s_wait_dscnt 0x0
	v_fma_f64 v[32:33], -v[36:37], v[38:39], v[32:33]
.LBB28_550:                             ;   in Loop: Header=BB28_542 Depth=2
	s_or_b32 exec_lo, exec_lo, s8
	s_add_co_i32 s8, s7, -2
	s_delay_alu instid0(SALU_CYCLE_1) | instskip(SKIP_3) | instid1(SALU_CYCLE_1)
	v_cmp_eq_u32_e32 vcc_lo, s8, v56
	s_barrier_signal -1
	s_barrier_wait -1
	s_and_b32 s67, s6, vcc_lo
	s_and_saveexec_b32 s66, s67
	s_cbranch_execz .LBB28_552
; %bb.551:                              ;   in Loop: Header=BB28_542 Depth=2
	ds_load_b64 v[36:37], v61
	s_wait_dscnt 0x0
	v_mul_f64_e32 v[32:33], v[32:33], v[36:37]
	s_delay_alu instid0(VALU_DEP_1) | instskip(NEXT) | instid1(VALU_DEP_2)
	v_xor_b32_e32 v37, 0x80000000, v33
	v_mov_b32_e32 v36, v32
	ds_store_b64 v58, v[36:37]
.LBB28_552:                             ;   in Loop: Header=BB28_542 Depth=2
	s_or_b32 exec_lo, exec_lo, s66
	v_cmp_gt_u32_e32 vcc_lo, s8, v56
	s_wait_dscnt 0x0
	;; [unrolled: 33-line block ×3, first 2 shown]
	s_barrier_signal -1
	s_barrier_wait -1
	s_and_b32 s66, s6, vcc_lo
	s_delay_alu instid0(SALU_CYCLE_1)
	s_and_saveexec_b32 s8, s66
	s_cbranch_execz .LBB28_541
; %bb.557:                              ;   in Loop: Header=BB28_542 Depth=2
	ds_load_b64 v[36:37], v35
	ds_load_b64 v[38:39], v58
	s_wait_dscnt 0x0
	v_fma_f64 v[32:33], -v[36:37], v[38:39], v[32:33]
	s_branch .LBB28_541
.LBB28_558:                             ;   in Loop: Header=BB28_3 Depth=1
	s_and_saveexec_b32 s7, s35
; %bb.559:                              ;   in Loop: Header=BB28_3 Depth=1
	ds_store_b64 v64, v[32:33] offset:32256
; %bb.560:                              ;   in Loop: Header=BB28_3 Depth=1
	s_or_b32 exec_lo, exec_lo, s7
	s_wait_dscnt 0x0
	s_barrier_signal -1
	s_barrier_wait -1
	s_barrier_signal -1
	s_barrier_wait -1
	s_and_saveexec_b32 s7, s14
	s_cbranch_execz .LBB28_562
; %bb.561:                              ;   in Loop: Header=BB28_3 Depth=1
	ds_load_b128 v[32:35], v5 offset:16112
	ds_load_b64 v[36:37], v5 offset:15600
	s_wait_dscnt 0x0
	v_mul_f64_e32 v[34:35], v[36:37], v[34:35]
	s_delay_alu instid0(VALU_DEP_1)
	v_mul_f64_e32 v[32:33], v[32:33], v[34:35]
	ds_store_b64 v5, v[32:33] offset:16112
.LBB28_562:                             ;   in Loop: Header=BB28_3 Depth=1
	s_or_b32 exec_lo, exec_lo, s7
	v_mov_b64_e32 v[32:33], 0
	s_wait_dscnt 0x0
	s_barrier_signal -1
	s_barrier_wait -1
	global_wb scope:SCOPE_DEV
	s_wait_storecnt 0x0
	global_inv scope:SCOPE_DEV
	s_and_saveexec_b32 s7, s1
	s_cbranch_execz .LBB28_566
; %bb.563:                              ;   in Loop: Header=BB28_3 Depth=1
	ds_load_b64 v[32:33], v42 offset:15584
	ds_load_b64 v[34:35], v41 offset:16112
	s_wait_dscnt 0x0
	v_fma_f64 v[32:33], v[32:33], v[34:35], 0
	s_and_saveexec_b32 s8, s15
	s_cbranch_execz .LBB28_565
; %bb.564:                              ;   in Loop: Header=BB28_3 Depth=1
	ds_load_b64 v[34:35], v43 offset:16096
	ds_load_b64 v[36:37], v5 offset:16120
	s_wait_dscnt 0x0
	v_fmac_f64_e32 v[32:33], v[34:35], v[36:37]
.LBB28_565:                             ;   in Loop: Header=BB28_3 Depth=1
	s_or_b32 exec_lo, exec_lo, s8
.LBB28_566:                             ;   in Loop: Header=BB28_3 Depth=1
	s_delay_alu instid0(SALU_CYCLE_1)
	s_or_b32 exec_lo, exec_lo, s7
	s_and_saveexec_b32 s7, vcc_hi
	s_cbranch_execz .LBB28_568
; %bb.567:                              ;   in Loop: Header=BB28_3 Depth=1
	ds_load_b64 v[34:35], v5 offset:15080
	s_wait_dscnt 0x0
	v_mul_f64_e32 v[32:33], v[32:33], v[34:35]
	s_delay_alu instid0(VALU_DEP_1) | instskip(NEXT) | instid1(VALU_DEP_2)
	v_xor_b32_e32 v35, 0x80000000, v33
	v_mov_b32_e32 v34, v32
	ds_store_b64 v3, v[34:35]
.LBB28_568:                             ;   in Loop: Header=BB28_3 Depth=1
	s_or_b32 exec_lo, exec_lo, s7
	s_wait_loadcnt_dscnt 0x0
	s_barrier_signal -1
	s_barrier_wait -1
	s_and_saveexec_b32 s7, s36
	s_cbranch_execz .LBB28_570
; %bb.569:                              ;   in Loop: Header=BB28_3 Depth=1
	ds_load_b64 v[34:35], v5 offset:15072
	ds_load_b64 v[36:37], v3
	s_wait_dscnt 0x0
	v_fma_f64 v[32:33], -v[34:35], v[36:37], v[32:33]
.LBB28_570:                             ;   in Loop: Header=BB28_3 Depth=1
	s_or_b32 exec_lo, exec_lo, s7
	s_barrier_signal -1
	s_barrier_wait -1
	s_and_saveexec_b32 s7, s36
	s_cbranch_execz .LBB28_572
; %bb.571:                              ;   in Loop: Header=BB28_3 Depth=1
	ds_load_b64 v[34:35], v5 offset:14560
	s_wait_dscnt 0x0
	v_mul_f64_e32 v[32:33], v[32:33], v[34:35]
	s_delay_alu instid0(VALU_DEP_1) | instskip(NEXT) | instid1(VALU_DEP_2)
	v_xor_b32_e32 v35, 0x80000000, v33
	v_mov_b32_e32 v34, v32
	ds_store_b64 v3, v[34:35]
.LBB28_572:                             ;   in Loop: Header=BB28_3 Depth=1
	s_or_b32 exec_lo, exec_lo, s7
	s_wait_dscnt 0x0
	s_barrier_signal -1
	s_barrier_wait -1
	s_barrier_signal -1
	s_barrier_wait -1
	s_and_saveexec_b32 s7, s1
; %bb.573:                              ;   in Loop: Header=BB28_3 Depth=1
	ds_store_b64 v44, v[32:33] offset:16096
; %bb.574:                              ;   in Loop: Header=BB28_3 Depth=1
	s_or_b32 exec_lo, exec_lo, s7
	s_wait_dscnt 0x0
	s_barrier_signal -1
	s_barrier_wait -1
	s_barrier_signal -1
	s_barrier_wait -1
	s_and_saveexec_b32 s7, s14
	s_cbranch_execz .LBB28_576
; %bb.575:                              ;   in Loop: Header=BB28_3 Depth=1
	ds_load_b128 v[32:35], v5 offset:15072
	ds_load_b64 v[36:37], v5 offset:14560
	s_wait_dscnt 0x0
	v_mul_f64_e32 v[34:35], v[36:37], v[34:35]
	s_delay_alu instid0(VALU_DEP_1)
	v_mul_f64_e32 v[32:33], v[32:33], v[34:35]
	ds_store_b64 v5, v[32:33] offset:15072
.LBB28_576:                             ;   in Loop: Header=BB28_3 Depth=1
	s_or_b32 exec_lo, exec_lo, s7
	v_mov_b64_e32 v[32:33], 0
	s_wait_dscnt 0x0
	s_barrier_signal -1
	s_barrier_wait -1
	global_wb scope:SCOPE_DEV
	s_wait_storecnt 0x0
	global_inv scope:SCOPE_DEV
	s_and_saveexec_b32 s7, s2
	s_cbranch_execz .LBB28_582
; %bb.577:                              ;   in Loop: Header=BB28_3 Depth=1
	ds_load_b64 v[32:33], v47 offset:14528
	ds_load_b64 v[34:35], v46 offset:16096
	s_wait_dscnt 0x0
	v_fma_f64 v[32:33], v[32:33], v[34:35], 0
	s_and_saveexec_b32 s8, s16
	s_cbranch_execnz .LBB28_1063
; %bb.578:                              ;   in Loop: Header=BB28_3 Depth=1
	s_or_b32 exec_lo, exec_lo, s8
	s_and_saveexec_b32 s8, s17
	s_cbranch_execnz .LBB28_1064
.LBB28_579:                             ;   in Loop: Header=BB28_3 Depth=1
	s_or_b32 exec_lo, exec_lo, s8
	s_and_saveexec_b32 s8, s1
	s_cbranch_execz .LBB28_581
.LBB28_580:                             ;   in Loop: Header=BB28_3 Depth=1
	ds_load_b64 v[34:35], v43 offset:16064
	ds_load_b64 v[36:37], v5 offset:16120
	s_wait_dscnt 0x0
	v_fmac_f64_e32 v[32:33], v[34:35], v[36:37]
.LBB28_581:                             ;   in Loop: Header=BB28_3 Depth=1
	s_or_b32 exec_lo, exec_lo, s8
.LBB28_582:                             ;   in Loop: Header=BB28_3 Depth=1
	s_delay_alu instid0(SALU_CYCLE_1)
	s_or_b32 exec_lo, exec_lo, s7
	s_and_saveexec_b32 s7, s37
	s_cbranch_execz .LBB28_584
; %bb.583:                              ;   in Loop: Header=BB28_3 Depth=1
	ds_load_b64 v[34:35], v5 offset:14040
	s_wait_dscnt 0x0
	v_mul_f64_e32 v[32:33], v[32:33], v[34:35]
	s_delay_alu instid0(VALU_DEP_1) | instskip(NEXT) | instid1(VALU_DEP_2)
	v_xor_b32_e32 v35, 0x80000000, v33
	v_mov_b32_e32 v34, v32
	ds_store_b64 v45, v[34:35]
.LBB28_584:                             ;   in Loop: Header=BB28_3 Depth=1
	s_or_b32 exec_lo, exec_lo, s7
	s_wait_loadcnt_dscnt 0x0
	s_barrier_signal -1
	s_barrier_wait -1
	s_and_saveexec_b32 s7, s38
	s_cbranch_execz .LBB28_586
; %bb.585:                              ;   in Loop: Header=BB28_3 Depth=1
	ds_load_b64 v[34:35], v47 offset:14016
	ds_load_b64 v[36:37], v45
	s_wait_dscnt 0x0
	v_fma_f64 v[32:33], -v[34:35], v[36:37], v[32:33]
.LBB28_586:                             ;   in Loop: Header=BB28_3 Depth=1
	s_or_b32 exec_lo, exec_lo, s7
	s_barrier_signal -1
	s_barrier_wait -1
	s_and_saveexec_b32 s7, s39
	s_cbranch_execz .LBB28_588
; %bb.587:                              ;   in Loop: Header=BB28_3 Depth=1
	ds_load_b64 v[34:35], v5 offset:13520
	s_wait_dscnt 0x0
	v_mul_f64_e32 v[32:33], v[32:33], v[34:35]
	s_delay_alu instid0(VALU_DEP_1) | instskip(NEXT) | instid1(VALU_DEP_2)
	v_xor_b32_e32 v35, 0x80000000, v33
	v_mov_b32_e32 v34, v32
	ds_store_b64 v45, v[34:35]
.LBB28_588:                             ;   in Loop: Header=BB28_3 Depth=1
	s_or_b32 exec_lo, exec_lo, s7
	s_wait_dscnt 0x0
	s_barrier_signal -1
	s_barrier_wait -1
	s_and_saveexec_b32 s7, s40
	s_cbranch_execz .LBB28_590
; %bb.589:                              ;   in Loop: Header=BB28_3 Depth=1
	ds_load_b64 v[34:35], v47 offset:13504
	ds_load_b64 v[36:37], v45
	s_wait_dscnt 0x0
	v_fma_f64 v[32:33], -v[34:35], v[36:37], v[32:33]
.LBB28_590:                             ;   in Loop: Header=BB28_3 Depth=1
	s_or_b32 exec_lo, exec_lo, s7
	s_barrier_signal -1
	s_barrier_wait -1
	s_and_saveexec_b32 s7, s41
	s_cbranch_execz .LBB28_592
; %bb.591:                              ;   in Loop: Header=BB28_3 Depth=1
	ds_load_b64 v[34:35], v5 offset:13000
	s_wait_dscnt 0x0
	v_mul_f64_e32 v[32:33], v[32:33], v[34:35]
	s_delay_alu instid0(VALU_DEP_1) | instskip(NEXT) | instid1(VALU_DEP_2)
	v_xor_b32_e32 v35, 0x80000000, v33
	v_mov_b32_e32 v34, v32
	ds_store_b64 v45, v[34:35]
.LBB28_592:                             ;   in Loop: Header=BB28_3 Depth=1
	s_or_b32 exec_lo, exec_lo, s7
	s_wait_dscnt 0x0
	;; [unrolled: 26-line block ×3, first 2 shown]
	s_barrier_signal -1
	s_barrier_wait -1
	s_barrier_signal -1
	s_barrier_wait -1
	s_and_saveexec_b32 s7, s2
; %bb.597:                              ;   in Loop: Header=BB28_3 Depth=1
	ds_store_b64 v48, v[32:33] offset:16064
; %bb.598:                              ;   in Loop: Header=BB28_3 Depth=1
	s_or_b32 exec_lo, exec_lo, s7
	s_wait_dscnt 0x0
	s_barrier_signal -1
	s_barrier_wait -1
	s_barrier_signal -1
	s_barrier_wait -1
	s_and_saveexec_b32 s7, s14
	s_cbranch_execz .LBB28_600
; %bb.599:                              ;   in Loop: Header=BB28_3 Depth=1
	ds_load_b128 v[32:35], v5 offset:14032
	ds_load_b64 v[36:37], v5 offset:13520
	s_wait_dscnt 0x0
	v_mul_f64_e32 v[34:35], v[36:37], v[34:35]
	s_delay_alu instid0(VALU_DEP_1)
	v_mul_f64_e32 v[32:33], v[32:33], v[34:35]
	ds_store_b64 v5, v[32:33] offset:14032
.LBB28_600:                             ;   in Loop: Header=BB28_3 Depth=1
	s_or_b32 exec_lo, exec_lo, s7
	v_mov_b64_e32 v[32:33], 0
	s_wait_dscnt 0x0
	s_barrier_signal -1
	s_barrier_wait -1
	global_wb scope:SCOPE_DEV
	s_wait_storecnt 0x0
	global_inv scope:SCOPE_DEV
	s_and_saveexec_b32 s7, s1
	s_cbranch_execz .LBB28_604
; %bb.601:                              ;   in Loop: Header=BB28_3 Depth=1
	ds_load_b64 v[32:33], v42 offset:13504
	ds_load_b64 v[34:35], v41 offset:14032
	s_wait_dscnt 0x0
	v_fma_f64 v[32:33], v[32:33], v[34:35], 0
	s_and_saveexec_b32 s8, s15
	s_cbranch_execz .LBB28_603
; %bb.602:                              ;   in Loop: Header=BB28_3 Depth=1
	ds_load_b64 v[34:35], v43 offset:14016
	ds_load_b64 v[36:37], v5 offset:14040
	s_wait_dscnt 0x0
	v_fmac_f64_e32 v[32:33], v[34:35], v[36:37]
.LBB28_603:                             ;   in Loop: Header=BB28_3 Depth=1
	s_or_b32 exec_lo, exec_lo, s8
.LBB28_604:                             ;   in Loop: Header=BB28_3 Depth=1
	s_delay_alu instid0(SALU_CYCLE_1)
	s_or_b32 exec_lo, exec_lo, s7
	s_and_saveexec_b32 s7, vcc_hi
	s_cbranch_execz .LBB28_606
; %bb.605:                              ;   in Loop: Header=BB28_3 Depth=1
	ds_load_b64 v[34:35], v5 offset:13000
	s_wait_dscnt 0x0
	v_mul_f64_e32 v[32:33], v[32:33], v[34:35]
	s_delay_alu instid0(VALU_DEP_1) | instskip(NEXT) | instid1(VALU_DEP_2)
	v_xor_b32_e32 v35, 0x80000000, v33
	v_mov_b32_e32 v34, v32
	ds_store_b64 v3, v[34:35]
.LBB28_606:                             ;   in Loop: Header=BB28_3 Depth=1
	s_or_b32 exec_lo, exec_lo, s7
	s_wait_loadcnt_dscnt 0x0
	s_barrier_signal -1
	s_barrier_wait -1
	s_and_saveexec_b32 s7, s36
	s_cbranch_execz .LBB28_608
; %bb.607:                              ;   in Loop: Header=BB28_3 Depth=1
	ds_load_b64 v[34:35], v5 offset:12992
	ds_load_b64 v[36:37], v3
	s_wait_dscnt 0x0
	v_fma_f64 v[32:33], -v[34:35], v[36:37], v[32:33]
.LBB28_608:                             ;   in Loop: Header=BB28_3 Depth=1
	s_or_b32 exec_lo, exec_lo, s7
	s_barrier_signal -1
	s_barrier_wait -1
	s_and_saveexec_b32 s7, s36
	s_cbranch_execz .LBB28_610
; %bb.609:                              ;   in Loop: Header=BB28_3 Depth=1
	ds_load_b64 v[34:35], v5 offset:12480
	s_wait_dscnt 0x0
	v_mul_f64_e32 v[32:33], v[32:33], v[34:35]
	s_delay_alu instid0(VALU_DEP_1) | instskip(NEXT) | instid1(VALU_DEP_2)
	v_xor_b32_e32 v35, 0x80000000, v33
	v_mov_b32_e32 v34, v32
	ds_store_b64 v3, v[34:35]
.LBB28_610:                             ;   in Loop: Header=BB28_3 Depth=1
	s_or_b32 exec_lo, exec_lo, s7
	s_wait_dscnt 0x0
	s_barrier_signal -1
	s_barrier_wait -1
	s_barrier_signal -1
	s_barrier_wait -1
	s_and_saveexec_b32 s7, s1
; %bb.611:                              ;   in Loop: Header=BB28_3 Depth=1
	ds_store_b64 v44, v[32:33] offset:14016
; %bb.612:                              ;   in Loop: Header=BB28_3 Depth=1
	s_or_b32 exec_lo, exec_lo, s7
	s_wait_dscnt 0x0
	s_barrier_signal -1
	s_barrier_wait -1
	s_barrier_signal -1
	s_barrier_wait -1
	s_and_saveexec_b32 s7, s14
	s_cbranch_execz .LBB28_614
; %bb.613:                              ;   in Loop: Header=BB28_3 Depth=1
	ds_load_b128 v[32:35], v5 offset:12992
	ds_load_b64 v[36:37], v5 offset:12480
	s_wait_dscnt 0x0
	v_mul_f64_e32 v[34:35], v[36:37], v[34:35]
	s_delay_alu instid0(VALU_DEP_1)
	v_mul_f64_e32 v[32:33], v[32:33], v[34:35]
	ds_store_b64 v5, v[32:33] offset:12992
.LBB28_614:                             ;   in Loop: Header=BB28_3 Depth=1
	s_or_b32 exec_lo, exec_lo, s7
	v_mov_b64_e32 v[32:33], 0
	s_wait_dscnt 0x0
	s_barrier_signal -1
	s_barrier_wait -1
	global_wb scope:SCOPE_DEV
	s_wait_storecnt 0x0
	global_inv scope:SCOPE_DEV
	s_and_saveexec_b32 s7, s3
	s_cbranch_execz .LBB28_624
; %bb.615:                              ;   in Loop: Header=BB28_3 Depth=1
	ds_load_b64 v[32:33], v51 offset:12416
	ds_load_b64 v[34:35], v50 offset:16064
	s_wait_dscnt 0x0
	v_fma_f64 v[32:33], v[32:33], v[34:35], 0
	s_and_saveexec_b32 s8, s18
	s_cbranch_execnz .LBB28_1065
; %bb.616:                              ;   in Loop: Header=BB28_3 Depth=1
	s_or_b32 exec_lo, exec_lo, s8
	s_and_saveexec_b32 s8, s19
	s_cbranch_execnz .LBB28_1066
.LBB28_617:                             ;   in Loop: Header=BB28_3 Depth=1
	s_or_b32 exec_lo, exec_lo, s8
	s_and_saveexec_b32 s8, s20
	s_cbranch_execnz .LBB28_1067
.LBB28_618:                             ;   in Loop: Header=BB28_3 Depth=1
	s_or_b32 exec_lo, exec_lo, s8
	s_and_saveexec_b32 s8, s21
	s_cbranch_execnz .LBB28_1068
.LBB28_619:                             ;   in Loop: Header=BB28_3 Depth=1
	s_or_b32 exec_lo, exec_lo, s8
	s_and_saveexec_b32 s8, s22
	s_cbranch_execnz .LBB28_1069
.LBB28_620:                             ;   in Loop: Header=BB28_3 Depth=1
	s_or_b32 exec_lo, exec_lo, s8
	s_and_saveexec_b32 s8, s2
	s_cbranch_execnz .LBB28_1070
.LBB28_621:                             ;   in Loop: Header=BB28_3 Depth=1
	s_or_b32 exec_lo, exec_lo, s8
	s_and_saveexec_b32 s8, s17
	s_cbranch_execz .LBB28_623
.LBB28_622:                             ;   in Loop: Header=BB28_3 Depth=1
	ds_load_b64 v[34:35], v43 offset:16000
	ds_load_b64 v[36:37], v5 offset:16120
	s_wait_dscnt 0x0
	v_fmac_f64_e32 v[32:33], v[34:35], v[36:37]
.LBB28_623:                             ;   in Loop: Header=BB28_3 Depth=1
	s_or_b32 exec_lo, exec_lo, s8
.LBB28_624:                             ;   in Loop: Header=BB28_3 Depth=1
	s_delay_alu instid0(SALU_CYCLE_1)
	s_or_b32 exec_lo, exec_lo, s7
	s_and_saveexec_b32 s7, s43
	s_cbranch_execz .LBB28_626
; %bb.625:                              ;   in Loop: Header=BB28_3 Depth=1
	ds_load_b64 v[34:35], v5 offset:11960
	s_wait_dscnt 0x0
	v_mul_f64_e32 v[32:33], v[32:33], v[34:35]
	s_delay_alu instid0(VALU_DEP_1) | instskip(NEXT) | instid1(VALU_DEP_2)
	v_xor_b32_e32 v35, 0x80000000, v33
	v_mov_b32_e32 v34, v32
	ds_store_b64 v49, v[34:35]
.LBB28_626:                             ;   in Loop: Header=BB28_3 Depth=1
	s_or_b32 exec_lo, exec_lo, s7
	s_wait_loadcnt_dscnt 0x0
	s_barrier_signal -1
	s_barrier_wait -1
	s_and_saveexec_b32 s7, s44
	s_cbranch_execz .LBB28_628
; %bb.627:                              ;   in Loop: Header=BB28_3 Depth=1
	ds_load_b64 v[34:35], v51 offset:11904
	ds_load_b64 v[36:37], v49
	s_wait_dscnt 0x0
	v_fma_f64 v[32:33], -v[34:35], v[36:37], v[32:33]
.LBB28_628:                             ;   in Loop: Header=BB28_3 Depth=1
	s_or_b32 exec_lo, exec_lo, s7
	s_barrier_signal -1
	s_barrier_wait -1
	s_and_saveexec_b32 s7, s45
	s_cbranch_execz .LBB28_630
; %bb.629:                              ;   in Loop: Header=BB28_3 Depth=1
	ds_load_b64 v[34:35], v5 offset:11440
	s_wait_dscnt 0x0
	v_mul_f64_e32 v[32:33], v[32:33], v[34:35]
	s_delay_alu instid0(VALU_DEP_1) | instskip(NEXT) | instid1(VALU_DEP_2)
	v_xor_b32_e32 v35, 0x80000000, v33
	v_mov_b32_e32 v34, v32
	ds_store_b64 v49, v[34:35]
.LBB28_630:                             ;   in Loop: Header=BB28_3 Depth=1
	s_or_b32 exec_lo, exec_lo, s7
	s_wait_dscnt 0x0
	s_barrier_signal -1
	s_barrier_wait -1
	s_and_saveexec_b32 s7, s46
	s_cbranch_execz .LBB28_632
; %bb.631:                              ;   in Loop: Header=BB28_3 Depth=1
	ds_load_b64 v[34:35], v51 offset:11392
	ds_load_b64 v[36:37], v49
	s_wait_dscnt 0x0
	v_fma_f64 v[32:33], -v[34:35], v[36:37], v[32:33]
.LBB28_632:                             ;   in Loop: Header=BB28_3 Depth=1
	s_or_b32 exec_lo, exec_lo, s7
	s_barrier_signal -1
	s_barrier_wait -1
	s_and_saveexec_b32 s7, s47
	s_cbranch_execz .LBB28_634
; %bb.633:                              ;   in Loop: Header=BB28_3 Depth=1
	ds_load_b64 v[34:35], v5 offset:10920
	s_wait_dscnt 0x0
	v_mul_f64_e32 v[32:33], v[32:33], v[34:35]
	s_delay_alu instid0(VALU_DEP_1) | instskip(NEXT) | instid1(VALU_DEP_2)
	v_xor_b32_e32 v35, 0x80000000, v33
	v_mov_b32_e32 v34, v32
	ds_store_b64 v49, v[34:35]
.LBB28_634:                             ;   in Loop: Header=BB28_3 Depth=1
	s_or_b32 exec_lo, exec_lo, s7
	s_wait_dscnt 0x0
	s_barrier_signal -1
	s_barrier_wait -1
	s_and_saveexec_b32 s7, s48
	s_cbranch_execz .LBB28_636
; %bb.635:                              ;   in Loop: Header=BB28_3 Depth=1
	ds_load_b64 v[34:35], v51 offset:10880
	ds_load_b64 v[36:37], v49
	s_wait_dscnt 0x0
	v_fma_f64 v[32:33], -v[34:35], v[36:37], v[32:33]
.LBB28_636:                             ;   in Loop: Header=BB28_3 Depth=1
	s_or_b32 exec_lo, exec_lo, s7
	s_barrier_signal -1
	s_barrier_wait -1
	s_and_saveexec_b32 s7, s49
	s_cbranch_execz .LBB28_638
; %bb.637:                              ;   in Loop: Header=BB28_3 Depth=1
	ds_load_b64 v[34:35], v5 offset:10400
	s_wait_dscnt 0x0
	v_mul_f64_e32 v[32:33], v[32:33], v[34:35]
	s_delay_alu instid0(VALU_DEP_1) | instskip(NEXT) | instid1(VALU_DEP_2)
	v_xor_b32_e32 v35, 0x80000000, v33
	v_mov_b32_e32 v34, v32
	ds_store_b64 v49, v[34:35]
.LBB28_638:                             ;   in Loop: Header=BB28_3 Depth=1
	s_or_b32 exec_lo, exec_lo, s7
	s_wait_dscnt 0x0
	s_barrier_signal -1
	s_barrier_wait -1
	s_and_saveexec_b32 s7, s50
	s_cbranch_execz .LBB28_640
; %bb.639:                              ;   in Loop: Header=BB28_3 Depth=1
	ds_load_b64 v[34:35], v51 offset:10368
	ds_load_b64 v[36:37], v49
	s_wait_dscnt 0x0
	v_fma_f64 v[32:33], -v[34:35], v[36:37], v[32:33]
.LBB28_640:                             ;   in Loop: Header=BB28_3 Depth=1
	s_or_b32 exec_lo, exec_lo, s7
	s_barrier_signal -1
	s_barrier_wait -1
	s_and_saveexec_b32 s7, s51
	s_cbranch_execz .LBB28_642
; %bb.641:                              ;   in Loop: Header=BB28_3 Depth=1
	ds_load_b64 v[34:35], v5 offset:9880
	s_wait_dscnt 0x0
	v_mul_f64_e32 v[32:33], v[32:33], v[34:35]
	s_delay_alu instid0(VALU_DEP_1) | instskip(NEXT) | instid1(VALU_DEP_2)
	v_xor_b32_e32 v35, 0x80000000, v33
	v_mov_b32_e32 v34, v32
	ds_store_b64 v49, v[34:35]
.LBB28_642:                             ;   in Loop: Header=BB28_3 Depth=1
	s_or_b32 exec_lo, exec_lo, s7
	s_wait_dscnt 0x0
	s_barrier_signal -1
	s_barrier_wait -1
	s_and_saveexec_b32 s7, s52
	s_cbranch_execz .LBB28_644
; %bb.643:                              ;   in Loop: Header=BB28_3 Depth=1
	ds_load_b64 v[34:35], v51 offset:9856
	ds_load_b64 v[36:37], v49
	s_wait_dscnt 0x0
	v_fma_f64 v[32:33], -v[34:35], v[36:37], v[32:33]
.LBB28_644:                             ;   in Loop: Header=BB28_3 Depth=1
	s_or_b32 exec_lo, exec_lo, s7
	s_barrier_signal -1
	s_barrier_wait -1
	s_and_saveexec_b32 s7, s53
	s_cbranch_execz .LBB28_646
; %bb.645:                              ;   in Loop: Header=BB28_3 Depth=1
	ds_load_b64 v[34:35], v5 offset:9360
	s_wait_dscnt 0x0
	v_mul_f64_e32 v[32:33], v[32:33], v[34:35]
	s_delay_alu instid0(VALU_DEP_1) | instskip(NEXT) | instid1(VALU_DEP_2)
	v_xor_b32_e32 v35, 0x80000000, v33
	v_mov_b32_e32 v34, v32
	ds_store_b64 v49, v[34:35]
.LBB28_646:                             ;   in Loop: Header=BB28_3 Depth=1
	s_or_b32 exec_lo, exec_lo, s7
	s_wait_dscnt 0x0
	s_barrier_signal -1
	s_barrier_wait -1
	s_and_saveexec_b32 s7, s54
	s_cbranch_execz .LBB28_648
; %bb.647:                              ;   in Loop: Header=BB28_3 Depth=1
	ds_load_b64 v[34:35], v51 offset:9344
	ds_load_b64 v[36:37], v49
	s_wait_dscnt 0x0
	v_fma_f64 v[32:33], -v[34:35], v[36:37], v[32:33]
.LBB28_648:                             ;   in Loop: Header=BB28_3 Depth=1
	s_or_b32 exec_lo, exec_lo, s7
	s_barrier_signal -1
	s_barrier_wait -1
	s_and_saveexec_b32 s7, s55
	s_cbranch_execz .LBB28_650
; %bb.649:                              ;   in Loop: Header=BB28_3 Depth=1
	ds_load_b64 v[34:35], v5 offset:8840
	s_wait_dscnt 0x0
	v_mul_f64_e32 v[32:33], v[32:33], v[34:35]
	s_delay_alu instid0(VALU_DEP_1) | instskip(NEXT) | instid1(VALU_DEP_2)
	v_xor_b32_e32 v35, 0x80000000, v33
	v_mov_b32_e32 v34, v32
	ds_store_b64 v49, v[34:35]
.LBB28_650:                             ;   in Loop: Header=BB28_3 Depth=1
	s_or_b32 exec_lo, exec_lo, s7
	s_wait_dscnt 0x0
	s_barrier_signal -1
	s_barrier_wait -1
	s_and_saveexec_b32 s7, s56
	s_cbranch_execz .LBB28_652
; %bb.651:                              ;   in Loop: Header=BB28_3 Depth=1
	ds_load_b64 v[34:35], v5 offset:8832
	ds_load_b64 v[36:37], v49
	s_wait_dscnt 0x0
	v_fma_f64 v[32:33], -v[34:35], v[36:37], v[32:33]
.LBB28_652:                             ;   in Loop: Header=BB28_3 Depth=1
	s_or_b32 exec_lo, exec_lo, s7
	s_barrier_signal -1
	s_barrier_wait -1
	s_and_saveexec_b32 s7, s56
	s_cbranch_execz .LBB28_654
; %bb.653:                              ;   in Loop: Header=BB28_3 Depth=1
	ds_load_b64 v[34:35], v5 offset:8320
	s_wait_dscnt 0x0
	v_mul_f64_e32 v[32:33], v[32:33], v[34:35]
	s_delay_alu instid0(VALU_DEP_1) | instskip(NEXT) | instid1(VALU_DEP_2)
	v_xor_b32_e32 v35, 0x80000000, v33
	v_mov_b32_e32 v34, v32
	ds_store_b64 v49, v[34:35]
.LBB28_654:                             ;   in Loop: Header=BB28_3 Depth=1
	s_or_b32 exec_lo, exec_lo, s7
	s_wait_dscnt 0x0
	s_barrier_signal -1
	s_barrier_wait -1
	s_barrier_signal -1
	s_barrier_wait -1
	s_and_saveexec_b32 s7, s3
; %bb.655:                              ;   in Loop: Header=BB28_3 Depth=1
	ds_store_b64 v52, v[32:33] offset:16000
; %bb.656:                              ;   in Loop: Header=BB28_3 Depth=1
	s_or_b32 exec_lo, exec_lo, s7
	s_wait_dscnt 0x0
	s_barrier_signal -1
	s_barrier_wait -1
	s_barrier_signal -1
	s_barrier_wait -1
	s_and_saveexec_b32 s7, s14
	s_cbranch_execz .LBB28_658
; %bb.657:                              ;   in Loop: Header=BB28_3 Depth=1
	ds_load_b128 v[32:35], v5 offset:11952
	ds_load_b64 v[36:37], v5 offset:11440
	s_wait_dscnt 0x0
	v_mul_f64_e32 v[34:35], v[36:37], v[34:35]
	s_delay_alu instid0(VALU_DEP_1)
	v_mul_f64_e32 v[32:33], v[32:33], v[34:35]
	ds_store_b64 v5, v[32:33] offset:11952
.LBB28_658:                             ;   in Loop: Header=BB28_3 Depth=1
	s_or_b32 exec_lo, exec_lo, s7
	v_mov_b64_e32 v[32:33], 0
	s_wait_dscnt 0x0
	s_barrier_signal -1
	s_barrier_wait -1
	global_wb scope:SCOPE_DEV
	s_wait_storecnt 0x0
	global_inv scope:SCOPE_DEV
	s_and_saveexec_b32 s7, s1
	s_cbranch_execz .LBB28_662
; %bb.659:                              ;   in Loop: Header=BB28_3 Depth=1
	ds_load_b64 v[32:33], v42 offset:11424
	ds_load_b64 v[34:35], v41 offset:11952
	s_wait_dscnt 0x0
	v_fma_f64 v[32:33], v[32:33], v[34:35], 0
	s_and_saveexec_b32 s8, s15
	s_cbranch_execz .LBB28_661
; %bb.660:                              ;   in Loop: Header=BB28_3 Depth=1
	ds_load_b64 v[34:35], v43 offset:11936
	ds_load_b64 v[36:37], v5 offset:11960
	s_wait_dscnt 0x0
	v_fmac_f64_e32 v[32:33], v[34:35], v[36:37]
.LBB28_661:                             ;   in Loop: Header=BB28_3 Depth=1
	s_or_b32 exec_lo, exec_lo, s8
.LBB28_662:                             ;   in Loop: Header=BB28_3 Depth=1
	s_delay_alu instid0(SALU_CYCLE_1)
	s_or_b32 exec_lo, exec_lo, s7
	s_and_saveexec_b32 s7, vcc_hi
	s_cbranch_execz .LBB28_664
; %bb.663:                              ;   in Loop: Header=BB28_3 Depth=1
	ds_load_b64 v[34:35], v5 offset:10920
	s_wait_dscnt 0x0
	v_mul_f64_e32 v[32:33], v[32:33], v[34:35]
	s_delay_alu instid0(VALU_DEP_1) | instskip(NEXT) | instid1(VALU_DEP_2)
	v_xor_b32_e32 v35, 0x80000000, v33
	v_mov_b32_e32 v34, v32
	ds_store_b64 v3, v[34:35]
.LBB28_664:                             ;   in Loop: Header=BB28_3 Depth=1
	s_or_b32 exec_lo, exec_lo, s7
	s_wait_loadcnt_dscnt 0x0
	s_barrier_signal -1
	s_barrier_wait -1
	s_and_saveexec_b32 s7, s36
	s_cbranch_execz .LBB28_666
; %bb.665:                              ;   in Loop: Header=BB28_3 Depth=1
	ds_load_b64 v[34:35], v5 offset:10912
	ds_load_b64 v[36:37], v3
	s_wait_dscnt 0x0
	v_fma_f64 v[32:33], -v[34:35], v[36:37], v[32:33]
.LBB28_666:                             ;   in Loop: Header=BB28_3 Depth=1
	s_or_b32 exec_lo, exec_lo, s7
	s_barrier_signal -1
	s_barrier_wait -1
	s_and_saveexec_b32 s7, s36
	s_cbranch_execz .LBB28_668
; %bb.667:                              ;   in Loop: Header=BB28_3 Depth=1
	ds_load_b64 v[34:35], v5 offset:10400
	s_wait_dscnt 0x0
	v_mul_f64_e32 v[32:33], v[32:33], v[34:35]
	s_delay_alu instid0(VALU_DEP_1) | instskip(NEXT) | instid1(VALU_DEP_2)
	v_xor_b32_e32 v35, 0x80000000, v33
	v_mov_b32_e32 v34, v32
	ds_store_b64 v3, v[34:35]
.LBB28_668:                             ;   in Loop: Header=BB28_3 Depth=1
	s_or_b32 exec_lo, exec_lo, s7
	s_wait_dscnt 0x0
	s_barrier_signal -1
	s_barrier_wait -1
	s_barrier_signal -1
	s_barrier_wait -1
	s_and_saveexec_b32 s7, s1
; %bb.669:                              ;   in Loop: Header=BB28_3 Depth=1
	ds_store_b64 v44, v[32:33] offset:11936
; %bb.670:                              ;   in Loop: Header=BB28_3 Depth=1
	s_or_b32 exec_lo, exec_lo, s7
	s_wait_dscnt 0x0
	s_barrier_signal -1
	s_barrier_wait -1
	s_barrier_signal -1
	s_barrier_wait -1
	s_and_saveexec_b32 s7, s14
	s_cbranch_execz .LBB28_672
; %bb.671:                              ;   in Loop: Header=BB28_3 Depth=1
	ds_load_b128 v[32:35], v5 offset:10912
	ds_load_b64 v[36:37], v5 offset:10400
	s_wait_dscnt 0x0
	v_mul_f64_e32 v[34:35], v[36:37], v[34:35]
	s_delay_alu instid0(VALU_DEP_1)
	v_mul_f64_e32 v[32:33], v[32:33], v[34:35]
	ds_store_b64 v5, v[32:33] offset:10912
.LBB28_672:                             ;   in Loop: Header=BB28_3 Depth=1
	s_or_b32 exec_lo, exec_lo, s7
	v_mov_b64_e32 v[32:33], 0
	s_wait_dscnt 0x0
	s_barrier_signal -1
	s_barrier_wait -1
	global_wb scope:SCOPE_DEV
	s_wait_storecnt 0x0
	global_inv scope:SCOPE_DEV
	s_and_saveexec_b32 s7, s2
	s_cbranch_execz .LBB28_678
; %bb.673:                              ;   in Loop: Header=BB28_3 Depth=1
	ds_load_b64 v[32:33], v47 offset:10368
	ds_load_b64 v[34:35], v46 offset:11936
	s_wait_dscnt 0x0
	v_fma_f64 v[32:33], v[32:33], v[34:35], 0
	s_and_saveexec_b32 s8, s16
	s_cbranch_execnz .LBB28_1071
; %bb.674:                              ;   in Loop: Header=BB28_3 Depth=1
	s_or_b32 exec_lo, exec_lo, s8
	s_and_saveexec_b32 s8, s17
	s_cbranch_execnz .LBB28_1072
.LBB28_675:                             ;   in Loop: Header=BB28_3 Depth=1
	s_or_b32 exec_lo, exec_lo, s8
	s_and_saveexec_b32 s8, s1
	s_cbranch_execz .LBB28_677
.LBB28_676:                             ;   in Loop: Header=BB28_3 Depth=1
	ds_load_b64 v[34:35], v43 offset:11904
	ds_load_b64 v[36:37], v5 offset:11960
	s_wait_dscnt 0x0
	v_fmac_f64_e32 v[32:33], v[34:35], v[36:37]
.LBB28_677:                             ;   in Loop: Header=BB28_3 Depth=1
	s_or_b32 exec_lo, exec_lo, s8
.LBB28_678:                             ;   in Loop: Header=BB28_3 Depth=1
	s_delay_alu instid0(SALU_CYCLE_1)
	s_or_b32 exec_lo, exec_lo, s7
	s_and_saveexec_b32 s7, s37
	s_cbranch_execz .LBB28_680
; %bb.679:                              ;   in Loop: Header=BB28_3 Depth=1
	ds_load_b64 v[34:35], v5 offset:9880
	s_wait_dscnt 0x0
	v_mul_f64_e32 v[32:33], v[32:33], v[34:35]
	s_delay_alu instid0(VALU_DEP_1) | instskip(NEXT) | instid1(VALU_DEP_2)
	v_xor_b32_e32 v35, 0x80000000, v33
	v_mov_b32_e32 v34, v32
	ds_store_b64 v45, v[34:35]
.LBB28_680:                             ;   in Loop: Header=BB28_3 Depth=1
	s_or_b32 exec_lo, exec_lo, s7
	s_wait_loadcnt_dscnt 0x0
	s_barrier_signal -1
	s_barrier_wait -1
	s_and_saveexec_b32 s7, s38
	s_cbranch_execz .LBB28_682
; %bb.681:                              ;   in Loop: Header=BB28_3 Depth=1
	ds_load_b64 v[34:35], v47 offset:9856
	ds_load_b64 v[36:37], v45
	s_wait_dscnt 0x0
	v_fma_f64 v[32:33], -v[34:35], v[36:37], v[32:33]
.LBB28_682:                             ;   in Loop: Header=BB28_3 Depth=1
	s_or_b32 exec_lo, exec_lo, s7
	s_barrier_signal -1
	s_barrier_wait -1
	s_and_saveexec_b32 s7, s39
	s_cbranch_execz .LBB28_684
; %bb.683:                              ;   in Loop: Header=BB28_3 Depth=1
	ds_load_b64 v[34:35], v5 offset:9360
	s_wait_dscnt 0x0
	v_mul_f64_e32 v[32:33], v[32:33], v[34:35]
	s_delay_alu instid0(VALU_DEP_1) | instskip(NEXT) | instid1(VALU_DEP_2)
	v_xor_b32_e32 v35, 0x80000000, v33
	v_mov_b32_e32 v34, v32
	ds_store_b64 v45, v[34:35]
.LBB28_684:                             ;   in Loop: Header=BB28_3 Depth=1
	s_or_b32 exec_lo, exec_lo, s7
	s_wait_dscnt 0x0
	s_barrier_signal -1
	s_barrier_wait -1
	s_and_saveexec_b32 s7, s40
	s_cbranch_execz .LBB28_686
; %bb.685:                              ;   in Loop: Header=BB28_3 Depth=1
	ds_load_b64 v[34:35], v47 offset:9344
	ds_load_b64 v[36:37], v45
	s_wait_dscnt 0x0
	v_fma_f64 v[32:33], -v[34:35], v[36:37], v[32:33]
.LBB28_686:                             ;   in Loop: Header=BB28_3 Depth=1
	s_or_b32 exec_lo, exec_lo, s7
	s_barrier_signal -1
	s_barrier_wait -1
	s_and_saveexec_b32 s7, s41
	s_cbranch_execz .LBB28_688
; %bb.687:                              ;   in Loop: Header=BB28_3 Depth=1
	ds_load_b64 v[34:35], v5 offset:8840
	s_wait_dscnt 0x0
	v_mul_f64_e32 v[32:33], v[32:33], v[34:35]
	s_delay_alu instid0(VALU_DEP_1) | instskip(NEXT) | instid1(VALU_DEP_2)
	v_xor_b32_e32 v35, 0x80000000, v33
	v_mov_b32_e32 v34, v32
	ds_store_b64 v45, v[34:35]
.LBB28_688:                             ;   in Loop: Header=BB28_3 Depth=1
	s_or_b32 exec_lo, exec_lo, s7
	s_wait_dscnt 0x0
	;; [unrolled: 26-line block ×3, first 2 shown]
	s_barrier_signal -1
	s_barrier_wait -1
	s_barrier_signal -1
	s_barrier_wait -1
	s_and_saveexec_b32 s7, s2
; %bb.693:                              ;   in Loop: Header=BB28_3 Depth=1
	ds_store_b64 v48, v[32:33] offset:11904
; %bb.694:                              ;   in Loop: Header=BB28_3 Depth=1
	s_or_b32 exec_lo, exec_lo, s7
	s_wait_dscnt 0x0
	s_barrier_signal -1
	s_barrier_wait -1
	s_barrier_signal -1
	s_barrier_wait -1
	s_and_saveexec_b32 s7, s14
	s_cbranch_execz .LBB28_696
; %bb.695:                              ;   in Loop: Header=BB28_3 Depth=1
	ds_load_b128 v[32:35], v5 offset:9872
	ds_load_b64 v[36:37], v5 offset:9360
	s_wait_dscnt 0x0
	v_mul_f64_e32 v[34:35], v[36:37], v[34:35]
	s_delay_alu instid0(VALU_DEP_1)
	v_mul_f64_e32 v[32:33], v[32:33], v[34:35]
	ds_store_b64 v5, v[32:33] offset:9872
.LBB28_696:                             ;   in Loop: Header=BB28_3 Depth=1
	s_or_b32 exec_lo, exec_lo, s7
	v_mov_b64_e32 v[32:33], 0
	s_wait_dscnt 0x0
	s_barrier_signal -1
	s_barrier_wait -1
	global_wb scope:SCOPE_DEV
	s_wait_storecnt 0x0
	global_inv scope:SCOPE_DEV
	s_and_saveexec_b32 s7, s1
	s_cbranch_execz .LBB28_700
; %bb.697:                              ;   in Loop: Header=BB28_3 Depth=1
	ds_load_b64 v[32:33], v42 offset:9344
	ds_load_b64 v[34:35], v41 offset:9872
	s_wait_dscnt 0x0
	v_fma_f64 v[32:33], v[32:33], v[34:35], 0
	s_and_saveexec_b32 s8, s15
	s_cbranch_execz .LBB28_699
; %bb.698:                              ;   in Loop: Header=BB28_3 Depth=1
	ds_load_b64 v[34:35], v43 offset:9856
	ds_load_b64 v[36:37], v5 offset:9880
	s_wait_dscnt 0x0
	v_fmac_f64_e32 v[32:33], v[34:35], v[36:37]
.LBB28_699:                             ;   in Loop: Header=BB28_3 Depth=1
	s_or_b32 exec_lo, exec_lo, s8
.LBB28_700:                             ;   in Loop: Header=BB28_3 Depth=1
	s_delay_alu instid0(SALU_CYCLE_1)
	s_or_b32 exec_lo, exec_lo, s7
	s_and_saveexec_b32 s7, vcc_hi
	s_cbranch_execz .LBB28_702
; %bb.701:                              ;   in Loop: Header=BB28_3 Depth=1
	ds_load_b64 v[34:35], v5 offset:8840
	s_wait_dscnt 0x0
	v_mul_f64_e32 v[32:33], v[32:33], v[34:35]
	s_delay_alu instid0(VALU_DEP_1) | instskip(NEXT) | instid1(VALU_DEP_2)
	v_xor_b32_e32 v35, 0x80000000, v33
	v_mov_b32_e32 v34, v32
	ds_store_b64 v3, v[34:35]
.LBB28_702:                             ;   in Loop: Header=BB28_3 Depth=1
	s_or_b32 exec_lo, exec_lo, s7
	s_wait_loadcnt_dscnt 0x0
	s_barrier_signal -1
	s_barrier_wait -1
	s_and_saveexec_b32 s7, s36
	s_cbranch_execz .LBB28_704
; %bb.703:                              ;   in Loop: Header=BB28_3 Depth=1
	ds_load_b64 v[34:35], v5 offset:8832
	ds_load_b64 v[36:37], v3
	s_wait_dscnt 0x0
	v_fma_f64 v[32:33], -v[34:35], v[36:37], v[32:33]
.LBB28_704:                             ;   in Loop: Header=BB28_3 Depth=1
	s_or_b32 exec_lo, exec_lo, s7
	s_barrier_signal -1
	s_barrier_wait -1
	s_and_saveexec_b32 s7, s36
	s_cbranch_execz .LBB28_706
; %bb.705:                              ;   in Loop: Header=BB28_3 Depth=1
	ds_load_b64 v[34:35], v5 offset:8320
	s_wait_dscnt 0x0
	v_mul_f64_e32 v[32:33], v[32:33], v[34:35]
	s_delay_alu instid0(VALU_DEP_1) | instskip(NEXT) | instid1(VALU_DEP_2)
	v_xor_b32_e32 v35, 0x80000000, v33
	v_mov_b32_e32 v34, v32
	ds_store_b64 v3, v[34:35]
.LBB28_706:                             ;   in Loop: Header=BB28_3 Depth=1
	s_or_b32 exec_lo, exec_lo, s7
	s_wait_dscnt 0x0
	s_barrier_signal -1
	s_barrier_wait -1
	s_barrier_signal -1
	s_barrier_wait -1
	s_and_saveexec_b32 s7, s1
; %bb.707:                              ;   in Loop: Header=BB28_3 Depth=1
	ds_store_b64 v44, v[32:33] offset:9856
; %bb.708:                              ;   in Loop: Header=BB28_3 Depth=1
	s_or_b32 exec_lo, exec_lo, s7
	s_wait_dscnt 0x0
	s_barrier_signal -1
	s_barrier_wait -1
	s_barrier_signal -1
	s_barrier_wait -1
	s_and_saveexec_b32 s7, s14
	s_cbranch_execz .LBB28_710
; %bb.709:                              ;   in Loop: Header=BB28_3 Depth=1
	ds_load_b128 v[32:35], v5 offset:8832
	ds_load_b64 v[36:37], v5 offset:8320
	s_wait_dscnt 0x0
	v_mul_f64_e32 v[34:35], v[36:37], v[34:35]
	s_delay_alu instid0(VALU_DEP_1)
	v_mul_f64_e32 v[32:33], v[32:33], v[34:35]
	ds_store_b64 v5, v[32:33] offset:8832
.LBB28_710:                             ;   in Loop: Header=BB28_3 Depth=1
	s_or_b32 exec_lo, exec_lo, s7
	v_mov_b64_e32 v[32:33], 0
	s_wait_dscnt 0x0
	s_barrier_signal -1
	s_barrier_wait -1
	global_wb scope:SCOPE_DEV
	s_wait_storecnt 0x0
	global_inv scope:SCOPE_DEV
	s_and_saveexec_b32 s7, s4
	s_cbranch_execz .LBB28_738
; %bb.711:                              ;   in Loop: Header=BB28_3 Depth=1
	ds_load_b64 v[32:33], v55 offset:8192
	ds_load_b64 v[34:35], v54 offset:16000
	s_wait_dscnt 0x0
	v_fma_f64 v[32:33], v[32:33], v[34:35], 0
	s_mov_b32 s8, exec_lo
	v_readlane_b32 s66, v83, 0
	s_and_b32 s66, s8, s66
	s_delay_alu instid0(SALU_CYCLE_1)
	s_mov_b32 exec_lo, s66
	s_cbranch_execz .LBB28_713
; %bb.712:                              ;   in Loop: Header=BB28_3 Depth=1
	ds_load_b64 v[34:35], v55 offset:8704
	ds_load_b64 v[36:37], v54 offset:16008
	s_wait_dscnt 0x0
	v_fmac_f64_e32 v[32:33], v[34:35], v[36:37]
.LBB28_713:                             ;   in Loop: Header=BB28_3 Depth=1
	s_or_b32 exec_lo, exec_lo, s8
	s_delay_alu instid0(SALU_CYCLE_1) | instskip(SKIP_2) | instid1(SALU_CYCLE_1)
	s_mov_b32 s8, exec_lo
	v_readlane_b32 s66, v83, 1
	s_and_b32 s66, s8, s66
	s_mov_b32 exec_lo, s66
	s_cbranch_execz .LBB28_715
; %bb.714:                              ;   in Loop: Header=BB28_3 Depth=1
	ds_load_b64 v[34:35], v55 offset:9216
	ds_load_b64 v[36:37], v54 offset:16016
	s_wait_dscnt 0x0
	v_fmac_f64_e32 v[32:33], v[34:35], v[36:37]
.LBB28_715:                             ;   in Loop: Header=BB28_3 Depth=1
	s_or_b32 exec_lo, exec_lo, s8
	s_delay_alu instid0(SALU_CYCLE_1) | instskip(SKIP_2) | instid1(SALU_CYCLE_1)
	s_mov_b32 s8, exec_lo
	v_readlane_b32 s66, v83, 2
	s_and_b32 s66, s8, s66
	;; [unrolled: 13-line block ×10, first 2 shown]
	s_mov_b32 exec_lo, s66
	s_cbranch_execnz .LBB28_1073
; %bb.732:                              ;   in Loop: Header=BB28_3 Depth=1
	s_or_b32 exec_lo, exec_lo, s8
	s_and_saveexec_b32 s8, s3
	s_cbranch_execnz .LBB28_1074
.LBB28_733:                             ;   in Loop: Header=BB28_3 Depth=1
	s_or_b32 exec_lo, exec_lo, s8
	s_and_saveexec_b32 s8, s19
	s_cbranch_execnz .LBB28_1075
.LBB28_734:                             ;   in Loop: Header=BB28_3 Depth=1
	s_or_b32 exec_lo, exec_lo, s8
	s_and_saveexec_b32 s8, s21
	s_cbranch_execnz .LBB28_1076
.LBB28_735:                             ;   in Loop: Header=BB28_3 Depth=1
	s_or_b32 exec_lo, exec_lo, s8
	s_and_saveexec_b32 s8, s2
	s_cbranch_execz .LBB28_737
.LBB28_736:                             ;   in Loop: Header=BB28_3 Depth=1
	ds_load_b64 v[34:35], v43 offset:15872
	ds_load_b64 v[36:37], v5 offset:16120
	s_wait_dscnt 0x0
	v_fmac_f64_e32 v[32:33], v[34:35], v[36:37]
.LBB28_737:                             ;   in Loop: Header=BB28_3 Depth=1
	s_or_b32 exec_lo, exec_lo, s8
.LBB28_738:                             ;   in Loop: Header=BB28_3 Depth=1
	s_delay_alu instid0(SALU_CYCLE_1) | instskip(NEXT) | instid1(SALU_CYCLE_1)
	s_or_b32 exec_lo, exec_lo, s7
	s_mov_b32 s7, exec_lo
	v_readlane_b32 s8, v84, 5
	s_and_b32 s8, s7, s8
	s_delay_alu instid0(SALU_CYCLE_1)
	s_mov_b32 exec_lo, s8
	s_cbranch_execz .LBB28_740
; %bb.739:                              ;   in Loop: Header=BB28_3 Depth=1
	ds_load_b64 v[34:35], v5 offset:7800
	s_wait_dscnt 0x0
	v_mul_f64_e32 v[32:33], v[32:33], v[34:35]
	s_delay_alu instid0(VALU_DEP_1) | instskip(NEXT) | instid1(VALU_DEP_2)
	v_xor_b32_e32 v35, 0x80000000, v33
	v_mov_b32_e32 v34, v32
	ds_store_b64 v53, v[34:35]
.LBB28_740:                             ;   in Loop: Header=BB28_3 Depth=1
	s_or_b32 exec_lo, exec_lo, s7
	s_wait_loadcnt_dscnt 0x0
	s_barrier_signal -1
	s_barrier_wait -1
	s_mov_b32 s7, exec_lo
	v_readlane_b32 s8, v84, 6
	s_and_b32 s8, s7, s8
	s_delay_alu instid0(SALU_CYCLE_1)
	s_mov_b32 exec_lo, s8
	s_cbranch_execz .LBB28_742
; %bb.741:                              ;   in Loop: Header=BB28_3 Depth=1
	ds_load_b64 v[34:35], v55 offset:7680
	ds_load_b64 v[36:37], v53
	s_wait_dscnt 0x0
	v_fma_f64 v[32:33], -v[34:35], v[36:37], v[32:33]
.LBB28_742:                             ;   in Loop: Header=BB28_3 Depth=1
	s_or_b32 exec_lo, exec_lo, s7
	s_barrier_signal -1
	s_barrier_wait -1
	s_mov_b32 s7, exec_lo
	v_readlane_b32 s8, v84, 7
	s_and_b32 s8, s7, s8
	s_delay_alu instid0(SALU_CYCLE_1)
	s_mov_b32 exec_lo, s8
	s_cbranch_execz .LBB28_744
; %bb.743:                              ;   in Loop: Header=BB28_3 Depth=1
	ds_load_b64 v[34:35], v5 offset:7280
	s_wait_dscnt 0x0
	v_mul_f64_e32 v[32:33], v[32:33], v[34:35]
	s_delay_alu instid0(VALU_DEP_1) | instskip(NEXT) | instid1(VALU_DEP_2)
	v_xor_b32_e32 v35, 0x80000000, v33
	v_mov_b32_e32 v34, v32
	ds_store_b64 v53, v[34:35]
.LBB28_744:                             ;   in Loop: Header=BB28_3 Depth=1
	s_or_b32 exec_lo, exec_lo, s7
	s_wait_dscnt 0x0
	s_barrier_signal -1
	s_barrier_wait -1
	s_mov_b32 s7, exec_lo
	v_readlane_b32 s8, v84, 8
	s_and_b32 s8, s7, s8
	s_delay_alu instid0(SALU_CYCLE_1)
	s_mov_b32 exec_lo, s8
	s_cbranch_execz .LBB28_746
; %bb.745:                              ;   in Loop: Header=BB28_3 Depth=1
	ds_load_b64 v[34:35], v55 offset:7168
	ds_load_b64 v[36:37], v53
	s_wait_dscnt 0x0
	v_fma_f64 v[32:33], -v[34:35], v[36:37], v[32:33]
.LBB28_746:                             ;   in Loop: Header=BB28_3 Depth=1
	s_or_b32 exec_lo, exec_lo, s7
	s_barrier_signal -1
	s_barrier_wait -1
	s_mov_b32 s7, exec_lo
	v_readlane_b32 s8, v84, 9
	s_and_b32 s8, s7, s8
	s_delay_alu instid0(SALU_CYCLE_1)
	s_mov_b32 exec_lo, s8
	s_cbranch_execz .LBB28_748
; %bb.747:                              ;   in Loop: Header=BB28_3 Depth=1
	ds_load_b64 v[34:35], v5 offset:6760
	s_wait_dscnt 0x0
	v_mul_f64_e32 v[32:33], v[32:33], v[34:35]
	s_delay_alu instid0(VALU_DEP_1) | instskip(NEXT) | instid1(VALU_DEP_2)
	v_xor_b32_e32 v35, 0x80000000, v33
	v_mov_b32_e32 v34, v32
	ds_store_b64 v53, v[34:35]
.LBB28_748:                             ;   in Loop: Header=BB28_3 Depth=1
	s_or_b32 exec_lo, exec_lo, s7
	s_wait_dscnt 0x0
	s_barrier_signal -1
	s_barrier_wait -1
	s_mov_b32 s7, exec_lo
	v_readlane_b32 s8, v84, 10
	s_and_b32 s8, s7, s8
	s_delay_alu instid0(SALU_CYCLE_1)
	s_mov_b32 exec_lo, s8
	s_cbranch_execz .LBB28_750
; %bb.749:                              ;   in Loop: Header=BB28_3 Depth=1
	ds_load_b64 v[34:35], v55 offset:6656
	ds_load_b64 v[36:37], v53
	s_wait_dscnt 0x0
	v_fma_f64 v[32:33], -v[34:35], v[36:37], v[32:33]
.LBB28_750:                             ;   in Loop: Header=BB28_3 Depth=1
	s_or_b32 exec_lo, exec_lo, s7
	s_barrier_signal -1
	s_barrier_wait -1
	s_and_saveexec_b32 s7, s12
	s_cbranch_execz .LBB28_752
; %bb.751:                              ;   in Loop: Header=BB28_3 Depth=1
	ds_load_b64 v[34:35], v5 offset:6240
	s_wait_dscnt 0x0
	v_mul_f64_e32 v[32:33], v[32:33], v[34:35]
	s_delay_alu instid0(VALU_DEP_1) | instskip(NEXT) | instid1(VALU_DEP_2)
	v_xor_b32_e32 v35, 0x80000000, v33
	v_mov_b32_e32 v34, v32
	ds_store_b64 v53, v[34:35]
.LBB28_752:                             ;   in Loop: Header=BB28_3 Depth=1
	s_or_b32 exec_lo, exec_lo, s7
	s_wait_dscnt 0x0
	s_barrier_signal -1
	s_barrier_wait -1
	s_and_saveexec_b32 s7, s13
	s_cbranch_execz .LBB28_754
; %bb.753:                              ;   in Loop: Header=BB28_3 Depth=1
	ds_load_b64 v[34:35], v55 offset:6144
	ds_load_b64 v[36:37], v53
	s_wait_dscnt 0x0
	v_fma_f64 v[32:33], -v[34:35], v[36:37], v[32:33]
.LBB28_754:                             ;   in Loop: Header=BB28_3 Depth=1
	s_or_b32 exec_lo, exec_lo, s7
	s_barrier_signal -1
	s_barrier_wait -1
	s_and_saveexec_b32 s7, s23
	s_cbranch_execz .LBB28_756
; %bb.755:                              ;   in Loop: Header=BB28_3 Depth=1
	ds_load_b64 v[34:35], v5 offset:5720
	s_wait_dscnt 0x0
	v_mul_f64_e32 v[32:33], v[32:33], v[34:35]
	s_delay_alu instid0(VALU_DEP_1) | instskip(NEXT) | instid1(VALU_DEP_2)
	v_xor_b32_e32 v35, 0x80000000, v33
	v_mov_b32_e32 v34, v32
	ds_store_b64 v53, v[34:35]
.LBB28_756:                             ;   in Loop: Header=BB28_3 Depth=1
	s_or_b32 exec_lo, exec_lo, s7
	s_wait_dscnt 0x0
	s_barrier_signal -1
	s_barrier_wait -1
	s_and_saveexec_b32 s7, s25
	;; [unrolled: 26-line block ×12, first 2 shown]
	s_cbranch_execz .LBB28_798
; %bb.797:                              ;   in Loop: Header=BB28_3 Depth=1
	ds_load_b64 v[34:35], v5 offset:512
	ds_load_b64 v[36:37], v53
	s_wait_dscnt 0x0
	v_fma_f64 v[32:33], -v[34:35], v[36:37], v[32:33]
.LBB28_798:                             ;   in Loop: Header=BB28_3 Depth=1
	s_or_b32 exec_lo, exec_lo, s7
	s_barrier_signal -1
	s_barrier_wait -1
	s_and_saveexec_b32 s7, s57
	s_cbranch_execz .LBB28_800
; %bb.799:                              ;   in Loop: Header=BB28_3 Depth=1
	ds_load_b64 v[34:35], v5
	s_wait_dscnt 0x0
	v_mul_f64_e32 v[32:33], v[32:33], v[34:35]
	s_delay_alu instid0(VALU_DEP_1) | instskip(NEXT) | instid1(VALU_DEP_2)
	v_xor_b32_e32 v35, 0x80000000, v33
	v_mov_b32_e32 v34, v32
	ds_store_b64 v53, v[34:35]
.LBB28_800:                             ;   in Loop: Header=BB28_3 Depth=1
	s_or_b32 exec_lo, exec_lo, s7
	s_wait_dscnt 0x0
	s_barrier_signal -1
	s_barrier_wait -1
	s_barrier_signal -1
	s_barrier_wait -1
	s_and_saveexec_b32 s7, s4
; %bb.801:                              ;   in Loop: Header=BB28_3 Depth=1
	ds_store_b64 v57, v[32:33] offset:15872
; %bb.802:                              ;   in Loop: Header=BB28_3 Depth=1
	s_or_b32 exec_lo, exec_lo, s7
	s_wait_dscnt 0x0
	s_barrier_signal -1
	s_barrier_wait -1
	s_barrier_signal -1
	s_barrier_wait -1
	s_and_saveexec_b32 s7, s14
	s_cbranch_execz .LBB28_804
; %bb.803:                              ;   in Loop: Header=BB28_3 Depth=1
	ds_load_b128 v[32:35], v5 offset:7792
	ds_load_b64 v[36:37], v5 offset:7280
	s_wait_dscnt 0x0
	v_mul_f64_e32 v[34:35], v[36:37], v[34:35]
	s_delay_alu instid0(VALU_DEP_1)
	v_mul_f64_e32 v[32:33], v[32:33], v[34:35]
	ds_store_b64 v5, v[32:33] offset:7792
.LBB28_804:                             ;   in Loop: Header=BB28_3 Depth=1
	s_or_b32 exec_lo, exec_lo, s7
	v_mov_b64_e32 v[32:33], 0
	s_wait_dscnt 0x0
	s_barrier_signal -1
	s_barrier_wait -1
	global_wb scope:SCOPE_DEV
	s_wait_storecnt 0x0
	global_inv scope:SCOPE_DEV
	s_and_saveexec_b32 s7, s1
	s_cbranch_execz .LBB28_808
; %bb.805:                              ;   in Loop: Header=BB28_3 Depth=1
	ds_load_b64 v[32:33], v42 offset:7264
	ds_load_b64 v[34:35], v41 offset:7792
	s_wait_dscnt 0x0
	v_fma_f64 v[32:33], v[32:33], v[34:35], 0
	s_and_saveexec_b32 s8, s15
	s_cbranch_execz .LBB28_807
; %bb.806:                              ;   in Loop: Header=BB28_3 Depth=1
	ds_load_b64 v[34:35], v43 offset:7776
	ds_load_b64 v[36:37], v5 offset:7800
	s_wait_dscnt 0x0
	v_fmac_f64_e32 v[32:33], v[34:35], v[36:37]
.LBB28_807:                             ;   in Loop: Header=BB28_3 Depth=1
	s_or_b32 exec_lo, exec_lo, s8
.LBB28_808:                             ;   in Loop: Header=BB28_3 Depth=1
	s_delay_alu instid0(SALU_CYCLE_1)
	s_or_b32 exec_lo, exec_lo, s7
	s_and_saveexec_b32 s7, vcc_hi
	s_cbranch_execz .LBB28_810
; %bb.809:                              ;   in Loop: Header=BB28_3 Depth=1
	ds_load_b64 v[34:35], v5 offset:6760
	s_wait_dscnt 0x0
	v_mul_f64_e32 v[32:33], v[32:33], v[34:35]
	s_delay_alu instid0(VALU_DEP_1) | instskip(NEXT) | instid1(VALU_DEP_2)
	v_xor_b32_e32 v35, 0x80000000, v33
	v_mov_b32_e32 v34, v32
	ds_store_b64 v3, v[34:35]
.LBB28_810:                             ;   in Loop: Header=BB28_3 Depth=1
	s_or_b32 exec_lo, exec_lo, s7
	s_wait_loadcnt_dscnt 0x0
	s_barrier_signal -1
	s_barrier_wait -1
	s_and_saveexec_b32 s7, s36
	s_cbranch_execz .LBB28_812
; %bb.811:                              ;   in Loop: Header=BB28_3 Depth=1
	ds_load_b64 v[34:35], v5 offset:6752
	ds_load_b64 v[36:37], v3
	s_wait_dscnt 0x0
	v_fma_f64 v[32:33], -v[34:35], v[36:37], v[32:33]
.LBB28_812:                             ;   in Loop: Header=BB28_3 Depth=1
	s_or_b32 exec_lo, exec_lo, s7
	s_barrier_signal -1
	s_barrier_wait -1
	s_and_saveexec_b32 s7, s36
	s_cbranch_execz .LBB28_814
; %bb.813:                              ;   in Loop: Header=BB28_3 Depth=1
	ds_load_b64 v[34:35], v5 offset:6240
	s_wait_dscnt 0x0
	v_mul_f64_e32 v[32:33], v[32:33], v[34:35]
	s_delay_alu instid0(VALU_DEP_1) | instskip(NEXT) | instid1(VALU_DEP_2)
	v_xor_b32_e32 v35, 0x80000000, v33
	v_mov_b32_e32 v34, v32
	ds_store_b64 v3, v[34:35]
.LBB28_814:                             ;   in Loop: Header=BB28_3 Depth=1
	s_or_b32 exec_lo, exec_lo, s7
	s_wait_dscnt 0x0
	s_barrier_signal -1
	s_barrier_wait -1
	s_barrier_signal -1
	s_barrier_wait -1
	s_and_saveexec_b32 s7, s1
; %bb.815:                              ;   in Loop: Header=BB28_3 Depth=1
	ds_store_b64 v44, v[32:33] offset:7776
; %bb.816:                              ;   in Loop: Header=BB28_3 Depth=1
	s_or_b32 exec_lo, exec_lo, s7
	s_wait_dscnt 0x0
	s_barrier_signal -1
	s_barrier_wait -1
	s_barrier_signal -1
	s_barrier_wait -1
	s_and_saveexec_b32 s7, s14
	s_cbranch_execz .LBB28_818
; %bb.817:                              ;   in Loop: Header=BB28_3 Depth=1
	ds_load_b128 v[32:35], v5 offset:6752
	ds_load_b64 v[36:37], v5 offset:6240
	s_wait_dscnt 0x0
	v_mul_f64_e32 v[34:35], v[36:37], v[34:35]
	s_delay_alu instid0(VALU_DEP_1)
	v_mul_f64_e32 v[32:33], v[32:33], v[34:35]
	ds_store_b64 v5, v[32:33] offset:6752
.LBB28_818:                             ;   in Loop: Header=BB28_3 Depth=1
	s_or_b32 exec_lo, exec_lo, s7
	v_mov_b64_e32 v[32:33], 0
	s_wait_dscnt 0x0
	s_barrier_signal -1
	s_barrier_wait -1
	global_wb scope:SCOPE_DEV
	s_wait_storecnt 0x0
	global_inv scope:SCOPE_DEV
	s_and_saveexec_b32 s7, s2
	s_cbranch_execz .LBB28_824
; %bb.819:                              ;   in Loop: Header=BB28_3 Depth=1
	ds_load_b64 v[32:33], v47 offset:6208
	ds_load_b64 v[34:35], v46 offset:7776
	s_wait_dscnt 0x0
	v_fma_f64 v[32:33], v[32:33], v[34:35], 0
	s_and_saveexec_b32 s8, s16
	s_cbranch_execnz .LBB28_1077
; %bb.820:                              ;   in Loop: Header=BB28_3 Depth=1
	s_or_b32 exec_lo, exec_lo, s8
	s_and_saveexec_b32 s8, s17
	s_cbranch_execnz .LBB28_1078
.LBB28_821:                             ;   in Loop: Header=BB28_3 Depth=1
	s_or_b32 exec_lo, exec_lo, s8
	s_and_saveexec_b32 s8, s1
	s_cbranch_execz .LBB28_823
.LBB28_822:                             ;   in Loop: Header=BB28_3 Depth=1
	ds_load_b64 v[34:35], v43 offset:7744
	ds_load_b64 v[36:37], v5 offset:7800
	s_wait_dscnt 0x0
	v_fmac_f64_e32 v[32:33], v[34:35], v[36:37]
.LBB28_823:                             ;   in Loop: Header=BB28_3 Depth=1
	s_or_b32 exec_lo, exec_lo, s8
.LBB28_824:                             ;   in Loop: Header=BB28_3 Depth=1
	s_delay_alu instid0(SALU_CYCLE_1)
	s_or_b32 exec_lo, exec_lo, s7
	s_and_saveexec_b32 s7, s37
	s_cbranch_execz .LBB28_826
; %bb.825:                              ;   in Loop: Header=BB28_3 Depth=1
	ds_load_b64 v[34:35], v5 offset:5720
	s_wait_dscnt 0x0
	v_mul_f64_e32 v[32:33], v[32:33], v[34:35]
	s_delay_alu instid0(VALU_DEP_1) | instskip(NEXT) | instid1(VALU_DEP_2)
	v_xor_b32_e32 v35, 0x80000000, v33
	v_mov_b32_e32 v34, v32
	ds_store_b64 v45, v[34:35]
.LBB28_826:                             ;   in Loop: Header=BB28_3 Depth=1
	s_or_b32 exec_lo, exec_lo, s7
	s_wait_loadcnt_dscnt 0x0
	s_barrier_signal -1
	s_barrier_wait -1
	s_and_saveexec_b32 s7, s38
	s_cbranch_execz .LBB28_828
; %bb.827:                              ;   in Loop: Header=BB28_3 Depth=1
	ds_load_b64 v[34:35], v47 offset:5696
	ds_load_b64 v[36:37], v45
	s_wait_dscnt 0x0
	v_fma_f64 v[32:33], -v[34:35], v[36:37], v[32:33]
.LBB28_828:                             ;   in Loop: Header=BB28_3 Depth=1
	s_or_b32 exec_lo, exec_lo, s7
	s_barrier_signal -1
	s_barrier_wait -1
	s_and_saveexec_b32 s7, s39
	s_cbranch_execz .LBB28_830
; %bb.829:                              ;   in Loop: Header=BB28_3 Depth=1
	ds_load_b64 v[34:35], v5 offset:5200
	s_wait_dscnt 0x0
	v_mul_f64_e32 v[32:33], v[32:33], v[34:35]
	s_delay_alu instid0(VALU_DEP_1) | instskip(NEXT) | instid1(VALU_DEP_2)
	v_xor_b32_e32 v35, 0x80000000, v33
	v_mov_b32_e32 v34, v32
	ds_store_b64 v45, v[34:35]
.LBB28_830:                             ;   in Loop: Header=BB28_3 Depth=1
	s_or_b32 exec_lo, exec_lo, s7
	s_wait_dscnt 0x0
	s_barrier_signal -1
	s_barrier_wait -1
	s_and_saveexec_b32 s7, s40
	s_cbranch_execz .LBB28_832
; %bb.831:                              ;   in Loop: Header=BB28_3 Depth=1
	ds_load_b64 v[34:35], v47 offset:5184
	ds_load_b64 v[36:37], v45
	s_wait_dscnt 0x0
	v_fma_f64 v[32:33], -v[34:35], v[36:37], v[32:33]
.LBB28_832:                             ;   in Loop: Header=BB28_3 Depth=1
	s_or_b32 exec_lo, exec_lo, s7
	s_barrier_signal -1
	s_barrier_wait -1
	s_and_saveexec_b32 s7, s41
	s_cbranch_execz .LBB28_834
; %bb.833:                              ;   in Loop: Header=BB28_3 Depth=1
	ds_load_b64 v[34:35], v5 offset:4680
	s_wait_dscnt 0x0
	v_mul_f64_e32 v[32:33], v[32:33], v[34:35]
	s_delay_alu instid0(VALU_DEP_1) | instskip(NEXT) | instid1(VALU_DEP_2)
	v_xor_b32_e32 v35, 0x80000000, v33
	v_mov_b32_e32 v34, v32
	ds_store_b64 v45, v[34:35]
.LBB28_834:                             ;   in Loop: Header=BB28_3 Depth=1
	s_or_b32 exec_lo, exec_lo, s7
	s_wait_dscnt 0x0
	;; [unrolled: 26-line block ×3, first 2 shown]
	s_barrier_signal -1
	s_barrier_wait -1
	s_barrier_signal -1
	s_barrier_wait -1
	s_and_saveexec_b32 s7, s2
; %bb.839:                              ;   in Loop: Header=BB28_3 Depth=1
	ds_store_b64 v48, v[32:33] offset:7744
; %bb.840:                              ;   in Loop: Header=BB28_3 Depth=1
	s_or_b32 exec_lo, exec_lo, s7
	s_wait_dscnt 0x0
	s_barrier_signal -1
	s_barrier_wait -1
	s_barrier_signal -1
	s_barrier_wait -1
	s_and_saveexec_b32 s7, s14
	s_cbranch_execz .LBB28_842
; %bb.841:                              ;   in Loop: Header=BB28_3 Depth=1
	ds_load_b128 v[32:35], v5 offset:5712
	ds_load_b64 v[36:37], v5 offset:5200
	s_wait_dscnt 0x0
	v_mul_f64_e32 v[34:35], v[36:37], v[34:35]
	s_delay_alu instid0(VALU_DEP_1)
	v_mul_f64_e32 v[32:33], v[32:33], v[34:35]
	ds_store_b64 v5, v[32:33] offset:5712
.LBB28_842:                             ;   in Loop: Header=BB28_3 Depth=1
	s_or_b32 exec_lo, exec_lo, s7
	v_mov_b64_e32 v[32:33], 0
	s_wait_dscnt 0x0
	s_barrier_signal -1
	s_barrier_wait -1
	global_wb scope:SCOPE_DEV
	s_wait_storecnt 0x0
	global_inv scope:SCOPE_DEV
	s_and_saveexec_b32 s7, s1
	s_cbranch_execz .LBB28_846
; %bb.843:                              ;   in Loop: Header=BB28_3 Depth=1
	ds_load_b64 v[32:33], v42 offset:5184
	ds_load_b64 v[34:35], v41 offset:5712
	s_wait_dscnt 0x0
	v_fma_f64 v[32:33], v[32:33], v[34:35], 0
	s_and_saveexec_b32 s8, s15
	s_cbranch_execz .LBB28_845
; %bb.844:                              ;   in Loop: Header=BB28_3 Depth=1
	ds_load_b64 v[34:35], v43 offset:5696
	ds_load_b64 v[36:37], v5 offset:5720
	s_wait_dscnt 0x0
	v_fmac_f64_e32 v[32:33], v[34:35], v[36:37]
.LBB28_845:                             ;   in Loop: Header=BB28_3 Depth=1
	s_or_b32 exec_lo, exec_lo, s8
.LBB28_846:                             ;   in Loop: Header=BB28_3 Depth=1
	s_delay_alu instid0(SALU_CYCLE_1)
	s_or_b32 exec_lo, exec_lo, s7
	s_and_saveexec_b32 s7, vcc_hi
	s_cbranch_execz .LBB28_848
; %bb.847:                              ;   in Loop: Header=BB28_3 Depth=1
	ds_load_b64 v[34:35], v5 offset:4680
	s_wait_dscnt 0x0
	v_mul_f64_e32 v[32:33], v[32:33], v[34:35]
	s_delay_alu instid0(VALU_DEP_1) | instskip(NEXT) | instid1(VALU_DEP_2)
	v_xor_b32_e32 v35, 0x80000000, v33
	v_mov_b32_e32 v34, v32
	ds_store_b64 v3, v[34:35]
.LBB28_848:                             ;   in Loop: Header=BB28_3 Depth=1
	s_or_b32 exec_lo, exec_lo, s7
	s_wait_loadcnt_dscnt 0x0
	s_barrier_signal -1
	s_barrier_wait -1
	s_and_saveexec_b32 s7, s36
	s_cbranch_execz .LBB28_850
; %bb.849:                              ;   in Loop: Header=BB28_3 Depth=1
	ds_load_b64 v[34:35], v5 offset:4672
	ds_load_b64 v[36:37], v3
	s_wait_dscnt 0x0
	v_fma_f64 v[32:33], -v[34:35], v[36:37], v[32:33]
.LBB28_850:                             ;   in Loop: Header=BB28_3 Depth=1
	s_or_b32 exec_lo, exec_lo, s7
	s_barrier_signal -1
	s_barrier_wait -1
	s_and_saveexec_b32 s7, s36
	s_cbranch_execz .LBB28_852
; %bb.851:                              ;   in Loop: Header=BB28_3 Depth=1
	ds_load_b64 v[34:35], v5 offset:4160
	s_wait_dscnt 0x0
	v_mul_f64_e32 v[32:33], v[32:33], v[34:35]
	s_delay_alu instid0(VALU_DEP_1) | instskip(NEXT) | instid1(VALU_DEP_2)
	v_xor_b32_e32 v35, 0x80000000, v33
	v_mov_b32_e32 v34, v32
	ds_store_b64 v3, v[34:35]
.LBB28_852:                             ;   in Loop: Header=BB28_3 Depth=1
	s_or_b32 exec_lo, exec_lo, s7
	s_wait_dscnt 0x0
	s_barrier_signal -1
	s_barrier_wait -1
	s_barrier_signal -1
	s_barrier_wait -1
	s_and_saveexec_b32 s7, s1
; %bb.853:                              ;   in Loop: Header=BB28_3 Depth=1
	ds_store_b64 v44, v[32:33] offset:5696
; %bb.854:                              ;   in Loop: Header=BB28_3 Depth=1
	s_or_b32 exec_lo, exec_lo, s7
	s_wait_dscnt 0x0
	s_barrier_signal -1
	s_barrier_wait -1
	s_barrier_signal -1
	s_barrier_wait -1
	s_and_saveexec_b32 s7, s14
	s_cbranch_execz .LBB28_856
; %bb.855:                              ;   in Loop: Header=BB28_3 Depth=1
	ds_load_b128 v[32:35], v5 offset:4672
	ds_load_b64 v[36:37], v5 offset:4160
	s_wait_dscnt 0x0
	v_mul_f64_e32 v[34:35], v[36:37], v[34:35]
	s_delay_alu instid0(VALU_DEP_1)
	v_mul_f64_e32 v[32:33], v[32:33], v[34:35]
	ds_store_b64 v5, v[32:33] offset:4672
.LBB28_856:                             ;   in Loop: Header=BB28_3 Depth=1
	s_or_b32 exec_lo, exec_lo, s7
	v_mov_b64_e32 v[32:33], 0
	s_wait_dscnt 0x0
	s_barrier_signal -1
	s_barrier_wait -1
	global_wb scope:SCOPE_DEV
	s_wait_storecnt 0x0
	global_inv scope:SCOPE_DEV
	s_and_saveexec_b32 s7, s3
	s_cbranch_execz .LBB28_866
; %bb.857:                              ;   in Loop: Header=BB28_3 Depth=1
	ds_load_b64 v[32:33], v51 offset:4096
	ds_load_b64 v[34:35], v50 offset:7744
	s_wait_dscnt 0x0
	v_fma_f64 v[32:33], v[32:33], v[34:35], 0
	s_and_saveexec_b32 s8, s18
	s_cbranch_execnz .LBB28_1079
; %bb.858:                              ;   in Loop: Header=BB28_3 Depth=1
	s_or_b32 exec_lo, exec_lo, s8
	s_and_saveexec_b32 s8, s19
	s_cbranch_execnz .LBB28_1080
.LBB28_859:                             ;   in Loop: Header=BB28_3 Depth=1
	s_or_b32 exec_lo, exec_lo, s8
	s_and_saveexec_b32 s8, s20
	s_cbranch_execnz .LBB28_1081
.LBB28_860:                             ;   in Loop: Header=BB28_3 Depth=1
	s_or_b32 exec_lo, exec_lo, s8
	s_and_saveexec_b32 s8, s21
	s_cbranch_execnz .LBB28_1082
.LBB28_861:                             ;   in Loop: Header=BB28_3 Depth=1
	s_or_b32 exec_lo, exec_lo, s8
	s_and_saveexec_b32 s8, s22
	s_cbranch_execnz .LBB28_1083
.LBB28_862:                             ;   in Loop: Header=BB28_3 Depth=1
	s_or_b32 exec_lo, exec_lo, s8
	s_and_saveexec_b32 s8, s2
	s_cbranch_execnz .LBB28_1084
.LBB28_863:                             ;   in Loop: Header=BB28_3 Depth=1
	s_or_b32 exec_lo, exec_lo, s8
	s_and_saveexec_b32 s8, s17
	s_cbranch_execz .LBB28_865
.LBB28_864:                             ;   in Loop: Header=BB28_3 Depth=1
	ds_load_b64 v[34:35], v43 offset:7680
	ds_load_b64 v[36:37], v5 offset:7800
	s_wait_dscnt 0x0
	v_fmac_f64_e32 v[32:33], v[34:35], v[36:37]
.LBB28_865:                             ;   in Loop: Header=BB28_3 Depth=1
	s_or_b32 exec_lo, exec_lo, s8
.LBB28_866:                             ;   in Loop: Header=BB28_3 Depth=1
	s_delay_alu instid0(SALU_CYCLE_1)
	s_or_b32 exec_lo, exec_lo, s7
	s_and_saveexec_b32 s7, s43
	s_cbranch_execz .LBB28_868
; %bb.867:                              ;   in Loop: Header=BB28_3 Depth=1
	ds_load_b64 v[34:35], v5 offset:3640
	s_wait_dscnt 0x0
	v_mul_f64_e32 v[32:33], v[32:33], v[34:35]
	s_delay_alu instid0(VALU_DEP_1) | instskip(NEXT) | instid1(VALU_DEP_2)
	v_xor_b32_e32 v35, 0x80000000, v33
	v_mov_b32_e32 v34, v32
	ds_store_b64 v49, v[34:35]
.LBB28_868:                             ;   in Loop: Header=BB28_3 Depth=1
	s_or_b32 exec_lo, exec_lo, s7
	s_wait_loadcnt_dscnt 0x0
	s_barrier_signal -1
	s_barrier_wait -1
	s_and_saveexec_b32 s7, s44
	s_cbranch_execz .LBB28_870
; %bb.869:                              ;   in Loop: Header=BB28_3 Depth=1
	ds_load_b64 v[34:35], v51 offset:3584
	ds_load_b64 v[36:37], v49
	s_wait_dscnt 0x0
	v_fma_f64 v[32:33], -v[34:35], v[36:37], v[32:33]
.LBB28_870:                             ;   in Loop: Header=BB28_3 Depth=1
	s_or_b32 exec_lo, exec_lo, s7
	s_barrier_signal -1
	s_barrier_wait -1
	s_and_saveexec_b32 s7, s45
	s_cbranch_execz .LBB28_872
; %bb.871:                              ;   in Loop: Header=BB28_3 Depth=1
	ds_load_b64 v[34:35], v5 offset:3120
	s_wait_dscnt 0x0
	v_mul_f64_e32 v[32:33], v[32:33], v[34:35]
	s_delay_alu instid0(VALU_DEP_1) | instskip(NEXT) | instid1(VALU_DEP_2)
	v_xor_b32_e32 v35, 0x80000000, v33
	v_mov_b32_e32 v34, v32
	ds_store_b64 v49, v[34:35]
.LBB28_872:                             ;   in Loop: Header=BB28_3 Depth=1
	s_or_b32 exec_lo, exec_lo, s7
	s_wait_dscnt 0x0
	s_barrier_signal -1
	s_barrier_wait -1
	s_and_saveexec_b32 s7, s46
	s_cbranch_execz .LBB28_874
; %bb.873:                              ;   in Loop: Header=BB28_3 Depth=1
	ds_load_b64 v[34:35], v51 offset:3072
	ds_load_b64 v[36:37], v49
	s_wait_dscnt 0x0
	v_fma_f64 v[32:33], -v[34:35], v[36:37], v[32:33]
.LBB28_874:                             ;   in Loop: Header=BB28_3 Depth=1
	s_or_b32 exec_lo, exec_lo, s7
	s_barrier_signal -1
	s_barrier_wait -1
	s_and_saveexec_b32 s7, s47
	s_cbranch_execz .LBB28_876
; %bb.875:                              ;   in Loop: Header=BB28_3 Depth=1
	ds_load_b64 v[34:35], v5 offset:2600
	s_wait_dscnt 0x0
	v_mul_f64_e32 v[32:33], v[32:33], v[34:35]
	s_delay_alu instid0(VALU_DEP_1) | instskip(NEXT) | instid1(VALU_DEP_2)
	v_xor_b32_e32 v35, 0x80000000, v33
	v_mov_b32_e32 v34, v32
	ds_store_b64 v49, v[34:35]
.LBB28_876:                             ;   in Loop: Header=BB28_3 Depth=1
	s_or_b32 exec_lo, exec_lo, s7
	s_wait_dscnt 0x0
	;; [unrolled: 26-line block ×6, first 2 shown]
	s_barrier_signal -1
	s_barrier_wait -1
	s_and_saveexec_b32 s7, s56
	s_cbranch_execz .LBB28_894
; %bb.893:                              ;   in Loop: Header=BB28_3 Depth=1
	ds_load_b64 v[34:35], v5 offset:512
	ds_load_b64 v[36:37], v49
	s_wait_dscnt 0x0
	v_fma_f64 v[32:33], -v[34:35], v[36:37], v[32:33]
.LBB28_894:                             ;   in Loop: Header=BB28_3 Depth=1
	s_or_b32 exec_lo, exec_lo, s7
	s_barrier_signal -1
	s_barrier_wait -1
	s_and_saveexec_b32 s7, s56
	s_cbranch_execz .LBB28_896
; %bb.895:                              ;   in Loop: Header=BB28_3 Depth=1
	ds_load_b64 v[34:35], v5
	s_wait_dscnt 0x0
	v_mul_f64_e32 v[32:33], v[32:33], v[34:35]
	s_delay_alu instid0(VALU_DEP_1) | instskip(NEXT) | instid1(VALU_DEP_2)
	v_xor_b32_e32 v35, 0x80000000, v33
	v_mov_b32_e32 v34, v32
	ds_store_b64 v49, v[34:35]
.LBB28_896:                             ;   in Loop: Header=BB28_3 Depth=1
	s_or_b32 exec_lo, exec_lo, s7
	s_wait_dscnt 0x0
	s_barrier_signal -1
	s_barrier_wait -1
	s_barrier_signal -1
	s_barrier_wait -1
	s_and_saveexec_b32 s7, s3
; %bb.897:                              ;   in Loop: Header=BB28_3 Depth=1
	ds_store_b64 v52, v[32:33] offset:7680
; %bb.898:                              ;   in Loop: Header=BB28_3 Depth=1
	s_or_b32 exec_lo, exec_lo, s7
	s_wait_dscnt 0x0
	s_barrier_signal -1
	s_barrier_wait -1
	s_barrier_signal -1
	s_barrier_wait -1
	s_and_saveexec_b32 s7, s14
	s_cbranch_execz .LBB28_900
; %bb.899:                              ;   in Loop: Header=BB28_3 Depth=1
	ds_load_b128 v[32:35], v5 offset:3632
	ds_load_b64 v[36:37], v5 offset:3120
	s_wait_dscnt 0x0
	v_mul_f64_e32 v[34:35], v[36:37], v[34:35]
	s_delay_alu instid0(VALU_DEP_1)
	v_mul_f64_e32 v[32:33], v[32:33], v[34:35]
	ds_store_b64 v5, v[32:33] offset:3632
.LBB28_900:                             ;   in Loop: Header=BB28_3 Depth=1
	s_or_b32 exec_lo, exec_lo, s7
	v_mov_b64_e32 v[32:33], 0
	s_wait_dscnt 0x0
	s_barrier_signal -1
	s_barrier_wait -1
	global_wb scope:SCOPE_DEV
	s_wait_storecnt 0x0
	global_inv scope:SCOPE_DEV
	s_and_saveexec_b32 s7, s1
	s_cbranch_execz .LBB28_904
; %bb.901:                              ;   in Loop: Header=BB28_3 Depth=1
	ds_load_b64 v[32:33], v42 offset:3104
	ds_load_b64 v[34:35], v41 offset:3632
	s_wait_dscnt 0x0
	v_fma_f64 v[32:33], v[32:33], v[34:35], 0
	s_and_saveexec_b32 s8, s15
	s_cbranch_execz .LBB28_903
; %bb.902:                              ;   in Loop: Header=BB28_3 Depth=1
	ds_load_b64 v[34:35], v43 offset:3616
	ds_load_b64 v[36:37], v5 offset:3640
	s_wait_dscnt 0x0
	v_fmac_f64_e32 v[32:33], v[34:35], v[36:37]
.LBB28_903:                             ;   in Loop: Header=BB28_3 Depth=1
	s_or_b32 exec_lo, exec_lo, s8
.LBB28_904:                             ;   in Loop: Header=BB28_3 Depth=1
	s_delay_alu instid0(SALU_CYCLE_1)
	s_or_b32 exec_lo, exec_lo, s7
	s_and_saveexec_b32 s7, vcc_hi
	s_cbranch_execz .LBB28_906
; %bb.905:                              ;   in Loop: Header=BB28_3 Depth=1
	ds_load_b64 v[34:35], v5 offset:2600
	s_wait_dscnt 0x0
	v_mul_f64_e32 v[32:33], v[32:33], v[34:35]
	s_delay_alu instid0(VALU_DEP_1) | instskip(NEXT) | instid1(VALU_DEP_2)
	v_xor_b32_e32 v35, 0x80000000, v33
	v_mov_b32_e32 v34, v32
	ds_store_b64 v3, v[34:35]
.LBB28_906:                             ;   in Loop: Header=BB28_3 Depth=1
	s_or_b32 exec_lo, exec_lo, s7
	s_wait_loadcnt_dscnt 0x0
	s_barrier_signal -1
	s_barrier_wait -1
	s_and_saveexec_b32 s7, s36
	s_cbranch_execz .LBB28_908
; %bb.907:                              ;   in Loop: Header=BB28_3 Depth=1
	ds_load_b64 v[34:35], v5 offset:2592
	ds_load_b64 v[36:37], v3
	s_wait_dscnt 0x0
	v_fma_f64 v[32:33], -v[34:35], v[36:37], v[32:33]
.LBB28_908:                             ;   in Loop: Header=BB28_3 Depth=1
	s_or_b32 exec_lo, exec_lo, s7
	s_barrier_signal -1
	s_barrier_wait -1
	s_and_saveexec_b32 s7, s36
	s_cbranch_execz .LBB28_910
; %bb.909:                              ;   in Loop: Header=BB28_3 Depth=1
	ds_load_b64 v[34:35], v5 offset:2080
	s_wait_dscnt 0x0
	v_mul_f64_e32 v[32:33], v[32:33], v[34:35]
	s_delay_alu instid0(VALU_DEP_1) | instskip(NEXT) | instid1(VALU_DEP_2)
	v_xor_b32_e32 v35, 0x80000000, v33
	v_mov_b32_e32 v34, v32
	ds_store_b64 v3, v[34:35]
.LBB28_910:                             ;   in Loop: Header=BB28_3 Depth=1
	s_or_b32 exec_lo, exec_lo, s7
	s_wait_dscnt 0x0
	s_barrier_signal -1
	s_barrier_wait -1
	s_barrier_signal -1
	s_barrier_wait -1
	s_and_saveexec_b32 s7, s1
; %bb.911:                              ;   in Loop: Header=BB28_3 Depth=1
	ds_store_b64 v44, v[32:33] offset:3616
; %bb.912:                              ;   in Loop: Header=BB28_3 Depth=1
	s_or_b32 exec_lo, exec_lo, s7
	s_wait_dscnt 0x0
	s_barrier_signal -1
	s_barrier_wait -1
	s_barrier_signal -1
	s_barrier_wait -1
	s_and_saveexec_b32 s7, s14
	s_cbranch_execz .LBB28_914
; %bb.913:                              ;   in Loop: Header=BB28_3 Depth=1
	ds_load_b128 v[32:35], v5 offset:2592
	ds_load_b64 v[36:37], v5 offset:2080
	s_wait_dscnt 0x0
	v_mul_f64_e32 v[34:35], v[36:37], v[34:35]
	s_delay_alu instid0(VALU_DEP_1)
	v_mul_f64_e32 v[32:33], v[32:33], v[34:35]
	ds_store_b64 v5, v[32:33] offset:2592
.LBB28_914:                             ;   in Loop: Header=BB28_3 Depth=1
	s_or_b32 exec_lo, exec_lo, s7
	v_mov_b64_e32 v[32:33], 0
	s_wait_dscnt 0x0
	s_barrier_signal -1
	s_barrier_wait -1
	global_wb scope:SCOPE_DEV
	s_wait_storecnt 0x0
	global_inv scope:SCOPE_DEV
	s_and_saveexec_b32 s7, s2
	s_cbranch_execz .LBB28_920
; %bb.915:                              ;   in Loop: Header=BB28_3 Depth=1
	ds_load_b64 v[32:33], v47 offset:2048
	ds_load_b64 v[34:35], v46 offset:3616
	s_wait_dscnt 0x0
	v_fma_f64 v[32:33], v[32:33], v[34:35], 0
	s_and_saveexec_b32 s8, s16
	s_cbranch_execnz .LBB28_1085
; %bb.916:                              ;   in Loop: Header=BB28_3 Depth=1
	s_or_b32 exec_lo, exec_lo, s8
	s_and_saveexec_b32 s8, s17
	s_cbranch_execnz .LBB28_1086
.LBB28_917:                             ;   in Loop: Header=BB28_3 Depth=1
	s_or_b32 exec_lo, exec_lo, s8
	s_and_saveexec_b32 s8, s1
	s_cbranch_execz .LBB28_919
.LBB28_918:                             ;   in Loop: Header=BB28_3 Depth=1
	ds_load_b64 v[34:35], v43 offset:3584
	ds_load_b64 v[36:37], v5 offset:3640
	s_wait_dscnt 0x0
	v_fmac_f64_e32 v[32:33], v[34:35], v[36:37]
.LBB28_919:                             ;   in Loop: Header=BB28_3 Depth=1
	s_or_b32 exec_lo, exec_lo, s8
.LBB28_920:                             ;   in Loop: Header=BB28_3 Depth=1
	s_delay_alu instid0(SALU_CYCLE_1)
	s_or_b32 exec_lo, exec_lo, s7
	s_and_saveexec_b32 s7, s37
	s_cbranch_execz .LBB28_922
; %bb.921:                              ;   in Loop: Header=BB28_3 Depth=1
	ds_load_b64 v[34:35], v5 offset:1560
	s_wait_dscnt 0x0
	v_mul_f64_e32 v[32:33], v[32:33], v[34:35]
	s_delay_alu instid0(VALU_DEP_1) | instskip(NEXT) | instid1(VALU_DEP_2)
	v_xor_b32_e32 v35, 0x80000000, v33
	v_mov_b32_e32 v34, v32
	ds_store_b64 v45, v[34:35]
.LBB28_922:                             ;   in Loop: Header=BB28_3 Depth=1
	s_or_b32 exec_lo, exec_lo, s7
	s_wait_loadcnt_dscnt 0x0
	s_barrier_signal -1
	s_barrier_wait -1
	s_and_saveexec_b32 s7, s38
	s_cbranch_execz .LBB28_924
; %bb.923:                              ;   in Loop: Header=BB28_3 Depth=1
	ds_load_b64 v[34:35], v47 offset:1536
	ds_load_b64 v[36:37], v45
	s_wait_dscnt 0x0
	v_fma_f64 v[32:33], -v[34:35], v[36:37], v[32:33]
.LBB28_924:                             ;   in Loop: Header=BB28_3 Depth=1
	s_or_b32 exec_lo, exec_lo, s7
	s_barrier_signal -1
	s_barrier_wait -1
	s_and_saveexec_b32 s7, s39
	s_cbranch_execz .LBB28_926
; %bb.925:                              ;   in Loop: Header=BB28_3 Depth=1
	ds_load_b64 v[34:35], v5 offset:1040
	s_wait_dscnt 0x0
	v_mul_f64_e32 v[32:33], v[32:33], v[34:35]
	s_delay_alu instid0(VALU_DEP_1) | instskip(NEXT) | instid1(VALU_DEP_2)
	v_xor_b32_e32 v35, 0x80000000, v33
	v_mov_b32_e32 v34, v32
	ds_store_b64 v45, v[34:35]
.LBB28_926:                             ;   in Loop: Header=BB28_3 Depth=1
	s_or_b32 exec_lo, exec_lo, s7
	s_wait_dscnt 0x0
	s_barrier_signal -1
	s_barrier_wait -1
	s_and_saveexec_b32 s7, s40
	s_cbranch_execz .LBB28_928
; %bb.927:                              ;   in Loop: Header=BB28_3 Depth=1
	ds_load_b64 v[34:35], v47 offset:1024
	ds_load_b64 v[36:37], v45
	s_wait_dscnt 0x0
	v_fma_f64 v[32:33], -v[34:35], v[36:37], v[32:33]
.LBB28_928:                             ;   in Loop: Header=BB28_3 Depth=1
	s_or_b32 exec_lo, exec_lo, s7
	s_barrier_signal -1
	s_barrier_wait -1
	s_and_saveexec_b32 s7, s41
	s_cbranch_execz .LBB28_930
; %bb.929:                              ;   in Loop: Header=BB28_3 Depth=1
	ds_load_b64 v[34:35], v5 offset:520
	s_wait_dscnt 0x0
	v_mul_f64_e32 v[32:33], v[32:33], v[34:35]
	s_delay_alu instid0(VALU_DEP_1) | instskip(NEXT) | instid1(VALU_DEP_2)
	v_xor_b32_e32 v35, 0x80000000, v33
	v_mov_b32_e32 v34, v32
	ds_store_b64 v45, v[34:35]
.LBB28_930:                             ;   in Loop: Header=BB28_3 Depth=1
	s_or_b32 exec_lo, exec_lo, s7
	s_wait_dscnt 0x0
	s_barrier_signal -1
	s_barrier_wait -1
	s_and_saveexec_b32 s7, s42
	s_cbranch_execz .LBB28_932
; %bb.931:                              ;   in Loop: Header=BB28_3 Depth=1
	ds_load_b64 v[34:35], v5 offset:512
	ds_load_b64 v[36:37], v45
	s_wait_dscnt 0x0
	v_fma_f64 v[32:33], -v[34:35], v[36:37], v[32:33]
.LBB28_932:                             ;   in Loop: Header=BB28_3 Depth=1
	s_or_b32 exec_lo, exec_lo, s7
	s_barrier_signal -1
	s_barrier_wait -1
	s_and_saveexec_b32 s7, s42
	s_cbranch_execz .LBB28_934
; %bb.933:                              ;   in Loop: Header=BB28_3 Depth=1
	ds_load_b64 v[34:35], v5
	s_wait_dscnt 0x0
	v_mul_f64_e32 v[32:33], v[32:33], v[34:35]
	s_delay_alu instid0(VALU_DEP_1) | instskip(NEXT) | instid1(VALU_DEP_2)
	v_xor_b32_e32 v35, 0x80000000, v33
	v_mov_b32_e32 v34, v32
	ds_store_b64 v45, v[34:35]
.LBB28_934:                             ;   in Loop: Header=BB28_3 Depth=1
	s_or_b32 exec_lo, exec_lo, s7
	s_wait_dscnt 0x0
	s_barrier_signal -1
	s_barrier_wait -1
	s_barrier_signal -1
	s_barrier_wait -1
	s_and_saveexec_b32 s7, s2
; %bb.935:                              ;   in Loop: Header=BB28_3 Depth=1
	ds_store_b64 v48, v[32:33] offset:3584
; %bb.936:                              ;   in Loop: Header=BB28_3 Depth=1
	s_or_b32 exec_lo, exec_lo, s7
	s_wait_dscnt 0x0
	s_barrier_signal -1
	s_barrier_wait -1
	s_barrier_signal -1
	s_barrier_wait -1
	s_and_saveexec_b32 s7, s14
	s_cbranch_execz .LBB28_938
; %bb.937:                              ;   in Loop: Header=BB28_3 Depth=1
	ds_load_b128 v[32:35], v5 offset:1552
	ds_load_b64 v[36:37], v5 offset:1040
	s_wait_dscnt 0x0
	v_mul_f64_e32 v[34:35], v[36:37], v[34:35]
	s_delay_alu instid0(VALU_DEP_1)
	v_mul_f64_e32 v[32:33], v[32:33], v[34:35]
	ds_store_b64 v5, v[32:33] offset:1552
.LBB28_938:                             ;   in Loop: Header=BB28_3 Depth=1
	s_or_b32 exec_lo, exec_lo, s7
	v_mov_b64_e32 v[32:33], 0
	s_wait_dscnt 0x0
	s_barrier_signal -1
	s_barrier_wait -1
	global_wb scope:SCOPE_DEV
	s_wait_storecnt 0x0
	global_inv scope:SCOPE_DEV
	s_and_saveexec_b32 s7, s1
	s_cbranch_execz .LBB28_942
; %bb.939:                              ;   in Loop: Header=BB28_3 Depth=1
	ds_load_b64 v[32:33], v42 offset:1024
	ds_load_b64 v[34:35], v41 offset:1552
	s_wait_dscnt 0x0
	v_fma_f64 v[32:33], v[32:33], v[34:35], 0
	s_and_saveexec_b32 s8, s15
	s_cbranch_execz .LBB28_941
; %bb.940:                              ;   in Loop: Header=BB28_3 Depth=1
	ds_load_b64 v[34:35], v43 offset:1536
	ds_load_b64 v[36:37], v5 offset:1560
	s_wait_dscnt 0x0
	v_fmac_f64_e32 v[32:33], v[34:35], v[36:37]
.LBB28_941:                             ;   in Loop: Header=BB28_3 Depth=1
	s_or_b32 exec_lo, exec_lo, s8
.LBB28_942:                             ;   in Loop: Header=BB28_3 Depth=1
	s_delay_alu instid0(SALU_CYCLE_1)
	s_or_b32 exec_lo, exec_lo, s7
	s_and_saveexec_b32 s7, vcc_hi
	s_cbranch_execz .LBB28_944
; %bb.943:                              ;   in Loop: Header=BB28_3 Depth=1
	ds_load_b64 v[34:35], v5 offset:520
	s_wait_dscnt 0x0
	v_mul_f64_e32 v[32:33], v[32:33], v[34:35]
	s_delay_alu instid0(VALU_DEP_1) | instskip(NEXT) | instid1(VALU_DEP_2)
	v_xor_b32_e32 v35, 0x80000000, v33
	v_mov_b32_e32 v34, v32
	ds_store_b64 v3, v[34:35]
.LBB28_944:                             ;   in Loop: Header=BB28_3 Depth=1
	s_or_b32 exec_lo, exec_lo, s7
	s_wait_loadcnt_dscnt 0x0
	s_barrier_signal -1
	s_barrier_wait -1
	s_and_saveexec_b32 s7, s36
	s_cbranch_execz .LBB28_946
; %bb.945:                              ;   in Loop: Header=BB28_3 Depth=1
	ds_load_b64 v[34:35], v5 offset:512
	ds_load_b64 v[36:37], v3
	s_wait_dscnt 0x0
	v_fma_f64 v[32:33], -v[34:35], v[36:37], v[32:33]
.LBB28_946:                             ;   in Loop: Header=BB28_3 Depth=1
	s_or_b32 exec_lo, exec_lo, s7
	s_barrier_signal -1
	s_barrier_wait -1
	s_and_saveexec_b32 s7, s36
	s_cbranch_execz .LBB28_948
; %bb.947:                              ;   in Loop: Header=BB28_3 Depth=1
	ds_load_b64 v[34:35], v5
	s_wait_dscnt 0x0
	v_mul_f64_e32 v[32:33], v[32:33], v[34:35]
	s_delay_alu instid0(VALU_DEP_1) | instskip(NEXT) | instid1(VALU_DEP_2)
	v_xor_b32_e32 v35, 0x80000000, v33
	v_mov_b32_e32 v34, v32
	ds_store_b64 v3, v[34:35]
.LBB28_948:                             ;   in Loop: Header=BB28_3 Depth=1
	s_or_b32 exec_lo, exec_lo, s7
	s_wait_dscnt 0x0
	s_barrier_signal -1
	s_barrier_wait -1
	s_barrier_signal -1
	s_barrier_wait -1
	s_and_saveexec_b32 s7, s1
; %bb.949:                              ;   in Loop: Header=BB28_3 Depth=1
	ds_store_b64 v44, v[32:33] offset:1536
; %bb.950:                              ;   in Loop: Header=BB28_3 Depth=1
	s_or_b32 exec_lo, exec_lo, s7
	s_wait_dscnt 0x0
	s_barrier_signal -1
	s_barrier_wait -1
	s_barrier_signal -1
	s_barrier_wait -1
	s_and_saveexec_b32 s7, s14
	s_cbranch_execz .LBB28_952
; %bb.951:                              ;   in Loop: Header=BB28_3 Depth=1
	ds_load_b128 v[32:35], v5 offset:512
	ds_load_b64 v[36:37], v5
	s_wait_dscnt 0x0
	v_mul_f64_e32 v[34:35], v[36:37], v[34:35]
	s_delay_alu instid0(VALU_DEP_1)
	v_mul_f64_e32 v[32:33], v[32:33], v[34:35]
	ds_store_b64 v5, v[32:33] offset:512
.LBB28_952:                             ;   in Loop: Header=BB28_3 Depth=1
	s_or_b32 exec_lo, exec_lo, s7
.LBB28_953:                             ;   in Loop: Header=BB28_3 Depth=1
	v_readlane_b32 s98, v84, 2
	v_mov_b64_e32 v[32:33], 0
	v_readlane_b32 s99, v84, 3
	s_mul_u64 s[66:67], s[84:85], s[88:89]
	s_wait_dscnt 0x0
	s_lshl_b64 s[66:67], s[66:67], 3
	s_barrier_signal -1
	s_add_nc_u64 s[98:99], s[98:99], s[66:67]
	s_barrier_wait -1
	s_and_saveexec_b32 s7, s11
	s_cbranch_execz .LBB28_955
; %bb.954:                              ;   in Loop: Header=BB28_3 Depth=1
	v_lshl_add_u64 v[32:33], v[0:1], 3, s[98:99]
	global_load_b64 v[32:33], v[32:33], off
	s_wait_loadcnt 0x0
	v_mul_f64_e64 v[32:33], v[32:33], -v[30:31]
.LBB28_955:                             ;   in Loop: Header=BB28_3 Depth=1
	s_or_b32 exec_lo, exec_lo, s7
	s_delay_alu instid0(SALU_CYCLE_1)
	s_and_not1_b32 vcc_lo, exec_lo, s58
	s_cbranch_vccnz .LBB28_981
; %bb.956:                              ;   in Loop: Header=BB28_3 Depth=1
	v_lshl_add_u64 v[30:31], v[6:7], 3, s[96:97]
	v_mov_b32_e32 v77, -1
	s_lshl_b64 s[66:67], s[88:89], 2
	s_mov_b32 s7, 0
	s_add_nc_u64 s[96:97], s[86:87], s[66:67]
	s_branch .LBB28_959
.LBB28_957:                             ;   in Loop: Header=BB28_959 Depth=2
	s_wait_xcnt 0x0
	ds_load_b64 v[34:35], v66 offset:384
	s_wait_loadcnt_dscnt 0x0
	v_fmac_f64_e32 v[32:33], v[36:37], v[34:35]
.LBB28_958:                             ;   in Loop: Header=BB28_959 Depth=2
	s_or_b32 exec_lo, exec_lo, s8
	s_add_co_i32 s7, s7, 1
	s_delay_alu instid0(SALU_CYCLE_1)
	s_cmp_eq_u32 s7, s101
	s_cbranch_scc1 .LBB28_981
.LBB28_959:                             ;   Parent Loop BB28_3 Depth=1
                                        ; =>  This Loop Header: Depth=2
                                        ;       Child Loop BB28_961 Depth 3
	v_cmp_gt_i32_e32 vcc_lo, s7, v77
	s_and_b32 s66, s59, vcc_lo
	s_delay_alu instid0(SALU_CYCLE_1)
	s_and_saveexec_b32 s8, s66
	s_cbranch_execz .LBB28_962
; %bb.960:                              ;   in Loop: Header=BB28_959 Depth=2
	global_load_b32 v77, v5, s[96:97]
	s_wait_loadcnt 0x0
	v_cmp_le_i32_e32 vcc_lo, s7, v77
	s_cbranch_vccnz .LBB28_962
.LBB28_961:                             ;   Parent Loop BB28_3 Depth=1
                                        ;     Parent Loop BB28_959 Depth=2
                                        ; =>    This Inner Loop Header: Depth=3
	global_wb scope:SCOPE_DEV
	s_wait_storecnt 0x0
	global_inv scope:SCOPE_DEV
	global_load_b32 v77, v5, s[96:97]
	s_wait_loadcnt 0x0
	v_cmp_gt_i32_e32 vcc_lo, s7, v77
	s_cbranch_vccnz .LBB28_961
.LBB28_962:                             ;   in Loop: Header=BB28_959 Depth=2
	s_or_b32 exec_lo, exec_lo, s8
	s_sub_co_i32 s8, s102, s7
	global_wb scope:SCOPE_DEV
	s_wait_storecnt 0x0
	global_inv scope:SCOPE_DEV
	s_lshl_b32 s66, s8, 6
	s_wait_loadcnt 0x0
	s_barrier_signal -1
	s_barrier_wait -1
	s_and_saveexec_b32 s67, s60
	s_cbranch_execz .LBB28_966
; %bb.963:                              ;   in Loop: Header=BB28_959 Depth=2
	s_ashr_i32 s68, s66, 31
	v_mov_b64_e32 v[36:37], 0
	v_dual_mov_b32 v35, s68 :: v_dual_bitop2_b32 v34, s66, v4 bitop3:0x54
	s_mov_b32 s68, exec_lo
	s_delay_alu instid0(VALU_DEP_1)
	v_cmpx_gt_i64_e64 s[90:91], v[34:35]
	s_cbranch_execz .LBB28_965
; %bb.964:                              ;   in Loop: Header=BB28_959 Depth=2
	v_mul_u64_e32 v[34:35], s[82:83], v[34:35]
	s_delay_alu instid0(VALU_DEP_1)
	v_lshl_add_u64 v[34:35], v[34:35], 3, s[98:99]
	global_load_b64 v[36:37], v[34:35], off
.LBB28_965:                             ;   in Loop: Header=BB28_959 Depth=2
	s_wait_xcnt 0x0
	s_or_b32 exec_lo, exec_lo, s68
	s_wait_loadcnt 0x0
	ds_store_b64 v65, v[36:37]
.LBB28_966:                             ;   in Loop: Header=BB28_959 Depth=2
	s_or_b32 exec_lo, exec_lo, s67
	v_add_nc_u32_e32 v36, s66, v40
	s_cmp_lg_u32 s8, s65
	s_wait_dscnt 0x0
	s_cselect_b32 s66, -1, 0
	s_barrier_signal -1
	v_ashrrev_i32_e32 v37, 31, v36
	v_cmp_gt_i32_e32 vcc_lo, s90, v36
	s_barrier_wait -1
	s_delay_alu instid0(VALU_DEP_2) | instskip(SKIP_2) | instid1(VALU_DEP_2)
	v_mul_u64_e32 v[34:35], s[72:73], v[36:37]
	v_cndmask_b32_e64 v37, 0, 1, s66
	s_and_b32 s67, s0, vcc_lo
	v_lshl_add_u64 v[34:35], v[34:35], 3, v[30:31]
	s_and_saveexec_b32 s8, s67
	s_cbranch_execz .LBB28_970
; %bb.967:                              ;   in Loop: Header=BB28_959 Depth=2
	v_mov_b64_e32 v[38:39], v[22:23]
	s_and_not1_b32 vcc_lo, exec_lo, s66
	s_cbranch_vccnz .LBB28_969
; %bb.968:                              ;   in Loop: Header=BB28_959 Depth=2
	global_load_b64 v[38:39], v[34:35], off
.LBB28_969:                             ;   in Loop: Header=BB28_959 Depth=2
	ds_load_b64 v[78:79], v66
	s_wait_loadcnt_dscnt 0x0
	v_fmac_f64_e32 v[32:33], v[38:39], v[78:79]
.LBB28_970:                             ;   in Loop: Header=BB28_959 Depth=2
	s_or_b32 exec_lo, exec_lo, s8
	v_add_nc_u32_e32 v38, 16, v36
	s_delay_alu instid0(VALU_DEP_1) | instskip(SKIP_1) | instid1(SALU_CYCLE_1)
	v_cmp_gt_i32_e32 vcc_lo, s90, v38
	s_and_b32 s66, s0, vcc_lo
	s_and_saveexec_b32 s8, s66
	s_cbranch_execz .LBB28_974
; %bb.971:                              ;   in Loop: Header=BB28_959 Depth=2
	v_cmp_ne_u32_e32 vcc_lo, 1, v37
	v_mov_b64_e32 v[38:39], v[24:25]
	s_cbranch_vccnz .LBB28_973
; %bb.972:                              ;   in Loop: Header=BB28_959 Depth=2
	v_add_nc_u64_e32 v[38:39], s[80:81], v[34:35]
	global_load_b64 v[38:39], v[38:39], off
.LBB28_973:                             ;   in Loop: Header=BB28_959 Depth=2
	ds_load_b64 v[78:79], v66 offset:128
	s_wait_loadcnt_dscnt 0x0
	v_fmac_f64_e32 v[32:33], v[38:39], v[78:79]
.LBB28_974:                             ;   in Loop: Header=BB28_959 Depth=2
	s_or_b32 exec_lo, exec_lo, s8
	v_add_nc_u32_e32 v38, 32, v36
	s_delay_alu instid0(VALU_DEP_1) | instskip(SKIP_1) | instid1(SALU_CYCLE_1)
	v_cmp_gt_i32_e32 vcc_lo, s90, v38
	s_and_b32 s66, s0, vcc_lo
	s_and_saveexec_b32 s8, s66
	s_cbranch_execz .LBB28_978
; %bb.975:                              ;   in Loop: Header=BB28_959 Depth=2
	v_cmp_ne_u32_e32 vcc_lo, 1, v37
	v_mov_b64_e32 v[38:39], v[26:27]
	s_cbranch_vccnz .LBB28_977
; %bb.976:                              ;   in Loop: Header=BB28_959 Depth=2
	v_add_nc_u64_e32 v[38:39], s[92:93], v[34:35]
	global_load_b64 v[38:39], v[38:39], off
.LBB28_977:                             ;   in Loop: Header=BB28_959 Depth=2
	ds_load_b64 v[78:79], v66 offset:256
	s_wait_loadcnt_dscnt 0x0
	v_fmac_f64_e32 v[32:33], v[38:39], v[78:79]
.LBB28_978:                             ;   in Loop: Header=BB28_959 Depth=2
	s_or_b32 exec_lo, exec_lo, s8
	v_add_nc_u32_e32 v36, 48, v36
	s_delay_alu instid0(VALU_DEP_1) | instskip(SKIP_1) | instid1(SALU_CYCLE_1)
	v_cmp_gt_i32_e32 vcc_lo, s90, v36
	s_and_b32 s66, s0, vcc_lo
	s_and_saveexec_b32 s8, s66
	s_cbranch_execz .LBB28_958
; %bb.979:                              ;   in Loop: Header=BB28_959 Depth=2
	v_cmp_ne_u32_e32 vcc_lo, 1, v37
	v_mov_b64_e32 v[36:37], v[28:29]
	s_cbranch_vccnz .LBB28_957
; %bb.980:                              ;   in Loop: Header=BB28_959 Depth=2
	v_add_nc_u64_e32 v[34:35], s[94:95], v[34:35]
	global_load_b64 v[36:37], v[34:35], off
	s_branch .LBB28_957
.LBB28_981:                             ;   in Loop: Header=BB28_3 Depth=1
	ds_store_b64 v67, v[32:33]
	s_wait_dscnt 0x0
	s_barrier_signal -1
	s_barrier_wait -1
	s_and_saveexec_b32 s7, s5
	s_cbranch_execz .LBB28_983
; %bb.982:                              ;   in Loop: Header=BB28_3 Depth=1
	ds_load_2addr_stride64_b64 v[34:37], v68 offset0:1 offset1:2
	ds_load_2addr_stride64_b64 v[78:81], v68 offset0:3 offset1:4
	s_wait_dscnt 0x1
	v_add_f64_e32 v[30:31], v[32:33], v[34:35]
	s_delay_alu instid0(VALU_DEP_1) | instskip(SKIP_1) | instid1(VALU_DEP_1)
	v_add_f64_e32 v[30:31], v[30:31], v[36:37]
	s_wait_dscnt 0x0
	v_add_f64_e32 v[30:31], v[30:31], v[78:79]
	s_delay_alu instid0(VALU_DEP_1) | instskip(SKIP_4) | instid1(VALU_DEP_1)
	v_add_f64_e32 v[38:39], v[30:31], v[80:81]
	ds_load_2addr_stride64_b64 v[30:33], v68 offset0:5 offset1:6
	ds_load_2addr_stride64_b64 v[34:37], v68 offset0:7 offset1:8
	s_wait_dscnt 0x1
	v_add_f64_e32 v[30:31], v[38:39], v[30:31]
	v_add_f64_e32 v[30:31], v[30:31], v[32:33]
	s_wait_dscnt 0x0
	s_delay_alu instid0(VALU_DEP_1) | instskip(NEXT) | instid1(VALU_DEP_1)
	v_add_f64_e32 v[30:31], v[30:31], v[34:35]
	v_add_f64_e32 v[38:39], v[30:31], v[36:37]
	ds_load_2addr_stride64_b64 v[30:33], v68 offset0:9 offset1:10
	ds_load_2addr_stride64_b64 v[34:37], v68 offset0:11 offset1:12
	s_wait_dscnt 0x1
	v_add_f64_e32 v[30:31], v[38:39], v[30:31]
	s_delay_alu instid0(VALU_DEP_1) | instskip(SKIP_1) | instid1(VALU_DEP_1)
	v_add_f64_e32 v[30:31], v[30:31], v[32:33]
	s_wait_dscnt 0x0
	v_add_f64_e32 v[30:31], v[30:31], v[34:35]
	s_delay_alu instid0(VALU_DEP_1) | instskip(SKIP_4) | instid1(VALU_DEP_1)
	v_add_f64_e32 v[34:35], v[30:31], v[36:37]
	ds_load_2addr_stride64_b64 v[30:33], v68 offset0:13 offset1:14
	ds_load_b64 v[36:37], v68 offset:7680
	s_wait_dscnt 0x1
	v_add_f64_e32 v[30:31], v[34:35], v[30:31]
	v_add_f64_e32 v[30:31], v[30:31], v[32:33]
	s_wait_dscnt 0x0
	s_delay_alu instid0(VALU_DEP_1) | instskip(NEXT) | instid1(VALU_DEP_1)
	v_add_f64_e32 v[30:31], v[30:31], v[36:37]
	v_xor_b32_e32 v31, 0x80000000, v31
	s_delay_alu instid0(VALU_DEP_2) | instskip(NEXT) | instid1(VALU_DEP_2)
	v_cndmask_b32_e64 v32, v30, 0, s10
	v_cndmask_b32_e64 v33, v31, 0, s10
.LBB28_983:                             ;   in Loop: Header=BB28_3 Depth=1
	s_or_b32 exec_lo, exec_lo, s7
	s_delay_alu instid0(SALU_CYCLE_1)
	s_and_not1_b32 vcc_lo, exec_lo, s104
	s_cbranch_vccnz .LBB28_996
; %bb.984:                              ;   in Loop: Header=BB28_3 Depth=1
	s_and_saveexec_b32 s7, s5
; %bb.985:                              ;   in Loop: Header=BB28_3 Depth=1
	ds_store_b64 v70, v[32:33]
; %bb.986:                              ;   in Loop: Header=BB28_3 Depth=1
	s_or_b32 exec_lo, exec_lo, s7
	v_mov_b64_e32 v[30:31], 0
	s_wait_dscnt 0x0
	s_barrier_signal -1
	s_barrier_wait -1
	s_mov_b32 s7, exec_lo
	v_readlane_b32 s8, v82, 2
	s_and_b32 s8, s7, s8
	s_delay_alu instid0(SALU_CYCLE_1)
	s_mov_b32 exec_lo, s8
	s_cbranch_execz .LBB28_988
; %bb.987:                              ;   in Loop: Header=BB28_3 Depth=1
	ds_load_b64 v[30:31], v69
	ds_load_b64 v[34:35], v66
	s_wait_dscnt 0x0
	v_fma_f64 v[30:31], v[30:31], v[34:35], 0
.LBB28_988:                             ;   in Loop: Header=BB28_3 Depth=1
	s_or_b32 exec_lo, exec_lo, s7
	s_delay_alu instid0(SALU_CYCLE_1) | instskip(SKIP_2) | instid1(SALU_CYCLE_1)
	s_mov_b32 s7, exec_lo
	v_readlane_b32 s8, v82, 3
	s_and_b32 s8, s7, s8
	s_mov_b32 exec_lo, s8
	s_cbranch_execz .LBB28_990
; %bb.989:                              ;   in Loop: Header=BB28_3 Depth=1
	ds_load_b64 v[34:35], v69 offset:8192
	ds_load_b64 v[36:37], v66 offset:128
	s_wait_dscnt 0x0
	v_fmac_f64_e32 v[30:31], v[34:35], v[36:37]
.LBB28_990:                             ;   in Loop: Header=BB28_3 Depth=1
	s_or_b32 exec_lo, exec_lo, s7
	s_delay_alu instid0(SALU_CYCLE_1) | instskip(SKIP_2) | instid1(SALU_CYCLE_1)
	s_mov_b32 s7, exec_lo
	v_readlane_b32 s8, v82, 4
	s_and_b32 s8, s7, s8
	s_mov_b32 exec_lo, s8
	s_cbranch_execz .LBB28_992
; %bb.991:                              ;   in Loop: Header=BB28_3 Depth=1
	ds_load_b64 v[34:35], v69 offset:16384
	ds_load_b64 v[36:37], v66 offset:256
	s_wait_dscnt 0x0
	v_fmac_f64_e32 v[30:31], v[34:35], v[36:37]
.LBB28_992:                             ;   in Loop: Header=BB28_3 Depth=1
	;; [unrolled: 13-line block ×3, first 2 shown]
	s_or_b32 exec_lo, exec_lo, s7
	s_mov_b32 s7, 0
	s_mov_b32 s96, 0
	ds_store_b64 v67, v[30:31]
	s_wait_dscnt 0x0
	s_barrier_signal -1
	s_barrier_wait -1
                                        ; implicit-def: $vgpr34_vgpr35
	s_and_saveexec_b32 s97, s5
	s_cbranch_execz .LBB28_1033
; %bb.995:                              ;   in Loop: Header=BB28_3 Depth=1
	ds_load_2addr_stride64_b64 v[34:37], v68 offset0:1 offset1:2
	ds_load_2addr_stride64_b64 v[78:81], v68 offset0:3 offset1:4
	s_mov_b32 s96, exec_lo
	s_wait_dscnt 0x1
	v_add_f64_e32 v[30:31], v[30:31], v[34:35]
	s_delay_alu instid0(VALU_DEP_1) | instskip(SKIP_1) | instid1(VALU_DEP_1)
	v_add_f64_e32 v[30:31], v[36:37], v[30:31]
	s_wait_dscnt 0x0
	v_add_f64_e32 v[30:31], v[78:79], v[30:31]
	s_delay_alu instid0(VALU_DEP_1) | instskip(SKIP_4) | instid1(VALU_DEP_1)
	v_add_f64_e32 v[30:31], v[80:81], v[30:31]
	ds_load_2addr_stride64_b64 v[34:37], v68 offset0:5 offset1:6
	ds_load_2addr_stride64_b64 v[78:81], v68 offset0:7 offset1:8
	s_wait_dscnt 0x1
	v_add_f64_e32 v[30:31], v[34:35], v[30:31]
	v_add_f64_e32 v[30:31], v[36:37], v[30:31]
	s_wait_dscnt 0x0
	s_delay_alu instid0(VALU_DEP_1) | instskip(NEXT) | instid1(VALU_DEP_1)
	v_add_f64_e32 v[30:31], v[78:79], v[30:31]
	v_add_f64_e32 v[30:31], v[80:81], v[30:31]
	ds_load_2addr_stride64_b64 v[34:37], v68 offset0:9 offset1:10
	ds_load_2addr_stride64_b64 v[78:81], v68 offset0:11 offset1:12
	s_wait_dscnt 0x1
	v_add_f64_e32 v[30:31], v[34:35], v[30:31]
	s_delay_alu instid0(VALU_DEP_1) | instskip(SKIP_4) | instid1(VALU_DEP_1)
	v_add_f64_e32 v[30:31], v[36:37], v[30:31]
	ds_load_2addr_stride64_b64 v[34:37], v68 offset0:13 offset1:14
	ds_load_b64 v[38:39], v68 offset:7680
	s_wait_dscnt 0x2
	v_add_f64_e32 v[30:31], v[78:79], v[30:31]
	v_add_f64_e32 v[30:31], v[80:81], v[30:31]
	s_wait_dscnt 0x1
	s_delay_alu instid0(VALU_DEP_1) | instskip(NEXT) | instid1(VALU_DEP_1)
	v_add_f64_e32 v[30:31], v[34:35], v[30:31]
	v_add_f64_e32 v[30:31], v[36:37], v[30:31]
	s_wait_dscnt 0x0
	s_delay_alu instid0(VALU_DEP_1) | instskip(SKIP_1) | instid1(SALU_CYCLE_1)
	v_add_f64_e32 v[34:35], v[38:39], v[30:31]
	s_or_b32 exec_lo, exec_lo, s97
	s_and_b32 vcc_lo, exec_lo, s7
	s_cbranch_vccnz .LBB28_997
	s_branch .LBB28_1034
.LBB28_996:                             ;   in Loop: Header=BB28_3 Depth=1
	s_mov_b32 s96, 0
                                        ; implicit-def: $vgpr34_vgpr35
	s_cbranch_execz .LBB28_1034
.LBB28_997:                             ;   in Loop: Header=BB28_3 Depth=1
	v_dual_mov_b32 v30, v76 :: v_dual_mov_b32 v31, v75
	s_mov_b32 s7, 63
	s_branch .LBB28_999
.LBB28_998:                             ;   in Loop: Header=BB28_999 Depth=2
	s_or_b32 exec_lo, exec_lo, s8
	v_add_nc_u32_e32 v31, 0xfffff800, v31
	v_add_nc_u32_e32 v30, 4, v30
	s_add_co_i32 s7, s7, -4
	s_cmp_lg_u32 s97, 0
	s_barrier_signal -1
	s_barrier_wait -1
	s_cbranch_scc0 .LBB28_1015
.LBB28_999:                             ;   Parent Loop BB28_3 Depth=1
                                        ; =>  This Inner Loop Header: Depth=2
	s_delay_alu instid0(VALU_DEP_1) | instskip(SKIP_1) | instid1(SALU_CYCLE_1)
	v_cmp_eq_u32_e32 vcc_lo, 0, v30
	s_and_b32 s66, s5, vcc_lo
	s_and_saveexec_b32 s8, s66
	s_cbranch_execz .LBB28_1001
; %bb.1000:                             ;   in Loop: Header=BB28_999 Depth=2
	ds_load_b64 v[34:35], v71
	s_wait_dscnt 0x0
	v_mul_f64_e32 v[32:33], v[32:33], v[34:35]
	ds_store_b64 v5, v[32:33] offset:41472
.LBB28_1001:                            ;   in Loop: Header=BB28_999 Depth=2
	s_or_b32 exec_lo, exec_lo, s8
	v_cmp_gt_u32_e32 vcc_lo, s7, v2
	s_wait_dscnt 0x0
	s_barrier_signal -1
	s_barrier_wait -1
	s_and_b32 s66, s5, vcc_lo
	s_delay_alu instid0(SALU_CYCLE_1)
	s_and_saveexec_b32 s8, s66
	s_cbranch_execz .LBB28_1003
; %bb.1002:                             ;   in Loop: Header=BB28_999 Depth=2
	ds_load_b64 v[34:35], v31 offset:1536
	ds_load_b64 v[36:37], v5 offset:41472
	s_wait_dscnt 0x0
	v_fmac_f64_e32 v[32:33], v[34:35], v[36:37]
.LBB28_1003:                            ;   in Loop: Header=BB28_999 Depth=2
	s_or_b32 exec_lo, exec_lo, s8
	s_add_co_i32 s8, s7, -1
	s_delay_alu instid0(SALU_CYCLE_1) | instskip(SKIP_3) | instid1(SALU_CYCLE_1)
	v_cmp_eq_u32_e32 vcc_lo, s8, v2
	s_barrier_signal -1
	s_barrier_wait -1
	s_and_b32 s67, s5, vcc_lo
	s_and_saveexec_b32 s66, s67
	s_cbranch_execz .LBB28_1005
; %bb.1004:                             ;   in Loop: Header=BB28_999 Depth=2
	ds_load_b64 v[34:35], v71
	s_wait_dscnt 0x0
	v_mul_f64_e32 v[32:33], v[32:33], v[34:35]
	ds_store_b64 v5, v[32:33] offset:41472
.LBB28_1005:                            ;   in Loop: Header=BB28_999 Depth=2
	s_or_b32 exec_lo, exec_lo, s66
	v_cmp_gt_u32_e32 vcc_lo, s8, v2
	s_wait_dscnt 0x0
	s_barrier_signal -1
	s_barrier_wait -1
	s_and_b32 s66, s5, vcc_lo
	s_delay_alu instid0(SALU_CYCLE_1)
	s_and_saveexec_b32 s8, s66
	s_cbranch_execz .LBB28_1007
; %bb.1006:                             ;   in Loop: Header=BB28_999 Depth=2
	ds_load_b64 v[34:35], v31 offset:1024
	ds_load_b64 v[36:37], v5 offset:41472
	s_wait_dscnt 0x0
	v_fmac_f64_e32 v[32:33], v[34:35], v[36:37]
.LBB28_1007:                            ;   in Loop: Header=BB28_999 Depth=2
	s_or_b32 exec_lo, exec_lo, s8
	s_add_co_i32 s8, s7, -2
	s_delay_alu instid0(SALU_CYCLE_1) | instskip(SKIP_3) | instid1(SALU_CYCLE_1)
	v_cmp_eq_u32_e32 vcc_lo, s8, v2
	s_barrier_signal -1
	s_barrier_wait -1
	;; [unrolled: 30-line block ×3, first 2 shown]
	s_and_b32 s66, s5, vcc_lo
	s_and_saveexec_b32 s8, s66
	s_cbranch_execz .LBB28_1013
; %bb.1012:                             ;   in Loop: Header=BB28_999 Depth=2
	ds_load_b64 v[34:35], v71
	s_wait_dscnt 0x0
	v_mul_f64_e32 v[32:33], v[32:33], v[34:35]
	ds_store_b64 v5, v[32:33] offset:41472
.LBB28_1013:                            ;   in Loop: Header=BB28_999 Depth=2
	s_or_b32 exec_lo, exec_lo, s8
	v_cmp_gt_u32_e32 vcc_lo, s97, v2
	s_wait_dscnt 0x0
	s_barrier_signal -1
	s_barrier_wait -1
	s_and_b32 s66, s5, vcc_lo
	s_delay_alu instid0(SALU_CYCLE_1)
	s_and_saveexec_b32 s8, s66
	s_cbranch_execz .LBB28_998
; %bb.1014:                             ;   in Loop: Header=BB28_999 Depth=2
	ds_load_b64 v[34:35], v31
	ds_load_b64 v[36:37], v5 offset:41472
	s_wait_dscnt 0x0
	v_fmac_f64_e32 v[32:33], v[34:35], v[36:37]
	s_branch .LBB28_998
.LBB28_1015:                            ;   in Loop: Header=BB28_3 Depth=1
	s_and_b32 vcc_lo, exec_lo, s69
	s_mov_b32 s7, -1
	s_cbranch_vccnz .LBB28_1035
; %bb.1016:                             ;   in Loop: Header=BB28_3 Depth=1
	s_and_not1_b32 vcc_lo, exec_lo, s7
	s_cbranch_vccz .LBB28_1036
.LBB28_1017:                            ;   in Loop: Header=BB28_3 Depth=1
	s_and_saveexec_b32 s7, s96
	s_cbranch_execz .LBB28_1019
.LBB28_1018:                            ;   in Loop: Header=BB28_3 Depth=1
	v_lshl_add_u64 v[30:31], v[10:11], 3, s[98:99]
	global_store_b64 v[30:31], v[32:33], off
.LBB28_1019:                            ;   in Loop: Header=BB28_3 Depth=1
	s_wait_xcnt 0x0
	s_or_b32 exec_lo, exec_lo, s7
	global_wb scope:SCOPE_DEV
	s_wait_storecnt 0x0
	global_inv scope:SCOPE_DEV
	s_wait_loadcnt 0x0
	s_barrier_signal -1
	s_barrier_wait -1
	s_and_saveexec_b32 s7, s59
	s_cbranch_execz .LBB28_2
; %bb.1020:                             ;   in Loop: Header=BB28_3 Depth=1
	s_lshl_b64 s[66:67], s[88:89], 2
	s_delay_alu instid0(SALU_CYCLE_1)
	s_add_nc_u64 s[66:67], s[86:87], s[66:67]
	global_load_b32 v30, v5, s[66:67]
	s_wait_loadcnt 0x0
	v_add_nc_u32_e32 v30, 1, v30
	global_store_b32 v5, v30, s[66:67]
	s_branch .LBB28_2
.LBB28_1021:                            ;   in Loop: Header=BB28_3 Depth=1
	s_mov_b32 s66, exec_lo
	v_readlane_b32 s67, v84, 24
	s_and_b32 s67, s66, s67
	s_delay_alu instid0(SALU_CYCLE_1)
	s_xor_b32 s66, s67, s66
	s_mov_b32 exec_lo, s67
	s_cbranch_execz .LBB28_1023
; %bb.1022:                             ;   in Loop: Header=BB28_3 Depth=1
	v_readlane_b32 s8, v82, 6
	s_and_b32 s8, s8, exec_lo
.LBB28_1023:                            ;   in Loop: Header=BB28_3 Depth=1
	s_or_saveexec_b32 s66, s66
	v_mov_b64_e32 v[32:33], 0
	s_xor_b32 exec_lo, exec_lo, s66
	s_cbranch_execz .LBB28_1025
; %bb.1024:                             ;   in Loop: Header=BB28_3 Depth=1
	v_lshl_add_u64 v[32:33], v[12:13], 3, s[96:97]
	s_or_b32 s8, s8, exec_lo
	global_load_b64 v[32:33], v[32:33], off
	s_wait_loadcnt 0x0
	v_div_scale_f64 v[34:35], null, v[32:33], v[32:33], 1.0
	s_delay_alu instid0(VALU_DEP_1) | instskip(SKIP_1) | instid1(TRANS32_DEP_1)
	v_rcp_f64_e32 v[36:37], v[34:35]
	v_nop
	v_fma_f64 v[38:39], -v[34:35], v[36:37], 1.0
	s_delay_alu instid0(VALU_DEP_1) | instskip(NEXT) | instid1(VALU_DEP_1)
	v_fmac_f64_e32 v[36:37], v[36:37], v[38:39]
	v_fma_f64 v[38:39], -v[34:35], v[36:37], 1.0
	s_delay_alu instid0(VALU_DEP_1) | instskip(SKIP_1) | instid1(VALU_DEP_1)
	v_fmac_f64_e32 v[36:37], v[36:37], v[38:39]
	v_div_scale_f64 v[38:39], vcc_lo, 1.0, v[32:33], 1.0
	v_mul_f64_e32 v[78:79], v[38:39], v[36:37]
	s_delay_alu instid0(VALU_DEP_1) | instskip(NEXT) | instid1(VALU_DEP_1)
	v_fma_f64 v[34:35], -v[34:35], v[78:79], v[38:39]
	v_div_fmas_f64 v[34:35], v[34:35], v[36:37], v[78:79]
	s_delay_alu instid0(VALU_DEP_1)
	v_div_fixup_f64 v[32:33], v[34:35], v[32:33], 1.0
.LBB28_1025:                            ;   in Loop: Header=BB28_3 Depth=1
	s_or_b32 exec_lo, exec_lo, s66
	s_delay_alu instid0(SALU_CYCLE_1)
	s_and_b32 s8, s8, exec_lo
	s_and_not1_saveexec_b32 s7, s7
	s_cbranch_execz .LBB28_16
.LBB28_1026:                            ;   in Loop: Header=BB28_3 Depth=1
	v_lshl_add_u64 v[32:33], v[12:13], 3, s[96:97]
	s_or_b32 s8, s8, exec_lo
	global_load_b64 v[32:33], v[32:33], off
	s_wait_loadcnt 0x0
	v_xor_b32_e32 v33, 0x80000000, v33
	s_or_b32 exec_lo, exec_lo, s7
	s_and_saveexec_b32 s7, s8
	s_cbranch_execnz .LBB28_17
	s_branch .LBB28_18
.LBB28_1027:                            ;   in Loop: Header=BB28_3 Depth=1
	s_mov_b32 s66, exec_lo
	v_readlane_b32 s67, v84, 25
	s_and_b32 s67, s66, s67
	s_delay_alu instid0(SALU_CYCLE_1)
	s_xor_b32 s66, s67, s66
	s_mov_b32 exec_lo, s67
	s_cbranch_execz .LBB28_1029
; %bb.1028:                             ;   in Loop: Header=BB28_3 Depth=1
	v_readlane_b32 s8, v82, 6
	s_and_b32 s8, s8, exec_lo
.LBB28_1029:                            ;   in Loop: Header=BB28_3 Depth=1
	s_or_saveexec_b32 s66, s66
	v_mov_b64_e32 v[32:33], 0
	s_xor_b32 exec_lo, exec_lo, s66
	s_cbranch_execz .LBB28_1031
; %bb.1030:                             ;   in Loop: Header=BB28_3 Depth=1
	v_lshl_add_u64 v[32:33], v[12:13], 3, s[96:97]
	s_or_b32 s8, s8, exec_lo
	global_load_b64 v[32:33], v[32:33], off
	s_wait_loadcnt 0x0
	v_div_scale_f64 v[34:35], null, v[32:33], v[32:33], 1.0
	s_delay_alu instid0(VALU_DEP_1) | instskip(SKIP_1) | instid1(TRANS32_DEP_1)
	v_rcp_f64_e32 v[36:37], v[34:35]
	v_nop
	v_fma_f64 v[38:39], -v[34:35], v[36:37], 1.0
	s_delay_alu instid0(VALU_DEP_1) | instskip(NEXT) | instid1(VALU_DEP_1)
	v_fmac_f64_e32 v[36:37], v[36:37], v[38:39]
	v_fma_f64 v[38:39], -v[34:35], v[36:37], 1.0
	s_delay_alu instid0(VALU_DEP_1) | instskip(SKIP_1) | instid1(VALU_DEP_1)
	v_fmac_f64_e32 v[36:37], v[36:37], v[38:39]
	v_div_scale_f64 v[38:39], vcc_lo, 1.0, v[32:33], 1.0
	v_mul_f64_e32 v[78:79], v[38:39], v[36:37]
	s_delay_alu instid0(VALU_DEP_1) | instskip(NEXT) | instid1(VALU_DEP_1)
	v_fma_f64 v[34:35], -v[34:35], v[78:79], v[38:39]
	v_div_fmas_f64 v[34:35], v[34:35], v[36:37], v[78:79]
	s_delay_alu instid0(VALU_DEP_1)
	v_div_fixup_f64 v[32:33], v[34:35], v[32:33], 1.0
.LBB28_1031:                            ;   in Loop: Header=BB28_3 Depth=1
	s_or_b32 exec_lo, exec_lo, s66
	s_delay_alu instid0(SALU_CYCLE_1)
	s_and_b32 s8, s8, exec_lo
	s_and_not1_saveexec_b32 s7, s7
	s_cbranch_execz .LBB28_52
.LBB28_1032:                            ;   in Loop: Header=BB28_3 Depth=1
	v_lshl_add_u64 v[32:33], v[12:13], 3, s[96:97]
	s_or_b32 s8, s8, exec_lo
	global_load_b64 v[32:33], v[32:33], off
	s_wait_loadcnt 0x0
	v_xor_b32_e32 v33, 0x80000000, v33
	s_or_b32 exec_lo, exec_lo, s7
	s_and_saveexec_b32 s7, s8
	s_cbranch_execnz .LBB28_53
	s_branch .LBB28_54
.LBB28_1033:                            ;   in Loop: Header=BB28_3 Depth=1
	s_or_b32 exec_lo, exec_lo, s97
	s_delay_alu instid0(SALU_CYCLE_1)
	s_and_b32 vcc_lo, exec_lo, s7
	s_cbranch_vccnz .LBB28_997
.LBB28_1034:                            ;   in Loop: Header=BB28_3 Depth=1
	s_delay_alu instid0(VALU_DEP_1)
	v_mov_b64_e32 v[32:33], v[34:35]
	s_and_saveexec_b32 s7, s96
	s_cbranch_execnz .LBB28_1018
	s_branch .LBB28_1019
.LBB28_1035:                            ;   in Loop: Header=BB28_3 Depth=1
	s_and_not1_b32 s8, s96, exec_lo
	s_and_b32 s66, s5, exec_lo
	s_delay_alu instid0(SALU_CYCLE_1)
	s_or_b32 s96, s8, s66
	s_cbranch_execnz .LBB28_1017
.LBB28_1036:                            ;   in Loop: Header=BB28_3 Depth=1
	v_readlane_b32 s8, v84, 11
	s_and_not1_b32 s7, s96, exec_lo
	s_and_b32 s8, s8, exec_lo
	s_delay_alu instid0(SALU_CYCLE_1) | instskip(NEXT) | instid1(SALU_CYCLE_1)
	s_or_b32 s96, s7, s8
	s_and_saveexec_b32 s7, s96
	s_cbranch_execnz .LBB28_1018
	s_branch .LBB28_1019
.LBB28_1037:                            ;   in Loop: Header=BB28_3 Depth=1
	ds_load_b64 v[34:35], v47 offset:31680
	ds_load_b64 v[36:37], v46 offset:32744
	s_wait_dscnt 0x0
	v_fmac_f64_e32 v[32:33], v[34:35], v[36:37]
	s_or_b32 exec_lo, exec_lo, s8
	s_and_saveexec_b32 s8, s17
	s_cbranch_execz .LBB28_105
.LBB28_1038:                            ;   in Loop: Header=BB28_3 Depth=1
	ds_load_b64 v[34:35], v47 offset:32192
	ds_load_b64 v[36:37], v46 offset:32752
	s_wait_dscnt 0x0
	v_fmac_f64_e32 v[32:33], v[34:35], v[36:37]
	s_or_b32 exec_lo, exec_lo, s8
	s_and_saveexec_b32 s8, s1
	s_cbranch_execnz .LBB28_106
	s_branch .LBB28_107
.LBB28_1039:                            ;   in Loop: Header=BB28_3 Depth=1
	ds_load_b64 v[34:35], v51 offset:29568
	ds_load_b64 v[36:37], v50 offset:32712
	s_wait_dscnt 0x0
	v_fmac_f64_e32 v[32:33], v[34:35], v[36:37]
	s_or_b32 exec_lo, exec_lo, s8
	s_and_saveexec_b32 s8, s19
	s_cbranch_execz .LBB28_143
.LBB28_1040:                            ;   in Loop: Header=BB28_3 Depth=1
	ds_load_b64 v[34:35], v51 offset:30080
	ds_load_b64 v[36:37], v50 offset:32720
	s_wait_dscnt 0x0
	v_fmac_f64_e32 v[32:33], v[34:35], v[36:37]
	s_or_b32 exec_lo, exec_lo, s8
	s_and_saveexec_b32 s8, s20
	s_cbranch_execz .LBB28_144
.LBB28_1041:                            ;   in Loop: Header=BB28_3 Depth=1
	ds_load_b64 v[34:35], v51 offset:30592
	ds_load_b64 v[36:37], v50 offset:32728
	s_wait_dscnt 0x0
	v_fmac_f64_e32 v[32:33], v[34:35], v[36:37]
	s_or_b32 exec_lo, exec_lo, s8
	s_and_saveexec_b32 s8, s21
	s_cbranch_execz .LBB28_145
.LBB28_1042:                            ;   in Loop: Header=BB28_3 Depth=1
	ds_load_b64 v[34:35], v51 offset:31104
	ds_load_b64 v[36:37], v50 offset:32736
	s_wait_dscnt 0x0
	v_fmac_f64_e32 v[32:33], v[34:35], v[36:37]
	s_or_b32 exec_lo, exec_lo, s8
	s_and_saveexec_b32 s8, s22
	s_cbranch_execz .LBB28_146
.LBB28_1043:                            ;   in Loop: Header=BB28_3 Depth=1
	ds_load_b64 v[34:35], v51 offset:31616
	ds_load_b64 v[36:37], v50 offset:32744
	s_wait_dscnt 0x0
	v_fmac_f64_e32 v[32:33], v[34:35], v[36:37]
	s_or_b32 exec_lo, exec_lo, s8
	s_and_saveexec_b32 s8, s2
	s_cbranch_execz .LBB28_147
.LBB28_1044:                            ;   in Loop: Header=BB28_3 Depth=1
	ds_load_b64 v[34:35], v51 offset:32128
	ds_load_b64 v[36:37], v50 offset:32752
	s_wait_dscnt 0x0
	v_fmac_f64_e32 v[32:33], v[34:35], v[36:37]
	s_or_b32 exec_lo, exec_lo, s8
	s_and_saveexec_b32 s8, s17
	s_cbranch_execnz .LBB28_148
	s_branch .LBB28_149
.LBB28_1045:                            ;   in Loop: Header=BB28_3 Depth=1
	ds_load_b64 v[34:35], v47 offset:27520
	ds_load_b64 v[36:37], v46 offset:28584
	s_wait_dscnt 0x0
	v_fmac_f64_e32 v[32:33], v[34:35], v[36:37]
	s_or_b32 exec_lo, exec_lo, s8
	s_and_saveexec_b32 s8, s17
	s_cbranch_execz .LBB28_201
.LBB28_1046:                            ;   in Loop: Header=BB28_3 Depth=1
	ds_load_b64 v[34:35], v47 offset:28032
	ds_load_b64 v[36:37], v46 offset:28592
	s_wait_dscnt 0x0
	v_fmac_f64_e32 v[32:33], v[34:35], v[36:37]
	s_or_b32 exec_lo, exec_lo, s8
	s_and_saveexec_b32 s8, s1
	s_cbranch_execnz .LBB28_202
	s_branch .LBB28_203
.LBB28_1047:                            ;   in Loop: Header=BB28_3 Depth=1
	ds_load_b64 v[34:35], v55 offset:30464
	ds_load_b64 v[36:37], v54 offset:32728
	s_wait_dscnt 0x0
	v_fmac_f64_e32 v[32:33], v[34:35], v[36:37]
	s_or_b32 exec_lo, exec_lo, s8
	s_and_saveexec_b32 s8, s3
	s_cbranch_execz .LBB28_259
.LBB28_1048:                            ;   in Loop: Header=BB28_3 Depth=1
	ds_load_b64 v[34:35], v55 offset:30976
	ds_load_b64 v[36:37], v54 offset:32736
	s_wait_dscnt 0x0
	v_fmac_f64_e32 v[32:33], v[34:35], v[36:37]
	s_or_b32 exec_lo, exec_lo, s8
	s_and_saveexec_b32 s8, s19
	s_cbranch_execz .LBB28_260
.LBB28_1049:                            ;   in Loop: Header=BB28_3 Depth=1
	ds_load_b64 v[34:35], v55 offset:31488
	ds_load_b64 v[36:37], v54 offset:32744
	s_wait_dscnt 0x0
	v_fmac_f64_e32 v[32:33], v[34:35], v[36:37]
	s_or_b32 exec_lo, exec_lo, s8
	s_and_saveexec_b32 s8, s21
	s_cbranch_execz .LBB28_261
.LBB28_1050:                            ;   in Loop: Header=BB28_3 Depth=1
	ds_load_b64 v[34:35], v55 offset:32000
	ds_load_b64 v[36:37], v54 offset:32752
	s_wait_dscnt 0x0
	v_fmac_f64_e32 v[32:33], v[34:35], v[36:37]
	s_or_b32 exec_lo, exec_lo, s8
	s_and_saveexec_b32 s8, s2
	s_cbranch_execnz .LBB28_262
	s_branch .LBB28_263
.LBB28_1051:                            ;   in Loop: Header=BB28_3 Depth=1
	ds_load_b64 v[34:35], v47 offset:23360
	ds_load_b64 v[36:37], v46 offset:24424
	s_wait_dscnt 0x0
	v_fmac_f64_e32 v[32:33], v[34:35], v[36:37]
	s_or_b32 exec_lo, exec_lo, s8
	s_and_saveexec_b32 s8, s17
	s_cbranch_execz .LBB28_347
.LBB28_1052:                            ;   in Loop: Header=BB28_3 Depth=1
	ds_load_b64 v[34:35], v47 offset:23872
	ds_load_b64 v[36:37], v46 offset:24432
	s_wait_dscnt 0x0
	v_fmac_f64_e32 v[32:33], v[34:35], v[36:37]
	s_or_b32 exec_lo, exec_lo, s8
	s_and_saveexec_b32 s8, s1
	s_cbranch_execnz .LBB28_348
	s_branch .LBB28_349
.LBB28_1053:                            ;   in Loop: Header=BB28_3 Depth=1
	ds_load_b64 v[34:35], v51 offset:21248
	ds_load_b64 v[36:37], v50 offset:24392
	s_wait_dscnt 0x0
	v_fmac_f64_e32 v[32:33], v[34:35], v[36:37]
	s_or_b32 exec_lo, exec_lo, s8
	s_and_saveexec_b32 s8, s19
	s_cbranch_execz .LBB28_385
.LBB28_1054:                            ;   in Loop: Header=BB28_3 Depth=1
	ds_load_b64 v[34:35], v51 offset:21760
	ds_load_b64 v[36:37], v50 offset:24400
	s_wait_dscnt 0x0
	v_fmac_f64_e32 v[32:33], v[34:35], v[36:37]
	s_or_b32 exec_lo, exec_lo, s8
	s_and_saveexec_b32 s8, s20
	s_cbranch_execz .LBB28_386
.LBB28_1055:                            ;   in Loop: Header=BB28_3 Depth=1
	ds_load_b64 v[34:35], v51 offset:22272
	ds_load_b64 v[36:37], v50 offset:24408
	s_wait_dscnt 0x0
	v_fmac_f64_e32 v[32:33], v[34:35], v[36:37]
	s_or_b32 exec_lo, exec_lo, s8
	s_and_saveexec_b32 s8, s21
	s_cbranch_execz .LBB28_387
.LBB28_1056:                            ;   in Loop: Header=BB28_3 Depth=1
	ds_load_b64 v[34:35], v51 offset:22784
	ds_load_b64 v[36:37], v50 offset:24416
	s_wait_dscnt 0x0
	v_fmac_f64_e32 v[32:33], v[34:35], v[36:37]
	s_or_b32 exec_lo, exec_lo, s8
	s_and_saveexec_b32 s8, s22
	s_cbranch_execz .LBB28_388
.LBB28_1057:                            ;   in Loop: Header=BB28_3 Depth=1
	ds_load_b64 v[34:35], v51 offset:23296
	ds_load_b64 v[36:37], v50 offset:24424
	s_wait_dscnt 0x0
	v_fmac_f64_e32 v[32:33], v[34:35], v[36:37]
	s_or_b32 exec_lo, exec_lo, s8
	s_and_saveexec_b32 s8, s2
	s_cbranch_execz .LBB28_389
.LBB28_1058:                            ;   in Loop: Header=BB28_3 Depth=1
	ds_load_b64 v[34:35], v51 offset:23808
	ds_load_b64 v[36:37], v50 offset:24432
	s_wait_dscnt 0x0
	v_fmac_f64_e32 v[32:33], v[34:35], v[36:37]
	s_or_b32 exec_lo, exec_lo, s8
	s_and_saveexec_b32 s8, s17
	s_cbranch_execnz .LBB28_390
	s_branch .LBB28_391
.LBB28_1059:                            ;   in Loop: Header=BB28_3 Depth=1
	ds_load_b64 v[34:35], v47 offset:19200
	ds_load_b64 v[36:37], v46 offset:20264
	s_wait_dscnt 0x0
	v_fmac_f64_e32 v[32:33], v[34:35], v[36:37]
	s_or_b32 exec_lo, exec_lo, s8
	s_and_saveexec_b32 s8, s17
	s_cbranch_execz .LBB28_443
.LBB28_1060:                            ;   in Loop: Header=BB28_3 Depth=1
	ds_load_b64 v[34:35], v47 offset:19712
	ds_load_b64 v[36:37], v46 offset:20272
	s_wait_dscnt 0x0
	v_fmac_f64_e32 v[32:33], v[34:35], v[36:37]
	s_or_b32 exec_lo, exec_lo, s8
	s_and_saveexec_b32 s8, s1
	s_cbranch_execnz .LBB28_444
	s_branch .LBB28_445
.LBB28_1061:                            ;   in Loop: Header=BB28_3 Depth=1
	ds_load_b64 v[34:35], v60 offset:31232
	ds_load_b64 v[36:37], v59 offset:32744
	s_wait_dscnt 0x0
	v_fmac_f64_e32 v[32:33], v[34:35], v[36:37]
	s_or_b32 exec_lo, exec_lo, s7
	s_and_saveexec_b32 s7, s3
	s_cbranch_execz .LBB28_537
.LBB28_1062:                            ;   in Loop: Header=BB28_3 Depth=1
	ds_load_b64 v[34:35], v60 offset:31744
	ds_load_b64 v[36:37], v59 offset:32752
	s_wait_dscnt 0x0
	v_fmac_f64_e32 v[32:33], v[34:35], v[36:37]
	s_or_b32 exec_lo, exec_lo, s7
	s_and_saveexec_b32 s7, s21
	s_delay_alu instid0(SALU_CYCLE_1)
	s_xor_b32 s7, exec_lo, s7
	s_cbranch_execnz .LBB28_538
	s_branch .LBB28_539
.LBB28_1063:                            ;   in Loop: Header=BB28_3 Depth=1
	ds_load_b64 v[34:35], v47 offset:15040
	ds_load_b64 v[36:37], v46 offset:16104
	s_wait_dscnt 0x0
	v_fmac_f64_e32 v[32:33], v[34:35], v[36:37]
	s_or_b32 exec_lo, exec_lo, s8
	s_and_saveexec_b32 s8, s17
	s_cbranch_execz .LBB28_579
.LBB28_1064:                            ;   in Loop: Header=BB28_3 Depth=1
	ds_load_b64 v[34:35], v47 offset:15552
	ds_load_b64 v[36:37], v46 offset:16112
	s_wait_dscnt 0x0
	v_fmac_f64_e32 v[32:33], v[34:35], v[36:37]
	s_or_b32 exec_lo, exec_lo, s8
	s_and_saveexec_b32 s8, s1
	s_cbranch_execnz .LBB28_580
	s_branch .LBB28_581
.LBB28_1065:                            ;   in Loop: Header=BB28_3 Depth=1
	ds_load_b64 v[34:35], v51 offset:12928
	ds_load_b64 v[36:37], v50 offset:16072
	s_wait_dscnt 0x0
	v_fmac_f64_e32 v[32:33], v[34:35], v[36:37]
	s_or_b32 exec_lo, exec_lo, s8
	s_and_saveexec_b32 s8, s19
	s_cbranch_execz .LBB28_617
.LBB28_1066:                            ;   in Loop: Header=BB28_3 Depth=1
	ds_load_b64 v[34:35], v51 offset:13440
	ds_load_b64 v[36:37], v50 offset:16080
	s_wait_dscnt 0x0
	v_fmac_f64_e32 v[32:33], v[34:35], v[36:37]
	s_or_b32 exec_lo, exec_lo, s8
	s_and_saveexec_b32 s8, s20
	s_cbranch_execz .LBB28_618
.LBB28_1067:                            ;   in Loop: Header=BB28_3 Depth=1
	ds_load_b64 v[34:35], v51 offset:13952
	ds_load_b64 v[36:37], v50 offset:16088
	s_wait_dscnt 0x0
	v_fmac_f64_e32 v[32:33], v[34:35], v[36:37]
	s_or_b32 exec_lo, exec_lo, s8
	s_and_saveexec_b32 s8, s21
	s_cbranch_execz .LBB28_619
.LBB28_1068:                            ;   in Loop: Header=BB28_3 Depth=1
	ds_load_b64 v[34:35], v51 offset:14464
	ds_load_b64 v[36:37], v50 offset:16096
	s_wait_dscnt 0x0
	v_fmac_f64_e32 v[32:33], v[34:35], v[36:37]
	s_or_b32 exec_lo, exec_lo, s8
	s_and_saveexec_b32 s8, s22
	s_cbranch_execz .LBB28_620
.LBB28_1069:                            ;   in Loop: Header=BB28_3 Depth=1
	ds_load_b64 v[34:35], v51 offset:14976
	ds_load_b64 v[36:37], v50 offset:16104
	s_wait_dscnt 0x0
	v_fmac_f64_e32 v[32:33], v[34:35], v[36:37]
	s_or_b32 exec_lo, exec_lo, s8
	s_and_saveexec_b32 s8, s2
	s_cbranch_execz .LBB28_621
.LBB28_1070:                            ;   in Loop: Header=BB28_3 Depth=1
	ds_load_b64 v[34:35], v51 offset:15488
	ds_load_b64 v[36:37], v50 offset:16112
	s_wait_dscnt 0x0
	v_fmac_f64_e32 v[32:33], v[34:35], v[36:37]
	s_or_b32 exec_lo, exec_lo, s8
	s_and_saveexec_b32 s8, s17
	s_cbranch_execnz .LBB28_622
	s_branch .LBB28_623
.LBB28_1071:                            ;   in Loop: Header=BB28_3 Depth=1
	ds_load_b64 v[34:35], v47 offset:10880
	ds_load_b64 v[36:37], v46 offset:11944
	s_wait_dscnt 0x0
	v_fmac_f64_e32 v[32:33], v[34:35], v[36:37]
	s_or_b32 exec_lo, exec_lo, s8
	s_and_saveexec_b32 s8, s17
	s_cbranch_execz .LBB28_675
.LBB28_1072:                            ;   in Loop: Header=BB28_3 Depth=1
	ds_load_b64 v[34:35], v47 offset:11392
	ds_load_b64 v[36:37], v46 offset:11952
	s_wait_dscnt 0x0
	v_fmac_f64_e32 v[32:33], v[34:35], v[36:37]
	s_or_b32 exec_lo, exec_lo, s8
	s_and_saveexec_b32 s8, s1
	s_cbranch_execnz .LBB28_676
	s_branch .LBB28_677
.LBB28_1073:                            ;   in Loop: Header=BB28_3 Depth=1
	ds_load_b64 v[34:35], v55 offset:13824
	ds_load_b64 v[36:37], v54 offset:16088
	s_wait_dscnt 0x0
	v_fmac_f64_e32 v[32:33], v[34:35], v[36:37]
	s_or_b32 exec_lo, exec_lo, s8
	s_and_saveexec_b32 s8, s3
	s_cbranch_execz .LBB28_733
.LBB28_1074:                            ;   in Loop: Header=BB28_3 Depth=1
	ds_load_b64 v[34:35], v55 offset:14336
	ds_load_b64 v[36:37], v54 offset:16096
	s_wait_dscnt 0x0
	v_fmac_f64_e32 v[32:33], v[34:35], v[36:37]
	s_or_b32 exec_lo, exec_lo, s8
	s_and_saveexec_b32 s8, s19
	s_cbranch_execz .LBB28_734
.LBB28_1075:                            ;   in Loop: Header=BB28_3 Depth=1
	ds_load_b64 v[34:35], v55 offset:14848
	ds_load_b64 v[36:37], v54 offset:16104
	s_wait_dscnt 0x0
	v_fmac_f64_e32 v[32:33], v[34:35], v[36:37]
	s_or_b32 exec_lo, exec_lo, s8
	s_and_saveexec_b32 s8, s21
	s_cbranch_execz .LBB28_735
.LBB28_1076:                            ;   in Loop: Header=BB28_3 Depth=1
	ds_load_b64 v[34:35], v55 offset:15360
	ds_load_b64 v[36:37], v54 offset:16112
	s_wait_dscnt 0x0
	v_fmac_f64_e32 v[32:33], v[34:35], v[36:37]
	s_or_b32 exec_lo, exec_lo, s8
	s_and_saveexec_b32 s8, s2
	s_cbranch_execnz .LBB28_736
	s_branch .LBB28_737
.LBB28_1077:                            ;   in Loop: Header=BB28_3 Depth=1
	ds_load_b64 v[34:35], v47 offset:6720
	ds_load_b64 v[36:37], v46 offset:7784
	s_wait_dscnt 0x0
	v_fmac_f64_e32 v[32:33], v[34:35], v[36:37]
	s_or_b32 exec_lo, exec_lo, s8
	s_and_saveexec_b32 s8, s17
	s_cbranch_execz .LBB28_821
.LBB28_1078:                            ;   in Loop: Header=BB28_3 Depth=1
	ds_load_b64 v[34:35], v47 offset:7232
	ds_load_b64 v[36:37], v46 offset:7792
	s_wait_dscnt 0x0
	v_fmac_f64_e32 v[32:33], v[34:35], v[36:37]
	s_or_b32 exec_lo, exec_lo, s8
	s_and_saveexec_b32 s8, s1
	s_cbranch_execnz .LBB28_822
	s_branch .LBB28_823
.LBB28_1079:                            ;   in Loop: Header=BB28_3 Depth=1
	ds_load_b64 v[34:35], v51 offset:4608
	ds_load_b64 v[36:37], v50 offset:7752
	s_wait_dscnt 0x0
	v_fmac_f64_e32 v[32:33], v[34:35], v[36:37]
	s_or_b32 exec_lo, exec_lo, s8
	s_and_saveexec_b32 s8, s19
	s_cbranch_execz .LBB28_859
.LBB28_1080:                            ;   in Loop: Header=BB28_3 Depth=1
	ds_load_b64 v[34:35], v51 offset:5120
	ds_load_b64 v[36:37], v50 offset:7760
	s_wait_dscnt 0x0
	v_fmac_f64_e32 v[32:33], v[34:35], v[36:37]
	s_or_b32 exec_lo, exec_lo, s8
	s_and_saveexec_b32 s8, s20
	s_cbranch_execz .LBB28_860
.LBB28_1081:                            ;   in Loop: Header=BB28_3 Depth=1
	ds_load_b64 v[34:35], v51 offset:5632
	ds_load_b64 v[36:37], v50 offset:7768
	s_wait_dscnt 0x0
	v_fmac_f64_e32 v[32:33], v[34:35], v[36:37]
	s_or_b32 exec_lo, exec_lo, s8
	s_and_saveexec_b32 s8, s21
	s_cbranch_execz .LBB28_861
.LBB28_1082:                            ;   in Loop: Header=BB28_3 Depth=1
	ds_load_b64 v[34:35], v51 offset:6144
	ds_load_b64 v[36:37], v50 offset:7776
	s_wait_dscnt 0x0
	v_fmac_f64_e32 v[32:33], v[34:35], v[36:37]
	s_or_b32 exec_lo, exec_lo, s8
	s_and_saveexec_b32 s8, s22
	s_cbranch_execz .LBB28_862
.LBB28_1083:                            ;   in Loop: Header=BB28_3 Depth=1
	ds_load_b64 v[34:35], v51 offset:6656
	ds_load_b64 v[36:37], v50 offset:7784
	s_wait_dscnt 0x0
	v_fmac_f64_e32 v[32:33], v[34:35], v[36:37]
	s_or_b32 exec_lo, exec_lo, s8
	s_and_saveexec_b32 s8, s2
	s_cbranch_execz .LBB28_863
.LBB28_1084:                            ;   in Loop: Header=BB28_3 Depth=1
	ds_load_b64 v[34:35], v51 offset:7168
	ds_load_b64 v[36:37], v50 offset:7792
	s_wait_dscnt 0x0
	v_fmac_f64_e32 v[32:33], v[34:35], v[36:37]
	s_or_b32 exec_lo, exec_lo, s8
	s_and_saveexec_b32 s8, s17
	s_cbranch_execnz .LBB28_864
	s_branch .LBB28_865
.LBB28_1085:                            ;   in Loop: Header=BB28_3 Depth=1
	ds_load_b64 v[34:35], v47 offset:2560
	ds_load_b64 v[36:37], v46 offset:3624
	s_wait_dscnt 0x0
	v_fmac_f64_e32 v[32:33], v[34:35], v[36:37]
	s_or_b32 exec_lo, exec_lo, s8
	s_and_saveexec_b32 s8, s17
	s_cbranch_execz .LBB28_917
.LBB28_1086:                            ;   in Loop: Header=BB28_3 Depth=1
	ds_load_b64 v[34:35], v47 offset:3072
	ds_load_b64 v[36:37], v46 offset:3632
	s_wait_dscnt 0x0
	v_fmac_f64_e32 v[32:33], v[34:35], v[36:37]
	s_or_b32 exec_lo, exec_lo, s8
	s_and_saveexec_b32 s8, s1
	s_cbranch_execnz .LBB28_918
	s_branch .LBB28_919
.LBB28_1087:
	s_endpgm
	.section	.rodata,"a",@progbits
	.p2align	6, 0x0
	.amdhsa_kernel _ZL19rocblas_trsv_deviceILi64ELi16ELb0ELb0ELb0ELb0EdPKdS1_PdEviT7_lllT6_T8_lllPii
		.amdhsa_group_segment_fixed_size 41480
		.amdhsa_private_segment_fixed_size 0
		.amdhsa_kernarg_size 352
		.amdhsa_user_sgpr_count 2
		.amdhsa_user_sgpr_dispatch_ptr 0
		.amdhsa_user_sgpr_queue_ptr 0
		.amdhsa_user_sgpr_kernarg_segment_ptr 1
		.amdhsa_user_sgpr_dispatch_id 0
		.amdhsa_user_sgpr_kernarg_preload_length 0
		.amdhsa_user_sgpr_kernarg_preload_offset 0
		.amdhsa_user_sgpr_private_segment_size 0
		.amdhsa_wavefront_size32 1
		.amdhsa_uses_dynamic_stack 0
		.amdhsa_enable_private_segment 0
		.amdhsa_system_sgpr_workgroup_id_x 1
		.amdhsa_system_sgpr_workgroup_id_y 0
		.amdhsa_system_sgpr_workgroup_id_z 1
		.amdhsa_system_sgpr_workgroup_info 0
		.amdhsa_system_vgpr_workitem_id 1
		.amdhsa_next_free_vgpr 85
		.amdhsa_next_free_sgpr 105
		.amdhsa_named_barrier_count 0
		.amdhsa_reserve_vcc 1
		.amdhsa_float_round_mode_32 0
		.amdhsa_float_round_mode_16_64 0
		.amdhsa_float_denorm_mode_32 3
		.amdhsa_float_denorm_mode_16_64 3
		.amdhsa_fp16_overflow 0
		.amdhsa_memory_ordered 1
		.amdhsa_forward_progress 1
		.amdhsa_inst_pref_size 255
		.amdhsa_round_robin_scheduling 0
		.amdhsa_exception_fp_ieee_invalid_op 0
		.amdhsa_exception_fp_denorm_src 0
		.amdhsa_exception_fp_ieee_div_zero 0
		.amdhsa_exception_fp_ieee_overflow 0
		.amdhsa_exception_fp_ieee_underflow 0
		.amdhsa_exception_fp_ieee_inexact 0
		.amdhsa_exception_int_div_zero 0
	.end_amdhsa_kernel
	.section	.text._ZL19rocblas_trsv_deviceILi64ELi16ELb0ELb0ELb0ELb0EdPKdS1_PdEviT7_lllT6_T8_lllPii,"axG",@progbits,_ZL19rocblas_trsv_deviceILi64ELi16ELb0ELb0ELb0ELb0EdPKdS1_PdEviT7_lllT6_T8_lllPii,comdat
.Lfunc_end28:
	.size	_ZL19rocblas_trsv_deviceILi64ELi16ELb0ELb0ELb0ELb0EdPKdS1_PdEviT7_lllT6_T8_lllPii, .Lfunc_end28-_ZL19rocblas_trsv_deviceILi64ELi16ELb0ELb0ELb0ELb0EdPKdS1_PdEviT7_lllT6_T8_lllPii
                                        ; -- End function
	.set _ZL19rocblas_trsv_deviceILi64ELi16ELb0ELb0ELb0ELb0EdPKdS1_PdEviT7_lllT6_T8_lllPii.num_vgpr, 85
	.set _ZL19rocblas_trsv_deviceILi64ELi16ELb0ELb0ELb0ELb0EdPKdS1_PdEviT7_lllT6_T8_lllPii.num_agpr, 0
	.set _ZL19rocblas_trsv_deviceILi64ELi16ELb0ELb0ELb0ELb0EdPKdS1_PdEviT7_lllT6_T8_lllPii.numbered_sgpr, 105
	.set _ZL19rocblas_trsv_deviceILi64ELi16ELb0ELb0ELb0ELb0EdPKdS1_PdEviT7_lllT6_T8_lllPii.num_named_barrier, 0
	.set _ZL19rocblas_trsv_deviceILi64ELi16ELb0ELb0ELb0ELb0EdPKdS1_PdEviT7_lllT6_T8_lllPii.private_seg_size, 0
	.set _ZL19rocblas_trsv_deviceILi64ELi16ELb0ELb0ELb0ELb0EdPKdS1_PdEviT7_lllT6_T8_lllPii.uses_vcc, 1
	.set _ZL19rocblas_trsv_deviceILi64ELi16ELb0ELb0ELb0ELb0EdPKdS1_PdEviT7_lllT6_T8_lllPii.uses_flat_scratch, 0
	.set _ZL19rocblas_trsv_deviceILi64ELi16ELb0ELb0ELb0ELb0EdPKdS1_PdEviT7_lllT6_T8_lllPii.has_dyn_sized_stack, 0
	.set _ZL19rocblas_trsv_deviceILi64ELi16ELb0ELb0ELb0ELb0EdPKdS1_PdEviT7_lllT6_T8_lllPii.has_recursion, 0
	.set _ZL19rocblas_trsv_deviceILi64ELi16ELb0ELb0ELb0ELb0EdPKdS1_PdEviT7_lllT6_T8_lllPii.has_indirect_call, 0
	.section	.AMDGPU.csdata,"",@progbits
; Kernel info:
; codeLenInByte = 34004
; TotalNumSgprs: 107
; NumVgprs: 85
; ScratchSize: 0
; MemoryBound: 0
; FloatMode: 240
; IeeeMode: 1
; LDSByteSize: 41480 bytes/workgroup (compile time only)
; SGPRBlocks: 0
; VGPRBlocks: 5
; NumSGPRsForWavesPerEU: 107
; NumVGPRsForWavesPerEU: 85
; NamedBarCnt: 0
; Occupancy: 10
; WaveLimiterHint : 0
; COMPUTE_PGM_RSRC2:SCRATCH_EN: 0
; COMPUTE_PGM_RSRC2:USER_SGPR: 2
; COMPUTE_PGM_RSRC2:TRAP_HANDLER: 0
; COMPUTE_PGM_RSRC2:TGID_X_EN: 1
; COMPUTE_PGM_RSRC2:TGID_Y_EN: 0
; COMPUTE_PGM_RSRC2:TGID_Z_EN: 1
; COMPUTE_PGM_RSRC2:TIDIG_COMP_CNT: 1
	.section	.text._ZL19rocblas_trsv_deviceILi64ELi16ELb0ELb1ELb0ELb0EdPKdS1_PdEviT7_lllT6_T8_lllPii,"axG",@progbits,_ZL19rocblas_trsv_deviceILi64ELi16ELb0ELb1ELb0ELb0EdPKdS1_PdEviT7_lllT6_T8_lllPii,comdat
	.globl	_ZL19rocblas_trsv_deviceILi64ELi16ELb0ELb1ELb0ELb0EdPKdS1_PdEviT7_lllT6_T8_lllPii ; -- Begin function _ZL19rocblas_trsv_deviceILi64ELi16ELb0ELb1ELb0ELb0EdPKdS1_PdEviT7_lllT6_T8_lllPii
	.p2align	8
	.type	_ZL19rocblas_trsv_deviceILi64ELi16ELb0ELb1ELb0ELb0EdPKdS1_PdEviT7_lllT6_T8_lllPii,@function
_ZL19rocblas_trsv_deviceILi64ELi16ELb0ELb1ELb0ELb0EdPKdS1_PdEviT7_lllT6_T8_lllPii: ; @_ZL19rocblas_trsv_deviceILi64ELi16ELb0ELb1ELb0ELb0EdPKdS1_PdEviT7_lllT6_T8_lllPii
; %bb.0:
	s_load_b32 s6, s[0:1], 0x58
	s_bfe_u32 s2, ttmp6, 0x40014
	s_lshr_b32 s3, ttmp7, 16
	s_add_co_i32 s2, s2, 1
	s_bfe_u32 s5, ttmp6, 0x40008
	s_mul_i32 s4, s3, s2
	s_getreg_b32 s2, hwreg(HW_REG_IB_STS2, 6, 4)
	s_add_co_i32 s5, s5, s4
	s_cmp_eq_u32 s2, 0
	s_mov_b32 s81, 0
	s_cselect_b32 s80, s3, s5
                                        ; implicit-def: $vgpr101 : SGPR spill to VGPR lane
	s_wait_kmcnt 0x0
	s_cmp_ge_u32 s80, s6
	v_writelane_b32 v101, s6, 0
	s_cbranch_scc1 .LBB29_1149
; %bb.1:
	s_clause 0x2
	s_load_b512 s[60:75], s[0:1], 0x8
	s_load_b32 s3, s[0:1], 0x6c
	s_load_b32 s87, s[0:1], 0x0
	s_bfe_u32 s5, ttmp6, 0x4000c
	s_and_b32 s4, ttmp6, 15
	s_add_co_i32 s5, s5, 1
	s_load_b128 s[76:79], s[0:1], 0x48
	s_wait_xcnt 0x0
	s_mul_i32 s0, ttmp9, s5
	v_and_b32_e32 v4, 0x3ff, v0
	s_add_co_i32 s6, s4, s0
	v_bfe_u32 v42, v0, 10, 10
	v_mov_b32_e32 v3, 0
                                        ; implicit-def: $vgpr100 : SGPR spill to VGPR lane
                                        ; implicit-def: $vgpr32_vgpr33
	s_delay_alu instid0(VALU_DEP_3) | instskip(SKIP_1) | instid1(VALU_DEP_4)
	v_lshlrev_b32_e32 v1, 6, v4
	v_mul_i32_i24_e32 v17, 0xfffffe08, v4
	v_lshl_add_u32 v34, v42, 6, v4
	s_delay_alu instid0(VALU_DEP_4)
	v_dual_mov_b32 v7, v3 :: v_dual_mov_b32 v5, v3
	v_dual_add_nc_u32 v26, 32, v42 :: v_dual_add_nc_u32 v27, 48, v42
	s_wait_kmcnt 0x0
	s_lshl_b64 s[0:1], s[62:63], 3
	s_lshl_b64 s[4:5], s[72:73], 3
	s_cmp_eq_u32 s2, 0
	s_add_nc_u64 s[0:1], s[60:61], s[0:1]
	s_cselect_b32 s88, ttmp9, s6
	s_add_co_i32 s2, s87, -1
	s_and_b32 s6, s3, 0xffff
	s_ashr_i32 s3, s87, 31
	s_ashr_i32 s7, s2, 31
	s_lshr_b32 s3, s3, 26
	s_lshr_b32 s7, s7, 26
	s_add_co_i32 s3, s87, s3
	s_add_co_i32 s2, s2, s7
	s_and_not1_b32 s3, s3, 63
	s_ashr_i32 s2, s2, 6
	s_sub_co_i32 s15, s87, s3
	v_writelane_b32 v101, s0, 1
	s_cmp_eq_u32 s2, s88
	s_add_nc_u64 s[2:3], s[64:65], 1
	s_cselect_b32 s7, -1, 0
	s_cmp_lg_u32 s15, 0
	v_writelane_b32 v101, s1, 2
	s_cselect_b32 s0, -1, 0
	s_lshl_b32 s10, s88, 6
	s_delay_alu instid0(SALU_CYCLE_1)
	v_dual_add_nc_u32 v22, 16, v42 :: v_dual_add_nc_u32 v16, s10, v42
	v_dual_add_nc_u32 v12, s10, v4 :: v_dual_add_nc_u32 v2, v42, v1
	v_sub_co_u32 v43, s1, s88, 1
	s_and_b32 s16, s0, s7
	v_subrev_nc_u32_e32 v8, 64, v16
	s_xor_b32 s0, s1, -1
	s_xor_b32 s90, s16, -1
	s_cmp_lt_i32 s88, 5
	v_ashrrev_i32_e32 v13, 31, v12
	v_mad_nc_u64_u32 v[20:21], s2, s10, v[4:5]
	v_add_nc_u32_e32 v5, v22, v1
	v_lshl_add_u32 v14, v22, 6, v4
	s_cselect_b32 vcc_lo, -1, 0
	s_delay_alu instid0(SALU_CYCLE_1)
	v_dual_ashrrev_i32 v9, 31, v8 :: v_dual_cndmask_b32 v23, v34, v2, vcc_lo
	s_or_b32 vcc_lo, vcc_lo, s16
	s_delay_alu instid0(VALU_DEP_2) | instid1(SALU_CYCLE_1)
	v_dual_lshrrev_b32 v2, 1, v34 :: v_dual_cndmask_b32 v24, v14, v5, vcc_lo
	s_add_nc_u64 s[4:5], s[70:71], s[4:5]
	v_lshrrev_b32_e32 v5, 10, v0
	v_writelane_b32 v101, s4, 3
	s_delay_alu instid0(VALU_DEP_3) | instskip(SKIP_3) | instid1(VALU_DEP_2)
	v_dual_lshlrev_b32 v14, 9, v2 :: v_dual_bitop2_b32 v15, 1, v0 bitop3:0x40
	s_ashr_i32 s11, s10, 31
	s_mul_i32 s1, s3, s10
	v_writelane_b32 v101, s5, 4
	v_dual_sub_nc_u32 v44, 0, v14 :: v_dual_lshlrev_b32 v45, 3, v15
	v_lshlrev_b32_e32 v46, 3, v4
	v_bitop3_b32 v35, v0, v5, 0x3ff bitop3:0xa8
	v_writelane_b32 v101, s0, 5
	s_mul_i32 s0, s2, s11
	v_lshl_add_u32 v5, v2, 3, 0x8000
	v_add3_u32 v21, s0, s1, v21
	v_cmp_gt_u32_e64 s0, 4, v34
	v_cmp_eq_u32_e64 s2, 1, v15
	v_cmp_eq_u32_e64 s3, 0, v15
	v_lshrrev_b32_e32 v2, 2, v34
	v_dual_sub_nc_u32 v47, v45, v14 :: v_dual_bitop2_b32 v14, 3, v0 bitop3:0x40
	v_cmp_eq_u32_e64 s1, 0, v42
	v_cmp_gt_u32_e64 s4, 2, v4
	s_and_b32 s92, s2, s0
	s_and_b32 s93, s3, s0
	v_lshlrev_b32_e32 v15, 9, v2
	v_lshl_add_u32 v49, v2, 3, 0x8000
	v_cmp_gt_u32_e64 s2, 16, v34
	v_cmp_eq_u32_e64 s3, 3, v14
	v_lshlrev_b32_e32 v2, 6, v34
	s_and_b32 s94, s1, s4
	v_lshlrev_b32_e32 v51, 3, v14
	v_cmp_ne_u32_e64 s4, 3, v14
	s_and_b32 s95, s3, s2
	v_cmp_eq_u32_e64 s3, 2, v14
	v_cmp_gt_u32_e64 s5, 2, v14
	v_cmp_eq_u32_e64 s7, 1, v14
	v_cmp_eq_u32_e64 s8, 0, v14
	v_and_b32_e32 v14, -8, v34
	v_and_b32_e32 v2, 0xfffffe00, v2
	s_and_b32 s97, s3, s2
	v_cmp_gt_u32_e64 s3, 4, v4
	s_and_b32 s96, s4, s2
	s_and_b32 s98, s5, s2
	v_dual_sub_nc_u32 v54, 0, v2 :: v_dual_sub_nc_u32 v50, 0, v15
	v_dual_sub_nc_u32 v52, v51, v15 :: v_dual_bitop2_b32 v15, 7, v0 bitop3:0x40
	s_and_b32 s101, s1, s3
	v_cmp_gt_u32_e64 s3, 64, v34
	s_and_b32 s99, s7, s2
	v_lshl_add_u32 v28, v27, 6, v4
	v_cmp_eq_u32_e64 s4, 7, v15
	v_cmp_ne_u32_e64 s5, 7, v15
	v_cmp_eq_u32_e64 s7, 6, v15
	v_lshlrev_b32_e32 v55, 3, v15
	v_add_nc_u32_e32 v53, 0x8000, v14
	s_and_b32 s102, s4, s3
	v_cmp_gt_u32_e64 s4, 6, v15
	s_and_b32 s103, s5, s3
	v_cmp_eq_u32_e64 s5, 5, v15
	s_and_b32 s104, s7, s3
	v_cmp_gt_u32_e64 s7, 5, v15
	s_and_b32 vcc_hi, s4, s3
	v_cmp_eq_u32_e64 s4, 4, v15
	s_and_b32 s36, s5, s3
	v_cmp_gt_u32_e64 s5, 4, v15
	s_and_b32 s37, s7, s3
	v_cmp_eq_u32_e64 s7, 3, v15
	s_and_b32 s38, s4, s3
	v_cmp_gt_u32_e64 s4, 3, v15
	s_and_b32 s39, s5, s3
	v_cmp_eq_u32_e64 s5, 2, v15
	v_lshrrev_b32_e32 v14, 4, v34
	v_sub_nc_u32_e32 v56, v55, v2
	s_and_b32 s41, s4, s3
	v_cmp_eq_u32_e64 s4, 1, v15
	s_and_b32 s42, s5, s3
	v_cmp_eq_u32_e64 s5, 0, v15
	v_and_b32_e32 v2, 15, v0
	s_and_b32 s40, s7, s3
	s_and_b32 s44, s4, s3
	v_cmp_gt_u32_e64 s4, 8, v4
	v_cmp_gt_u32_e64 s7, 2, v15
	s_and_b32 s45, s5, s3
	v_cmp_eq_u32_e64 s5, 15, v2
	s_and_b32 s100, s8, s2
	s_and_b32 s46, s1, s4
	v_cmp_gt_u32_e64 s4, 0x100, v34
	s_and_b32 s43, s7, s3
	v_cmp_ne_u32_e64 s7, 15, v2
	v_cmp_eq_u32_e64 s8, 14, v2
	v_cmp_gt_u32_e64 s9, 14, v2
	s_and_b32 s5, s5, s4
	v_mad_u32_u24 v6, v42, s6, v4
	v_writelane_b32 v101, s5, 6
	v_cmp_eq_u32_e64 s5, 13, v2
	s_and_b32 s48, s7, s4
	v_cmp_gt_u32_e64 s7, 13, v2
	s_and_b32 s49, s8, s4
	s_and_b32 s50, s9, s4
	;; [unrolled: 1-line block ×3, first 2 shown]
	v_cmp_gt_u32_e64 s5, 12, v2
	s_and_b32 s52, s7, s4
	v_cmp_gt_u32_e64 s7, 11, v2
	v_cmp_eq_u32_e64 s8, 12, v2
	v_cmp_eq_u32_e64 s9, 11, v2
	s_and_b32 s54, s5, s4
	v_cmp_eq_u32_e64 s5, 10, v2
	s_and_b32 s56, s7, s4
	;; [unrolled: 2-line block ×3, first 2 shown]
	s_and_b32 s55, s9, s4
	s_and_b32 s57, s5, s4
	v_cmp_eq_u32_e64 s5, 8, v2
	s_and_b32 s61, s7, s4
	v_cmp_gt_u32_e64 s7, 8, v2
	v_cmp_gt_u32_e64 s8, 10, v2
	;; [unrolled: 1-line block ×3, first 2 shown]
	s_and_b32 s63, s5, s4
	v_cmp_gt_u32_e64 s5, 7, v2
	s_and_b32 s12, s7, s4
	v_cmp_gt_u32_e64 s7, 6, v2
	s_and_b32 s58, s8, s4
	s_and_b32 s62, s9, s4
	;; [unrolled: 1-line block ×3, first 2 shown]
	v_cmp_eq_u32_e64 s5, 5, v2
	v_cmp_eq_u32_e64 s8, 7, v2
	;; [unrolled: 1-line block ×3, first 2 shown]
	s_and_b32 s27, s7, s4
	v_cmp_eq_u32_e64 s7, 4, v2
	s_and_b32 s29, s5, s4
	v_cmp_eq_u32_e64 s5, 3, v2
	v_lshlrev_b32_e32 v19, 9, v14
	s_and_b32 s13, s8, s4
	s_and_b32 s25, s9, s4
	v_cmp_gt_u32_e64 s8, 5, v2
	v_cmp_gt_u32_e64 s9, 4, v2
	s_and_b32 s34, s7, s4
	v_cmp_gt_u32_e64 s7, 3, v2
	v_lshrrev_b32_e32 v25, 5, v34
	v_lshlrev_b32_e32 v59, 3, v2
	s_and_b32 s26, s5, s4
	v_cmp_gt_u32_e64 s5, 2, v2
	v_lshl_add_u32 v57, v14, 3, 0x8000
	s_and_b32 s31, s8, s4
	s_and_b32 s24, s9, s4
	v_cmp_eq_u32_e64 s8, 2, v2
	v_cmp_eq_u32_e64 s9, 1, v2
	s_and_b32 s28, s7, s4
	v_cmp_eq_u32_e64 s7, 0, v2
	v_add_nc_u64_e32 v[14:15], s[10:11], v[6:7]
	v_dual_sub_nc_u32 v58, 0, v19 :: v_dual_bitop2_b32 v7, 31, v0 bitop3:0x40
	v_dual_lshlrev_b32 v0, 9, v25 :: v_dual_add_nc_u32 v2, s10, v6
	v_dual_sub_nc_u32 v60, v59, v19 :: v_dual_add_nc_u32 v19, v26, v1
	v_lshl_add_u32 v61, v25, 3, 0x8000
	v_lshl_add_u32 v25, v26, 6, v4
	v_dual_add_nc_u32 v1, v27, v1 :: v_dual_lshlrev_b32 v29, 9, v7
	s_and_b32 s33, s5, s4
	v_cmp_gt_u32_e64 s5, 16, v4
	v_cmp_le_i32_e64 s14, s15, v4
	s_xor_b32 s91, vcc_lo, -1
	v_dual_cndmask_b32 v25, v25, v19 :: v_dual_sub_nc_u32 v66, 0, v29
	v_cndmask_b32_e32 v28, v28, v1, vcc_lo
	v_cmp_gt_u32_e32 vcc_lo, 32, v4
	s_and_b32 s10, s1, s5
	s_movk_i32 s5, 0x3800
	s_and_b32 s11, s14, s16
	v_cmp_gt_i32_e64 s6, s15, v4
	s_and_b32 s73, s7, s4
	v_mad_u32_u24 v64, 0x208, v7, s5
	s_xor_b32 s5, s11, -1
	s_and_b32 s7, s1, vcc_lo
	s_and_b32 s30, s8, s4
	s_and_b32 s72, s9, s4
	v_writelane_b32 v101, s7, 7
	s_and_b32 s70, s1, s5
	s_cmp_gt_i32 s88, 0
	v_subrev_nc_u32_e32 v19, 48, v16
	s_cselect_b32 s71, -1, 0
	v_cmp_gt_i32_e64 s5, s87, v12
	v_cmp_gt_i32_e32 vcc_lo, s87, v8
	s_and_b32 s6, s1, s6
	v_mul_lo_u32 v29, v17, 6
	v_writelane_b32 v101, s6, 8
	v_subrev_nc_u32_e32 v17, 32, v16
	s_and_b32 s6, vcc_lo, s5
	v_cmp_gt_i32_e32 vcc_lo, s87, v19
	v_dual_add_nc_u32 v30, -16, v16 :: v_dual_lshlrev_b32 v80, 3, v25
	v_writelane_b32 v101, s6, 9
	v_cmp_gt_i32_e64 s6, s87, v17
	s_and_b32 s7, vcc_lo, s5
	v_cmp_gt_i32_e32 vcc_lo, s87, v30
	v_cmp_ne_u32_e64 s16, v4, v22
	v_writelane_b32 v101, s7, 10
	s_and_b32 s6, s6, s5
	v_cmp_ne_u32_e64 s17, v4, v26
	v_cmp_ne_u32_e64 s18, v4, v27
	v_cmp_gt_u32_e64 s35, 0xf0, v34
	v_writelane_b32 v101, s6, 11
	s_and_b32 s6, vcc_lo, s5
	v_cmp_le_i32_e32 vcc_lo, s15, v42
	v_cmp_gt_u32_e64 s47, 0x3e0, v34
	v_mad_u32_u24 v48, 0x1f8, v4, v46
	v_writelane_b32 v101, s6, 12
	v_cmp_ge_u32_e64 s6, v4, v42
	s_or_b32 s7, vcc_lo, s14
	v_cmp_le_i32_e32 vcc_lo, s15, v22
	v_mad_i32_i24 v65, 0xfffffe08, v4, v48
	v_mad_nc_u64_u32 v[16:17], s64, v22, v[20:21]
	s_or_b32 s7, s7, s6
	v_dual_lshlrev_b32 v62, 3, v7 :: v_dual_sub_nc_u32 v63, 0, v0
	v_writelane_b32 v101, s7, 13
	v_cmp_ge_u32_e64 s7, v4, v22
	s_or_b32 s8, vcc_lo, s14
	v_cmp_le_i32_e32 vcc_lo, s15, v26
	v_mad_u32_u24 v68, 0x1f8, v4, v65
	v_dual_sub_nc_u32 v67, v62, v0 :: v_dual_lshlrev_b32 v76, 3, v23
	s_or_b32 s8, s8, s7
	s_or_b32 s9, vcc_lo, s14
	v_writelane_b32 v101, s8, 14
	v_cmp_ge_u32_e64 s8, v4, v26
	v_cmp_le_i32_e32 vcc_lo, s15, v27
	v_mad_i32_i24 v69, 0xfffffe08, v4, v68
	v_dual_lshlrev_b32 v81, 3, v28 :: v_dual_lshlrev_b32 v23, 3, v42
	s_or_b32 s9, s9, s8
	s_or_b32 s15, vcc_lo, s14
	v_writelane_b32 v101, s9, 15
	v_cmp_ge_u32_e64 s9, v4, v27
	v_mad_u32_u24 v70, 0x1f8, v4, v69
	v_mul_u64_e32 v[10:11], s[64:65], v[12:13]
	v_mul_u64_e32 v[0:1], s[74:75], v[12:13]
	;; [unrolled: 1-line block ×3, first 2 shown]
	s_or_b32 s15, s15, s9
	v_mad_i32_i24 v71, 0xfffffe08, v4, v70
	v_writelane_b32 v101, s15, 16
	v_cmp_ne_u32_e64 s15, v4, v42
	v_mad_u32 v17, s65, v22, v17
	v_or_b32_e32 v84, 0xa000, v23
	v_mad_u32_u24 v72, 0x1f8, v4, v71
	v_or_b32_e32 v36, v22, v4
	v_writelane_b32 v101, s15, 17
	s_or_b32 s15, s14, s15
	v_mul_u32_u24_e32 v18, 0x1f8, v4
	v_mad_i32_i24 v73, 0xfffffe08, v4, v72
	v_mad_nc_u64_u32 v[14:15], s64, v42, v[20:21]
	v_writelane_b32 v101, s15, 18
	s_or_b32 s15, s14, s16
	v_mad_u32 v29, v18, 7, v29
	v_mad_u32_u24 v74, 0x1f8, v4, v73
	v_mad_nc_u64_u32 v[18:19], s64, v26, v[20:21]
	v_writelane_b32 v101, s16, 19
	v_mad_nc_u64_u32 v[20:21], s64, v27, v[20:21]
	v_dual_add_nc_u32 v91, v84, v46 :: v_dual_bitop2_b32 v37, v26, v4 bitop3:0x54
	v_mad_i32_i24 v75, 0xfffffe08, v4, v74
	v_writelane_b32 v101, s15, 20
	s_or_b32 s15, s14, s17
	s_or_b32 s14, s14, s18
	v_mad_u32 v15, s65, v42, v15
	v_mad_u32_u24 v79, 0x1f8, v4, v75
	v_writelane_b32 v101, s17, 21
	v_mad_u32 v19, s65, v26, v19
	v_mad_u32 v21, s65, v27, v21
	v_mul_u32_u24_e32 v30, 0x1f0, v4
	v_mad_i32_i24 v82, 0xfffffe08, v4, v79
	v_writelane_b32 v101, s15, 22
	v_or_b32_e32 v38, v27, v4
	s_delay_alu instid0(VALU_DEP_4) | instskip(NEXT) | instid1(VALU_DEP_4)
	v_dual_lshlrev_b32 v77, 3, v24 :: v_dual_sub_nc_u32 v78, v29, v30
	v_mad_u32_u24 v83, 0x1f8, v4, v82
	v_writelane_b32 v101, s18, 23
	v_cmp_lt_u32_e32 vcc_lo, 0x3ff, v34
	v_mov_b64_e32 v[24:25], 0
	v_mul_u32_u24_e32 v86, 0x208, v7
	v_add_nc_u32_e32 v85, v83, v23
	v_writelane_b32 v101, s14, 24
	v_mul_u64_e32 v[22:23], s[74:75], v[2:3]
	v_lshl_add_u32 v87, v6, 3, 0xa000
	v_lshl_add_u32 v88, v34, 3, 0x8000
	v_add_nc_u32_e32 v89, 0x8000, v46
	v_writelane_b32 v101, s35, 25
	v_cmp_gt_u32_e64 s35, 0xe0, v34
	v_lshl_add_u32 v90, v42, 9, v75
	v_cmp_eq_u32_e64 s14, 0, v35
	v_cmp_gt_u32_e64 s15, 2, v34
	v_cmp_gt_u32_e64 s16, 12, v34
	v_writelane_b32 v101, s35, 26
	v_cmp_gt_u32_e64 s35, 0xd0, v34
	v_cmp_gt_u32_e64 s17, 8, v34
	;; [unrolled: 1-line block ×5, first 2 shown]
	v_writelane_b32 v101, s35, 27
	v_cmp_gt_u32_e64 s35, 0xc0, v34
	v_cmp_gt_u32_e64 s21, 32, v34
	;; [unrolled: 1-line block ×3, first 2 shown]
	v_cmp_eq_u32_e64 s59, 0, v6
	v_cmp_gt_u32_e64 s60, 64, v6
	v_writelane_b32 v101, s35, 28
	v_cmp_gt_u32_e64 s35, 0xb0, v34
	s_xor_b32 s64, vcc_lo, -1
                                        ; implicit-def: $vgpr26_vgpr27
                                        ; implicit-def: $vgpr28_vgpr29
                                        ; implicit-def: $vgpr30_vgpr31
	v_writelane_b32 v101, s35, 29
	v_cmp_gt_u32_e64 s35, 0xa0, v34
	s_delay_alu instid0(VALU_DEP_1) | instskip(SKIP_1) | instid1(VALU_DEP_1)
	v_writelane_b32 v101, s35, 30
	v_cmp_gt_u32_e64 s35, 0x90, v34
	v_writelane_b32 v101, s35, 31
	v_cmp_gt_u32_e64 s35, 0x80, v34
	s_delay_alu instid0(VALU_DEP_1) | instskip(SKIP_1) | instid1(VALU_DEP_1)
	v_writelane_b32 v100, s35, 0
	v_cmp_gt_u32_e64 s35, 0x70, v34
	;; [unrolled: 5-line block ×3, first 2 shown]
	v_writelane_b32 v100, s35, 3
	v_cmp_gt_u32_e64 s35, 0x400, v34
	v_writelane_b32 v100, s47, 4
	v_cmp_gt_u32_e64 s47, 0x3c0, v34
	s_delay_alu instid0(VALU_DEP_1) | instskip(SKIP_1) | instid1(VALU_DEP_1)
	v_writelane_b32 v100, s47, 5
	v_cmp_gt_u32_e64 s47, 0x3a0, v34
	v_writelane_b32 v100, s47, 6
	v_cmp_gt_u32_e64 s47, 0x380, v34
	s_delay_alu instid0(VALU_DEP_1) | instskip(SKIP_1) | instid1(VALU_DEP_1)
	;; [unrolled: 5-line block ×13, first 2 shown]
	v_writelane_b32 v100, s47, 29
	v_cmp_gt_u32_e64 s47, 64, v38
	v_writelane_b32 v100, s47, 30
	s_branch .LBB29_3
.LBB29_2:                               ;   in Loop: Header=BB29_3 Depth=1
	s_wait_xcnt 0x0
	s_or_b32 exec_lo, exec_lo, s47
	v_readlane_b32 s47, v101, 0
	s_add_co_i32 s80, s80, 0x10000
	global_wb scope:SCOPE_DEV
	s_wait_storecnt 0x0
	global_inv scope:SCOPE_DEV
	s_cmp_lt_u32 s80, s47
	s_cbranch_scc0 .LBB29_1149
.LBB29_3:                               ; =>This Loop Header: Depth=1
                                        ;     Child Loop BB29_553 Depth 2
                                        ;     Child Loop BB29_1002 Depth 2
                                        ;       Child Loop BB29_1004 Depth 3
                                        ;     Child Loop BB29_1039 Depth 2
	global_load_b64 v[36:37], v3, s[68:69]
	v_readlane_b32 s84, v101, 1
	v_readlane_b32 s85, v101, 2
	s_mul_u64 s[82:83], s[66:67], s[80:81]
	v_readlane_b32 s47, v101, 5
	s_lshl_b64 s[82:83], s[82:83], 3
	s_delay_alu instid0(SALU_CYCLE_1) | instskip(NEXT) | instid1(SALU_CYCLE_1)
	s_add_nc_u64 s[82:83], s[84:85], s[82:83]
	v_lshl_add_u64 v[34:35], v[10:11], 3, s[82:83]
	s_and_not1_b32 vcc_lo, exec_lo, s47
	s_cbranch_vccz .LBB29_6
; %bb.4:                                ;   in Loop: Header=BB29_3 Depth=1
	s_and_not1_b32 vcc_lo, exec_lo, s90
	s_mov_b32 s47, -1
	s_cbranch_vccz .LBB29_15
.LBB29_5:                               ;   in Loop: Header=BB29_3 Depth=1
	s_and_b32 vcc_lo, exec_lo, s47
	s_cbranch_vccnz .LBB29_25
	s_branch .LBB29_66
.LBB29_6:                               ;   in Loop: Header=BB29_3 Depth=1
	v_mov_b64_e32 v[28:29], 0
	v_mov_b64_e32 v[26:27], 0
	v_lshl_add_u64 v[38:39], v[8:9], 3, v[34:35]
	s_wait_loadcnt 0x0
	s_barrier_signal -1
	s_barrier_wait -1
	s_wait_xcnt 0x0
	s_mov_b32 s47, exec_lo
	v_readlane_b32 s65, v101, 9
	s_and_b32 s65, s47, s65
	s_delay_alu instid0(SALU_CYCLE_1)
	s_mov_b32 exec_lo, s65
	s_cbranch_execz .LBB29_8
; %bb.7:                                ;   in Loop: Header=BB29_3 Depth=1
	global_load_b64 v[26:27], v[38:39], off
.LBB29_8:                               ;   in Loop: Header=BB29_3 Depth=1
	s_wait_xcnt 0x0
	s_or_b32 exec_lo, exec_lo, s47
	s_wait_loadcnt 0x0
	s_barrier_signal -1
	s_barrier_wait -1
	s_mov_b32 s47, exec_lo
	v_readlane_b32 s65, v101, 10
	s_and_b32 s65, s47, s65
	s_delay_alu instid0(SALU_CYCLE_1)
	s_mov_b32 exec_lo, s65
	s_cbranch_execz .LBB29_10
; %bb.9:                                ;   in Loop: Header=BB29_3 Depth=1
	global_load_b64 v[28:29], v[38:39], off offset:128
.LBB29_10:                              ;   in Loop: Header=BB29_3 Depth=1
	s_wait_xcnt 0x0
	s_or_b32 exec_lo, exec_lo, s47
	v_mov_b64_e32 v[32:33], 0
	v_mov_b64_e32 v[30:31], 0
	s_wait_loadcnt 0x0
	s_barrier_signal -1
	s_barrier_wait -1
	s_mov_b32 s47, exec_lo
	v_readlane_b32 s65, v101, 11
	s_and_b32 s65, s47, s65
	s_delay_alu instid0(SALU_CYCLE_1)
	s_mov_b32 exec_lo, s65
	s_cbranch_execz .LBB29_12
; %bb.11:                               ;   in Loop: Header=BB29_3 Depth=1
	global_load_b64 v[30:31], v[38:39], off offset:256
.LBB29_12:                              ;   in Loop: Header=BB29_3 Depth=1
	s_wait_xcnt 0x0
	s_or_b32 exec_lo, exec_lo, s47
	s_wait_loadcnt 0x0
	s_barrier_signal -1
	s_barrier_wait -1
	s_mov_b32 s47, exec_lo
	v_readlane_b32 s65, v101, 12
	s_and_b32 s65, s47, s65
	s_delay_alu instid0(SALU_CYCLE_1)
	s_mov_b32 exec_lo, s65
	s_cbranch_execz .LBB29_14
; %bb.13:                               ;   in Loop: Header=BB29_3 Depth=1
	global_load_b64 v[32:33], v[38:39], off offset:384
.LBB29_14:                              ;   in Loop: Header=BB29_3 Depth=1
	s_wait_xcnt 0x0
	s_or_b32 exec_lo, exec_lo, s47
	s_delay_alu instid0(SALU_CYCLE_1)
	s_and_not1_b32 vcc_lo, exec_lo, s90
	s_mov_b32 s47, -1
	s_cbranch_vccnz .LBB29_5
.LBB29_15:                              ;   in Loop: Header=BB29_3 Depth=1
	s_wait_xcnt 0x0
	s_and_saveexec_b32 s47, s6
	s_delay_alu instid0(SALU_CYCLE_1)
	s_xor_b32 s65, exec_lo, s47
	s_cbranch_execnz .LBB29_1060
; %bb.16:                               ;   in Loop: Header=BB29_3 Depth=1
	s_and_not1_saveexec_b32 s65, s65
	s_cbranch_execnz .LBB29_1067
.LBB29_17:                              ;   in Loop: Header=BB29_3 Depth=1
	s_or_b32 exec_lo, exec_lo, s65
	s_and_saveexec_b32 s47, s7
	s_delay_alu instid0(SALU_CYCLE_1)
	s_xor_b32 s65, exec_lo, s47
	s_cbranch_execnz .LBB29_1068
.LBB29_18:                              ;   in Loop: Header=BB29_3 Depth=1
	s_and_not1_saveexec_b32 s65, s65
	s_cbranch_execnz .LBB29_1075
.LBB29_19:                              ;   in Loop: Header=BB29_3 Depth=1
	s_or_b32 exec_lo, exec_lo, s65
	s_and_saveexec_b32 s47, s8
	s_delay_alu instid0(SALU_CYCLE_1)
	s_xor_b32 s65, exec_lo, s47
	s_cbranch_execnz .LBB29_1076
.LBB29_20:                              ;   in Loop: Header=BB29_3 Depth=1
	s_and_not1_saveexec_b32 s65, s65
	s_cbranch_execnz .LBB29_1083
.LBB29_21:                              ;   in Loop: Header=BB29_3 Depth=1
	s_or_b32 exec_lo, exec_lo, s65
	s_and_saveexec_b32 s47, s9
	s_delay_alu instid0(SALU_CYCLE_1)
	s_xor_b32 s65, exec_lo, s47
	s_cbranch_execnz .LBB29_1084
.LBB29_22:                              ;   in Loop: Header=BB29_3 Depth=1
	s_and_not1_saveexec_b32 s65, s65
	s_cbranch_execz .LBB29_24
.LBB29_23:                              ;   in Loop: Header=BB29_3 Depth=1
	v_lshl_add_u64 v[38:39], v[20:21], 3, s[82:83]
	global_load_b64 v[38:39], v[38:39], off
	s_wait_loadcnt 0x0
	v_xor_b32_e32 v39, 0x80000000, v39
	ds_store_b64 v81, v[38:39]
.LBB29_24:                              ;   in Loop: Header=BB29_3 Depth=1
	s_or_b32 exec_lo, exec_lo, s65
	s_branch .LBB29_66
.LBB29_25:                              ;   in Loop: Header=BB29_3 Depth=1
	v_readlane_b32 s65, v101, 13
	s_wait_xcnt 0x0
	s_and_saveexec_b32 s47, s65
	s_delay_alu instid0(SALU_CYCLE_1)
	s_xor_b32 s65, exec_lo, s47
	s_cbranch_execz .LBB29_33
; %bb.26:                               ;   in Loop: Header=BB29_3 Depth=1
	v_readlane_b32 s84, v101, 18
	s_and_saveexec_b32 s47, s84
	s_delay_alu instid0(SALU_CYCLE_1)
	s_xor_b32 s84, exec_lo, s47
	s_cbranch_execz .LBB29_30
; %bb.27:                               ;   in Loop: Header=BB29_3 Depth=1
	s_mov_b32 s47, exec_lo
	v_readlane_b32 s85, v100, 27
	s_and_b32 s85, s47, s85
	s_delay_alu instid0(SALU_CYCLE_1)
	s_mov_b32 exec_lo, s85
; %bb.28:                               ;   in Loop: Header=BB29_3 Depth=1
	ds_store_b64 v85, v[24:25]
; %bb.29:                               ;   in Loop: Header=BB29_3 Depth=1
	s_or_b32 exec_lo, exec_lo, s47
.LBB29_30:                              ;   in Loop: Header=BB29_3 Depth=1
	s_and_not1_saveexec_b32 s84, s84
	s_cbranch_execz .LBB29_32
; %bb.31:                               ;   in Loop: Header=BB29_3 Depth=1
	v_lshl_add_u64 v[38:39], v[14:15], 3, s[82:83]
	global_load_b64 v[38:39], v[38:39], off
	s_wait_loadcnt 0x0
	v_div_scale_f64 v[40:41], null, v[38:39], v[38:39], 1.0
	s_delay_alu instid0(VALU_DEP_1) | instskip(SKIP_1) | instid1(TRANS32_DEP_1)
	v_rcp_f64_e32 v[92:93], v[40:41]
	v_nop
	v_fma_f64 v[94:95], -v[40:41], v[92:93], 1.0
	s_delay_alu instid0(VALU_DEP_1) | instskip(NEXT) | instid1(VALU_DEP_1)
	v_fmac_f64_e32 v[92:93], v[92:93], v[94:95]
	v_fma_f64 v[94:95], -v[40:41], v[92:93], 1.0
	s_delay_alu instid0(VALU_DEP_1) | instskip(SKIP_1) | instid1(VALU_DEP_1)
	v_fmac_f64_e32 v[92:93], v[92:93], v[94:95]
	v_div_scale_f64 v[94:95], vcc_lo, 1.0, v[38:39], 1.0
	v_mul_f64_e32 v[96:97], v[94:95], v[92:93]
	s_delay_alu instid0(VALU_DEP_1) | instskip(NEXT) | instid1(VALU_DEP_1)
	v_fma_f64 v[40:41], -v[40:41], v[96:97], v[94:95]
	v_div_fmas_f64 v[40:41], v[40:41], v[92:93], v[96:97]
	s_delay_alu instid0(VALU_DEP_1)
	v_div_fixup_f64 v[38:39], v[40:41], v[38:39], 1.0
	ds_store_b64 v85, v[38:39]
.LBB29_32:                              ;   in Loop: Header=BB29_3 Depth=1
	s_or_b32 exec_lo, exec_lo, s84
.LBB29_33:                              ;   in Loop: Header=BB29_3 Depth=1
	s_and_not1_saveexec_b32 s65, s65
	s_cbranch_execz .LBB29_35
; %bb.34:                               ;   in Loop: Header=BB29_3 Depth=1
	v_lshl_add_u64 v[38:39], v[14:15], 3, s[82:83]
	global_load_b64 v[38:39], v[38:39], off
	s_wait_loadcnt 0x0
	v_xor_b32_e32 v39, 0x80000000, v39
	ds_store_b64 v85, v[38:39]
.LBB29_35:                              ;   in Loop: Header=BB29_3 Depth=1
	s_or_b32 exec_lo, exec_lo, s65
	v_readlane_b32 s65, v101, 14
	s_and_saveexec_b32 s47, s65
	s_delay_alu instid0(SALU_CYCLE_1)
	s_xor_b32 s65, exec_lo, s47
	s_cbranch_execz .LBB29_43
; %bb.36:                               ;   in Loop: Header=BB29_3 Depth=1
	v_readlane_b32 s84, v101, 20
	s_and_saveexec_b32 s47, s84
	s_delay_alu instid0(SALU_CYCLE_1)
	s_xor_b32 s84, exec_lo, s47
	s_cbranch_execz .LBB29_40
; %bb.37:                               ;   in Loop: Header=BB29_3 Depth=1
	s_mov_b32 s47, exec_lo
	v_readlane_b32 s85, v100, 28
	s_and_b32 s85, s47, s85
	s_delay_alu instid0(SALU_CYCLE_1)
	s_mov_b32 exec_lo, s85
; %bb.38:                               ;   in Loop: Header=BB29_3 Depth=1
	ds_store_b64 v77, v[24:25]
; %bb.39:                               ;   in Loop: Header=BB29_3 Depth=1
	s_or_b32 exec_lo, exec_lo, s47
.LBB29_40:                              ;   in Loop: Header=BB29_3 Depth=1
	s_and_not1_saveexec_b32 s84, s84
	s_cbranch_execz .LBB29_42
; %bb.41:                               ;   in Loop: Header=BB29_3 Depth=1
	v_lshl_add_u64 v[38:39], v[16:17], 3, s[82:83]
	global_load_b64 v[38:39], v[38:39], off
	s_wait_loadcnt 0x0
	v_div_scale_f64 v[40:41], null, v[38:39], v[38:39], 1.0
	s_delay_alu instid0(VALU_DEP_1) | instskip(SKIP_1) | instid1(TRANS32_DEP_1)
	v_rcp_f64_e32 v[92:93], v[40:41]
	v_nop
	v_fma_f64 v[94:95], -v[40:41], v[92:93], 1.0
	s_delay_alu instid0(VALU_DEP_1) | instskip(NEXT) | instid1(VALU_DEP_1)
	v_fmac_f64_e32 v[92:93], v[92:93], v[94:95]
	v_fma_f64 v[94:95], -v[40:41], v[92:93], 1.0
	s_delay_alu instid0(VALU_DEP_1) | instskip(SKIP_1) | instid1(VALU_DEP_1)
	v_fmac_f64_e32 v[92:93], v[92:93], v[94:95]
	v_div_scale_f64 v[94:95], vcc_lo, 1.0, v[38:39], 1.0
	v_mul_f64_e32 v[96:97], v[94:95], v[92:93]
	s_delay_alu instid0(VALU_DEP_1) | instskip(NEXT) | instid1(VALU_DEP_1)
	v_fma_f64 v[40:41], -v[40:41], v[96:97], v[94:95]
	v_div_fmas_f64 v[40:41], v[40:41], v[92:93], v[96:97]
	s_delay_alu instid0(VALU_DEP_1)
	v_div_fixup_f64 v[38:39], v[40:41], v[38:39], 1.0
	ds_store_b64 v77, v[38:39]
.LBB29_42:                              ;   in Loop: Header=BB29_3 Depth=1
	s_or_b32 exec_lo, exec_lo, s84
.LBB29_43:                              ;   in Loop: Header=BB29_3 Depth=1
	s_and_not1_saveexec_b32 s65, s65
	s_cbranch_execz .LBB29_45
; %bb.44:                               ;   in Loop: Header=BB29_3 Depth=1
	v_lshl_add_u64 v[38:39], v[16:17], 3, s[82:83]
	global_load_b64 v[38:39], v[38:39], off
	s_wait_loadcnt 0x0
	v_xor_b32_e32 v39, 0x80000000, v39
	ds_store_b64 v77, v[38:39]
.LBB29_45:                              ;   in Loop: Header=BB29_3 Depth=1
	s_or_b32 exec_lo, exec_lo, s65
	v_readlane_b32 s65, v101, 15
	;; [unrolled: 59-line block ×3, first 2 shown]
	s_and_saveexec_b32 s47, s65
	s_delay_alu instid0(SALU_CYCLE_1)
	s_xor_b32 s65, exec_lo, s47
	s_cbranch_execz .LBB29_63
; %bb.56:                               ;   in Loop: Header=BB29_3 Depth=1
	v_readlane_b32 s84, v101, 24
	s_and_saveexec_b32 s47, s84
	s_delay_alu instid0(SALU_CYCLE_1)
	s_xor_b32 s84, exec_lo, s47
	s_cbranch_execz .LBB29_60
; %bb.57:                               ;   in Loop: Header=BB29_3 Depth=1
	s_mov_b32 s47, exec_lo
	v_readlane_b32 s85, v100, 30
	s_and_b32 s85, s47, s85
	s_delay_alu instid0(SALU_CYCLE_1)
	s_mov_b32 exec_lo, s85
; %bb.58:                               ;   in Loop: Header=BB29_3 Depth=1
	ds_store_b64 v81, v[24:25]
; %bb.59:                               ;   in Loop: Header=BB29_3 Depth=1
	s_or_b32 exec_lo, exec_lo, s47
.LBB29_60:                              ;   in Loop: Header=BB29_3 Depth=1
	s_and_not1_saveexec_b32 s84, s84
	s_cbranch_execz .LBB29_62
; %bb.61:                               ;   in Loop: Header=BB29_3 Depth=1
	v_lshl_add_u64 v[38:39], v[20:21], 3, s[82:83]
	global_load_b64 v[38:39], v[38:39], off
	s_wait_loadcnt 0x0
	v_div_scale_f64 v[40:41], null, v[38:39], v[38:39], 1.0
	s_delay_alu instid0(VALU_DEP_1) | instskip(SKIP_1) | instid1(TRANS32_DEP_1)
	v_rcp_f64_e32 v[92:93], v[40:41]
	v_nop
	v_fma_f64 v[94:95], -v[40:41], v[92:93], 1.0
	s_delay_alu instid0(VALU_DEP_1) | instskip(NEXT) | instid1(VALU_DEP_1)
	v_fmac_f64_e32 v[92:93], v[92:93], v[94:95]
	v_fma_f64 v[94:95], -v[40:41], v[92:93], 1.0
	s_delay_alu instid0(VALU_DEP_1) | instskip(SKIP_1) | instid1(VALU_DEP_1)
	v_fmac_f64_e32 v[92:93], v[92:93], v[94:95]
	v_div_scale_f64 v[94:95], vcc_lo, 1.0, v[38:39], 1.0
	v_mul_f64_e32 v[96:97], v[94:95], v[92:93]
	s_delay_alu instid0(VALU_DEP_1) | instskip(NEXT) | instid1(VALU_DEP_1)
	v_fma_f64 v[40:41], -v[40:41], v[96:97], v[94:95]
	v_div_fmas_f64 v[40:41], v[40:41], v[92:93], v[96:97]
	s_delay_alu instid0(VALU_DEP_1)
	v_div_fixup_f64 v[38:39], v[40:41], v[38:39], 1.0
	ds_store_b64 v81, v[38:39]
.LBB29_62:                              ;   in Loop: Header=BB29_3 Depth=1
	s_or_b32 exec_lo, exec_lo, s84
.LBB29_63:                              ;   in Loop: Header=BB29_3 Depth=1
	s_and_not1_saveexec_b32 s65, s65
	s_cbranch_execz .LBB29_65
; %bb.64:                               ;   in Loop: Header=BB29_3 Depth=1
	v_lshl_add_u64 v[38:39], v[20:21], 3, s[82:83]
	global_load_b64 v[38:39], v[38:39], off
	s_wait_loadcnt 0x0
	v_xor_b32_e32 v39, 0x80000000, v39
	ds_store_b64 v81, v[38:39]
.LBB29_65:                              ;   in Loop: Header=BB29_3 Depth=1
	s_or_b32 exec_lo, exec_lo, s65
.LBB29_66:                              ;   in Loop: Header=BB29_3 Depth=1
	s_delay_alu instid0(SALU_CYCLE_1)
	s_and_not1_b32 vcc_lo, exec_lo, s91
	s_wait_loadcnt_dscnt 0x0
	s_barrier_signal -1
	s_barrier_wait -1
	s_cbranch_vccnz .LBB29_996
; %bb.67:                               ;   in Loop: Header=BB29_3 Depth=1
	s_and_saveexec_b32 s65, s14
	s_cbranch_execz .LBB29_69
; %bb.68:                               ;   in Loop: Header=BB29_3 Depth=1
	ds_load_b128 v[38:41], v3 offset:32752
	ds_load_b64 v[92:93], v3 offset:32240
	v_add_nc_u32_e64 v2, 0x7800, 0
	s_wait_dscnt 0x0
	v_mul_f64_e32 v[40:41], v[92:93], v[40:41]
	s_delay_alu instid0(VALU_DEP_1)
	v_mul_f64_e32 v[38:39], v[38:39], v[40:41]
	ds_store_2addr_b64 v2, v[38:39], v[38:39] offset0:191 offset1:254
.LBB29_69:                              ;   in Loop: Header=BB29_3 Depth=1
	s_or_b32 exec_lo, exec_lo, s65
	v_mov_b64_e32 v[38:39], 0
	s_wait_dscnt 0x0
	s_barrier_signal -1
	s_barrier_wait -1
	global_wb scope:SCOPE_DEV
	s_wait_storecnt 0x0
	global_inv scope:SCOPE_DEV
	s_and_saveexec_b32 s65, s0
	s_cbranch_execz .LBB29_73
; %bb.70:                               ;   in Loop: Header=BB29_3 Depth=1
	ds_load_b64 v[38:39], v45 offset:32224
	ds_load_b64 v[40:41], v44 offset:32752
	s_wait_dscnt 0x0
	v_fma_f64 v[38:39], v[38:39], v[40:41], 0
	s_and_saveexec_b32 s47, s15
	s_cbranch_execz .LBB29_72
; %bb.71:                               ;   in Loop: Header=BB29_3 Depth=1
	ds_load_b64 v[40:41], v46 offset:32736
	ds_load_b64 v[92:93], v3 offset:32760
	s_wait_dscnt 0x0
	v_fmac_f64_e32 v[38:39], v[40:41], v[92:93]
.LBB29_72:                              ;   in Loop: Header=BB29_3 Depth=1
	s_or_b32 exec_lo, exec_lo, s47
.LBB29_73:                              ;   in Loop: Header=BB29_3 Depth=1
	s_delay_alu instid0(SALU_CYCLE_1)
	s_or_b32 exec_lo, exec_lo, s65
	s_and_saveexec_b32 s65, s92
	s_cbranch_execz .LBB29_75
; %bb.74:                               ;   in Loop: Header=BB29_3 Depth=1
	ds_load_b64 v[40:41], v3 offset:31720
	s_wait_dscnt 0x0
	v_mul_f64_e32 v[38:39], v[38:39], v[40:41]
	s_delay_alu instid0(VALU_DEP_1) | instskip(NEXT) | instid1(VALU_DEP_2)
	v_xor_b32_e32 v41, 0x80000000, v39
	v_mov_b32_e32 v40, v38
	ds_store_b64 v5, v[40:41]
.LBB29_75:                              ;   in Loop: Header=BB29_3 Depth=1
	s_or_b32 exec_lo, exec_lo, s65
	s_wait_loadcnt_dscnt 0x0
	s_barrier_signal -1
	s_barrier_wait -1
	s_and_saveexec_b32 s47, s93
	s_cbranch_execz .LBB29_77
; %bb.76:                               ;   in Loop: Header=BB29_3 Depth=1
	ds_load_b64 v[40:41], v3 offset:31712
	ds_load_b64 v[92:93], v5
	s_wait_dscnt 0x0
	v_fma_f64 v[38:39], -v[40:41], v[92:93], v[38:39]
.LBB29_77:                              ;   in Loop: Header=BB29_3 Depth=1
	s_or_b32 exec_lo, exec_lo, s47
	s_barrier_signal -1
	s_barrier_wait -1
	s_and_saveexec_b32 s65, s93
	s_cbranch_execz .LBB29_79
; %bb.78:                               ;   in Loop: Header=BB29_3 Depth=1
	ds_load_b64 v[40:41], v3 offset:31200
	s_wait_dscnt 0x0
	v_mul_f64_e32 v[38:39], v[38:39], v[40:41]
	s_delay_alu instid0(VALU_DEP_1) | instskip(NEXT) | instid1(VALU_DEP_2)
	v_xor_b32_e32 v41, 0x80000000, v39
	v_mov_b32_e32 v40, v38
	ds_store_b64 v5, v[40:41]
.LBB29_79:                              ;   in Loop: Header=BB29_3 Depth=1
	s_or_b32 exec_lo, exec_lo, s65
	s_wait_dscnt 0x0
	s_barrier_signal -1
	s_barrier_wait -1
	s_barrier_signal -1
	s_barrier_wait -1
	s_and_saveexec_b32 s47, s0
; %bb.80:                               ;   in Loop: Header=BB29_3 Depth=1
	ds_store_b64 v47, v[38:39] offset:32736
; %bb.81:                               ;   in Loop: Header=BB29_3 Depth=1
	s_or_b32 exec_lo, exec_lo, s47
	s_wait_dscnt 0x0
	s_barrier_signal -1
	s_barrier_wait -1
	s_barrier_signal -1
	s_barrier_wait -1
	s_and_saveexec_b32 s47, s94
	s_cbranch_execz .LBB29_83
; %bb.82:                               ;   in Loop: Header=BB29_3 Depth=1
	ds_load_b64 v[38:39], v48 offset:32224
	s_wait_dscnt 0x0
	ds_store_b64 v46, v[38:39] offset:31216
	ds_load_b64 v[38:39], v48 offset:32232
	s_wait_dscnt 0x0
	ds_store_b64 v46, v[38:39] offset:31728
.LBB29_83:                              ;   in Loop: Header=BB29_3 Depth=1
	s_or_b32 exec_lo, exec_lo, s47
	s_wait_dscnt 0x0
	s_barrier_signal -1
	s_barrier_wait -1
	s_and_saveexec_b32 s65, s14
	s_cbranch_execz .LBB29_85
; %bb.84:                               ;   in Loop: Header=BB29_3 Depth=1
	ds_load_b128 v[38:41], v3 offset:31712
	ds_load_b64 v[92:93], v3 offset:31200
	v_add_nc_u32_e64 v2, 0x7800, 0
	s_wait_dscnt 0x0
	v_mul_f64_e32 v[40:41], v[92:93], v[40:41]
	s_delay_alu instid0(VALU_DEP_1)
	v_mul_f64_e32 v[38:39], v[38:39], v[40:41]
	ds_store_2addr_b64 v2, v[38:39], v[38:39] offset0:61 offset1:124
.LBB29_85:                              ;   in Loop: Header=BB29_3 Depth=1
	s_or_b32 exec_lo, exec_lo, s65
	v_mov_b64_e32 v[38:39], 0
	s_wait_dscnt 0x0
	s_barrier_signal -1
	s_barrier_wait -1
	global_wb scope:SCOPE_DEV
	s_wait_storecnt 0x0
	global_inv scope:SCOPE_DEV
	s_and_saveexec_b32 s65, s2
	s_cbranch_execz .LBB29_91
; %bb.86:                               ;   in Loop: Header=BB29_3 Depth=1
	ds_load_b64 v[38:39], v51 offset:31168
	ds_load_b64 v[40:41], v50 offset:32736
	s_wait_dscnt 0x0
	v_fma_f64 v[38:39], v[38:39], v[40:41], 0
	s_and_saveexec_b32 s47, s16
	s_cbranch_execnz .LBB29_1099
; %bb.87:                               ;   in Loop: Header=BB29_3 Depth=1
	s_or_b32 exec_lo, exec_lo, s47
	s_and_saveexec_b32 s47, s17
	s_cbranch_execnz .LBB29_1100
.LBB29_88:                              ;   in Loop: Header=BB29_3 Depth=1
	s_or_b32 exec_lo, exec_lo, s47
	s_and_saveexec_b32 s47, s0
	s_cbranch_execz .LBB29_90
.LBB29_89:                              ;   in Loop: Header=BB29_3 Depth=1
	ds_load_b64 v[40:41], v65 offset:32704
	ds_load_b64 v[92:93], v3 offset:32760
	s_wait_dscnt 0x0
	v_fmac_f64_e32 v[38:39], v[40:41], v[92:93]
.LBB29_90:                              ;   in Loop: Header=BB29_3 Depth=1
	s_or_b32 exec_lo, exec_lo, s47
.LBB29_91:                              ;   in Loop: Header=BB29_3 Depth=1
	s_delay_alu instid0(SALU_CYCLE_1)
	s_or_b32 exec_lo, exec_lo, s65
	s_and_saveexec_b32 s65, s95
	s_cbranch_execz .LBB29_93
; %bb.92:                               ;   in Loop: Header=BB29_3 Depth=1
	ds_load_b64 v[40:41], v3 offset:30680
	s_wait_dscnt 0x0
	v_mul_f64_e32 v[38:39], v[38:39], v[40:41]
	s_delay_alu instid0(VALU_DEP_1) | instskip(NEXT) | instid1(VALU_DEP_2)
	v_xor_b32_e32 v41, 0x80000000, v39
	v_mov_b32_e32 v40, v38
	ds_store_b64 v49, v[40:41]
.LBB29_93:                              ;   in Loop: Header=BB29_3 Depth=1
	s_or_b32 exec_lo, exec_lo, s65
	s_wait_loadcnt_dscnt 0x0
	s_barrier_signal -1
	s_barrier_wait -1
	s_and_saveexec_b32 s47, s96
	s_cbranch_execz .LBB29_95
; %bb.94:                               ;   in Loop: Header=BB29_3 Depth=1
	ds_load_b64 v[40:41], v51 offset:30656
	ds_load_b64 v[92:93], v49
	s_wait_dscnt 0x0
	v_fma_f64 v[38:39], -v[40:41], v[92:93], v[38:39]
.LBB29_95:                              ;   in Loop: Header=BB29_3 Depth=1
	s_or_b32 exec_lo, exec_lo, s47
	s_barrier_signal -1
	s_barrier_wait -1
	s_and_saveexec_b32 s65, s97
	s_cbranch_execz .LBB29_97
; %bb.96:                               ;   in Loop: Header=BB29_3 Depth=1
	ds_load_b64 v[40:41], v3 offset:30160
	s_wait_dscnt 0x0
	v_mul_f64_e32 v[38:39], v[38:39], v[40:41]
	s_delay_alu instid0(VALU_DEP_1) | instskip(NEXT) | instid1(VALU_DEP_2)
	v_xor_b32_e32 v41, 0x80000000, v39
	v_mov_b32_e32 v40, v38
	ds_store_b64 v49, v[40:41]
.LBB29_97:                              ;   in Loop: Header=BB29_3 Depth=1
	s_or_b32 exec_lo, exec_lo, s65
	s_wait_dscnt 0x0
	s_barrier_signal -1
	s_barrier_wait -1
	s_and_saveexec_b32 s47, s98
	s_cbranch_execz .LBB29_99
; %bb.98:                               ;   in Loop: Header=BB29_3 Depth=1
	ds_load_b64 v[40:41], v51 offset:30144
	ds_load_b64 v[92:93], v49
	s_wait_dscnt 0x0
	v_fma_f64 v[38:39], -v[40:41], v[92:93], v[38:39]
.LBB29_99:                              ;   in Loop: Header=BB29_3 Depth=1
	s_or_b32 exec_lo, exec_lo, s47
	s_barrier_signal -1
	s_barrier_wait -1
	s_and_saveexec_b32 s65, s99
	s_cbranch_execz .LBB29_101
; %bb.100:                              ;   in Loop: Header=BB29_3 Depth=1
	ds_load_b64 v[40:41], v3 offset:29640
	s_wait_dscnt 0x0
	v_mul_f64_e32 v[38:39], v[38:39], v[40:41]
	s_delay_alu instid0(VALU_DEP_1) | instskip(NEXT) | instid1(VALU_DEP_2)
	v_xor_b32_e32 v41, 0x80000000, v39
	v_mov_b32_e32 v40, v38
	ds_store_b64 v49, v[40:41]
.LBB29_101:                             ;   in Loop: Header=BB29_3 Depth=1
	s_or_b32 exec_lo, exec_lo, s65
	s_wait_dscnt 0x0
	s_barrier_signal -1
	s_barrier_wait -1
	s_and_saveexec_b32 s47, s100
	s_cbranch_execz .LBB29_103
; %bb.102:                              ;   in Loop: Header=BB29_3 Depth=1
	ds_load_b64 v[40:41], v3 offset:29632
	ds_load_b64 v[92:93], v49
	s_wait_dscnt 0x0
	v_fma_f64 v[38:39], -v[40:41], v[92:93], v[38:39]
.LBB29_103:                             ;   in Loop: Header=BB29_3 Depth=1
	s_or_b32 exec_lo, exec_lo, s47
	s_barrier_signal -1
	s_barrier_wait -1
	s_and_saveexec_b32 s65, s100
	s_cbranch_execz .LBB29_105
; %bb.104:                              ;   in Loop: Header=BB29_3 Depth=1
	ds_load_b64 v[40:41], v3 offset:29120
	s_wait_dscnt 0x0
	v_mul_f64_e32 v[38:39], v[38:39], v[40:41]
	s_delay_alu instid0(VALU_DEP_1) | instskip(NEXT) | instid1(VALU_DEP_2)
	v_xor_b32_e32 v41, 0x80000000, v39
	v_mov_b32_e32 v40, v38
	ds_store_b64 v49, v[40:41]
.LBB29_105:                             ;   in Loop: Header=BB29_3 Depth=1
	s_or_b32 exec_lo, exec_lo, s65
	s_wait_dscnt 0x0
	s_barrier_signal -1
	s_barrier_wait -1
	s_barrier_signal -1
	s_barrier_wait -1
	s_and_saveexec_b32 s47, s2
; %bb.106:                              ;   in Loop: Header=BB29_3 Depth=1
	ds_store_b64 v52, v[38:39] offset:32704
; %bb.107:                              ;   in Loop: Header=BB29_3 Depth=1
	s_or_b32 exec_lo, exec_lo, s47
	s_wait_dscnt 0x0
	s_barrier_signal -1
	s_barrier_wait -1
	s_barrier_signal -1
	s_barrier_wait -1
	s_and_saveexec_b32 s65, s101
	s_cbranch_execz .LBB29_109
; %bb.108:                              ;   in Loop: Header=BB29_3 Depth=1
	ds_load_b64 v[38:39], v68 offset:31168
	s_wait_dscnt 0x0
	ds_store_b64 v69, v[38:39] offset:29152
	ds_load_b64 v[38:39], v68 offset:31176
	s_wait_dscnt 0x0
	ds_store_b64 v69, v[38:39] offset:29664
	;; [unrolled: 3-line block ×4, first 2 shown]
.LBB29_109:                             ;   in Loop: Header=BB29_3 Depth=1
	s_or_b32 exec_lo, exec_lo, s65
	s_wait_dscnt 0x0
	s_barrier_signal -1
	s_barrier_wait -1
	s_and_saveexec_b32 s65, s14
	s_cbranch_execz .LBB29_111
; %bb.110:                              ;   in Loop: Header=BB29_3 Depth=1
	ds_load_b128 v[38:41], v3 offset:30672
	ds_load_b64 v[92:93], v3 offset:30160
	v_add_nc_u32_e64 v2, 0x7000, 0
	s_wait_dscnt 0x0
	v_mul_f64_e32 v[40:41], v[92:93], v[40:41]
	s_delay_alu instid0(VALU_DEP_1)
	v_mul_f64_e32 v[38:39], v[38:39], v[40:41]
	ds_store_2addr_b64 v2, v[38:39], v[38:39] offset0:187 offset1:250
.LBB29_111:                             ;   in Loop: Header=BB29_3 Depth=1
	s_or_b32 exec_lo, exec_lo, s65
	v_mov_b64_e32 v[38:39], 0
	s_wait_dscnt 0x0
	s_barrier_signal -1
	s_barrier_wait -1
	global_wb scope:SCOPE_DEV
	s_wait_storecnt 0x0
	global_inv scope:SCOPE_DEV
	s_and_saveexec_b32 s65, s0
	s_cbranch_execz .LBB29_115
; %bb.112:                              ;   in Loop: Header=BB29_3 Depth=1
	ds_load_b64 v[38:39], v45 offset:30144
	ds_load_b64 v[40:41], v44 offset:30672
	s_wait_dscnt 0x0
	v_fma_f64 v[38:39], v[38:39], v[40:41], 0
	s_and_saveexec_b32 s47, s15
	s_cbranch_execz .LBB29_114
; %bb.113:                              ;   in Loop: Header=BB29_3 Depth=1
	ds_load_b64 v[40:41], v69 offset:30656
	ds_load_b64 v[92:93], v3 offset:30680
	s_wait_dscnt 0x0
	v_fmac_f64_e32 v[38:39], v[40:41], v[92:93]
.LBB29_114:                             ;   in Loop: Header=BB29_3 Depth=1
	s_or_b32 exec_lo, exec_lo, s47
.LBB29_115:                             ;   in Loop: Header=BB29_3 Depth=1
	s_delay_alu instid0(SALU_CYCLE_1)
	s_or_b32 exec_lo, exec_lo, s65
	s_and_saveexec_b32 s65, s92
	s_cbranch_execz .LBB29_117
; %bb.116:                              ;   in Loop: Header=BB29_3 Depth=1
	ds_load_b64 v[40:41], v3 offset:29640
	s_wait_dscnt 0x0
	v_mul_f64_e32 v[38:39], v[38:39], v[40:41]
	s_delay_alu instid0(VALU_DEP_1) | instskip(NEXT) | instid1(VALU_DEP_2)
	v_xor_b32_e32 v41, 0x80000000, v39
	v_mov_b32_e32 v40, v38
	ds_store_b64 v5, v[40:41]
.LBB29_117:                             ;   in Loop: Header=BB29_3 Depth=1
	s_or_b32 exec_lo, exec_lo, s65
	s_wait_loadcnt_dscnt 0x0
	s_barrier_signal -1
	s_barrier_wait -1
	s_and_saveexec_b32 s47, s93
	s_cbranch_execz .LBB29_119
; %bb.118:                              ;   in Loop: Header=BB29_3 Depth=1
	ds_load_b64 v[40:41], v3 offset:29632
	ds_load_b64 v[92:93], v5
	s_wait_dscnt 0x0
	v_fma_f64 v[38:39], -v[40:41], v[92:93], v[38:39]
.LBB29_119:                             ;   in Loop: Header=BB29_3 Depth=1
	s_or_b32 exec_lo, exec_lo, s47
	s_barrier_signal -1
	s_barrier_wait -1
	s_and_saveexec_b32 s65, s93
	s_cbranch_execz .LBB29_121
; %bb.120:                              ;   in Loop: Header=BB29_3 Depth=1
	ds_load_b64 v[40:41], v3 offset:29120
	s_wait_dscnt 0x0
	v_mul_f64_e32 v[38:39], v[38:39], v[40:41]
	s_delay_alu instid0(VALU_DEP_1) | instskip(NEXT) | instid1(VALU_DEP_2)
	v_xor_b32_e32 v41, 0x80000000, v39
	v_mov_b32_e32 v40, v38
	ds_store_b64 v5, v[40:41]
.LBB29_121:                             ;   in Loop: Header=BB29_3 Depth=1
	s_or_b32 exec_lo, exec_lo, s65
	s_wait_dscnt 0x0
	s_barrier_signal -1
	s_barrier_wait -1
	s_barrier_signal -1
	s_barrier_wait -1
	s_and_saveexec_b32 s47, s0
; %bb.122:                              ;   in Loop: Header=BB29_3 Depth=1
	ds_store_b64 v47, v[38:39] offset:30656
; %bb.123:                              ;   in Loop: Header=BB29_3 Depth=1
	s_or_b32 exec_lo, exec_lo, s47
	s_wait_dscnt 0x0
	s_barrier_signal -1
	s_barrier_wait -1
	s_barrier_signal -1
	s_barrier_wait -1
	s_and_saveexec_b32 s47, s94
	s_cbranch_execz .LBB29_125
; %bb.124:                              ;   in Loop: Header=BB29_3 Depth=1
	ds_load_b64 v[38:39], v70 offset:30144
	s_wait_dscnt 0x0
	ds_store_b64 v69, v[38:39] offset:29136
	ds_load_b64 v[38:39], v70 offset:30152
	s_wait_dscnt 0x0
	ds_store_b64 v69, v[38:39] offset:29648
.LBB29_125:                             ;   in Loop: Header=BB29_3 Depth=1
	s_or_b32 exec_lo, exec_lo, s47
	s_wait_dscnt 0x0
	s_barrier_signal -1
	s_barrier_wait -1
	s_and_saveexec_b32 s65, s14
	s_cbranch_execz .LBB29_127
; %bb.126:                              ;   in Loop: Header=BB29_3 Depth=1
	ds_load_b128 v[38:41], v3 offset:29632
	ds_load_b64 v[92:93], v3 offset:29120
	v_add_nc_u32_e64 v2, 0x7000, 0
	s_wait_dscnt 0x0
	v_mul_f64_e32 v[40:41], v[92:93], v[40:41]
	s_delay_alu instid0(VALU_DEP_1)
	v_mul_f64_e32 v[38:39], v[38:39], v[40:41]
	ds_store_2addr_b64 v2, v[38:39], v[38:39] offset0:57 offset1:120
.LBB29_127:                             ;   in Loop: Header=BB29_3 Depth=1
	s_or_b32 exec_lo, exec_lo, s65
	v_mov_b64_e32 v[38:39], 0
	s_wait_dscnt 0x0
	s_barrier_signal -1
	s_barrier_wait -1
	global_wb scope:SCOPE_DEV
	s_wait_storecnt 0x0
	global_inv scope:SCOPE_DEV
	s_and_saveexec_b32 s65, s3
	s_cbranch_execz .LBB29_137
; %bb.128:                              ;   in Loop: Header=BB29_3 Depth=1
	ds_load_b64 v[38:39], v55 offset:29056
	ds_load_b64 v[40:41], v54 offset:32704
	s_wait_dscnt 0x0
	v_fma_f64 v[38:39], v[38:39], v[40:41], 0
	s_and_saveexec_b32 s47, s18
	s_cbranch_execnz .LBB29_1101
; %bb.129:                              ;   in Loop: Header=BB29_3 Depth=1
	s_or_b32 exec_lo, exec_lo, s47
	s_and_saveexec_b32 s47, s19
	s_cbranch_execnz .LBB29_1102
.LBB29_130:                             ;   in Loop: Header=BB29_3 Depth=1
	s_or_b32 exec_lo, exec_lo, s47
	s_and_saveexec_b32 s47, s20
	s_cbranch_execnz .LBB29_1103
.LBB29_131:                             ;   in Loop: Header=BB29_3 Depth=1
	s_or_b32 exec_lo, exec_lo, s47
	s_and_saveexec_b32 s47, s21
	s_cbranch_execnz .LBB29_1104
.LBB29_132:                             ;   in Loop: Header=BB29_3 Depth=1
	s_or_b32 exec_lo, exec_lo, s47
	s_and_saveexec_b32 s47, s22
	s_cbranch_execnz .LBB29_1105
.LBB29_133:                             ;   in Loop: Header=BB29_3 Depth=1
	s_or_b32 exec_lo, exec_lo, s47
	s_and_saveexec_b32 s47, s2
	s_cbranch_execnz .LBB29_1106
.LBB29_134:                             ;   in Loop: Header=BB29_3 Depth=1
	s_or_b32 exec_lo, exec_lo, s47
	s_and_saveexec_b32 s47, s17
	s_cbranch_execz .LBB29_136
.LBB29_135:                             ;   in Loop: Header=BB29_3 Depth=1
	ds_load_b64 v[40:41], v71 offset:32640
	ds_load_b64 v[92:93], v3 offset:32760
	s_wait_dscnt 0x0
	v_fmac_f64_e32 v[38:39], v[40:41], v[92:93]
.LBB29_136:                             ;   in Loop: Header=BB29_3 Depth=1
	s_or_b32 exec_lo, exec_lo, s47
.LBB29_137:                             ;   in Loop: Header=BB29_3 Depth=1
	s_delay_alu instid0(SALU_CYCLE_1)
	s_or_b32 exec_lo, exec_lo, s65
	s_and_saveexec_b32 s65, s102
	s_cbranch_execz .LBB29_139
; %bb.138:                              ;   in Loop: Header=BB29_3 Depth=1
	ds_load_b64 v[40:41], v3 offset:28600
	s_wait_dscnt 0x0
	v_mul_f64_e32 v[38:39], v[38:39], v[40:41]
	s_delay_alu instid0(VALU_DEP_1) | instskip(NEXT) | instid1(VALU_DEP_2)
	v_xor_b32_e32 v41, 0x80000000, v39
	v_mov_b32_e32 v40, v38
	ds_store_b64 v53, v[40:41]
.LBB29_139:                             ;   in Loop: Header=BB29_3 Depth=1
	s_or_b32 exec_lo, exec_lo, s65
	s_wait_loadcnt_dscnt 0x0
	s_barrier_signal -1
	s_barrier_wait -1
	s_and_saveexec_b32 s47, s103
	s_cbranch_execz .LBB29_141
; %bb.140:                              ;   in Loop: Header=BB29_3 Depth=1
	ds_load_b64 v[40:41], v55 offset:28544
	ds_load_b64 v[92:93], v53
	s_wait_dscnt 0x0
	v_fma_f64 v[38:39], -v[40:41], v[92:93], v[38:39]
.LBB29_141:                             ;   in Loop: Header=BB29_3 Depth=1
	s_or_b32 exec_lo, exec_lo, s47
	s_barrier_signal -1
	s_barrier_wait -1
	s_and_saveexec_b32 s65, s104
	s_cbranch_execz .LBB29_143
; %bb.142:                              ;   in Loop: Header=BB29_3 Depth=1
	ds_load_b64 v[40:41], v3 offset:28080
	s_wait_dscnt 0x0
	v_mul_f64_e32 v[38:39], v[38:39], v[40:41]
	s_delay_alu instid0(VALU_DEP_1) | instskip(NEXT) | instid1(VALU_DEP_2)
	v_xor_b32_e32 v41, 0x80000000, v39
	v_mov_b32_e32 v40, v38
	ds_store_b64 v53, v[40:41]
.LBB29_143:                             ;   in Loop: Header=BB29_3 Depth=1
	s_or_b32 exec_lo, exec_lo, s65
	s_wait_dscnt 0x0
	s_barrier_signal -1
	s_barrier_wait -1
	s_and_saveexec_b32 s47, vcc_hi
	s_cbranch_execz .LBB29_145
; %bb.144:                              ;   in Loop: Header=BB29_3 Depth=1
	ds_load_b64 v[40:41], v55 offset:28032
	ds_load_b64 v[92:93], v53
	s_wait_dscnt 0x0
	v_fma_f64 v[38:39], -v[40:41], v[92:93], v[38:39]
.LBB29_145:                             ;   in Loop: Header=BB29_3 Depth=1
	s_or_b32 exec_lo, exec_lo, s47
	s_barrier_signal -1
	s_barrier_wait -1
	s_and_saveexec_b32 s65, s36
	s_cbranch_execz .LBB29_147
; %bb.146:                              ;   in Loop: Header=BB29_3 Depth=1
	ds_load_b64 v[40:41], v3 offset:27560
	s_wait_dscnt 0x0
	v_mul_f64_e32 v[38:39], v[38:39], v[40:41]
	s_delay_alu instid0(VALU_DEP_1) | instskip(NEXT) | instid1(VALU_DEP_2)
	v_xor_b32_e32 v41, 0x80000000, v39
	v_mov_b32_e32 v40, v38
	ds_store_b64 v53, v[40:41]
.LBB29_147:                             ;   in Loop: Header=BB29_3 Depth=1
	s_or_b32 exec_lo, exec_lo, s65
	s_wait_dscnt 0x0
	s_barrier_signal -1
	s_barrier_wait -1
	s_and_saveexec_b32 s47, s37
	s_cbranch_execz .LBB29_149
; %bb.148:                              ;   in Loop: Header=BB29_3 Depth=1
	ds_load_b64 v[40:41], v55 offset:27520
	ds_load_b64 v[92:93], v53
	s_wait_dscnt 0x0
	v_fma_f64 v[38:39], -v[40:41], v[92:93], v[38:39]
.LBB29_149:                             ;   in Loop: Header=BB29_3 Depth=1
	s_or_b32 exec_lo, exec_lo, s47
	s_barrier_signal -1
	s_barrier_wait -1
	s_and_saveexec_b32 s65, s38
	s_cbranch_execz .LBB29_151
; %bb.150:                              ;   in Loop: Header=BB29_3 Depth=1
	ds_load_b64 v[40:41], v3 offset:27040
	s_wait_dscnt 0x0
	v_mul_f64_e32 v[38:39], v[38:39], v[40:41]
	s_delay_alu instid0(VALU_DEP_1) | instskip(NEXT) | instid1(VALU_DEP_2)
	v_xor_b32_e32 v41, 0x80000000, v39
	v_mov_b32_e32 v40, v38
	ds_store_b64 v53, v[40:41]
.LBB29_151:                             ;   in Loop: Header=BB29_3 Depth=1
	s_or_b32 exec_lo, exec_lo, s65
	s_wait_dscnt 0x0
	s_barrier_signal -1
	s_barrier_wait -1
	s_and_saveexec_b32 s47, s39
	;; [unrolled: 26-line block ×5, first 2 shown]
	s_cbranch_execz .LBB29_165
; %bb.164:                              ;   in Loop: Header=BB29_3 Depth=1
	ds_load_b64 v[40:41], v3 offset:25472
	ds_load_b64 v[92:93], v53
	s_wait_dscnt 0x0
	v_fma_f64 v[38:39], -v[40:41], v[92:93], v[38:39]
.LBB29_165:                             ;   in Loop: Header=BB29_3 Depth=1
	s_or_b32 exec_lo, exec_lo, s47
	s_barrier_signal -1
	s_barrier_wait -1
	s_and_saveexec_b32 s65, s45
	s_cbranch_execz .LBB29_167
; %bb.166:                              ;   in Loop: Header=BB29_3 Depth=1
	ds_load_b64 v[40:41], v3 offset:24960
	s_wait_dscnt 0x0
	v_mul_f64_e32 v[38:39], v[38:39], v[40:41]
	s_delay_alu instid0(VALU_DEP_1) | instskip(NEXT) | instid1(VALU_DEP_2)
	v_xor_b32_e32 v41, 0x80000000, v39
	v_mov_b32_e32 v40, v38
	ds_store_b64 v53, v[40:41]
.LBB29_167:                             ;   in Loop: Header=BB29_3 Depth=1
	s_or_b32 exec_lo, exec_lo, s65
	s_wait_dscnt 0x0
	s_barrier_signal -1
	s_barrier_wait -1
	s_barrier_signal -1
	s_barrier_wait -1
	s_and_saveexec_b32 s47, s3
; %bb.168:                              ;   in Loop: Header=BB29_3 Depth=1
	ds_store_b64 v56, v[38:39] offset:32640
; %bb.169:                              ;   in Loop: Header=BB29_3 Depth=1
	s_or_b32 exec_lo, exec_lo, s47
	s_wait_dscnt 0x0
	s_barrier_signal -1
	s_barrier_wait -1
	s_barrier_signal -1
	s_barrier_wait -1
	s_and_saveexec_b32 s65, s46
	s_cbranch_execz .LBB29_171
; %bb.170:                              ;   in Loop: Header=BB29_3 Depth=1
	ds_load_b64 v[38:39], v72 offset:29056
	s_wait_dscnt 0x0
	ds_store_b64 v73, v[38:39] offset:25024
	ds_load_b64 v[38:39], v72 offset:29064
	s_wait_dscnt 0x0
	ds_store_b64 v73, v[38:39] offset:25536
	;; [unrolled: 3-line block ×8, first 2 shown]
.LBB29_171:                             ;   in Loop: Header=BB29_3 Depth=1
	s_or_b32 exec_lo, exec_lo, s65
	s_wait_dscnt 0x0
	s_barrier_signal -1
	s_barrier_wait -1
	s_and_saveexec_b32 s65, s14
	s_cbranch_execz .LBB29_173
; %bb.172:                              ;   in Loop: Header=BB29_3 Depth=1
	ds_load_b128 v[38:41], v3 offset:28592
	ds_load_b64 v[92:93], v3 offset:28080
	v_add_nc_u32_e64 v2, 0x6800, 0
	s_wait_dscnt 0x0
	v_mul_f64_e32 v[40:41], v[92:93], v[40:41]
	s_delay_alu instid0(VALU_DEP_1)
	v_mul_f64_e32 v[38:39], v[38:39], v[40:41]
	ds_store_2addr_b64 v2, v[38:39], v[38:39] offset0:183 offset1:246
.LBB29_173:                             ;   in Loop: Header=BB29_3 Depth=1
	s_or_b32 exec_lo, exec_lo, s65
	v_mov_b64_e32 v[38:39], 0
	s_wait_dscnt 0x0
	s_barrier_signal -1
	s_barrier_wait -1
	global_wb scope:SCOPE_DEV
	s_wait_storecnt 0x0
	global_inv scope:SCOPE_DEV
	s_and_saveexec_b32 s65, s0
	s_cbranch_execz .LBB29_177
; %bb.174:                              ;   in Loop: Header=BB29_3 Depth=1
	ds_load_b64 v[38:39], v45 offset:28064
	ds_load_b64 v[40:41], v44 offset:28592
	s_wait_dscnt 0x0
	v_fma_f64 v[38:39], v[38:39], v[40:41], 0
	s_and_saveexec_b32 s47, s15
	s_cbranch_execz .LBB29_176
; %bb.175:                              ;   in Loop: Header=BB29_3 Depth=1
	ds_load_b64 v[40:41], v73 offset:28576
	ds_load_b64 v[92:93], v3 offset:28600
	s_wait_dscnt 0x0
	v_fmac_f64_e32 v[38:39], v[40:41], v[92:93]
.LBB29_176:                             ;   in Loop: Header=BB29_3 Depth=1
	s_or_b32 exec_lo, exec_lo, s47
.LBB29_177:                             ;   in Loop: Header=BB29_3 Depth=1
	s_delay_alu instid0(SALU_CYCLE_1)
	s_or_b32 exec_lo, exec_lo, s65
	s_and_saveexec_b32 s65, s92
	s_cbranch_execz .LBB29_179
; %bb.178:                              ;   in Loop: Header=BB29_3 Depth=1
	ds_load_b64 v[40:41], v3 offset:27560
	s_wait_dscnt 0x0
	v_mul_f64_e32 v[38:39], v[38:39], v[40:41]
	s_delay_alu instid0(VALU_DEP_1) | instskip(NEXT) | instid1(VALU_DEP_2)
	v_xor_b32_e32 v41, 0x80000000, v39
	v_mov_b32_e32 v40, v38
	ds_store_b64 v5, v[40:41]
.LBB29_179:                             ;   in Loop: Header=BB29_3 Depth=1
	s_or_b32 exec_lo, exec_lo, s65
	s_wait_loadcnt_dscnt 0x0
	s_barrier_signal -1
	s_barrier_wait -1
	s_and_saveexec_b32 s47, s93
	s_cbranch_execz .LBB29_181
; %bb.180:                              ;   in Loop: Header=BB29_3 Depth=1
	ds_load_b64 v[40:41], v3 offset:27552
	ds_load_b64 v[92:93], v5
	s_wait_dscnt 0x0
	v_fma_f64 v[38:39], -v[40:41], v[92:93], v[38:39]
.LBB29_181:                             ;   in Loop: Header=BB29_3 Depth=1
	s_or_b32 exec_lo, exec_lo, s47
	s_barrier_signal -1
	s_barrier_wait -1
	s_and_saveexec_b32 s65, s93
	s_cbranch_execz .LBB29_183
; %bb.182:                              ;   in Loop: Header=BB29_3 Depth=1
	ds_load_b64 v[40:41], v3 offset:27040
	s_wait_dscnt 0x0
	v_mul_f64_e32 v[38:39], v[38:39], v[40:41]
	s_delay_alu instid0(VALU_DEP_1) | instskip(NEXT) | instid1(VALU_DEP_2)
	v_xor_b32_e32 v41, 0x80000000, v39
	v_mov_b32_e32 v40, v38
	ds_store_b64 v5, v[40:41]
.LBB29_183:                             ;   in Loop: Header=BB29_3 Depth=1
	s_or_b32 exec_lo, exec_lo, s65
	s_wait_dscnt 0x0
	s_barrier_signal -1
	s_barrier_wait -1
	s_barrier_signal -1
	s_barrier_wait -1
	s_and_saveexec_b32 s47, s0
; %bb.184:                              ;   in Loop: Header=BB29_3 Depth=1
	ds_store_b64 v47, v[38:39] offset:28576
; %bb.185:                              ;   in Loop: Header=BB29_3 Depth=1
	s_or_b32 exec_lo, exec_lo, s47
	s_wait_dscnt 0x0
	s_barrier_signal -1
	s_barrier_wait -1
	s_barrier_signal -1
	s_barrier_wait -1
	s_and_saveexec_b32 s47, s94
	s_cbranch_execz .LBB29_187
; %bb.186:                              ;   in Loop: Header=BB29_3 Depth=1
	ds_load_b64 v[38:39], v74 offset:28064
	s_wait_dscnt 0x0
	ds_store_b64 v73, v[38:39] offset:27056
	ds_load_b64 v[38:39], v74 offset:28072
	s_wait_dscnt 0x0
	ds_store_b64 v73, v[38:39] offset:27568
.LBB29_187:                             ;   in Loop: Header=BB29_3 Depth=1
	s_or_b32 exec_lo, exec_lo, s47
	s_wait_dscnt 0x0
	s_barrier_signal -1
	s_barrier_wait -1
	s_and_saveexec_b32 s65, s14
	s_cbranch_execz .LBB29_189
; %bb.188:                              ;   in Loop: Header=BB29_3 Depth=1
	ds_load_b128 v[38:41], v3 offset:27552
	ds_load_b64 v[92:93], v3 offset:27040
	v_add_nc_u32_e64 v2, 0x6800, 0
	s_wait_dscnt 0x0
	v_mul_f64_e32 v[40:41], v[92:93], v[40:41]
	s_delay_alu instid0(VALU_DEP_1)
	v_mul_f64_e32 v[38:39], v[38:39], v[40:41]
	ds_store_2addr_b64 v2, v[38:39], v[38:39] offset0:53 offset1:116
.LBB29_189:                             ;   in Loop: Header=BB29_3 Depth=1
	s_or_b32 exec_lo, exec_lo, s65
	v_mov_b64_e32 v[38:39], 0
	s_wait_dscnt 0x0
	s_barrier_signal -1
	s_barrier_wait -1
	global_wb scope:SCOPE_DEV
	s_wait_storecnt 0x0
	global_inv scope:SCOPE_DEV
	s_and_saveexec_b32 s65, s2
	s_cbranch_execz .LBB29_195
; %bb.190:                              ;   in Loop: Header=BB29_3 Depth=1
	ds_load_b64 v[38:39], v51 offset:27008
	ds_load_b64 v[40:41], v50 offset:28576
	s_wait_dscnt 0x0
	v_fma_f64 v[38:39], v[38:39], v[40:41], 0
	s_and_saveexec_b32 s47, s16
	s_cbranch_execnz .LBB29_1107
; %bb.191:                              ;   in Loop: Header=BB29_3 Depth=1
	s_or_b32 exec_lo, exec_lo, s47
	s_and_saveexec_b32 s47, s17
	s_cbranch_execnz .LBB29_1108
.LBB29_192:                             ;   in Loop: Header=BB29_3 Depth=1
	s_or_b32 exec_lo, exec_lo, s47
	s_and_saveexec_b32 s47, s0
	s_cbranch_execz .LBB29_194
.LBB29_193:                             ;   in Loop: Header=BB29_3 Depth=1
	ds_load_b64 v[40:41], v75 offset:28544
	ds_load_b64 v[92:93], v3 offset:28600
	s_wait_dscnt 0x0
	v_fmac_f64_e32 v[38:39], v[40:41], v[92:93]
.LBB29_194:                             ;   in Loop: Header=BB29_3 Depth=1
	s_or_b32 exec_lo, exec_lo, s47
.LBB29_195:                             ;   in Loop: Header=BB29_3 Depth=1
	s_delay_alu instid0(SALU_CYCLE_1)
	s_or_b32 exec_lo, exec_lo, s65
	s_and_saveexec_b32 s65, s95
	s_cbranch_execz .LBB29_197
; %bb.196:                              ;   in Loop: Header=BB29_3 Depth=1
	ds_load_b64 v[40:41], v3 offset:26520
	s_wait_dscnt 0x0
	v_mul_f64_e32 v[38:39], v[38:39], v[40:41]
	s_delay_alu instid0(VALU_DEP_1) | instskip(NEXT) | instid1(VALU_DEP_2)
	v_xor_b32_e32 v41, 0x80000000, v39
	v_mov_b32_e32 v40, v38
	ds_store_b64 v49, v[40:41]
.LBB29_197:                             ;   in Loop: Header=BB29_3 Depth=1
	s_or_b32 exec_lo, exec_lo, s65
	s_wait_loadcnt_dscnt 0x0
	s_barrier_signal -1
	s_barrier_wait -1
	s_and_saveexec_b32 s47, s96
	s_cbranch_execz .LBB29_199
; %bb.198:                              ;   in Loop: Header=BB29_3 Depth=1
	ds_load_b64 v[40:41], v51 offset:26496
	ds_load_b64 v[92:93], v49
	s_wait_dscnt 0x0
	v_fma_f64 v[38:39], -v[40:41], v[92:93], v[38:39]
.LBB29_199:                             ;   in Loop: Header=BB29_3 Depth=1
	s_or_b32 exec_lo, exec_lo, s47
	s_barrier_signal -1
	s_barrier_wait -1
	s_and_saveexec_b32 s65, s97
	s_cbranch_execz .LBB29_201
; %bb.200:                              ;   in Loop: Header=BB29_3 Depth=1
	ds_load_b64 v[40:41], v3 offset:26000
	s_wait_dscnt 0x0
	v_mul_f64_e32 v[38:39], v[38:39], v[40:41]
	s_delay_alu instid0(VALU_DEP_1) | instskip(NEXT) | instid1(VALU_DEP_2)
	v_xor_b32_e32 v41, 0x80000000, v39
	v_mov_b32_e32 v40, v38
	ds_store_b64 v49, v[40:41]
.LBB29_201:                             ;   in Loop: Header=BB29_3 Depth=1
	s_or_b32 exec_lo, exec_lo, s65
	s_wait_dscnt 0x0
	s_barrier_signal -1
	s_barrier_wait -1
	s_and_saveexec_b32 s47, s98
	s_cbranch_execz .LBB29_203
; %bb.202:                              ;   in Loop: Header=BB29_3 Depth=1
	ds_load_b64 v[40:41], v51 offset:25984
	ds_load_b64 v[92:93], v49
	s_wait_dscnt 0x0
	v_fma_f64 v[38:39], -v[40:41], v[92:93], v[38:39]
.LBB29_203:                             ;   in Loop: Header=BB29_3 Depth=1
	s_or_b32 exec_lo, exec_lo, s47
	s_barrier_signal -1
	s_barrier_wait -1
	s_and_saveexec_b32 s65, s99
	s_cbranch_execz .LBB29_205
; %bb.204:                              ;   in Loop: Header=BB29_3 Depth=1
	ds_load_b64 v[40:41], v3 offset:25480
	s_wait_dscnt 0x0
	v_mul_f64_e32 v[38:39], v[38:39], v[40:41]
	s_delay_alu instid0(VALU_DEP_1) | instskip(NEXT) | instid1(VALU_DEP_2)
	v_xor_b32_e32 v41, 0x80000000, v39
	v_mov_b32_e32 v40, v38
	ds_store_b64 v49, v[40:41]
.LBB29_205:                             ;   in Loop: Header=BB29_3 Depth=1
	s_or_b32 exec_lo, exec_lo, s65
	s_wait_dscnt 0x0
	;; [unrolled: 26-line block ×3, first 2 shown]
	s_barrier_signal -1
	s_barrier_wait -1
	s_barrier_signal -1
	s_barrier_wait -1
	s_and_saveexec_b32 s47, s2
; %bb.210:                              ;   in Loop: Header=BB29_3 Depth=1
	ds_store_b64 v52, v[38:39] offset:28544
; %bb.211:                              ;   in Loop: Header=BB29_3 Depth=1
	s_or_b32 exec_lo, exec_lo, s47
	s_wait_dscnt 0x0
	s_barrier_signal -1
	s_barrier_wait -1
	s_barrier_signal -1
	s_barrier_wait -1
	s_and_saveexec_b32 s65, s101
	s_cbranch_execz .LBB29_213
; %bb.212:                              ;   in Loop: Header=BB29_3 Depth=1
	ds_load_b64 v[38:39], v79 offset:27008
	s_wait_dscnt 0x0
	ds_store_b64 v82, v[38:39] offset:24992
	ds_load_b64 v[38:39], v79 offset:27016
	s_wait_dscnt 0x0
	ds_store_b64 v82, v[38:39] offset:25504
	;; [unrolled: 3-line block ×4, first 2 shown]
.LBB29_213:                             ;   in Loop: Header=BB29_3 Depth=1
	s_or_b32 exec_lo, exec_lo, s65
	s_wait_dscnt 0x0
	s_barrier_signal -1
	s_barrier_wait -1
	s_and_saveexec_b32 s65, s14
	s_cbranch_execz .LBB29_215
; %bb.214:                              ;   in Loop: Header=BB29_3 Depth=1
	ds_load_b128 v[38:41], v3 offset:26512
	ds_load_b64 v[92:93], v3 offset:26000
	v_add_nc_u32_e64 v2, 0x6000, 0
	s_wait_dscnt 0x0
	v_mul_f64_e32 v[40:41], v[92:93], v[40:41]
	s_delay_alu instid0(VALU_DEP_1)
	v_mul_f64_e32 v[38:39], v[38:39], v[40:41]
	ds_store_2addr_b64 v2, v[38:39], v[38:39] offset0:179 offset1:242
.LBB29_215:                             ;   in Loop: Header=BB29_3 Depth=1
	s_or_b32 exec_lo, exec_lo, s65
	v_mov_b64_e32 v[38:39], 0
	s_wait_dscnt 0x0
	s_barrier_signal -1
	s_barrier_wait -1
	global_wb scope:SCOPE_DEV
	s_wait_storecnt 0x0
	global_inv scope:SCOPE_DEV
	s_and_saveexec_b32 s65, s0
	s_cbranch_execz .LBB29_219
; %bb.216:                              ;   in Loop: Header=BB29_3 Depth=1
	ds_load_b64 v[38:39], v45 offset:25984
	ds_load_b64 v[40:41], v44 offset:26512
	s_wait_dscnt 0x0
	v_fma_f64 v[38:39], v[38:39], v[40:41], 0
	s_and_saveexec_b32 s47, s15
	s_cbranch_execz .LBB29_218
; %bb.217:                              ;   in Loop: Header=BB29_3 Depth=1
	ds_load_b64 v[40:41], v82 offset:26496
	ds_load_b64 v[92:93], v3 offset:26520
	s_wait_dscnt 0x0
	v_fmac_f64_e32 v[38:39], v[40:41], v[92:93]
.LBB29_218:                             ;   in Loop: Header=BB29_3 Depth=1
	s_or_b32 exec_lo, exec_lo, s47
.LBB29_219:                             ;   in Loop: Header=BB29_3 Depth=1
	s_delay_alu instid0(SALU_CYCLE_1)
	s_or_b32 exec_lo, exec_lo, s65
	s_and_saveexec_b32 s65, s92
	s_cbranch_execz .LBB29_221
; %bb.220:                              ;   in Loop: Header=BB29_3 Depth=1
	ds_load_b64 v[40:41], v3 offset:25480
	s_wait_dscnt 0x0
	v_mul_f64_e32 v[38:39], v[38:39], v[40:41]
	s_delay_alu instid0(VALU_DEP_1) | instskip(NEXT) | instid1(VALU_DEP_2)
	v_xor_b32_e32 v41, 0x80000000, v39
	v_mov_b32_e32 v40, v38
	ds_store_b64 v5, v[40:41]
.LBB29_221:                             ;   in Loop: Header=BB29_3 Depth=1
	s_or_b32 exec_lo, exec_lo, s65
	s_wait_loadcnt_dscnt 0x0
	s_barrier_signal -1
	s_barrier_wait -1
	s_and_saveexec_b32 s47, s93
	s_cbranch_execz .LBB29_223
; %bb.222:                              ;   in Loop: Header=BB29_3 Depth=1
	ds_load_b64 v[40:41], v3 offset:25472
	ds_load_b64 v[92:93], v5
	s_wait_dscnt 0x0
	v_fma_f64 v[38:39], -v[40:41], v[92:93], v[38:39]
.LBB29_223:                             ;   in Loop: Header=BB29_3 Depth=1
	s_or_b32 exec_lo, exec_lo, s47
	s_barrier_signal -1
	s_barrier_wait -1
	s_and_saveexec_b32 s65, s93
	s_cbranch_execz .LBB29_225
; %bb.224:                              ;   in Loop: Header=BB29_3 Depth=1
	ds_load_b64 v[40:41], v3 offset:24960
	s_wait_dscnt 0x0
	v_mul_f64_e32 v[38:39], v[38:39], v[40:41]
	s_delay_alu instid0(VALU_DEP_1) | instskip(NEXT) | instid1(VALU_DEP_2)
	v_xor_b32_e32 v41, 0x80000000, v39
	v_mov_b32_e32 v40, v38
	ds_store_b64 v5, v[40:41]
.LBB29_225:                             ;   in Loop: Header=BB29_3 Depth=1
	s_or_b32 exec_lo, exec_lo, s65
	s_wait_dscnt 0x0
	s_barrier_signal -1
	s_barrier_wait -1
	s_barrier_signal -1
	s_barrier_wait -1
	s_and_saveexec_b32 s47, s0
; %bb.226:                              ;   in Loop: Header=BB29_3 Depth=1
	ds_store_b64 v47, v[38:39] offset:26496
; %bb.227:                              ;   in Loop: Header=BB29_3 Depth=1
	s_or_b32 exec_lo, exec_lo, s47
	s_wait_dscnt 0x0
	s_barrier_signal -1
	s_barrier_wait -1
	s_barrier_signal -1
	s_barrier_wait -1
	s_and_saveexec_b32 s47, s94
	s_cbranch_execz .LBB29_229
; %bb.228:                              ;   in Loop: Header=BB29_3 Depth=1
	ds_load_b64 v[38:39], v83 offset:25984
	s_wait_dscnt 0x0
	ds_store_b64 v82, v[38:39] offset:24976
	ds_load_b64 v[38:39], v83 offset:25992
	s_wait_dscnt 0x0
	ds_store_b64 v82, v[38:39] offset:25488
.LBB29_229:                             ;   in Loop: Header=BB29_3 Depth=1
	s_or_b32 exec_lo, exec_lo, s47
	s_wait_dscnt 0x0
	s_barrier_signal -1
	s_barrier_wait -1
	s_and_saveexec_b32 s65, s14
	s_cbranch_execz .LBB29_231
; %bb.230:                              ;   in Loop: Header=BB29_3 Depth=1
	ds_load_b128 v[38:41], v3 offset:25472
	ds_load_b64 v[92:93], v3 offset:24960
	v_add_nc_u32_e64 v2, 0x6000, 0
	s_wait_dscnt 0x0
	v_mul_f64_e32 v[40:41], v[92:93], v[40:41]
	s_delay_alu instid0(VALU_DEP_1)
	v_mul_f64_e32 v[38:39], v[38:39], v[40:41]
	ds_store_2addr_b64 v2, v[38:39], v[38:39] offset0:49 offset1:112
.LBB29_231:                             ;   in Loop: Header=BB29_3 Depth=1
	s_or_b32 exec_lo, exec_lo, s65
	v_mov_b64_e32 v[38:39], 0
	s_wait_dscnt 0x0
	s_barrier_signal -1
	s_barrier_wait -1
	global_wb scope:SCOPE_DEV
	s_wait_storecnt 0x0
	global_inv scope:SCOPE_DEV
	s_and_saveexec_b32 s65, s4
	s_cbranch_execz .LBB29_259
; %bb.232:                              ;   in Loop: Header=BB29_3 Depth=1
	ds_load_b64 v[38:39], v59 offset:24832
	ds_load_b64 v[40:41], v58 offset:32640
	s_wait_dscnt 0x0
	v_fma_f64 v[38:39], v[38:39], v[40:41], 0
	s_mov_b32 s47, exec_lo
	v_readlane_b32 s82, v101, 25
	s_and_b32 s82, s47, s82
	s_delay_alu instid0(SALU_CYCLE_1)
	s_mov_b32 exec_lo, s82
	s_cbranch_execz .LBB29_234
; %bb.233:                              ;   in Loop: Header=BB29_3 Depth=1
	ds_load_b64 v[40:41], v59 offset:25344
	ds_load_b64 v[92:93], v58 offset:32648
	s_wait_dscnt 0x0
	v_fmac_f64_e32 v[38:39], v[40:41], v[92:93]
.LBB29_234:                             ;   in Loop: Header=BB29_3 Depth=1
	s_or_b32 exec_lo, exec_lo, s47
	s_delay_alu instid0(SALU_CYCLE_1) | instskip(SKIP_2) | instid1(SALU_CYCLE_1)
	s_mov_b32 s47, exec_lo
	v_readlane_b32 s82, v101, 26
	s_and_b32 s82, s47, s82
	s_mov_b32 exec_lo, s82
	s_cbranch_execz .LBB29_236
; %bb.235:                              ;   in Loop: Header=BB29_3 Depth=1
	ds_load_b64 v[40:41], v59 offset:25856
	ds_load_b64 v[92:93], v58 offset:32656
	s_wait_dscnt 0x0
	v_fmac_f64_e32 v[38:39], v[40:41], v[92:93]
.LBB29_236:                             ;   in Loop: Header=BB29_3 Depth=1
	s_or_b32 exec_lo, exec_lo, s47
	s_delay_alu instid0(SALU_CYCLE_1) | instskip(SKIP_2) | instid1(SALU_CYCLE_1)
	s_mov_b32 s47, exec_lo
	v_readlane_b32 s82, v101, 27
	s_and_b32 s82, s47, s82
	;; [unrolled: 13-line block ×10, first 2 shown]
	s_mov_b32 exec_lo, s82
	s_cbranch_execnz .LBB29_1109
; %bb.253:                              ;   in Loop: Header=BB29_3 Depth=1
	s_or_b32 exec_lo, exec_lo, s47
	s_and_saveexec_b32 s47, s3
	s_cbranch_execnz .LBB29_1110
.LBB29_254:                             ;   in Loop: Header=BB29_3 Depth=1
	s_or_b32 exec_lo, exec_lo, s47
	s_and_saveexec_b32 s47, s19
	s_cbranch_execnz .LBB29_1111
.LBB29_255:                             ;   in Loop: Header=BB29_3 Depth=1
	s_or_b32 exec_lo, exec_lo, s47
	s_and_saveexec_b32 s47, s21
	s_cbranch_execnz .LBB29_1112
.LBB29_256:                             ;   in Loop: Header=BB29_3 Depth=1
	s_or_b32 exec_lo, exec_lo, s47
	s_and_saveexec_b32 s47, s2
	s_cbranch_execz .LBB29_258
.LBB29_257:                             ;   in Loop: Header=BB29_3 Depth=1
	ds_load_b64 v[40:41], v46 offset:32512
	ds_load_b64 v[92:93], v3 offset:32760
	s_wait_dscnt 0x0
	v_fmac_f64_e32 v[38:39], v[40:41], v[92:93]
.LBB29_258:                             ;   in Loop: Header=BB29_3 Depth=1
	s_or_b32 exec_lo, exec_lo, s47
.LBB29_259:                             ;   in Loop: Header=BB29_3 Depth=1
	s_delay_alu instid0(SALU_CYCLE_1) | instskip(NEXT) | instid1(SALU_CYCLE_1)
	s_or_b32 exec_lo, exec_lo, s65
	s_mov_b32 s65, exec_lo
	v_readlane_b32 s47, v101, 6
	s_and_b32 s47, s65, s47
	s_delay_alu instid0(SALU_CYCLE_1)
	s_mov_b32 exec_lo, s47
	s_cbranch_execz .LBB29_261
; %bb.260:                              ;   in Loop: Header=BB29_3 Depth=1
	ds_load_b64 v[40:41], v3 offset:24440
	s_wait_dscnt 0x0
	v_mul_f64_e32 v[38:39], v[38:39], v[40:41]
	s_delay_alu instid0(VALU_DEP_1) | instskip(NEXT) | instid1(VALU_DEP_2)
	v_xor_b32_e32 v41, 0x80000000, v39
	v_mov_b32_e32 v40, v38
	ds_store_b64 v57, v[40:41]
.LBB29_261:                             ;   in Loop: Header=BB29_3 Depth=1
	s_or_b32 exec_lo, exec_lo, s65
	s_wait_loadcnt_dscnt 0x0
	s_barrier_signal -1
	s_barrier_wait -1
	s_and_saveexec_b32 s47, s48
	s_cbranch_execz .LBB29_263
; %bb.262:                              ;   in Loop: Header=BB29_3 Depth=1
	ds_load_b64 v[40:41], v59 offset:24320
	ds_load_b64 v[92:93], v57
	s_wait_dscnt 0x0
	v_fma_f64 v[38:39], -v[40:41], v[92:93], v[38:39]
.LBB29_263:                             ;   in Loop: Header=BB29_3 Depth=1
	s_or_b32 exec_lo, exec_lo, s47
	s_barrier_signal -1
	s_barrier_wait -1
	s_and_saveexec_b32 s65, s49
	s_cbranch_execz .LBB29_265
; %bb.264:                              ;   in Loop: Header=BB29_3 Depth=1
	ds_load_b64 v[40:41], v3 offset:23920
	s_wait_dscnt 0x0
	v_mul_f64_e32 v[38:39], v[38:39], v[40:41]
	s_delay_alu instid0(VALU_DEP_1) | instskip(NEXT) | instid1(VALU_DEP_2)
	v_xor_b32_e32 v41, 0x80000000, v39
	v_mov_b32_e32 v40, v38
	ds_store_b64 v57, v[40:41]
.LBB29_265:                             ;   in Loop: Header=BB29_3 Depth=1
	s_or_b32 exec_lo, exec_lo, s65
	s_wait_dscnt 0x0
	s_barrier_signal -1
	s_barrier_wait -1
	s_and_saveexec_b32 s47, s50
	s_cbranch_execz .LBB29_267
; %bb.266:                              ;   in Loop: Header=BB29_3 Depth=1
	ds_load_b64 v[40:41], v59 offset:23808
	ds_load_b64 v[92:93], v57
	s_wait_dscnt 0x0
	v_fma_f64 v[38:39], -v[40:41], v[92:93], v[38:39]
.LBB29_267:                             ;   in Loop: Header=BB29_3 Depth=1
	s_or_b32 exec_lo, exec_lo, s47
	s_barrier_signal -1
	s_barrier_wait -1
	s_and_saveexec_b32 s65, s51
	s_cbranch_execz .LBB29_269
; %bb.268:                              ;   in Loop: Header=BB29_3 Depth=1
	ds_load_b64 v[40:41], v3 offset:23400
	s_wait_dscnt 0x0
	v_mul_f64_e32 v[38:39], v[38:39], v[40:41]
	s_delay_alu instid0(VALU_DEP_1) | instskip(NEXT) | instid1(VALU_DEP_2)
	v_xor_b32_e32 v41, 0x80000000, v39
	v_mov_b32_e32 v40, v38
	ds_store_b64 v57, v[40:41]
.LBB29_269:                             ;   in Loop: Header=BB29_3 Depth=1
	s_or_b32 exec_lo, exec_lo, s65
	s_wait_dscnt 0x0
	;; [unrolled: 26-line block ×15, first 2 shown]
	s_barrier_signal -1
	s_barrier_wait -1
	s_barrier_signal -1
	s_barrier_wait -1
	s_and_saveexec_b32 s47, s4
; %bb.322:                              ;   in Loop: Header=BB29_3 Depth=1
	ds_store_b64 v60, v[38:39] offset:32512
; %bb.323:                              ;   in Loop: Header=BB29_3 Depth=1
	s_or_b32 exec_lo, exec_lo, s47
	s_wait_dscnt 0x0
	s_barrier_signal -1
	s_barrier_wait -1
	s_barrier_signal -1
	s_barrier_wait -1
	s_and_saveexec_b32 s65, s10
	s_cbranch_execz .LBB29_325
; %bb.324:                              ;   in Loop: Header=BB29_3 Depth=1
	ds_load_b64 v[38:39], v48 offset:24832
	s_wait_dscnt 0x0
	ds_store_b64 v65, v[38:39] offset:16768
	ds_load_b64 v[38:39], v48 offset:24840
	s_wait_dscnt 0x0
	ds_store_b64 v65, v[38:39] offset:17280
	;; [unrolled: 3-line block ×16, first 2 shown]
.LBB29_325:                             ;   in Loop: Header=BB29_3 Depth=1
	s_or_b32 exec_lo, exec_lo, s65
	s_wait_dscnt 0x0
	s_barrier_signal -1
	s_barrier_wait -1
	s_and_saveexec_b32 s65, s14
	s_cbranch_execz .LBB29_327
; %bb.326:                              ;   in Loop: Header=BB29_3 Depth=1
	ds_load_b128 v[38:41], v3 offset:24432
	ds_load_b64 v[92:93], v3 offset:23920
	v_add_nc_u32_e64 v2, 0x5800, 0
	s_wait_dscnt 0x0
	v_mul_f64_e32 v[40:41], v[92:93], v[40:41]
	s_delay_alu instid0(VALU_DEP_1)
	v_mul_f64_e32 v[38:39], v[38:39], v[40:41]
	ds_store_2addr_b64 v2, v[38:39], v[38:39] offset0:175 offset1:238
.LBB29_327:                             ;   in Loop: Header=BB29_3 Depth=1
	s_or_b32 exec_lo, exec_lo, s65
	v_mov_b64_e32 v[38:39], 0
	s_wait_dscnt 0x0
	s_barrier_signal -1
	s_barrier_wait -1
	global_wb scope:SCOPE_DEV
	s_wait_storecnt 0x0
	global_inv scope:SCOPE_DEV
	s_and_saveexec_b32 s65, s0
	s_cbranch_execz .LBB29_331
; %bb.328:                              ;   in Loop: Header=BB29_3 Depth=1
	ds_load_b64 v[38:39], v45 offset:23904
	ds_load_b64 v[40:41], v44 offset:24432
	s_wait_dscnt 0x0
	v_fma_f64 v[38:39], v[38:39], v[40:41], 0
	s_and_saveexec_b32 s47, s15
	s_cbranch_execz .LBB29_330
; %bb.329:                              ;   in Loop: Header=BB29_3 Depth=1
	ds_load_b64 v[40:41], v46 offset:24416
	ds_load_b64 v[92:93], v3 offset:24440
	s_wait_dscnt 0x0
	v_fmac_f64_e32 v[38:39], v[40:41], v[92:93]
.LBB29_330:                             ;   in Loop: Header=BB29_3 Depth=1
	s_or_b32 exec_lo, exec_lo, s47
.LBB29_331:                             ;   in Loop: Header=BB29_3 Depth=1
	s_delay_alu instid0(SALU_CYCLE_1)
	s_or_b32 exec_lo, exec_lo, s65
	s_and_saveexec_b32 s65, s92
	s_cbranch_execz .LBB29_333
; %bb.332:                              ;   in Loop: Header=BB29_3 Depth=1
	ds_load_b64 v[40:41], v3 offset:23400
	s_wait_dscnt 0x0
	v_mul_f64_e32 v[38:39], v[38:39], v[40:41]
	s_delay_alu instid0(VALU_DEP_1) | instskip(NEXT) | instid1(VALU_DEP_2)
	v_xor_b32_e32 v41, 0x80000000, v39
	v_mov_b32_e32 v40, v38
	ds_store_b64 v5, v[40:41]
.LBB29_333:                             ;   in Loop: Header=BB29_3 Depth=1
	s_or_b32 exec_lo, exec_lo, s65
	s_wait_loadcnt_dscnt 0x0
	s_barrier_signal -1
	s_barrier_wait -1
	s_and_saveexec_b32 s47, s93
	s_cbranch_execz .LBB29_335
; %bb.334:                              ;   in Loop: Header=BB29_3 Depth=1
	ds_load_b64 v[40:41], v3 offset:23392
	ds_load_b64 v[92:93], v5
	s_wait_dscnt 0x0
	v_fma_f64 v[38:39], -v[40:41], v[92:93], v[38:39]
.LBB29_335:                             ;   in Loop: Header=BB29_3 Depth=1
	s_or_b32 exec_lo, exec_lo, s47
	s_barrier_signal -1
	s_barrier_wait -1
	s_and_saveexec_b32 s65, s93
	s_cbranch_execz .LBB29_337
; %bb.336:                              ;   in Loop: Header=BB29_3 Depth=1
	ds_load_b64 v[40:41], v3 offset:22880
	s_wait_dscnt 0x0
	v_mul_f64_e32 v[38:39], v[38:39], v[40:41]
	s_delay_alu instid0(VALU_DEP_1) | instskip(NEXT) | instid1(VALU_DEP_2)
	v_xor_b32_e32 v41, 0x80000000, v39
	v_mov_b32_e32 v40, v38
	ds_store_b64 v5, v[40:41]
.LBB29_337:                             ;   in Loop: Header=BB29_3 Depth=1
	s_or_b32 exec_lo, exec_lo, s65
	s_wait_dscnt 0x0
	s_barrier_signal -1
	s_barrier_wait -1
	s_barrier_signal -1
	s_barrier_wait -1
	s_and_saveexec_b32 s47, s0
; %bb.338:                              ;   in Loop: Header=BB29_3 Depth=1
	ds_store_b64 v47, v[38:39] offset:24416
; %bb.339:                              ;   in Loop: Header=BB29_3 Depth=1
	s_or_b32 exec_lo, exec_lo, s47
	s_wait_dscnt 0x0
	s_barrier_signal -1
	s_barrier_wait -1
	s_barrier_signal -1
	s_barrier_wait -1
	s_and_saveexec_b32 s47, s94
	s_cbranch_execz .LBB29_341
; %bb.340:                              ;   in Loop: Header=BB29_3 Depth=1
	ds_load_b64 v[38:39], v48 offset:23904
	s_wait_dscnt 0x0
	ds_store_b64 v46, v[38:39] offset:22896
	ds_load_b64 v[38:39], v48 offset:23912
	s_wait_dscnt 0x0
	ds_store_b64 v46, v[38:39] offset:23408
.LBB29_341:                             ;   in Loop: Header=BB29_3 Depth=1
	s_or_b32 exec_lo, exec_lo, s47
	s_wait_dscnt 0x0
	s_barrier_signal -1
	s_barrier_wait -1
	s_and_saveexec_b32 s65, s14
	s_cbranch_execz .LBB29_343
; %bb.342:                              ;   in Loop: Header=BB29_3 Depth=1
	ds_load_b128 v[38:41], v3 offset:23392
	ds_load_b64 v[92:93], v3 offset:22880
	v_add_nc_u32_e64 v2, 0x5800, 0
	s_wait_dscnt 0x0
	v_mul_f64_e32 v[40:41], v[92:93], v[40:41]
	s_delay_alu instid0(VALU_DEP_1)
	v_mul_f64_e32 v[38:39], v[38:39], v[40:41]
	ds_store_2addr_b64 v2, v[38:39], v[38:39] offset0:45 offset1:108
.LBB29_343:                             ;   in Loop: Header=BB29_3 Depth=1
	s_or_b32 exec_lo, exec_lo, s65
	v_mov_b64_e32 v[38:39], 0
	s_wait_dscnt 0x0
	s_barrier_signal -1
	s_barrier_wait -1
	global_wb scope:SCOPE_DEV
	s_wait_storecnt 0x0
	global_inv scope:SCOPE_DEV
	s_and_saveexec_b32 s65, s2
	s_cbranch_execz .LBB29_349
; %bb.344:                              ;   in Loop: Header=BB29_3 Depth=1
	ds_load_b64 v[38:39], v51 offset:22848
	ds_load_b64 v[40:41], v50 offset:24416
	s_wait_dscnt 0x0
	v_fma_f64 v[38:39], v[38:39], v[40:41], 0
	s_and_saveexec_b32 s47, s16
	s_cbranch_execnz .LBB29_1113
; %bb.345:                              ;   in Loop: Header=BB29_3 Depth=1
	s_or_b32 exec_lo, exec_lo, s47
	s_and_saveexec_b32 s47, s17
	s_cbranch_execnz .LBB29_1114
.LBB29_346:                             ;   in Loop: Header=BB29_3 Depth=1
	s_or_b32 exec_lo, exec_lo, s47
	s_and_saveexec_b32 s47, s0
	s_cbranch_execz .LBB29_348
.LBB29_347:                             ;   in Loop: Header=BB29_3 Depth=1
	ds_load_b64 v[40:41], v65 offset:24384
	ds_load_b64 v[92:93], v3 offset:24440
	s_wait_dscnt 0x0
	v_fmac_f64_e32 v[38:39], v[40:41], v[92:93]
.LBB29_348:                             ;   in Loop: Header=BB29_3 Depth=1
	s_or_b32 exec_lo, exec_lo, s47
.LBB29_349:                             ;   in Loop: Header=BB29_3 Depth=1
	s_delay_alu instid0(SALU_CYCLE_1)
	s_or_b32 exec_lo, exec_lo, s65
	s_and_saveexec_b32 s65, s95
	s_cbranch_execz .LBB29_351
; %bb.350:                              ;   in Loop: Header=BB29_3 Depth=1
	ds_load_b64 v[40:41], v3 offset:22360
	s_wait_dscnt 0x0
	v_mul_f64_e32 v[38:39], v[38:39], v[40:41]
	s_delay_alu instid0(VALU_DEP_1) | instskip(NEXT) | instid1(VALU_DEP_2)
	v_xor_b32_e32 v41, 0x80000000, v39
	v_mov_b32_e32 v40, v38
	ds_store_b64 v49, v[40:41]
.LBB29_351:                             ;   in Loop: Header=BB29_3 Depth=1
	s_or_b32 exec_lo, exec_lo, s65
	s_wait_loadcnt_dscnt 0x0
	s_barrier_signal -1
	s_barrier_wait -1
	s_and_saveexec_b32 s47, s96
	s_cbranch_execz .LBB29_353
; %bb.352:                              ;   in Loop: Header=BB29_3 Depth=1
	ds_load_b64 v[40:41], v51 offset:22336
	ds_load_b64 v[92:93], v49
	s_wait_dscnt 0x0
	v_fma_f64 v[38:39], -v[40:41], v[92:93], v[38:39]
.LBB29_353:                             ;   in Loop: Header=BB29_3 Depth=1
	s_or_b32 exec_lo, exec_lo, s47
	s_barrier_signal -1
	s_barrier_wait -1
	s_and_saveexec_b32 s65, s97
	s_cbranch_execz .LBB29_355
; %bb.354:                              ;   in Loop: Header=BB29_3 Depth=1
	ds_load_b64 v[40:41], v3 offset:21840
	s_wait_dscnt 0x0
	v_mul_f64_e32 v[38:39], v[38:39], v[40:41]
	s_delay_alu instid0(VALU_DEP_1) | instskip(NEXT) | instid1(VALU_DEP_2)
	v_xor_b32_e32 v41, 0x80000000, v39
	v_mov_b32_e32 v40, v38
	ds_store_b64 v49, v[40:41]
.LBB29_355:                             ;   in Loop: Header=BB29_3 Depth=1
	s_or_b32 exec_lo, exec_lo, s65
	s_wait_dscnt 0x0
	s_barrier_signal -1
	s_barrier_wait -1
	s_and_saveexec_b32 s47, s98
	s_cbranch_execz .LBB29_357
; %bb.356:                              ;   in Loop: Header=BB29_3 Depth=1
	ds_load_b64 v[40:41], v51 offset:21824
	ds_load_b64 v[92:93], v49
	s_wait_dscnt 0x0
	v_fma_f64 v[38:39], -v[40:41], v[92:93], v[38:39]
.LBB29_357:                             ;   in Loop: Header=BB29_3 Depth=1
	s_or_b32 exec_lo, exec_lo, s47
	s_barrier_signal -1
	s_barrier_wait -1
	s_and_saveexec_b32 s65, s99
	s_cbranch_execz .LBB29_359
; %bb.358:                              ;   in Loop: Header=BB29_3 Depth=1
	ds_load_b64 v[40:41], v3 offset:21320
	s_wait_dscnt 0x0
	v_mul_f64_e32 v[38:39], v[38:39], v[40:41]
	s_delay_alu instid0(VALU_DEP_1) | instskip(NEXT) | instid1(VALU_DEP_2)
	v_xor_b32_e32 v41, 0x80000000, v39
	v_mov_b32_e32 v40, v38
	ds_store_b64 v49, v[40:41]
.LBB29_359:                             ;   in Loop: Header=BB29_3 Depth=1
	s_or_b32 exec_lo, exec_lo, s65
	s_wait_dscnt 0x0
	;; [unrolled: 26-line block ×3, first 2 shown]
	s_barrier_signal -1
	s_barrier_wait -1
	s_barrier_signal -1
	s_barrier_wait -1
	s_and_saveexec_b32 s47, s2
; %bb.364:                              ;   in Loop: Header=BB29_3 Depth=1
	ds_store_b64 v52, v[38:39] offset:24384
; %bb.365:                              ;   in Loop: Header=BB29_3 Depth=1
	s_or_b32 exec_lo, exec_lo, s47
	s_wait_dscnt 0x0
	s_barrier_signal -1
	s_barrier_wait -1
	s_barrier_signal -1
	s_barrier_wait -1
	s_and_saveexec_b32 s65, s101
	s_cbranch_execz .LBB29_367
; %bb.366:                              ;   in Loop: Header=BB29_3 Depth=1
	ds_load_b64 v[38:39], v68 offset:22848
	s_wait_dscnt 0x0
	ds_store_b64 v69, v[38:39] offset:20832
	ds_load_b64 v[38:39], v68 offset:22856
	s_wait_dscnt 0x0
	ds_store_b64 v69, v[38:39] offset:21344
	ds_load_b64 v[38:39], v68 offset:22864
	s_wait_dscnt 0x0
	ds_store_b64 v69, v[38:39] offset:21856
	ds_load_b64 v[38:39], v68 offset:22872
	s_wait_dscnt 0x0
	ds_store_b64 v69, v[38:39] offset:22368
.LBB29_367:                             ;   in Loop: Header=BB29_3 Depth=1
	s_or_b32 exec_lo, exec_lo, s65
	s_wait_dscnt 0x0
	s_barrier_signal -1
	s_barrier_wait -1
	s_and_saveexec_b32 s65, s14
	s_cbranch_execz .LBB29_369
; %bb.368:                              ;   in Loop: Header=BB29_3 Depth=1
	ds_load_b128 v[38:41], v3 offset:22352
	ds_load_b64 v[92:93], v3 offset:21840
	v_add_nc_u32_e64 v2, 0x5000, 0
	s_wait_dscnt 0x0
	v_mul_f64_e32 v[40:41], v[92:93], v[40:41]
	s_delay_alu instid0(VALU_DEP_1)
	v_mul_f64_e32 v[38:39], v[38:39], v[40:41]
	ds_store_2addr_b64 v2, v[38:39], v[38:39] offset0:171 offset1:234
.LBB29_369:                             ;   in Loop: Header=BB29_3 Depth=1
	s_or_b32 exec_lo, exec_lo, s65
	v_mov_b64_e32 v[38:39], 0
	s_wait_dscnt 0x0
	s_barrier_signal -1
	s_barrier_wait -1
	global_wb scope:SCOPE_DEV
	s_wait_storecnt 0x0
	global_inv scope:SCOPE_DEV
	s_and_saveexec_b32 s65, s0
	s_cbranch_execz .LBB29_373
; %bb.370:                              ;   in Loop: Header=BB29_3 Depth=1
	ds_load_b64 v[38:39], v45 offset:21824
	ds_load_b64 v[40:41], v44 offset:22352
	s_wait_dscnt 0x0
	v_fma_f64 v[38:39], v[38:39], v[40:41], 0
	s_and_saveexec_b32 s47, s15
	s_cbranch_execz .LBB29_372
; %bb.371:                              ;   in Loop: Header=BB29_3 Depth=1
	ds_load_b64 v[40:41], v69 offset:22336
	ds_load_b64 v[92:93], v3 offset:22360
	s_wait_dscnt 0x0
	v_fmac_f64_e32 v[38:39], v[40:41], v[92:93]
.LBB29_372:                             ;   in Loop: Header=BB29_3 Depth=1
	s_or_b32 exec_lo, exec_lo, s47
.LBB29_373:                             ;   in Loop: Header=BB29_3 Depth=1
	s_delay_alu instid0(SALU_CYCLE_1)
	s_or_b32 exec_lo, exec_lo, s65
	s_and_saveexec_b32 s65, s92
	s_cbranch_execz .LBB29_375
; %bb.374:                              ;   in Loop: Header=BB29_3 Depth=1
	ds_load_b64 v[40:41], v3 offset:21320
	s_wait_dscnt 0x0
	v_mul_f64_e32 v[38:39], v[38:39], v[40:41]
	s_delay_alu instid0(VALU_DEP_1) | instskip(NEXT) | instid1(VALU_DEP_2)
	v_xor_b32_e32 v41, 0x80000000, v39
	v_mov_b32_e32 v40, v38
	ds_store_b64 v5, v[40:41]
.LBB29_375:                             ;   in Loop: Header=BB29_3 Depth=1
	s_or_b32 exec_lo, exec_lo, s65
	s_wait_loadcnt_dscnt 0x0
	s_barrier_signal -1
	s_barrier_wait -1
	s_and_saveexec_b32 s47, s93
	s_cbranch_execz .LBB29_377
; %bb.376:                              ;   in Loop: Header=BB29_3 Depth=1
	ds_load_b64 v[40:41], v3 offset:21312
	ds_load_b64 v[92:93], v5
	s_wait_dscnt 0x0
	v_fma_f64 v[38:39], -v[40:41], v[92:93], v[38:39]
.LBB29_377:                             ;   in Loop: Header=BB29_3 Depth=1
	s_or_b32 exec_lo, exec_lo, s47
	s_barrier_signal -1
	s_barrier_wait -1
	s_and_saveexec_b32 s65, s93
	s_cbranch_execz .LBB29_379
; %bb.378:                              ;   in Loop: Header=BB29_3 Depth=1
	ds_load_b64 v[40:41], v3 offset:20800
	s_wait_dscnt 0x0
	v_mul_f64_e32 v[38:39], v[38:39], v[40:41]
	s_delay_alu instid0(VALU_DEP_1) | instskip(NEXT) | instid1(VALU_DEP_2)
	v_xor_b32_e32 v41, 0x80000000, v39
	v_mov_b32_e32 v40, v38
	ds_store_b64 v5, v[40:41]
.LBB29_379:                             ;   in Loop: Header=BB29_3 Depth=1
	s_or_b32 exec_lo, exec_lo, s65
	s_wait_dscnt 0x0
	s_barrier_signal -1
	s_barrier_wait -1
	s_barrier_signal -1
	s_barrier_wait -1
	s_and_saveexec_b32 s47, s0
; %bb.380:                              ;   in Loop: Header=BB29_3 Depth=1
	ds_store_b64 v47, v[38:39] offset:22336
; %bb.381:                              ;   in Loop: Header=BB29_3 Depth=1
	s_or_b32 exec_lo, exec_lo, s47
	s_wait_dscnt 0x0
	s_barrier_signal -1
	s_barrier_wait -1
	s_barrier_signal -1
	s_barrier_wait -1
	s_and_saveexec_b32 s47, s94
	s_cbranch_execz .LBB29_383
; %bb.382:                              ;   in Loop: Header=BB29_3 Depth=1
	ds_load_b64 v[38:39], v70 offset:21824
	s_wait_dscnt 0x0
	ds_store_b64 v69, v[38:39] offset:20816
	ds_load_b64 v[38:39], v70 offset:21832
	s_wait_dscnt 0x0
	ds_store_b64 v69, v[38:39] offset:21328
.LBB29_383:                             ;   in Loop: Header=BB29_3 Depth=1
	s_or_b32 exec_lo, exec_lo, s47
	s_wait_dscnt 0x0
	s_barrier_signal -1
	s_barrier_wait -1
	s_and_saveexec_b32 s65, s14
	s_cbranch_execz .LBB29_385
; %bb.384:                              ;   in Loop: Header=BB29_3 Depth=1
	ds_load_b128 v[38:41], v3 offset:21312
	ds_load_b64 v[92:93], v3 offset:20800
	v_add_nc_u32_e64 v2, 0x5000, 0
	s_wait_dscnt 0x0
	v_mul_f64_e32 v[40:41], v[92:93], v[40:41]
	s_delay_alu instid0(VALU_DEP_1)
	v_mul_f64_e32 v[38:39], v[38:39], v[40:41]
	ds_store_2addr_b64 v2, v[38:39], v[38:39] offset0:41 offset1:104
.LBB29_385:                             ;   in Loop: Header=BB29_3 Depth=1
	s_or_b32 exec_lo, exec_lo, s65
	v_mov_b64_e32 v[38:39], 0
	s_wait_dscnt 0x0
	s_barrier_signal -1
	s_barrier_wait -1
	global_wb scope:SCOPE_DEV
	s_wait_storecnt 0x0
	global_inv scope:SCOPE_DEV
	s_and_saveexec_b32 s65, s3
	s_cbranch_execz .LBB29_395
; %bb.386:                              ;   in Loop: Header=BB29_3 Depth=1
	ds_load_b64 v[38:39], v55 offset:20736
	ds_load_b64 v[40:41], v54 offset:24384
	s_wait_dscnt 0x0
	v_fma_f64 v[38:39], v[38:39], v[40:41], 0
	s_and_saveexec_b32 s47, s18
	s_cbranch_execnz .LBB29_1115
; %bb.387:                              ;   in Loop: Header=BB29_3 Depth=1
	s_or_b32 exec_lo, exec_lo, s47
	s_and_saveexec_b32 s47, s19
	s_cbranch_execnz .LBB29_1116
.LBB29_388:                             ;   in Loop: Header=BB29_3 Depth=1
	s_or_b32 exec_lo, exec_lo, s47
	s_and_saveexec_b32 s47, s20
	s_cbranch_execnz .LBB29_1117
.LBB29_389:                             ;   in Loop: Header=BB29_3 Depth=1
	s_or_b32 exec_lo, exec_lo, s47
	s_and_saveexec_b32 s47, s21
	s_cbranch_execnz .LBB29_1118
.LBB29_390:                             ;   in Loop: Header=BB29_3 Depth=1
	s_or_b32 exec_lo, exec_lo, s47
	s_and_saveexec_b32 s47, s22
	s_cbranch_execnz .LBB29_1119
.LBB29_391:                             ;   in Loop: Header=BB29_3 Depth=1
	s_or_b32 exec_lo, exec_lo, s47
	s_and_saveexec_b32 s47, s2
	s_cbranch_execnz .LBB29_1120
.LBB29_392:                             ;   in Loop: Header=BB29_3 Depth=1
	s_or_b32 exec_lo, exec_lo, s47
	s_and_saveexec_b32 s47, s17
	s_cbranch_execz .LBB29_394
.LBB29_393:                             ;   in Loop: Header=BB29_3 Depth=1
	ds_load_b64 v[40:41], v71 offset:24320
	ds_load_b64 v[92:93], v3 offset:24440
	s_wait_dscnt 0x0
	v_fmac_f64_e32 v[38:39], v[40:41], v[92:93]
.LBB29_394:                             ;   in Loop: Header=BB29_3 Depth=1
	s_or_b32 exec_lo, exec_lo, s47
.LBB29_395:                             ;   in Loop: Header=BB29_3 Depth=1
	s_delay_alu instid0(SALU_CYCLE_1)
	s_or_b32 exec_lo, exec_lo, s65
	s_and_saveexec_b32 s65, s102
	s_cbranch_execz .LBB29_397
; %bb.396:                              ;   in Loop: Header=BB29_3 Depth=1
	ds_load_b64 v[40:41], v3 offset:20280
	s_wait_dscnt 0x0
	v_mul_f64_e32 v[38:39], v[38:39], v[40:41]
	s_delay_alu instid0(VALU_DEP_1) | instskip(NEXT) | instid1(VALU_DEP_2)
	v_xor_b32_e32 v41, 0x80000000, v39
	v_mov_b32_e32 v40, v38
	ds_store_b64 v53, v[40:41]
.LBB29_397:                             ;   in Loop: Header=BB29_3 Depth=1
	s_or_b32 exec_lo, exec_lo, s65
	s_wait_loadcnt_dscnt 0x0
	s_barrier_signal -1
	s_barrier_wait -1
	s_and_saveexec_b32 s47, s103
	s_cbranch_execz .LBB29_399
; %bb.398:                              ;   in Loop: Header=BB29_3 Depth=1
	ds_load_b64 v[40:41], v55 offset:20224
	ds_load_b64 v[92:93], v53
	s_wait_dscnt 0x0
	v_fma_f64 v[38:39], -v[40:41], v[92:93], v[38:39]
.LBB29_399:                             ;   in Loop: Header=BB29_3 Depth=1
	s_or_b32 exec_lo, exec_lo, s47
	s_barrier_signal -1
	s_barrier_wait -1
	s_and_saveexec_b32 s65, s104
	s_cbranch_execz .LBB29_401
; %bb.400:                              ;   in Loop: Header=BB29_3 Depth=1
	ds_load_b64 v[40:41], v3 offset:19760
	s_wait_dscnt 0x0
	v_mul_f64_e32 v[38:39], v[38:39], v[40:41]
	s_delay_alu instid0(VALU_DEP_1) | instskip(NEXT) | instid1(VALU_DEP_2)
	v_xor_b32_e32 v41, 0x80000000, v39
	v_mov_b32_e32 v40, v38
	ds_store_b64 v53, v[40:41]
.LBB29_401:                             ;   in Loop: Header=BB29_3 Depth=1
	s_or_b32 exec_lo, exec_lo, s65
	s_wait_dscnt 0x0
	s_barrier_signal -1
	s_barrier_wait -1
	s_and_saveexec_b32 s47, vcc_hi
	s_cbranch_execz .LBB29_403
; %bb.402:                              ;   in Loop: Header=BB29_3 Depth=1
	ds_load_b64 v[40:41], v55 offset:19712
	ds_load_b64 v[92:93], v53
	s_wait_dscnt 0x0
	v_fma_f64 v[38:39], -v[40:41], v[92:93], v[38:39]
.LBB29_403:                             ;   in Loop: Header=BB29_3 Depth=1
	s_or_b32 exec_lo, exec_lo, s47
	s_barrier_signal -1
	s_barrier_wait -1
	s_and_saveexec_b32 s65, s36
	s_cbranch_execz .LBB29_405
; %bb.404:                              ;   in Loop: Header=BB29_3 Depth=1
	ds_load_b64 v[40:41], v3 offset:19240
	s_wait_dscnt 0x0
	v_mul_f64_e32 v[38:39], v[38:39], v[40:41]
	s_delay_alu instid0(VALU_DEP_1) | instskip(NEXT) | instid1(VALU_DEP_2)
	v_xor_b32_e32 v41, 0x80000000, v39
	v_mov_b32_e32 v40, v38
	ds_store_b64 v53, v[40:41]
.LBB29_405:                             ;   in Loop: Header=BB29_3 Depth=1
	s_or_b32 exec_lo, exec_lo, s65
	s_wait_dscnt 0x0
	s_barrier_signal -1
	s_barrier_wait -1
	s_and_saveexec_b32 s47, s37
	s_cbranch_execz .LBB29_407
; %bb.406:                              ;   in Loop: Header=BB29_3 Depth=1
	ds_load_b64 v[40:41], v55 offset:19200
	ds_load_b64 v[92:93], v53
	s_wait_dscnt 0x0
	v_fma_f64 v[38:39], -v[40:41], v[92:93], v[38:39]
.LBB29_407:                             ;   in Loop: Header=BB29_3 Depth=1
	s_or_b32 exec_lo, exec_lo, s47
	s_barrier_signal -1
	s_barrier_wait -1
	s_and_saveexec_b32 s65, s38
	s_cbranch_execz .LBB29_409
; %bb.408:                              ;   in Loop: Header=BB29_3 Depth=1
	ds_load_b64 v[40:41], v3 offset:18720
	s_wait_dscnt 0x0
	v_mul_f64_e32 v[38:39], v[38:39], v[40:41]
	s_delay_alu instid0(VALU_DEP_1) | instskip(NEXT) | instid1(VALU_DEP_2)
	v_xor_b32_e32 v41, 0x80000000, v39
	v_mov_b32_e32 v40, v38
	ds_store_b64 v53, v[40:41]
.LBB29_409:                             ;   in Loop: Header=BB29_3 Depth=1
	s_or_b32 exec_lo, exec_lo, s65
	s_wait_dscnt 0x0
	s_barrier_signal -1
	s_barrier_wait -1
	s_and_saveexec_b32 s47, s39
	;; [unrolled: 26-line block ×5, first 2 shown]
	s_cbranch_execz .LBB29_423
; %bb.422:                              ;   in Loop: Header=BB29_3 Depth=1
	ds_load_b64 v[40:41], v3 offset:17152
	ds_load_b64 v[92:93], v53
	s_wait_dscnt 0x0
	v_fma_f64 v[38:39], -v[40:41], v[92:93], v[38:39]
.LBB29_423:                             ;   in Loop: Header=BB29_3 Depth=1
	s_or_b32 exec_lo, exec_lo, s47
	s_barrier_signal -1
	s_barrier_wait -1
	s_and_saveexec_b32 s65, s45
	s_cbranch_execz .LBB29_425
; %bb.424:                              ;   in Loop: Header=BB29_3 Depth=1
	ds_load_b64 v[40:41], v3 offset:16640
	s_wait_dscnt 0x0
	v_mul_f64_e32 v[38:39], v[38:39], v[40:41]
	s_delay_alu instid0(VALU_DEP_1) | instskip(NEXT) | instid1(VALU_DEP_2)
	v_xor_b32_e32 v41, 0x80000000, v39
	v_mov_b32_e32 v40, v38
	ds_store_b64 v53, v[40:41]
.LBB29_425:                             ;   in Loop: Header=BB29_3 Depth=1
	s_or_b32 exec_lo, exec_lo, s65
	s_wait_dscnt 0x0
	s_barrier_signal -1
	s_barrier_wait -1
	s_barrier_signal -1
	s_barrier_wait -1
	s_and_saveexec_b32 s47, s3
; %bb.426:                              ;   in Loop: Header=BB29_3 Depth=1
	ds_store_b64 v56, v[38:39] offset:24320
; %bb.427:                              ;   in Loop: Header=BB29_3 Depth=1
	s_or_b32 exec_lo, exec_lo, s47
	s_wait_dscnt 0x0
	s_barrier_signal -1
	s_barrier_wait -1
	s_barrier_signal -1
	s_barrier_wait -1
	s_and_saveexec_b32 s65, s46
	s_cbranch_execz .LBB29_429
; %bb.428:                              ;   in Loop: Header=BB29_3 Depth=1
	ds_load_b64 v[38:39], v72 offset:20736
	s_wait_dscnt 0x0
	ds_store_b64 v73, v[38:39] offset:16704
	ds_load_b64 v[38:39], v72 offset:20744
	s_wait_dscnt 0x0
	ds_store_b64 v73, v[38:39] offset:17216
	ds_load_b64 v[38:39], v72 offset:20752
	s_wait_dscnt 0x0
	ds_store_b64 v73, v[38:39] offset:17728
	ds_load_b64 v[38:39], v72 offset:20760
	s_wait_dscnt 0x0
	ds_store_b64 v73, v[38:39] offset:18240
	ds_load_b64 v[38:39], v72 offset:20768
	s_wait_dscnt 0x0
	ds_store_b64 v73, v[38:39] offset:18752
	ds_load_b64 v[38:39], v72 offset:20776
	s_wait_dscnt 0x0
	ds_store_b64 v73, v[38:39] offset:19264
	ds_load_b64 v[38:39], v72 offset:20784
	s_wait_dscnt 0x0
	ds_store_b64 v73, v[38:39] offset:19776
	ds_load_b64 v[38:39], v72 offset:20792
	s_wait_dscnt 0x0
	ds_store_b64 v73, v[38:39] offset:20288
.LBB29_429:                             ;   in Loop: Header=BB29_3 Depth=1
	s_or_b32 exec_lo, exec_lo, s65
	s_wait_dscnt 0x0
	s_barrier_signal -1
	s_barrier_wait -1
	s_and_saveexec_b32 s65, s14
	s_cbranch_execz .LBB29_431
; %bb.430:                              ;   in Loop: Header=BB29_3 Depth=1
	ds_load_b128 v[38:41], v3 offset:20272
	ds_load_b64 v[92:93], v3 offset:19760
	v_add_nc_u32_e64 v2, 0x4800, 0
	s_wait_dscnt 0x0
	v_mul_f64_e32 v[40:41], v[92:93], v[40:41]
	s_delay_alu instid0(VALU_DEP_1)
	v_mul_f64_e32 v[38:39], v[38:39], v[40:41]
	ds_store_2addr_b64 v2, v[38:39], v[38:39] offset0:167 offset1:230
.LBB29_431:                             ;   in Loop: Header=BB29_3 Depth=1
	s_or_b32 exec_lo, exec_lo, s65
	v_mov_b64_e32 v[38:39], 0
	s_wait_dscnt 0x0
	s_barrier_signal -1
	s_barrier_wait -1
	global_wb scope:SCOPE_DEV
	s_wait_storecnt 0x0
	global_inv scope:SCOPE_DEV
	s_and_saveexec_b32 s65, s0
	s_cbranch_execz .LBB29_435
; %bb.432:                              ;   in Loop: Header=BB29_3 Depth=1
	ds_load_b64 v[38:39], v45 offset:19744
	ds_load_b64 v[40:41], v44 offset:20272
	s_wait_dscnt 0x0
	v_fma_f64 v[38:39], v[38:39], v[40:41], 0
	s_and_saveexec_b32 s47, s15
	s_cbranch_execz .LBB29_434
; %bb.433:                              ;   in Loop: Header=BB29_3 Depth=1
	ds_load_b64 v[40:41], v73 offset:20256
	ds_load_b64 v[92:93], v3 offset:20280
	s_wait_dscnt 0x0
	v_fmac_f64_e32 v[38:39], v[40:41], v[92:93]
.LBB29_434:                             ;   in Loop: Header=BB29_3 Depth=1
	s_or_b32 exec_lo, exec_lo, s47
.LBB29_435:                             ;   in Loop: Header=BB29_3 Depth=1
	s_delay_alu instid0(SALU_CYCLE_1)
	s_or_b32 exec_lo, exec_lo, s65
	s_and_saveexec_b32 s65, s92
	s_cbranch_execz .LBB29_437
; %bb.436:                              ;   in Loop: Header=BB29_3 Depth=1
	ds_load_b64 v[40:41], v3 offset:19240
	s_wait_dscnt 0x0
	v_mul_f64_e32 v[38:39], v[38:39], v[40:41]
	s_delay_alu instid0(VALU_DEP_1) | instskip(NEXT) | instid1(VALU_DEP_2)
	v_xor_b32_e32 v41, 0x80000000, v39
	v_mov_b32_e32 v40, v38
	ds_store_b64 v5, v[40:41]
.LBB29_437:                             ;   in Loop: Header=BB29_3 Depth=1
	s_or_b32 exec_lo, exec_lo, s65
	s_wait_loadcnt_dscnt 0x0
	s_barrier_signal -1
	s_barrier_wait -1
	s_and_saveexec_b32 s47, s93
	s_cbranch_execz .LBB29_439
; %bb.438:                              ;   in Loop: Header=BB29_3 Depth=1
	ds_load_b64 v[40:41], v3 offset:19232
	ds_load_b64 v[92:93], v5
	s_wait_dscnt 0x0
	v_fma_f64 v[38:39], -v[40:41], v[92:93], v[38:39]
.LBB29_439:                             ;   in Loop: Header=BB29_3 Depth=1
	s_or_b32 exec_lo, exec_lo, s47
	s_barrier_signal -1
	s_barrier_wait -1
	s_and_saveexec_b32 s65, s93
	s_cbranch_execz .LBB29_441
; %bb.440:                              ;   in Loop: Header=BB29_3 Depth=1
	ds_load_b64 v[40:41], v3 offset:18720
	s_wait_dscnt 0x0
	v_mul_f64_e32 v[38:39], v[38:39], v[40:41]
	s_delay_alu instid0(VALU_DEP_1) | instskip(NEXT) | instid1(VALU_DEP_2)
	v_xor_b32_e32 v41, 0x80000000, v39
	v_mov_b32_e32 v40, v38
	ds_store_b64 v5, v[40:41]
.LBB29_441:                             ;   in Loop: Header=BB29_3 Depth=1
	s_or_b32 exec_lo, exec_lo, s65
	s_wait_dscnt 0x0
	s_barrier_signal -1
	s_barrier_wait -1
	s_barrier_signal -1
	s_barrier_wait -1
	s_and_saveexec_b32 s47, s0
; %bb.442:                              ;   in Loop: Header=BB29_3 Depth=1
	ds_store_b64 v47, v[38:39] offset:20256
; %bb.443:                              ;   in Loop: Header=BB29_3 Depth=1
	s_or_b32 exec_lo, exec_lo, s47
	s_wait_dscnt 0x0
	s_barrier_signal -1
	s_barrier_wait -1
	s_barrier_signal -1
	s_barrier_wait -1
	s_and_saveexec_b32 s47, s94
	s_cbranch_execz .LBB29_445
; %bb.444:                              ;   in Loop: Header=BB29_3 Depth=1
	ds_load_b64 v[38:39], v74 offset:19744
	s_wait_dscnt 0x0
	ds_store_b64 v73, v[38:39] offset:18736
	ds_load_b64 v[38:39], v74 offset:19752
	s_wait_dscnt 0x0
	ds_store_b64 v73, v[38:39] offset:19248
.LBB29_445:                             ;   in Loop: Header=BB29_3 Depth=1
	s_or_b32 exec_lo, exec_lo, s47
	s_wait_dscnt 0x0
	s_barrier_signal -1
	s_barrier_wait -1
	s_and_saveexec_b32 s65, s14
	s_cbranch_execz .LBB29_447
; %bb.446:                              ;   in Loop: Header=BB29_3 Depth=1
	ds_load_b128 v[38:41], v3 offset:19232
	ds_load_b64 v[92:93], v3 offset:18720
	v_add_nc_u32_e64 v2, 0x4800, 0
	s_wait_dscnt 0x0
	v_mul_f64_e32 v[40:41], v[92:93], v[40:41]
	s_delay_alu instid0(VALU_DEP_1)
	v_mul_f64_e32 v[38:39], v[38:39], v[40:41]
	ds_store_2addr_b64 v2, v[38:39], v[38:39] offset0:37 offset1:100
.LBB29_447:                             ;   in Loop: Header=BB29_3 Depth=1
	s_or_b32 exec_lo, exec_lo, s65
	v_mov_b64_e32 v[38:39], 0
	s_wait_dscnt 0x0
	s_barrier_signal -1
	s_barrier_wait -1
	global_wb scope:SCOPE_DEV
	s_wait_storecnt 0x0
	global_inv scope:SCOPE_DEV
	s_and_saveexec_b32 s65, s2
	s_cbranch_execz .LBB29_453
; %bb.448:                              ;   in Loop: Header=BB29_3 Depth=1
	ds_load_b64 v[38:39], v51 offset:18688
	ds_load_b64 v[40:41], v50 offset:20256
	s_wait_dscnt 0x0
	v_fma_f64 v[38:39], v[38:39], v[40:41], 0
	s_and_saveexec_b32 s47, s16
	s_cbranch_execnz .LBB29_1121
; %bb.449:                              ;   in Loop: Header=BB29_3 Depth=1
	s_or_b32 exec_lo, exec_lo, s47
	s_and_saveexec_b32 s47, s17
	s_cbranch_execnz .LBB29_1122
.LBB29_450:                             ;   in Loop: Header=BB29_3 Depth=1
	s_or_b32 exec_lo, exec_lo, s47
	s_and_saveexec_b32 s47, s0
	s_cbranch_execz .LBB29_452
.LBB29_451:                             ;   in Loop: Header=BB29_3 Depth=1
	ds_load_b64 v[40:41], v75 offset:20224
	ds_load_b64 v[92:93], v3 offset:20280
	s_wait_dscnt 0x0
	v_fmac_f64_e32 v[38:39], v[40:41], v[92:93]
.LBB29_452:                             ;   in Loop: Header=BB29_3 Depth=1
	s_or_b32 exec_lo, exec_lo, s47
.LBB29_453:                             ;   in Loop: Header=BB29_3 Depth=1
	s_delay_alu instid0(SALU_CYCLE_1)
	s_or_b32 exec_lo, exec_lo, s65
	s_and_saveexec_b32 s65, s95
	s_cbranch_execz .LBB29_455
; %bb.454:                              ;   in Loop: Header=BB29_3 Depth=1
	ds_load_b64 v[40:41], v3 offset:18200
	s_wait_dscnt 0x0
	v_mul_f64_e32 v[38:39], v[38:39], v[40:41]
	s_delay_alu instid0(VALU_DEP_1) | instskip(NEXT) | instid1(VALU_DEP_2)
	v_xor_b32_e32 v41, 0x80000000, v39
	v_mov_b32_e32 v40, v38
	ds_store_b64 v49, v[40:41]
.LBB29_455:                             ;   in Loop: Header=BB29_3 Depth=1
	s_or_b32 exec_lo, exec_lo, s65
	s_wait_loadcnt_dscnt 0x0
	s_barrier_signal -1
	s_barrier_wait -1
	s_and_saveexec_b32 s47, s96
	s_cbranch_execz .LBB29_457
; %bb.456:                              ;   in Loop: Header=BB29_3 Depth=1
	ds_load_b64 v[40:41], v51 offset:18176
	ds_load_b64 v[92:93], v49
	s_wait_dscnt 0x0
	v_fma_f64 v[38:39], -v[40:41], v[92:93], v[38:39]
.LBB29_457:                             ;   in Loop: Header=BB29_3 Depth=1
	s_or_b32 exec_lo, exec_lo, s47
	s_barrier_signal -1
	s_barrier_wait -1
	s_and_saveexec_b32 s65, s97
	s_cbranch_execz .LBB29_459
; %bb.458:                              ;   in Loop: Header=BB29_3 Depth=1
	ds_load_b64 v[40:41], v3 offset:17680
	s_wait_dscnt 0x0
	v_mul_f64_e32 v[38:39], v[38:39], v[40:41]
	s_delay_alu instid0(VALU_DEP_1) | instskip(NEXT) | instid1(VALU_DEP_2)
	v_xor_b32_e32 v41, 0x80000000, v39
	v_mov_b32_e32 v40, v38
	ds_store_b64 v49, v[40:41]
.LBB29_459:                             ;   in Loop: Header=BB29_3 Depth=1
	s_or_b32 exec_lo, exec_lo, s65
	s_wait_dscnt 0x0
	s_barrier_signal -1
	s_barrier_wait -1
	s_and_saveexec_b32 s47, s98
	s_cbranch_execz .LBB29_461
; %bb.460:                              ;   in Loop: Header=BB29_3 Depth=1
	ds_load_b64 v[40:41], v51 offset:17664
	ds_load_b64 v[92:93], v49
	s_wait_dscnt 0x0
	v_fma_f64 v[38:39], -v[40:41], v[92:93], v[38:39]
.LBB29_461:                             ;   in Loop: Header=BB29_3 Depth=1
	s_or_b32 exec_lo, exec_lo, s47
	s_barrier_signal -1
	s_barrier_wait -1
	s_and_saveexec_b32 s65, s99
	s_cbranch_execz .LBB29_463
; %bb.462:                              ;   in Loop: Header=BB29_3 Depth=1
	ds_load_b64 v[40:41], v3 offset:17160
	s_wait_dscnt 0x0
	v_mul_f64_e32 v[38:39], v[38:39], v[40:41]
	s_delay_alu instid0(VALU_DEP_1) | instskip(NEXT) | instid1(VALU_DEP_2)
	v_xor_b32_e32 v41, 0x80000000, v39
	v_mov_b32_e32 v40, v38
	ds_store_b64 v49, v[40:41]
.LBB29_463:                             ;   in Loop: Header=BB29_3 Depth=1
	s_or_b32 exec_lo, exec_lo, s65
	s_wait_dscnt 0x0
	;; [unrolled: 26-line block ×3, first 2 shown]
	s_barrier_signal -1
	s_barrier_wait -1
	s_barrier_signal -1
	s_barrier_wait -1
	s_and_saveexec_b32 s47, s2
; %bb.468:                              ;   in Loop: Header=BB29_3 Depth=1
	ds_store_b64 v52, v[38:39] offset:20224
; %bb.469:                              ;   in Loop: Header=BB29_3 Depth=1
	s_or_b32 exec_lo, exec_lo, s47
	s_wait_dscnt 0x0
	s_barrier_signal -1
	s_barrier_wait -1
	s_barrier_signal -1
	s_barrier_wait -1
	s_and_saveexec_b32 s65, s101
	s_cbranch_execz .LBB29_471
; %bb.470:                              ;   in Loop: Header=BB29_3 Depth=1
	ds_load_b64 v[38:39], v79 offset:18688
	s_wait_dscnt 0x0
	ds_store_b64 v82, v[38:39] offset:16672
	ds_load_b64 v[38:39], v79 offset:18696
	s_wait_dscnt 0x0
	ds_store_b64 v82, v[38:39] offset:17184
	;; [unrolled: 3-line block ×4, first 2 shown]
.LBB29_471:                             ;   in Loop: Header=BB29_3 Depth=1
	s_or_b32 exec_lo, exec_lo, s65
	s_wait_dscnt 0x0
	s_barrier_signal -1
	s_barrier_wait -1
	s_and_saveexec_b32 s65, s14
	s_cbranch_execz .LBB29_473
; %bb.472:                              ;   in Loop: Header=BB29_3 Depth=1
	ds_load_b128 v[38:41], v3 offset:18192
	ds_load_b64 v[92:93], v3 offset:17680
	v_add_nc_u32_e64 v2, 0x4000, 0
	s_wait_dscnt 0x0
	v_mul_f64_e32 v[40:41], v[92:93], v[40:41]
	s_delay_alu instid0(VALU_DEP_1)
	v_mul_f64_e32 v[38:39], v[38:39], v[40:41]
	ds_store_2addr_b64 v2, v[38:39], v[38:39] offset0:163 offset1:226
.LBB29_473:                             ;   in Loop: Header=BB29_3 Depth=1
	s_or_b32 exec_lo, exec_lo, s65
	v_mov_b64_e32 v[38:39], 0
	s_wait_dscnt 0x0
	s_barrier_signal -1
	s_barrier_wait -1
	global_wb scope:SCOPE_DEV
	s_wait_storecnt 0x0
	global_inv scope:SCOPE_DEV
	s_and_saveexec_b32 s65, s0
	s_cbranch_execz .LBB29_477
; %bb.474:                              ;   in Loop: Header=BB29_3 Depth=1
	ds_load_b64 v[38:39], v45 offset:17664
	ds_load_b64 v[40:41], v44 offset:18192
	s_wait_dscnt 0x0
	v_fma_f64 v[38:39], v[38:39], v[40:41], 0
	s_and_saveexec_b32 s47, s15
	s_cbranch_execz .LBB29_476
; %bb.475:                              ;   in Loop: Header=BB29_3 Depth=1
	ds_load_b64 v[40:41], v82 offset:18176
	ds_load_b64 v[92:93], v3 offset:18200
	s_wait_dscnt 0x0
	v_fmac_f64_e32 v[38:39], v[40:41], v[92:93]
.LBB29_476:                             ;   in Loop: Header=BB29_3 Depth=1
	s_or_b32 exec_lo, exec_lo, s47
.LBB29_477:                             ;   in Loop: Header=BB29_3 Depth=1
	s_delay_alu instid0(SALU_CYCLE_1)
	s_or_b32 exec_lo, exec_lo, s65
	s_and_saveexec_b32 s65, s92
	s_cbranch_execz .LBB29_479
; %bb.478:                              ;   in Loop: Header=BB29_3 Depth=1
	ds_load_b64 v[40:41], v3 offset:17160
	s_wait_dscnt 0x0
	v_mul_f64_e32 v[38:39], v[38:39], v[40:41]
	s_delay_alu instid0(VALU_DEP_1) | instskip(NEXT) | instid1(VALU_DEP_2)
	v_xor_b32_e32 v41, 0x80000000, v39
	v_mov_b32_e32 v40, v38
	ds_store_b64 v5, v[40:41]
.LBB29_479:                             ;   in Loop: Header=BB29_3 Depth=1
	s_or_b32 exec_lo, exec_lo, s65
	s_wait_loadcnt_dscnt 0x0
	s_barrier_signal -1
	s_barrier_wait -1
	s_and_saveexec_b32 s47, s93
	s_cbranch_execz .LBB29_481
; %bb.480:                              ;   in Loop: Header=BB29_3 Depth=1
	ds_load_b64 v[40:41], v3 offset:17152
	ds_load_b64 v[92:93], v5
	s_wait_dscnt 0x0
	v_fma_f64 v[38:39], -v[40:41], v[92:93], v[38:39]
.LBB29_481:                             ;   in Loop: Header=BB29_3 Depth=1
	s_or_b32 exec_lo, exec_lo, s47
	s_barrier_signal -1
	s_barrier_wait -1
	s_and_saveexec_b32 s65, s93
	s_cbranch_execz .LBB29_483
; %bb.482:                              ;   in Loop: Header=BB29_3 Depth=1
	ds_load_b64 v[40:41], v3 offset:16640
	s_wait_dscnt 0x0
	v_mul_f64_e32 v[38:39], v[38:39], v[40:41]
	s_delay_alu instid0(VALU_DEP_1) | instskip(NEXT) | instid1(VALU_DEP_2)
	v_xor_b32_e32 v41, 0x80000000, v39
	v_mov_b32_e32 v40, v38
	ds_store_b64 v5, v[40:41]
.LBB29_483:                             ;   in Loop: Header=BB29_3 Depth=1
	s_or_b32 exec_lo, exec_lo, s65
	s_wait_dscnt 0x0
	s_barrier_signal -1
	s_barrier_wait -1
	s_barrier_signal -1
	s_barrier_wait -1
	s_and_saveexec_b32 s47, s0
; %bb.484:                              ;   in Loop: Header=BB29_3 Depth=1
	ds_store_b64 v47, v[38:39] offset:18176
; %bb.485:                              ;   in Loop: Header=BB29_3 Depth=1
	s_or_b32 exec_lo, exec_lo, s47
	s_wait_dscnt 0x0
	s_barrier_signal -1
	s_barrier_wait -1
	s_barrier_signal -1
	s_barrier_wait -1
	s_and_saveexec_b32 s47, s94
	s_cbranch_execz .LBB29_487
; %bb.486:                              ;   in Loop: Header=BB29_3 Depth=1
	ds_load_b64 v[38:39], v83 offset:17664
	s_wait_dscnt 0x0
	ds_store_b64 v82, v[38:39] offset:16656
	ds_load_b64 v[38:39], v83 offset:17672
	s_wait_dscnt 0x0
	ds_store_b64 v82, v[38:39] offset:17168
.LBB29_487:                             ;   in Loop: Header=BB29_3 Depth=1
	s_or_b32 exec_lo, exec_lo, s47
	s_wait_dscnt 0x0
	s_barrier_signal -1
	s_barrier_wait -1
	s_and_saveexec_b32 s65, s14
	s_cbranch_execz .LBB29_489
; %bb.488:                              ;   in Loop: Header=BB29_3 Depth=1
	ds_load_b128 v[38:41], v3 offset:17152
	ds_load_b64 v[92:93], v3 offset:16640
	v_add_nc_u32_e64 v2, 0x4000, 0
	s_wait_dscnt 0x0
	v_mul_f64_e32 v[40:41], v[92:93], v[40:41]
	s_delay_alu instid0(VALU_DEP_1)
	v_mul_f64_e32 v[38:39], v[38:39], v[40:41]
	ds_store_2addr_b64 v2, v[38:39], v[38:39] offset0:33 offset1:96
.LBB29_489:                             ;   in Loop: Header=BB29_3 Depth=1
	s_or_b32 exec_lo, exec_lo, s65
	v_mov_b64_e32 v[38:39], 0
	s_wait_dscnt 0x0
	s_barrier_signal -1
	s_barrier_wait -1
	global_wb scope:SCOPE_DEV
	s_wait_storecnt 0x0
	global_inv scope:SCOPE_DEV
	s_and_saveexec_b32 s65, s35
	s_cbranch_execz .LBB29_551
; %bb.490:                              ;   in Loop: Header=BB29_3 Depth=1
	ds_load_b64 v[38:39], v62 offset:16384
	ds_load_b64 v[40:41], v63 offset:32512
	s_wait_dscnt 0x0
	v_fma_f64 v[38:39], v[38:39], v[40:41], 0
	s_mov_b32 s47, exec_lo
	v_readlane_b32 s82, v100, 4
	s_and_b32 s82, s47, s82
	s_delay_alu instid0(SALU_CYCLE_1)
	s_mov_b32 exec_lo, s82
	s_cbranch_execz .LBB29_492
; %bb.491:                              ;   in Loop: Header=BB29_3 Depth=1
	ds_load_b64 v[40:41], v62 offset:16896
	ds_load_b64 v[92:93], v63 offset:32520
	s_wait_dscnt 0x0
	v_fmac_f64_e32 v[38:39], v[40:41], v[92:93]
.LBB29_492:                             ;   in Loop: Header=BB29_3 Depth=1
	s_or_b32 exec_lo, exec_lo, s47
	s_delay_alu instid0(SALU_CYCLE_1) | instskip(SKIP_2) | instid1(SALU_CYCLE_1)
	s_mov_b32 s47, exec_lo
	v_readlane_b32 s82, v100, 5
	s_and_b32 s82, s47, s82
	s_mov_b32 exec_lo, s82
	s_cbranch_execz .LBB29_494
; %bb.493:                              ;   in Loop: Header=BB29_3 Depth=1
	ds_load_b64 v[40:41], v62 offset:17408
	ds_load_b64 v[92:93], v63 offset:32528
	s_wait_dscnt 0x0
	v_fmac_f64_e32 v[38:39], v[40:41], v[92:93]
.LBB29_494:                             ;   in Loop: Header=BB29_3 Depth=1
	s_or_b32 exec_lo, exec_lo, s47
	s_delay_alu instid0(SALU_CYCLE_1) | instskip(SKIP_2) | instid1(SALU_CYCLE_1)
	s_mov_b32 s47, exec_lo
	v_readlane_b32 s82, v100, 6
	s_and_b32 s82, s47, s82
	;; [unrolled: 13-line block ×22, first 2 shown]
	s_mov_b32 exec_lo, s82
	s_cbranch_execz .LBB29_536
; %bb.535:                              ;   in Loop: Header=BB29_3 Depth=1
	ds_load_b64 v[40:41], v62 offset:28160
	ds_load_b64 v[92:93], v63 offset:32696
	s_wait_dscnt 0x0
	v_fmac_f64_e32 v[38:39], v[40:41], v[92:93]
.LBB29_536:                             ;   in Loop: Header=BB29_3 Depth=1
	s_or_b32 exec_lo, exec_lo, s47
	s_and_saveexec_b32 s47, s4
	s_cbranch_execz .LBB29_538
; %bb.537:                              ;   in Loop: Header=BB29_3 Depth=1
	ds_load_b64 v[40:41], v62 offset:28672
	ds_load_b64 v[92:93], v63 offset:32704
	s_wait_dscnt 0x0
	v_fmac_f64_e32 v[38:39], v[40:41], v[92:93]
.LBB29_538:                             ;   in Loop: Header=BB29_3 Depth=1
	s_or_b32 exec_lo, exec_lo, s47
	s_delay_alu instid0(SALU_CYCLE_1) | instskip(SKIP_2) | instid1(SALU_CYCLE_1)
	s_mov_b32 s47, exec_lo
	v_readlane_b32 s82, v101, 26
	s_and_b32 s82, s47, s82
	s_mov_b32 exec_lo, s82
	s_cbranch_execz .LBB29_540
; %bb.539:                              ;   in Loop: Header=BB29_3 Depth=1
	ds_load_b64 v[40:41], v62 offset:29184
	ds_load_b64 v[92:93], v63 offset:32712
	s_wait_dscnt 0x0
	v_fmac_f64_e32 v[38:39], v[40:41], v[92:93]
.LBB29_540:                             ;   in Loop: Header=BB29_3 Depth=1
	s_or_b32 exec_lo, exec_lo, s47
	s_delay_alu instid0(SALU_CYCLE_1) | instskip(SKIP_2) | instid1(SALU_CYCLE_1)
	s_mov_b32 s47, exec_lo
	v_readlane_b32 s82, v101, 28
	s_and_b32 s82, s47, s82
	s_mov_b32 exec_lo, s82
	;; [unrolled: 13-line block ×5, first 2 shown]
	s_cbranch_execnz .LBB29_1123
; %bb.547:                              ;   in Loop: Header=BB29_3 Depth=1
	s_or_b32 exec_lo, exec_lo, s47
	s_and_saveexec_b32 s47, s3
	s_cbranch_execnz .LBB29_1124
.LBB29_548:                             ;   in Loop: Header=BB29_3 Depth=1
	s_or_b32 exec_lo, exec_lo, s47
	s_and_saveexec_b32 s47, s21
	s_delay_alu instid0(SALU_CYCLE_1)
	s_xor_b32 s47, exec_lo, s47
	s_cbranch_execz .LBB29_550
.LBB29_549:                             ;   in Loop: Header=BB29_3 Depth=1
	ds_load_b64 v[40:41], v46 offset:32256
	ds_load_b64 v[92:93], v3 offset:32760
	s_wait_dscnt 0x0
	v_fmac_f64_e32 v[38:39], v[40:41], v[92:93]
.LBB29_550:                             ;   in Loop: Header=BB29_3 Depth=1
	s_or_b32 exec_lo, exec_lo, s47
.LBB29_551:                             ;   in Loop: Header=BB29_3 Depth=1
	s_delay_alu instid0(SALU_CYCLE_1)
	s_or_b32 exec_lo, exec_lo, s65
	v_mov_b32_e32 v2, v66
	s_mov_b32 s65, 31
	s_branch .LBB29_553
.LBB29_552:                             ;   in Loop: Header=BB29_553 Depth=2
	s_or_b32 exec_lo, exec_lo, s47
	v_add_nc_u32_e32 v2, 0xfffff800, v2
	s_add_co_i32 s65, s65, -4
	s_cmp_eq_u32 s82, 0
	s_barrier_signal -1
	s_barrier_wait -1
	s_cbranch_scc1 .LBB29_569
.LBB29_553:                             ;   Parent Loop BB29_3 Depth=1
                                        ; =>  This Inner Loop Header: Depth=2
	s_delay_alu instid0(VALU_DEP_1) | instskip(SKIP_1) | instid1(SALU_CYCLE_1)
	v_cmp_eq_u32_e32 vcc_lo, 0xffffc200, v2
	s_and_b32 s47, s64, vcc_lo
	s_and_saveexec_b32 s82, s47
	s_cbranch_execz .LBB29_555
; %bb.554:                              ;   in Loop: Header=BB29_553 Depth=2
	ds_load_b64 v[40:41], v86
	s_wait_dscnt 0x0
	v_mul_f64_e32 v[38:39], v[38:39], v[40:41]
	s_delay_alu instid0(VALU_DEP_1) | instskip(NEXT) | instid1(VALU_DEP_2)
	v_xor_b32_e32 v41, 0x80000000, v39
	v_mov_b32_e32 v40, v38
	ds_store_b64 v61, v[40:41]
.LBB29_555:                             ;   in Loop: Header=BB29_553 Depth=2
	s_or_b32 exec_lo, exec_lo, s82
	v_cmp_gt_u32_e32 vcc_lo, s65, v7
	v_add_nc_u32_e32 v40, v64, v2
	s_wait_loadcnt_dscnt 0x0
	s_barrier_signal -1
	s_barrier_wait -1
	s_and_b32 s82, s64, vcc_lo
	s_delay_alu instid0(SALU_CYCLE_1)
	s_and_saveexec_b32 s47, s82
	s_cbranch_execz .LBB29_557
; %bb.556:                              ;   in Loop: Header=BB29_553 Depth=2
	ds_load_b64 v[92:93], v40 offset:1536
	ds_load_b64 v[94:95], v61
	s_wait_dscnt 0x0
	v_fma_f64 v[38:39], -v[92:93], v[94:95], v[38:39]
.LBB29_557:                             ;   in Loop: Header=BB29_553 Depth=2
	s_or_b32 exec_lo, exec_lo, s47
	s_add_co_i32 s82, s65, -1
	s_delay_alu instid0(SALU_CYCLE_1) | instskip(SKIP_3) | instid1(SALU_CYCLE_1)
	v_cmp_eq_u32_e32 vcc_lo, s82, v7
	s_barrier_signal -1
	s_barrier_wait -1
	s_and_b32 s47, s64, vcc_lo
	s_and_saveexec_b32 s83, s47
	s_cbranch_execz .LBB29_559
; %bb.558:                              ;   in Loop: Header=BB29_553 Depth=2
	ds_load_b64 v[92:93], v86
	s_wait_dscnt 0x0
	v_mul_f64_e32 v[38:39], v[38:39], v[92:93]
	s_delay_alu instid0(VALU_DEP_1) | instskip(NEXT) | instid1(VALU_DEP_2)
	v_xor_b32_e32 v93, 0x80000000, v39
	v_mov_b32_e32 v92, v38
	ds_store_b64 v61, v[92:93]
.LBB29_559:                             ;   in Loop: Header=BB29_553 Depth=2
	s_or_b32 exec_lo, exec_lo, s83
	v_cmp_gt_u32_e32 vcc_lo, s82, v7
	s_wait_dscnt 0x0
	s_barrier_signal -1
	s_barrier_wait -1
	s_and_b32 s82, s64, vcc_lo
	s_delay_alu instid0(SALU_CYCLE_1)
	s_and_saveexec_b32 s47, s82
	s_cbranch_execz .LBB29_561
; %bb.560:                              ;   in Loop: Header=BB29_553 Depth=2
	ds_load_b64 v[92:93], v40 offset:1024
	ds_load_b64 v[94:95], v61
	s_wait_dscnt 0x0
	v_fma_f64 v[38:39], -v[92:93], v[94:95], v[38:39]
.LBB29_561:                             ;   in Loop: Header=BB29_553 Depth=2
	s_or_b32 exec_lo, exec_lo, s47
	s_add_co_i32 s82, s65, -2
	s_delay_alu instid0(SALU_CYCLE_1) | instskip(SKIP_3) | instid1(SALU_CYCLE_1)
	v_cmp_eq_u32_e32 vcc_lo, s82, v7
	s_barrier_signal -1
	s_barrier_wait -1
	s_and_b32 s47, s64, vcc_lo
	s_and_saveexec_b32 s83, s47
	s_cbranch_execz .LBB29_563
; %bb.562:                              ;   in Loop: Header=BB29_553 Depth=2
	ds_load_b64 v[92:93], v86
	s_wait_dscnt 0x0
	v_mul_f64_e32 v[38:39], v[38:39], v[92:93]
	s_delay_alu instid0(VALU_DEP_1) | instskip(NEXT) | instid1(VALU_DEP_2)
	v_xor_b32_e32 v93, 0x80000000, v39
	v_mov_b32_e32 v92, v38
	ds_store_b64 v61, v[92:93]
.LBB29_563:                             ;   in Loop: Header=BB29_553 Depth=2
	s_or_b32 exec_lo, exec_lo, s83
	v_cmp_gt_u32_e32 vcc_lo, s82, v7
	s_wait_dscnt 0x0
	;; [unrolled: 33-line block ×3, first 2 shown]
	s_barrier_signal -1
	s_barrier_wait -1
	s_and_b32 s83, s64, vcc_lo
	s_delay_alu instid0(SALU_CYCLE_1)
	s_and_saveexec_b32 s47, s83
	s_cbranch_execz .LBB29_552
; %bb.568:                              ;   in Loop: Header=BB29_553 Depth=2
	ds_load_b64 v[40:41], v40
	ds_load_b64 v[92:93], v61
	s_wait_dscnt 0x0
	v_fma_f64 v[38:39], -v[40:41], v[92:93], v[38:39]
	s_branch .LBB29_552
.LBB29_569:                             ;   in Loop: Header=BB29_3 Depth=1
	s_and_saveexec_b32 s47, s35
; %bb.570:                              ;   in Loop: Header=BB29_3 Depth=1
	ds_store_b64 v67, v[38:39] offset:32256
; %bb.571:                              ;   in Loop: Header=BB29_3 Depth=1
	s_or_b32 exec_lo, exec_lo, s47
	s_wait_dscnt 0x0
	s_barrier_signal -1
	s_barrier_wait -1
	s_barrier_signal -1
	s_barrier_wait -1
	s_mov_b32 s65, exec_lo
	v_readlane_b32 s47, v101, 7
	s_and_b32 s47, s65, s47
	s_delay_alu instid0(SALU_CYCLE_1)
	s_mov_b32 exec_lo, s47
	s_cbranch_execz .LBB29_573
; %bb.572:                              ;   in Loop: Header=BB29_3 Depth=1
	ds_load_b64 v[38:39], v48 offset:16384
	s_wait_dscnt 0x0
	ds_store_b64 v65, v[38:39] offset:256
	ds_load_b64 v[38:39], v48 offset:16392
	s_wait_dscnt 0x0
	ds_store_b64 v65, v[38:39] offset:768
	;; [unrolled: 3-line block ×32, first 2 shown]
.LBB29_573:                             ;   in Loop: Header=BB29_3 Depth=1
	s_or_b32 exec_lo, exec_lo, s65
	s_wait_dscnt 0x0
	s_barrier_signal -1
	s_barrier_wait -1
	s_and_saveexec_b32 s65, s14
	s_cbranch_execz .LBB29_575
; %bb.574:                              ;   in Loop: Header=BB29_3 Depth=1
	ds_load_b128 v[38:41], v3 offset:16112
	ds_load_b64 v[92:93], v3 offset:15600
	v_add_nc_u32_e64 v2, 0x3800, 0
	s_wait_dscnt 0x0
	v_mul_f64_e32 v[40:41], v[92:93], v[40:41]
	s_delay_alu instid0(VALU_DEP_1)
	v_mul_f64_e32 v[38:39], v[38:39], v[40:41]
	ds_store_2addr_b64 v2, v[38:39], v[38:39] offset0:159 offset1:222
.LBB29_575:                             ;   in Loop: Header=BB29_3 Depth=1
	s_or_b32 exec_lo, exec_lo, s65
	v_mov_b64_e32 v[38:39], 0
	s_wait_dscnt 0x0
	s_barrier_signal -1
	s_barrier_wait -1
	global_wb scope:SCOPE_DEV
	s_wait_storecnt 0x0
	global_inv scope:SCOPE_DEV
	s_and_saveexec_b32 s65, s0
	s_cbranch_execz .LBB29_579
; %bb.576:                              ;   in Loop: Header=BB29_3 Depth=1
	ds_load_b64 v[38:39], v45 offset:15584
	ds_load_b64 v[40:41], v44 offset:16112
	s_wait_dscnt 0x0
	v_fma_f64 v[38:39], v[38:39], v[40:41], 0
	s_and_saveexec_b32 s47, s15
	s_cbranch_execz .LBB29_578
; %bb.577:                              ;   in Loop: Header=BB29_3 Depth=1
	ds_load_b64 v[40:41], v46 offset:16096
	ds_load_b64 v[92:93], v3 offset:16120
	s_wait_dscnt 0x0
	v_fmac_f64_e32 v[38:39], v[40:41], v[92:93]
.LBB29_578:                             ;   in Loop: Header=BB29_3 Depth=1
	s_or_b32 exec_lo, exec_lo, s47
.LBB29_579:                             ;   in Loop: Header=BB29_3 Depth=1
	s_delay_alu instid0(SALU_CYCLE_1)
	s_or_b32 exec_lo, exec_lo, s65
	s_and_saveexec_b32 s65, s92
	s_cbranch_execz .LBB29_581
; %bb.580:                              ;   in Loop: Header=BB29_3 Depth=1
	ds_load_b64 v[40:41], v3 offset:15080
	s_wait_dscnt 0x0
	v_mul_f64_e32 v[38:39], v[38:39], v[40:41]
	s_delay_alu instid0(VALU_DEP_1) | instskip(NEXT) | instid1(VALU_DEP_2)
	v_xor_b32_e32 v41, 0x80000000, v39
	v_mov_b32_e32 v40, v38
	ds_store_b64 v5, v[40:41]
.LBB29_581:                             ;   in Loop: Header=BB29_3 Depth=1
	s_or_b32 exec_lo, exec_lo, s65
	s_wait_loadcnt_dscnt 0x0
	s_barrier_signal -1
	s_barrier_wait -1
	s_and_saveexec_b32 s47, s93
	s_cbranch_execz .LBB29_583
; %bb.582:                              ;   in Loop: Header=BB29_3 Depth=1
	ds_load_b64 v[40:41], v3 offset:15072
	ds_load_b64 v[92:93], v5
	s_wait_dscnt 0x0
	v_fma_f64 v[38:39], -v[40:41], v[92:93], v[38:39]
.LBB29_583:                             ;   in Loop: Header=BB29_3 Depth=1
	s_or_b32 exec_lo, exec_lo, s47
	s_barrier_signal -1
	s_barrier_wait -1
	s_and_saveexec_b32 s65, s93
	s_cbranch_execz .LBB29_585
; %bb.584:                              ;   in Loop: Header=BB29_3 Depth=1
	ds_load_b64 v[40:41], v3 offset:14560
	s_wait_dscnt 0x0
	v_mul_f64_e32 v[38:39], v[38:39], v[40:41]
	s_delay_alu instid0(VALU_DEP_1) | instskip(NEXT) | instid1(VALU_DEP_2)
	v_xor_b32_e32 v41, 0x80000000, v39
	v_mov_b32_e32 v40, v38
	ds_store_b64 v5, v[40:41]
.LBB29_585:                             ;   in Loop: Header=BB29_3 Depth=1
	s_or_b32 exec_lo, exec_lo, s65
	s_wait_dscnt 0x0
	s_barrier_signal -1
	s_barrier_wait -1
	s_barrier_signal -1
	s_barrier_wait -1
	s_and_saveexec_b32 s47, s0
; %bb.586:                              ;   in Loop: Header=BB29_3 Depth=1
	ds_store_b64 v47, v[38:39] offset:16096
; %bb.587:                              ;   in Loop: Header=BB29_3 Depth=1
	s_or_b32 exec_lo, exec_lo, s47
	s_wait_dscnt 0x0
	s_barrier_signal -1
	s_barrier_wait -1
	s_barrier_signal -1
	s_barrier_wait -1
	s_and_saveexec_b32 s47, s94
	s_cbranch_execz .LBB29_589
; %bb.588:                              ;   in Loop: Header=BB29_3 Depth=1
	ds_load_b64 v[38:39], v48 offset:15584
	s_wait_dscnt 0x0
	ds_store_b64 v46, v[38:39] offset:14576
	ds_load_b64 v[38:39], v48 offset:15592
	s_wait_dscnt 0x0
	ds_store_b64 v46, v[38:39] offset:15088
.LBB29_589:                             ;   in Loop: Header=BB29_3 Depth=1
	s_or_b32 exec_lo, exec_lo, s47
	s_wait_dscnt 0x0
	s_barrier_signal -1
	s_barrier_wait -1
	s_and_saveexec_b32 s65, s14
	s_cbranch_execz .LBB29_591
; %bb.590:                              ;   in Loop: Header=BB29_3 Depth=1
	ds_load_b128 v[38:41], v3 offset:15072
	ds_load_b64 v[92:93], v3 offset:14560
	v_add_nc_u32_e64 v2, 0x3800, 0
	s_wait_dscnt 0x0
	v_mul_f64_e32 v[40:41], v[92:93], v[40:41]
	s_delay_alu instid0(VALU_DEP_1)
	v_mul_f64_e32 v[38:39], v[38:39], v[40:41]
	ds_store_2addr_b64 v2, v[38:39], v[38:39] offset0:29 offset1:92
.LBB29_591:                             ;   in Loop: Header=BB29_3 Depth=1
	s_or_b32 exec_lo, exec_lo, s65
	v_mov_b64_e32 v[38:39], 0
	s_wait_dscnt 0x0
	s_barrier_signal -1
	s_barrier_wait -1
	global_wb scope:SCOPE_DEV
	s_wait_storecnt 0x0
	global_inv scope:SCOPE_DEV
	s_and_saveexec_b32 s65, s2
	s_cbranch_execz .LBB29_597
; %bb.592:                              ;   in Loop: Header=BB29_3 Depth=1
	ds_load_b64 v[38:39], v51 offset:14528
	ds_load_b64 v[40:41], v50 offset:16096
	s_wait_dscnt 0x0
	v_fma_f64 v[38:39], v[38:39], v[40:41], 0
	s_and_saveexec_b32 s47, s16
	s_cbranch_execnz .LBB29_1125
; %bb.593:                              ;   in Loop: Header=BB29_3 Depth=1
	s_or_b32 exec_lo, exec_lo, s47
	s_and_saveexec_b32 s47, s17
	s_cbranch_execnz .LBB29_1126
.LBB29_594:                             ;   in Loop: Header=BB29_3 Depth=1
	s_or_b32 exec_lo, exec_lo, s47
	s_and_saveexec_b32 s47, s0
	s_cbranch_execz .LBB29_596
.LBB29_595:                             ;   in Loop: Header=BB29_3 Depth=1
	ds_load_b64 v[40:41], v65 offset:16064
	ds_load_b64 v[92:93], v3 offset:16120
	s_wait_dscnt 0x0
	v_fmac_f64_e32 v[38:39], v[40:41], v[92:93]
.LBB29_596:                             ;   in Loop: Header=BB29_3 Depth=1
	s_or_b32 exec_lo, exec_lo, s47
.LBB29_597:                             ;   in Loop: Header=BB29_3 Depth=1
	s_delay_alu instid0(SALU_CYCLE_1)
	s_or_b32 exec_lo, exec_lo, s65
	s_and_saveexec_b32 s65, s95
	s_cbranch_execz .LBB29_599
; %bb.598:                              ;   in Loop: Header=BB29_3 Depth=1
	ds_load_b64 v[40:41], v3 offset:14040
	s_wait_dscnt 0x0
	v_mul_f64_e32 v[38:39], v[38:39], v[40:41]
	s_delay_alu instid0(VALU_DEP_1) | instskip(NEXT) | instid1(VALU_DEP_2)
	v_xor_b32_e32 v41, 0x80000000, v39
	v_mov_b32_e32 v40, v38
	ds_store_b64 v49, v[40:41]
.LBB29_599:                             ;   in Loop: Header=BB29_3 Depth=1
	s_or_b32 exec_lo, exec_lo, s65
	s_wait_loadcnt_dscnt 0x0
	s_barrier_signal -1
	s_barrier_wait -1
	s_and_saveexec_b32 s47, s96
	s_cbranch_execz .LBB29_601
; %bb.600:                              ;   in Loop: Header=BB29_3 Depth=1
	ds_load_b64 v[40:41], v51 offset:14016
	ds_load_b64 v[92:93], v49
	s_wait_dscnt 0x0
	v_fma_f64 v[38:39], -v[40:41], v[92:93], v[38:39]
.LBB29_601:                             ;   in Loop: Header=BB29_3 Depth=1
	s_or_b32 exec_lo, exec_lo, s47
	s_barrier_signal -1
	s_barrier_wait -1
	s_and_saveexec_b32 s65, s97
	s_cbranch_execz .LBB29_603
; %bb.602:                              ;   in Loop: Header=BB29_3 Depth=1
	ds_load_b64 v[40:41], v3 offset:13520
	s_wait_dscnt 0x0
	v_mul_f64_e32 v[38:39], v[38:39], v[40:41]
	s_delay_alu instid0(VALU_DEP_1) | instskip(NEXT) | instid1(VALU_DEP_2)
	v_xor_b32_e32 v41, 0x80000000, v39
	v_mov_b32_e32 v40, v38
	ds_store_b64 v49, v[40:41]
.LBB29_603:                             ;   in Loop: Header=BB29_3 Depth=1
	s_or_b32 exec_lo, exec_lo, s65
	s_wait_dscnt 0x0
	s_barrier_signal -1
	s_barrier_wait -1
	s_and_saveexec_b32 s47, s98
	s_cbranch_execz .LBB29_605
; %bb.604:                              ;   in Loop: Header=BB29_3 Depth=1
	ds_load_b64 v[40:41], v51 offset:13504
	ds_load_b64 v[92:93], v49
	s_wait_dscnt 0x0
	v_fma_f64 v[38:39], -v[40:41], v[92:93], v[38:39]
.LBB29_605:                             ;   in Loop: Header=BB29_3 Depth=1
	s_or_b32 exec_lo, exec_lo, s47
	s_barrier_signal -1
	s_barrier_wait -1
	s_and_saveexec_b32 s65, s99
	s_cbranch_execz .LBB29_607
; %bb.606:                              ;   in Loop: Header=BB29_3 Depth=1
	ds_load_b64 v[40:41], v3 offset:13000
	s_wait_dscnt 0x0
	v_mul_f64_e32 v[38:39], v[38:39], v[40:41]
	s_delay_alu instid0(VALU_DEP_1) | instskip(NEXT) | instid1(VALU_DEP_2)
	v_xor_b32_e32 v41, 0x80000000, v39
	v_mov_b32_e32 v40, v38
	ds_store_b64 v49, v[40:41]
.LBB29_607:                             ;   in Loop: Header=BB29_3 Depth=1
	s_or_b32 exec_lo, exec_lo, s65
	s_wait_dscnt 0x0
	;; [unrolled: 26-line block ×3, first 2 shown]
	s_barrier_signal -1
	s_barrier_wait -1
	s_barrier_signal -1
	s_barrier_wait -1
	s_and_saveexec_b32 s47, s2
; %bb.612:                              ;   in Loop: Header=BB29_3 Depth=1
	ds_store_b64 v52, v[38:39] offset:16064
; %bb.613:                              ;   in Loop: Header=BB29_3 Depth=1
	s_or_b32 exec_lo, exec_lo, s47
	s_wait_dscnt 0x0
	s_barrier_signal -1
	s_barrier_wait -1
	s_barrier_signal -1
	s_barrier_wait -1
	s_and_saveexec_b32 s65, s101
	s_cbranch_execz .LBB29_615
; %bb.614:                              ;   in Loop: Header=BB29_3 Depth=1
	ds_load_b64 v[38:39], v68 offset:14528
	s_wait_dscnt 0x0
	ds_store_b64 v69, v[38:39] offset:12512
	ds_load_b64 v[38:39], v68 offset:14536
	s_wait_dscnt 0x0
	ds_store_b64 v69, v[38:39] offset:13024
	;; [unrolled: 3-line block ×4, first 2 shown]
.LBB29_615:                             ;   in Loop: Header=BB29_3 Depth=1
	s_or_b32 exec_lo, exec_lo, s65
	s_wait_dscnt 0x0
	s_barrier_signal -1
	s_barrier_wait -1
	s_and_saveexec_b32 s65, s14
	s_cbranch_execz .LBB29_617
; %bb.616:                              ;   in Loop: Header=BB29_3 Depth=1
	ds_load_b128 v[38:41], v3 offset:14032
	ds_load_b64 v[92:93], v3 offset:13520
	v_add_nc_u32_e64 v2, 0x3000, 0
	s_wait_dscnt 0x0
	v_mul_f64_e32 v[40:41], v[92:93], v[40:41]
	s_delay_alu instid0(VALU_DEP_1)
	v_mul_f64_e32 v[38:39], v[38:39], v[40:41]
	ds_store_2addr_b64 v2, v[38:39], v[38:39] offset0:155 offset1:218
.LBB29_617:                             ;   in Loop: Header=BB29_3 Depth=1
	s_or_b32 exec_lo, exec_lo, s65
	v_mov_b64_e32 v[38:39], 0
	s_wait_dscnt 0x0
	s_barrier_signal -1
	s_barrier_wait -1
	global_wb scope:SCOPE_DEV
	s_wait_storecnt 0x0
	global_inv scope:SCOPE_DEV
	s_and_saveexec_b32 s65, s0
	s_cbranch_execz .LBB29_621
; %bb.618:                              ;   in Loop: Header=BB29_3 Depth=1
	ds_load_b64 v[38:39], v45 offset:13504
	ds_load_b64 v[40:41], v44 offset:14032
	s_wait_dscnt 0x0
	v_fma_f64 v[38:39], v[38:39], v[40:41], 0
	s_and_saveexec_b32 s47, s15
	s_cbranch_execz .LBB29_620
; %bb.619:                              ;   in Loop: Header=BB29_3 Depth=1
	ds_load_b64 v[40:41], v69 offset:14016
	ds_load_b64 v[92:93], v3 offset:14040
	s_wait_dscnt 0x0
	v_fmac_f64_e32 v[38:39], v[40:41], v[92:93]
.LBB29_620:                             ;   in Loop: Header=BB29_3 Depth=1
	s_or_b32 exec_lo, exec_lo, s47
.LBB29_621:                             ;   in Loop: Header=BB29_3 Depth=1
	s_delay_alu instid0(SALU_CYCLE_1)
	s_or_b32 exec_lo, exec_lo, s65
	s_and_saveexec_b32 s65, s92
	s_cbranch_execz .LBB29_623
; %bb.622:                              ;   in Loop: Header=BB29_3 Depth=1
	ds_load_b64 v[40:41], v3 offset:13000
	s_wait_dscnt 0x0
	v_mul_f64_e32 v[38:39], v[38:39], v[40:41]
	s_delay_alu instid0(VALU_DEP_1) | instskip(NEXT) | instid1(VALU_DEP_2)
	v_xor_b32_e32 v41, 0x80000000, v39
	v_mov_b32_e32 v40, v38
	ds_store_b64 v5, v[40:41]
.LBB29_623:                             ;   in Loop: Header=BB29_3 Depth=1
	s_or_b32 exec_lo, exec_lo, s65
	s_wait_loadcnt_dscnt 0x0
	s_barrier_signal -1
	s_barrier_wait -1
	s_and_saveexec_b32 s47, s93
	s_cbranch_execz .LBB29_625
; %bb.624:                              ;   in Loop: Header=BB29_3 Depth=1
	ds_load_b64 v[40:41], v3 offset:12992
	ds_load_b64 v[92:93], v5
	s_wait_dscnt 0x0
	v_fma_f64 v[38:39], -v[40:41], v[92:93], v[38:39]
.LBB29_625:                             ;   in Loop: Header=BB29_3 Depth=1
	s_or_b32 exec_lo, exec_lo, s47
	s_barrier_signal -1
	s_barrier_wait -1
	s_and_saveexec_b32 s65, s93
	s_cbranch_execz .LBB29_627
; %bb.626:                              ;   in Loop: Header=BB29_3 Depth=1
	ds_load_b64 v[40:41], v3 offset:12480
	s_wait_dscnt 0x0
	v_mul_f64_e32 v[38:39], v[38:39], v[40:41]
	s_delay_alu instid0(VALU_DEP_1) | instskip(NEXT) | instid1(VALU_DEP_2)
	v_xor_b32_e32 v41, 0x80000000, v39
	v_mov_b32_e32 v40, v38
	ds_store_b64 v5, v[40:41]
.LBB29_627:                             ;   in Loop: Header=BB29_3 Depth=1
	s_or_b32 exec_lo, exec_lo, s65
	s_wait_dscnt 0x0
	s_barrier_signal -1
	s_barrier_wait -1
	s_barrier_signal -1
	s_barrier_wait -1
	s_and_saveexec_b32 s47, s0
; %bb.628:                              ;   in Loop: Header=BB29_3 Depth=1
	ds_store_b64 v47, v[38:39] offset:14016
; %bb.629:                              ;   in Loop: Header=BB29_3 Depth=1
	s_or_b32 exec_lo, exec_lo, s47
	s_wait_dscnt 0x0
	s_barrier_signal -1
	s_barrier_wait -1
	s_barrier_signal -1
	s_barrier_wait -1
	s_and_saveexec_b32 s47, s94
	s_cbranch_execz .LBB29_631
; %bb.630:                              ;   in Loop: Header=BB29_3 Depth=1
	ds_load_b64 v[38:39], v70 offset:13504
	s_wait_dscnt 0x0
	ds_store_b64 v69, v[38:39] offset:12496
	ds_load_b64 v[38:39], v70 offset:13512
	s_wait_dscnt 0x0
	ds_store_b64 v69, v[38:39] offset:13008
.LBB29_631:                             ;   in Loop: Header=BB29_3 Depth=1
	s_or_b32 exec_lo, exec_lo, s47
	s_wait_dscnt 0x0
	s_barrier_signal -1
	s_barrier_wait -1
	s_and_saveexec_b32 s65, s14
	s_cbranch_execz .LBB29_633
; %bb.632:                              ;   in Loop: Header=BB29_3 Depth=1
	ds_load_b128 v[38:41], v3 offset:12992
	ds_load_b64 v[92:93], v3 offset:12480
	v_add_nc_u32_e64 v2, 0x3000, 0
	s_wait_dscnt 0x0
	v_mul_f64_e32 v[40:41], v[92:93], v[40:41]
	s_delay_alu instid0(VALU_DEP_1)
	v_mul_f64_e32 v[38:39], v[38:39], v[40:41]
	ds_store_2addr_b64 v2, v[38:39], v[38:39] offset0:25 offset1:88
.LBB29_633:                             ;   in Loop: Header=BB29_3 Depth=1
	s_or_b32 exec_lo, exec_lo, s65
	v_mov_b64_e32 v[38:39], 0
	s_wait_dscnt 0x0
	s_barrier_signal -1
	s_barrier_wait -1
	global_wb scope:SCOPE_DEV
	s_wait_storecnt 0x0
	global_inv scope:SCOPE_DEV
	s_and_saveexec_b32 s65, s3
	s_cbranch_execz .LBB29_643
; %bb.634:                              ;   in Loop: Header=BB29_3 Depth=1
	ds_load_b64 v[38:39], v55 offset:12416
	ds_load_b64 v[40:41], v54 offset:16064
	s_wait_dscnt 0x0
	v_fma_f64 v[38:39], v[38:39], v[40:41], 0
	s_and_saveexec_b32 s47, s18
	s_cbranch_execnz .LBB29_1127
; %bb.635:                              ;   in Loop: Header=BB29_3 Depth=1
	s_or_b32 exec_lo, exec_lo, s47
	s_and_saveexec_b32 s47, s19
	s_cbranch_execnz .LBB29_1128
.LBB29_636:                             ;   in Loop: Header=BB29_3 Depth=1
	s_or_b32 exec_lo, exec_lo, s47
	s_and_saveexec_b32 s47, s20
	s_cbranch_execnz .LBB29_1129
.LBB29_637:                             ;   in Loop: Header=BB29_3 Depth=1
	s_or_b32 exec_lo, exec_lo, s47
	s_and_saveexec_b32 s47, s21
	s_cbranch_execnz .LBB29_1130
.LBB29_638:                             ;   in Loop: Header=BB29_3 Depth=1
	s_or_b32 exec_lo, exec_lo, s47
	s_and_saveexec_b32 s47, s22
	s_cbranch_execnz .LBB29_1131
.LBB29_639:                             ;   in Loop: Header=BB29_3 Depth=1
	s_or_b32 exec_lo, exec_lo, s47
	s_and_saveexec_b32 s47, s2
	s_cbranch_execnz .LBB29_1132
.LBB29_640:                             ;   in Loop: Header=BB29_3 Depth=1
	s_or_b32 exec_lo, exec_lo, s47
	s_and_saveexec_b32 s47, s17
	s_cbranch_execz .LBB29_642
.LBB29_641:                             ;   in Loop: Header=BB29_3 Depth=1
	ds_load_b64 v[40:41], v71 offset:16000
	ds_load_b64 v[92:93], v3 offset:16120
	s_wait_dscnt 0x0
	v_fmac_f64_e32 v[38:39], v[40:41], v[92:93]
.LBB29_642:                             ;   in Loop: Header=BB29_3 Depth=1
	s_or_b32 exec_lo, exec_lo, s47
.LBB29_643:                             ;   in Loop: Header=BB29_3 Depth=1
	s_delay_alu instid0(SALU_CYCLE_1)
	s_or_b32 exec_lo, exec_lo, s65
	s_and_saveexec_b32 s65, s102
	s_cbranch_execz .LBB29_645
; %bb.644:                              ;   in Loop: Header=BB29_3 Depth=1
	ds_load_b64 v[40:41], v3 offset:11960
	s_wait_dscnt 0x0
	v_mul_f64_e32 v[38:39], v[38:39], v[40:41]
	s_delay_alu instid0(VALU_DEP_1) | instskip(NEXT) | instid1(VALU_DEP_2)
	v_xor_b32_e32 v41, 0x80000000, v39
	v_mov_b32_e32 v40, v38
	ds_store_b64 v53, v[40:41]
.LBB29_645:                             ;   in Loop: Header=BB29_3 Depth=1
	s_or_b32 exec_lo, exec_lo, s65
	s_wait_loadcnt_dscnt 0x0
	s_barrier_signal -1
	s_barrier_wait -1
	s_and_saveexec_b32 s47, s103
	s_cbranch_execz .LBB29_647
; %bb.646:                              ;   in Loop: Header=BB29_3 Depth=1
	ds_load_b64 v[40:41], v55 offset:11904
	ds_load_b64 v[92:93], v53
	s_wait_dscnt 0x0
	v_fma_f64 v[38:39], -v[40:41], v[92:93], v[38:39]
.LBB29_647:                             ;   in Loop: Header=BB29_3 Depth=1
	s_or_b32 exec_lo, exec_lo, s47
	s_barrier_signal -1
	s_barrier_wait -1
	s_and_saveexec_b32 s65, s104
	s_cbranch_execz .LBB29_649
; %bb.648:                              ;   in Loop: Header=BB29_3 Depth=1
	ds_load_b64 v[40:41], v3 offset:11440
	s_wait_dscnt 0x0
	v_mul_f64_e32 v[38:39], v[38:39], v[40:41]
	s_delay_alu instid0(VALU_DEP_1) | instskip(NEXT) | instid1(VALU_DEP_2)
	v_xor_b32_e32 v41, 0x80000000, v39
	v_mov_b32_e32 v40, v38
	ds_store_b64 v53, v[40:41]
.LBB29_649:                             ;   in Loop: Header=BB29_3 Depth=1
	s_or_b32 exec_lo, exec_lo, s65
	s_wait_dscnt 0x0
	s_barrier_signal -1
	s_barrier_wait -1
	s_and_saveexec_b32 s47, vcc_hi
	s_cbranch_execz .LBB29_651
; %bb.650:                              ;   in Loop: Header=BB29_3 Depth=1
	ds_load_b64 v[40:41], v55 offset:11392
	ds_load_b64 v[92:93], v53
	s_wait_dscnt 0x0
	v_fma_f64 v[38:39], -v[40:41], v[92:93], v[38:39]
.LBB29_651:                             ;   in Loop: Header=BB29_3 Depth=1
	s_or_b32 exec_lo, exec_lo, s47
	s_barrier_signal -1
	s_barrier_wait -1
	s_and_saveexec_b32 s65, s36
	s_cbranch_execz .LBB29_653
; %bb.652:                              ;   in Loop: Header=BB29_3 Depth=1
	ds_load_b64 v[40:41], v3 offset:10920
	s_wait_dscnt 0x0
	v_mul_f64_e32 v[38:39], v[38:39], v[40:41]
	s_delay_alu instid0(VALU_DEP_1) | instskip(NEXT) | instid1(VALU_DEP_2)
	v_xor_b32_e32 v41, 0x80000000, v39
	v_mov_b32_e32 v40, v38
	ds_store_b64 v53, v[40:41]
.LBB29_653:                             ;   in Loop: Header=BB29_3 Depth=1
	s_or_b32 exec_lo, exec_lo, s65
	s_wait_dscnt 0x0
	s_barrier_signal -1
	s_barrier_wait -1
	s_and_saveexec_b32 s47, s37
	s_cbranch_execz .LBB29_655
; %bb.654:                              ;   in Loop: Header=BB29_3 Depth=1
	ds_load_b64 v[40:41], v55 offset:10880
	ds_load_b64 v[92:93], v53
	s_wait_dscnt 0x0
	v_fma_f64 v[38:39], -v[40:41], v[92:93], v[38:39]
.LBB29_655:                             ;   in Loop: Header=BB29_3 Depth=1
	s_or_b32 exec_lo, exec_lo, s47
	s_barrier_signal -1
	s_barrier_wait -1
	s_and_saveexec_b32 s65, s38
	s_cbranch_execz .LBB29_657
; %bb.656:                              ;   in Loop: Header=BB29_3 Depth=1
	ds_load_b64 v[40:41], v3 offset:10400
	s_wait_dscnt 0x0
	v_mul_f64_e32 v[38:39], v[38:39], v[40:41]
	s_delay_alu instid0(VALU_DEP_1) | instskip(NEXT) | instid1(VALU_DEP_2)
	v_xor_b32_e32 v41, 0x80000000, v39
	v_mov_b32_e32 v40, v38
	ds_store_b64 v53, v[40:41]
.LBB29_657:                             ;   in Loop: Header=BB29_3 Depth=1
	s_or_b32 exec_lo, exec_lo, s65
	s_wait_dscnt 0x0
	s_barrier_signal -1
	s_barrier_wait -1
	s_and_saveexec_b32 s47, s39
	;; [unrolled: 26-line block ×5, first 2 shown]
	s_cbranch_execz .LBB29_671
; %bb.670:                              ;   in Loop: Header=BB29_3 Depth=1
	ds_load_b64 v[40:41], v3 offset:8832
	ds_load_b64 v[92:93], v53
	s_wait_dscnt 0x0
	v_fma_f64 v[38:39], -v[40:41], v[92:93], v[38:39]
.LBB29_671:                             ;   in Loop: Header=BB29_3 Depth=1
	s_or_b32 exec_lo, exec_lo, s47
	s_barrier_signal -1
	s_barrier_wait -1
	s_and_saveexec_b32 s65, s45
	s_cbranch_execz .LBB29_673
; %bb.672:                              ;   in Loop: Header=BB29_3 Depth=1
	ds_load_b64 v[40:41], v3 offset:8320
	s_wait_dscnt 0x0
	v_mul_f64_e32 v[38:39], v[38:39], v[40:41]
	s_delay_alu instid0(VALU_DEP_1) | instskip(NEXT) | instid1(VALU_DEP_2)
	v_xor_b32_e32 v41, 0x80000000, v39
	v_mov_b32_e32 v40, v38
	ds_store_b64 v53, v[40:41]
.LBB29_673:                             ;   in Loop: Header=BB29_3 Depth=1
	s_or_b32 exec_lo, exec_lo, s65
	s_wait_dscnt 0x0
	s_barrier_signal -1
	s_barrier_wait -1
	s_barrier_signal -1
	s_barrier_wait -1
	s_and_saveexec_b32 s47, s3
; %bb.674:                              ;   in Loop: Header=BB29_3 Depth=1
	ds_store_b64 v56, v[38:39] offset:16000
; %bb.675:                              ;   in Loop: Header=BB29_3 Depth=1
	s_or_b32 exec_lo, exec_lo, s47
	s_wait_dscnt 0x0
	s_barrier_signal -1
	s_barrier_wait -1
	s_barrier_signal -1
	s_barrier_wait -1
	s_and_saveexec_b32 s65, s46
	s_cbranch_execz .LBB29_677
; %bb.676:                              ;   in Loop: Header=BB29_3 Depth=1
	ds_load_b64 v[38:39], v72 offset:12416
	s_wait_dscnt 0x0
	ds_store_b64 v73, v[38:39] offset:8384
	ds_load_b64 v[38:39], v72 offset:12424
	s_wait_dscnt 0x0
	ds_store_b64 v73, v[38:39] offset:8896
	ds_load_b64 v[38:39], v72 offset:12432
	s_wait_dscnt 0x0
	ds_store_b64 v73, v[38:39] offset:9408
	ds_load_b64 v[38:39], v72 offset:12440
	s_wait_dscnt 0x0
	ds_store_b64 v73, v[38:39] offset:9920
	ds_load_b64 v[38:39], v72 offset:12448
	s_wait_dscnt 0x0
	ds_store_b64 v73, v[38:39] offset:10432
	ds_load_b64 v[38:39], v72 offset:12456
	s_wait_dscnt 0x0
	ds_store_b64 v73, v[38:39] offset:10944
	ds_load_b64 v[38:39], v72 offset:12464
	s_wait_dscnt 0x0
	ds_store_b64 v73, v[38:39] offset:11456
	ds_load_b64 v[38:39], v72 offset:12472
	s_wait_dscnt 0x0
	ds_store_b64 v73, v[38:39] offset:11968
.LBB29_677:                             ;   in Loop: Header=BB29_3 Depth=1
	s_or_b32 exec_lo, exec_lo, s65
	s_wait_dscnt 0x0
	s_barrier_signal -1
	s_barrier_wait -1
	s_and_saveexec_b32 s65, s14
	s_cbranch_execz .LBB29_679
; %bb.678:                              ;   in Loop: Header=BB29_3 Depth=1
	ds_load_b128 v[38:41], v3 offset:11952
	ds_load_b64 v[92:93], v3 offset:11440
	v_add_nc_u32_e64 v2, 0x2800, 0
	s_wait_dscnt 0x0
	v_mul_f64_e32 v[40:41], v[92:93], v[40:41]
	s_delay_alu instid0(VALU_DEP_1)
	v_mul_f64_e32 v[38:39], v[38:39], v[40:41]
	ds_store_2addr_b64 v2, v[38:39], v[38:39] offset0:151 offset1:214
.LBB29_679:                             ;   in Loop: Header=BB29_3 Depth=1
	s_or_b32 exec_lo, exec_lo, s65
	v_mov_b64_e32 v[38:39], 0
	s_wait_dscnt 0x0
	s_barrier_signal -1
	s_barrier_wait -1
	global_wb scope:SCOPE_DEV
	s_wait_storecnt 0x0
	global_inv scope:SCOPE_DEV
	s_and_saveexec_b32 s65, s0
	s_cbranch_execz .LBB29_683
; %bb.680:                              ;   in Loop: Header=BB29_3 Depth=1
	ds_load_b64 v[38:39], v45 offset:11424
	ds_load_b64 v[40:41], v44 offset:11952
	s_wait_dscnt 0x0
	v_fma_f64 v[38:39], v[38:39], v[40:41], 0
	s_and_saveexec_b32 s47, s15
	s_cbranch_execz .LBB29_682
; %bb.681:                              ;   in Loop: Header=BB29_3 Depth=1
	ds_load_b64 v[40:41], v73 offset:11936
	ds_load_b64 v[92:93], v3 offset:11960
	s_wait_dscnt 0x0
	v_fmac_f64_e32 v[38:39], v[40:41], v[92:93]
.LBB29_682:                             ;   in Loop: Header=BB29_3 Depth=1
	s_or_b32 exec_lo, exec_lo, s47
.LBB29_683:                             ;   in Loop: Header=BB29_3 Depth=1
	s_delay_alu instid0(SALU_CYCLE_1)
	s_or_b32 exec_lo, exec_lo, s65
	s_and_saveexec_b32 s65, s92
	s_cbranch_execz .LBB29_685
; %bb.684:                              ;   in Loop: Header=BB29_3 Depth=1
	ds_load_b64 v[40:41], v3 offset:10920
	s_wait_dscnt 0x0
	v_mul_f64_e32 v[38:39], v[38:39], v[40:41]
	s_delay_alu instid0(VALU_DEP_1) | instskip(NEXT) | instid1(VALU_DEP_2)
	v_xor_b32_e32 v41, 0x80000000, v39
	v_mov_b32_e32 v40, v38
	ds_store_b64 v5, v[40:41]
.LBB29_685:                             ;   in Loop: Header=BB29_3 Depth=1
	s_or_b32 exec_lo, exec_lo, s65
	s_wait_loadcnt_dscnt 0x0
	s_barrier_signal -1
	s_barrier_wait -1
	s_and_saveexec_b32 s47, s93
	s_cbranch_execz .LBB29_687
; %bb.686:                              ;   in Loop: Header=BB29_3 Depth=1
	ds_load_b64 v[40:41], v3 offset:10912
	ds_load_b64 v[92:93], v5
	s_wait_dscnt 0x0
	v_fma_f64 v[38:39], -v[40:41], v[92:93], v[38:39]
.LBB29_687:                             ;   in Loop: Header=BB29_3 Depth=1
	s_or_b32 exec_lo, exec_lo, s47
	s_barrier_signal -1
	s_barrier_wait -1
	s_and_saveexec_b32 s65, s93
	s_cbranch_execz .LBB29_689
; %bb.688:                              ;   in Loop: Header=BB29_3 Depth=1
	ds_load_b64 v[40:41], v3 offset:10400
	s_wait_dscnt 0x0
	v_mul_f64_e32 v[38:39], v[38:39], v[40:41]
	s_delay_alu instid0(VALU_DEP_1) | instskip(NEXT) | instid1(VALU_DEP_2)
	v_xor_b32_e32 v41, 0x80000000, v39
	v_mov_b32_e32 v40, v38
	ds_store_b64 v5, v[40:41]
.LBB29_689:                             ;   in Loop: Header=BB29_3 Depth=1
	s_or_b32 exec_lo, exec_lo, s65
	s_wait_dscnt 0x0
	s_barrier_signal -1
	s_barrier_wait -1
	s_barrier_signal -1
	s_barrier_wait -1
	s_and_saveexec_b32 s47, s0
; %bb.690:                              ;   in Loop: Header=BB29_3 Depth=1
	ds_store_b64 v47, v[38:39] offset:11936
; %bb.691:                              ;   in Loop: Header=BB29_3 Depth=1
	s_or_b32 exec_lo, exec_lo, s47
	s_wait_dscnt 0x0
	s_barrier_signal -1
	s_barrier_wait -1
	s_barrier_signal -1
	s_barrier_wait -1
	s_and_saveexec_b32 s47, s94
	s_cbranch_execz .LBB29_693
; %bb.692:                              ;   in Loop: Header=BB29_3 Depth=1
	ds_load_b64 v[38:39], v74 offset:11424
	s_wait_dscnt 0x0
	ds_store_b64 v73, v[38:39] offset:10416
	ds_load_b64 v[38:39], v74 offset:11432
	s_wait_dscnt 0x0
	ds_store_b64 v73, v[38:39] offset:10928
.LBB29_693:                             ;   in Loop: Header=BB29_3 Depth=1
	s_or_b32 exec_lo, exec_lo, s47
	s_wait_dscnt 0x0
	s_barrier_signal -1
	s_barrier_wait -1
	s_and_saveexec_b32 s65, s14
	s_cbranch_execz .LBB29_695
; %bb.694:                              ;   in Loop: Header=BB29_3 Depth=1
	ds_load_b128 v[38:41], v3 offset:10912
	ds_load_b64 v[92:93], v3 offset:10400
	v_add_nc_u32_e64 v2, 0x2800, 0
	s_wait_dscnt 0x0
	v_mul_f64_e32 v[40:41], v[92:93], v[40:41]
	s_delay_alu instid0(VALU_DEP_1)
	v_mul_f64_e32 v[38:39], v[38:39], v[40:41]
	ds_store_2addr_b64 v2, v[38:39], v[38:39] offset0:21 offset1:84
.LBB29_695:                             ;   in Loop: Header=BB29_3 Depth=1
	s_or_b32 exec_lo, exec_lo, s65
	v_mov_b64_e32 v[38:39], 0
	s_wait_dscnt 0x0
	s_barrier_signal -1
	s_barrier_wait -1
	global_wb scope:SCOPE_DEV
	s_wait_storecnt 0x0
	global_inv scope:SCOPE_DEV
	s_and_saveexec_b32 s65, s2
	s_cbranch_execz .LBB29_701
; %bb.696:                              ;   in Loop: Header=BB29_3 Depth=1
	ds_load_b64 v[38:39], v51 offset:10368
	ds_load_b64 v[40:41], v50 offset:11936
	s_wait_dscnt 0x0
	v_fma_f64 v[38:39], v[38:39], v[40:41], 0
	s_and_saveexec_b32 s47, s16
	s_cbranch_execnz .LBB29_1133
; %bb.697:                              ;   in Loop: Header=BB29_3 Depth=1
	s_or_b32 exec_lo, exec_lo, s47
	s_and_saveexec_b32 s47, s17
	s_cbranch_execnz .LBB29_1134
.LBB29_698:                             ;   in Loop: Header=BB29_3 Depth=1
	s_or_b32 exec_lo, exec_lo, s47
	s_and_saveexec_b32 s47, s0
	s_cbranch_execz .LBB29_700
.LBB29_699:                             ;   in Loop: Header=BB29_3 Depth=1
	ds_load_b64 v[40:41], v75 offset:11904
	ds_load_b64 v[92:93], v3 offset:11960
	s_wait_dscnt 0x0
	v_fmac_f64_e32 v[38:39], v[40:41], v[92:93]
.LBB29_700:                             ;   in Loop: Header=BB29_3 Depth=1
	s_or_b32 exec_lo, exec_lo, s47
.LBB29_701:                             ;   in Loop: Header=BB29_3 Depth=1
	s_delay_alu instid0(SALU_CYCLE_1)
	s_or_b32 exec_lo, exec_lo, s65
	s_and_saveexec_b32 s65, s95
	s_cbranch_execz .LBB29_703
; %bb.702:                              ;   in Loop: Header=BB29_3 Depth=1
	ds_load_b64 v[40:41], v3 offset:9880
	s_wait_dscnt 0x0
	v_mul_f64_e32 v[38:39], v[38:39], v[40:41]
	s_delay_alu instid0(VALU_DEP_1) | instskip(NEXT) | instid1(VALU_DEP_2)
	v_xor_b32_e32 v41, 0x80000000, v39
	v_mov_b32_e32 v40, v38
	ds_store_b64 v49, v[40:41]
.LBB29_703:                             ;   in Loop: Header=BB29_3 Depth=1
	s_or_b32 exec_lo, exec_lo, s65
	s_wait_loadcnt_dscnt 0x0
	s_barrier_signal -1
	s_barrier_wait -1
	s_and_saveexec_b32 s47, s96
	s_cbranch_execz .LBB29_705
; %bb.704:                              ;   in Loop: Header=BB29_3 Depth=1
	ds_load_b64 v[40:41], v51 offset:9856
	ds_load_b64 v[92:93], v49
	s_wait_dscnt 0x0
	v_fma_f64 v[38:39], -v[40:41], v[92:93], v[38:39]
.LBB29_705:                             ;   in Loop: Header=BB29_3 Depth=1
	s_or_b32 exec_lo, exec_lo, s47
	s_barrier_signal -1
	s_barrier_wait -1
	s_and_saveexec_b32 s65, s97
	s_cbranch_execz .LBB29_707
; %bb.706:                              ;   in Loop: Header=BB29_3 Depth=1
	ds_load_b64 v[40:41], v3 offset:9360
	s_wait_dscnt 0x0
	v_mul_f64_e32 v[38:39], v[38:39], v[40:41]
	s_delay_alu instid0(VALU_DEP_1) | instskip(NEXT) | instid1(VALU_DEP_2)
	v_xor_b32_e32 v41, 0x80000000, v39
	v_mov_b32_e32 v40, v38
	ds_store_b64 v49, v[40:41]
.LBB29_707:                             ;   in Loop: Header=BB29_3 Depth=1
	s_or_b32 exec_lo, exec_lo, s65
	s_wait_dscnt 0x0
	s_barrier_signal -1
	s_barrier_wait -1
	s_and_saveexec_b32 s47, s98
	s_cbranch_execz .LBB29_709
; %bb.708:                              ;   in Loop: Header=BB29_3 Depth=1
	ds_load_b64 v[40:41], v51 offset:9344
	ds_load_b64 v[92:93], v49
	s_wait_dscnt 0x0
	v_fma_f64 v[38:39], -v[40:41], v[92:93], v[38:39]
.LBB29_709:                             ;   in Loop: Header=BB29_3 Depth=1
	s_or_b32 exec_lo, exec_lo, s47
	s_barrier_signal -1
	s_barrier_wait -1
	s_and_saveexec_b32 s65, s99
	s_cbranch_execz .LBB29_711
; %bb.710:                              ;   in Loop: Header=BB29_3 Depth=1
	ds_load_b64 v[40:41], v3 offset:8840
	s_wait_dscnt 0x0
	v_mul_f64_e32 v[38:39], v[38:39], v[40:41]
	s_delay_alu instid0(VALU_DEP_1) | instskip(NEXT) | instid1(VALU_DEP_2)
	v_xor_b32_e32 v41, 0x80000000, v39
	v_mov_b32_e32 v40, v38
	ds_store_b64 v49, v[40:41]
.LBB29_711:                             ;   in Loop: Header=BB29_3 Depth=1
	s_or_b32 exec_lo, exec_lo, s65
	s_wait_dscnt 0x0
	;; [unrolled: 26-line block ×3, first 2 shown]
	s_barrier_signal -1
	s_barrier_wait -1
	s_barrier_signal -1
	s_barrier_wait -1
	s_and_saveexec_b32 s47, s2
; %bb.716:                              ;   in Loop: Header=BB29_3 Depth=1
	ds_store_b64 v52, v[38:39] offset:11904
; %bb.717:                              ;   in Loop: Header=BB29_3 Depth=1
	s_or_b32 exec_lo, exec_lo, s47
	s_wait_dscnt 0x0
	s_barrier_signal -1
	s_barrier_wait -1
	s_barrier_signal -1
	s_barrier_wait -1
	s_and_saveexec_b32 s65, s101
	s_cbranch_execz .LBB29_719
; %bb.718:                              ;   in Loop: Header=BB29_3 Depth=1
	ds_load_b64 v[38:39], v79 offset:10368
	s_wait_dscnt 0x0
	ds_store_b64 v82, v[38:39] offset:8352
	ds_load_b64 v[38:39], v79 offset:10376
	s_wait_dscnt 0x0
	ds_store_b64 v82, v[38:39] offset:8864
	;; [unrolled: 3-line block ×4, first 2 shown]
.LBB29_719:                             ;   in Loop: Header=BB29_3 Depth=1
	s_or_b32 exec_lo, exec_lo, s65
	s_wait_dscnt 0x0
	s_barrier_signal -1
	s_barrier_wait -1
	s_and_saveexec_b32 s65, s14
	s_cbranch_execz .LBB29_721
; %bb.720:                              ;   in Loop: Header=BB29_3 Depth=1
	ds_load_b128 v[38:41], v3 offset:9872
	ds_load_b64 v[92:93], v3 offset:9360
	v_add_nc_u32_e64 v2, 0x2000, 0
	s_wait_dscnt 0x0
	v_mul_f64_e32 v[40:41], v[92:93], v[40:41]
	s_delay_alu instid0(VALU_DEP_1)
	v_mul_f64_e32 v[38:39], v[38:39], v[40:41]
	ds_store_2addr_b64 v2, v[38:39], v[38:39] offset0:147 offset1:210
.LBB29_721:                             ;   in Loop: Header=BB29_3 Depth=1
	s_or_b32 exec_lo, exec_lo, s65
	v_mov_b64_e32 v[38:39], 0
	s_wait_dscnt 0x0
	s_barrier_signal -1
	s_barrier_wait -1
	global_wb scope:SCOPE_DEV
	s_wait_storecnt 0x0
	global_inv scope:SCOPE_DEV
	s_and_saveexec_b32 s65, s0
	s_cbranch_execz .LBB29_725
; %bb.722:                              ;   in Loop: Header=BB29_3 Depth=1
	ds_load_b64 v[38:39], v45 offset:9344
	ds_load_b64 v[40:41], v44 offset:9872
	s_wait_dscnt 0x0
	v_fma_f64 v[38:39], v[38:39], v[40:41], 0
	s_and_saveexec_b32 s47, s15
	s_cbranch_execz .LBB29_724
; %bb.723:                              ;   in Loop: Header=BB29_3 Depth=1
	ds_load_b64 v[40:41], v82 offset:9856
	ds_load_b64 v[92:93], v3 offset:9880
	s_wait_dscnt 0x0
	v_fmac_f64_e32 v[38:39], v[40:41], v[92:93]
.LBB29_724:                             ;   in Loop: Header=BB29_3 Depth=1
	s_or_b32 exec_lo, exec_lo, s47
.LBB29_725:                             ;   in Loop: Header=BB29_3 Depth=1
	s_delay_alu instid0(SALU_CYCLE_1)
	s_or_b32 exec_lo, exec_lo, s65
	s_and_saveexec_b32 s65, s92
	s_cbranch_execz .LBB29_727
; %bb.726:                              ;   in Loop: Header=BB29_3 Depth=1
	ds_load_b64 v[40:41], v3 offset:8840
	s_wait_dscnt 0x0
	v_mul_f64_e32 v[38:39], v[38:39], v[40:41]
	s_delay_alu instid0(VALU_DEP_1) | instskip(NEXT) | instid1(VALU_DEP_2)
	v_xor_b32_e32 v41, 0x80000000, v39
	v_mov_b32_e32 v40, v38
	ds_store_b64 v5, v[40:41]
.LBB29_727:                             ;   in Loop: Header=BB29_3 Depth=1
	s_or_b32 exec_lo, exec_lo, s65
	s_wait_loadcnt_dscnt 0x0
	s_barrier_signal -1
	s_barrier_wait -1
	s_and_saveexec_b32 s47, s93
	s_cbranch_execz .LBB29_729
; %bb.728:                              ;   in Loop: Header=BB29_3 Depth=1
	ds_load_b64 v[40:41], v3 offset:8832
	ds_load_b64 v[92:93], v5
	s_wait_dscnt 0x0
	v_fma_f64 v[38:39], -v[40:41], v[92:93], v[38:39]
.LBB29_729:                             ;   in Loop: Header=BB29_3 Depth=1
	s_or_b32 exec_lo, exec_lo, s47
	s_barrier_signal -1
	s_barrier_wait -1
	s_and_saveexec_b32 s65, s93
	s_cbranch_execz .LBB29_731
; %bb.730:                              ;   in Loop: Header=BB29_3 Depth=1
	ds_load_b64 v[40:41], v3 offset:8320
	s_wait_dscnt 0x0
	v_mul_f64_e32 v[38:39], v[38:39], v[40:41]
	s_delay_alu instid0(VALU_DEP_1) | instskip(NEXT) | instid1(VALU_DEP_2)
	v_xor_b32_e32 v41, 0x80000000, v39
	v_mov_b32_e32 v40, v38
	ds_store_b64 v5, v[40:41]
.LBB29_731:                             ;   in Loop: Header=BB29_3 Depth=1
	s_or_b32 exec_lo, exec_lo, s65
	s_wait_dscnt 0x0
	s_barrier_signal -1
	s_barrier_wait -1
	s_barrier_signal -1
	s_barrier_wait -1
	s_and_saveexec_b32 s47, s0
; %bb.732:                              ;   in Loop: Header=BB29_3 Depth=1
	ds_store_b64 v47, v[38:39] offset:9856
; %bb.733:                              ;   in Loop: Header=BB29_3 Depth=1
	s_or_b32 exec_lo, exec_lo, s47
	s_wait_dscnt 0x0
	s_barrier_signal -1
	s_barrier_wait -1
	s_barrier_signal -1
	s_barrier_wait -1
	s_and_saveexec_b32 s47, s94
	s_cbranch_execz .LBB29_735
; %bb.734:                              ;   in Loop: Header=BB29_3 Depth=1
	ds_load_b64 v[38:39], v83 offset:9344
	s_wait_dscnt 0x0
	ds_store_b64 v82, v[38:39] offset:8336
	ds_load_b64 v[38:39], v83 offset:9352
	s_wait_dscnt 0x0
	ds_store_b64 v82, v[38:39] offset:8848
.LBB29_735:                             ;   in Loop: Header=BB29_3 Depth=1
	s_or_b32 exec_lo, exec_lo, s47
	s_wait_dscnt 0x0
	s_barrier_signal -1
	s_barrier_wait -1
	s_and_saveexec_b32 s65, s14
	s_cbranch_execz .LBB29_737
; %bb.736:                              ;   in Loop: Header=BB29_3 Depth=1
	ds_load_b128 v[38:41], v3 offset:8832
	ds_load_b64 v[92:93], v3 offset:8320
	v_add_nc_u32_e64 v2, 0x2000, 0
	s_wait_dscnt 0x0
	v_mul_f64_e32 v[40:41], v[92:93], v[40:41]
	s_delay_alu instid0(VALU_DEP_1)
	v_mul_f64_e32 v[38:39], v[38:39], v[40:41]
	ds_store_2addr_b64 v2, v[38:39], v[38:39] offset0:17 offset1:80
.LBB29_737:                             ;   in Loop: Header=BB29_3 Depth=1
	s_or_b32 exec_lo, exec_lo, s65
	v_mov_b64_e32 v[38:39], 0
	s_wait_dscnt 0x0
	s_barrier_signal -1
	s_barrier_wait -1
	global_wb scope:SCOPE_DEV
	s_wait_storecnt 0x0
	global_inv scope:SCOPE_DEV
	s_and_saveexec_b32 s65, s4
	s_cbranch_execz .LBB29_765
; %bb.738:                              ;   in Loop: Header=BB29_3 Depth=1
	ds_load_b64 v[38:39], v59 offset:8192
	ds_load_b64 v[40:41], v58 offset:16000
	s_wait_dscnt 0x0
	v_fma_f64 v[38:39], v[38:39], v[40:41], 0
	s_mov_b32 s47, exec_lo
	v_readlane_b32 s82, v101, 25
	s_and_b32 s82, s47, s82
	s_delay_alu instid0(SALU_CYCLE_1)
	s_mov_b32 exec_lo, s82
	s_cbranch_execz .LBB29_740
; %bb.739:                              ;   in Loop: Header=BB29_3 Depth=1
	ds_load_b64 v[40:41], v59 offset:8704
	ds_load_b64 v[92:93], v58 offset:16008
	s_wait_dscnt 0x0
	v_fmac_f64_e32 v[38:39], v[40:41], v[92:93]
.LBB29_740:                             ;   in Loop: Header=BB29_3 Depth=1
	s_or_b32 exec_lo, exec_lo, s47
	s_delay_alu instid0(SALU_CYCLE_1) | instskip(SKIP_2) | instid1(SALU_CYCLE_1)
	s_mov_b32 s47, exec_lo
	v_readlane_b32 s82, v101, 26
	s_and_b32 s82, s47, s82
	s_mov_b32 exec_lo, s82
	s_cbranch_execz .LBB29_742
; %bb.741:                              ;   in Loop: Header=BB29_3 Depth=1
	ds_load_b64 v[40:41], v59 offset:9216
	ds_load_b64 v[92:93], v58 offset:16016
	s_wait_dscnt 0x0
	v_fmac_f64_e32 v[38:39], v[40:41], v[92:93]
.LBB29_742:                             ;   in Loop: Header=BB29_3 Depth=1
	s_or_b32 exec_lo, exec_lo, s47
	s_delay_alu instid0(SALU_CYCLE_1) | instskip(SKIP_2) | instid1(SALU_CYCLE_1)
	s_mov_b32 s47, exec_lo
	v_readlane_b32 s82, v101, 27
	s_and_b32 s82, s47, s82
	;; [unrolled: 13-line block ×10, first 2 shown]
	s_mov_b32 exec_lo, s82
	s_cbranch_execnz .LBB29_1135
; %bb.759:                              ;   in Loop: Header=BB29_3 Depth=1
	s_or_b32 exec_lo, exec_lo, s47
	s_and_saveexec_b32 s47, s3
	s_cbranch_execnz .LBB29_1136
.LBB29_760:                             ;   in Loop: Header=BB29_3 Depth=1
	s_or_b32 exec_lo, exec_lo, s47
	s_and_saveexec_b32 s47, s19
	s_cbranch_execnz .LBB29_1137
.LBB29_761:                             ;   in Loop: Header=BB29_3 Depth=1
	s_or_b32 exec_lo, exec_lo, s47
	s_and_saveexec_b32 s47, s21
	s_cbranch_execnz .LBB29_1138
.LBB29_762:                             ;   in Loop: Header=BB29_3 Depth=1
	s_or_b32 exec_lo, exec_lo, s47
	s_and_saveexec_b32 s47, s2
	s_cbranch_execz .LBB29_764
.LBB29_763:                             ;   in Loop: Header=BB29_3 Depth=1
	ds_load_b64 v[40:41], v46 offset:15872
	ds_load_b64 v[92:93], v3 offset:16120
	s_wait_dscnt 0x0
	v_fmac_f64_e32 v[38:39], v[40:41], v[92:93]
.LBB29_764:                             ;   in Loop: Header=BB29_3 Depth=1
	s_or_b32 exec_lo, exec_lo, s47
.LBB29_765:                             ;   in Loop: Header=BB29_3 Depth=1
	s_delay_alu instid0(SALU_CYCLE_1) | instskip(NEXT) | instid1(SALU_CYCLE_1)
	s_or_b32 exec_lo, exec_lo, s65
	s_mov_b32 s65, exec_lo
	v_readlane_b32 s47, v101, 6
	s_and_b32 s47, s65, s47
	s_delay_alu instid0(SALU_CYCLE_1)
	s_mov_b32 exec_lo, s47
	s_cbranch_execz .LBB29_767
; %bb.766:                              ;   in Loop: Header=BB29_3 Depth=1
	ds_load_b64 v[40:41], v3 offset:7800
	s_wait_dscnt 0x0
	v_mul_f64_e32 v[38:39], v[38:39], v[40:41]
	s_delay_alu instid0(VALU_DEP_1) | instskip(NEXT) | instid1(VALU_DEP_2)
	v_xor_b32_e32 v41, 0x80000000, v39
	v_mov_b32_e32 v40, v38
	ds_store_b64 v57, v[40:41]
.LBB29_767:                             ;   in Loop: Header=BB29_3 Depth=1
	s_or_b32 exec_lo, exec_lo, s65
	s_wait_loadcnt_dscnt 0x0
	s_barrier_signal -1
	s_barrier_wait -1
	s_and_saveexec_b32 s47, s48
	s_cbranch_execz .LBB29_769
; %bb.768:                              ;   in Loop: Header=BB29_3 Depth=1
	ds_load_b64 v[40:41], v59 offset:7680
	ds_load_b64 v[92:93], v57
	s_wait_dscnt 0x0
	v_fma_f64 v[38:39], -v[40:41], v[92:93], v[38:39]
.LBB29_769:                             ;   in Loop: Header=BB29_3 Depth=1
	s_or_b32 exec_lo, exec_lo, s47
	s_barrier_signal -1
	s_barrier_wait -1
	s_and_saveexec_b32 s65, s49
	s_cbranch_execz .LBB29_771
; %bb.770:                              ;   in Loop: Header=BB29_3 Depth=1
	ds_load_b64 v[40:41], v3 offset:7280
	s_wait_dscnt 0x0
	v_mul_f64_e32 v[38:39], v[38:39], v[40:41]
	s_delay_alu instid0(VALU_DEP_1) | instskip(NEXT) | instid1(VALU_DEP_2)
	v_xor_b32_e32 v41, 0x80000000, v39
	v_mov_b32_e32 v40, v38
	ds_store_b64 v57, v[40:41]
.LBB29_771:                             ;   in Loop: Header=BB29_3 Depth=1
	s_or_b32 exec_lo, exec_lo, s65
	s_wait_dscnt 0x0
	s_barrier_signal -1
	s_barrier_wait -1
	s_and_saveexec_b32 s47, s50
	s_cbranch_execz .LBB29_773
; %bb.772:                              ;   in Loop: Header=BB29_3 Depth=1
	ds_load_b64 v[40:41], v59 offset:7168
	ds_load_b64 v[92:93], v57
	s_wait_dscnt 0x0
	v_fma_f64 v[38:39], -v[40:41], v[92:93], v[38:39]
.LBB29_773:                             ;   in Loop: Header=BB29_3 Depth=1
	s_or_b32 exec_lo, exec_lo, s47
	s_barrier_signal -1
	s_barrier_wait -1
	s_and_saveexec_b32 s65, s51
	s_cbranch_execz .LBB29_775
; %bb.774:                              ;   in Loop: Header=BB29_3 Depth=1
	ds_load_b64 v[40:41], v3 offset:6760
	s_wait_dscnt 0x0
	v_mul_f64_e32 v[38:39], v[38:39], v[40:41]
	s_delay_alu instid0(VALU_DEP_1) | instskip(NEXT) | instid1(VALU_DEP_2)
	v_xor_b32_e32 v41, 0x80000000, v39
	v_mov_b32_e32 v40, v38
	ds_store_b64 v57, v[40:41]
.LBB29_775:                             ;   in Loop: Header=BB29_3 Depth=1
	s_or_b32 exec_lo, exec_lo, s65
	s_wait_dscnt 0x0
	;; [unrolled: 26-line block ×14, first 2 shown]
	s_barrier_signal -1
	s_barrier_wait -1
	s_and_saveexec_b32 s47, s73
	s_cbranch_execz .LBB29_825
; %bb.824:                              ;   in Loop: Header=BB29_3 Depth=1
	ds_load_b64 v[40:41], v3 offset:512
	ds_load_b64 v[92:93], v57
	s_wait_dscnt 0x0
	v_fma_f64 v[38:39], -v[40:41], v[92:93], v[38:39]
.LBB29_825:                             ;   in Loop: Header=BB29_3 Depth=1
	s_or_b32 exec_lo, exec_lo, s47
	s_barrier_signal -1
	s_barrier_wait -1
	s_and_saveexec_b32 s65, s73
	s_cbranch_execz .LBB29_827
; %bb.826:                              ;   in Loop: Header=BB29_3 Depth=1
	ds_load_b64 v[40:41], v3
	s_wait_dscnt 0x0
	v_mul_f64_e32 v[38:39], v[38:39], v[40:41]
	s_delay_alu instid0(VALU_DEP_1) | instskip(NEXT) | instid1(VALU_DEP_2)
	v_xor_b32_e32 v41, 0x80000000, v39
	v_mov_b32_e32 v40, v38
	ds_store_b64 v57, v[40:41]
.LBB29_827:                             ;   in Loop: Header=BB29_3 Depth=1
	s_or_b32 exec_lo, exec_lo, s65
	s_wait_dscnt 0x0
	s_barrier_signal -1
	s_barrier_wait -1
	s_barrier_signal -1
	s_barrier_wait -1
	s_and_saveexec_b32 s47, s4
; %bb.828:                              ;   in Loop: Header=BB29_3 Depth=1
	ds_store_b64 v60, v[38:39] offset:15872
; %bb.829:                              ;   in Loop: Header=BB29_3 Depth=1
	s_or_b32 exec_lo, exec_lo, s47
	s_wait_dscnt 0x0
	s_barrier_signal -1
	s_barrier_wait -1
	s_barrier_signal -1
	s_barrier_wait -1
	s_and_saveexec_b32 s65, s10
	s_cbranch_execz .LBB29_831
; %bb.830:                              ;   in Loop: Header=BB29_3 Depth=1
	ds_load_b64 v[38:39], v48 offset:8192
	s_wait_dscnt 0x0
	ds_store_b64 v65, v[38:39] offset:128
	ds_load_b64 v[38:39], v48 offset:8200
	s_wait_dscnt 0x0
	ds_store_b64 v65, v[38:39] offset:640
	;; [unrolled: 3-line block ×16, first 2 shown]
.LBB29_831:                             ;   in Loop: Header=BB29_3 Depth=1
	s_or_b32 exec_lo, exec_lo, s65
	s_wait_dscnt 0x0
	s_barrier_signal -1
	s_barrier_wait -1
	s_and_saveexec_b32 s65, s14
	s_cbranch_execz .LBB29_833
; %bb.832:                              ;   in Loop: Header=BB29_3 Depth=1
	ds_load_b128 v[38:41], v3 offset:7792
	ds_load_b64 v[92:93], v3 offset:7280
	v_add_nc_u32_e64 v2, 0x1800, 0
	s_wait_dscnt 0x0
	v_mul_f64_e32 v[40:41], v[92:93], v[40:41]
	s_delay_alu instid0(VALU_DEP_1)
	v_mul_f64_e32 v[38:39], v[38:39], v[40:41]
	ds_store_2addr_b64 v2, v[38:39], v[38:39] offset0:143 offset1:206
.LBB29_833:                             ;   in Loop: Header=BB29_3 Depth=1
	s_or_b32 exec_lo, exec_lo, s65
	v_mov_b64_e32 v[38:39], 0
	s_wait_dscnt 0x0
	s_barrier_signal -1
	s_barrier_wait -1
	global_wb scope:SCOPE_DEV
	s_wait_storecnt 0x0
	global_inv scope:SCOPE_DEV
	s_and_saveexec_b32 s65, s0
	s_cbranch_execz .LBB29_837
; %bb.834:                              ;   in Loop: Header=BB29_3 Depth=1
	ds_load_b64 v[38:39], v45 offset:7264
	ds_load_b64 v[40:41], v44 offset:7792
	s_wait_dscnt 0x0
	v_fma_f64 v[38:39], v[38:39], v[40:41], 0
	s_and_saveexec_b32 s47, s15
	s_cbranch_execz .LBB29_836
; %bb.835:                              ;   in Loop: Header=BB29_3 Depth=1
	ds_load_b64 v[40:41], v46 offset:7776
	ds_load_b64 v[92:93], v3 offset:7800
	s_wait_dscnt 0x0
	v_fmac_f64_e32 v[38:39], v[40:41], v[92:93]
.LBB29_836:                             ;   in Loop: Header=BB29_3 Depth=1
	s_or_b32 exec_lo, exec_lo, s47
.LBB29_837:                             ;   in Loop: Header=BB29_3 Depth=1
	s_delay_alu instid0(SALU_CYCLE_1)
	s_or_b32 exec_lo, exec_lo, s65
	s_and_saveexec_b32 s65, s92
	s_cbranch_execz .LBB29_839
; %bb.838:                              ;   in Loop: Header=BB29_3 Depth=1
	ds_load_b64 v[40:41], v3 offset:6760
	s_wait_dscnt 0x0
	v_mul_f64_e32 v[38:39], v[38:39], v[40:41]
	s_delay_alu instid0(VALU_DEP_1) | instskip(NEXT) | instid1(VALU_DEP_2)
	v_xor_b32_e32 v41, 0x80000000, v39
	v_mov_b32_e32 v40, v38
	ds_store_b64 v5, v[40:41]
.LBB29_839:                             ;   in Loop: Header=BB29_3 Depth=1
	s_or_b32 exec_lo, exec_lo, s65
	s_wait_loadcnt_dscnt 0x0
	s_barrier_signal -1
	s_barrier_wait -1
	s_and_saveexec_b32 s47, s93
	s_cbranch_execz .LBB29_841
; %bb.840:                              ;   in Loop: Header=BB29_3 Depth=1
	ds_load_b64 v[40:41], v3 offset:6752
	ds_load_b64 v[92:93], v5
	s_wait_dscnt 0x0
	v_fma_f64 v[38:39], -v[40:41], v[92:93], v[38:39]
.LBB29_841:                             ;   in Loop: Header=BB29_3 Depth=1
	s_or_b32 exec_lo, exec_lo, s47
	s_barrier_signal -1
	s_barrier_wait -1
	s_and_saveexec_b32 s65, s93
	s_cbranch_execz .LBB29_843
; %bb.842:                              ;   in Loop: Header=BB29_3 Depth=1
	ds_load_b64 v[40:41], v3 offset:6240
	s_wait_dscnt 0x0
	v_mul_f64_e32 v[38:39], v[38:39], v[40:41]
	s_delay_alu instid0(VALU_DEP_1) | instskip(NEXT) | instid1(VALU_DEP_2)
	v_xor_b32_e32 v41, 0x80000000, v39
	v_mov_b32_e32 v40, v38
	ds_store_b64 v5, v[40:41]
.LBB29_843:                             ;   in Loop: Header=BB29_3 Depth=1
	s_or_b32 exec_lo, exec_lo, s65
	s_wait_dscnt 0x0
	s_barrier_signal -1
	s_barrier_wait -1
	s_barrier_signal -1
	s_barrier_wait -1
	s_and_saveexec_b32 s47, s0
; %bb.844:                              ;   in Loop: Header=BB29_3 Depth=1
	ds_store_b64 v47, v[38:39] offset:7776
; %bb.845:                              ;   in Loop: Header=BB29_3 Depth=1
	s_or_b32 exec_lo, exec_lo, s47
	s_wait_dscnt 0x0
	s_barrier_signal -1
	s_barrier_wait -1
	s_barrier_signal -1
	s_barrier_wait -1
	s_and_saveexec_b32 s47, s94
	s_cbranch_execz .LBB29_847
; %bb.846:                              ;   in Loop: Header=BB29_3 Depth=1
	ds_load_b64 v[38:39], v48 offset:7264
	s_wait_dscnt 0x0
	ds_store_b64 v46, v[38:39] offset:6256
	ds_load_b64 v[38:39], v48 offset:7272
	s_wait_dscnt 0x0
	ds_store_b64 v46, v[38:39] offset:6768
.LBB29_847:                             ;   in Loop: Header=BB29_3 Depth=1
	s_or_b32 exec_lo, exec_lo, s47
	s_wait_dscnt 0x0
	s_barrier_signal -1
	s_barrier_wait -1
	s_and_saveexec_b32 s65, s14
	s_cbranch_execz .LBB29_849
; %bb.848:                              ;   in Loop: Header=BB29_3 Depth=1
	ds_load_b128 v[38:41], v3 offset:6752
	ds_load_b64 v[92:93], v3 offset:6240
	v_add_nc_u32_e64 v2, 0x1800, 0
	s_wait_dscnt 0x0
	v_mul_f64_e32 v[40:41], v[92:93], v[40:41]
	s_delay_alu instid0(VALU_DEP_1)
	v_mul_f64_e32 v[38:39], v[38:39], v[40:41]
	ds_store_2addr_b64 v2, v[38:39], v[38:39] offset0:13 offset1:76
.LBB29_849:                             ;   in Loop: Header=BB29_3 Depth=1
	s_or_b32 exec_lo, exec_lo, s65
	v_mov_b64_e32 v[38:39], 0
	s_wait_dscnt 0x0
	s_barrier_signal -1
	s_barrier_wait -1
	global_wb scope:SCOPE_DEV
	s_wait_storecnt 0x0
	global_inv scope:SCOPE_DEV
	s_and_saveexec_b32 s65, s2
	s_cbranch_execz .LBB29_855
; %bb.850:                              ;   in Loop: Header=BB29_3 Depth=1
	ds_load_b64 v[38:39], v51 offset:6208
	ds_load_b64 v[40:41], v50 offset:7776
	s_wait_dscnt 0x0
	v_fma_f64 v[38:39], v[38:39], v[40:41], 0
	s_and_saveexec_b32 s47, s16
	s_cbranch_execnz .LBB29_1139
; %bb.851:                              ;   in Loop: Header=BB29_3 Depth=1
	s_or_b32 exec_lo, exec_lo, s47
	s_and_saveexec_b32 s47, s17
	s_cbranch_execnz .LBB29_1140
.LBB29_852:                             ;   in Loop: Header=BB29_3 Depth=1
	s_or_b32 exec_lo, exec_lo, s47
	s_and_saveexec_b32 s47, s0
	s_cbranch_execz .LBB29_854
.LBB29_853:                             ;   in Loop: Header=BB29_3 Depth=1
	ds_load_b64 v[40:41], v65 offset:7744
	ds_load_b64 v[92:93], v3 offset:7800
	s_wait_dscnt 0x0
	v_fmac_f64_e32 v[38:39], v[40:41], v[92:93]
.LBB29_854:                             ;   in Loop: Header=BB29_3 Depth=1
	s_or_b32 exec_lo, exec_lo, s47
.LBB29_855:                             ;   in Loop: Header=BB29_3 Depth=1
	s_delay_alu instid0(SALU_CYCLE_1)
	s_or_b32 exec_lo, exec_lo, s65
	s_and_saveexec_b32 s65, s95
	s_cbranch_execz .LBB29_857
; %bb.856:                              ;   in Loop: Header=BB29_3 Depth=1
	ds_load_b64 v[40:41], v3 offset:5720
	s_wait_dscnt 0x0
	v_mul_f64_e32 v[38:39], v[38:39], v[40:41]
	s_delay_alu instid0(VALU_DEP_1) | instskip(NEXT) | instid1(VALU_DEP_2)
	v_xor_b32_e32 v41, 0x80000000, v39
	v_mov_b32_e32 v40, v38
	ds_store_b64 v49, v[40:41]
.LBB29_857:                             ;   in Loop: Header=BB29_3 Depth=1
	s_or_b32 exec_lo, exec_lo, s65
	s_wait_loadcnt_dscnt 0x0
	s_barrier_signal -1
	s_barrier_wait -1
	s_and_saveexec_b32 s47, s96
	s_cbranch_execz .LBB29_859
; %bb.858:                              ;   in Loop: Header=BB29_3 Depth=1
	ds_load_b64 v[40:41], v51 offset:5696
	ds_load_b64 v[92:93], v49
	s_wait_dscnt 0x0
	v_fma_f64 v[38:39], -v[40:41], v[92:93], v[38:39]
.LBB29_859:                             ;   in Loop: Header=BB29_3 Depth=1
	s_or_b32 exec_lo, exec_lo, s47
	s_barrier_signal -1
	s_barrier_wait -1
	s_and_saveexec_b32 s65, s97
	s_cbranch_execz .LBB29_861
; %bb.860:                              ;   in Loop: Header=BB29_3 Depth=1
	ds_load_b64 v[40:41], v3 offset:5200
	s_wait_dscnt 0x0
	v_mul_f64_e32 v[38:39], v[38:39], v[40:41]
	s_delay_alu instid0(VALU_DEP_1) | instskip(NEXT) | instid1(VALU_DEP_2)
	v_xor_b32_e32 v41, 0x80000000, v39
	v_mov_b32_e32 v40, v38
	ds_store_b64 v49, v[40:41]
.LBB29_861:                             ;   in Loop: Header=BB29_3 Depth=1
	s_or_b32 exec_lo, exec_lo, s65
	s_wait_dscnt 0x0
	s_barrier_signal -1
	s_barrier_wait -1
	s_and_saveexec_b32 s47, s98
	s_cbranch_execz .LBB29_863
; %bb.862:                              ;   in Loop: Header=BB29_3 Depth=1
	ds_load_b64 v[40:41], v51 offset:5184
	ds_load_b64 v[92:93], v49
	s_wait_dscnt 0x0
	v_fma_f64 v[38:39], -v[40:41], v[92:93], v[38:39]
.LBB29_863:                             ;   in Loop: Header=BB29_3 Depth=1
	s_or_b32 exec_lo, exec_lo, s47
	s_barrier_signal -1
	s_barrier_wait -1
	s_and_saveexec_b32 s65, s99
	s_cbranch_execz .LBB29_865
; %bb.864:                              ;   in Loop: Header=BB29_3 Depth=1
	ds_load_b64 v[40:41], v3 offset:4680
	s_wait_dscnt 0x0
	v_mul_f64_e32 v[38:39], v[38:39], v[40:41]
	s_delay_alu instid0(VALU_DEP_1) | instskip(NEXT) | instid1(VALU_DEP_2)
	v_xor_b32_e32 v41, 0x80000000, v39
	v_mov_b32_e32 v40, v38
	ds_store_b64 v49, v[40:41]
.LBB29_865:                             ;   in Loop: Header=BB29_3 Depth=1
	s_or_b32 exec_lo, exec_lo, s65
	s_wait_dscnt 0x0
	;; [unrolled: 26-line block ×3, first 2 shown]
	s_barrier_signal -1
	s_barrier_wait -1
	s_barrier_signal -1
	s_barrier_wait -1
	s_and_saveexec_b32 s47, s2
; %bb.870:                              ;   in Loop: Header=BB29_3 Depth=1
	ds_store_b64 v52, v[38:39] offset:7744
; %bb.871:                              ;   in Loop: Header=BB29_3 Depth=1
	s_or_b32 exec_lo, exec_lo, s47
	s_wait_dscnt 0x0
	s_barrier_signal -1
	s_barrier_wait -1
	s_barrier_signal -1
	s_barrier_wait -1
	s_and_saveexec_b32 s65, s101
	s_cbranch_execz .LBB29_873
; %bb.872:                              ;   in Loop: Header=BB29_3 Depth=1
	ds_load_b64 v[38:39], v68 offset:6208
	s_wait_dscnt 0x0
	ds_store_b64 v69, v[38:39] offset:4192
	ds_load_b64 v[38:39], v68 offset:6216
	s_wait_dscnt 0x0
	ds_store_b64 v69, v[38:39] offset:4704
	;; [unrolled: 3-line block ×4, first 2 shown]
.LBB29_873:                             ;   in Loop: Header=BB29_3 Depth=1
	s_or_b32 exec_lo, exec_lo, s65
	s_wait_dscnt 0x0
	s_barrier_signal -1
	s_barrier_wait -1
	s_and_saveexec_b32 s65, s14
	s_cbranch_execz .LBB29_875
; %bb.874:                              ;   in Loop: Header=BB29_3 Depth=1
	ds_load_b128 v[38:41], v3 offset:5712
	ds_load_b64 v[92:93], v3 offset:5200
	v_add_nc_u32_e64 v2, 0x1000, 0
	s_wait_dscnt 0x0
	v_mul_f64_e32 v[40:41], v[92:93], v[40:41]
	s_delay_alu instid0(VALU_DEP_1)
	v_mul_f64_e32 v[38:39], v[38:39], v[40:41]
	ds_store_2addr_b64 v2, v[38:39], v[38:39] offset0:139 offset1:202
.LBB29_875:                             ;   in Loop: Header=BB29_3 Depth=1
	s_or_b32 exec_lo, exec_lo, s65
	v_mov_b64_e32 v[38:39], 0
	s_wait_dscnt 0x0
	s_barrier_signal -1
	s_barrier_wait -1
	global_wb scope:SCOPE_DEV
	s_wait_storecnt 0x0
	global_inv scope:SCOPE_DEV
	s_and_saveexec_b32 s65, s0
	s_cbranch_execz .LBB29_879
; %bb.876:                              ;   in Loop: Header=BB29_3 Depth=1
	ds_load_b64 v[38:39], v45 offset:5184
	ds_load_b64 v[40:41], v44 offset:5712
	s_wait_dscnt 0x0
	v_fma_f64 v[38:39], v[38:39], v[40:41], 0
	s_and_saveexec_b32 s47, s15
	s_cbranch_execz .LBB29_878
; %bb.877:                              ;   in Loop: Header=BB29_3 Depth=1
	ds_load_b64 v[40:41], v69 offset:5696
	ds_load_b64 v[92:93], v3 offset:5720
	s_wait_dscnt 0x0
	v_fmac_f64_e32 v[38:39], v[40:41], v[92:93]
.LBB29_878:                             ;   in Loop: Header=BB29_3 Depth=1
	s_or_b32 exec_lo, exec_lo, s47
.LBB29_879:                             ;   in Loop: Header=BB29_3 Depth=1
	s_delay_alu instid0(SALU_CYCLE_1)
	s_or_b32 exec_lo, exec_lo, s65
	s_and_saveexec_b32 s65, s92
	s_cbranch_execz .LBB29_881
; %bb.880:                              ;   in Loop: Header=BB29_3 Depth=1
	ds_load_b64 v[40:41], v3 offset:4680
	s_wait_dscnt 0x0
	v_mul_f64_e32 v[38:39], v[38:39], v[40:41]
	s_delay_alu instid0(VALU_DEP_1) | instskip(NEXT) | instid1(VALU_DEP_2)
	v_xor_b32_e32 v41, 0x80000000, v39
	v_mov_b32_e32 v40, v38
	ds_store_b64 v5, v[40:41]
.LBB29_881:                             ;   in Loop: Header=BB29_3 Depth=1
	s_or_b32 exec_lo, exec_lo, s65
	s_wait_loadcnt_dscnt 0x0
	s_barrier_signal -1
	s_barrier_wait -1
	s_and_saveexec_b32 s47, s93
	s_cbranch_execz .LBB29_883
; %bb.882:                              ;   in Loop: Header=BB29_3 Depth=1
	ds_load_b64 v[40:41], v3 offset:4672
	ds_load_b64 v[92:93], v5
	s_wait_dscnt 0x0
	v_fma_f64 v[38:39], -v[40:41], v[92:93], v[38:39]
.LBB29_883:                             ;   in Loop: Header=BB29_3 Depth=1
	s_or_b32 exec_lo, exec_lo, s47
	s_barrier_signal -1
	s_barrier_wait -1
	s_and_saveexec_b32 s65, s93
	s_cbranch_execz .LBB29_885
; %bb.884:                              ;   in Loop: Header=BB29_3 Depth=1
	ds_load_b64 v[40:41], v3 offset:4160
	s_wait_dscnt 0x0
	v_mul_f64_e32 v[38:39], v[38:39], v[40:41]
	s_delay_alu instid0(VALU_DEP_1) | instskip(NEXT) | instid1(VALU_DEP_2)
	v_xor_b32_e32 v41, 0x80000000, v39
	v_mov_b32_e32 v40, v38
	ds_store_b64 v5, v[40:41]
.LBB29_885:                             ;   in Loop: Header=BB29_3 Depth=1
	s_or_b32 exec_lo, exec_lo, s65
	s_wait_dscnt 0x0
	s_barrier_signal -1
	s_barrier_wait -1
	s_barrier_signal -1
	s_barrier_wait -1
	s_and_saveexec_b32 s47, s0
; %bb.886:                              ;   in Loop: Header=BB29_3 Depth=1
	ds_store_b64 v47, v[38:39] offset:5696
; %bb.887:                              ;   in Loop: Header=BB29_3 Depth=1
	s_or_b32 exec_lo, exec_lo, s47
	s_wait_dscnt 0x0
	s_barrier_signal -1
	s_barrier_wait -1
	s_barrier_signal -1
	s_barrier_wait -1
	s_and_saveexec_b32 s47, s94
	s_cbranch_execz .LBB29_889
; %bb.888:                              ;   in Loop: Header=BB29_3 Depth=1
	ds_load_b64 v[38:39], v70 offset:5184
	s_wait_dscnt 0x0
	ds_store_b64 v69, v[38:39] offset:4176
	ds_load_b64 v[38:39], v70 offset:5192
	s_wait_dscnt 0x0
	ds_store_b64 v69, v[38:39] offset:4688
.LBB29_889:                             ;   in Loop: Header=BB29_3 Depth=1
	s_or_b32 exec_lo, exec_lo, s47
	s_wait_dscnt 0x0
	s_barrier_signal -1
	s_barrier_wait -1
	s_and_saveexec_b32 s65, s14
	s_cbranch_execz .LBB29_891
; %bb.890:                              ;   in Loop: Header=BB29_3 Depth=1
	ds_load_b128 v[38:41], v3 offset:4672
	ds_load_b64 v[92:93], v3 offset:4160
	v_add_nc_u32_e64 v2, 0x1000, 0
	s_wait_dscnt 0x0
	v_mul_f64_e32 v[40:41], v[92:93], v[40:41]
	s_delay_alu instid0(VALU_DEP_1)
	v_mul_f64_e32 v[38:39], v[38:39], v[40:41]
	ds_store_2addr_b64 v2, v[38:39], v[38:39] offset0:9 offset1:72
.LBB29_891:                             ;   in Loop: Header=BB29_3 Depth=1
	s_or_b32 exec_lo, exec_lo, s65
	v_mov_b64_e32 v[38:39], 0
	s_wait_dscnt 0x0
	s_barrier_signal -1
	s_barrier_wait -1
	global_wb scope:SCOPE_DEV
	s_wait_storecnt 0x0
	global_inv scope:SCOPE_DEV
	s_and_saveexec_b32 s65, s3
	s_cbranch_execz .LBB29_901
; %bb.892:                              ;   in Loop: Header=BB29_3 Depth=1
	ds_load_b64 v[38:39], v55 offset:4096
	ds_load_b64 v[40:41], v54 offset:7744
	s_wait_dscnt 0x0
	v_fma_f64 v[38:39], v[38:39], v[40:41], 0
	s_and_saveexec_b32 s47, s18
	s_cbranch_execnz .LBB29_1141
; %bb.893:                              ;   in Loop: Header=BB29_3 Depth=1
	s_or_b32 exec_lo, exec_lo, s47
	s_and_saveexec_b32 s47, s19
	s_cbranch_execnz .LBB29_1142
.LBB29_894:                             ;   in Loop: Header=BB29_3 Depth=1
	s_or_b32 exec_lo, exec_lo, s47
	s_and_saveexec_b32 s47, s20
	s_cbranch_execnz .LBB29_1143
.LBB29_895:                             ;   in Loop: Header=BB29_3 Depth=1
	s_or_b32 exec_lo, exec_lo, s47
	s_and_saveexec_b32 s47, s21
	s_cbranch_execnz .LBB29_1144
.LBB29_896:                             ;   in Loop: Header=BB29_3 Depth=1
	s_or_b32 exec_lo, exec_lo, s47
	s_and_saveexec_b32 s47, s22
	s_cbranch_execnz .LBB29_1145
.LBB29_897:                             ;   in Loop: Header=BB29_3 Depth=1
	s_or_b32 exec_lo, exec_lo, s47
	s_and_saveexec_b32 s47, s2
	s_cbranch_execnz .LBB29_1146
.LBB29_898:                             ;   in Loop: Header=BB29_3 Depth=1
	s_or_b32 exec_lo, exec_lo, s47
	s_and_saveexec_b32 s47, s17
	s_cbranch_execz .LBB29_900
.LBB29_899:                             ;   in Loop: Header=BB29_3 Depth=1
	ds_load_b64 v[40:41], v71 offset:7680
	ds_load_b64 v[92:93], v3 offset:7800
	s_wait_dscnt 0x0
	v_fmac_f64_e32 v[38:39], v[40:41], v[92:93]
.LBB29_900:                             ;   in Loop: Header=BB29_3 Depth=1
	s_or_b32 exec_lo, exec_lo, s47
.LBB29_901:                             ;   in Loop: Header=BB29_3 Depth=1
	s_delay_alu instid0(SALU_CYCLE_1)
	s_or_b32 exec_lo, exec_lo, s65
	s_and_saveexec_b32 s65, s102
	s_cbranch_execz .LBB29_903
; %bb.902:                              ;   in Loop: Header=BB29_3 Depth=1
	ds_load_b64 v[40:41], v3 offset:3640
	s_wait_dscnt 0x0
	v_mul_f64_e32 v[38:39], v[38:39], v[40:41]
	s_delay_alu instid0(VALU_DEP_1) | instskip(NEXT) | instid1(VALU_DEP_2)
	v_xor_b32_e32 v41, 0x80000000, v39
	v_mov_b32_e32 v40, v38
	ds_store_b64 v53, v[40:41]
.LBB29_903:                             ;   in Loop: Header=BB29_3 Depth=1
	s_or_b32 exec_lo, exec_lo, s65
	s_wait_loadcnt_dscnt 0x0
	s_barrier_signal -1
	s_barrier_wait -1
	s_and_saveexec_b32 s47, s103
	s_cbranch_execz .LBB29_905
; %bb.904:                              ;   in Loop: Header=BB29_3 Depth=1
	ds_load_b64 v[40:41], v55 offset:3584
	ds_load_b64 v[92:93], v53
	s_wait_dscnt 0x0
	v_fma_f64 v[38:39], -v[40:41], v[92:93], v[38:39]
.LBB29_905:                             ;   in Loop: Header=BB29_3 Depth=1
	s_or_b32 exec_lo, exec_lo, s47
	s_barrier_signal -1
	s_barrier_wait -1
	s_and_saveexec_b32 s65, s104
	s_cbranch_execz .LBB29_907
; %bb.906:                              ;   in Loop: Header=BB29_3 Depth=1
	ds_load_b64 v[40:41], v3 offset:3120
	s_wait_dscnt 0x0
	v_mul_f64_e32 v[38:39], v[38:39], v[40:41]
	s_delay_alu instid0(VALU_DEP_1) | instskip(NEXT) | instid1(VALU_DEP_2)
	v_xor_b32_e32 v41, 0x80000000, v39
	v_mov_b32_e32 v40, v38
	ds_store_b64 v53, v[40:41]
.LBB29_907:                             ;   in Loop: Header=BB29_3 Depth=1
	s_or_b32 exec_lo, exec_lo, s65
	s_wait_dscnt 0x0
	s_barrier_signal -1
	s_barrier_wait -1
	s_and_saveexec_b32 s47, vcc_hi
	s_cbranch_execz .LBB29_909
; %bb.908:                              ;   in Loop: Header=BB29_3 Depth=1
	ds_load_b64 v[40:41], v55 offset:3072
	ds_load_b64 v[92:93], v53
	s_wait_dscnt 0x0
	v_fma_f64 v[38:39], -v[40:41], v[92:93], v[38:39]
.LBB29_909:                             ;   in Loop: Header=BB29_3 Depth=1
	s_or_b32 exec_lo, exec_lo, s47
	s_barrier_signal -1
	s_barrier_wait -1
	s_and_saveexec_b32 s65, s36
	s_cbranch_execz .LBB29_911
; %bb.910:                              ;   in Loop: Header=BB29_3 Depth=1
	ds_load_b64 v[40:41], v3 offset:2600
	s_wait_dscnt 0x0
	v_mul_f64_e32 v[38:39], v[38:39], v[40:41]
	s_delay_alu instid0(VALU_DEP_1) | instskip(NEXT) | instid1(VALU_DEP_2)
	v_xor_b32_e32 v41, 0x80000000, v39
	v_mov_b32_e32 v40, v38
	ds_store_b64 v53, v[40:41]
.LBB29_911:                             ;   in Loop: Header=BB29_3 Depth=1
	s_or_b32 exec_lo, exec_lo, s65
	s_wait_dscnt 0x0
	s_barrier_signal -1
	s_barrier_wait -1
	s_and_saveexec_b32 s47, s37
	s_cbranch_execz .LBB29_913
; %bb.912:                              ;   in Loop: Header=BB29_3 Depth=1
	ds_load_b64 v[40:41], v55 offset:2560
	ds_load_b64 v[92:93], v53
	s_wait_dscnt 0x0
	v_fma_f64 v[38:39], -v[40:41], v[92:93], v[38:39]
.LBB29_913:                             ;   in Loop: Header=BB29_3 Depth=1
	s_or_b32 exec_lo, exec_lo, s47
	s_barrier_signal -1
	s_barrier_wait -1
	s_and_saveexec_b32 s65, s38
	s_cbranch_execz .LBB29_915
; %bb.914:                              ;   in Loop: Header=BB29_3 Depth=1
	ds_load_b64 v[40:41], v3 offset:2080
	s_wait_dscnt 0x0
	v_mul_f64_e32 v[38:39], v[38:39], v[40:41]
	s_delay_alu instid0(VALU_DEP_1) | instskip(NEXT) | instid1(VALU_DEP_2)
	v_xor_b32_e32 v41, 0x80000000, v39
	v_mov_b32_e32 v40, v38
	ds_store_b64 v53, v[40:41]
.LBB29_915:                             ;   in Loop: Header=BB29_3 Depth=1
	s_or_b32 exec_lo, exec_lo, s65
	s_wait_dscnt 0x0
	s_barrier_signal -1
	s_barrier_wait -1
	s_and_saveexec_b32 s47, s39
	;; [unrolled: 26-line block ×5, first 2 shown]
	s_cbranch_execz .LBB29_929
; %bb.928:                              ;   in Loop: Header=BB29_3 Depth=1
	ds_load_b64 v[40:41], v3 offset:512
	ds_load_b64 v[92:93], v53
	s_wait_dscnt 0x0
	v_fma_f64 v[38:39], -v[40:41], v[92:93], v[38:39]
.LBB29_929:                             ;   in Loop: Header=BB29_3 Depth=1
	s_or_b32 exec_lo, exec_lo, s47
	s_barrier_signal -1
	s_barrier_wait -1
	s_and_saveexec_b32 s65, s45
	s_cbranch_execz .LBB29_931
; %bb.930:                              ;   in Loop: Header=BB29_3 Depth=1
	ds_load_b64 v[40:41], v3
	s_wait_dscnt 0x0
	v_mul_f64_e32 v[38:39], v[38:39], v[40:41]
	s_delay_alu instid0(VALU_DEP_1) | instskip(NEXT) | instid1(VALU_DEP_2)
	v_xor_b32_e32 v41, 0x80000000, v39
	v_mov_b32_e32 v40, v38
	ds_store_b64 v53, v[40:41]
.LBB29_931:                             ;   in Loop: Header=BB29_3 Depth=1
	s_or_b32 exec_lo, exec_lo, s65
	s_wait_dscnt 0x0
	s_barrier_signal -1
	s_barrier_wait -1
	s_barrier_signal -1
	s_barrier_wait -1
	s_and_saveexec_b32 s47, s3
; %bb.932:                              ;   in Loop: Header=BB29_3 Depth=1
	ds_store_b64 v56, v[38:39] offset:7680
; %bb.933:                              ;   in Loop: Header=BB29_3 Depth=1
	s_or_b32 exec_lo, exec_lo, s47
	s_wait_dscnt 0x0
	s_barrier_signal -1
	s_barrier_wait -1
	s_barrier_signal -1
	s_barrier_wait -1
	s_and_saveexec_b32 s65, s46
	s_cbranch_execz .LBB29_935
; %bb.934:                              ;   in Loop: Header=BB29_3 Depth=1
	ds_load_b64 v[38:39], v72 offset:4096
	s_wait_dscnt 0x0
	ds_store_b64 v73, v[38:39] offset:64
	ds_load_b64 v[38:39], v72 offset:4104
	s_wait_dscnt 0x0
	ds_store_b64 v73, v[38:39] offset:576
	;; [unrolled: 3-line block ×8, first 2 shown]
.LBB29_935:                             ;   in Loop: Header=BB29_3 Depth=1
	s_or_b32 exec_lo, exec_lo, s65
	s_wait_dscnt 0x0
	s_barrier_signal -1
	s_barrier_wait -1
	s_and_saveexec_b32 s65, s14
	s_cbranch_execz .LBB29_937
; %bb.936:                              ;   in Loop: Header=BB29_3 Depth=1
	ds_load_b128 v[38:41], v3 offset:3632
	ds_load_b64 v[92:93], v3 offset:3120
	v_add_nc_u32_e64 v2, 0x800, 0
	s_wait_dscnt 0x0
	v_mul_f64_e32 v[40:41], v[92:93], v[40:41]
	s_delay_alu instid0(VALU_DEP_1)
	v_mul_f64_e32 v[38:39], v[38:39], v[40:41]
	ds_store_2addr_b64 v2, v[38:39], v[38:39] offset0:135 offset1:198
.LBB29_937:                             ;   in Loop: Header=BB29_3 Depth=1
	s_or_b32 exec_lo, exec_lo, s65
	v_mov_b64_e32 v[38:39], 0
	s_wait_dscnt 0x0
	s_barrier_signal -1
	s_barrier_wait -1
	global_wb scope:SCOPE_DEV
	s_wait_storecnt 0x0
	global_inv scope:SCOPE_DEV
	s_and_saveexec_b32 s65, s0
	s_cbranch_execz .LBB29_941
; %bb.938:                              ;   in Loop: Header=BB29_3 Depth=1
	ds_load_b64 v[38:39], v45 offset:3104
	ds_load_b64 v[40:41], v44 offset:3632
	s_wait_dscnt 0x0
	v_fma_f64 v[38:39], v[38:39], v[40:41], 0
	s_and_saveexec_b32 s47, s15
	s_cbranch_execz .LBB29_940
; %bb.939:                              ;   in Loop: Header=BB29_3 Depth=1
	ds_load_b64 v[40:41], v73 offset:3616
	ds_load_b64 v[92:93], v3 offset:3640
	s_wait_dscnt 0x0
	v_fmac_f64_e32 v[38:39], v[40:41], v[92:93]
.LBB29_940:                             ;   in Loop: Header=BB29_3 Depth=1
	s_or_b32 exec_lo, exec_lo, s47
.LBB29_941:                             ;   in Loop: Header=BB29_3 Depth=1
	s_delay_alu instid0(SALU_CYCLE_1)
	s_or_b32 exec_lo, exec_lo, s65
	s_and_saveexec_b32 s65, s92
	s_cbranch_execz .LBB29_943
; %bb.942:                              ;   in Loop: Header=BB29_3 Depth=1
	ds_load_b64 v[40:41], v3 offset:2600
	s_wait_dscnt 0x0
	v_mul_f64_e32 v[38:39], v[38:39], v[40:41]
	s_delay_alu instid0(VALU_DEP_1) | instskip(NEXT) | instid1(VALU_DEP_2)
	v_xor_b32_e32 v41, 0x80000000, v39
	v_mov_b32_e32 v40, v38
	ds_store_b64 v5, v[40:41]
.LBB29_943:                             ;   in Loop: Header=BB29_3 Depth=1
	s_or_b32 exec_lo, exec_lo, s65
	s_wait_loadcnt_dscnt 0x0
	s_barrier_signal -1
	s_barrier_wait -1
	s_and_saveexec_b32 s47, s93
	s_cbranch_execz .LBB29_945
; %bb.944:                              ;   in Loop: Header=BB29_3 Depth=1
	ds_load_b64 v[40:41], v3 offset:2592
	ds_load_b64 v[92:93], v5
	s_wait_dscnt 0x0
	v_fma_f64 v[38:39], -v[40:41], v[92:93], v[38:39]
.LBB29_945:                             ;   in Loop: Header=BB29_3 Depth=1
	s_or_b32 exec_lo, exec_lo, s47
	s_barrier_signal -1
	s_barrier_wait -1
	s_and_saveexec_b32 s65, s93
	s_cbranch_execz .LBB29_947
; %bb.946:                              ;   in Loop: Header=BB29_3 Depth=1
	ds_load_b64 v[40:41], v3 offset:2080
	s_wait_dscnt 0x0
	v_mul_f64_e32 v[38:39], v[38:39], v[40:41]
	s_delay_alu instid0(VALU_DEP_1) | instskip(NEXT) | instid1(VALU_DEP_2)
	v_xor_b32_e32 v41, 0x80000000, v39
	v_mov_b32_e32 v40, v38
	ds_store_b64 v5, v[40:41]
.LBB29_947:                             ;   in Loop: Header=BB29_3 Depth=1
	s_or_b32 exec_lo, exec_lo, s65
	s_wait_dscnt 0x0
	s_barrier_signal -1
	s_barrier_wait -1
	s_barrier_signal -1
	s_barrier_wait -1
	s_and_saveexec_b32 s47, s0
; %bb.948:                              ;   in Loop: Header=BB29_3 Depth=1
	ds_store_b64 v47, v[38:39] offset:3616
; %bb.949:                              ;   in Loop: Header=BB29_3 Depth=1
	s_or_b32 exec_lo, exec_lo, s47
	s_wait_dscnt 0x0
	s_barrier_signal -1
	s_barrier_wait -1
	s_barrier_signal -1
	s_barrier_wait -1
	s_and_saveexec_b32 s47, s94
	s_cbranch_execz .LBB29_951
; %bb.950:                              ;   in Loop: Header=BB29_3 Depth=1
	ds_load_b64 v[38:39], v74 offset:3104
	s_wait_dscnt 0x0
	ds_store_b64 v73, v[38:39] offset:2096
	ds_load_b64 v[38:39], v74 offset:3112
	s_wait_dscnt 0x0
	ds_store_b64 v73, v[38:39] offset:2608
.LBB29_951:                             ;   in Loop: Header=BB29_3 Depth=1
	s_or_b32 exec_lo, exec_lo, s47
	s_wait_dscnt 0x0
	s_barrier_signal -1
	s_barrier_wait -1
	s_and_saveexec_b32 s65, s14
	s_cbranch_execz .LBB29_953
; %bb.952:                              ;   in Loop: Header=BB29_3 Depth=1
	ds_load_b128 v[38:41], v3 offset:2592
	ds_load_b64 v[92:93], v3 offset:2080
	v_add_nc_u32_e64 v2, 0x800, 0
	s_wait_dscnt 0x0
	v_mul_f64_e32 v[40:41], v[92:93], v[40:41]
	s_delay_alu instid0(VALU_DEP_1)
	v_mul_f64_e32 v[38:39], v[38:39], v[40:41]
	ds_store_2addr_b64 v2, v[38:39], v[38:39] offset0:5 offset1:68
.LBB29_953:                             ;   in Loop: Header=BB29_3 Depth=1
	s_or_b32 exec_lo, exec_lo, s65
	v_mov_b64_e32 v[38:39], 0
	s_wait_dscnt 0x0
	s_barrier_signal -1
	s_barrier_wait -1
	global_wb scope:SCOPE_DEV
	s_wait_storecnt 0x0
	global_inv scope:SCOPE_DEV
	s_and_saveexec_b32 s65, s2
	s_cbranch_execz .LBB29_959
; %bb.954:                              ;   in Loop: Header=BB29_3 Depth=1
	ds_load_b64 v[38:39], v51 offset:2048
	ds_load_b64 v[40:41], v50 offset:3616
	s_wait_dscnt 0x0
	v_fma_f64 v[38:39], v[38:39], v[40:41], 0
	s_and_saveexec_b32 s47, s16
	s_cbranch_execnz .LBB29_1147
; %bb.955:                              ;   in Loop: Header=BB29_3 Depth=1
	s_or_b32 exec_lo, exec_lo, s47
	s_and_saveexec_b32 s47, s17
	s_cbranch_execnz .LBB29_1148
.LBB29_956:                             ;   in Loop: Header=BB29_3 Depth=1
	s_or_b32 exec_lo, exec_lo, s47
	s_and_saveexec_b32 s47, s0
	s_cbranch_execz .LBB29_958
.LBB29_957:                             ;   in Loop: Header=BB29_3 Depth=1
	ds_load_b64 v[40:41], v75 offset:3584
	ds_load_b64 v[92:93], v3 offset:3640
	s_wait_dscnt 0x0
	v_fmac_f64_e32 v[38:39], v[40:41], v[92:93]
.LBB29_958:                             ;   in Loop: Header=BB29_3 Depth=1
	s_or_b32 exec_lo, exec_lo, s47
.LBB29_959:                             ;   in Loop: Header=BB29_3 Depth=1
	s_delay_alu instid0(SALU_CYCLE_1)
	s_or_b32 exec_lo, exec_lo, s65
	s_and_saveexec_b32 s65, s95
	s_cbranch_execz .LBB29_961
; %bb.960:                              ;   in Loop: Header=BB29_3 Depth=1
	ds_load_b64 v[40:41], v3 offset:1560
	s_wait_dscnt 0x0
	v_mul_f64_e32 v[38:39], v[38:39], v[40:41]
	s_delay_alu instid0(VALU_DEP_1) | instskip(NEXT) | instid1(VALU_DEP_2)
	v_xor_b32_e32 v41, 0x80000000, v39
	v_mov_b32_e32 v40, v38
	ds_store_b64 v49, v[40:41]
.LBB29_961:                             ;   in Loop: Header=BB29_3 Depth=1
	s_or_b32 exec_lo, exec_lo, s65
	s_wait_loadcnt_dscnt 0x0
	s_barrier_signal -1
	s_barrier_wait -1
	s_and_saveexec_b32 s47, s96
	s_cbranch_execz .LBB29_963
; %bb.962:                              ;   in Loop: Header=BB29_3 Depth=1
	ds_load_b64 v[40:41], v51 offset:1536
	ds_load_b64 v[92:93], v49
	s_wait_dscnt 0x0
	v_fma_f64 v[38:39], -v[40:41], v[92:93], v[38:39]
.LBB29_963:                             ;   in Loop: Header=BB29_3 Depth=1
	s_or_b32 exec_lo, exec_lo, s47
	s_barrier_signal -1
	s_barrier_wait -1
	s_and_saveexec_b32 s65, s97
	s_cbranch_execz .LBB29_965
; %bb.964:                              ;   in Loop: Header=BB29_3 Depth=1
	ds_load_b64 v[40:41], v3 offset:1040
	s_wait_dscnt 0x0
	v_mul_f64_e32 v[38:39], v[38:39], v[40:41]
	s_delay_alu instid0(VALU_DEP_1) | instskip(NEXT) | instid1(VALU_DEP_2)
	v_xor_b32_e32 v41, 0x80000000, v39
	v_mov_b32_e32 v40, v38
	ds_store_b64 v49, v[40:41]
.LBB29_965:                             ;   in Loop: Header=BB29_3 Depth=1
	s_or_b32 exec_lo, exec_lo, s65
	s_wait_dscnt 0x0
	s_barrier_signal -1
	s_barrier_wait -1
	s_and_saveexec_b32 s47, s98
	s_cbranch_execz .LBB29_967
; %bb.966:                              ;   in Loop: Header=BB29_3 Depth=1
	ds_load_b64 v[40:41], v51 offset:1024
	ds_load_b64 v[92:93], v49
	s_wait_dscnt 0x0
	v_fma_f64 v[38:39], -v[40:41], v[92:93], v[38:39]
.LBB29_967:                             ;   in Loop: Header=BB29_3 Depth=1
	s_or_b32 exec_lo, exec_lo, s47
	s_barrier_signal -1
	s_barrier_wait -1
	s_and_saveexec_b32 s65, s99
	s_cbranch_execz .LBB29_969
; %bb.968:                              ;   in Loop: Header=BB29_3 Depth=1
	ds_load_b64 v[40:41], v3 offset:520
	s_wait_dscnt 0x0
	v_mul_f64_e32 v[38:39], v[38:39], v[40:41]
	s_delay_alu instid0(VALU_DEP_1) | instskip(NEXT) | instid1(VALU_DEP_2)
	v_xor_b32_e32 v41, 0x80000000, v39
	v_mov_b32_e32 v40, v38
	ds_store_b64 v49, v[40:41]
.LBB29_969:                             ;   in Loop: Header=BB29_3 Depth=1
	s_or_b32 exec_lo, exec_lo, s65
	s_wait_dscnt 0x0
	s_barrier_signal -1
	s_barrier_wait -1
	s_and_saveexec_b32 s47, s100
	s_cbranch_execz .LBB29_971
; %bb.970:                              ;   in Loop: Header=BB29_3 Depth=1
	ds_load_b64 v[40:41], v3 offset:512
	ds_load_b64 v[92:93], v49
	s_wait_dscnt 0x0
	v_fma_f64 v[38:39], -v[40:41], v[92:93], v[38:39]
.LBB29_971:                             ;   in Loop: Header=BB29_3 Depth=1
	s_or_b32 exec_lo, exec_lo, s47
	s_barrier_signal -1
	s_barrier_wait -1
	s_and_saveexec_b32 s65, s100
	s_cbranch_execz .LBB29_973
; %bb.972:                              ;   in Loop: Header=BB29_3 Depth=1
	ds_load_b64 v[40:41], v3
	s_wait_dscnt 0x0
	v_mul_f64_e32 v[38:39], v[38:39], v[40:41]
	s_delay_alu instid0(VALU_DEP_1) | instskip(NEXT) | instid1(VALU_DEP_2)
	v_xor_b32_e32 v41, 0x80000000, v39
	v_mov_b32_e32 v40, v38
	ds_store_b64 v49, v[40:41]
.LBB29_973:                             ;   in Loop: Header=BB29_3 Depth=1
	s_or_b32 exec_lo, exec_lo, s65
	s_wait_dscnt 0x0
	s_barrier_signal -1
	s_barrier_wait -1
	s_barrier_signal -1
	s_barrier_wait -1
	s_and_saveexec_b32 s47, s2
; %bb.974:                              ;   in Loop: Header=BB29_3 Depth=1
	ds_store_b64 v52, v[38:39] offset:3584
; %bb.975:                              ;   in Loop: Header=BB29_3 Depth=1
	s_or_b32 exec_lo, exec_lo, s47
	s_wait_dscnt 0x0
	s_barrier_signal -1
	s_barrier_wait -1
	s_barrier_signal -1
	s_barrier_wait -1
	s_and_saveexec_b32 s65, s101
	s_cbranch_execz .LBB29_977
; %bb.976:                              ;   in Loop: Header=BB29_3 Depth=1
	ds_load_b64 v[38:39], v79 offset:2048
	s_wait_dscnt 0x0
	ds_store_b64 v82, v[38:39] offset:32
	ds_load_b64 v[38:39], v79 offset:2056
	s_wait_dscnt 0x0
	ds_store_b64 v82, v[38:39] offset:544
	ds_load_b64 v[38:39], v79 offset:2064
	s_wait_dscnt 0x0
	ds_store_b64 v82, v[38:39] offset:1056
	ds_load_b64 v[38:39], v79 offset:2072
	s_wait_dscnt 0x0
	ds_store_b64 v82, v[38:39] offset:1568
.LBB29_977:                             ;   in Loop: Header=BB29_3 Depth=1
	s_or_b32 exec_lo, exec_lo, s65
	s_wait_dscnt 0x0
	s_barrier_signal -1
	s_barrier_wait -1
	s_and_saveexec_b32 s65, s14
	s_cbranch_execz .LBB29_979
; %bb.978:                              ;   in Loop: Header=BB29_3 Depth=1
	ds_load_b128 v[38:41], v3 offset:1552
	ds_load_b64 v[92:93], v3 offset:1040
	s_wait_dscnt 0x0
	v_mul_f64_e32 v[40:41], v[92:93], v[40:41]
	s_delay_alu instid0(VALU_DEP_1)
	v_mul_f64_e32 v[38:39], v[38:39], v[40:41]
	ds_store_2addr_b64 v3, v[38:39], v[38:39] offset0:131 offset1:194
.LBB29_979:                             ;   in Loop: Header=BB29_3 Depth=1
	s_or_b32 exec_lo, exec_lo, s65
	v_mov_b64_e32 v[38:39], 0
	s_wait_dscnt 0x0
	s_barrier_signal -1
	s_barrier_wait -1
	global_wb scope:SCOPE_DEV
	s_wait_storecnt 0x0
	global_inv scope:SCOPE_DEV
	s_and_saveexec_b32 s65, s0
	s_cbranch_execz .LBB29_983
; %bb.980:                              ;   in Loop: Header=BB29_3 Depth=1
	ds_load_b64 v[38:39], v45 offset:1024
	ds_load_b64 v[40:41], v44 offset:1552
	s_wait_dscnt 0x0
	v_fma_f64 v[38:39], v[38:39], v[40:41], 0
	s_and_saveexec_b32 s47, s15
	s_cbranch_execz .LBB29_982
; %bb.981:                              ;   in Loop: Header=BB29_3 Depth=1
	ds_load_b64 v[40:41], v82 offset:1536
	ds_load_b64 v[92:93], v3 offset:1560
	s_wait_dscnt 0x0
	v_fmac_f64_e32 v[38:39], v[40:41], v[92:93]
.LBB29_982:                             ;   in Loop: Header=BB29_3 Depth=1
	s_or_b32 exec_lo, exec_lo, s47
.LBB29_983:                             ;   in Loop: Header=BB29_3 Depth=1
	s_delay_alu instid0(SALU_CYCLE_1)
	s_or_b32 exec_lo, exec_lo, s65
	s_and_saveexec_b32 s65, s92
	s_cbranch_execz .LBB29_985
; %bb.984:                              ;   in Loop: Header=BB29_3 Depth=1
	ds_load_b64 v[40:41], v3 offset:520
	s_wait_dscnt 0x0
	v_mul_f64_e32 v[38:39], v[38:39], v[40:41]
	s_delay_alu instid0(VALU_DEP_1) | instskip(NEXT) | instid1(VALU_DEP_2)
	v_xor_b32_e32 v41, 0x80000000, v39
	v_mov_b32_e32 v40, v38
	ds_store_b64 v5, v[40:41]
.LBB29_985:                             ;   in Loop: Header=BB29_3 Depth=1
	s_or_b32 exec_lo, exec_lo, s65
	s_wait_loadcnt_dscnt 0x0
	s_barrier_signal -1
	s_barrier_wait -1
	s_and_saveexec_b32 s47, s93
	s_cbranch_execz .LBB29_987
; %bb.986:                              ;   in Loop: Header=BB29_3 Depth=1
	ds_load_b64 v[40:41], v3 offset:512
	ds_load_b64 v[92:93], v5
	s_wait_dscnt 0x0
	v_fma_f64 v[38:39], -v[40:41], v[92:93], v[38:39]
.LBB29_987:                             ;   in Loop: Header=BB29_3 Depth=1
	s_or_b32 exec_lo, exec_lo, s47
	s_barrier_signal -1
	s_barrier_wait -1
	s_and_saveexec_b32 s65, s93
	s_cbranch_execz .LBB29_989
; %bb.988:                              ;   in Loop: Header=BB29_3 Depth=1
	ds_load_b64 v[40:41], v3
	s_wait_dscnt 0x0
	v_mul_f64_e32 v[38:39], v[38:39], v[40:41]
	s_delay_alu instid0(VALU_DEP_1) | instskip(NEXT) | instid1(VALU_DEP_2)
	v_xor_b32_e32 v41, 0x80000000, v39
	v_mov_b32_e32 v40, v38
	ds_store_b64 v5, v[40:41]
.LBB29_989:                             ;   in Loop: Header=BB29_3 Depth=1
	s_or_b32 exec_lo, exec_lo, s65
	s_wait_dscnt 0x0
	s_barrier_signal -1
	s_barrier_wait -1
	s_barrier_signal -1
	s_barrier_wait -1
	s_and_saveexec_b32 s47, s0
; %bb.990:                              ;   in Loop: Header=BB29_3 Depth=1
	ds_store_b64 v47, v[38:39] offset:1536
; %bb.991:                              ;   in Loop: Header=BB29_3 Depth=1
	s_or_b32 exec_lo, exec_lo, s47
	s_wait_dscnt 0x0
	s_barrier_signal -1
	s_barrier_wait -1
	s_barrier_signal -1
	s_barrier_wait -1
	s_and_saveexec_b32 s47, s94
	s_cbranch_execz .LBB29_993
; %bb.992:                              ;   in Loop: Header=BB29_3 Depth=1
	ds_load_b64 v[38:39], v83 offset:1024
	s_wait_dscnt 0x0
	ds_store_b64 v82, v[38:39] offset:16
	ds_load_b64 v[38:39], v83 offset:1032
	s_wait_dscnt 0x0
	ds_store_b64 v82, v[38:39] offset:528
.LBB29_993:                             ;   in Loop: Header=BB29_3 Depth=1
	s_or_b32 exec_lo, exec_lo, s47
	s_wait_dscnt 0x0
	s_barrier_signal -1
	s_barrier_wait -1
	s_and_saveexec_b32 s65, s14
	s_cbranch_execz .LBB29_995
; %bb.994:                              ;   in Loop: Header=BB29_3 Depth=1
	ds_load_b128 v[38:41], v3 offset:512
	ds_load_b64 v[92:93], v3
	s_wait_dscnt 0x0
	v_mul_f64_e32 v[40:41], v[92:93], v[40:41]
	s_delay_alu instid0(VALU_DEP_1)
	v_mul_f64_e32 v[38:39], v[38:39], v[40:41]
	ds_store_2addr_b64 v3, v[38:39], v[38:39] offset0:1 offset1:64
.LBB29_995:                             ;   in Loop: Header=BB29_3 Depth=1
	s_or_b32 exec_lo, exec_lo, s65
.LBB29_996:                             ;   in Loop: Header=BB29_3 Depth=1
	v_readlane_b32 s84, v101, 3
	v_mov_b64_e32 v[38:39], 0
	v_readlane_b32 s85, v101, 4
	s_mul_u64 s[82:83], s[76:77], s[80:81]
	s_wait_dscnt 0x0
	s_lshl_b64 s[82:83], s[82:83], 3
	s_barrier_signal -1
	s_add_nc_u64 s[82:83], s[84:85], s[82:83]
	s_barrier_wait -1
	s_and_saveexec_b32 s47, s70
	s_cbranch_execz .LBB29_998
; %bb.997:                              ;   in Loop: Header=BB29_3 Depth=1
	v_lshl_add_u64 v[38:39], v[0:1], 3, s[82:83]
	global_load_b64 v[38:39], v[38:39], off
	s_wait_loadcnt 0x0
	v_mul_f64_e64 v[38:39], v[38:39], -v[36:37]
.LBB29_998:                             ;   in Loop: Header=BB29_3 Depth=1
	s_or_b32 exec_lo, exec_lo, s47
	s_delay_alu instid0(SALU_CYCLE_1)
	s_and_not1_b32 vcc_lo, exec_lo, s71
	s_cbranch_vccnz .LBB29_1024
; %bb.999:                              ;   in Loop: Header=BB29_3 Depth=1
	v_mov_b32_e32 v92, -1
	s_lshl_b64 s[84:85], s[80:81], 2
	s_mov_b32 s89, 0
	s_add_nc_u64 s[84:85], s[78:79], s[84:85]
	s_branch .LBB29_1002
.LBB29_1000:                            ;   in Loop: Header=BB29_1002 Depth=2
	s_wait_xcnt 0x0
	ds_load_b64 v[36:37], v84 offset:384
	s_wait_loadcnt_dscnt 0x0
	v_fmac_f64_e32 v[38:39], v[40:41], v[36:37]
.LBB29_1001:                            ;   in Loop: Header=BB29_1002 Depth=2
	s_or_b32 exec_lo, exec_lo, s65
	s_add_co_i32 s89, s89, 1
	s_delay_alu instid0(SALU_CYCLE_1)
	s_cmp_eq_u32 s89, s88
	s_cbranch_scc1 .LBB29_1024
.LBB29_1002:                            ;   Parent Loop BB29_3 Depth=1
                                        ; =>  This Loop Header: Depth=2
                                        ;       Child Loop BB29_1004 Depth 3
	v_cmp_gt_i32_e32 vcc_lo, s89, v92
	s_and_b32 s47, s59, vcc_lo
	s_delay_alu instid0(SALU_CYCLE_1)
	s_and_saveexec_b32 s65, s47
	s_cbranch_execz .LBB29_1005
; %bb.1003:                             ;   in Loop: Header=BB29_1002 Depth=2
	global_load_b32 v92, v3, s[84:85]
	s_wait_loadcnt 0x0
	v_cmp_le_i32_e32 vcc_lo, s89, v92
	s_cbranch_vccnz .LBB29_1005
.LBB29_1004:                            ;   Parent Loop BB29_3 Depth=1
                                        ;     Parent Loop BB29_1002 Depth=2
                                        ; =>    This Inner Loop Header: Depth=3
	global_wb scope:SCOPE_DEV
	s_wait_storecnt 0x0
	global_inv scope:SCOPE_DEV
	global_load_b32 v92, v3, s[84:85]
	s_wait_loadcnt 0x0
	v_cmp_gt_i32_e32 vcc_lo, s89, v92
	s_cbranch_vccnz .LBB29_1004
.LBB29_1005:                            ;   in Loop: Header=BB29_1002 Depth=2
	s_or_b32 exec_lo, exec_lo, s65
	s_lshl_b32 s65, s89, 6
	global_wb scope:SCOPE_DEV
	s_wait_storecnt 0x0
	global_inv scope:SCOPE_DEV
	s_wait_loadcnt 0x0
	s_barrier_signal -1
	s_barrier_wait -1
	s_and_saveexec_b32 s86, s60
	s_cbranch_execz .LBB29_1009
; %bb.1006:                             ;   in Loop: Header=BB29_1002 Depth=2
	v_mov_b64_e32 v[36:37], 0
	v_or_b32_e32 v2, s65, v6
	s_mov_b32 s47, exec_lo
	s_delay_alu instid0(VALU_DEP_1)
	v_cmpx_gt_i32_e64 s87, v2
	s_cbranch_execz .LBB29_1008
; %bb.1007:                             ;   in Loop: Header=BB29_1002 Depth=2
	v_mul_u64_e32 v[36:37], s[74:75], v[2:3]
	s_delay_alu instid0(VALU_DEP_1)
	v_lshl_add_u64 v[36:37], v[36:37], 3, s[82:83]
	global_load_b64 v[36:37], v[36:37], off
.LBB29_1008:                            ;   in Loop: Header=BB29_1002 Depth=2
	s_wait_xcnt 0x0
	s_or_b32 exec_lo, exec_lo, s47
	s_wait_loadcnt 0x0
	ds_store_b64 v87, v[36:37]
.LBB29_1009:                            ;   in Loop: Header=BB29_1002 Depth=2
	s_or_b32 exec_lo, exec_lo, s86
	v_add_nc_u32_e32 v2, s65, v42
	v_cmp_ne_u32_e32 vcc_lo, s89, v43
	s_wait_dscnt 0x0
	s_barrier_signal -1
	s_barrier_wait -1
	v_cmp_gt_i32_e64 s65, s87, v2
	v_lshl_add_u64 v[36:37], v[2:3], 3, v[34:35]
	v_cndmask_b32_e64 v93, 0, 1, vcc_lo
	s_and_b32 s47, s65, s5
	s_delay_alu instid0(SALU_CYCLE_1)
	s_and_saveexec_b32 s65, s47
	s_cbranch_execz .LBB29_1013
; %bb.1010:                             ;   in Loop: Header=BB29_1002 Depth=2
	v_mov_b64_e32 v[40:41], v[26:27]
	s_and_not1_b32 vcc_lo, exec_lo, vcc_lo
	s_cbranch_vccnz .LBB29_1012
; %bb.1011:                             ;   in Loop: Header=BB29_1002 Depth=2
	global_load_b64 v[40:41], v[36:37], off
.LBB29_1012:                            ;   in Loop: Header=BB29_1002 Depth=2
	ds_load_b64 v[94:95], v84
	s_wait_loadcnt_dscnt 0x0
	v_fmac_f64_e32 v[38:39], v[40:41], v[94:95]
.LBB29_1013:                            ;   in Loop: Header=BB29_1002 Depth=2
	s_or_b32 exec_lo, exec_lo, s65
	v_add_nc_u32_e32 v40, 16, v2
	s_delay_alu instid0(VALU_DEP_1) | instskip(SKIP_1) | instid1(SALU_CYCLE_1)
	v_cmp_gt_i32_e32 vcc_lo, s87, v40
	s_and_b32 s47, vcc_lo, s5
	s_and_saveexec_b32 s65, s47
	s_cbranch_execz .LBB29_1017
; %bb.1014:                             ;   in Loop: Header=BB29_1002 Depth=2
	v_cmp_ne_u32_e32 vcc_lo, 1, v93
	v_mov_b64_e32 v[40:41], v[28:29]
	s_cbranch_vccnz .LBB29_1016
; %bb.1015:                             ;   in Loop: Header=BB29_1002 Depth=2
	global_load_b64 v[40:41], v[36:37], off offset:128
.LBB29_1016:                            ;   in Loop: Header=BB29_1002 Depth=2
	ds_load_b64 v[94:95], v84 offset:128
	s_wait_loadcnt_dscnt 0x0
	v_fmac_f64_e32 v[38:39], v[40:41], v[94:95]
.LBB29_1017:                            ;   in Loop: Header=BB29_1002 Depth=2
	s_or_b32 exec_lo, exec_lo, s65
	v_add_nc_u32_e32 v40, 32, v2
	s_delay_alu instid0(VALU_DEP_1) | instskip(SKIP_1) | instid1(SALU_CYCLE_1)
	v_cmp_gt_i32_e32 vcc_lo, s87, v40
	s_and_b32 s47, vcc_lo, s5
	s_and_saveexec_b32 s65, s47
	s_cbranch_execz .LBB29_1021
; %bb.1018:                             ;   in Loop: Header=BB29_1002 Depth=2
	v_cmp_ne_u32_e32 vcc_lo, 1, v93
	v_mov_b64_e32 v[40:41], v[30:31]
	s_cbranch_vccnz .LBB29_1020
; %bb.1019:                             ;   in Loop: Header=BB29_1002 Depth=2
	global_load_b64 v[40:41], v[36:37], off offset:256
.LBB29_1020:                            ;   in Loop: Header=BB29_1002 Depth=2
	ds_load_b64 v[94:95], v84 offset:256
	s_wait_loadcnt_dscnt 0x0
	v_fmac_f64_e32 v[38:39], v[40:41], v[94:95]
.LBB29_1021:                            ;   in Loop: Header=BB29_1002 Depth=2
	s_or_b32 exec_lo, exec_lo, s65
	v_add_nc_u32_e32 v2, 48, v2
	s_delay_alu instid0(VALU_DEP_1) | instskip(SKIP_1) | instid1(SALU_CYCLE_1)
	v_cmp_gt_i32_e32 vcc_lo, s87, v2
	s_and_b32 s47, vcc_lo, s5
	s_and_saveexec_b32 s65, s47
	s_cbranch_execz .LBB29_1001
; %bb.1022:                             ;   in Loop: Header=BB29_1002 Depth=2
	v_cmp_ne_u32_e32 vcc_lo, 1, v93
	v_mov_b64_e32 v[40:41], v[32:33]
	s_cbranch_vccnz .LBB29_1000
; %bb.1023:                             ;   in Loop: Header=BB29_1002 Depth=2
	global_load_b64 v[40:41], v[36:37], off offset:384
	s_branch .LBB29_1000
.LBB29_1024:                            ;   in Loop: Header=BB29_3 Depth=1
	ds_store_b64 v88, v[38:39]
	s_wait_dscnt 0x0
	s_barrier_signal -1
	s_barrier_wait -1
	s_and_saveexec_b32 s65, s1
	s_cbranch_execz .LBB29_1026
; %bb.1025:                             ;   in Loop: Header=BB29_3 Depth=1
	ds_load_2addr_stride64_b64 v[34:37], v89 offset0:1 offset1:2
	ds_load_2addr_stride64_b64 v[92:95], v89 offset0:3 offset1:4
	s_wait_dscnt 0x1
	v_add_f64_e32 v[34:35], v[38:39], v[34:35]
	s_delay_alu instid0(VALU_DEP_1) | instskip(SKIP_1) | instid1(VALU_DEP_1)
	v_add_f64_e32 v[34:35], v[34:35], v[36:37]
	s_wait_dscnt 0x0
	v_add_f64_e32 v[34:35], v[34:35], v[92:93]
	s_delay_alu instid0(VALU_DEP_1) | instskip(SKIP_4) | instid1(VALU_DEP_1)
	v_add_f64_e32 v[92:93], v[34:35], v[94:95]
	ds_load_2addr_stride64_b64 v[34:37], v89 offset0:5 offset1:6
	ds_load_2addr_stride64_b64 v[38:41], v89 offset0:7 offset1:8
	s_wait_dscnt 0x1
	v_add_f64_e32 v[34:35], v[92:93], v[34:35]
	v_add_f64_e32 v[34:35], v[34:35], v[36:37]
	s_wait_dscnt 0x0
	s_delay_alu instid0(VALU_DEP_1) | instskip(NEXT) | instid1(VALU_DEP_1)
	v_add_f64_e32 v[34:35], v[34:35], v[38:39]
	v_add_f64_e32 v[92:93], v[34:35], v[40:41]
	ds_load_2addr_stride64_b64 v[34:37], v89 offset0:9 offset1:10
	ds_load_2addr_stride64_b64 v[38:41], v89 offset0:11 offset1:12
	s_wait_dscnt 0x1
	v_add_f64_e32 v[34:35], v[92:93], v[34:35]
	s_delay_alu instid0(VALU_DEP_1) | instskip(SKIP_1) | instid1(VALU_DEP_1)
	v_add_f64_e32 v[34:35], v[34:35], v[36:37]
	s_wait_dscnt 0x0
	v_add_f64_e32 v[34:35], v[34:35], v[38:39]
	s_delay_alu instid0(VALU_DEP_1) | instskip(SKIP_4) | instid1(VALU_DEP_1)
	v_add_f64_e32 v[38:39], v[34:35], v[40:41]
	ds_load_2addr_stride64_b64 v[34:37], v89 offset0:13 offset1:14
	ds_load_b64 v[40:41], v89 offset:7680
	s_wait_dscnt 0x1
	v_add_f64_e32 v[34:35], v[38:39], v[34:35]
	v_add_f64_e32 v[34:35], v[34:35], v[36:37]
	s_wait_dscnt 0x0
	s_delay_alu instid0(VALU_DEP_1) | instskip(NEXT) | instid1(VALU_DEP_1)
	v_add_f64_e32 v[34:35], v[34:35], v[40:41]
	v_xor_b32_e32 v2, 0x80000000, v35
	s_delay_alu instid0(VALU_DEP_2) | instskip(NEXT) | instid1(VALU_DEP_2)
	v_cndmask_b32_e64 v38, v34, 0, s11
	v_cndmask_b32_e64 v39, v2, 0, s11
.LBB29_1026:                            ;   in Loop: Header=BB29_3 Depth=1
	s_or_b32 exec_lo, exec_lo, s65
	s_delay_alu instid0(SALU_CYCLE_1)
	s_and_not1_b32 vcc_lo, exec_lo, s91
	s_cbranch_vccnz .LBB29_1036
; %bb.1027:                             ;   in Loop: Header=BB29_3 Depth=1
	s_and_saveexec_b32 s47, s1
; %bb.1028:                             ;   in Loop: Header=BB29_3 Depth=1
	ds_store_b64 v91, v[38:39]
; %bb.1029:                             ;   in Loop: Header=BB29_3 Depth=1
	s_or_b32 exec_lo, exec_lo, s47
	v_mov_b64_e32 v[34:35], 0
	s_wait_dscnt 0x0
	s_barrier_signal -1
	s_barrier_wait -1
	s_and_saveexec_b32 s47, s6
	s_cbranch_execnz .LBB29_1091
; %bb.1030:                             ;   in Loop: Header=BB29_3 Depth=1
	s_or_b32 exec_lo, exec_lo, s47
	s_and_saveexec_b32 s47, s7
	s_cbranch_execnz .LBB29_1092
.LBB29_1031:                            ;   in Loop: Header=BB29_3 Depth=1
	s_or_b32 exec_lo, exec_lo, s47
	s_and_saveexec_b32 s47, s8
	s_cbranch_execnz .LBB29_1093
.LBB29_1032:                            ;   in Loop: Header=BB29_3 Depth=1
	s_or_b32 exec_lo, exec_lo, s47
	s_and_saveexec_b32 s47, s9
	s_cbranch_execz .LBB29_1034
.LBB29_1033:                            ;   in Loop: Header=BB29_3 Depth=1
	ds_load_b64 v[36:37], v90 offset:24576
	ds_load_b64 v[40:41], v84 offset:384
	s_wait_dscnt 0x0
	v_fmac_f64_e32 v[34:35], v[36:37], v[40:41]
.LBB29_1034:                            ;   in Loop: Header=BB29_3 Depth=1
	s_or_b32 exec_lo, exec_lo, s47
	s_mov_b32 s84, 0
	s_mov_b32 s65, 0
	ds_store_b64 v88, v[34:35]
	s_wait_dscnt 0x0
	s_barrier_signal -1
	s_barrier_wait -1
                                        ; implicit-def: $vgpr36_vgpr37
	s_and_saveexec_b32 s85, s1
	s_cbranch_execz .LBB29_1094
; %bb.1035:                             ;   in Loop: Header=BB29_3 Depth=1
	ds_load_2addr_stride64_b64 v[92:95], v89 offset0:1 offset1:2
	ds_load_2addr_stride64_b64 v[96:99], v89 offset0:3 offset1:4
	s_mov_b32 s65, exec_lo
	s_wait_dscnt 0x1
	v_add_f64_e32 v[34:35], v[34:35], v[92:93]
	s_delay_alu instid0(VALU_DEP_1) | instskip(SKIP_1) | instid1(VALU_DEP_1)
	v_add_f64_e32 v[34:35], v[94:95], v[34:35]
	s_wait_dscnt 0x0
	v_add_f64_e32 v[34:35], v[96:97], v[34:35]
	s_delay_alu instid0(VALU_DEP_1) | instskip(SKIP_4) | instid1(VALU_DEP_1)
	v_add_f64_e32 v[40:41], v[98:99], v[34:35]
	ds_load_2addr_stride64_b64 v[34:37], v89 offset0:5 offset1:6
	ds_load_2addr_stride64_b64 v[92:95], v89 offset0:7 offset1:8
	s_wait_dscnt 0x1
	v_add_f64_e32 v[34:35], v[34:35], v[40:41]
	v_add_f64_e32 v[34:35], v[36:37], v[34:35]
	s_wait_dscnt 0x0
	s_delay_alu instid0(VALU_DEP_1) | instskip(NEXT) | instid1(VALU_DEP_1)
	v_add_f64_e32 v[34:35], v[92:93], v[34:35]
	v_add_f64_e32 v[40:41], v[94:95], v[34:35]
	ds_load_2addr_stride64_b64 v[34:37], v89 offset0:9 offset1:10
	ds_load_2addr_stride64_b64 v[92:95], v89 offset0:11 offset1:12
	s_wait_dscnt 0x1
	v_add_f64_e32 v[34:35], v[34:35], v[40:41]
	s_delay_alu instid0(VALU_DEP_1) | instskip(SKIP_1) | instid1(VALU_DEP_1)
	v_add_f64_e32 v[34:35], v[36:37], v[34:35]
	s_wait_dscnt 0x0
	v_add_f64_e32 v[34:35], v[92:93], v[34:35]
	s_delay_alu instid0(VALU_DEP_1) | instskip(SKIP_4) | instid1(VALU_DEP_1)
	v_add_f64_e32 v[40:41], v[94:95], v[34:35]
	ds_load_2addr_stride64_b64 v[34:37], v89 offset0:13 offset1:14
	ds_load_b64 v[92:93], v89 offset:7680
	s_wait_dscnt 0x1
	v_add_f64_e32 v[34:35], v[34:35], v[40:41]
	v_add_f64_e32 v[34:35], v[36:37], v[34:35]
	s_wait_dscnt 0x0
	s_delay_alu instid0(VALU_DEP_1) | instskip(SKIP_1) | instid1(SALU_CYCLE_1)
	v_add_f64_e32 v[36:37], v[92:93], v[34:35]
	s_or_b32 exec_lo, exec_lo, s85
	s_and_b32 vcc_lo, exec_lo, s84
	s_cbranch_vccnz .LBB29_1037
	s_branch .LBB29_1095
.LBB29_1036:                            ;   in Loop: Header=BB29_3 Depth=1
	s_mov_b32 s65, 0
                                        ; implicit-def: $vgpr36_vgpr37
	s_cbranch_execz .LBB29_1095
.LBB29_1037:                            ;   in Loop: Header=BB29_3 Depth=1
	v_dual_mov_b32 v2, v4 :: v_dual_mov_b32 v34, v78
	s_mov_b32 s84, 0
	s_branch .LBB29_1039
.LBB29_1038:                            ;   in Loop: Header=BB29_1039 Depth=2
	s_or_b32 exec_lo, exec_lo, s47
	v_add_nc_u32_e32 v34, 0x800, v34
	v_add_nc_u32_e32 v2, -4, v2
	s_add_co_i32 s84, s84, 4
	s_delay_alu instid0(SALU_CYCLE_1)
	s_cmp_lg_u32 s84, 64
	s_barrier_signal -1
	s_barrier_wait -1
	s_cbranch_scc0 .LBB29_1055
.LBB29_1039:                            ;   Parent Loop BB29_3 Depth=1
                                        ; =>  This Inner Loop Header: Depth=2
	s_delay_alu instid0(VALU_DEP_1) | instskip(SKIP_2) | instid1(SALU_CYCLE_1)
	v_cmp_eq_u32_e32 vcc_lo, 0, v2
	v_add_nc_u32_e32 v35, v83, v46
	s_and_b32 s85, s1, vcc_lo
	s_and_saveexec_b32 s47, s85
	s_cbranch_execz .LBB29_1041
; %bb.1040:                             ;   in Loop: Header=BB29_1039 Depth=2
	ds_load_b64 v[36:37], v35
	s_wait_dscnt 0x0
	v_mul_f64_e32 v[38:39], v[38:39], v[36:37]
	ds_store_b64 v3, v[38:39] offset:41472
.LBB29_1041:                            ;   in Loop: Header=BB29_1039 Depth=2
	s_or_b32 exec_lo, exec_lo, s47
	v_cmp_lt_u32_e32 vcc_lo, s84, v4
	s_wait_dscnt 0x0
	s_barrier_signal -1
	s_barrier_wait -1
	s_and_b32 s85, s1, vcc_lo
	s_delay_alu instid0(SALU_CYCLE_1)
	s_and_saveexec_b32 s47, s85
	s_cbranch_execz .LBB29_1043
; %bb.1042:                             ;   in Loop: Header=BB29_1039 Depth=2
	ds_load_b64 v[36:37], v34
	ds_load_b64 v[40:41], v3 offset:41472
	s_wait_dscnt 0x0
	v_fmac_f64_e32 v[38:39], v[36:37], v[40:41]
.LBB29_1043:                            ;   in Loop: Header=BB29_1039 Depth=2
	s_or_b32 exec_lo, exec_lo, s47
	s_or_b32 s85, s84, 1
	s_delay_alu instid0(SALU_CYCLE_1) | instskip(SKIP_3) | instid1(SALU_CYCLE_1)
	v_cmp_eq_u32_e32 vcc_lo, s85, v4
	s_barrier_signal -1
	s_barrier_wait -1
	s_and_b32 s86, s1, vcc_lo
	s_and_saveexec_b32 s47, s86
	s_cbranch_execz .LBB29_1045
; %bb.1044:                             ;   in Loop: Header=BB29_1039 Depth=2
	ds_load_b64 v[36:37], v35
	s_wait_dscnt 0x0
	v_mul_f64_e32 v[38:39], v[38:39], v[36:37]
	ds_store_b64 v3, v[38:39] offset:41472
.LBB29_1045:                            ;   in Loop: Header=BB29_1039 Depth=2
	s_or_b32 exec_lo, exec_lo, s47
	v_cmp_lt_u32_e32 vcc_lo, s85, v4
	s_wait_dscnt 0x0
	s_barrier_signal -1
	s_barrier_wait -1
	s_and_b32 s85, s1, vcc_lo
	s_delay_alu instid0(SALU_CYCLE_1)
	s_and_saveexec_b32 s47, s85
	s_cbranch_execz .LBB29_1047
; %bb.1046:                             ;   in Loop: Header=BB29_1039 Depth=2
	ds_load_b64 v[36:37], v34 offset:512
	ds_load_b64 v[40:41], v3 offset:41472
	s_wait_dscnt 0x0
	v_fmac_f64_e32 v[38:39], v[36:37], v[40:41]
.LBB29_1047:                            ;   in Loop: Header=BB29_1039 Depth=2
	s_or_b32 exec_lo, exec_lo, s47
	s_or_b32 s85, s84, 2
	s_delay_alu instid0(SALU_CYCLE_1) | instskip(SKIP_3) | instid1(SALU_CYCLE_1)
	v_cmp_eq_u32_e32 vcc_lo, s85, v4
	s_barrier_signal -1
	s_barrier_wait -1
	s_and_b32 s86, s1, vcc_lo
	s_and_saveexec_b32 s47, s86
	s_cbranch_execz .LBB29_1049
; %bb.1048:                             ;   in Loop: Header=BB29_1039 Depth=2
	ds_load_b64 v[36:37], v35
	s_wait_dscnt 0x0
	v_mul_f64_e32 v[38:39], v[38:39], v[36:37]
	ds_store_b64 v3, v[38:39] offset:41472
.LBB29_1049:                            ;   in Loop: Header=BB29_1039 Depth=2
	s_or_b32 exec_lo, exec_lo, s47
	v_cmp_lt_u32_e32 vcc_lo, s85, v4
	s_wait_dscnt 0x0
	s_barrier_signal -1
	s_barrier_wait -1
	s_and_b32 s85, s1, vcc_lo
	s_delay_alu instid0(SALU_CYCLE_1)
	s_and_saveexec_b32 s47, s85
	s_cbranch_execz .LBB29_1051
; %bb.1050:                             ;   in Loop: Header=BB29_1039 Depth=2
	ds_load_b64 v[36:37], v34 offset:1024
	ds_load_b64 v[40:41], v3 offset:41472
	s_wait_dscnt 0x0
	v_fmac_f64_e32 v[38:39], v[36:37], v[40:41]
.LBB29_1051:                            ;   in Loop: Header=BB29_1039 Depth=2
	s_or_b32 exec_lo, exec_lo, s47
	s_or_b32 s85, s84, 3
	s_delay_alu instid0(SALU_CYCLE_1) | instskip(SKIP_3) | instid1(SALU_CYCLE_1)
	v_cmp_eq_u32_e32 vcc_lo, s85, v4
	s_barrier_signal -1
	s_barrier_wait -1
	s_and_b32 s86, s1, vcc_lo
	s_and_saveexec_b32 s47, s86
	s_cbranch_execz .LBB29_1053
; %bb.1052:                             ;   in Loop: Header=BB29_1039 Depth=2
	ds_load_b64 v[36:37], v35
	s_wait_dscnt 0x0
	v_mul_f64_e32 v[38:39], v[38:39], v[36:37]
	ds_store_b64 v3, v[38:39] offset:41472
.LBB29_1053:                            ;   in Loop: Header=BB29_1039 Depth=2
	s_or_b32 exec_lo, exec_lo, s47
	v_cmp_lt_u32_e32 vcc_lo, s85, v4
	s_wait_dscnt 0x0
	s_barrier_signal -1
	s_barrier_wait -1
	s_and_b32 s85, s1, vcc_lo
	s_delay_alu instid0(SALU_CYCLE_1)
	s_and_saveexec_b32 s47, s85
	s_cbranch_execz .LBB29_1038
; %bb.1054:                             ;   in Loop: Header=BB29_1039 Depth=2
	ds_load_b64 v[36:37], v34 offset:1536
	ds_load_b64 v[40:41], v3 offset:41472
	s_wait_dscnt 0x0
	v_fmac_f64_e32 v[38:39], v[36:37], v[40:41]
	s_branch .LBB29_1038
.LBB29_1055:                            ;   in Loop: Header=BB29_3 Depth=1
	s_and_b32 vcc_lo, exec_lo, s90
	s_mov_b32 s84, -1
	s_cbranch_vccz .LBB29_1057
; %bb.1056:                             ;   in Loop: Header=BB29_3 Depth=1
	s_and_not1_b32 s47, s65, exec_lo
	s_and_b32 s65, s1, exec_lo
	s_mov_b32 s84, 0
	s_or_b32 s65, s47, s65
.LBB29_1057:                            ;   in Loop: Header=BB29_3 Depth=1
	s_and_not1_b32 vcc_lo, exec_lo, s84
	s_cbranch_vccnz .LBB29_1059
; %bb.1058:                             ;   in Loop: Header=BB29_3 Depth=1
	s_and_not1_b32 s47, s65, exec_lo
	v_readlane_b32 s65, v101, 8
	s_and_b32 s65, s65, exec_lo
	s_delay_alu instid0(SALU_CYCLE_1)
	s_or_b32 s65, s47, s65
.LBB29_1059:                            ;   in Loop: Header=BB29_3 Depth=1
	v_mov_b64_e32 v[34:35], v[12:13]
	s_and_saveexec_b32 s47, s65
	s_cbranch_execnz .LBB29_1096
	s_branch .LBB29_1097
.LBB29_1060:                            ;   in Loop: Header=BB29_3 Depth=1
	v_readlane_b32 s84, v101, 17
	s_and_saveexec_b32 s47, s84
	s_delay_alu instid0(SALU_CYCLE_1)
	s_xor_b32 s84, exec_lo, s47
	s_cbranch_execz .LBB29_1064
; %bb.1061:                             ;   in Loop: Header=BB29_3 Depth=1
	s_mov_b32 s47, exec_lo
	v_readlane_b32 s85, v100, 27
	s_and_b32 s85, s47, s85
	s_delay_alu instid0(SALU_CYCLE_1)
	s_mov_b32 exec_lo, s85
; %bb.1062:                             ;   in Loop: Header=BB29_3 Depth=1
	ds_store_b64 v76, v[24:25]
; %bb.1063:                             ;   in Loop: Header=BB29_3 Depth=1
	s_or_b32 exec_lo, exec_lo, s47
.LBB29_1064:                            ;   in Loop: Header=BB29_3 Depth=1
	s_and_not1_saveexec_b32 s84, s84
	s_cbranch_execz .LBB29_1066
; %bb.1065:                             ;   in Loop: Header=BB29_3 Depth=1
	v_lshl_add_u64 v[38:39], v[14:15], 3, s[82:83]
	global_load_b64 v[38:39], v[38:39], off
	s_wait_loadcnt 0x0
	v_div_scale_f64 v[40:41], null, v[38:39], v[38:39], 1.0
	s_delay_alu instid0(VALU_DEP_1) | instskip(SKIP_1) | instid1(TRANS32_DEP_1)
	v_rcp_f64_e32 v[92:93], v[40:41]
	v_nop
	v_fma_f64 v[94:95], -v[40:41], v[92:93], 1.0
	s_delay_alu instid0(VALU_DEP_1) | instskip(NEXT) | instid1(VALU_DEP_1)
	v_fmac_f64_e32 v[92:93], v[92:93], v[94:95]
	v_fma_f64 v[94:95], -v[40:41], v[92:93], 1.0
	s_delay_alu instid0(VALU_DEP_1) | instskip(SKIP_1) | instid1(VALU_DEP_1)
	v_fmac_f64_e32 v[92:93], v[92:93], v[94:95]
	v_div_scale_f64 v[94:95], vcc_lo, 1.0, v[38:39], 1.0
	v_mul_f64_e32 v[96:97], v[94:95], v[92:93]
	s_delay_alu instid0(VALU_DEP_1) | instskip(NEXT) | instid1(VALU_DEP_1)
	v_fma_f64 v[40:41], -v[40:41], v[96:97], v[94:95]
	v_div_fmas_f64 v[40:41], v[40:41], v[92:93], v[96:97]
	s_delay_alu instid0(VALU_DEP_1)
	v_div_fixup_f64 v[38:39], v[40:41], v[38:39], 1.0
	ds_store_b64 v76, v[38:39]
.LBB29_1066:                            ;   in Loop: Header=BB29_3 Depth=1
	s_or_b32 exec_lo, exec_lo, s84
	s_and_not1_saveexec_b32 s65, s65
	s_cbranch_execz .LBB29_17
.LBB29_1067:                            ;   in Loop: Header=BB29_3 Depth=1
	v_lshl_add_u64 v[38:39], v[14:15], 3, s[82:83]
	global_load_b64 v[38:39], v[38:39], off
	s_wait_loadcnt 0x0
	v_xor_b32_e32 v39, 0x80000000, v39
	ds_store_b64 v76, v[38:39]
	s_or_b32 exec_lo, exec_lo, s65
	s_and_saveexec_b32 s47, s7
	s_delay_alu instid0(SALU_CYCLE_1)
	s_xor_b32 s65, exec_lo, s47
	s_cbranch_execz .LBB29_18
.LBB29_1068:                            ;   in Loop: Header=BB29_3 Depth=1
	v_readlane_b32 s84, v101, 19
	s_and_saveexec_b32 s47, s84
	s_delay_alu instid0(SALU_CYCLE_1)
	s_xor_b32 s84, exec_lo, s47
	s_cbranch_execz .LBB29_1072
; %bb.1069:                             ;   in Loop: Header=BB29_3 Depth=1
	s_mov_b32 s47, exec_lo
	v_readlane_b32 s85, v100, 28
	s_and_b32 s85, s47, s85
	s_delay_alu instid0(SALU_CYCLE_1)
	s_mov_b32 exec_lo, s85
; %bb.1070:                             ;   in Loop: Header=BB29_3 Depth=1
	ds_store_b64 v77, v[24:25]
; %bb.1071:                             ;   in Loop: Header=BB29_3 Depth=1
	s_or_b32 exec_lo, exec_lo, s47
.LBB29_1072:                            ;   in Loop: Header=BB29_3 Depth=1
	s_and_not1_saveexec_b32 s84, s84
	s_cbranch_execz .LBB29_1074
; %bb.1073:                             ;   in Loop: Header=BB29_3 Depth=1
	v_lshl_add_u64 v[38:39], v[16:17], 3, s[82:83]
	global_load_b64 v[38:39], v[38:39], off
	s_wait_loadcnt 0x0
	v_div_scale_f64 v[40:41], null, v[38:39], v[38:39], 1.0
	s_delay_alu instid0(VALU_DEP_1) | instskip(SKIP_1) | instid1(TRANS32_DEP_1)
	v_rcp_f64_e32 v[92:93], v[40:41]
	v_nop
	v_fma_f64 v[94:95], -v[40:41], v[92:93], 1.0
	s_delay_alu instid0(VALU_DEP_1) | instskip(NEXT) | instid1(VALU_DEP_1)
	v_fmac_f64_e32 v[92:93], v[92:93], v[94:95]
	v_fma_f64 v[94:95], -v[40:41], v[92:93], 1.0
	s_delay_alu instid0(VALU_DEP_1) | instskip(SKIP_1) | instid1(VALU_DEP_1)
	v_fmac_f64_e32 v[92:93], v[92:93], v[94:95]
	v_div_scale_f64 v[94:95], vcc_lo, 1.0, v[38:39], 1.0
	v_mul_f64_e32 v[96:97], v[94:95], v[92:93]
	s_delay_alu instid0(VALU_DEP_1) | instskip(NEXT) | instid1(VALU_DEP_1)
	v_fma_f64 v[40:41], -v[40:41], v[96:97], v[94:95]
	v_div_fmas_f64 v[40:41], v[40:41], v[92:93], v[96:97]
	s_delay_alu instid0(VALU_DEP_1)
	v_div_fixup_f64 v[38:39], v[40:41], v[38:39], 1.0
	ds_store_b64 v77, v[38:39]
.LBB29_1074:                            ;   in Loop: Header=BB29_3 Depth=1
	s_or_b32 exec_lo, exec_lo, s84
	s_and_not1_saveexec_b32 s65, s65
	s_cbranch_execz .LBB29_19
.LBB29_1075:                            ;   in Loop: Header=BB29_3 Depth=1
	v_lshl_add_u64 v[38:39], v[16:17], 3, s[82:83]
	global_load_b64 v[38:39], v[38:39], off
	s_wait_loadcnt 0x0
	v_xor_b32_e32 v39, 0x80000000, v39
	ds_store_b64 v77, v[38:39]
	s_or_b32 exec_lo, exec_lo, s65
	s_and_saveexec_b32 s47, s8
	s_delay_alu instid0(SALU_CYCLE_1)
	s_xor_b32 s65, exec_lo, s47
	s_cbranch_execz .LBB29_20
.LBB29_1076:                            ;   in Loop: Header=BB29_3 Depth=1
	v_readlane_b32 s84, v101, 21
	s_and_saveexec_b32 s47, s84
	s_delay_alu instid0(SALU_CYCLE_1)
	s_xor_b32 s84, exec_lo, s47
	s_cbranch_execz .LBB29_1080
; %bb.1077:                             ;   in Loop: Header=BB29_3 Depth=1
	s_mov_b32 s47, exec_lo
	v_readlane_b32 s85, v100, 29
	s_and_b32 s85, s47, s85
	s_delay_alu instid0(SALU_CYCLE_1)
	s_mov_b32 exec_lo, s85
; %bb.1078:                             ;   in Loop: Header=BB29_3 Depth=1
	ds_store_b64 v80, v[24:25]
; %bb.1079:                             ;   in Loop: Header=BB29_3 Depth=1
	s_or_b32 exec_lo, exec_lo, s47
.LBB29_1080:                            ;   in Loop: Header=BB29_3 Depth=1
	s_and_not1_saveexec_b32 s84, s84
	s_cbranch_execz .LBB29_1082
; %bb.1081:                             ;   in Loop: Header=BB29_3 Depth=1
	v_lshl_add_u64 v[38:39], v[18:19], 3, s[82:83]
	global_load_b64 v[38:39], v[38:39], off
	s_wait_loadcnt 0x0
	v_div_scale_f64 v[40:41], null, v[38:39], v[38:39], 1.0
	s_delay_alu instid0(VALU_DEP_1) | instskip(SKIP_1) | instid1(TRANS32_DEP_1)
	v_rcp_f64_e32 v[92:93], v[40:41]
	v_nop
	v_fma_f64 v[94:95], -v[40:41], v[92:93], 1.0
	s_delay_alu instid0(VALU_DEP_1) | instskip(NEXT) | instid1(VALU_DEP_1)
	v_fmac_f64_e32 v[92:93], v[92:93], v[94:95]
	v_fma_f64 v[94:95], -v[40:41], v[92:93], 1.0
	s_delay_alu instid0(VALU_DEP_1) | instskip(SKIP_1) | instid1(VALU_DEP_1)
	v_fmac_f64_e32 v[92:93], v[92:93], v[94:95]
	v_div_scale_f64 v[94:95], vcc_lo, 1.0, v[38:39], 1.0
	v_mul_f64_e32 v[96:97], v[94:95], v[92:93]
	s_delay_alu instid0(VALU_DEP_1) | instskip(NEXT) | instid1(VALU_DEP_1)
	v_fma_f64 v[40:41], -v[40:41], v[96:97], v[94:95]
	v_div_fmas_f64 v[40:41], v[40:41], v[92:93], v[96:97]
	s_delay_alu instid0(VALU_DEP_1)
	v_div_fixup_f64 v[38:39], v[40:41], v[38:39], 1.0
	ds_store_b64 v80, v[38:39]
.LBB29_1082:                            ;   in Loop: Header=BB29_3 Depth=1
	s_or_b32 exec_lo, exec_lo, s84
	s_and_not1_saveexec_b32 s65, s65
	s_cbranch_execz .LBB29_21
.LBB29_1083:                            ;   in Loop: Header=BB29_3 Depth=1
	v_lshl_add_u64 v[38:39], v[18:19], 3, s[82:83]
	global_load_b64 v[38:39], v[38:39], off
	s_wait_loadcnt 0x0
	v_xor_b32_e32 v39, 0x80000000, v39
	ds_store_b64 v80, v[38:39]
	s_or_b32 exec_lo, exec_lo, s65
	s_and_saveexec_b32 s47, s9
	s_delay_alu instid0(SALU_CYCLE_1)
	s_xor_b32 s65, exec_lo, s47
	s_cbranch_execz .LBB29_22
.LBB29_1084:                            ;   in Loop: Header=BB29_3 Depth=1
	v_readlane_b32 s84, v101, 23
	s_and_saveexec_b32 s47, s84
	s_delay_alu instid0(SALU_CYCLE_1)
	s_xor_b32 s84, exec_lo, s47
	s_cbranch_execz .LBB29_1088
; %bb.1085:                             ;   in Loop: Header=BB29_3 Depth=1
	s_mov_b32 s47, exec_lo
	v_readlane_b32 s85, v100, 30
	s_and_b32 s85, s47, s85
	s_delay_alu instid0(SALU_CYCLE_1)
	s_mov_b32 exec_lo, s85
; %bb.1086:                             ;   in Loop: Header=BB29_3 Depth=1
	ds_store_b64 v81, v[24:25]
; %bb.1087:                             ;   in Loop: Header=BB29_3 Depth=1
	s_or_b32 exec_lo, exec_lo, s47
.LBB29_1088:                            ;   in Loop: Header=BB29_3 Depth=1
	s_and_not1_saveexec_b32 s84, s84
	s_cbranch_execz .LBB29_1090
; %bb.1089:                             ;   in Loop: Header=BB29_3 Depth=1
	v_lshl_add_u64 v[38:39], v[20:21], 3, s[82:83]
	global_load_b64 v[38:39], v[38:39], off
	s_wait_loadcnt 0x0
	v_div_scale_f64 v[40:41], null, v[38:39], v[38:39], 1.0
	s_delay_alu instid0(VALU_DEP_1) | instskip(SKIP_1) | instid1(TRANS32_DEP_1)
	v_rcp_f64_e32 v[92:93], v[40:41]
	v_nop
	v_fma_f64 v[94:95], -v[40:41], v[92:93], 1.0
	s_delay_alu instid0(VALU_DEP_1) | instskip(NEXT) | instid1(VALU_DEP_1)
	v_fmac_f64_e32 v[92:93], v[92:93], v[94:95]
	v_fma_f64 v[94:95], -v[40:41], v[92:93], 1.0
	s_delay_alu instid0(VALU_DEP_1) | instskip(SKIP_1) | instid1(VALU_DEP_1)
	v_fmac_f64_e32 v[92:93], v[92:93], v[94:95]
	v_div_scale_f64 v[94:95], vcc_lo, 1.0, v[38:39], 1.0
	v_mul_f64_e32 v[96:97], v[94:95], v[92:93]
	s_delay_alu instid0(VALU_DEP_1) | instskip(NEXT) | instid1(VALU_DEP_1)
	v_fma_f64 v[40:41], -v[40:41], v[96:97], v[94:95]
	v_div_fmas_f64 v[40:41], v[40:41], v[92:93], v[96:97]
	s_delay_alu instid0(VALU_DEP_1)
	v_div_fixup_f64 v[38:39], v[40:41], v[38:39], 1.0
	ds_store_b64 v81, v[38:39]
.LBB29_1090:                            ;   in Loop: Header=BB29_3 Depth=1
	s_or_b32 exec_lo, exec_lo, s84
	s_and_not1_saveexec_b32 s65, s65
	s_cbranch_execnz .LBB29_23
	s_branch .LBB29_24
.LBB29_1091:                            ;   in Loop: Header=BB29_3 Depth=1
	ds_load_b64 v[34:35], v90
	ds_load_b64 v[36:37], v84
	s_wait_dscnt 0x0
	v_fma_f64 v[34:35], v[34:35], v[36:37], 0
	s_or_b32 exec_lo, exec_lo, s47
	s_and_saveexec_b32 s47, s7
	s_cbranch_execz .LBB29_1031
.LBB29_1092:                            ;   in Loop: Header=BB29_3 Depth=1
	ds_load_b64 v[36:37], v90 offset:8192
	ds_load_b64 v[40:41], v84 offset:128
	s_wait_dscnt 0x0
	v_fmac_f64_e32 v[34:35], v[36:37], v[40:41]
	s_or_b32 exec_lo, exec_lo, s47
	s_and_saveexec_b32 s47, s8
	s_cbranch_execz .LBB29_1032
.LBB29_1093:                            ;   in Loop: Header=BB29_3 Depth=1
	ds_load_b64 v[36:37], v90 offset:16384
	ds_load_b64 v[40:41], v84 offset:256
	s_wait_dscnt 0x0
	v_fmac_f64_e32 v[34:35], v[36:37], v[40:41]
	s_or_b32 exec_lo, exec_lo, s47
	s_and_saveexec_b32 s47, s9
	s_cbranch_execnz .LBB29_1033
	s_branch .LBB29_1034
.LBB29_1094:                            ;   in Loop: Header=BB29_3 Depth=1
	s_or_b32 exec_lo, exec_lo, s85
	s_delay_alu instid0(SALU_CYCLE_1)
	s_and_b32 vcc_lo, exec_lo, s84
	s_cbranch_vccnz .LBB29_1037
.LBB29_1095:                            ;   in Loop: Header=BB29_3 Depth=1
	s_delay_alu instid0(VALU_DEP_1)
	v_mov_b64_e32 v[38:39], v[36:37]
	v_mov_b64_e32 v[34:35], v[22:23]
	s_and_saveexec_b32 s47, s65
	s_cbranch_execz .LBB29_1097
.LBB29_1096:                            ;   in Loop: Header=BB29_3 Depth=1
	s_delay_alu instid0(VALU_DEP_1)
	v_lshl_add_u64 v[34:35], v[34:35], 3, s[82:83]
	global_store_b64 v[34:35], v[38:39], off
.LBB29_1097:                            ;   in Loop: Header=BB29_3 Depth=1
	s_wait_xcnt 0x0
	s_or_b32 exec_lo, exec_lo, s47
	global_wb scope:SCOPE_DEV
	s_wait_storecnt 0x0
	global_inv scope:SCOPE_DEV
	s_wait_loadcnt 0x0
	s_barrier_signal -1
	s_barrier_wait -1
	s_and_saveexec_b32 s47, s59
	s_cbranch_execz .LBB29_2
; %bb.1098:                             ;   in Loop: Header=BB29_3 Depth=1
	s_lshl_b64 s[82:83], s[80:81], 2
	s_delay_alu instid0(SALU_CYCLE_1)
	s_add_nc_u64 s[82:83], s[78:79], s[82:83]
	global_load_b32 v2, v3, s[82:83]
	s_wait_loadcnt 0x0
	v_add_nc_u32_e32 v2, 1, v2
	global_store_b32 v3, v2, s[82:83]
	s_branch .LBB29_2
.LBB29_1099:                            ;   in Loop: Header=BB29_3 Depth=1
	ds_load_b64 v[40:41], v51 offset:31680
	ds_load_b64 v[92:93], v50 offset:32744
	s_wait_dscnt 0x0
	v_fmac_f64_e32 v[38:39], v[40:41], v[92:93]
	s_or_b32 exec_lo, exec_lo, s47
	s_and_saveexec_b32 s47, s17
	s_cbranch_execz .LBB29_88
.LBB29_1100:                            ;   in Loop: Header=BB29_3 Depth=1
	ds_load_b64 v[40:41], v51 offset:32192
	ds_load_b64 v[92:93], v50 offset:32752
	s_wait_dscnt 0x0
	v_fmac_f64_e32 v[38:39], v[40:41], v[92:93]
	s_or_b32 exec_lo, exec_lo, s47
	s_and_saveexec_b32 s47, s0
	s_cbranch_execnz .LBB29_89
	s_branch .LBB29_90
.LBB29_1101:                            ;   in Loop: Header=BB29_3 Depth=1
	ds_load_b64 v[40:41], v55 offset:29568
	ds_load_b64 v[92:93], v54 offset:32712
	s_wait_dscnt 0x0
	v_fmac_f64_e32 v[38:39], v[40:41], v[92:93]
	s_or_b32 exec_lo, exec_lo, s47
	s_and_saveexec_b32 s47, s19
	s_cbranch_execz .LBB29_130
.LBB29_1102:                            ;   in Loop: Header=BB29_3 Depth=1
	ds_load_b64 v[40:41], v55 offset:30080
	ds_load_b64 v[92:93], v54 offset:32720
	s_wait_dscnt 0x0
	v_fmac_f64_e32 v[38:39], v[40:41], v[92:93]
	s_or_b32 exec_lo, exec_lo, s47
	s_and_saveexec_b32 s47, s20
	s_cbranch_execz .LBB29_131
.LBB29_1103:                            ;   in Loop: Header=BB29_3 Depth=1
	ds_load_b64 v[40:41], v55 offset:30592
	ds_load_b64 v[92:93], v54 offset:32728
	s_wait_dscnt 0x0
	v_fmac_f64_e32 v[38:39], v[40:41], v[92:93]
	s_or_b32 exec_lo, exec_lo, s47
	s_and_saveexec_b32 s47, s21
	s_cbranch_execz .LBB29_132
.LBB29_1104:                            ;   in Loop: Header=BB29_3 Depth=1
	ds_load_b64 v[40:41], v55 offset:31104
	ds_load_b64 v[92:93], v54 offset:32736
	s_wait_dscnt 0x0
	v_fmac_f64_e32 v[38:39], v[40:41], v[92:93]
	s_or_b32 exec_lo, exec_lo, s47
	s_and_saveexec_b32 s47, s22
	s_cbranch_execz .LBB29_133
.LBB29_1105:                            ;   in Loop: Header=BB29_3 Depth=1
	ds_load_b64 v[40:41], v55 offset:31616
	ds_load_b64 v[92:93], v54 offset:32744
	s_wait_dscnt 0x0
	v_fmac_f64_e32 v[38:39], v[40:41], v[92:93]
	s_or_b32 exec_lo, exec_lo, s47
	s_and_saveexec_b32 s47, s2
	s_cbranch_execz .LBB29_134
.LBB29_1106:                            ;   in Loop: Header=BB29_3 Depth=1
	ds_load_b64 v[40:41], v55 offset:32128
	ds_load_b64 v[92:93], v54 offset:32752
	s_wait_dscnt 0x0
	v_fmac_f64_e32 v[38:39], v[40:41], v[92:93]
	s_or_b32 exec_lo, exec_lo, s47
	s_and_saveexec_b32 s47, s17
	s_cbranch_execnz .LBB29_135
	s_branch .LBB29_136
.LBB29_1107:                            ;   in Loop: Header=BB29_3 Depth=1
	ds_load_b64 v[40:41], v51 offset:27520
	ds_load_b64 v[92:93], v50 offset:28584
	s_wait_dscnt 0x0
	v_fmac_f64_e32 v[38:39], v[40:41], v[92:93]
	s_or_b32 exec_lo, exec_lo, s47
	s_and_saveexec_b32 s47, s17
	s_cbranch_execz .LBB29_192
.LBB29_1108:                            ;   in Loop: Header=BB29_3 Depth=1
	ds_load_b64 v[40:41], v51 offset:28032
	ds_load_b64 v[92:93], v50 offset:28592
	s_wait_dscnt 0x0
	v_fmac_f64_e32 v[38:39], v[40:41], v[92:93]
	s_or_b32 exec_lo, exec_lo, s47
	s_and_saveexec_b32 s47, s0
	s_cbranch_execnz .LBB29_193
	s_branch .LBB29_194
.LBB29_1109:                            ;   in Loop: Header=BB29_3 Depth=1
	ds_load_b64 v[40:41], v59 offset:30464
	ds_load_b64 v[92:93], v58 offset:32728
	s_wait_dscnt 0x0
	v_fmac_f64_e32 v[38:39], v[40:41], v[92:93]
	s_or_b32 exec_lo, exec_lo, s47
	s_and_saveexec_b32 s47, s3
	s_cbranch_execz .LBB29_254
.LBB29_1110:                            ;   in Loop: Header=BB29_3 Depth=1
	ds_load_b64 v[40:41], v59 offset:30976
	ds_load_b64 v[92:93], v58 offset:32736
	s_wait_dscnt 0x0
	v_fmac_f64_e32 v[38:39], v[40:41], v[92:93]
	s_or_b32 exec_lo, exec_lo, s47
	s_and_saveexec_b32 s47, s19
	s_cbranch_execz .LBB29_255
.LBB29_1111:                            ;   in Loop: Header=BB29_3 Depth=1
	ds_load_b64 v[40:41], v59 offset:31488
	ds_load_b64 v[92:93], v58 offset:32744
	s_wait_dscnt 0x0
	v_fmac_f64_e32 v[38:39], v[40:41], v[92:93]
	s_or_b32 exec_lo, exec_lo, s47
	s_and_saveexec_b32 s47, s21
	s_cbranch_execz .LBB29_256
.LBB29_1112:                            ;   in Loop: Header=BB29_3 Depth=1
	ds_load_b64 v[40:41], v59 offset:32000
	ds_load_b64 v[92:93], v58 offset:32752
	s_wait_dscnt 0x0
	v_fmac_f64_e32 v[38:39], v[40:41], v[92:93]
	s_or_b32 exec_lo, exec_lo, s47
	s_and_saveexec_b32 s47, s2
	s_cbranch_execnz .LBB29_257
	s_branch .LBB29_258
.LBB29_1113:                            ;   in Loop: Header=BB29_3 Depth=1
	ds_load_b64 v[40:41], v51 offset:23360
	ds_load_b64 v[92:93], v50 offset:24424
	s_wait_dscnt 0x0
	v_fmac_f64_e32 v[38:39], v[40:41], v[92:93]
	s_or_b32 exec_lo, exec_lo, s47
	s_and_saveexec_b32 s47, s17
	s_cbranch_execz .LBB29_346
.LBB29_1114:                            ;   in Loop: Header=BB29_3 Depth=1
	ds_load_b64 v[40:41], v51 offset:23872
	ds_load_b64 v[92:93], v50 offset:24432
	s_wait_dscnt 0x0
	v_fmac_f64_e32 v[38:39], v[40:41], v[92:93]
	s_or_b32 exec_lo, exec_lo, s47
	s_and_saveexec_b32 s47, s0
	s_cbranch_execnz .LBB29_347
	s_branch .LBB29_348
.LBB29_1115:                            ;   in Loop: Header=BB29_3 Depth=1
	ds_load_b64 v[40:41], v55 offset:21248
	ds_load_b64 v[92:93], v54 offset:24392
	s_wait_dscnt 0x0
	v_fmac_f64_e32 v[38:39], v[40:41], v[92:93]
	s_or_b32 exec_lo, exec_lo, s47
	s_and_saveexec_b32 s47, s19
	s_cbranch_execz .LBB29_388
.LBB29_1116:                            ;   in Loop: Header=BB29_3 Depth=1
	ds_load_b64 v[40:41], v55 offset:21760
	ds_load_b64 v[92:93], v54 offset:24400
	s_wait_dscnt 0x0
	v_fmac_f64_e32 v[38:39], v[40:41], v[92:93]
	s_or_b32 exec_lo, exec_lo, s47
	s_and_saveexec_b32 s47, s20
	s_cbranch_execz .LBB29_389
.LBB29_1117:                            ;   in Loop: Header=BB29_3 Depth=1
	ds_load_b64 v[40:41], v55 offset:22272
	ds_load_b64 v[92:93], v54 offset:24408
	s_wait_dscnt 0x0
	v_fmac_f64_e32 v[38:39], v[40:41], v[92:93]
	s_or_b32 exec_lo, exec_lo, s47
	s_and_saveexec_b32 s47, s21
	s_cbranch_execz .LBB29_390
.LBB29_1118:                            ;   in Loop: Header=BB29_3 Depth=1
	ds_load_b64 v[40:41], v55 offset:22784
	ds_load_b64 v[92:93], v54 offset:24416
	s_wait_dscnt 0x0
	v_fmac_f64_e32 v[38:39], v[40:41], v[92:93]
	s_or_b32 exec_lo, exec_lo, s47
	s_and_saveexec_b32 s47, s22
	s_cbranch_execz .LBB29_391
.LBB29_1119:                            ;   in Loop: Header=BB29_3 Depth=1
	ds_load_b64 v[40:41], v55 offset:23296
	ds_load_b64 v[92:93], v54 offset:24424
	s_wait_dscnt 0x0
	v_fmac_f64_e32 v[38:39], v[40:41], v[92:93]
	s_or_b32 exec_lo, exec_lo, s47
	s_and_saveexec_b32 s47, s2
	s_cbranch_execz .LBB29_392
.LBB29_1120:                            ;   in Loop: Header=BB29_3 Depth=1
	ds_load_b64 v[40:41], v55 offset:23808
	ds_load_b64 v[92:93], v54 offset:24432
	s_wait_dscnt 0x0
	v_fmac_f64_e32 v[38:39], v[40:41], v[92:93]
	s_or_b32 exec_lo, exec_lo, s47
	s_and_saveexec_b32 s47, s17
	s_cbranch_execnz .LBB29_393
	s_branch .LBB29_394
.LBB29_1121:                            ;   in Loop: Header=BB29_3 Depth=1
	ds_load_b64 v[40:41], v51 offset:19200
	ds_load_b64 v[92:93], v50 offset:20264
	s_wait_dscnt 0x0
	v_fmac_f64_e32 v[38:39], v[40:41], v[92:93]
	s_or_b32 exec_lo, exec_lo, s47
	s_and_saveexec_b32 s47, s17
	s_cbranch_execz .LBB29_450
.LBB29_1122:                            ;   in Loop: Header=BB29_3 Depth=1
	ds_load_b64 v[40:41], v51 offset:19712
	ds_load_b64 v[92:93], v50 offset:20272
	s_wait_dscnt 0x0
	v_fmac_f64_e32 v[38:39], v[40:41], v[92:93]
	s_or_b32 exec_lo, exec_lo, s47
	s_and_saveexec_b32 s47, s0
	s_cbranch_execnz .LBB29_451
	s_branch .LBB29_452
.LBB29_1123:                            ;   in Loop: Header=BB29_3 Depth=1
	ds_load_b64 v[40:41], v62 offset:31232
	ds_load_b64 v[92:93], v63 offset:32744
	s_wait_dscnt 0x0
	v_fmac_f64_e32 v[38:39], v[40:41], v[92:93]
	s_or_b32 exec_lo, exec_lo, s47
	s_and_saveexec_b32 s47, s3
	s_cbranch_execz .LBB29_548
.LBB29_1124:                            ;   in Loop: Header=BB29_3 Depth=1
	ds_load_b64 v[40:41], v62 offset:31744
	ds_load_b64 v[92:93], v63 offset:32752
	s_wait_dscnt 0x0
	v_fmac_f64_e32 v[38:39], v[40:41], v[92:93]
	s_or_b32 exec_lo, exec_lo, s47
	s_and_saveexec_b32 s47, s21
	s_delay_alu instid0(SALU_CYCLE_1)
	s_xor_b32 s47, exec_lo, s47
	s_cbranch_execnz .LBB29_549
	s_branch .LBB29_550
.LBB29_1125:                            ;   in Loop: Header=BB29_3 Depth=1
	ds_load_b64 v[40:41], v51 offset:15040
	ds_load_b64 v[92:93], v50 offset:16104
	s_wait_dscnt 0x0
	v_fmac_f64_e32 v[38:39], v[40:41], v[92:93]
	s_or_b32 exec_lo, exec_lo, s47
	s_and_saveexec_b32 s47, s17
	s_cbranch_execz .LBB29_594
.LBB29_1126:                            ;   in Loop: Header=BB29_3 Depth=1
	ds_load_b64 v[40:41], v51 offset:15552
	ds_load_b64 v[92:93], v50 offset:16112
	s_wait_dscnt 0x0
	v_fmac_f64_e32 v[38:39], v[40:41], v[92:93]
	s_or_b32 exec_lo, exec_lo, s47
	s_and_saveexec_b32 s47, s0
	s_cbranch_execnz .LBB29_595
	s_branch .LBB29_596
.LBB29_1127:                            ;   in Loop: Header=BB29_3 Depth=1
	ds_load_b64 v[40:41], v55 offset:12928
	ds_load_b64 v[92:93], v54 offset:16072
	s_wait_dscnt 0x0
	v_fmac_f64_e32 v[38:39], v[40:41], v[92:93]
	s_or_b32 exec_lo, exec_lo, s47
	s_and_saveexec_b32 s47, s19
	s_cbranch_execz .LBB29_636
.LBB29_1128:                            ;   in Loop: Header=BB29_3 Depth=1
	ds_load_b64 v[40:41], v55 offset:13440
	ds_load_b64 v[92:93], v54 offset:16080
	s_wait_dscnt 0x0
	v_fmac_f64_e32 v[38:39], v[40:41], v[92:93]
	s_or_b32 exec_lo, exec_lo, s47
	s_and_saveexec_b32 s47, s20
	s_cbranch_execz .LBB29_637
.LBB29_1129:                            ;   in Loop: Header=BB29_3 Depth=1
	ds_load_b64 v[40:41], v55 offset:13952
	ds_load_b64 v[92:93], v54 offset:16088
	s_wait_dscnt 0x0
	v_fmac_f64_e32 v[38:39], v[40:41], v[92:93]
	s_or_b32 exec_lo, exec_lo, s47
	s_and_saveexec_b32 s47, s21
	s_cbranch_execz .LBB29_638
.LBB29_1130:                            ;   in Loop: Header=BB29_3 Depth=1
	ds_load_b64 v[40:41], v55 offset:14464
	ds_load_b64 v[92:93], v54 offset:16096
	s_wait_dscnt 0x0
	v_fmac_f64_e32 v[38:39], v[40:41], v[92:93]
	s_or_b32 exec_lo, exec_lo, s47
	s_and_saveexec_b32 s47, s22
	s_cbranch_execz .LBB29_639
.LBB29_1131:                            ;   in Loop: Header=BB29_3 Depth=1
	ds_load_b64 v[40:41], v55 offset:14976
	ds_load_b64 v[92:93], v54 offset:16104
	s_wait_dscnt 0x0
	v_fmac_f64_e32 v[38:39], v[40:41], v[92:93]
	s_or_b32 exec_lo, exec_lo, s47
	s_and_saveexec_b32 s47, s2
	s_cbranch_execz .LBB29_640
.LBB29_1132:                            ;   in Loop: Header=BB29_3 Depth=1
	ds_load_b64 v[40:41], v55 offset:15488
	ds_load_b64 v[92:93], v54 offset:16112
	s_wait_dscnt 0x0
	v_fmac_f64_e32 v[38:39], v[40:41], v[92:93]
	s_or_b32 exec_lo, exec_lo, s47
	s_and_saveexec_b32 s47, s17
	s_cbranch_execnz .LBB29_641
	s_branch .LBB29_642
.LBB29_1133:                            ;   in Loop: Header=BB29_3 Depth=1
	ds_load_b64 v[40:41], v51 offset:10880
	ds_load_b64 v[92:93], v50 offset:11944
	s_wait_dscnt 0x0
	v_fmac_f64_e32 v[38:39], v[40:41], v[92:93]
	s_or_b32 exec_lo, exec_lo, s47
	s_and_saveexec_b32 s47, s17
	s_cbranch_execz .LBB29_698
.LBB29_1134:                            ;   in Loop: Header=BB29_3 Depth=1
	ds_load_b64 v[40:41], v51 offset:11392
	ds_load_b64 v[92:93], v50 offset:11952
	s_wait_dscnt 0x0
	v_fmac_f64_e32 v[38:39], v[40:41], v[92:93]
	s_or_b32 exec_lo, exec_lo, s47
	s_and_saveexec_b32 s47, s0
	s_cbranch_execnz .LBB29_699
	s_branch .LBB29_700
.LBB29_1135:                            ;   in Loop: Header=BB29_3 Depth=1
	ds_load_b64 v[40:41], v59 offset:13824
	ds_load_b64 v[92:93], v58 offset:16088
	s_wait_dscnt 0x0
	v_fmac_f64_e32 v[38:39], v[40:41], v[92:93]
	s_or_b32 exec_lo, exec_lo, s47
	s_and_saveexec_b32 s47, s3
	s_cbranch_execz .LBB29_760
.LBB29_1136:                            ;   in Loop: Header=BB29_3 Depth=1
	ds_load_b64 v[40:41], v59 offset:14336
	ds_load_b64 v[92:93], v58 offset:16096
	s_wait_dscnt 0x0
	v_fmac_f64_e32 v[38:39], v[40:41], v[92:93]
	s_or_b32 exec_lo, exec_lo, s47
	s_and_saveexec_b32 s47, s19
	s_cbranch_execz .LBB29_761
.LBB29_1137:                            ;   in Loop: Header=BB29_3 Depth=1
	ds_load_b64 v[40:41], v59 offset:14848
	ds_load_b64 v[92:93], v58 offset:16104
	s_wait_dscnt 0x0
	v_fmac_f64_e32 v[38:39], v[40:41], v[92:93]
	s_or_b32 exec_lo, exec_lo, s47
	s_and_saveexec_b32 s47, s21
	s_cbranch_execz .LBB29_762
.LBB29_1138:                            ;   in Loop: Header=BB29_3 Depth=1
	ds_load_b64 v[40:41], v59 offset:15360
	ds_load_b64 v[92:93], v58 offset:16112
	s_wait_dscnt 0x0
	v_fmac_f64_e32 v[38:39], v[40:41], v[92:93]
	s_or_b32 exec_lo, exec_lo, s47
	s_and_saveexec_b32 s47, s2
	s_cbranch_execnz .LBB29_763
	s_branch .LBB29_764
.LBB29_1139:                            ;   in Loop: Header=BB29_3 Depth=1
	ds_load_b64 v[40:41], v51 offset:6720
	ds_load_b64 v[92:93], v50 offset:7784
	s_wait_dscnt 0x0
	v_fmac_f64_e32 v[38:39], v[40:41], v[92:93]
	s_or_b32 exec_lo, exec_lo, s47
	s_and_saveexec_b32 s47, s17
	s_cbranch_execz .LBB29_852
.LBB29_1140:                            ;   in Loop: Header=BB29_3 Depth=1
	ds_load_b64 v[40:41], v51 offset:7232
	ds_load_b64 v[92:93], v50 offset:7792
	s_wait_dscnt 0x0
	v_fmac_f64_e32 v[38:39], v[40:41], v[92:93]
	s_or_b32 exec_lo, exec_lo, s47
	s_and_saveexec_b32 s47, s0
	s_cbranch_execnz .LBB29_853
	s_branch .LBB29_854
.LBB29_1141:                            ;   in Loop: Header=BB29_3 Depth=1
	ds_load_b64 v[40:41], v55 offset:4608
	ds_load_b64 v[92:93], v54 offset:7752
	s_wait_dscnt 0x0
	v_fmac_f64_e32 v[38:39], v[40:41], v[92:93]
	s_or_b32 exec_lo, exec_lo, s47
	s_and_saveexec_b32 s47, s19
	s_cbranch_execz .LBB29_894
.LBB29_1142:                            ;   in Loop: Header=BB29_3 Depth=1
	ds_load_b64 v[40:41], v55 offset:5120
	ds_load_b64 v[92:93], v54 offset:7760
	s_wait_dscnt 0x0
	v_fmac_f64_e32 v[38:39], v[40:41], v[92:93]
	s_or_b32 exec_lo, exec_lo, s47
	s_and_saveexec_b32 s47, s20
	s_cbranch_execz .LBB29_895
.LBB29_1143:                            ;   in Loop: Header=BB29_3 Depth=1
	ds_load_b64 v[40:41], v55 offset:5632
	ds_load_b64 v[92:93], v54 offset:7768
	s_wait_dscnt 0x0
	v_fmac_f64_e32 v[38:39], v[40:41], v[92:93]
	s_or_b32 exec_lo, exec_lo, s47
	s_and_saveexec_b32 s47, s21
	s_cbranch_execz .LBB29_896
.LBB29_1144:                            ;   in Loop: Header=BB29_3 Depth=1
	ds_load_b64 v[40:41], v55 offset:6144
	ds_load_b64 v[92:93], v54 offset:7776
	s_wait_dscnt 0x0
	v_fmac_f64_e32 v[38:39], v[40:41], v[92:93]
	s_or_b32 exec_lo, exec_lo, s47
	s_and_saveexec_b32 s47, s22
	s_cbranch_execz .LBB29_897
.LBB29_1145:                            ;   in Loop: Header=BB29_3 Depth=1
	ds_load_b64 v[40:41], v55 offset:6656
	ds_load_b64 v[92:93], v54 offset:7784
	s_wait_dscnt 0x0
	v_fmac_f64_e32 v[38:39], v[40:41], v[92:93]
	s_or_b32 exec_lo, exec_lo, s47
	s_and_saveexec_b32 s47, s2
	s_cbranch_execz .LBB29_898
.LBB29_1146:                            ;   in Loop: Header=BB29_3 Depth=1
	ds_load_b64 v[40:41], v55 offset:7168
	ds_load_b64 v[92:93], v54 offset:7792
	s_wait_dscnt 0x0
	v_fmac_f64_e32 v[38:39], v[40:41], v[92:93]
	s_or_b32 exec_lo, exec_lo, s47
	s_and_saveexec_b32 s47, s17
	s_cbranch_execnz .LBB29_899
	s_branch .LBB29_900
.LBB29_1147:                            ;   in Loop: Header=BB29_3 Depth=1
	ds_load_b64 v[40:41], v51 offset:2560
	ds_load_b64 v[92:93], v50 offset:3624
	s_wait_dscnt 0x0
	v_fmac_f64_e32 v[38:39], v[40:41], v[92:93]
	s_or_b32 exec_lo, exec_lo, s47
	s_and_saveexec_b32 s47, s17
	s_cbranch_execz .LBB29_956
.LBB29_1148:                            ;   in Loop: Header=BB29_3 Depth=1
	ds_load_b64 v[40:41], v51 offset:3072
	ds_load_b64 v[92:93], v50 offset:3632
	s_wait_dscnt 0x0
	v_fmac_f64_e32 v[38:39], v[40:41], v[92:93]
	s_or_b32 exec_lo, exec_lo, s47
	s_and_saveexec_b32 s47, s0
	s_cbranch_execnz .LBB29_957
	s_branch .LBB29_958
.LBB29_1149:
	s_endpgm
	.section	.rodata,"a",@progbits
	.p2align	6, 0x0
	.amdhsa_kernel _ZL19rocblas_trsv_deviceILi64ELi16ELb0ELb1ELb0ELb0EdPKdS1_PdEviT7_lllT6_T8_lllPii
		.amdhsa_group_segment_fixed_size 41480
		.amdhsa_private_segment_fixed_size 0
		.amdhsa_kernarg_size 352
		.amdhsa_user_sgpr_count 2
		.amdhsa_user_sgpr_dispatch_ptr 0
		.amdhsa_user_sgpr_queue_ptr 0
		.amdhsa_user_sgpr_kernarg_segment_ptr 1
		.amdhsa_user_sgpr_dispatch_id 0
		.amdhsa_user_sgpr_kernarg_preload_length 0
		.amdhsa_user_sgpr_kernarg_preload_offset 0
		.amdhsa_user_sgpr_private_segment_size 0
		.amdhsa_wavefront_size32 1
		.amdhsa_uses_dynamic_stack 0
		.amdhsa_enable_private_segment 0
		.amdhsa_system_sgpr_workgroup_id_x 1
		.amdhsa_system_sgpr_workgroup_id_y 0
		.amdhsa_system_sgpr_workgroup_id_z 1
		.amdhsa_system_sgpr_workgroup_info 0
		.amdhsa_system_vgpr_workitem_id 1
		.amdhsa_next_free_vgpr 102
		.amdhsa_next_free_sgpr 105
		.amdhsa_named_barrier_count 0
		.amdhsa_reserve_vcc 1
		.amdhsa_float_round_mode_32 0
		.amdhsa_float_round_mode_16_64 0
		.amdhsa_float_denorm_mode_32 3
		.amdhsa_float_denorm_mode_16_64 3
		.amdhsa_fp16_overflow 0
		.amdhsa_memory_ordered 1
		.amdhsa_forward_progress 1
		.amdhsa_inst_pref_size 255
		.amdhsa_round_robin_scheduling 0
		.amdhsa_exception_fp_ieee_invalid_op 0
		.amdhsa_exception_fp_denorm_src 0
		.amdhsa_exception_fp_ieee_div_zero 0
		.amdhsa_exception_fp_ieee_overflow 0
		.amdhsa_exception_fp_ieee_underflow 0
		.amdhsa_exception_fp_ieee_inexact 0
		.amdhsa_exception_int_div_zero 0
	.end_amdhsa_kernel
	.section	.text._ZL19rocblas_trsv_deviceILi64ELi16ELb0ELb1ELb0ELb0EdPKdS1_PdEviT7_lllT6_T8_lllPii,"axG",@progbits,_ZL19rocblas_trsv_deviceILi64ELi16ELb0ELb1ELb0ELb0EdPKdS1_PdEviT7_lllT6_T8_lllPii,comdat
.Lfunc_end29:
	.size	_ZL19rocblas_trsv_deviceILi64ELi16ELb0ELb1ELb0ELb0EdPKdS1_PdEviT7_lllT6_T8_lllPii, .Lfunc_end29-_ZL19rocblas_trsv_deviceILi64ELi16ELb0ELb1ELb0ELb0EdPKdS1_PdEviT7_lllT6_T8_lllPii
                                        ; -- End function
	.set _ZL19rocblas_trsv_deviceILi64ELi16ELb0ELb1ELb0ELb0EdPKdS1_PdEviT7_lllT6_T8_lllPii.num_vgpr, 102
	.set _ZL19rocblas_trsv_deviceILi64ELi16ELb0ELb1ELb0ELb0EdPKdS1_PdEviT7_lllT6_T8_lllPii.num_agpr, 0
	.set _ZL19rocblas_trsv_deviceILi64ELi16ELb0ELb1ELb0ELb0EdPKdS1_PdEviT7_lllT6_T8_lllPii.numbered_sgpr, 105
	.set _ZL19rocblas_trsv_deviceILi64ELi16ELb0ELb1ELb0ELb0EdPKdS1_PdEviT7_lllT6_T8_lllPii.num_named_barrier, 0
	.set _ZL19rocblas_trsv_deviceILi64ELi16ELb0ELb1ELb0ELb0EdPKdS1_PdEviT7_lllT6_T8_lllPii.private_seg_size, 0
	.set _ZL19rocblas_trsv_deviceILi64ELi16ELb0ELb1ELb0ELb0EdPKdS1_PdEviT7_lllT6_T8_lllPii.uses_vcc, 1
	.set _ZL19rocblas_trsv_deviceILi64ELi16ELb0ELb1ELb0ELb0EdPKdS1_PdEviT7_lllT6_T8_lllPii.uses_flat_scratch, 0
	.set _ZL19rocblas_trsv_deviceILi64ELi16ELb0ELb1ELb0ELb0EdPKdS1_PdEviT7_lllT6_T8_lllPii.has_dyn_sized_stack, 0
	.set _ZL19rocblas_trsv_deviceILi64ELi16ELb0ELb1ELb0ELb0EdPKdS1_PdEviT7_lllT6_T8_lllPii.has_recursion, 0
	.set _ZL19rocblas_trsv_deviceILi64ELi16ELb0ELb1ELb0ELb0EdPKdS1_PdEviT7_lllT6_T8_lllPii.has_indirect_call, 0
	.section	.AMDGPU.csdata,"",@progbits
; Kernel info:
; codeLenInByte = 38080
; TotalNumSgprs: 107
; NumVgprs: 102
; ScratchSize: 0
; MemoryBound: 0
; FloatMode: 240
; IeeeMode: 1
; LDSByteSize: 41480 bytes/workgroup (compile time only)
; SGPRBlocks: 0
; VGPRBlocks: 6
; NumSGPRsForWavesPerEU: 107
; NumVGPRsForWavesPerEU: 102
; NamedBarCnt: 0
; Occupancy: 9
; WaveLimiterHint : 0
; COMPUTE_PGM_RSRC2:SCRATCH_EN: 0
; COMPUTE_PGM_RSRC2:USER_SGPR: 2
; COMPUTE_PGM_RSRC2:TRAP_HANDLER: 0
; COMPUTE_PGM_RSRC2:TGID_X_EN: 1
; COMPUTE_PGM_RSRC2:TGID_Y_EN: 0
; COMPUTE_PGM_RSRC2:TGID_Z_EN: 1
; COMPUTE_PGM_RSRC2:TIDIG_COMP_CNT: 1
	.section	.text._ZL19rocblas_trsv_deviceILi64ELi16ELb0ELb1ELb1ELb0EdPKdS1_PdEviT7_lllT6_T8_lllPii,"axG",@progbits,_ZL19rocblas_trsv_deviceILi64ELi16ELb0ELb1ELb1ELb0EdPKdS1_PdEviT7_lllT6_T8_lllPii,comdat
	.globl	_ZL19rocblas_trsv_deviceILi64ELi16ELb0ELb1ELb1ELb0EdPKdS1_PdEviT7_lllT6_T8_lllPii ; -- Begin function _ZL19rocblas_trsv_deviceILi64ELi16ELb0ELb1ELb1ELb0EdPKdS1_PdEviT7_lllT6_T8_lllPii
	.p2align	8
	.type	_ZL19rocblas_trsv_deviceILi64ELi16ELb0ELb1ELb1ELb0EdPKdS1_PdEviT7_lllT6_T8_lllPii,@function
_ZL19rocblas_trsv_deviceILi64ELi16ELb0ELb1ELb1ELb0EdPKdS1_PdEviT7_lllT6_T8_lllPii: ; @_ZL19rocblas_trsv_deviceILi64ELi16ELb0ELb1ELb1ELb0EdPKdS1_PdEviT7_lllT6_T8_lllPii
; %bb.0:
	s_load_b32 s6, s[0:1], 0x58
	s_bfe_u32 s2, ttmp6, 0x40014
	s_lshr_b32 s3, ttmp7, 16
	s_add_co_i32 s2, s2, 1
	s_bfe_u32 s5, ttmp6, 0x40008
	s_mul_i32 s4, s3, s2
	s_getreg_b32 s2, hwreg(HW_REG_IB_STS2, 6, 4)
	s_add_co_i32 s5, s5, s4
	s_cmp_eq_u32 s2, 0
	s_mov_b32 s81, 0
	s_cselect_b32 s80, s3, s5
                                        ; implicit-def: $vgpr101 : SGPR spill to VGPR lane
	s_wait_kmcnt 0x0
	s_cmp_ge_u32 s80, s6
	v_writelane_b32 v101, s6, 0
	s_cbranch_scc1 .LBB30_1149
; %bb.1:
	s_clause 0x2
	s_load_b512 s[60:75], s[0:1], 0x8
	s_load_b32 s3, s[0:1], 0x6c
	s_load_b32 s87, s[0:1], 0x0
	s_bfe_u32 s5, ttmp6, 0x4000c
	s_and_b32 s4, ttmp6, 15
	s_add_co_i32 s5, s5, 1
	s_load_b128 s[76:79], s[0:1], 0x48
	s_wait_xcnt 0x0
	s_mul_i32 s0, ttmp9, s5
	v_and_b32_e32 v4, 0x3ff, v0
	s_add_co_i32 s6, s4, s0
	v_bfe_u32 v42, v0, 10, 10
	v_mov_b32_e32 v3, 0
                                        ; implicit-def: $vgpr100 : SGPR spill to VGPR lane
                                        ; implicit-def: $vgpr32_vgpr33
	s_delay_alu instid0(VALU_DEP_3) | instskip(SKIP_1) | instid1(VALU_DEP_4)
	v_lshlrev_b32_e32 v1, 6, v4
	v_mul_i32_i24_e32 v17, 0xfffffe08, v4
	v_lshl_add_u32 v34, v42, 6, v4
	s_delay_alu instid0(VALU_DEP_4)
	v_dual_mov_b32 v7, v3 :: v_dual_mov_b32 v5, v3
	v_dual_add_nc_u32 v26, 32, v42 :: v_dual_add_nc_u32 v27, 48, v42
	s_wait_kmcnt 0x0
	s_lshl_b64 s[0:1], s[62:63], 3
	s_lshl_b64 s[4:5], s[72:73], 3
	s_cmp_eq_u32 s2, 0
	s_add_nc_u64 s[0:1], s[60:61], s[0:1]
	s_cselect_b32 s88, ttmp9, s6
	s_add_co_i32 s2, s87, -1
	s_and_b32 s6, s3, 0xffff
	s_ashr_i32 s3, s87, 31
	s_ashr_i32 s7, s2, 31
	s_lshr_b32 s3, s3, 26
	s_lshr_b32 s7, s7, 26
	s_add_co_i32 s3, s87, s3
	s_add_co_i32 s2, s2, s7
	s_and_not1_b32 s3, s3, 63
	s_ashr_i32 s2, s2, 6
	s_sub_co_i32 s15, s87, s3
	v_writelane_b32 v101, s0, 1
	s_cmp_eq_u32 s2, s88
	s_add_nc_u64 s[2:3], s[64:65], 1
	s_cselect_b32 s7, -1, 0
	s_cmp_lg_u32 s15, 0
	v_writelane_b32 v101, s1, 2
	s_cselect_b32 s0, -1, 0
	s_lshl_b32 s10, s88, 6
	s_delay_alu instid0(SALU_CYCLE_1)
	v_dual_add_nc_u32 v22, 16, v42 :: v_dual_add_nc_u32 v16, s10, v42
	v_dual_add_nc_u32 v12, s10, v4 :: v_dual_add_nc_u32 v2, v42, v1
	v_sub_co_u32 v43, s1, s88, 1
	s_and_b32 s16, s0, s7
	v_subrev_nc_u32_e32 v8, 64, v16
	s_xor_b32 s0, s1, -1
	s_xor_b32 s90, s16, -1
	s_cmp_lt_i32 s88, 5
	v_ashrrev_i32_e32 v13, 31, v12
	v_mad_nc_u64_u32 v[20:21], s2, s10, v[4:5]
	v_add_nc_u32_e32 v5, v22, v1
	v_lshl_add_u32 v14, v22, 6, v4
	s_cselect_b32 vcc_lo, -1, 0
	s_delay_alu instid0(SALU_CYCLE_1)
	v_dual_ashrrev_i32 v9, 31, v8 :: v_dual_cndmask_b32 v23, v34, v2, vcc_lo
	s_or_b32 vcc_lo, vcc_lo, s16
	s_delay_alu instid0(VALU_DEP_2) | instid1(SALU_CYCLE_1)
	v_dual_lshrrev_b32 v2, 1, v34 :: v_dual_cndmask_b32 v24, v14, v5, vcc_lo
	s_add_nc_u64 s[4:5], s[70:71], s[4:5]
	v_lshrrev_b32_e32 v5, 10, v0
	v_writelane_b32 v101, s4, 3
	s_delay_alu instid0(VALU_DEP_3) | instskip(SKIP_3) | instid1(VALU_DEP_2)
	v_dual_lshlrev_b32 v14, 9, v2 :: v_dual_bitop2_b32 v15, 1, v0 bitop3:0x40
	s_ashr_i32 s11, s10, 31
	s_mul_i32 s1, s3, s10
	v_writelane_b32 v101, s5, 4
	v_dual_sub_nc_u32 v44, 0, v14 :: v_dual_lshlrev_b32 v45, 3, v15
	v_lshlrev_b32_e32 v46, 3, v4
	v_bitop3_b32 v35, v0, v5, 0x3ff bitop3:0xa8
	v_writelane_b32 v101, s0, 5
	s_mul_i32 s0, s2, s11
	v_lshl_add_u32 v5, v2, 3, 0x8000
	v_add3_u32 v21, s0, s1, v21
	v_cmp_gt_u32_e64 s0, 4, v34
	v_cmp_eq_u32_e64 s2, 1, v15
	v_cmp_eq_u32_e64 s3, 0, v15
	v_lshrrev_b32_e32 v2, 2, v34
	v_dual_sub_nc_u32 v47, v45, v14 :: v_dual_bitop2_b32 v14, 3, v0 bitop3:0x40
	v_cmp_eq_u32_e64 s1, 0, v42
	v_cmp_gt_u32_e64 s4, 2, v4
	s_and_b32 s92, s2, s0
	s_and_b32 s93, s3, s0
	v_lshlrev_b32_e32 v15, 9, v2
	v_lshl_add_u32 v49, v2, 3, 0x8000
	v_cmp_gt_u32_e64 s2, 16, v34
	v_cmp_eq_u32_e64 s3, 3, v14
	v_lshlrev_b32_e32 v2, 6, v34
	s_and_b32 s94, s1, s4
	v_lshlrev_b32_e32 v51, 3, v14
	v_cmp_ne_u32_e64 s4, 3, v14
	s_and_b32 s95, s3, s2
	v_cmp_eq_u32_e64 s3, 2, v14
	v_cmp_gt_u32_e64 s5, 2, v14
	v_cmp_eq_u32_e64 s7, 1, v14
	v_cmp_eq_u32_e64 s8, 0, v14
	v_and_b32_e32 v14, -8, v34
	v_and_b32_e32 v2, 0xfffffe00, v2
	s_and_b32 s97, s3, s2
	v_cmp_gt_u32_e64 s3, 4, v4
	s_and_b32 s96, s4, s2
	s_and_b32 s98, s5, s2
	v_dual_sub_nc_u32 v54, 0, v2 :: v_dual_sub_nc_u32 v50, 0, v15
	v_dual_sub_nc_u32 v52, v51, v15 :: v_dual_bitop2_b32 v15, 7, v0 bitop3:0x40
	s_and_b32 s101, s1, s3
	v_cmp_gt_u32_e64 s3, 64, v34
	s_and_b32 s99, s7, s2
	v_lshl_add_u32 v28, v27, 6, v4
	v_cmp_eq_u32_e64 s4, 7, v15
	v_cmp_ne_u32_e64 s5, 7, v15
	v_cmp_eq_u32_e64 s7, 6, v15
	v_lshlrev_b32_e32 v55, 3, v15
	v_add_nc_u32_e32 v53, 0x8000, v14
	s_and_b32 s102, s4, s3
	v_cmp_gt_u32_e64 s4, 6, v15
	s_and_b32 s103, s5, s3
	v_cmp_eq_u32_e64 s5, 5, v15
	s_and_b32 s104, s7, s3
	v_cmp_gt_u32_e64 s7, 5, v15
	s_and_b32 vcc_hi, s4, s3
	v_cmp_eq_u32_e64 s4, 4, v15
	s_and_b32 s36, s5, s3
	v_cmp_gt_u32_e64 s5, 4, v15
	s_and_b32 s37, s7, s3
	v_cmp_eq_u32_e64 s7, 3, v15
	s_and_b32 s38, s4, s3
	v_cmp_gt_u32_e64 s4, 3, v15
	s_and_b32 s39, s5, s3
	v_cmp_eq_u32_e64 s5, 2, v15
	v_lshrrev_b32_e32 v14, 4, v34
	v_sub_nc_u32_e32 v56, v55, v2
	s_and_b32 s41, s4, s3
	v_cmp_eq_u32_e64 s4, 1, v15
	s_and_b32 s42, s5, s3
	v_cmp_eq_u32_e64 s5, 0, v15
	v_and_b32_e32 v2, 15, v0
	s_and_b32 s40, s7, s3
	s_and_b32 s44, s4, s3
	v_cmp_gt_u32_e64 s4, 8, v4
	v_cmp_gt_u32_e64 s7, 2, v15
	s_and_b32 s45, s5, s3
	v_cmp_eq_u32_e64 s5, 15, v2
	s_and_b32 s100, s8, s2
	s_and_b32 s46, s1, s4
	v_cmp_gt_u32_e64 s4, 0x100, v34
	s_and_b32 s43, s7, s3
	v_cmp_ne_u32_e64 s7, 15, v2
	v_cmp_eq_u32_e64 s8, 14, v2
	v_cmp_gt_u32_e64 s9, 14, v2
	s_and_b32 s5, s5, s4
	v_mad_u32_u24 v6, v42, s6, v4
	v_writelane_b32 v101, s5, 6
	v_cmp_eq_u32_e64 s5, 13, v2
	s_and_b32 s48, s7, s4
	v_cmp_gt_u32_e64 s7, 13, v2
	s_and_b32 s49, s8, s4
	s_and_b32 s50, s9, s4
	s_and_b32 s51, s5, s4
	v_cmp_gt_u32_e64 s5, 12, v2
	s_and_b32 s52, s7, s4
	v_cmp_gt_u32_e64 s7, 11, v2
	v_cmp_eq_u32_e64 s8, 12, v2
	v_cmp_eq_u32_e64 s9, 11, v2
	s_and_b32 s54, s5, s4
	v_cmp_eq_u32_e64 s5, 10, v2
	s_and_b32 s56, s7, s4
	v_cmp_eq_u32_e64 s7, 9, v2
	s_and_b32 s53, s8, s4
	s_and_b32 s55, s9, s4
	s_and_b32 s57, s5, s4
	v_cmp_eq_u32_e64 s5, 8, v2
	s_and_b32 s61, s7, s4
	v_cmp_gt_u32_e64 s7, 8, v2
	v_cmp_gt_u32_e64 s8, 10, v2
	;; [unrolled: 1-line block ×3, first 2 shown]
	s_and_b32 s63, s5, s4
	v_cmp_gt_u32_e64 s5, 7, v2
	s_and_b32 s12, s7, s4
	v_cmp_gt_u32_e64 s7, 6, v2
	s_and_b32 s58, s8, s4
	s_and_b32 s62, s9, s4
	;; [unrolled: 1-line block ×3, first 2 shown]
	v_cmp_eq_u32_e64 s5, 5, v2
	v_cmp_eq_u32_e64 s8, 7, v2
	;; [unrolled: 1-line block ×3, first 2 shown]
	s_and_b32 s27, s7, s4
	v_cmp_eq_u32_e64 s7, 4, v2
	s_and_b32 s29, s5, s4
	v_cmp_eq_u32_e64 s5, 3, v2
	v_lshlrev_b32_e32 v19, 9, v14
	s_and_b32 s13, s8, s4
	s_and_b32 s25, s9, s4
	v_cmp_gt_u32_e64 s8, 5, v2
	v_cmp_gt_u32_e64 s9, 4, v2
	s_and_b32 s34, s7, s4
	v_cmp_gt_u32_e64 s7, 3, v2
	v_lshrrev_b32_e32 v25, 5, v34
	v_lshlrev_b32_e32 v59, 3, v2
	s_and_b32 s26, s5, s4
	v_cmp_gt_u32_e64 s5, 2, v2
	v_lshl_add_u32 v57, v14, 3, 0x8000
	s_and_b32 s31, s8, s4
	s_and_b32 s24, s9, s4
	v_cmp_eq_u32_e64 s8, 2, v2
	v_cmp_eq_u32_e64 s9, 1, v2
	s_and_b32 s28, s7, s4
	v_cmp_eq_u32_e64 s7, 0, v2
	v_add_nc_u64_e32 v[14:15], s[10:11], v[6:7]
	v_dual_sub_nc_u32 v58, 0, v19 :: v_dual_bitop2_b32 v7, 31, v0 bitop3:0x40
	v_dual_lshlrev_b32 v0, 9, v25 :: v_dual_add_nc_u32 v2, s10, v6
	v_dual_sub_nc_u32 v60, v59, v19 :: v_dual_add_nc_u32 v19, v26, v1
	v_lshl_add_u32 v61, v25, 3, 0x8000
	v_lshl_add_u32 v25, v26, 6, v4
	v_dual_add_nc_u32 v1, v27, v1 :: v_dual_lshlrev_b32 v29, 9, v7
	s_and_b32 s33, s5, s4
	v_cmp_gt_u32_e64 s5, 16, v4
	v_cmp_le_i32_e64 s14, s15, v4
	s_xor_b32 s91, vcc_lo, -1
	v_dual_cndmask_b32 v25, v25, v19 :: v_dual_sub_nc_u32 v66, 0, v29
	v_cndmask_b32_e32 v28, v28, v1, vcc_lo
	v_cmp_gt_u32_e32 vcc_lo, 32, v4
	s_and_b32 s10, s1, s5
	s_movk_i32 s5, 0x3800
	s_and_b32 s11, s14, s16
	v_cmp_gt_i32_e64 s6, s15, v4
	s_and_b32 s73, s7, s4
	v_mad_u32_u24 v64, 0x208, v7, s5
	s_xor_b32 s5, s11, -1
	s_and_b32 s7, s1, vcc_lo
	s_and_b32 s30, s8, s4
	s_and_b32 s72, s9, s4
	v_writelane_b32 v101, s7, 7
	s_and_b32 s70, s1, s5
	s_cmp_gt_i32 s88, 0
	v_subrev_nc_u32_e32 v19, 48, v16
	s_cselect_b32 s71, -1, 0
	v_cmp_gt_i32_e64 s5, s87, v12
	v_cmp_gt_i32_e32 vcc_lo, s87, v8
	s_and_b32 s6, s1, s6
	v_mul_lo_u32 v29, v17, 6
	v_writelane_b32 v101, s6, 8
	v_subrev_nc_u32_e32 v17, 32, v16
	s_and_b32 s6, vcc_lo, s5
	v_cmp_gt_i32_e32 vcc_lo, s87, v19
	v_dual_add_nc_u32 v30, -16, v16 :: v_dual_lshlrev_b32 v80, 3, v25
	v_writelane_b32 v101, s6, 9
	v_cmp_gt_i32_e64 s6, s87, v17
	s_and_b32 s7, vcc_lo, s5
	v_cmp_gt_i32_e32 vcc_lo, s87, v30
	v_cmp_ne_u32_e64 s16, v4, v22
	v_writelane_b32 v101, s7, 10
	s_and_b32 s6, s6, s5
	v_cmp_ne_u32_e64 s17, v4, v26
	v_cmp_ne_u32_e64 s18, v4, v27
	v_cmp_gt_u32_e64 s35, 0xf0, v34
	v_writelane_b32 v101, s6, 11
	s_and_b32 s6, vcc_lo, s5
	v_cmp_le_i32_e32 vcc_lo, s15, v42
	v_cmp_gt_u32_e64 s47, 0x3e0, v34
	v_mad_u32_u24 v48, 0x1f8, v4, v46
	v_writelane_b32 v101, s6, 12
	v_cmp_ge_u32_e64 s6, v4, v42
	s_or_b32 s7, vcc_lo, s14
	v_cmp_le_i32_e32 vcc_lo, s15, v22
	v_mad_i32_i24 v65, 0xfffffe08, v4, v48
	v_mad_nc_u64_u32 v[16:17], s64, v22, v[20:21]
	s_or_b32 s7, s7, s6
	v_dual_lshlrev_b32 v62, 3, v7 :: v_dual_sub_nc_u32 v63, 0, v0
	v_writelane_b32 v101, s7, 13
	v_cmp_ge_u32_e64 s7, v4, v22
	s_or_b32 s8, vcc_lo, s14
	v_cmp_le_i32_e32 vcc_lo, s15, v26
	v_mad_u32_u24 v68, 0x1f8, v4, v65
	v_dual_sub_nc_u32 v67, v62, v0 :: v_dual_lshlrev_b32 v76, 3, v23
	s_or_b32 s8, s8, s7
	s_or_b32 s9, vcc_lo, s14
	v_writelane_b32 v101, s8, 14
	v_cmp_ge_u32_e64 s8, v4, v26
	v_cmp_le_i32_e32 vcc_lo, s15, v27
	v_mad_i32_i24 v69, 0xfffffe08, v4, v68
	v_dual_lshlrev_b32 v81, 3, v28 :: v_dual_lshlrev_b32 v23, 3, v42
	s_or_b32 s9, s9, s8
	s_or_b32 s15, vcc_lo, s14
	v_writelane_b32 v101, s9, 15
	v_cmp_ge_u32_e64 s9, v4, v27
	v_mad_u32_u24 v70, 0x1f8, v4, v69
	v_mul_u64_e32 v[10:11], s[64:65], v[12:13]
	v_mul_u64_e32 v[0:1], s[74:75], v[12:13]
	;; [unrolled: 1-line block ×3, first 2 shown]
	s_or_b32 s15, s15, s9
	v_mad_i32_i24 v71, 0xfffffe08, v4, v70
	v_writelane_b32 v101, s15, 16
	v_cmp_ne_u32_e64 s15, v4, v42
	v_mad_u32 v17, s65, v22, v17
	v_or_b32_e32 v84, 0xa000, v23
	v_mad_u32_u24 v72, 0x1f8, v4, v71
	v_or_b32_e32 v36, v22, v4
	v_writelane_b32 v101, s15, 17
	s_or_b32 s15, s14, s15
	v_mul_u32_u24_e32 v18, 0x1f8, v4
	v_mad_i32_i24 v73, 0xfffffe08, v4, v72
	v_mad_nc_u64_u32 v[14:15], s64, v42, v[20:21]
	v_writelane_b32 v101, s15, 18
	s_or_b32 s15, s14, s16
	v_mad_u32 v29, v18, 7, v29
	v_mad_u32_u24 v74, 0x1f8, v4, v73
	v_mad_nc_u64_u32 v[18:19], s64, v26, v[20:21]
	v_writelane_b32 v101, s16, 19
	v_mad_nc_u64_u32 v[20:21], s64, v27, v[20:21]
	v_dual_add_nc_u32 v91, v84, v46 :: v_dual_bitop2_b32 v37, v26, v4 bitop3:0x54
	v_mad_i32_i24 v75, 0xfffffe08, v4, v74
	v_writelane_b32 v101, s15, 20
	s_or_b32 s15, s14, s17
	s_or_b32 s14, s14, s18
	v_mad_u32 v15, s65, v42, v15
	v_mad_u32_u24 v79, 0x1f8, v4, v75
	v_writelane_b32 v101, s17, 21
	v_mad_u32 v19, s65, v26, v19
	v_mad_u32 v21, s65, v27, v21
	v_mul_u32_u24_e32 v30, 0x1f0, v4
	v_mad_i32_i24 v82, 0xfffffe08, v4, v79
	v_writelane_b32 v101, s15, 22
	v_or_b32_e32 v38, v27, v4
	s_delay_alu instid0(VALU_DEP_4) | instskip(NEXT) | instid1(VALU_DEP_4)
	v_dual_lshlrev_b32 v77, 3, v24 :: v_dual_sub_nc_u32 v78, v29, v30
	v_mad_u32_u24 v83, 0x1f8, v4, v82
	v_writelane_b32 v101, s18, 23
	v_cmp_lt_u32_e32 vcc_lo, 0x3ff, v34
	v_mov_b64_e32 v[24:25], 0
	v_mul_u32_u24_e32 v86, 0x208, v7
	v_add_nc_u32_e32 v85, v83, v23
	v_writelane_b32 v101, s14, 24
	v_mul_u64_e32 v[22:23], s[74:75], v[2:3]
	v_lshl_add_u32 v87, v6, 3, 0xa000
	v_lshl_add_u32 v88, v34, 3, 0x8000
	v_add_nc_u32_e32 v89, 0x8000, v46
	v_writelane_b32 v101, s35, 25
	v_cmp_gt_u32_e64 s35, 0xe0, v34
	v_lshl_add_u32 v90, v42, 9, v75
	v_cmp_eq_u32_e64 s14, 0, v35
	v_cmp_gt_u32_e64 s15, 2, v34
	v_cmp_gt_u32_e64 s16, 12, v34
	v_writelane_b32 v101, s35, 26
	v_cmp_gt_u32_e64 s35, 0xd0, v34
	v_cmp_gt_u32_e64 s17, 8, v34
	;; [unrolled: 1-line block ×5, first 2 shown]
	v_writelane_b32 v101, s35, 27
	v_cmp_gt_u32_e64 s35, 0xc0, v34
	v_cmp_gt_u32_e64 s21, 32, v34
	;; [unrolled: 1-line block ×3, first 2 shown]
	v_cmp_eq_u32_e64 s59, 0, v6
	v_cmp_gt_u32_e64 s60, 64, v6
	v_writelane_b32 v101, s35, 28
	v_cmp_gt_u32_e64 s35, 0xb0, v34
	s_xor_b32 s64, vcc_lo, -1
                                        ; implicit-def: $vgpr26_vgpr27
                                        ; implicit-def: $vgpr28_vgpr29
                                        ; implicit-def: $vgpr30_vgpr31
	v_writelane_b32 v101, s35, 29
	v_cmp_gt_u32_e64 s35, 0xa0, v34
	s_delay_alu instid0(VALU_DEP_1) | instskip(SKIP_1) | instid1(VALU_DEP_1)
	v_writelane_b32 v101, s35, 30
	v_cmp_gt_u32_e64 s35, 0x90, v34
	v_writelane_b32 v101, s35, 31
	v_cmp_gt_u32_e64 s35, 0x80, v34
	s_delay_alu instid0(VALU_DEP_1) | instskip(SKIP_1) | instid1(VALU_DEP_1)
	v_writelane_b32 v100, s35, 0
	v_cmp_gt_u32_e64 s35, 0x70, v34
	;; [unrolled: 5-line block ×3, first 2 shown]
	v_writelane_b32 v100, s35, 3
	v_cmp_gt_u32_e64 s35, 0x400, v34
	v_writelane_b32 v100, s47, 4
	v_cmp_gt_u32_e64 s47, 0x3c0, v34
	s_delay_alu instid0(VALU_DEP_1) | instskip(SKIP_1) | instid1(VALU_DEP_1)
	v_writelane_b32 v100, s47, 5
	v_cmp_gt_u32_e64 s47, 0x3a0, v34
	v_writelane_b32 v100, s47, 6
	v_cmp_gt_u32_e64 s47, 0x380, v34
	s_delay_alu instid0(VALU_DEP_1) | instskip(SKIP_1) | instid1(VALU_DEP_1)
	;; [unrolled: 5-line block ×13, first 2 shown]
	v_writelane_b32 v100, s47, 29
	v_cmp_gt_u32_e64 s47, 64, v38
	v_writelane_b32 v100, s47, 30
	s_branch .LBB30_3
.LBB30_2:                               ;   in Loop: Header=BB30_3 Depth=1
	s_wait_xcnt 0x0
	s_or_b32 exec_lo, exec_lo, s47
	v_readlane_b32 s47, v101, 0
	s_add_co_i32 s80, s80, 0x10000
	global_wb scope:SCOPE_DEV
	s_wait_storecnt 0x0
	global_inv scope:SCOPE_DEV
	s_cmp_lt_u32 s80, s47
	s_cbranch_scc0 .LBB30_1149
.LBB30_3:                               ; =>This Loop Header: Depth=1
                                        ;     Child Loop BB30_553 Depth 2
                                        ;     Child Loop BB30_1002 Depth 2
                                        ;       Child Loop BB30_1004 Depth 3
                                        ;     Child Loop BB30_1039 Depth 2
	global_load_b64 v[36:37], v3, s[68:69]
	v_readlane_b32 s84, v101, 1
	v_readlane_b32 s85, v101, 2
	s_mul_u64 s[82:83], s[66:67], s[80:81]
	v_readlane_b32 s47, v101, 5
	s_lshl_b64 s[82:83], s[82:83], 3
	s_delay_alu instid0(SALU_CYCLE_1) | instskip(NEXT) | instid1(SALU_CYCLE_1)
	s_add_nc_u64 s[82:83], s[84:85], s[82:83]
	v_lshl_add_u64 v[34:35], v[10:11], 3, s[82:83]
	s_and_not1_b32 vcc_lo, exec_lo, s47
	s_cbranch_vccz .LBB30_6
; %bb.4:                                ;   in Loop: Header=BB30_3 Depth=1
	s_and_not1_b32 vcc_lo, exec_lo, s90
	s_mov_b32 s47, -1
	s_cbranch_vccz .LBB30_15
.LBB30_5:                               ;   in Loop: Header=BB30_3 Depth=1
	s_and_b32 vcc_lo, exec_lo, s47
	s_cbranch_vccnz .LBB30_25
	s_branch .LBB30_66
.LBB30_6:                               ;   in Loop: Header=BB30_3 Depth=1
	v_mov_b64_e32 v[28:29], 0
	v_mov_b64_e32 v[26:27], 0
	v_lshl_add_u64 v[38:39], v[8:9], 3, v[34:35]
	s_wait_loadcnt 0x0
	s_barrier_signal -1
	s_barrier_wait -1
	s_wait_xcnt 0x0
	s_mov_b32 s47, exec_lo
	v_readlane_b32 s65, v101, 9
	s_and_b32 s65, s47, s65
	s_delay_alu instid0(SALU_CYCLE_1)
	s_mov_b32 exec_lo, s65
	s_cbranch_execz .LBB30_8
; %bb.7:                                ;   in Loop: Header=BB30_3 Depth=1
	global_load_b64 v[26:27], v[38:39], off
.LBB30_8:                               ;   in Loop: Header=BB30_3 Depth=1
	s_wait_xcnt 0x0
	s_or_b32 exec_lo, exec_lo, s47
	s_wait_loadcnt 0x0
	s_barrier_signal -1
	s_barrier_wait -1
	s_mov_b32 s47, exec_lo
	v_readlane_b32 s65, v101, 10
	s_and_b32 s65, s47, s65
	s_delay_alu instid0(SALU_CYCLE_1)
	s_mov_b32 exec_lo, s65
	s_cbranch_execz .LBB30_10
; %bb.9:                                ;   in Loop: Header=BB30_3 Depth=1
	global_load_b64 v[28:29], v[38:39], off offset:128
.LBB30_10:                              ;   in Loop: Header=BB30_3 Depth=1
	s_wait_xcnt 0x0
	s_or_b32 exec_lo, exec_lo, s47
	v_mov_b64_e32 v[32:33], 0
	v_mov_b64_e32 v[30:31], 0
	s_wait_loadcnt 0x0
	s_barrier_signal -1
	s_barrier_wait -1
	s_mov_b32 s47, exec_lo
	v_readlane_b32 s65, v101, 11
	s_and_b32 s65, s47, s65
	s_delay_alu instid0(SALU_CYCLE_1)
	s_mov_b32 exec_lo, s65
	s_cbranch_execz .LBB30_12
; %bb.11:                               ;   in Loop: Header=BB30_3 Depth=1
	global_load_b64 v[30:31], v[38:39], off offset:256
.LBB30_12:                              ;   in Loop: Header=BB30_3 Depth=1
	s_wait_xcnt 0x0
	s_or_b32 exec_lo, exec_lo, s47
	s_wait_loadcnt 0x0
	s_barrier_signal -1
	s_barrier_wait -1
	s_mov_b32 s47, exec_lo
	v_readlane_b32 s65, v101, 12
	s_and_b32 s65, s47, s65
	s_delay_alu instid0(SALU_CYCLE_1)
	s_mov_b32 exec_lo, s65
	s_cbranch_execz .LBB30_14
; %bb.13:                               ;   in Loop: Header=BB30_3 Depth=1
	global_load_b64 v[32:33], v[38:39], off offset:384
.LBB30_14:                              ;   in Loop: Header=BB30_3 Depth=1
	s_wait_xcnt 0x0
	s_or_b32 exec_lo, exec_lo, s47
	s_delay_alu instid0(SALU_CYCLE_1)
	s_and_not1_b32 vcc_lo, exec_lo, s90
	s_mov_b32 s47, -1
	s_cbranch_vccnz .LBB30_5
.LBB30_15:                              ;   in Loop: Header=BB30_3 Depth=1
	s_wait_xcnt 0x0
	s_and_saveexec_b32 s47, s6
	s_delay_alu instid0(SALU_CYCLE_1)
	s_xor_b32 s65, exec_lo, s47
	s_cbranch_execnz .LBB30_1060
; %bb.16:                               ;   in Loop: Header=BB30_3 Depth=1
	s_and_not1_saveexec_b32 s65, s65
	s_cbranch_execnz .LBB30_1067
.LBB30_17:                              ;   in Loop: Header=BB30_3 Depth=1
	s_or_b32 exec_lo, exec_lo, s65
	s_and_saveexec_b32 s47, s7
	s_delay_alu instid0(SALU_CYCLE_1)
	s_xor_b32 s65, exec_lo, s47
	s_cbranch_execnz .LBB30_1068
.LBB30_18:                              ;   in Loop: Header=BB30_3 Depth=1
	s_and_not1_saveexec_b32 s65, s65
	s_cbranch_execnz .LBB30_1075
.LBB30_19:                              ;   in Loop: Header=BB30_3 Depth=1
	s_or_b32 exec_lo, exec_lo, s65
	s_and_saveexec_b32 s47, s8
	s_delay_alu instid0(SALU_CYCLE_1)
	s_xor_b32 s65, exec_lo, s47
	s_cbranch_execnz .LBB30_1076
.LBB30_20:                              ;   in Loop: Header=BB30_3 Depth=1
	s_and_not1_saveexec_b32 s65, s65
	s_cbranch_execnz .LBB30_1083
.LBB30_21:                              ;   in Loop: Header=BB30_3 Depth=1
	s_or_b32 exec_lo, exec_lo, s65
	s_and_saveexec_b32 s47, s9
	s_delay_alu instid0(SALU_CYCLE_1)
	s_xor_b32 s65, exec_lo, s47
	s_cbranch_execnz .LBB30_1084
.LBB30_22:                              ;   in Loop: Header=BB30_3 Depth=1
	s_and_not1_saveexec_b32 s65, s65
	s_cbranch_execz .LBB30_24
.LBB30_23:                              ;   in Loop: Header=BB30_3 Depth=1
	v_lshl_add_u64 v[38:39], v[20:21], 3, s[82:83]
	global_load_b64 v[38:39], v[38:39], off
	s_wait_loadcnt 0x0
	v_xor_b32_e32 v39, 0x80000000, v39
	ds_store_b64 v81, v[38:39]
.LBB30_24:                              ;   in Loop: Header=BB30_3 Depth=1
	s_or_b32 exec_lo, exec_lo, s65
	s_branch .LBB30_66
.LBB30_25:                              ;   in Loop: Header=BB30_3 Depth=1
	v_readlane_b32 s65, v101, 13
	s_wait_xcnt 0x0
	s_and_saveexec_b32 s47, s65
	s_delay_alu instid0(SALU_CYCLE_1)
	s_xor_b32 s65, exec_lo, s47
	s_cbranch_execz .LBB30_33
; %bb.26:                               ;   in Loop: Header=BB30_3 Depth=1
	v_readlane_b32 s84, v101, 18
	s_and_saveexec_b32 s47, s84
	s_delay_alu instid0(SALU_CYCLE_1)
	s_xor_b32 s84, exec_lo, s47
	s_cbranch_execz .LBB30_30
; %bb.27:                               ;   in Loop: Header=BB30_3 Depth=1
	s_mov_b32 s47, exec_lo
	v_readlane_b32 s85, v100, 27
	s_and_b32 s85, s47, s85
	s_delay_alu instid0(SALU_CYCLE_1)
	s_mov_b32 exec_lo, s85
; %bb.28:                               ;   in Loop: Header=BB30_3 Depth=1
	ds_store_b64 v85, v[24:25]
; %bb.29:                               ;   in Loop: Header=BB30_3 Depth=1
	s_or_b32 exec_lo, exec_lo, s47
.LBB30_30:                              ;   in Loop: Header=BB30_3 Depth=1
	s_and_not1_saveexec_b32 s84, s84
	s_cbranch_execz .LBB30_32
; %bb.31:                               ;   in Loop: Header=BB30_3 Depth=1
	v_lshl_add_u64 v[38:39], v[14:15], 3, s[82:83]
	global_load_b64 v[38:39], v[38:39], off
	s_wait_loadcnt 0x0
	v_div_scale_f64 v[40:41], null, v[38:39], v[38:39], 1.0
	s_delay_alu instid0(VALU_DEP_1) | instskip(SKIP_1) | instid1(TRANS32_DEP_1)
	v_rcp_f64_e32 v[92:93], v[40:41]
	v_nop
	v_fma_f64 v[94:95], -v[40:41], v[92:93], 1.0
	s_delay_alu instid0(VALU_DEP_1) | instskip(NEXT) | instid1(VALU_DEP_1)
	v_fmac_f64_e32 v[92:93], v[92:93], v[94:95]
	v_fma_f64 v[94:95], -v[40:41], v[92:93], 1.0
	s_delay_alu instid0(VALU_DEP_1) | instskip(SKIP_1) | instid1(VALU_DEP_1)
	v_fmac_f64_e32 v[92:93], v[92:93], v[94:95]
	v_div_scale_f64 v[94:95], vcc_lo, 1.0, v[38:39], 1.0
	v_mul_f64_e32 v[96:97], v[94:95], v[92:93]
	s_delay_alu instid0(VALU_DEP_1) | instskip(NEXT) | instid1(VALU_DEP_1)
	v_fma_f64 v[40:41], -v[40:41], v[96:97], v[94:95]
	v_div_fmas_f64 v[40:41], v[40:41], v[92:93], v[96:97]
	s_delay_alu instid0(VALU_DEP_1)
	v_div_fixup_f64 v[38:39], v[40:41], v[38:39], 1.0
	ds_store_b64 v85, v[38:39]
.LBB30_32:                              ;   in Loop: Header=BB30_3 Depth=1
	s_or_b32 exec_lo, exec_lo, s84
.LBB30_33:                              ;   in Loop: Header=BB30_3 Depth=1
	s_and_not1_saveexec_b32 s65, s65
	s_cbranch_execz .LBB30_35
; %bb.34:                               ;   in Loop: Header=BB30_3 Depth=1
	v_lshl_add_u64 v[38:39], v[14:15], 3, s[82:83]
	global_load_b64 v[38:39], v[38:39], off
	s_wait_loadcnt 0x0
	v_xor_b32_e32 v39, 0x80000000, v39
	ds_store_b64 v85, v[38:39]
.LBB30_35:                              ;   in Loop: Header=BB30_3 Depth=1
	s_or_b32 exec_lo, exec_lo, s65
	v_readlane_b32 s65, v101, 14
	s_and_saveexec_b32 s47, s65
	s_delay_alu instid0(SALU_CYCLE_1)
	s_xor_b32 s65, exec_lo, s47
	s_cbranch_execz .LBB30_43
; %bb.36:                               ;   in Loop: Header=BB30_3 Depth=1
	v_readlane_b32 s84, v101, 20
	s_and_saveexec_b32 s47, s84
	s_delay_alu instid0(SALU_CYCLE_1)
	s_xor_b32 s84, exec_lo, s47
	s_cbranch_execz .LBB30_40
; %bb.37:                               ;   in Loop: Header=BB30_3 Depth=1
	s_mov_b32 s47, exec_lo
	v_readlane_b32 s85, v100, 28
	s_and_b32 s85, s47, s85
	s_delay_alu instid0(SALU_CYCLE_1)
	s_mov_b32 exec_lo, s85
; %bb.38:                               ;   in Loop: Header=BB30_3 Depth=1
	ds_store_b64 v77, v[24:25]
; %bb.39:                               ;   in Loop: Header=BB30_3 Depth=1
	s_or_b32 exec_lo, exec_lo, s47
.LBB30_40:                              ;   in Loop: Header=BB30_3 Depth=1
	s_and_not1_saveexec_b32 s84, s84
	s_cbranch_execz .LBB30_42
; %bb.41:                               ;   in Loop: Header=BB30_3 Depth=1
	v_lshl_add_u64 v[38:39], v[16:17], 3, s[82:83]
	global_load_b64 v[38:39], v[38:39], off
	s_wait_loadcnt 0x0
	v_div_scale_f64 v[40:41], null, v[38:39], v[38:39], 1.0
	s_delay_alu instid0(VALU_DEP_1) | instskip(SKIP_1) | instid1(TRANS32_DEP_1)
	v_rcp_f64_e32 v[92:93], v[40:41]
	v_nop
	v_fma_f64 v[94:95], -v[40:41], v[92:93], 1.0
	s_delay_alu instid0(VALU_DEP_1) | instskip(NEXT) | instid1(VALU_DEP_1)
	v_fmac_f64_e32 v[92:93], v[92:93], v[94:95]
	v_fma_f64 v[94:95], -v[40:41], v[92:93], 1.0
	s_delay_alu instid0(VALU_DEP_1) | instskip(SKIP_1) | instid1(VALU_DEP_1)
	v_fmac_f64_e32 v[92:93], v[92:93], v[94:95]
	v_div_scale_f64 v[94:95], vcc_lo, 1.0, v[38:39], 1.0
	v_mul_f64_e32 v[96:97], v[94:95], v[92:93]
	s_delay_alu instid0(VALU_DEP_1) | instskip(NEXT) | instid1(VALU_DEP_1)
	v_fma_f64 v[40:41], -v[40:41], v[96:97], v[94:95]
	v_div_fmas_f64 v[40:41], v[40:41], v[92:93], v[96:97]
	s_delay_alu instid0(VALU_DEP_1)
	v_div_fixup_f64 v[38:39], v[40:41], v[38:39], 1.0
	ds_store_b64 v77, v[38:39]
.LBB30_42:                              ;   in Loop: Header=BB30_3 Depth=1
	s_or_b32 exec_lo, exec_lo, s84
.LBB30_43:                              ;   in Loop: Header=BB30_3 Depth=1
	s_and_not1_saveexec_b32 s65, s65
	s_cbranch_execz .LBB30_45
; %bb.44:                               ;   in Loop: Header=BB30_3 Depth=1
	v_lshl_add_u64 v[38:39], v[16:17], 3, s[82:83]
	global_load_b64 v[38:39], v[38:39], off
	s_wait_loadcnt 0x0
	v_xor_b32_e32 v39, 0x80000000, v39
	ds_store_b64 v77, v[38:39]
.LBB30_45:                              ;   in Loop: Header=BB30_3 Depth=1
	s_or_b32 exec_lo, exec_lo, s65
	v_readlane_b32 s65, v101, 15
	s_and_saveexec_b32 s47, s65
	s_delay_alu instid0(SALU_CYCLE_1)
	s_xor_b32 s65, exec_lo, s47
	s_cbranch_execz .LBB30_53
; %bb.46:                               ;   in Loop: Header=BB30_3 Depth=1
	v_readlane_b32 s84, v101, 22
	s_and_saveexec_b32 s47, s84
	s_delay_alu instid0(SALU_CYCLE_1)
	s_xor_b32 s84, exec_lo, s47
	s_cbranch_execz .LBB30_50
; %bb.47:                               ;   in Loop: Header=BB30_3 Depth=1
	s_mov_b32 s47, exec_lo
	v_readlane_b32 s85, v100, 29
	s_and_b32 s85, s47, s85
	s_delay_alu instid0(SALU_CYCLE_1)
	s_mov_b32 exec_lo, s85
; %bb.48:                               ;   in Loop: Header=BB30_3 Depth=1
	ds_store_b64 v80, v[24:25]
; %bb.49:                               ;   in Loop: Header=BB30_3 Depth=1
	s_or_b32 exec_lo, exec_lo, s47
.LBB30_50:                              ;   in Loop: Header=BB30_3 Depth=1
	s_and_not1_saveexec_b32 s84, s84
	s_cbranch_execz .LBB30_52
; %bb.51:                               ;   in Loop: Header=BB30_3 Depth=1
	v_lshl_add_u64 v[38:39], v[18:19], 3, s[82:83]
	global_load_b64 v[38:39], v[38:39], off
	s_wait_loadcnt 0x0
	v_div_scale_f64 v[40:41], null, v[38:39], v[38:39], 1.0
	s_delay_alu instid0(VALU_DEP_1) | instskip(SKIP_1) | instid1(TRANS32_DEP_1)
	v_rcp_f64_e32 v[92:93], v[40:41]
	v_nop
	v_fma_f64 v[94:95], -v[40:41], v[92:93], 1.0
	s_delay_alu instid0(VALU_DEP_1) | instskip(NEXT) | instid1(VALU_DEP_1)
	v_fmac_f64_e32 v[92:93], v[92:93], v[94:95]
	v_fma_f64 v[94:95], -v[40:41], v[92:93], 1.0
	s_delay_alu instid0(VALU_DEP_1) | instskip(SKIP_1) | instid1(VALU_DEP_1)
	v_fmac_f64_e32 v[92:93], v[92:93], v[94:95]
	v_div_scale_f64 v[94:95], vcc_lo, 1.0, v[38:39], 1.0
	v_mul_f64_e32 v[96:97], v[94:95], v[92:93]
	s_delay_alu instid0(VALU_DEP_1) | instskip(NEXT) | instid1(VALU_DEP_1)
	v_fma_f64 v[40:41], -v[40:41], v[96:97], v[94:95]
	v_div_fmas_f64 v[40:41], v[40:41], v[92:93], v[96:97]
	s_delay_alu instid0(VALU_DEP_1)
	v_div_fixup_f64 v[38:39], v[40:41], v[38:39], 1.0
	ds_store_b64 v80, v[38:39]
.LBB30_52:                              ;   in Loop: Header=BB30_3 Depth=1
	s_or_b32 exec_lo, exec_lo, s84
.LBB30_53:                              ;   in Loop: Header=BB30_3 Depth=1
	s_and_not1_saveexec_b32 s65, s65
	s_cbranch_execz .LBB30_55
; %bb.54:                               ;   in Loop: Header=BB30_3 Depth=1
	v_lshl_add_u64 v[38:39], v[18:19], 3, s[82:83]
	global_load_b64 v[38:39], v[38:39], off
	s_wait_loadcnt 0x0
	v_xor_b32_e32 v39, 0x80000000, v39
	ds_store_b64 v80, v[38:39]
.LBB30_55:                              ;   in Loop: Header=BB30_3 Depth=1
	s_or_b32 exec_lo, exec_lo, s65
	v_readlane_b32 s65, v101, 16
	s_and_saveexec_b32 s47, s65
	s_delay_alu instid0(SALU_CYCLE_1)
	s_xor_b32 s65, exec_lo, s47
	s_cbranch_execz .LBB30_63
; %bb.56:                               ;   in Loop: Header=BB30_3 Depth=1
	v_readlane_b32 s84, v101, 24
	s_and_saveexec_b32 s47, s84
	s_delay_alu instid0(SALU_CYCLE_1)
	s_xor_b32 s84, exec_lo, s47
	s_cbranch_execz .LBB30_60
; %bb.57:                               ;   in Loop: Header=BB30_3 Depth=1
	s_mov_b32 s47, exec_lo
	v_readlane_b32 s85, v100, 30
	s_and_b32 s85, s47, s85
	s_delay_alu instid0(SALU_CYCLE_1)
	s_mov_b32 exec_lo, s85
; %bb.58:                               ;   in Loop: Header=BB30_3 Depth=1
	ds_store_b64 v81, v[24:25]
; %bb.59:                               ;   in Loop: Header=BB30_3 Depth=1
	s_or_b32 exec_lo, exec_lo, s47
.LBB30_60:                              ;   in Loop: Header=BB30_3 Depth=1
	s_and_not1_saveexec_b32 s84, s84
	s_cbranch_execz .LBB30_62
; %bb.61:                               ;   in Loop: Header=BB30_3 Depth=1
	v_lshl_add_u64 v[38:39], v[20:21], 3, s[82:83]
	global_load_b64 v[38:39], v[38:39], off
	s_wait_loadcnt 0x0
	v_div_scale_f64 v[40:41], null, v[38:39], v[38:39], 1.0
	s_delay_alu instid0(VALU_DEP_1) | instskip(SKIP_1) | instid1(TRANS32_DEP_1)
	v_rcp_f64_e32 v[92:93], v[40:41]
	v_nop
	v_fma_f64 v[94:95], -v[40:41], v[92:93], 1.0
	s_delay_alu instid0(VALU_DEP_1) | instskip(NEXT) | instid1(VALU_DEP_1)
	v_fmac_f64_e32 v[92:93], v[92:93], v[94:95]
	v_fma_f64 v[94:95], -v[40:41], v[92:93], 1.0
	s_delay_alu instid0(VALU_DEP_1) | instskip(SKIP_1) | instid1(VALU_DEP_1)
	v_fmac_f64_e32 v[92:93], v[92:93], v[94:95]
	v_div_scale_f64 v[94:95], vcc_lo, 1.0, v[38:39], 1.0
	v_mul_f64_e32 v[96:97], v[94:95], v[92:93]
	s_delay_alu instid0(VALU_DEP_1) | instskip(NEXT) | instid1(VALU_DEP_1)
	v_fma_f64 v[40:41], -v[40:41], v[96:97], v[94:95]
	v_div_fmas_f64 v[40:41], v[40:41], v[92:93], v[96:97]
	s_delay_alu instid0(VALU_DEP_1)
	v_div_fixup_f64 v[38:39], v[40:41], v[38:39], 1.0
	ds_store_b64 v81, v[38:39]
.LBB30_62:                              ;   in Loop: Header=BB30_3 Depth=1
	s_or_b32 exec_lo, exec_lo, s84
.LBB30_63:                              ;   in Loop: Header=BB30_3 Depth=1
	s_and_not1_saveexec_b32 s65, s65
	s_cbranch_execz .LBB30_65
; %bb.64:                               ;   in Loop: Header=BB30_3 Depth=1
	v_lshl_add_u64 v[38:39], v[20:21], 3, s[82:83]
	global_load_b64 v[38:39], v[38:39], off
	s_wait_loadcnt 0x0
	v_xor_b32_e32 v39, 0x80000000, v39
	ds_store_b64 v81, v[38:39]
.LBB30_65:                              ;   in Loop: Header=BB30_3 Depth=1
	s_or_b32 exec_lo, exec_lo, s65
.LBB30_66:                              ;   in Loop: Header=BB30_3 Depth=1
	s_delay_alu instid0(SALU_CYCLE_1)
	s_and_not1_b32 vcc_lo, exec_lo, s91
	s_wait_loadcnt_dscnt 0x0
	s_barrier_signal -1
	s_barrier_wait -1
	s_cbranch_vccnz .LBB30_996
; %bb.67:                               ;   in Loop: Header=BB30_3 Depth=1
	s_and_saveexec_b32 s65, s14
	s_cbranch_execz .LBB30_69
; %bb.68:                               ;   in Loop: Header=BB30_3 Depth=1
	ds_load_b128 v[38:41], v3 offset:32752
	ds_load_b64 v[92:93], v3 offset:32240
	v_add_nc_u32_e64 v2, 0x7800, 0
	s_wait_dscnt 0x0
	v_mul_f64_e32 v[40:41], v[92:93], v[40:41]
	s_delay_alu instid0(VALU_DEP_1)
	v_mul_f64_e32 v[38:39], v[38:39], v[40:41]
	ds_store_2addr_b64 v2, v[38:39], v[38:39] offset0:191 offset1:254
.LBB30_69:                              ;   in Loop: Header=BB30_3 Depth=1
	s_or_b32 exec_lo, exec_lo, s65
	v_mov_b64_e32 v[38:39], 0
	s_wait_dscnt 0x0
	s_barrier_signal -1
	s_barrier_wait -1
	global_wb scope:SCOPE_DEV
	s_wait_storecnt 0x0
	global_inv scope:SCOPE_DEV
	s_and_saveexec_b32 s65, s0
	s_cbranch_execz .LBB30_73
; %bb.70:                               ;   in Loop: Header=BB30_3 Depth=1
	ds_load_b64 v[38:39], v45 offset:32224
	ds_load_b64 v[40:41], v44 offset:32752
	s_wait_dscnt 0x0
	v_fma_f64 v[38:39], v[38:39], v[40:41], 0
	s_and_saveexec_b32 s47, s15
	s_cbranch_execz .LBB30_72
; %bb.71:                               ;   in Loop: Header=BB30_3 Depth=1
	ds_load_b64 v[40:41], v46 offset:32736
	ds_load_b64 v[92:93], v3 offset:32760
	s_wait_dscnt 0x0
	v_fmac_f64_e32 v[38:39], v[40:41], v[92:93]
.LBB30_72:                              ;   in Loop: Header=BB30_3 Depth=1
	s_or_b32 exec_lo, exec_lo, s47
.LBB30_73:                              ;   in Loop: Header=BB30_3 Depth=1
	s_delay_alu instid0(SALU_CYCLE_1)
	s_or_b32 exec_lo, exec_lo, s65
	s_and_saveexec_b32 s65, s92
	s_cbranch_execz .LBB30_75
; %bb.74:                               ;   in Loop: Header=BB30_3 Depth=1
	ds_load_b64 v[40:41], v3 offset:31720
	s_wait_dscnt 0x0
	v_mul_f64_e32 v[38:39], v[38:39], v[40:41]
	s_delay_alu instid0(VALU_DEP_1) | instskip(NEXT) | instid1(VALU_DEP_2)
	v_xor_b32_e32 v41, 0x80000000, v39
	v_mov_b32_e32 v40, v38
	ds_store_b64 v5, v[40:41]
.LBB30_75:                              ;   in Loop: Header=BB30_3 Depth=1
	s_or_b32 exec_lo, exec_lo, s65
	s_wait_loadcnt_dscnt 0x0
	s_barrier_signal -1
	s_barrier_wait -1
	s_and_saveexec_b32 s47, s93
	s_cbranch_execz .LBB30_77
; %bb.76:                               ;   in Loop: Header=BB30_3 Depth=1
	ds_load_b64 v[40:41], v3 offset:31712
	ds_load_b64 v[92:93], v5
	s_wait_dscnt 0x0
	v_fma_f64 v[38:39], -v[40:41], v[92:93], v[38:39]
.LBB30_77:                              ;   in Loop: Header=BB30_3 Depth=1
	s_or_b32 exec_lo, exec_lo, s47
	s_barrier_signal -1
	s_barrier_wait -1
	s_and_saveexec_b32 s65, s93
	s_cbranch_execz .LBB30_79
; %bb.78:                               ;   in Loop: Header=BB30_3 Depth=1
	ds_load_b64 v[40:41], v3 offset:31200
	s_wait_dscnt 0x0
	v_mul_f64_e32 v[38:39], v[38:39], v[40:41]
	s_delay_alu instid0(VALU_DEP_1) | instskip(NEXT) | instid1(VALU_DEP_2)
	v_xor_b32_e32 v41, 0x80000000, v39
	v_mov_b32_e32 v40, v38
	ds_store_b64 v5, v[40:41]
.LBB30_79:                              ;   in Loop: Header=BB30_3 Depth=1
	s_or_b32 exec_lo, exec_lo, s65
	s_wait_dscnt 0x0
	s_barrier_signal -1
	s_barrier_wait -1
	s_barrier_signal -1
	s_barrier_wait -1
	s_and_saveexec_b32 s47, s0
; %bb.80:                               ;   in Loop: Header=BB30_3 Depth=1
	ds_store_b64 v47, v[38:39] offset:32736
; %bb.81:                               ;   in Loop: Header=BB30_3 Depth=1
	s_or_b32 exec_lo, exec_lo, s47
	s_wait_dscnt 0x0
	s_barrier_signal -1
	s_barrier_wait -1
	s_barrier_signal -1
	s_barrier_wait -1
	s_and_saveexec_b32 s47, s94
	s_cbranch_execz .LBB30_83
; %bb.82:                               ;   in Loop: Header=BB30_3 Depth=1
	ds_load_b64 v[38:39], v48 offset:32224
	s_wait_dscnt 0x0
	ds_store_b64 v46, v[38:39] offset:31216
	ds_load_b64 v[38:39], v48 offset:32232
	s_wait_dscnt 0x0
	ds_store_b64 v46, v[38:39] offset:31728
.LBB30_83:                              ;   in Loop: Header=BB30_3 Depth=1
	s_or_b32 exec_lo, exec_lo, s47
	s_wait_dscnt 0x0
	s_barrier_signal -1
	s_barrier_wait -1
	s_and_saveexec_b32 s65, s14
	s_cbranch_execz .LBB30_85
; %bb.84:                               ;   in Loop: Header=BB30_3 Depth=1
	ds_load_b128 v[38:41], v3 offset:31712
	ds_load_b64 v[92:93], v3 offset:31200
	v_add_nc_u32_e64 v2, 0x7800, 0
	s_wait_dscnt 0x0
	v_mul_f64_e32 v[40:41], v[92:93], v[40:41]
	s_delay_alu instid0(VALU_DEP_1)
	v_mul_f64_e32 v[38:39], v[38:39], v[40:41]
	ds_store_2addr_b64 v2, v[38:39], v[38:39] offset0:61 offset1:124
.LBB30_85:                              ;   in Loop: Header=BB30_3 Depth=1
	s_or_b32 exec_lo, exec_lo, s65
	v_mov_b64_e32 v[38:39], 0
	s_wait_dscnt 0x0
	s_barrier_signal -1
	s_barrier_wait -1
	global_wb scope:SCOPE_DEV
	s_wait_storecnt 0x0
	global_inv scope:SCOPE_DEV
	s_and_saveexec_b32 s65, s2
	s_cbranch_execz .LBB30_91
; %bb.86:                               ;   in Loop: Header=BB30_3 Depth=1
	ds_load_b64 v[38:39], v51 offset:31168
	ds_load_b64 v[40:41], v50 offset:32736
	s_wait_dscnt 0x0
	v_fma_f64 v[38:39], v[38:39], v[40:41], 0
	s_and_saveexec_b32 s47, s16
	s_cbranch_execnz .LBB30_1099
; %bb.87:                               ;   in Loop: Header=BB30_3 Depth=1
	s_or_b32 exec_lo, exec_lo, s47
	s_and_saveexec_b32 s47, s17
	s_cbranch_execnz .LBB30_1100
.LBB30_88:                              ;   in Loop: Header=BB30_3 Depth=1
	s_or_b32 exec_lo, exec_lo, s47
	s_and_saveexec_b32 s47, s0
	s_cbranch_execz .LBB30_90
.LBB30_89:                              ;   in Loop: Header=BB30_3 Depth=1
	ds_load_b64 v[40:41], v65 offset:32704
	ds_load_b64 v[92:93], v3 offset:32760
	s_wait_dscnt 0x0
	v_fmac_f64_e32 v[38:39], v[40:41], v[92:93]
.LBB30_90:                              ;   in Loop: Header=BB30_3 Depth=1
	s_or_b32 exec_lo, exec_lo, s47
.LBB30_91:                              ;   in Loop: Header=BB30_3 Depth=1
	s_delay_alu instid0(SALU_CYCLE_1)
	s_or_b32 exec_lo, exec_lo, s65
	s_and_saveexec_b32 s65, s95
	s_cbranch_execz .LBB30_93
; %bb.92:                               ;   in Loop: Header=BB30_3 Depth=1
	ds_load_b64 v[40:41], v3 offset:30680
	s_wait_dscnt 0x0
	v_mul_f64_e32 v[38:39], v[38:39], v[40:41]
	s_delay_alu instid0(VALU_DEP_1) | instskip(NEXT) | instid1(VALU_DEP_2)
	v_xor_b32_e32 v41, 0x80000000, v39
	v_mov_b32_e32 v40, v38
	ds_store_b64 v49, v[40:41]
.LBB30_93:                              ;   in Loop: Header=BB30_3 Depth=1
	s_or_b32 exec_lo, exec_lo, s65
	s_wait_loadcnt_dscnt 0x0
	s_barrier_signal -1
	s_barrier_wait -1
	s_and_saveexec_b32 s47, s96
	s_cbranch_execz .LBB30_95
; %bb.94:                               ;   in Loop: Header=BB30_3 Depth=1
	ds_load_b64 v[40:41], v51 offset:30656
	ds_load_b64 v[92:93], v49
	s_wait_dscnt 0x0
	v_fma_f64 v[38:39], -v[40:41], v[92:93], v[38:39]
.LBB30_95:                              ;   in Loop: Header=BB30_3 Depth=1
	s_or_b32 exec_lo, exec_lo, s47
	s_barrier_signal -1
	s_barrier_wait -1
	s_and_saveexec_b32 s65, s97
	s_cbranch_execz .LBB30_97
; %bb.96:                               ;   in Loop: Header=BB30_3 Depth=1
	ds_load_b64 v[40:41], v3 offset:30160
	s_wait_dscnt 0x0
	v_mul_f64_e32 v[38:39], v[38:39], v[40:41]
	s_delay_alu instid0(VALU_DEP_1) | instskip(NEXT) | instid1(VALU_DEP_2)
	v_xor_b32_e32 v41, 0x80000000, v39
	v_mov_b32_e32 v40, v38
	ds_store_b64 v49, v[40:41]
.LBB30_97:                              ;   in Loop: Header=BB30_3 Depth=1
	s_or_b32 exec_lo, exec_lo, s65
	s_wait_dscnt 0x0
	s_barrier_signal -1
	s_barrier_wait -1
	s_and_saveexec_b32 s47, s98
	s_cbranch_execz .LBB30_99
; %bb.98:                               ;   in Loop: Header=BB30_3 Depth=1
	ds_load_b64 v[40:41], v51 offset:30144
	ds_load_b64 v[92:93], v49
	s_wait_dscnt 0x0
	v_fma_f64 v[38:39], -v[40:41], v[92:93], v[38:39]
.LBB30_99:                              ;   in Loop: Header=BB30_3 Depth=1
	s_or_b32 exec_lo, exec_lo, s47
	s_barrier_signal -1
	s_barrier_wait -1
	s_and_saveexec_b32 s65, s99
	s_cbranch_execz .LBB30_101
; %bb.100:                              ;   in Loop: Header=BB30_3 Depth=1
	ds_load_b64 v[40:41], v3 offset:29640
	s_wait_dscnt 0x0
	v_mul_f64_e32 v[38:39], v[38:39], v[40:41]
	s_delay_alu instid0(VALU_DEP_1) | instskip(NEXT) | instid1(VALU_DEP_2)
	v_xor_b32_e32 v41, 0x80000000, v39
	v_mov_b32_e32 v40, v38
	ds_store_b64 v49, v[40:41]
.LBB30_101:                             ;   in Loop: Header=BB30_3 Depth=1
	s_or_b32 exec_lo, exec_lo, s65
	s_wait_dscnt 0x0
	s_barrier_signal -1
	s_barrier_wait -1
	s_and_saveexec_b32 s47, s100
	s_cbranch_execz .LBB30_103
; %bb.102:                              ;   in Loop: Header=BB30_3 Depth=1
	ds_load_b64 v[40:41], v3 offset:29632
	ds_load_b64 v[92:93], v49
	s_wait_dscnt 0x0
	v_fma_f64 v[38:39], -v[40:41], v[92:93], v[38:39]
.LBB30_103:                             ;   in Loop: Header=BB30_3 Depth=1
	s_or_b32 exec_lo, exec_lo, s47
	s_barrier_signal -1
	s_barrier_wait -1
	s_and_saveexec_b32 s65, s100
	s_cbranch_execz .LBB30_105
; %bb.104:                              ;   in Loop: Header=BB30_3 Depth=1
	ds_load_b64 v[40:41], v3 offset:29120
	s_wait_dscnt 0x0
	v_mul_f64_e32 v[38:39], v[38:39], v[40:41]
	s_delay_alu instid0(VALU_DEP_1) | instskip(NEXT) | instid1(VALU_DEP_2)
	v_xor_b32_e32 v41, 0x80000000, v39
	v_mov_b32_e32 v40, v38
	ds_store_b64 v49, v[40:41]
.LBB30_105:                             ;   in Loop: Header=BB30_3 Depth=1
	s_or_b32 exec_lo, exec_lo, s65
	s_wait_dscnt 0x0
	s_barrier_signal -1
	s_barrier_wait -1
	s_barrier_signal -1
	s_barrier_wait -1
	s_and_saveexec_b32 s47, s2
; %bb.106:                              ;   in Loop: Header=BB30_3 Depth=1
	ds_store_b64 v52, v[38:39] offset:32704
; %bb.107:                              ;   in Loop: Header=BB30_3 Depth=1
	s_or_b32 exec_lo, exec_lo, s47
	s_wait_dscnt 0x0
	s_barrier_signal -1
	s_barrier_wait -1
	s_barrier_signal -1
	s_barrier_wait -1
	s_and_saveexec_b32 s65, s101
	s_cbranch_execz .LBB30_109
; %bb.108:                              ;   in Loop: Header=BB30_3 Depth=1
	ds_load_b64 v[38:39], v68 offset:31168
	s_wait_dscnt 0x0
	ds_store_b64 v69, v[38:39] offset:29152
	ds_load_b64 v[38:39], v68 offset:31176
	s_wait_dscnt 0x0
	ds_store_b64 v69, v[38:39] offset:29664
	;; [unrolled: 3-line block ×4, first 2 shown]
.LBB30_109:                             ;   in Loop: Header=BB30_3 Depth=1
	s_or_b32 exec_lo, exec_lo, s65
	s_wait_dscnt 0x0
	s_barrier_signal -1
	s_barrier_wait -1
	s_and_saveexec_b32 s65, s14
	s_cbranch_execz .LBB30_111
; %bb.110:                              ;   in Loop: Header=BB30_3 Depth=1
	ds_load_b128 v[38:41], v3 offset:30672
	ds_load_b64 v[92:93], v3 offset:30160
	v_add_nc_u32_e64 v2, 0x7000, 0
	s_wait_dscnt 0x0
	v_mul_f64_e32 v[40:41], v[92:93], v[40:41]
	s_delay_alu instid0(VALU_DEP_1)
	v_mul_f64_e32 v[38:39], v[38:39], v[40:41]
	ds_store_2addr_b64 v2, v[38:39], v[38:39] offset0:187 offset1:250
.LBB30_111:                             ;   in Loop: Header=BB30_3 Depth=1
	s_or_b32 exec_lo, exec_lo, s65
	v_mov_b64_e32 v[38:39], 0
	s_wait_dscnt 0x0
	s_barrier_signal -1
	s_barrier_wait -1
	global_wb scope:SCOPE_DEV
	s_wait_storecnt 0x0
	global_inv scope:SCOPE_DEV
	s_and_saveexec_b32 s65, s0
	s_cbranch_execz .LBB30_115
; %bb.112:                              ;   in Loop: Header=BB30_3 Depth=1
	ds_load_b64 v[38:39], v45 offset:30144
	ds_load_b64 v[40:41], v44 offset:30672
	s_wait_dscnt 0x0
	v_fma_f64 v[38:39], v[38:39], v[40:41], 0
	s_and_saveexec_b32 s47, s15
	s_cbranch_execz .LBB30_114
; %bb.113:                              ;   in Loop: Header=BB30_3 Depth=1
	ds_load_b64 v[40:41], v69 offset:30656
	ds_load_b64 v[92:93], v3 offset:30680
	s_wait_dscnt 0x0
	v_fmac_f64_e32 v[38:39], v[40:41], v[92:93]
.LBB30_114:                             ;   in Loop: Header=BB30_3 Depth=1
	s_or_b32 exec_lo, exec_lo, s47
.LBB30_115:                             ;   in Loop: Header=BB30_3 Depth=1
	s_delay_alu instid0(SALU_CYCLE_1)
	s_or_b32 exec_lo, exec_lo, s65
	s_and_saveexec_b32 s65, s92
	s_cbranch_execz .LBB30_117
; %bb.116:                              ;   in Loop: Header=BB30_3 Depth=1
	ds_load_b64 v[40:41], v3 offset:29640
	s_wait_dscnt 0x0
	v_mul_f64_e32 v[38:39], v[38:39], v[40:41]
	s_delay_alu instid0(VALU_DEP_1) | instskip(NEXT) | instid1(VALU_DEP_2)
	v_xor_b32_e32 v41, 0x80000000, v39
	v_mov_b32_e32 v40, v38
	ds_store_b64 v5, v[40:41]
.LBB30_117:                             ;   in Loop: Header=BB30_3 Depth=1
	s_or_b32 exec_lo, exec_lo, s65
	s_wait_loadcnt_dscnt 0x0
	s_barrier_signal -1
	s_barrier_wait -1
	s_and_saveexec_b32 s47, s93
	s_cbranch_execz .LBB30_119
; %bb.118:                              ;   in Loop: Header=BB30_3 Depth=1
	ds_load_b64 v[40:41], v3 offset:29632
	ds_load_b64 v[92:93], v5
	s_wait_dscnt 0x0
	v_fma_f64 v[38:39], -v[40:41], v[92:93], v[38:39]
.LBB30_119:                             ;   in Loop: Header=BB30_3 Depth=1
	s_or_b32 exec_lo, exec_lo, s47
	s_barrier_signal -1
	s_barrier_wait -1
	s_and_saveexec_b32 s65, s93
	s_cbranch_execz .LBB30_121
; %bb.120:                              ;   in Loop: Header=BB30_3 Depth=1
	ds_load_b64 v[40:41], v3 offset:29120
	s_wait_dscnt 0x0
	v_mul_f64_e32 v[38:39], v[38:39], v[40:41]
	s_delay_alu instid0(VALU_DEP_1) | instskip(NEXT) | instid1(VALU_DEP_2)
	v_xor_b32_e32 v41, 0x80000000, v39
	v_mov_b32_e32 v40, v38
	ds_store_b64 v5, v[40:41]
.LBB30_121:                             ;   in Loop: Header=BB30_3 Depth=1
	s_or_b32 exec_lo, exec_lo, s65
	s_wait_dscnt 0x0
	s_barrier_signal -1
	s_barrier_wait -1
	s_barrier_signal -1
	s_barrier_wait -1
	s_and_saveexec_b32 s47, s0
; %bb.122:                              ;   in Loop: Header=BB30_3 Depth=1
	ds_store_b64 v47, v[38:39] offset:30656
; %bb.123:                              ;   in Loop: Header=BB30_3 Depth=1
	s_or_b32 exec_lo, exec_lo, s47
	s_wait_dscnt 0x0
	s_barrier_signal -1
	s_barrier_wait -1
	s_barrier_signal -1
	s_barrier_wait -1
	s_and_saveexec_b32 s47, s94
	s_cbranch_execz .LBB30_125
; %bb.124:                              ;   in Loop: Header=BB30_3 Depth=1
	ds_load_b64 v[38:39], v70 offset:30144
	s_wait_dscnt 0x0
	ds_store_b64 v69, v[38:39] offset:29136
	ds_load_b64 v[38:39], v70 offset:30152
	s_wait_dscnt 0x0
	ds_store_b64 v69, v[38:39] offset:29648
.LBB30_125:                             ;   in Loop: Header=BB30_3 Depth=1
	s_or_b32 exec_lo, exec_lo, s47
	s_wait_dscnt 0x0
	s_barrier_signal -1
	s_barrier_wait -1
	s_and_saveexec_b32 s65, s14
	s_cbranch_execz .LBB30_127
; %bb.126:                              ;   in Loop: Header=BB30_3 Depth=1
	ds_load_b128 v[38:41], v3 offset:29632
	ds_load_b64 v[92:93], v3 offset:29120
	v_add_nc_u32_e64 v2, 0x7000, 0
	s_wait_dscnt 0x0
	v_mul_f64_e32 v[40:41], v[92:93], v[40:41]
	s_delay_alu instid0(VALU_DEP_1)
	v_mul_f64_e32 v[38:39], v[38:39], v[40:41]
	ds_store_2addr_b64 v2, v[38:39], v[38:39] offset0:57 offset1:120
.LBB30_127:                             ;   in Loop: Header=BB30_3 Depth=1
	s_or_b32 exec_lo, exec_lo, s65
	v_mov_b64_e32 v[38:39], 0
	s_wait_dscnt 0x0
	s_barrier_signal -1
	s_barrier_wait -1
	global_wb scope:SCOPE_DEV
	s_wait_storecnt 0x0
	global_inv scope:SCOPE_DEV
	s_and_saveexec_b32 s65, s3
	s_cbranch_execz .LBB30_137
; %bb.128:                              ;   in Loop: Header=BB30_3 Depth=1
	ds_load_b64 v[38:39], v55 offset:29056
	ds_load_b64 v[40:41], v54 offset:32704
	s_wait_dscnt 0x0
	v_fma_f64 v[38:39], v[38:39], v[40:41], 0
	s_and_saveexec_b32 s47, s18
	s_cbranch_execnz .LBB30_1101
; %bb.129:                              ;   in Loop: Header=BB30_3 Depth=1
	s_or_b32 exec_lo, exec_lo, s47
	s_and_saveexec_b32 s47, s19
	s_cbranch_execnz .LBB30_1102
.LBB30_130:                             ;   in Loop: Header=BB30_3 Depth=1
	s_or_b32 exec_lo, exec_lo, s47
	s_and_saveexec_b32 s47, s20
	s_cbranch_execnz .LBB30_1103
.LBB30_131:                             ;   in Loop: Header=BB30_3 Depth=1
	s_or_b32 exec_lo, exec_lo, s47
	s_and_saveexec_b32 s47, s21
	s_cbranch_execnz .LBB30_1104
.LBB30_132:                             ;   in Loop: Header=BB30_3 Depth=1
	s_or_b32 exec_lo, exec_lo, s47
	s_and_saveexec_b32 s47, s22
	s_cbranch_execnz .LBB30_1105
.LBB30_133:                             ;   in Loop: Header=BB30_3 Depth=1
	s_or_b32 exec_lo, exec_lo, s47
	s_and_saveexec_b32 s47, s2
	s_cbranch_execnz .LBB30_1106
.LBB30_134:                             ;   in Loop: Header=BB30_3 Depth=1
	s_or_b32 exec_lo, exec_lo, s47
	s_and_saveexec_b32 s47, s17
	s_cbranch_execz .LBB30_136
.LBB30_135:                             ;   in Loop: Header=BB30_3 Depth=1
	ds_load_b64 v[40:41], v71 offset:32640
	ds_load_b64 v[92:93], v3 offset:32760
	s_wait_dscnt 0x0
	v_fmac_f64_e32 v[38:39], v[40:41], v[92:93]
.LBB30_136:                             ;   in Loop: Header=BB30_3 Depth=1
	s_or_b32 exec_lo, exec_lo, s47
.LBB30_137:                             ;   in Loop: Header=BB30_3 Depth=1
	s_delay_alu instid0(SALU_CYCLE_1)
	s_or_b32 exec_lo, exec_lo, s65
	s_and_saveexec_b32 s65, s102
	s_cbranch_execz .LBB30_139
; %bb.138:                              ;   in Loop: Header=BB30_3 Depth=1
	ds_load_b64 v[40:41], v3 offset:28600
	s_wait_dscnt 0x0
	v_mul_f64_e32 v[38:39], v[38:39], v[40:41]
	s_delay_alu instid0(VALU_DEP_1) | instskip(NEXT) | instid1(VALU_DEP_2)
	v_xor_b32_e32 v41, 0x80000000, v39
	v_mov_b32_e32 v40, v38
	ds_store_b64 v53, v[40:41]
.LBB30_139:                             ;   in Loop: Header=BB30_3 Depth=1
	s_or_b32 exec_lo, exec_lo, s65
	s_wait_loadcnt_dscnt 0x0
	s_barrier_signal -1
	s_barrier_wait -1
	s_and_saveexec_b32 s47, s103
	s_cbranch_execz .LBB30_141
; %bb.140:                              ;   in Loop: Header=BB30_3 Depth=1
	ds_load_b64 v[40:41], v55 offset:28544
	ds_load_b64 v[92:93], v53
	s_wait_dscnt 0x0
	v_fma_f64 v[38:39], -v[40:41], v[92:93], v[38:39]
.LBB30_141:                             ;   in Loop: Header=BB30_3 Depth=1
	s_or_b32 exec_lo, exec_lo, s47
	s_barrier_signal -1
	s_barrier_wait -1
	s_and_saveexec_b32 s65, s104
	s_cbranch_execz .LBB30_143
; %bb.142:                              ;   in Loop: Header=BB30_3 Depth=1
	ds_load_b64 v[40:41], v3 offset:28080
	s_wait_dscnt 0x0
	v_mul_f64_e32 v[38:39], v[38:39], v[40:41]
	s_delay_alu instid0(VALU_DEP_1) | instskip(NEXT) | instid1(VALU_DEP_2)
	v_xor_b32_e32 v41, 0x80000000, v39
	v_mov_b32_e32 v40, v38
	ds_store_b64 v53, v[40:41]
.LBB30_143:                             ;   in Loop: Header=BB30_3 Depth=1
	s_or_b32 exec_lo, exec_lo, s65
	s_wait_dscnt 0x0
	s_barrier_signal -1
	s_barrier_wait -1
	s_and_saveexec_b32 s47, vcc_hi
	s_cbranch_execz .LBB30_145
; %bb.144:                              ;   in Loop: Header=BB30_3 Depth=1
	ds_load_b64 v[40:41], v55 offset:28032
	ds_load_b64 v[92:93], v53
	s_wait_dscnt 0x0
	v_fma_f64 v[38:39], -v[40:41], v[92:93], v[38:39]
.LBB30_145:                             ;   in Loop: Header=BB30_3 Depth=1
	s_or_b32 exec_lo, exec_lo, s47
	s_barrier_signal -1
	s_barrier_wait -1
	s_and_saveexec_b32 s65, s36
	s_cbranch_execz .LBB30_147
; %bb.146:                              ;   in Loop: Header=BB30_3 Depth=1
	ds_load_b64 v[40:41], v3 offset:27560
	s_wait_dscnt 0x0
	v_mul_f64_e32 v[38:39], v[38:39], v[40:41]
	s_delay_alu instid0(VALU_DEP_1) | instskip(NEXT) | instid1(VALU_DEP_2)
	v_xor_b32_e32 v41, 0x80000000, v39
	v_mov_b32_e32 v40, v38
	ds_store_b64 v53, v[40:41]
.LBB30_147:                             ;   in Loop: Header=BB30_3 Depth=1
	s_or_b32 exec_lo, exec_lo, s65
	s_wait_dscnt 0x0
	s_barrier_signal -1
	s_barrier_wait -1
	s_and_saveexec_b32 s47, s37
	s_cbranch_execz .LBB30_149
; %bb.148:                              ;   in Loop: Header=BB30_3 Depth=1
	ds_load_b64 v[40:41], v55 offset:27520
	ds_load_b64 v[92:93], v53
	s_wait_dscnt 0x0
	v_fma_f64 v[38:39], -v[40:41], v[92:93], v[38:39]
.LBB30_149:                             ;   in Loop: Header=BB30_3 Depth=1
	s_or_b32 exec_lo, exec_lo, s47
	s_barrier_signal -1
	s_barrier_wait -1
	s_and_saveexec_b32 s65, s38
	s_cbranch_execz .LBB30_151
; %bb.150:                              ;   in Loop: Header=BB30_3 Depth=1
	ds_load_b64 v[40:41], v3 offset:27040
	s_wait_dscnt 0x0
	v_mul_f64_e32 v[38:39], v[38:39], v[40:41]
	s_delay_alu instid0(VALU_DEP_1) | instskip(NEXT) | instid1(VALU_DEP_2)
	v_xor_b32_e32 v41, 0x80000000, v39
	v_mov_b32_e32 v40, v38
	ds_store_b64 v53, v[40:41]
.LBB30_151:                             ;   in Loop: Header=BB30_3 Depth=1
	s_or_b32 exec_lo, exec_lo, s65
	s_wait_dscnt 0x0
	s_barrier_signal -1
	s_barrier_wait -1
	s_and_saveexec_b32 s47, s39
	;; [unrolled: 26-line block ×5, first 2 shown]
	s_cbranch_execz .LBB30_165
; %bb.164:                              ;   in Loop: Header=BB30_3 Depth=1
	ds_load_b64 v[40:41], v3 offset:25472
	ds_load_b64 v[92:93], v53
	s_wait_dscnt 0x0
	v_fma_f64 v[38:39], -v[40:41], v[92:93], v[38:39]
.LBB30_165:                             ;   in Loop: Header=BB30_3 Depth=1
	s_or_b32 exec_lo, exec_lo, s47
	s_barrier_signal -1
	s_barrier_wait -1
	s_and_saveexec_b32 s65, s45
	s_cbranch_execz .LBB30_167
; %bb.166:                              ;   in Loop: Header=BB30_3 Depth=1
	ds_load_b64 v[40:41], v3 offset:24960
	s_wait_dscnt 0x0
	v_mul_f64_e32 v[38:39], v[38:39], v[40:41]
	s_delay_alu instid0(VALU_DEP_1) | instskip(NEXT) | instid1(VALU_DEP_2)
	v_xor_b32_e32 v41, 0x80000000, v39
	v_mov_b32_e32 v40, v38
	ds_store_b64 v53, v[40:41]
.LBB30_167:                             ;   in Loop: Header=BB30_3 Depth=1
	s_or_b32 exec_lo, exec_lo, s65
	s_wait_dscnt 0x0
	s_barrier_signal -1
	s_barrier_wait -1
	s_barrier_signal -1
	s_barrier_wait -1
	s_and_saveexec_b32 s47, s3
; %bb.168:                              ;   in Loop: Header=BB30_3 Depth=1
	ds_store_b64 v56, v[38:39] offset:32640
; %bb.169:                              ;   in Loop: Header=BB30_3 Depth=1
	s_or_b32 exec_lo, exec_lo, s47
	s_wait_dscnt 0x0
	s_barrier_signal -1
	s_barrier_wait -1
	s_barrier_signal -1
	s_barrier_wait -1
	s_and_saveexec_b32 s65, s46
	s_cbranch_execz .LBB30_171
; %bb.170:                              ;   in Loop: Header=BB30_3 Depth=1
	ds_load_b64 v[38:39], v72 offset:29056
	s_wait_dscnt 0x0
	ds_store_b64 v73, v[38:39] offset:25024
	ds_load_b64 v[38:39], v72 offset:29064
	s_wait_dscnt 0x0
	ds_store_b64 v73, v[38:39] offset:25536
	ds_load_b64 v[38:39], v72 offset:29072
	s_wait_dscnt 0x0
	ds_store_b64 v73, v[38:39] offset:26048
	ds_load_b64 v[38:39], v72 offset:29080
	s_wait_dscnt 0x0
	ds_store_b64 v73, v[38:39] offset:26560
	ds_load_b64 v[38:39], v72 offset:29088
	s_wait_dscnt 0x0
	ds_store_b64 v73, v[38:39] offset:27072
	ds_load_b64 v[38:39], v72 offset:29096
	s_wait_dscnt 0x0
	ds_store_b64 v73, v[38:39] offset:27584
	ds_load_b64 v[38:39], v72 offset:29104
	s_wait_dscnt 0x0
	ds_store_b64 v73, v[38:39] offset:28096
	ds_load_b64 v[38:39], v72 offset:29112
	s_wait_dscnt 0x0
	ds_store_b64 v73, v[38:39] offset:28608
.LBB30_171:                             ;   in Loop: Header=BB30_3 Depth=1
	s_or_b32 exec_lo, exec_lo, s65
	s_wait_dscnt 0x0
	s_barrier_signal -1
	s_barrier_wait -1
	s_and_saveexec_b32 s65, s14
	s_cbranch_execz .LBB30_173
; %bb.172:                              ;   in Loop: Header=BB30_3 Depth=1
	ds_load_b128 v[38:41], v3 offset:28592
	ds_load_b64 v[92:93], v3 offset:28080
	v_add_nc_u32_e64 v2, 0x6800, 0
	s_wait_dscnt 0x0
	v_mul_f64_e32 v[40:41], v[92:93], v[40:41]
	s_delay_alu instid0(VALU_DEP_1)
	v_mul_f64_e32 v[38:39], v[38:39], v[40:41]
	ds_store_2addr_b64 v2, v[38:39], v[38:39] offset0:183 offset1:246
.LBB30_173:                             ;   in Loop: Header=BB30_3 Depth=1
	s_or_b32 exec_lo, exec_lo, s65
	v_mov_b64_e32 v[38:39], 0
	s_wait_dscnt 0x0
	s_barrier_signal -1
	s_barrier_wait -1
	global_wb scope:SCOPE_DEV
	s_wait_storecnt 0x0
	global_inv scope:SCOPE_DEV
	s_and_saveexec_b32 s65, s0
	s_cbranch_execz .LBB30_177
; %bb.174:                              ;   in Loop: Header=BB30_3 Depth=1
	ds_load_b64 v[38:39], v45 offset:28064
	ds_load_b64 v[40:41], v44 offset:28592
	s_wait_dscnt 0x0
	v_fma_f64 v[38:39], v[38:39], v[40:41], 0
	s_and_saveexec_b32 s47, s15
	s_cbranch_execz .LBB30_176
; %bb.175:                              ;   in Loop: Header=BB30_3 Depth=1
	ds_load_b64 v[40:41], v73 offset:28576
	ds_load_b64 v[92:93], v3 offset:28600
	s_wait_dscnt 0x0
	v_fmac_f64_e32 v[38:39], v[40:41], v[92:93]
.LBB30_176:                             ;   in Loop: Header=BB30_3 Depth=1
	s_or_b32 exec_lo, exec_lo, s47
.LBB30_177:                             ;   in Loop: Header=BB30_3 Depth=1
	s_delay_alu instid0(SALU_CYCLE_1)
	s_or_b32 exec_lo, exec_lo, s65
	s_and_saveexec_b32 s65, s92
	s_cbranch_execz .LBB30_179
; %bb.178:                              ;   in Loop: Header=BB30_3 Depth=1
	ds_load_b64 v[40:41], v3 offset:27560
	s_wait_dscnt 0x0
	v_mul_f64_e32 v[38:39], v[38:39], v[40:41]
	s_delay_alu instid0(VALU_DEP_1) | instskip(NEXT) | instid1(VALU_DEP_2)
	v_xor_b32_e32 v41, 0x80000000, v39
	v_mov_b32_e32 v40, v38
	ds_store_b64 v5, v[40:41]
.LBB30_179:                             ;   in Loop: Header=BB30_3 Depth=1
	s_or_b32 exec_lo, exec_lo, s65
	s_wait_loadcnt_dscnt 0x0
	s_barrier_signal -1
	s_barrier_wait -1
	s_and_saveexec_b32 s47, s93
	s_cbranch_execz .LBB30_181
; %bb.180:                              ;   in Loop: Header=BB30_3 Depth=1
	ds_load_b64 v[40:41], v3 offset:27552
	ds_load_b64 v[92:93], v5
	s_wait_dscnt 0x0
	v_fma_f64 v[38:39], -v[40:41], v[92:93], v[38:39]
.LBB30_181:                             ;   in Loop: Header=BB30_3 Depth=1
	s_or_b32 exec_lo, exec_lo, s47
	s_barrier_signal -1
	s_barrier_wait -1
	s_and_saveexec_b32 s65, s93
	s_cbranch_execz .LBB30_183
; %bb.182:                              ;   in Loop: Header=BB30_3 Depth=1
	ds_load_b64 v[40:41], v3 offset:27040
	s_wait_dscnt 0x0
	v_mul_f64_e32 v[38:39], v[38:39], v[40:41]
	s_delay_alu instid0(VALU_DEP_1) | instskip(NEXT) | instid1(VALU_DEP_2)
	v_xor_b32_e32 v41, 0x80000000, v39
	v_mov_b32_e32 v40, v38
	ds_store_b64 v5, v[40:41]
.LBB30_183:                             ;   in Loop: Header=BB30_3 Depth=1
	s_or_b32 exec_lo, exec_lo, s65
	s_wait_dscnt 0x0
	s_barrier_signal -1
	s_barrier_wait -1
	s_barrier_signal -1
	s_barrier_wait -1
	s_and_saveexec_b32 s47, s0
; %bb.184:                              ;   in Loop: Header=BB30_3 Depth=1
	ds_store_b64 v47, v[38:39] offset:28576
; %bb.185:                              ;   in Loop: Header=BB30_3 Depth=1
	s_or_b32 exec_lo, exec_lo, s47
	s_wait_dscnt 0x0
	s_barrier_signal -1
	s_barrier_wait -1
	s_barrier_signal -1
	s_barrier_wait -1
	s_and_saveexec_b32 s47, s94
	s_cbranch_execz .LBB30_187
; %bb.186:                              ;   in Loop: Header=BB30_3 Depth=1
	ds_load_b64 v[38:39], v74 offset:28064
	s_wait_dscnt 0x0
	ds_store_b64 v73, v[38:39] offset:27056
	ds_load_b64 v[38:39], v74 offset:28072
	s_wait_dscnt 0x0
	ds_store_b64 v73, v[38:39] offset:27568
.LBB30_187:                             ;   in Loop: Header=BB30_3 Depth=1
	s_or_b32 exec_lo, exec_lo, s47
	s_wait_dscnt 0x0
	s_barrier_signal -1
	s_barrier_wait -1
	s_and_saveexec_b32 s65, s14
	s_cbranch_execz .LBB30_189
; %bb.188:                              ;   in Loop: Header=BB30_3 Depth=1
	ds_load_b128 v[38:41], v3 offset:27552
	ds_load_b64 v[92:93], v3 offset:27040
	v_add_nc_u32_e64 v2, 0x6800, 0
	s_wait_dscnt 0x0
	v_mul_f64_e32 v[40:41], v[92:93], v[40:41]
	s_delay_alu instid0(VALU_DEP_1)
	v_mul_f64_e32 v[38:39], v[38:39], v[40:41]
	ds_store_2addr_b64 v2, v[38:39], v[38:39] offset0:53 offset1:116
.LBB30_189:                             ;   in Loop: Header=BB30_3 Depth=1
	s_or_b32 exec_lo, exec_lo, s65
	v_mov_b64_e32 v[38:39], 0
	s_wait_dscnt 0x0
	s_barrier_signal -1
	s_barrier_wait -1
	global_wb scope:SCOPE_DEV
	s_wait_storecnt 0x0
	global_inv scope:SCOPE_DEV
	s_and_saveexec_b32 s65, s2
	s_cbranch_execz .LBB30_195
; %bb.190:                              ;   in Loop: Header=BB30_3 Depth=1
	ds_load_b64 v[38:39], v51 offset:27008
	ds_load_b64 v[40:41], v50 offset:28576
	s_wait_dscnt 0x0
	v_fma_f64 v[38:39], v[38:39], v[40:41], 0
	s_and_saveexec_b32 s47, s16
	s_cbranch_execnz .LBB30_1107
; %bb.191:                              ;   in Loop: Header=BB30_3 Depth=1
	s_or_b32 exec_lo, exec_lo, s47
	s_and_saveexec_b32 s47, s17
	s_cbranch_execnz .LBB30_1108
.LBB30_192:                             ;   in Loop: Header=BB30_3 Depth=1
	s_or_b32 exec_lo, exec_lo, s47
	s_and_saveexec_b32 s47, s0
	s_cbranch_execz .LBB30_194
.LBB30_193:                             ;   in Loop: Header=BB30_3 Depth=1
	ds_load_b64 v[40:41], v75 offset:28544
	ds_load_b64 v[92:93], v3 offset:28600
	s_wait_dscnt 0x0
	v_fmac_f64_e32 v[38:39], v[40:41], v[92:93]
.LBB30_194:                             ;   in Loop: Header=BB30_3 Depth=1
	s_or_b32 exec_lo, exec_lo, s47
.LBB30_195:                             ;   in Loop: Header=BB30_3 Depth=1
	s_delay_alu instid0(SALU_CYCLE_1)
	s_or_b32 exec_lo, exec_lo, s65
	s_and_saveexec_b32 s65, s95
	s_cbranch_execz .LBB30_197
; %bb.196:                              ;   in Loop: Header=BB30_3 Depth=1
	ds_load_b64 v[40:41], v3 offset:26520
	s_wait_dscnt 0x0
	v_mul_f64_e32 v[38:39], v[38:39], v[40:41]
	s_delay_alu instid0(VALU_DEP_1) | instskip(NEXT) | instid1(VALU_DEP_2)
	v_xor_b32_e32 v41, 0x80000000, v39
	v_mov_b32_e32 v40, v38
	ds_store_b64 v49, v[40:41]
.LBB30_197:                             ;   in Loop: Header=BB30_3 Depth=1
	s_or_b32 exec_lo, exec_lo, s65
	s_wait_loadcnt_dscnt 0x0
	s_barrier_signal -1
	s_barrier_wait -1
	s_and_saveexec_b32 s47, s96
	s_cbranch_execz .LBB30_199
; %bb.198:                              ;   in Loop: Header=BB30_3 Depth=1
	ds_load_b64 v[40:41], v51 offset:26496
	ds_load_b64 v[92:93], v49
	s_wait_dscnt 0x0
	v_fma_f64 v[38:39], -v[40:41], v[92:93], v[38:39]
.LBB30_199:                             ;   in Loop: Header=BB30_3 Depth=1
	s_or_b32 exec_lo, exec_lo, s47
	s_barrier_signal -1
	s_barrier_wait -1
	s_and_saveexec_b32 s65, s97
	s_cbranch_execz .LBB30_201
; %bb.200:                              ;   in Loop: Header=BB30_3 Depth=1
	ds_load_b64 v[40:41], v3 offset:26000
	s_wait_dscnt 0x0
	v_mul_f64_e32 v[38:39], v[38:39], v[40:41]
	s_delay_alu instid0(VALU_DEP_1) | instskip(NEXT) | instid1(VALU_DEP_2)
	v_xor_b32_e32 v41, 0x80000000, v39
	v_mov_b32_e32 v40, v38
	ds_store_b64 v49, v[40:41]
.LBB30_201:                             ;   in Loop: Header=BB30_3 Depth=1
	s_or_b32 exec_lo, exec_lo, s65
	s_wait_dscnt 0x0
	s_barrier_signal -1
	s_barrier_wait -1
	s_and_saveexec_b32 s47, s98
	s_cbranch_execz .LBB30_203
; %bb.202:                              ;   in Loop: Header=BB30_3 Depth=1
	ds_load_b64 v[40:41], v51 offset:25984
	ds_load_b64 v[92:93], v49
	s_wait_dscnt 0x0
	v_fma_f64 v[38:39], -v[40:41], v[92:93], v[38:39]
.LBB30_203:                             ;   in Loop: Header=BB30_3 Depth=1
	s_or_b32 exec_lo, exec_lo, s47
	s_barrier_signal -1
	s_barrier_wait -1
	s_and_saveexec_b32 s65, s99
	s_cbranch_execz .LBB30_205
; %bb.204:                              ;   in Loop: Header=BB30_3 Depth=1
	ds_load_b64 v[40:41], v3 offset:25480
	s_wait_dscnt 0x0
	v_mul_f64_e32 v[38:39], v[38:39], v[40:41]
	s_delay_alu instid0(VALU_DEP_1) | instskip(NEXT) | instid1(VALU_DEP_2)
	v_xor_b32_e32 v41, 0x80000000, v39
	v_mov_b32_e32 v40, v38
	ds_store_b64 v49, v[40:41]
.LBB30_205:                             ;   in Loop: Header=BB30_3 Depth=1
	s_or_b32 exec_lo, exec_lo, s65
	s_wait_dscnt 0x0
	;; [unrolled: 26-line block ×3, first 2 shown]
	s_barrier_signal -1
	s_barrier_wait -1
	s_barrier_signal -1
	s_barrier_wait -1
	s_and_saveexec_b32 s47, s2
; %bb.210:                              ;   in Loop: Header=BB30_3 Depth=1
	ds_store_b64 v52, v[38:39] offset:28544
; %bb.211:                              ;   in Loop: Header=BB30_3 Depth=1
	s_or_b32 exec_lo, exec_lo, s47
	s_wait_dscnt 0x0
	s_barrier_signal -1
	s_barrier_wait -1
	s_barrier_signal -1
	s_barrier_wait -1
	s_and_saveexec_b32 s65, s101
	s_cbranch_execz .LBB30_213
; %bb.212:                              ;   in Loop: Header=BB30_3 Depth=1
	ds_load_b64 v[38:39], v79 offset:27008
	s_wait_dscnt 0x0
	ds_store_b64 v82, v[38:39] offset:24992
	ds_load_b64 v[38:39], v79 offset:27016
	s_wait_dscnt 0x0
	ds_store_b64 v82, v[38:39] offset:25504
	;; [unrolled: 3-line block ×4, first 2 shown]
.LBB30_213:                             ;   in Loop: Header=BB30_3 Depth=1
	s_or_b32 exec_lo, exec_lo, s65
	s_wait_dscnt 0x0
	s_barrier_signal -1
	s_barrier_wait -1
	s_and_saveexec_b32 s65, s14
	s_cbranch_execz .LBB30_215
; %bb.214:                              ;   in Loop: Header=BB30_3 Depth=1
	ds_load_b128 v[38:41], v3 offset:26512
	ds_load_b64 v[92:93], v3 offset:26000
	v_add_nc_u32_e64 v2, 0x6000, 0
	s_wait_dscnt 0x0
	v_mul_f64_e32 v[40:41], v[92:93], v[40:41]
	s_delay_alu instid0(VALU_DEP_1)
	v_mul_f64_e32 v[38:39], v[38:39], v[40:41]
	ds_store_2addr_b64 v2, v[38:39], v[38:39] offset0:179 offset1:242
.LBB30_215:                             ;   in Loop: Header=BB30_3 Depth=1
	s_or_b32 exec_lo, exec_lo, s65
	v_mov_b64_e32 v[38:39], 0
	s_wait_dscnt 0x0
	s_barrier_signal -1
	s_barrier_wait -1
	global_wb scope:SCOPE_DEV
	s_wait_storecnt 0x0
	global_inv scope:SCOPE_DEV
	s_and_saveexec_b32 s65, s0
	s_cbranch_execz .LBB30_219
; %bb.216:                              ;   in Loop: Header=BB30_3 Depth=1
	ds_load_b64 v[38:39], v45 offset:25984
	ds_load_b64 v[40:41], v44 offset:26512
	s_wait_dscnt 0x0
	v_fma_f64 v[38:39], v[38:39], v[40:41], 0
	s_and_saveexec_b32 s47, s15
	s_cbranch_execz .LBB30_218
; %bb.217:                              ;   in Loop: Header=BB30_3 Depth=1
	ds_load_b64 v[40:41], v82 offset:26496
	ds_load_b64 v[92:93], v3 offset:26520
	s_wait_dscnt 0x0
	v_fmac_f64_e32 v[38:39], v[40:41], v[92:93]
.LBB30_218:                             ;   in Loop: Header=BB30_3 Depth=1
	s_or_b32 exec_lo, exec_lo, s47
.LBB30_219:                             ;   in Loop: Header=BB30_3 Depth=1
	s_delay_alu instid0(SALU_CYCLE_1)
	s_or_b32 exec_lo, exec_lo, s65
	s_and_saveexec_b32 s65, s92
	s_cbranch_execz .LBB30_221
; %bb.220:                              ;   in Loop: Header=BB30_3 Depth=1
	ds_load_b64 v[40:41], v3 offset:25480
	s_wait_dscnt 0x0
	v_mul_f64_e32 v[38:39], v[38:39], v[40:41]
	s_delay_alu instid0(VALU_DEP_1) | instskip(NEXT) | instid1(VALU_DEP_2)
	v_xor_b32_e32 v41, 0x80000000, v39
	v_mov_b32_e32 v40, v38
	ds_store_b64 v5, v[40:41]
.LBB30_221:                             ;   in Loop: Header=BB30_3 Depth=1
	s_or_b32 exec_lo, exec_lo, s65
	s_wait_loadcnt_dscnt 0x0
	s_barrier_signal -1
	s_barrier_wait -1
	s_and_saveexec_b32 s47, s93
	s_cbranch_execz .LBB30_223
; %bb.222:                              ;   in Loop: Header=BB30_3 Depth=1
	ds_load_b64 v[40:41], v3 offset:25472
	ds_load_b64 v[92:93], v5
	s_wait_dscnt 0x0
	v_fma_f64 v[38:39], -v[40:41], v[92:93], v[38:39]
.LBB30_223:                             ;   in Loop: Header=BB30_3 Depth=1
	s_or_b32 exec_lo, exec_lo, s47
	s_barrier_signal -1
	s_barrier_wait -1
	s_and_saveexec_b32 s65, s93
	s_cbranch_execz .LBB30_225
; %bb.224:                              ;   in Loop: Header=BB30_3 Depth=1
	ds_load_b64 v[40:41], v3 offset:24960
	s_wait_dscnt 0x0
	v_mul_f64_e32 v[38:39], v[38:39], v[40:41]
	s_delay_alu instid0(VALU_DEP_1) | instskip(NEXT) | instid1(VALU_DEP_2)
	v_xor_b32_e32 v41, 0x80000000, v39
	v_mov_b32_e32 v40, v38
	ds_store_b64 v5, v[40:41]
.LBB30_225:                             ;   in Loop: Header=BB30_3 Depth=1
	s_or_b32 exec_lo, exec_lo, s65
	s_wait_dscnt 0x0
	s_barrier_signal -1
	s_barrier_wait -1
	s_barrier_signal -1
	s_barrier_wait -1
	s_and_saveexec_b32 s47, s0
; %bb.226:                              ;   in Loop: Header=BB30_3 Depth=1
	ds_store_b64 v47, v[38:39] offset:26496
; %bb.227:                              ;   in Loop: Header=BB30_3 Depth=1
	s_or_b32 exec_lo, exec_lo, s47
	s_wait_dscnt 0x0
	s_barrier_signal -1
	s_barrier_wait -1
	s_barrier_signal -1
	s_barrier_wait -1
	s_and_saveexec_b32 s47, s94
	s_cbranch_execz .LBB30_229
; %bb.228:                              ;   in Loop: Header=BB30_3 Depth=1
	ds_load_b64 v[38:39], v83 offset:25984
	s_wait_dscnt 0x0
	ds_store_b64 v82, v[38:39] offset:24976
	ds_load_b64 v[38:39], v83 offset:25992
	s_wait_dscnt 0x0
	ds_store_b64 v82, v[38:39] offset:25488
.LBB30_229:                             ;   in Loop: Header=BB30_3 Depth=1
	s_or_b32 exec_lo, exec_lo, s47
	s_wait_dscnt 0x0
	s_barrier_signal -1
	s_barrier_wait -1
	s_and_saveexec_b32 s65, s14
	s_cbranch_execz .LBB30_231
; %bb.230:                              ;   in Loop: Header=BB30_3 Depth=1
	ds_load_b128 v[38:41], v3 offset:25472
	ds_load_b64 v[92:93], v3 offset:24960
	v_add_nc_u32_e64 v2, 0x6000, 0
	s_wait_dscnt 0x0
	v_mul_f64_e32 v[40:41], v[92:93], v[40:41]
	s_delay_alu instid0(VALU_DEP_1)
	v_mul_f64_e32 v[38:39], v[38:39], v[40:41]
	ds_store_2addr_b64 v2, v[38:39], v[38:39] offset0:49 offset1:112
.LBB30_231:                             ;   in Loop: Header=BB30_3 Depth=1
	s_or_b32 exec_lo, exec_lo, s65
	v_mov_b64_e32 v[38:39], 0
	s_wait_dscnt 0x0
	s_barrier_signal -1
	s_barrier_wait -1
	global_wb scope:SCOPE_DEV
	s_wait_storecnt 0x0
	global_inv scope:SCOPE_DEV
	s_and_saveexec_b32 s65, s4
	s_cbranch_execz .LBB30_259
; %bb.232:                              ;   in Loop: Header=BB30_3 Depth=1
	ds_load_b64 v[38:39], v59 offset:24832
	ds_load_b64 v[40:41], v58 offset:32640
	s_wait_dscnt 0x0
	v_fma_f64 v[38:39], v[38:39], v[40:41], 0
	s_mov_b32 s47, exec_lo
	v_readlane_b32 s82, v101, 25
	s_and_b32 s82, s47, s82
	s_delay_alu instid0(SALU_CYCLE_1)
	s_mov_b32 exec_lo, s82
	s_cbranch_execz .LBB30_234
; %bb.233:                              ;   in Loop: Header=BB30_3 Depth=1
	ds_load_b64 v[40:41], v59 offset:25344
	ds_load_b64 v[92:93], v58 offset:32648
	s_wait_dscnt 0x0
	v_fmac_f64_e32 v[38:39], v[40:41], v[92:93]
.LBB30_234:                             ;   in Loop: Header=BB30_3 Depth=1
	s_or_b32 exec_lo, exec_lo, s47
	s_delay_alu instid0(SALU_CYCLE_1) | instskip(SKIP_2) | instid1(SALU_CYCLE_1)
	s_mov_b32 s47, exec_lo
	v_readlane_b32 s82, v101, 26
	s_and_b32 s82, s47, s82
	s_mov_b32 exec_lo, s82
	s_cbranch_execz .LBB30_236
; %bb.235:                              ;   in Loop: Header=BB30_3 Depth=1
	ds_load_b64 v[40:41], v59 offset:25856
	ds_load_b64 v[92:93], v58 offset:32656
	s_wait_dscnt 0x0
	v_fmac_f64_e32 v[38:39], v[40:41], v[92:93]
.LBB30_236:                             ;   in Loop: Header=BB30_3 Depth=1
	s_or_b32 exec_lo, exec_lo, s47
	s_delay_alu instid0(SALU_CYCLE_1) | instskip(SKIP_2) | instid1(SALU_CYCLE_1)
	s_mov_b32 s47, exec_lo
	v_readlane_b32 s82, v101, 27
	s_and_b32 s82, s47, s82
	;; [unrolled: 13-line block ×10, first 2 shown]
	s_mov_b32 exec_lo, s82
	s_cbranch_execnz .LBB30_1109
; %bb.253:                              ;   in Loop: Header=BB30_3 Depth=1
	s_or_b32 exec_lo, exec_lo, s47
	s_and_saveexec_b32 s47, s3
	s_cbranch_execnz .LBB30_1110
.LBB30_254:                             ;   in Loop: Header=BB30_3 Depth=1
	s_or_b32 exec_lo, exec_lo, s47
	s_and_saveexec_b32 s47, s19
	s_cbranch_execnz .LBB30_1111
.LBB30_255:                             ;   in Loop: Header=BB30_3 Depth=1
	s_or_b32 exec_lo, exec_lo, s47
	s_and_saveexec_b32 s47, s21
	s_cbranch_execnz .LBB30_1112
.LBB30_256:                             ;   in Loop: Header=BB30_3 Depth=1
	s_or_b32 exec_lo, exec_lo, s47
	s_and_saveexec_b32 s47, s2
	s_cbranch_execz .LBB30_258
.LBB30_257:                             ;   in Loop: Header=BB30_3 Depth=1
	ds_load_b64 v[40:41], v46 offset:32512
	ds_load_b64 v[92:93], v3 offset:32760
	s_wait_dscnt 0x0
	v_fmac_f64_e32 v[38:39], v[40:41], v[92:93]
.LBB30_258:                             ;   in Loop: Header=BB30_3 Depth=1
	s_or_b32 exec_lo, exec_lo, s47
.LBB30_259:                             ;   in Loop: Header=BB30_3 Depth=1
	s_delay_alu instid0(SALU_CYCLE_1) | instskip(NEXT) | instid1(SALU_CYCLE_1)
	s_or_b32 exec_lo, exec_lo, s65
	s_mov_b32 s65, exec_lo
	v_readlane_b32 s47, v101, 6
	s_and_b32 s47, s65, s47
	s_delay_alu instid0(SALU_CYCLE_1)
	s_mov_b32 exec_lo, s47
	s_cbranch_execz .LBB30_261
; %bb.260:                              ;   in Loop: Header=BB30_3 Depth=1
	ds_load_b64 v[40:41], v3 offset:24440
	s_wait_dscnt 0x0
	v_mul_f64_e32 v[38:39], v[38:39], v[40:41]
	s_delay_alu instid0(VALU_DEP_1) | instskip(NEXT) | instid1(VALU_DEP_2)
	v_xor_b32_e32 v41, 0x80000000, v39
	v_mov_b32_e32 v40, v38
	ds_store_b64 v57, v[40:41]
.LBB30_261:                             ;   in Loop: Header=BB30_3 Depth=1
	s_or_b32 exec_lo, exec_lo, s65
	s_wait_loadcnt_dscnt 0x0
	s_barrier_signal -1
	s_barrier_wait -1
	s_and_saveexec_b32 s47, s48
	s_cbranch_execz .LBB30_263
; %bb.262:                              ;   in Loop: Header=BB30_3 Depth=1
	ds_load_b64 v[40:41], v59 offset:24320
	ds_load_b64 v[92:93], v57
	s_wait_dscnt 0x0
	v_fma_f64 v[38:39], -v[40:41], v[92:93], v[38:39]
.LBB30_263:                             ;   in Loop: Header=BB30_3 Depth=1
	s_or_b32 exec_lo, exec_lo, s47
	s_barrier_signal -1
	s_barrier_wait -1
	s_and_saveexec_b32 s65, s49
	s_cbranch_execz .LBB30_265
; %bb.264:                              ;   in Loop: Header=BB30_3 Depth=1
	ds_load_b64 v[40:41], v3 offset:23920
	s_wait_dscnt 0x0
	v_mul_f64_e32 v[38:39], v[38:39], v[40:41]
	s_delay_alu instid0(VALU_DEP_1) | instskip(NEXT) | instid1(VALU_DEP_2)
	v_xor_b32_e32 v41, 0x80000000, v39
	v_mov_b32_e32 v40, v38
	ds_store_b64 v57, v[40:41]
.LBB30_265:                             ;   in Loop: Header=BB30_3 Depth=1
	s_or_b32 exec_lo, exec_lo, s65
	s_wait_dscnt 0x0
	s_barrier_signal -1
	s_barrier_wait -1
	s_and_saveexec_b32 s47, s50
	s_cbranch_execz .LBB30_267
; %bb.266:                              ;   in Loop: Header=BB30_3 Depth=1
	ds_load_b64 v[40:41], v59 offset:23808
	ds_load_b64 v[92:93], v57
	s_wait_dscnt 0x0
	v_fma_f64 v[38:39], -v[40:41], v[92:93], v[38:39]
.LBB30_267:                             ;   in Loop: Header=BB30_3 Depth=1
	s_or_b32 exec_lo, exec_lo, s47
	s_barrier_signal -1
	s_barrier_wait -1
	s_and_saveexec_b32 s65, s51
	s_cbranch_execz .LBB30_269
; %bb.268:                              ;   in Loop: Header=BB30_3 Depth=1
	ds_load_b64 v[40:41], v3 offset:23400
	s_wait_dscnt 0x0
	v_mul_f64_e32 v[38:39], v[38:39], v[40:41]
	s_delay_alu instid0(VALU_DEP_1) | instskip(NEXT) | instid1(VALU_DEP_2)
	v_xor_b32_e32 v41, 0x80000000, v39
	v_mov_b32_e32 v40, v38
	ds_store_b64 v57, v[40:41]
.LBB30_269:                             ;   in Loop: Header=BB30_3 Depth=1
	s_or_b32 exec_lo, exec_lo, s65
	s_wait_dscnt 0x0
	;; [unrolled: 26-line block ×15, first 2 shown]
	s_barrier_signal -1
	s_barrier_wait -1
	s_barrier_signal -1
	s_barrier_wait -1
	s_and_saveexec_b32 s47, s4
; %bb.322:                              ;   in Loop: Header=BB30_3 Depth=1
	ds_store_b64 v60, v[38:39] offset:32512
; %bb.323:                              ;   in Loop: Header=BB30_3 Depth=1
	s_or_b32 exec_lo, exec_lo, s47
	s_wait_dscnt 0x0
	s_barrier_signal -1
	s_barrier_wait -1
	s_barrier_signal -1
	s_barrier_wait -1
	s_and_saveexec_b32 s65, s10
	s_cbranch_execz .LBB30_325
; %bb.324:                              ;   in Loop: Header=BB30_3 Depth=1
	ds_load_b64 v[38:39], v48 offset:24832
	s_wait_dscnt 0x0
	ds_store_b64 v65, v[38:39] offset:16768
	ds_load_b64 v[38:39], v48 offset:24840
	s_wait_dscnt 0x0
	ds_store_b64 v65, v[38:39] offset:17280
	;; [unrolled: 3-line block ×16, first 2 shown]
.LBB30_325:                             ;   in Loop: Header=BB30_3 Depth=1
	s_or_b32 exec_lo, exec_lo, s65
	s_wait_dscnt 0x0
	s_barrier_signal -1
	s_barrier_wait -1
	s_and_saveexec_b32 s65, s14
	s_cbranch_execz .LBB30_327
; %bb.326:                              ;   in Loop: Header=BB30_3 Depth=1
	ds_load_b128 v[38:41], v3 offset:24432
	ds_load_b64 v[92:93], v3 offset:23920
	v_add_nc_u32_e64 v2, 0x5800, 0
	s_wait_dscnt 0x0
	v_mul_f64_e32 v[40:41], v[92:93], v[40:41]
	s_delay_alu instid0(VALU_DEP_1)
	v_mul_f64_e32 v[38:39], v[38:39], v[40:41]
	ds_store_2addr_b64 v2, v[38:39], v[38:39] offset0:175 offset1:238
.LBB30_327:                             ;   in Loop: Header=BB30_3 Depth=1
	s_or_b32 exec_lo, exec_lo, s65
	v_mov_b64_e32 v[38:39], 0
	s_wait_dscnt 0x0
	s_barrier_signal -1
	s_barrier_wait -1
	global_wb scope:SCOPE_DEV
	s_wait_storecnt 0x0
	global_inv scope:SCOPE_DEV
	s_and_saveexec_b32 s65, s0
	s_cbranch_execz .LBB30_331
; %bb.328:                              ;   in Loop: Header=BB30_3 Depth=1
	ds_load_b64 v[38:39], v45 offset:23904
	ds_load_b64 v[40:41], v44 offset:24432
	s_wait_dscnt 0x0
	v_fma_f64 v[38:39], v[38:39], v[40:41], 0
	s_and_saveexec_b32 s47, s15
	s_cbranch_execz .LBB30_330
; %bb.329:                              ;   in Loop: Header=BB30_3 Depth=1
	ds_load_b64 v[40:41], v46 offset:24416
	ds_load_b64 v[92:93], v3 offset:24440
	s_wait_dscnt 0x0
	v_fmac_f64_e32 v[38:39], v[40:41], v[92:93]
.LBB30_330:                             ;   in Loop: Header=BB30_3 Depth=1
	s_or_b32 exec_lo, exec_lo, s47
.LBB30_331:                             ;   in Loop: Header=BB30_3 Depth=1
	s_delay_alu instid0(SALU_CYCLE_1)
	s_or_b32 exec_lo, exec_lo, s65
	s_and_saveexec_b32 s65, s92
	s_cbranch_execz .LBB30_333
; %bb.332:                              ;   in Loop: Header=BB30_3 Depth=1
	ds_load_b64 v[40:41], v3 offset:23400
	s_wait_dscnt 0x0
	v_mul_f64_e32 v[38:39], v[38:39], v[40:41]
	s_delay_alu instid0(VALU_DEP_1) | instskip(NEXT) | instid1(VALU_DEP_2)
	v_xor_b32_e32 v41, 0x80000000, v39
	v_mov_b32_e32 v40, v38
	ds_store_b64 v5, v[40:41]
.LBB30_333:                             ;   in Loop: Header=BB30_3 Depth=1
	s_or_b32 exec_lo, exec_lo, s65
	s_wait_loadcnt_dscnt 0x0
	s_barrier_signal -1
	s_barrier_wait -1
	s_and_saveexec_b32 s47, s93
	s_cbranch_execz .LBB30_335
; %bb.334:                              ;   in Loop: Header=BB30_3 Depth=1
	ds_load_b64 v[40:41], v3 offset:23392
	ds_load_b64 v[92:93], v5
	s_wait_dscnt 0x0
	v_fma_f64 v[38:39], -v[40:41], v[92:93], v[38:39]
.LBB30_335:                             ;   in Loop: Header=BB30_3 Depth=1
	s_or_b32 exec_lo, exec_lo, s47
	s_barrier_signal -1
	s_barrier_wait -1
	s_and_saveexec_b32 s65, s93
	s_cbranch_execz .LBB30_337
; %bb.336:                              ;   in Loop: Header=BB30_3 Depth=1
	ds_load_b64 v[40:41], v3 offset:22880
	s_wait_dscnt 0x0
	v_mul_f64_e32 v[38:39], v[38:39], v[40:41]
	s_delay_alu instid0(VALU_DEP_1) | instskip(NEXT) | instid1(VALU_DEP_2)
	v_xor_b32_e32 v41, 0x80000000, v39
	v_mov_b32_e32 v40, v38
	ds_store_b64 v5, v[40:41]
.LBB30_337:                             ;   in Loop: Header=BB30_3 Depth=1
	s_or_b32 exec_lo, exec_lo, s65
	s_wait_dscnt 0x0
	s_barrier_signal -1
	s_barrier_wait -1
	s_barrier_signal -1
	s_barrier_wait -1
	s_and_saveexec_b32 s47, s0
; %bb.338:                              ;   in Loop: Header=BB30_3 Depth=1
	ds_store_b64 v47, v[38:39] offset:24416
; %bb.339:                              ;   in Loop: Header=BB30_3 Depth=1
	s_or_b32 exec_lo, exec_lo, s47
	s_wait_dscnt 0x0
	s_barrier_signal -1
	s_barrier_wait -1
	s_barrier_signal -1
	s_barrier_wait -1
	s_and_saveexec_b32 s47, s94
	s_cbranch_execz .LBB30_341
; %bb.340:                              ;   in Loop: Header=BB30_3 Depth=1
	ds_load_b64 v[38:39], v48 offset:23904
	s_wait_dscnt 0x0
	ds_store_b64 v46, v[38:39] offset:22896
	ds_load_b64 v[38:39], v48 offset:23912
	s_wait_dscnt 0x0
	ds_store_b64 v46, v[38:39] offset:23408
.LBB30_341:                             ;   in Loop: Header=BB30_3 Depth=1
	s_or_b32 exec_lo, exec_lo, s47
	s_wait_dscnt 0x0
	s_barrier_signal -1
	s_barrier_wait -1
	s_and_saveexec_b32 s65, s14
	s_cbranch_execz .LBB30_343
; %bb.342:                              ;   in Loop: Header=BB30_3 Depth=1
	ds_load_b128 v[38:41], v3 offset:23392
	ds_load_b64 v[92:93], v3 offset:22880
	v_add_nc_u32_e64 v2, 0x5800, 0
	s_wait_dscnt 0x0
	v_mul_f64_e32 v[40:41], v[92:93], v[40:41]
	s_delay_alu instid0(VALU_DEP_1)
	v_mul_f64_e32 v[38:39], v[38:39], v[40:41]
	ds_store_2addr_b64 v2, v[38:39], v[38:39] offset0:45 offset1:108
.LBB30_343:                             ;   in Loop: Header=BB30_3 Depth=1
	s_or_b32 exec_lo, exec_lo, s65
	v_mov_b64_e32 v[38:39], 0
	s_wait_dscnt 0x0
	s_barrier_signal -1
	s_barrier_wait -1
	global_wb scope:SCOPE_DEV
	s_wait_storecnt 0x0
	global_inv scope:SCOPE_DEV
	s_and_saveexec_b32 s65, s2
	s_cbranch_execz .LBB30_349
; %bb.344:                              ;   in Loop: Header=BB30_3 Depth=1
	ds_load_b64 v[38:39], v51 offset:22848
	ds_load_b64 v[40:41], v50 offset:24416
	s_wait_dscnt 0x0
	v_fma_f64 v[38:39], v[38:39], v[40:41], 0
	s_and_saveexec_b32 s47, s16
	s_cbranch_execnz .LBB30_1113
; %bb.345:                              ;   in Loop: Header=BB30_3 Depth=1
	s_or_b32 exec_lo, exec_lo, s47
	s_and_saveexec_b32 s47, s17
	s_cbranch_execnz .LBB30_1114
.LBB30_346:                             ;   in Loop: Header=BB30_3 Depth=1
	s_or_b32 exec_lo, exec_lo, s47
	s_and_saveexec_b32 s47, s0
	s_cbranch_execz .LBB30_348
.LBB30_347:                             ;   in Loop: Header=BB30_3 Depth=1
	ds_load_b64 v[40:41], v65 offset:24384
	ds_load_b64 v[92:93], v3 offset:24440
	s_wait_dscnt 0x0
	v_fmac_f64_e32 v[38:39], v[40:41], v[92:93]
.LBB30_348:                             ;   in Loop: Header=BB30_3 Depth=1
	s_or_b32 exec_lo, exec_lo, s47
.LBB30_349:                             ;   in Loop: Header=BB30_3 Depth=1
	s_delay_alu instid0(SALU_CYCLE_1)
	s_or_b32 exec_lo, exec_lo, s65
	s_and_saveexec_b32 s65, s95
	s_cbranch_execz .LBB30_351
; %bb.350:                              ;   in Loop: Header=BB30_3 Depth=1
	ds_load_b64 v[40:41], v3 offset:22360
	s_wait_dscnt 0x0
	v_mul_f64_e32 v[38:39], v[38:39], v[40:41]
	s_delay_alu instid0(VALU_DEP_1) | instskip(NEXT) | instid1(VALU_DEP_2)
	v_xor_b32_e32 v41, 0x80000000, v39
	v_mov_b32_e32 v40, v38
	ds_store_b64 v49, v[40:41]
.LBB30_351:                             ;   in Loop: Header=BB30_3 Depth=1
	s_or_b32 exec_lo, exec_lo, s65
	s_wait_loadcnt_dscnt 0x0
	s_barrier_signal -1
	s_barrier_wait -1
	s_and_saveexec_b32 s47, s96
	s_cbranch_execz .LBB30_353
; %bb.352:                              ;   in Loop: Header=BB30_3 Depth=1
	ds_load_b64 v[40:41], v51 offset:22336
	ds_load_b64 v[92:93], v49
	s_wait_dscnt 0x0
	v_fma_f64 v[38:39], -v[40:41], v[92:93], v[38:39]
.LBB30_353:                             ;   in Loop: Header=BB30_3 Depth=1
	s_or_b32 exec_lo, exec_lo, s47
	s_barrier_signal -1
	s_barrier_wait -1
	s_and_saveexec_b32 s65, s97
	s_cbranch_execz .LBB30_355
; %bb.354:                              ;   in Loop: Header=BB30_3 Depth=1
	ds_load_b64 v[40:41], v3 offset:21840
	s_wait_dscnt 0x0
	v_mul_f64_e32 v[38:39], v[38:39], v[40:41]
	s_delay_alu instid0(VALU_DEP_1) | instskip(NEXT) | instid1(VALU_DEP_2)
	v_xor_b32_e32 v41, 0x80000000, v39
	v_mov_b32_e32 v40, v38
	ds_store_b64 v49, v[40:41]
.LBB30_355:                             ;   in Loop: Header=BB30_3 Depth=1
	s_or_b32 exec_lo, exec_lo, s65
	s_wait_dscnt 0x0
	s_barrier_signal -1
	s_barrier_wait -1
	s_and_saveexec_b32 s47, s98
	s_cbranch_execz .LBB30_357
; %bb.356:                              ;   in Loop: Header=BB30_3 Depth=1
	ds_load_b64 v[40:41], v51 offset:21824
	ds_load_b64 v[92:93], v49
	s_wait_dscnt 0x0
	v_fma_f64 v[38:39], -v[40:41], v[92:93], v[38:39]
.LBB30_357:                             ;   in Loop: Header=BB30_3 Depth=1
	s_or_b32 exec_lo, exec_lo, s47
	s_barrier_signal -1
	s_barrier_wait -1
	s_and_saveexec_b32 s65, s99
	s_cbranch_execz .LBB30_359
; %bb.358:                              ;   in Loop: Header=BB30_3 Depth=1
	ds_load_b64 v[40:41], v3 offset:21320
	s_wait_dscnt 0x0
	v_mul_f64_e32 v[38:39], v[38:39], v[40:41]
	s_delay_alu instid0(VALU_DEP_1) | instskip(NEXT) | instid1(VALU_DEP_2)
	v_xor_b32_e32 v41, 0x80000000, v39
	v_mov_b32_e32 v40, v38
	ds_store_b64 v49, v[40:41]
.LBB30_359:                             ;   in Loop: Header=BB30_3 Depth=1
	s_or_b32 exec_lo, exec_lo, s65
	s_wait_dscnt 0x0
	;; [unrolled: 26-line block ×3, first 2 shown]
	s_barrier_signal -1
	s_barrier_wait -1
	s_barrier_signal -1
	s_barrier_wait -1
	s_and_saveexec_b32 s47, s2
; %bb.364:                              ;   in Loop: Header=BB30_3 Depth=1
	ds_store_b64 v52, v[38:39] offset:24384
; %bb.365:                              ;   in Loop: Header=BB30_3 Depth=1
	s_or_b32 exec_lo, exec_lo, s47
	s_wait_dscnt 0x0
	s_barrier_signal -1
	s_barrier_wait -1
	s_barrier_signal -1
	s_barrier_wait -1
	s_and_saveexec_b32 s65, s101
	s_cbranch_execz .LBB30_367
; %bb.366:                              ;   in Loop: Header=BB30_3 Depth=1
	ds_load_b64 v[38:39], v68 offset:22848
	s_wait_dscnt 0x0
	ds_store_b64 v69, v[38:39] offset:20832
	ds_load_b64 v[38:39], v68 offset:22856
	s_wait_dscnt 0x0
	ds_store_b64 v69, v[38:39] offset:21344
	;; [unrolled: 3-line block ×4, first 2 shown]
.LBB30_367:                             ;   in Loop: Header=BB30_3 Depth=1
	s_or_b32 exec_lo, exec_lo, s65
	s_wait_dscnt 0x0
	s_barrier_signal -1
	s_barrier_wait -1
	s_and_saveexec_b32 s65, s14
	s_cbranch_execz .LBB30_369
; %bb.368:                              ;   in Loop: Header=BB30_3 Depth=1
	ds_load_b128 v[38:41], v3 offset:22352
	ds_load_b64 v[92:93], v3 offset:21840
	v_add_nc_u32_e64 v2, 0x5000, 0
	s_wait_dscnt 0x0
	v_mul_f64_e32 v[40:41], v[92:93], v[40:41]
	s_delay_alu instid0(VALU_DEP_1)
	v_mul_f64_e32 v[38:39], v[38:39], v[40:41]
	ds_store_2addr_b64 v2, v[38:39], v[38:39] offset0:171 offset1:234
.LBB30_369:                             ;   in Loop: Header=BB30_3 Depth=1
	s_or_b32 exec_lo, exec_lo, s65
	v_mov_b64_e32 v[38:39], 0
	s_wait_dscnt 0x0
	s_barrier_signal -1
	s_barrier_wait -1
	global_wb scope:SCOPE_DEV
	s_wait_storecnt 0x0
	global_inv scope:SCOPE_DEV
	s_and_saveexec_b32 s65, s0
	s_cbranch_execz .LBB30_373
; %bb.370:                              ;   in Loop: Header=BB30_3 Depth=1
	ds_load_b64 v[38:39], v45 offset:21824
	ds_load_b64 v[40:41], v44 offset:22352
	s_wait_dscnt 0x0
	v_fma_f64 v[38:39], v[38:39], v[40:41], 0
	s_and_saveexec_b32 s47, s15
	s_cbranch_execz .LBB30_372
; %bb.371:                              ;   in Loop: Header=BB30_3 Depth=1
	ds_load_b64 v[40:41], v69 offset:22336
	ds_load_b64 v[92:93], v3 offset:22360
	s_wait_dscnt 0x0
	v_fmac_f64_e32 v[38:39], v[40:41], v[92:93]
.LBB30_372:                             ;   in Loop: Header=BB30_3 Depth=1
	s_or_b32 exec_lo, exec_lo, s47
.LBB30_373:                             ;   in Loop: Header=BB30_3 Depth=1
	s_delay_alu instid0(SALU_CYCLE_1)
	s_or_b32 exec_lo, exec_lo, s65
	s_and_saveexec_b32 s65, s92
	s_cbranch_execz .LBB30_375
; %bb.374:                              ;   in Loop: Header=BB30_3 Depth=1
	ds_load_b64 v[40:41], v3 offset:21320
	s_wait_dscnt 0x0
	v_mul_f64_e32 v[38:39], v[38:39], v[40:41]
	s_delay_alu instid0(VALU_DEP_1) | instskip(NEXT) | instid1(VALU_DEP_2)
	v_xor_b32_e32 v41, 0x80000000, v39
	v_mov_b32_e32 v40, v38
	ds_store_b64 v5, v[40:41]
.LBB30_375:                             ;   in Loop: Header=BB30_3 Depth=1
	s_or_b32 exec_lo, exec_lo, s65
	s_wait_loadcnt_dscnt 0x0
	s_barrier_signal -1
	s_barrier_wait -1
	s_and_saveexec_b32 s47, s93
	s_cbranch_execz .LBB30_377
; %bb.376:                              ;   in Loop: Header=BB30_3 Depth=1
	ds_load_b64 v[40:41], v3 offset:21312
	ds_load_b64 v[92:93], v5
	s_wait_dscnt 0x0
	v_fma_f64 v[38:39], -v[40:41], v[92:93], v[38:39]
.LBB30_377:                             ;   in Loop: Header=BB30_3 Depth=1
	s_or_b32 exec_lo, exec_lo, s47
	s_barrier_signal -1
	s_barrier_wait -1
	s_and_saveexec_b32 s65, s93
	s_cbranch_execz .LBB30_379
; %bb.378:                              ;   in Loop: Header=BB30_3 Depth=1
	ds_load_b64 v[40:41], v3 offset:20800
	s_wait_dscnt 0x0
	v_mul_f64_e32 v[38:39], v[38:39], v[40:41]
	s_delay_alu instid0(VALU_DEP_1) | instskip(NEXT) | instid1(VALU_DEP_2)
	v_xor_b32_e32 v41, 0x80000000, v39
	v_mov_b32_e32 v40, v38
	ds_store_b64 v5, v[40:41]
.LBB30_379:                             ;   in Loop: Header=BB30_3 Depth=1
	s_or_b32 exec_lo, exec_lo, s65
	s_wait_dscnt 0x0
	s_barrier_signal -1
	s_barrier_wait -1
	s_barrier_signal -1
	s_barrier_wait -1
	s_and_saveexec_b32 s47, s0
; %bb.380:                              ;   in Loop: Header=BB30_3 Depth=1
	ds_store_b64 v47, v[38:39] offset:22336
; %bb.381:                              ;   in Loop: Header=BB30_3 Depth=1
	s_or_b32 exec_lo, exec_lo, s47
	s_wait_dscnt 0x0
	s_barrier_signal -1
	s_barrier_wait -1
	s_barrier_signal -1
	s_barrier_wait -1
	s_and_saveexec_b32 s47, s94
	s_cbranch_execz .LBB30_383
; %bb.382:                              ;   in Loop: Header=BB30_3 Depth=1
	ds_load_b64 v[38:39], v70 offset:21824
	s_wait_dscnt 0x0
	ds_store_b64 v69, v[38:39] offset:20816
	ds_load_b64 v[38:39], v70 offset:21832
	s_wait_dscnt 0x0
	ds_store_b64 v69, v[38:39] offset:21328
.LBB30_383:                             ;   in Loop: Header=BB30_3 Depth=1
	s_or_b32 exec_lo, exec_lo, s47
	s_wait_dscnt 0x0
	s_barrier_signal -1
	s_barrier_wait -1
	s_and_saveexec_b32 s65, s14
	s_cbranch_execz .LBB30_385
; %bb.384:                              ;   in Loop: Header=BB30_3 Depth=1
	ds_load_b128 v[38:41], v3 offset:21312
	ds_load_b64 v[92:93], v3 offset:20800
	v_add_nc_u32_e64 v2, 0x5000, 0
	s_wait_dscnt 0x0
	v_mul_f64_e32 v[40:41], v[92:93], v[40:41]
	s_delay_alu instid0(VALU_DEP_1)
	v_mul_f64_e32 v[38:39], v[38:39], v[40:41]
	ds_store_2addr_b64 v2, v[38:39], v[38:39] offset0:41 offset1:104
.LBB30_385:                             ;   in Loop: Header=BB30_3 Depth=1
	s_or_b32 exec_lo, exec_lo, s65
	v_mov_b64_e32 v[38:39], 0
	s_wait_dscnt 0x0
	s_barrier_signal -1
	s_barrier_wait -1
	global_wb scope:SCOPE_DEV
	s_wait_storecnt 0x0
	global_inv scope:SCOPE_DEV
	s_and_saveexec_b32 s65, s3
	s_cbranch_execz .LBB30_395
; %bb.386:                              ;   in Loop: Header=BB30_3 Depth=1
	ds_load_b64 v[38:39], v55 offset:20736
	ds_load_b64 v[40:41], v54 offset:24384
	s_wait_dscnt 0x0
	v_fma_f64 v[38:39], v[38:39], v[40:41], 0
	s_and_saveexec_b32 s47, s18
	s_cbranch_execnz .LBB30_1115
; %bb.387:                              ;   in Loop: Header=BB30_3 Depth=1
	s_or_b32 exec_lo, exec_lo, s47
	s_and_saveexec_b32 s47, s19
	s_cbranch_execnz .LBB30_1116
.LBB30_388:                             ;   in Loop: Header=BB30_3 Depth=1
	s_or_b32 exec_lo, exec_lo, s47
	s_and_saveexec_b32 s47, s20
	s_cbranch_execnz .LBB30_1117
.LBB30_389:                             ;   in Loop: Header=BB30_3 Depth=1
	s_or_b32 exec_lo, exec_lo, s47
	s_and_saveexec_b32 s47, s21
	s_cbranch_execnz .LBB30_1118
.LBB30_390:                             ;   in Loop: Header=BB30_3 Depth=1
	s_or_b32 exec_lo, exec_lo, s47
	s_and_saveexec_b32 s47, s22
	s_cbranch_execnz .LBB30_1119
.LBB30_391:                             ;   in Loop: Header=BB30_3 Depth=1
	s_or_b32 exec_lo, exec_lo, s47
	s_and_saveexec_b32 s47, s2
	s_cbranch_execnz .LBB30_1120
.LBB30_392:                             ;   in Loop: Header=BB30_3 Depth=1
	s_or_b32 exec_lo, exec_lo, s47
	s_and_saveexec_b32 s47, s17
	s_cbranch_execz .LBB30_394
.LBB30_393:                             ;   in Loop: Header=BB30_3 Depth=1
	ds_load_b64 v[40:41], v71 offset:24320
	ds_load_b64 v[92:93], v3 offset:24440
	s_wait_dscnt 0x0
	v_fmac_f64_e32 v[38:39], v[40:41], v[92:93]
.LBB30_394:                             ;   in Loop: Header=BB30_3 Depth=1
	s_or_b32 exec_lo, exec_lo, s47
.LBB30_395:                             ;   in Loop: Header=BB30_3 Depth=1
	s_delay_alu instid0(SALU_CYCLE_1)
	s_or_b32 exec_lo, exec_lo, s65
	s_and_saveexec_b32 s65, s102
	s_cbranch_execz .LBB30_397
; %bb.396:                              ;   in Loop: Header=BB30_3 Depth=1
	ds_load_b64 v[40:41], v3 offset:20280
	s_wait_dscnt 0x0
	v_mul_f64_e32 v[38:39], v[38:39], v[40:41]
	s_delay_alu instid0(VALU_DEP_1) | instskip(NEXT) | instid1(VALU_DEP_2)
	v_xor_b32_e32 v41, 0x80000000, v39
	v_mov_b32_e32 v40, v38
	ds_store_b64 v53, v[40:41]
.LBB30_397:                             ;   in Loop: Header=BB30_3 Depth=1
	s_or_b32 exec_lo, exec_lo, s65
	s_wait_loadcnt_dscnt 0x0
	s_barrier_signal -1
	s_barrier_wait -1
	s_and_saveexec_b32 s47, s103
	s_cbranch_execz .LBB30_399
; %bb.398:                              ;   in Loop: Header=BB30_3 Depth=1
	ds_load_b64 v[40:41], v55 offset:20224
	ds_load_b64 v[92:93], v53
	s_wait_dscnt 0x0
	v_fma_f64 v[38:39], -v[40:41], v[92:93], v[38:39]
.LBB30_399:                             ;   in Loop: Header=BB30_3 Depth=1
	s_or_b32 exec_lo, exec_lo, s47
	s_barrier_signal -1
	s_barrier_wait -1
	s_and_saveexec_b32 s65, s104
	s_cbranch_execz .LBB30_401
; %bb.400:                              ;   in Loop: Header=BB30_3 Depth=1
	ds_load_b64 v[40:41], v3 offset:19760
	s_wait_dscnt 0x0
	v_mul_f64_e32 v[38:39], v[38:39], v[40:41]
	s_delay_alu instid0(VALU_DEP_1) | instskip(NEXT) | instid1(VALU_DEP_2)
	v_xor_b32_e32 v41, 0x80000000, v39
	v_mov_b32_e32 v40, v38
	ds_store_b64 v53, v[40:41]
.LBB30_401:                             ;   in Loop: Header=BB30_3 Depth=1
	s_or_b32 exec_lo, exec_lo, s65
	s_wait_dscnt 0x0
	s_barrier_signal -1
	s_barrier_wait -1
	s_and_saveexec_b32 s47, vcc_hi
	s_cbranch_execz .LBB30_403
; %bb.402:                              ;   in Loop: Header=BB30_3 Depth=1
	ds_load_b64 v[40:41], v55 offset:19712
	ds_load_b64 v[92:93], v53
	s_wait_dscnt 0x0
	v_fma_f64 v[38:39], -v[40:41], v[92:93], v[38:39]
.LBB30_403:                             ;   in Loop: Header=BB30_3 Depth=1
	s_or_b32 exec_lo, exec_lo, s47
	s_barrier_signal -1
	s_barrier_wait -1
	s_and_saveexec_b32 s65, s36
	s_cbranch_execz .LBB30_405
; %bb.404:                              ;   in Loop: Header=BB30_3 Depth=1
	ds_load_b64 v[40:41], v3 offset:19240
	s_wait_dscnt 0x0
	v_mul_f64_e32 v[38:39], v[38:39], v[40:41]
	s_delay_alu instid0(VALU_DEP_1) | instskip(NEXT) | instid1(VALU_DEP_2)
	v_xor_b32_e32 v41, 0x80000000, v39
	v_mov_b32_e32 v40, v38
	ds_store_b64 v53, v[40:41]
.LBB30_405:                             ;   in Loop: Header=BB30_3 Depth=1
	s_or_b32 exec_lo, exec_lo, s65
	s_wait_dscnt 0x0
	s_barrier_signal -1
	s_barrier_wait -1
	s_and_saveexec_b32 s47, s37
	s_cbranch_execz .LBB30_407
; %bb.406:                              ;   in Loop: Header=BB30_3 Depth=1
	ds_load_b64 v[40:41], v55 offset:19200
	ds_load_b64 v[92:93], v53
	s_wait_dscnt 0x0
	v_fma_f64 v[38:39], -v[40:41], v[92:93], v[38:39]
.LBB30_407:                             ;   in Loop: Header=BB30_3 Depth=1
	s_or_b32 exec_lo, exec_lo, s47
	s_barrier_signal -1
	s_barrier_wait -1
	s_and_saveexec_b32 s65, s38
	s_cbranch_execz .LBB30_409
; %bb.408:                              ;   in Loop: Header=BB30_3 Depth=1
	ds_load_b64 v[40:41], v3 offset:18720
	s_wait_dscnt 0x0
	v_mul_f64_e32 v[38:39], v[38:39], v[40:41]
	s_delay_alu instid0(VALU_DEP_1) | instskip(NEXT) | instid1(VALU_DEP_2)
	v_xor_b32_e32 v41, 0x80000000, v39
	v_mov_b32_e32 v40, v38
	ds_store_b64 v53, v[40:41]
.LBB30_409:                             ;   in Loop: Header=BB30_3 Depth=1
	s_or_b32 exec_lo, exec_lo, s65
	s_wait_dscnt 0x0
	s_barrier_signal -1
	s_barrier_wait -1
	s_and_saveexec_b32 s47, s39
	s_cbranch_execz .LBB30_411
; %bb.410:                              ;   in Loop: Header=BB30_3 Depth=1
	ds_load_b64 v[40:41], v55 offset:18688
	ds_load_b64 v[92:93], v53
	s_wait_dscnt 0x0
	v_fma_f64 v[38:39], -v[40:41], v[92:93], v[38:39]
.LBB30_411:                             ;   in Loop: Header=BB30_3 Depth=1
	s_or_b32 exec_lo, exec_lo, s47
	s_barrier_signal -1
	s_barrier_wait -1
	s_and_saveexec_b32 s65, s40
	s_cbranch_execz .LBB30_413
; %bb.412:                              ;   in Loop: Header=BB30_3 Depth=1
	ds_load_b64 v[40:41], v3 offset:18200
	s_wait_dscnt 0x0
	v_mul_f64_e32 v[38:39], v[38:39], v[40:41]
	s_delay_alu instid0(VALU_DEP_1) | instskip(NEXT) | instid1(VALU_DEP_2)
	v_xor_b32_e32 v41, 0x80000000, v39
	v_mov_b32_e32 v40, v38
	ds_store_b64 v53, v[40:41]
.LBB30_413:                             ;   in Loop: Header=BB30_3 Depth=1
	s_or_b32 exec_lo, exec_lo, s65
	s_wait_dscnt 0x0
	s_barrier_signal -1
	s_barrier_wait -1
	s_and_saveexec_b32 s47, s41
	s_cbranch_execz .LBB30_415
; %bb.414:                              ;   in Loop: Header=BB30_3 Depth=1
	ds_load_b64 v[40:41], v55 offset:18176
	ds_load_b64 v[92:93], v53
	s_wait_dscnt 0x0
	v_fma_f64 v[38:39], -v[40:41], v[92:93], v[38:39]
.LBB30_415:                             ;   in Loop: Header=BB30_3 Depth=1
	s_or_b32 exec_lo, exec_lo, s47
	s_barrier_signal -1
	s_barrier_wait -1
	s_and_saveexec_b32 s65, s42
	s_cbranch_execz .LBB30_417
; %bb.416:                              ;   in Loop: Header=BB30_3 Depth=1
	ds_load_b64 v[40:41], v3 offset:17680
	s_wait_dscnt 0x0
	v_mul_f64_e32 v[38:39], v[38:39], v[40:41]
	s_delay_alu instid0(VALU_DEP_1) | instskip(NEXT) | instid1(VALU_DEP_2)
	v_xor_b32_e32 v41, 0x80000000, v39
	v_mov_b32_e32 v40, v38
	ds_store_b64 v53, v[40:41]
.LBB30_417:                             ;   in Loop: Header=BB30_3 Depth=1
	s_or_b32 exec_lo, exec_lo, s65
	s_wait_dscnt 0x0
	s_barrier_signal -1
	s_barrier_wait -1
	s_and_saveexec_b32 s47, s43
	s_cbranch_execz .LBB30_419
; %bb.418:                              ;   in Loop: Header=BB30_3 Depth=1
	ds_load_b64 v[40:41], v55 offset:17664
	ds_load_b64 v[92:93], v53
	s_wait_dscnt 0x0
	v_fma_f64 v[38:39], -v[40:41], v[92:93], v[38:39]
.LBB30_419:                             ;   in Loop: Header=BB30_3 Depth=1
	s_or_b32 exec_lo, exec_lo, s47
	s_barrier_signal -1
	s_barrier_wait -1
	s_and_saveexec_b32 s65, s44
	s_cbranch_execz .LBB30_421
; %bb.420:                              ;   in Loop: Header=BB30_3 Depth=1
	ds_load_b64 v[40:41], v3 offset:17160
	s_wait_dscnt 0x0
	v_mul_f64_e32 v[38:39], v[38:39], v[40:41]
	s_delay_alu instid0(VALU_DEP_1) | instskip(NEXT) | instid1(VALU_DEP_2)
	v_xor_b32_e32 v41, 0x80000000, v39
	v_mov_b32_e32 v40, v38
	ds_store_b64 v53, v[40:41]
.LBB30_421:                             ;   in Loop: Header=BB30_3 Depth=1
	s_or_b32 exec_lo, exec_lo, s65
	s_wait_dscnt 0x0
	s_barrier_signal -1
	s_barrier_wait -1
	s_and_saveexec_b32 s47, s45
	s_cbranch_execz .LBB30_423
; %bb.422:                              ;   in Loop: Header=BB30_3 Depth=1
	ds_load_b64 v[40:41], v3 offset:17152
	ds_load_b64 v[92:93], v53
	s_wait_dscnt 0x0
	v_fma_f64 v[38:39], -v[40:41], v[92:93], v[38:39]
.LBB30_423:                             ;   in Loop: Header=BB30_3 Depth=1
	s_or_b32 exec_lo, exec_lo, s47
	s_barrier_signal -1
	s_barrier_wait -1
	s_and_saveexec_b32 s65, s45
	s_cbranch_execz .LBB30_425
; %bb.424:                              ;   in Loop: Header=BB30_3 Depth=1
	ds_load_b64 v[40:41], v3 offset:16640
	s_wait_dscnt 0x0
	v_mul_f64_e32 v[38:39], v[38:39], v[40:41]
	s_delay_alu instid0(VALU_DEP_1) | instskip(NEXT) | instid1(VALU_DEP_2)
	v_xor_b32_e32 v41, 0x80000000, v39
	v_mov_b32_e32 v40, v38
	ds_store_b64 v53, v[40:41]
.LBB30_425:                             ;   in Loop: Header=BB30_3 Depth=1
	s_or_b32 exec_lo, exec_lo, s65
	s_wait_dscnt 0x0
	s_barrier_signal -1
	s_barrier_wait -1
	s_barrier_signal -1
	s_barrier_wait -1
	s_and_saveexec_b32 s47, s3
; %bb.426:                              ;   in Loop: Header=BB30_3 Depth=1
	ds_store_b64 v56, v[38:39] offset:24320
; %bb.427:                              ;   in Loop: Header=BB30_3 Depth=1
	s_or_b32 exec_lo, exec_lo, s47
	s_wait_dscnt 0x0
	s_barrier_signal -1
	s_barrier_wait -1
	s_barrier_signal -1
	s_barrier_wait -1
	s_and_saveexec_b32 s65, s46
	s_cbranch_execz .LBB30_429
; %bb.428:                              ;   in Loop: Header=BB30_3 Depth=1
	ds_load_b64 v[38:39], v72 offset:20736
	s_wait_dscnt 0x0
	ds_store_b64 v73, v[38:39] offset:16704
	ds_load_b64 v[38:39], v72 offset:20744
	s_wait_dscnt 0x0
	ds_store_b64 v73, v[38:39] offset:17216
	;; [unrolled: 3-line block ×8, first 2 shown]
.LBB30_429:                             ;   in Loop: Header=BB30_3 Depth=1
	s_or_b32 exec_lo, exec_lo, s65
	s_wait_dscnt 0x0
	s_barrier_signal -1
	s_barrier_wait -1
	s_and_saveexec_b32 s65, s14
	s_cbranch_execz .LBB30_431
; %bb.430:                              ;   in Loop: Header=BB30_3 Depth=1
	ds_load_b128 v[38:41], v3 offset:20272
	ds_load_b64 v[92:93], v3 offset:19760
	v_add_nc_u32_e64 v2, 0x4800, 0
	s_wait_dscnt 0x0
	v_mul_f64_e32 v[40:41], v[92:93], v[40:41]
	s_delay_alu instid0(VALU_DEP_1)
	v_mul_f64_e32 v[38:39], v[38:39], v[40:41]
	ds_store_2addr_b64 v2, v[38:39], v[38:39] offset0:167 offset1:230
.LBB30_431:                             ;   in Loop: Header=BB30_3 Depth=1
	s_or_b32 exec_lo, exec_lo, s65
	v_mov_b64_e32 v[38:39], 0
	s_wait_dscnt 0x0
	s_barrier_signal -1
	s_barrier_wait -1
	global_wb scope:SCOPE_DEV
	s_wait_storecnt 0x0
	global_inv scope:SCOPE_DEV
	s_and_saveexec_b32 s65, s0
	s_cbranch_execz .LBB30_435
; %bb.432:                              ;   in Loop: Header=BB30_3 Depth=1
	ds_load_b64 v[38:39], v45 offset:19744
	ds_load_b64 v[40:41], v44 offset:20272
	s_wait_dscnt 0x0
	v_fma_f64 v[38:39], v[38:39], v[40:41], 0
	s_and_saveexec_b32 s47, s15
	s_cbranch_execz .LBB30_434
; %bb.433:                              ;   in Loop: Header=BB30_3 Depth=1
	ds_load_b64 v[40:41], v73 offset:20256
	ds_load_b64 v[92:93], v3 offset:20280
	s_wait_dscnt 0x0
	v_fmac_f64_e32 v[38:39], v[40:41], v[92:93]
.LBB30_434:                             ;   in Loop: Header=BB30_3 Depth=1
	s_or_b32 exec_lo, exec_lo, s47
.LBB30_435:                             ;   in Loop: Header=BB30_3 Depth=1
	s_delay_alu instid0(SALU_CYCLE_1)
	s_or_b32 exec_lo, exec_lo, s65
	s_and_saveexec_b32 s65, s92
	s_cbranch_execz .LBB30_437
; %bb.436:                              ;   in Loop: Header=BB30_3 Depth=1
	ds_load_b64 v[40:41], v3 offset:19240
	s_wait_dscnt 0x0
	v_mul_f64_e32 v[38:39], v[38:39], v[40:41]
	s_delay_alu instid0(VALU_DEP_1) | instskip(NEXT) | instid1(VALU_DEP_2)
	v_xor_b32_e32 v41, 0x80000000, v39
	v_mov_b32_e32 v40, v38
	ds_store_b64 v5, v[40:41]
.LBB30_437:                             ;   in Loop: Header=BB30_3 Depth=1
	s_or_b32 exec_lo, exec_lo, s65
	s_wait_loadcnt_dscnt 0x0
	s_barrier_signal -1
	s_barrier_wait -1
	s_and_saveexec_b32 s47, s93
	s_cbranch_execz .LBB30_439
; %bb.438:                              ;   in Loop: Header=BB30_3 Depth=1
	ds_load_b64 v[40:41], v3 offset:19232
	ds_load_b64 v[92:93], v5
	s_wait_dscnt 0x0
	v_fma_f64 v[38:39], -v[40:41], v[92:93], v[38:39]
.LBB30_439:                             ;   in Loop: Header=BB30_3 Depth=1
	s_or_b32 exec_lo, exec_lo, s47
	s_barrier_signal -1
	s_barrier_wait -1
	s_and_saveexec_b32 s65, s93
	s_cbranch_execz .LBB30_441
; %bb.440:                              ;   in Loop: Header=BB30_3 Depth=1
	ds_load_b64 v[40:41], v3 offset:18720
	s_wait_dscnt 0x0
	v_mul_f64_e32 v[38:39], v[38:39], v[40:41]
	s_delay_alu instid0(VALU_DEP_1) | instskip(NEXT) | instid1(VALU_DEP_2)
	v_xor_b32_e32 v41, 0x80000000, v39
	v_mov_b32_e32 v40, v38
	ds_store_b64 v5, v[40:41]
.LBB30_441:                             ;   in Loop: Header=BB30_3 Depth=1
	s_or_b32 exec_lo, exec_lo, s65
	s_wait_dscnt 0x0
	s_barrier_signal -1
	s_barrier_wait -1
	s_barrier_signal -1
	s_barrier_wait -1
	s_and_saveexec_b32 s47, s0
; %bb.442:                              ;   in Loop: Header=BB30_3 Depth=1
	ds_store_b64 v47, v[38:39] offset:20256
; %bb.443:                              ;   in Loop: Header=BB30_3 Depth=1
	s_or_b32 exec_lo, exec_lo, s47
	s_wait_dscnt 0x0
	s_barrier_signal -1
	s_barrier_wait -1
	s_barrier_signal -1
	s_barrier_wait -1
	s_and_saveexec_b32 s47, s94
	s_cbranch_execz .LBB30_445
; %bb.444:                              ;   in Loop: Header=BB30_3 Depth=1
	ds_load_b64 v[38:39], v74 offset:19744
	s_wait_dscnt 0x0
	ds_store_b64 v73, v[38:39] offset:18736
	ds_load_b64 v[38:39], v74 offset:19752
	s_wait_dscnt 0x0
	ds_store_b64 v73, v[38:39] offset:19248
.LBB30_445:                             ;   in Loop: Header=BB30_3 Depth=1
	s_or_b32 exec_lo, exec_lo, s47
	s_wait_dscnt 0x0
	s_barrier_signal -1
	s_barrier_wait -1
	s_and_saveexec_b32 s65, s14
	s_cbranch_execz .LBB30_447
; %bb.446:                              ;   in Loop: Header=BB30_3 Depth=1
	ds_load_b128 v[38:41], v3 offset:19232
	ds_load_b64 v[92:93], v3 offset:18720
	v_add_nc_u32_e64 v2, 0x4800, 0
	s_wait_dscnt 0x0
	v_mul_f64_e32 v[40:41], v[92:93], v[40:41]
	s_delay_alu instid0(VALU_DEP_1)
	v_mul_f64_e32 v[38:39], v[38:39], v[40:41]
	ds_store_2addr_b64 v2, v[38:39], v[38:39] offset0:37 offset1:100
.LBB30_447:                             ;   in Loop: Header=BB30_3 Depth=1
	s_or_b32 exec_lo, exec_lo, s65
	v_mov_b64_e32 v[38:39], 0
	s_wait_dscnt 0x0
	s_barrier_signal -1
	s_barrier_wait -1
	global_wb scope:SCOPE_DEV
	s_wait_storecnt 0x0
	global_inv scope:SCOPE_DEV
	s_and_saveexec_b32 s65, s2
	s_cbranch_execz .LBB30_453
; %bb.448:                              ;   in Loop: Header=BB30_3 Depth=1
	ds_load_b64 v[38:39], v51 offset:18688
	ds_load_b64 v[40:41], v50 offset:20256
	s_wait_dscnt 0x0
	v_fma_f64 v[38:39], v[38:39], v[40:41], 0
	s_and_saveexec_b32 s47, s16
	s_cbranch_execnz .LBB30_1121
; %bb.449:                              ;   in Loop: Header=BB30_3 Depth=1
	s_or_b32 exec_lo, exec_lo, s47
	s_and_saveexec_b32 s47, s17
	s_cbranch_execnz .LBB30_1122
.LBB30_450:                             ;   in Loop: Header=BB30_3 Depth=1
	s_or_b32 exec_lo, exec_lo, s47
	s_and_saveexec_b32 s47, s0
	s_cbranch_execz .LBB30_452
.LBB30_451:                             ;   in Loop: Header=BB30_3 Depth=1
	ds_load_b64 v[40:41], v75 offset:20224
	ds_load_b64 v[92:93], v3 offset:20280
	s_wait_dscnt 0x0
	v_fmac_f64_e32 v[38:39], v[40:41], v[92:93]
.LBB30_452:                             ;   in Loop: Header=BB30_3 Depth=1
	s_or_b32 exec_lo, exec_lo, s47
.LBB30_453:                             ;   in Loop: Header=BB30_3 Depth=1
	s_delay_alu instid0(SALU_CYCLE_1)
	s_or_b32 exec_lo, exec_lo, s65
	s_and_saveexec_b32 s65, s95
	s_cbranch_execz .LBB30_455
; %bb.454:                              ;   in Loop: Header=BB30_3 Depth=1
	ds_load_b64 v[40:41], v3 offset:18200
	s_wait_dscnt 0x0
	v_mul_f64_e32 v[38:39], v[38:39], v[40:41]
	s_delay_alu instid0(VALU_DEP_1) | instskip(NEXT) | instid1(VALU_DEP_2)
	v_xor_b32_e32 v41, 0x80000000, v39
	v_mov_b32_e32 v40, v38
	ds_store_b64 v49, v[40:41]
.LBB30_455:                             ;   in Loop: Header=BB30_3 Depth=1
	s_or_b32 exec_lo, exec_lo, s65
	s_wait_loadcnt_dscnt 0x0
	s_barrier_signal -1
	s_barrier_wait -1
	s_and_saveexec_b32 s47, s96
	s_cbranch_execz .LBB30_457
; %bb.456:                              ;   in Loop: Header=BB30_3 Depth=1
	ds_load_b64 v[40:41], v51 offset:18176
	ds_load_b64 v[92:93], v49
	s_wait_dscnt 0x0
	v_fma_f64 v[38:39], -v[40:41], v[92:93], v[38:39]
.LBB30_457:                             ;   in Loop: Header=BB30_3 Depth=1
	s_or_b32 exec_lo, exec_lo, s47
	s_barrier_signal -1
	s_barrier_wait -1
	s_and_saveexec_b32 s65, s97
	s_cbranch_execz .LBB30_459
; %bb.458:                              ;   in Loop: Header=BB30_3 Depth=1
	ds_load_b64 v[40:41], v3 offset:17680
	s_wait_dscnt 0x0
	v_mul_f64_e32 v[38:39], v[38:39], v[40:41]
	s_delay_alu instid0(VALU_DEP_1) | instskip(NEXT) | instid1(VALU_DEP_2)
	v_xor_b32_e32 v41, 0x80000000, v39
	v_mov_b32_e32 v40, v38
	ds_store_b64 v49, v[40:41]
.LBB30_459:                             ;   in Loop: Header=BB30_3 Depth=1
	s_or_b32 exec_lo, exec_lo, s65
	s_wait_dscnt 0x0
	s_barrier_signal -1
	s_barrier_wait -1
	s_and_saveexec_b32 s47, s98
	s_cbranch_execz .LBB30_461
; %bb.460:                              ;   in Loop: Header=BB30_3 Depth=1
	ds_load_b64 v[40:41], v51 offset:17664
	ds_load_b64 v[92:93], v49
	s_wait_dscnt 0x0
	v_fma_f64 v[38:39], -v[40:41], v[92:93], v[38:39]
.LBB30_461:                             ;   in Loop: Header=BB30_3 Depth=1
	s_or_b32 exec_lo, exec_lo, s47
	s_barrier_signal -1
	s_barrier_wait -1
	s_and_saveexec_b32 s65, s99
	s_cbranch_execz .LBB30_463
; %bb.462:                              ;   in Loop: Header=BB30_3 Depth=1
	ds_load_b64 v[40:41], v3 offset:17160
	s_wait_dscnt 0x0
	v_mul_f64_e32 v[38:39], v[38:39], v[40:41]
	s_delay_alu instid0(VALU_DEP_1) | instskip(NEXT) | instid1(VALU_DEP_2)
	v_xor_b32_e32 v41, 0x80000000, v39
	v_mov_b32_e32 v40, v38
	ds_store_b64 v49, v[40:41]
.LBB30_463:                             ;   in Loop: Header=BB30_3 Depth=1
	s_or_b32 exec_lo, exec_lo, s65
	s_wait_dscnt 0x0
	;; [unrolled: 26-line block ×3, first 2 shown]
	s_barrier_signal -1
	s_barrier_wait -1
	s_barrier_signal -1
	s_barrier_wait -1
	s_and_saveexec_b32 s47, s2
; %bb.468:                              ;   in Loop: Header=BB30_3 Depth=1
	ds_store_b64 v52, v[38:39] offset:20224
; %bb.469:                              ;   in Loop: Header=BB30_3 Depth=1
	s_or_b32 exec_lo, exec_lo, s47
	s_wait_dscnt 0x0
	s_barrier_signal -1
	s_barrier_wait -1
	s_barrier_signal -1
	s_barrier_wait -1
	s_and_saveexec_b32 s65, s101
	s_cbranch_execz .LBB30_471
; %bb.470:                              ;   in Loop: Header=BB30_3 Depth=1
	ds_load_b64 v[38:39], v79 offset:18688
	s_wait_dscnt 0x0
	ds_store_b64 v82, v[38:39] offset:16672
	ds_load_b64 v[38:39], v79 offset:18696
	s_wait_dscnt 0x0
	ds_store_b64 v82, v[38:39] offset:17184
	;; [unrolled: 3-line block ×4, first 2 shown]
.LBB30_471:                             ;   in Loop: Header=BB30_3 Depth=1
	s_or_b32 exec_lo, exec_lo, s65
	s_wait_dscnt 0x0
	s_barrier_signal -1
	s_barrier_wait -1
	s_and_saveexec_b32 s65, s14
	s_cbranch_execz .LBB30_473
; %bb.472:                              ;   in Loop: Header=BB30_3 Depth=1
	ds_load_b128 v[38:41], v3 offset:18192
	ds_load_b64 v[92:93], v3 offset:17680
	v_add_nc_u32_e64 v2, 0x4000, 0
	s_wait_dscnt 0x0
	v_mul_f64_e32 v[40:41], v[92:93], v[40:41]
	s_delay_alu instid0(VALU_DEP_1)
	v_mul_f64_e32 v[38:39], v[38:39], v[40:41]
	ds_store_2addr_b64 v2, v[38:39], v[38:39] offset0:163 offset1:226
.LBB30_473:                             ;   in Loop: Header=BB30_3 Depth=1
	s_or_b32 exec_lo, exec_lo, s65
	v_mov_b64_e32 v[38:39], 0
	s_wait_dscnt 0x0
	s_barrier_signal -1
	s_barrier_wait -1
	global_wb scope:SCOPE_DEV
	s_wait_storecnt 0x0
	global_inv scope:SCOPE_DEV
	s_and_saveexec_b32 s65, s0
	s_cbranch_execz .LBB30_477
; %bb.474:                              ;   in Loop: Header=BB30_3 Depth=1
	ds_load_b64 v[38:39], v45 offset:17664
	ds_load_b64 v[40:41], v44 offset:18192
	s_wait_dscnt 0x0
	v_fma_f64 v[38:39], v[38:39], v[40:41], 0
	s_and_saveexec_b32 s47, s15
	s_cbranch_execz .LBB30_476
; %bb.475:                              ;   in Loop: Header=BB30_3 Depth=1
	ds_load_b64 v[40:41], v82 offset:18176
	ds_load_b64 v[92:93], v3 offset:18200
	s_wait_dscnt 0x0
	v_fmac_f64_e32 v[38:39], v[40:41], v[92:93]
.LBB30_476:                             ;   in Loop: Header=BB30_3 Depth=1
	s_or_b32 exec_lo, exec_lo, s47
.LBB30_477:                             ;   in Loop: Header=BB30_3 Depth=1
	s_delay_alu instid0(SALU_CYCLE_1)
	s_or_b32 exec_lo, exec_lo, s65
	s_and_saveexec_b32 s65, s92
	s_cbranch_execz .LBB30_479
; %bb.478:                              ;   in Loop: Header=BB30_3 Depth=1
	ds_load_b64 v[40:41], v3 offset:17160
	s_wait_dscnt 0x0
	v_mul_f64_e32 v[38:39], v[38:39], v[40:41]
	s_delay_alu instid0(VALU_DEP_1) | instskip(NEXT) | instid1(VALU_DEP_2)
	v_xor_b32_e32 v41, 0x80000000, v39
	v_mov_b32_e32 v40, v38
	ds_store_b64 v5, v[40:41]
.LBB30_479:                             ;   in Loop: Header=BB30_3 Depth=1
	s_or_b32 exec_lo, exec_lo, s65
	s_wait_loadcnt_dscnt 0x0
	s_barrier_signal -1
	s_barrier_wait -1
	s_and_saveexec_b32 s47, s93
	s_cbranch_execz .LBB30_481
; %bb.480:                              ;   in Loop: Header=BB30_3 Depth=1
	ds_load_b64 v[40:41], v3 offset:17152
	ds_load_b64 v[92:93], v5
	s_wait_dscnt 0x0
	v_fma_f64 v[38:39], -v[40:41], v[92:93], v[38:39]
.LBB30_481:                             ;   in Loop: Header=BB30_3 Depth=1
	s_or_b32 exec_lo, exec_lo, s47
	s_barrier_signal -1
	s_barrier_wait -1
	s_and_saveexec_b32 s65, s93
	s_cbranch_execz .LBB30_483
; %bb.482:                              ;   in Loop: Header=BB30_3 Depth=1
	ds_load_b64 v[40:41], v3 offset:16640
	s_wait_dscnt 0x0
	v_mul_f64_e32 v[38:39], v[38:39], v[40:41]
	s_delay_alu instid0(VALU_DEP_1) | instskip(NEXT) | instid1(VALU_DEP_2)
	v_xor_b32_e32 v41, 0x80000000, v39
	v_mov_b32_e32 v40, v38
	ds_store_b64 v5, v[40:41]
.LBB30_483:                             ;   in Loop: Header=BB30_3 Depth=1
	s_or_b32 exec_lo, exec_lo, s65
	s_wait_dscnt 0x0
	s_barrier_signal -1
	s_barrier_wait -1
	s_barrier_signal -1
	s_barrier_wait -1
	s_and_saveexec_b32 s47, s0
; %bb.484:                              ;   in Loop: Header=BB30_3 Depth=1
	ds_store_b64 v47, v[38:39] offset:18176
; %bb.485:                              ;   in Loop: Header=BB30_3 Depth=1
	s_or_b32 exec_lo, exec_lo, s47
	s_wait_dscnt 0x0
	s_barrier_signal -1
	s_barrier_wait -1
	s_barrier_signal -1
	s_barrier_wait -1
	s_and_saveexec_b32 s47, s94
	s_cbranch_execz .LBB30_487
; %bb.486:                              ;   in Loop: Header=BB30_3 Depth=1
	ds_load_b64 v[38:39], v83 offset:17664
	s_wait_dscnt 0x0
	ds_store_b64 v82, v[38:39] offset:16656
	ds_load_b64 v[38:39], v83 offset:17672
	s_wait_dscnt 0x0
	ds_store_b64 v82, v[38:39] offset:17168
.LBB30_487:                             ;   in Loop: Header=BB30_3 Depth=1
	s_or_b32 exec_lo, exec_lo, s47
	s_wait_dscnt 0x0
	s_barrier_signal -1
	s_barrier_wait -1
	s_and_saveexec_b32 s65, s14
	s_cbranch_execz .LBB30_489
; %bb.488:                              ;   in Loop: Header=BB30_3 Depth=1
	ds_load_b128 v[38:41], v3 offset:17152
	ds_load_b64 v[92:93], v3 offset:16640
	v_add_nc_u32_e64 v2, 0x4000, 0
	s_wait_dscnt 0x0
	v_mul_f64_e32 v[40:41], v[92:93], v[40:41]
	s_delay_alu instid0(VALU_DEP_1)
	v_mul_f64_e32 v[38:39], v[38:39], v[40:41]
	ds_store_2addr_b64 v2, v[38:39], v[38:39] offset0:33 offset1:96
.LBB30_489:                             ;   in Loop: Header=BB30_3 Depth=1
	s_or_b32 exec_lo, exec_lo, s65
	v_mov_b64_e32 v[38:39], 0
	s_wait_dscnt 0x0
	s_barrier_signal -1
	s_barrier_wait -1
	global_wb scope:SCOPE_DEV
	s_wait_storecnt 0x0
	global_inv scope:SCOPE_DEV
	s_and_saveexec_b32 s65, s35
	s_cbranch_execz .LBB30_551
; %bb.490:                              ;   in Loop: Header=BB30_3 Depth=1
	ds_load_b64 v[38:39], v62 offset:16384
	ds_load_b64 v[40:41], v63 offset:32512
	s_wait_dscnt 0x0
	v_fma_f64 v[38:39], v[38:39], v[40:41], 0
	s_mov_b32 s47, exec_lo
	v_readlane_b32 s82, v100, 4
	s_and_b32 s82, s47, s82
	s_delay_alu instid0(SALU_CYCLE_1)
	s_mov_b32 exec_lo, s82
	s_cbranch_execz .LBB30_492
; %bb.491:                              ;   in Loop: Header=BB30_3 Depth=1
	ds_load_b64 v[40:41], v62 offset:16896
	ds_load_b64 v[92:93], v63 offset:32520
	s_wait_dscnt 0x0
	v_fmac_f64_e32 v[38:39], v[40:41], v[92:93]
.LBB30_492:                             ;   in Loop: Header=BB30_3 Depth=1
	s_or_b32 exec_lo, exec_lo, s47
	s_delay_alu instid0(SALU_CYCLE_1) | instskip(SKIP_2) | instid1(SALU_CYCLE_1)
	s_mov_b32 s47, exec_lo
	v_readlane_b32 s82, v100, 5
	s_and_b32 s82, s47, s82
	s_mov_b32 exec_lo, s82
	s_cbranch_execz .LBB30_494
; %bb.493:                              ;   in Loop: Header=BB30_3 Depth=1
	ds_load_b64 v[40:41], v62 offset:17408
	ds_load_b64 v[92:93], v63 offset:32528
	s_wait_dscnt 0x0
	v_fmac_f64_e32 v[38:39], v[40:41], v[92:93]
.LBB30_494:                             ;   in Loop: Header=BB30_3 Depth=1
	s_or_b32 exec_lo, exec_lo, s47
	s_delay_alu instid0(SALU_CYCLE_1) | instskip(SKIP_2) | instid1(SALU_CYCLE_1)
	s_mov_b32 s47, exec_lo
	v_readlane_b32 s82, v100, 6
	s_and_b32 s82, s47, s82
	;; [unrolled: 13-line block ×22, first 2 shown]
	s_mov_b32 exec_lo, s82
	s_cbranch_execz .LBB30_536
; %bb.535:                              ;   in Loop: Header=BB30_3 Depth=1
	ds_load_b64 v[40:41], v62 offset:28160
	ds_load_b64 v[92:93], v63 offset:32696
	s_wait_dscnt 0x0
	v_fmac_f64_e32 v[38:39], v[40:41], v[92:93]
.LBB30_536:                             ;   in Loop: Header=BB30_3 Depth=1
	s_or_b32 exec_lo, exec_lo, s47
	s_and_saveexec_b32 s47, s4
	s_cbranch_execz .LBB30_538
; %bb.537:                              ;   in Loop: Header=BB30_3 Depth=1
	ds_load_b64 v[40:41], v62 offset:28672
	ds_load_b64 v[92:93], v63 offset:32704
	s_wait_dscnt 0x0
	v_fmac_f64_e32 v[38:39], v[40:41], v[92:93]
.LBB30_538:                             ;   in Loop: Header=BB30_3 Depth=1
	s_or_b32 exec_lo, exec_lo, s47
	s_delay_alu instid0(SALU_CYCLE_1) | instskip(SKIP_2) | instid1(SALU_CYCLE_1)
	s_mov_b32 s47, exec_lo
	v_readlane_b32 s82, v101, 26
	s_and_b32 s82, s47, s82
	s_mov_b32 exec_lo, s82
	s_cbranch_execz .LBB30_540
; %bb.539:                              ;   in Loop: Header=BB30_3 Depth=1
	ds_load_b64 v[40:41], v62 offset:29184
	ds_load_b64 v[92:93], v63 offset:32712
	s_wait_dscnt 0x0
	v_fmac_f64_e32 v[38:39], v[40:41], v[92:93]
.LBB30_540:                             ;   in Loop: Header=BB30_3 Depth=1
	s_or_b32 exec_lo, exec_lo, s47
	s_delay_alu instid0(SALU_CYCLE_1) | instskip(SKIP_2) | instid1(SALU_CYCLE_1)
	s_mov_b32 s47, exec_lo
	v_readlane_b32 s82, v101, 28
	s_and_b32 s82, s47, s82
	s_mov_b32 exec_lo, s82
	;; [unrolled: 13-line block ×5, first 2 shown]
	s_cbranch_execnz .LBB30_1123
; %bb.547:                              ;   in Loop: Header=BB30_3 Depth=1
	s_or_b32 exec_lo, exec_lo, s47
	s_and_saveexec_b32 s47, s3
	s_cbranch_execnz .LBB30_1124
.LBB30_548:                             ;   in Loop: Header=BB30_3 Depth=1
	s_or_b32 exec_lo, exec_lo, s47
	s_and_saveexec_b32 s47, s21
	s_delay_alu instid0(SALU_CYCLE_1)
	s_xor_b32 s47, exec_lo, s47
	s_cbranch_execz .LBB30_550
.LBB30_549:                             ;   in Loop: Header=BB30_3 Depth=1
	ds_load_b64 v[40:41], v46 offset:32256
	ds_load_b64 v[92:93], v3 offset:32760
	s_wait_dscnt 0x0
	v_fmac_f64_e32 v[38:39], v[40:41], v[92:93]
.LBB30_550:                             ;   in Loop: Header=BB30_3 Depth=1
	s_or_b32 exec_lo, exec_lo, s47
.LBB30_551:                             ;   in Loop: Header=BB30_3 Depth=1
	s_delay_alu instid0(SALU_CYCLE_1)
	s_or_b32 exec_lo, exec_lo, s65
	v_mov_b32_e32 v2, v66
	s_mov_b32 s65, 31
	s_branch .LBB30_553
.LBB30_552:                             ;   in Loop: Header=BB30_553 Depth=2
	s_or_b32 exec_lo, exec_lo, s47
	v_add_nc_u32_e32 v2, 0xfffff800, v2
	s_add_co_i32 s65, s65, -4
	s_cmp_eq_u32 s82, 0
	s_barrier_signal -1
	s_barrier_wait -1
	s_cbranch_scc1 .LBB30_569
.LBB30_553:                             ;   Parent Loop BB30_3 Depth=1
                                        ; =>  This Inner Loop Header: Depth=2
	s_delay_alu instid0(VALU_DEP_1) | instskip(SKIP_1) | instid1(SALU_CYCLE_1)
	v_cmp_eq_u32_e32 vcc_lo, 0xffffc200, v2
	s_and_b32 s47, s64, vcc_lo
	s_and_saveexec_b32 s82, s47
	s_cbranch_execz .LBB30_555
; %bb.554:                              ;   in Loop: Header=BB30_553 Depth=2
	ds_load_b64 v[40:41], v86
	s_wait_dscnt 0x0
	v_mul_f64_e32 v[38:39], v[38:39], v[40:41]
	s_delay_alu instid0(VALU_DEP_1) | instskip(NEXT) | instid1(VALU_DEP_2)
	v_xor_b32_e32 v41, 0x80000000, v39
	v_mov_b32_e32 v40, v38
	ds_store_b64 v61, v[40:41]
.LBB30_555:                             ;   in Loop: Header=BB30_553 Depth=2
	s_or_b32 exec_lo, exec_lo, s82
	v_cmp_gt_u32_e32 vcc_lo, s65, v7
	v_add_nc_u32_e32 v40, v64, v2
	s_wait_loadcnt_dscnt 0x0
	s_barrier_signal -1
	s_barrier_wait -1
	s_and_b32 s82, s64, vcc_lo
	s_delay_alu instid0(SALU_CYCLE_1)
	s_and_saveexec_b32 s47, s82
	s_cbranch_execz .LBB30_557
; %bb.556:                              ;   in Loop: Header=BB30_553 Depth=2
	ds_load_b64 v[92:93], v40 offset:1536
	ds_load_b64 v[94:95], v61
	s_wait_dscnt 0x0
	v_fma_f64 v[38:39], -v[92:93], v[94:95], v[38:39]
.LBB30_557:                             ;   in Loop: Header=BB30_553 Depth=2
	s_or_b32 exec_lo, exec_lo, s47
	s_add_co_i32 s82, s65, -1
	s_delay_alu instid0(SALU_CYCLE_1) | instskip(SKIP_3) | instid1(SALU_CYCLE_1)
	v_cmp_eq_u32_e32 vcc_lo, s82, v7
	s_barrier_signal -1
	s_barrier_wait -1
	s_and_b32 s47, s64, vcc_lo
	s_and_saveexec_b32 s83, s47
	s_cbranch_execz .LBB30_559
; %bb.558:                              ;   in Loop: Header=BB30_553 Depth=2
	ds_load_b64 v[92:93], v86
	s_wait_dscnt 0x0
	v_mul_f64_e32 v[38:39], v[38:39], v[92:93]
	s_delay_alu instid0(VALU_DEP_1) | instskip(NEXT) | instid1(VALU_DEP_2)
	v_xor_b32_e32 v93, 0x80000000, v39
	v_mov_b32_e32 v92, v38
	ds_store_b64 v61, v[92:93]
.LBB30_559:                             ;   in Loop: Header=BB30_553 Depth=2
	s_or_b32 exec_lo, exec_lo, s83
	v_cmp_gt_u32_e32 vcc_lo, s82, v7
	s_wait_dscnt 0x0
	s_barrier_signal -1
	s_barrier_wait -1
	s_and_b32 s82, s64, vcc_lo
	s_delay_alu instid0(SALU_CYCLE_1)
	s_and_saveexec_b32 s47, s82
	s_cbranch_execz .LBB30_561
; %bb.560:                              ;   in Loop: Header=BB30_553 Depth=2
	ds_load_b64 v[92:93], v40 offset:1024
	ds_load_b64 v[94:95], v61
	s_wait_dscnt 0x0
	v_fma_f64 v[38:39], -v[92:93], v[94:95], v[38:39]
.LBB30_561:                             ;   in Loop: Header=BB30_553 Depth=2
	s_or_b32 exec_lo, exec_lo, s47
	s_add_co_i32 s82, s65, -2
	s_delay_alu instid0(SALU_CYCLE_1) | instskip(SKIP_3) | instid1(SALU_CYCLE_1)
	v_cmp_eq_u32_e32 vcc_lo, s82, v7
	s_barrier_signal -1
	s_barrier_wait -1
	s_and_b32 s47, s64, vcc_lo
	s_and_saveexec_b32 s83, s47
	s_cbranch_execz .LBB30_563
; %bb.562:                              ;   in Loop: Header=BB30_553 Depth=2
	ds_load_b64 v[92:93], v86
	s_wait_dscnt 0x0
	v_mul_f64_e32 v[38:39], v[38:39], v[92:93]
	s_delay_alu instid0(VALU_DEP_1) | instskip(NEXT) | instid1(VALU_DEP_2)
	v_xor_b32_e32 v93, 0x80000000, v39
	v_mov_b32_e32 v92, v38
	ds_store_b64 v61, v[92:93]
.LBB30_563:                             ;   in Loop: Header=BB30_553 Depth=2
	s_or_b32 exec_lo, exec_lo, s83
	v_cmp_gt_u32_e32 vcc_lo, s82, v7
	s_wait_dscnt 0x0
	;; [unrolled: 33-line block ×3, first 2 shown]
	s_barrier_signal -1
	s_barrier_wait -1
	s_and_b32 s83, s64, vcc_lo
	s_delay_alu instid0(SALU_CYCLE_1)
	s_and_saveexec_b32 s47, s83
	s_cbranch_execz .LBB30_552
; %bb.568:                              ;   in Loop: Header=BB30_553 Depth=2
	ds_load_b64 v[40:41], v40
	ds_load_b64 v[92:93], v61
	s_wait_dscnt 0x0
	v_fma_f64 v[38:39], -v[40:41], v[92:93], v[38:39]
	s_branch .LBB30_552
.LBB30_569:                             ;   in Loop: Header=BB30_3 Depth=1
	s_and_saveexec_b32 s47, s35
; %bb.570:                              ;   in Loop: Header=BB30_3 Depth=1
	ds_store_b64 v67, v[38:39] offset:32256
; %bb.571:                              ;   in Loop: Header=BB30_3 Depth=1
	s_or_b32 exec_lo, exec_lo, s47
	s_wait_dscnt 0x0
	s_barrier_signal -1
	s_barrier_wait -1
	s_barrier_signal -1
	s_barrier_wait -1
	s_mov_b32 s65, exec_lo
	v_readlane_b32 s47, v101, 7
	s_and_b32 s47, s65, s47
	s_delay_alu instid0(SALU_CYCLE_1)
	s_mov_b32 exec_lo, s47
	s_cbranch_execz .LBB30_573
; %bb.572:                              ;   in Loop: Header=BB30_3 Depth=1
	ds_load_b64 v[38:39], v48 offset:16384
	s_wait_dscnt 0x0
	ds_store_b64 v65, v[38:39] offset:256
	ds_load_b64 v[38:39], v48 offset:16392
	s_wait_dscnt 0x0
	ds_store_b64 v65, v[38:39] offset:768
	;; [unrolled: 3-line block ×32, first 2 shown]
.LBB30_573:                             ;   in Loop: Header=BB30_3 Depth=1
	s_or_b32 exec_lo, exec_lo, s65
	s_wait_dscnt 0x0
	s_barrier_signal -1
	s_barrier_wait -1
	s_and_saveexec_b32 s65, s14
	s_cbranch_execz .LBB30_575
; %bb.574:                              ;   in Loop: Header=BB30_3 Depth=1
	ds_load_b128 v[38:41], v3 offset:16112
	ds_load_b64 v[92:93], v3 offset:15600
	v_add_nc_u32_e64 v2, 0x3800, 0
	s_wait_dscnt 0x0
	v_mul_f64_e32 v[40:41], v[92:93], v[40:41]
	s_delay_alu instid0(VALU_DEP_1)
	v_mul_f64_e32 v[38:39], v[38:39], v[40:41]
	ds_store_2addr_b64 v2, v[38:39], v[38:39] offset0:159 offset1:222
.LBB30_575:                             ;   in Loop: Header=BB30_3 Depth=1
	s_or_b32 exec_lo, exec_lo, s65
	v_mov_b64_e32 v[38:39], 0
	s_wait_dscnt 0x0
	s_barrier_signal -1
	s_barrier_wait -1
	global_wb scope:SCOPE_DEV
	s_wait_storecnt 0x0
	global_inv scope:SCOPE_DEV
	s_and_saveexec_b32 s65, s0
	s_cbranch_execz .LBB30_579
; %bb.576:                              ;   in Loop: Header=BB30_3 Depth=1
	ds_load_b64 v[38:39], v45 offset:15584
	ds_load_b64 v[40:41], v44 offset:16112
	s_wait_dscnt 0x0
	v_fma_f64 v[38:39], v[38:39], v[40:41], 0
	s_and_saveexec_b32 s47, s15
	s_cbranch_execz .LBB30_578
; %bb.577:                              ;   in Loop: Header=BB30_3 Depth=1
	ds_load_b64 v[40:41], v46 offset:16096
	ds_load_b64 v[92:93], v3 offset:16120
	s_wait_dscnt 0x0
	v_fmac_f64_e32 v[38:39], v[40:41], v[92:93]
.LBB30_578:                             ;   in Loop: Header=BB30_3 Depth=1
	s_or_b32 exec_lo, exec_lo, s47
.LBB30_579:                             ;   in Loop: Header=BB30_3 Depth=1
	s_delay_alu instid0(SALU_CYCLE_1)
	s_or_b32 exec_lo, exec_lo, s65
	s_and_saveexec_b32 s65, s92
	s_cbranch_execz .LBB30_581
; %bb.580:                              ;   in Loop: Header=BB30_3 Depth=1
	ds_load_b64 v[40:41], v3 offset:15080
	s_wait_dscnt 0x0
	v_mul_f64_e32 v[38:39], v[38:39], v[40:41]
	s_delay_alu instid0(VALU_DEP_1) | instskip(NEXT) | instid1(VALU_DEP_2)
	v_xor_b32_e32 v41, 0x80000000, v39
	v_mov_b32_e32 v40, v38
	ds_store_b64 v5, v[40:41]
.LBB30_581:                             ;   in Loop: Header=BB30_3 Depth=1
	s_or_b32 exec_lo, exec_lo, s65
	s_wait_loadcnt_dscnt 0x0
	s_barrier_signal -1
	s_barrier_wait -1
	s_and_saveexec_b32 s47, s93
	s_cbranch_execz .LBB30_583
; %bb.582:                              ;   in Loop: Header=BB30_3 Depth=1
	ds_load_b64 v[40:41], v3 offset:15072
	ds_load_b64 v[92:93], v5
	s_wait_dscnt 0x0
	v_fma_f64 v[38:39], -v[40:41], v[92:93], v[38:39]
.LBB30_583:                             ;   in Loop: Header=BB30_3 Depth=1
	s_or_b32 exec_lo, exec_lo, s47
	s_barrier_signal -1
	s_barrier_wait -1
	s_and_saveexec_b32 s65, s93
	s_cbranch_execz .LBB30_585
; %bb.584:                              ;   in Loop: Header=BB30_3 Depth=1
	ds_load_b64 v[40:41], v3 offset:14560
	s_wait_dscnt 0x0
	v_mul_f64_e32 v[38:39], v[38:39], v[40:41]
	s_delay_alu instid0(VALU_DEP_1) | instskip(NEXT) | instid1(VALU_DEP_2)
	v_xor_b32_e32 v41, 0x80000000, v39
	v_mov_b32_e32 v40, v38
	ds_store_b64 v5, v[40:41]
.LBB30_585:                             ;   in Loop: Header=BB30_3 Depth=1
	s_or_b32 exec_lo, exec_lo, s65
	s_wait_dscnt 0x0
	s_barrier_signal -1
	s_barrier_wait -1
	s_barrier_signal -1
	s_barrier_wait -1
	s_and_saveexec_b32 s47, s0
; %bb.586:                              ;   in Loop: Header=BB30_3 Depth=1
	ds_store_b64 v47, v[38:39] offset:16096
; %bb.587:                              ;   in Loop: Header=BB30_3 Depth=1
	s_or_b32 exec_lo, exec_lo, s47
	s_wait_dscnt 0x0
	s_barrier_signal -1
	s_barrier_wait -1
	s_barrier_signal -1
	s_barrier_wait -1
	s_and_saveexec_b32 s47, s94
	s_cbranch_execz .LBB30_589
; %bb.588:                              ;   in Loop: Header=BB30_3 Depth=1
	ds_load_b64 v[38:39], v48 offset:15584
	s_wait_dscnt 0x0
	ds_store_b64 v46, v[38:39] offset:14576
	ds_load_b64 v[38:39], v48 offset:15592
	s_wait_dscnt 0x0
	ds_store_b64 v46, v[38:39] offset:15088
.LBB30_589:                             ;   in Loop: Header=BB30_3 Depth=1
	s_or_b32 exec_lo, exec_lo, s47
	s_wait_dscnt 0x0
	s_barrier_signal -1
	s_barrier_wait -1
	s_and_saveexec_b32 s65, s14
	s_cbranch_execz .LBB30_591
; %bb.590:                              ;   in Loop: Header=BB30_3 Depth=1
	ds_load_b128 v[38:41], v3 offset:15072
	ds_load_b64 v[92:93], v3 offset:14560
	v_add_nc_u32_e64 v2, 0x3800, 0
	s_wait_dscnt 0x0
	v_mul_f64_e32 v[40:41], v[92:93], v[40:41]
	s_delay_alu instid0(VALU_DEP_1)
	v_mul_f64_e32 v[38:39], v[38:39], v[40:41]
	ds_store_2addr_b64 v2, v[38:39], v[38:39] offset0:29 offset1:92
.LBB30_591:                             ;   in Loop: Header=BB30_3 Depth=1
	s_or_b32 exec_lo, exec_lo, s65
	v_mov_b64_e32 v[38:39], 0
	s_wait_dscnt 0x0
	s_barrier_signal -1
	s_barrier_wait -1
	global_wb scope:SCOPE_DEV
	s_wait_storecnt 0x0
	global_inv scope:SCOPE_DEV
	s_and_saveexec_b32 s65, s2
	s_cbranch_execz .LBB30_597
; %bb.592:                              ;   in Loop: Header=BB30_3 Depth=1
	ds_load_b64 v[38:39], v51 offset:14528
	ds_load_b64 v[40:41], v50 offset:16096
	s_wait_dscnt 0x0
	v_fma_f64 v[38:39], v[38:39], v[40:41], 0
	s_and_saveexec_b32 s47, s16
	s_cbranch_execnz .LBB30_1125
; %bb.593:                              ;   in Loop: Header=BB30_3 Depth=1
	s_or_b32 exec_lo, exec_lo, s47
	s_and_saveexec_b32 s47, s17
	s_cbranch_execnz .LBB30_1126
.LBB30_594:                             ;   in Loop: Header=BB30_3 Depth=1
	s_or_b32 exec_lo, exec_lo, s47
	s_and_saveexec_b32 s47, s0
	s_cbranch_execz .LBB30_596
.LBB30_595:                             ;   in Loop: Header=BB30_3 Depth=1
	ds_load_b64 v[40:41], v65 offset:16064
	ds_load_b64 v[92:93], v3 offset:16120
	s_wait_dscnt 0x0
	v_fmac_f64_e32 v[38:39], v[40:41], v[92:93]
.LBB30_596:                             ;   in Loop: Header=BB30_3 Depth=1
	s_or_b32 exec_lo, exec_lo, s47
.LBB30_597:                             ;   in Loop: Header=BB30_3 Depth=1
	s_delay_alu instid0(SALU_CYCLE_1)
	s_or_b32 exec_lo, exec_lo, s65
	s_and_saveexec_b32 s65, s95
	s_cbranch_execz .LBB30_599
; %bb.598:                              ;   in Loop: Header=BB30_3 Depth=1
	ds_load_b64 v[40:41], v3 offset:14040
	s_wait_dscnt 0x0
	v_mul_f64_e32 v[38:39], v[38:39], v[40:41]
	s_delay_alu instid0(VALU_DEP_1) | instskip(NEXT) | instid1(VALU_DEP_2)
	v_xor_b32_e32 v41, 0x80000000, v39
	v_mov_b32_e32 v40, v38
	ds_store_b64 v49, v[40:41]
.LBB30_599:                             ;   in Loop: Header=BB30_3 Depth=1
	s_or_b32 exec_lo, exec_lo, s65
	s_wait_loadcnt_dscnt 0x0
	s_barrier_signal -1
	s_barrier_wait -1
	s_and_saveexec_b32 s47, s96
	s_cbranch_execz .LBB30_601
; %bb.600:                              ;   in Loop: Header=BB30_3 Depth=1
	ds_load_b64 v[40:41], v51 offset:14016
	ds_load_b64 v[92:93], v49
	s_wait_dscnt 0x0
	v_fma_f64 v[38:39], -v[40:41], v[92:93], v[38:39]
.LBB30_601:                             ;   in Loop: Header=BB30_3 Depth=1
	s_or_b32 exec_lo, exec_lo, s47
	s_barrier_signal -1
	s_barrier_wait -1
	s_and_saveexec_b32 s65, s97
	s_cbranch_execz .LBB30_603
; %bb.602:                              ;   in Loop: Header=BB30_3 Depth=1
	ds_load_b64 v[40:41], v3 offset:13520
	s_wait_dscnt 0x0
	v_mul_f64_e32 v[38:39], v[38:39], v[40:41]
	s_delay_alu instid0(VALU_DEP_1) | instskip(NEXT) | instid1(VALU_DEP_2)
	v_xor_b32_e32 v41, 0x80000000, v39
	v_mov_b32_e32 v40, v38
	ds_store_b64 v49, v[40:41]
.LBB30_603:                             ;   in Loop: Header=BB30_3 Depth=1
	s_or_b32 exec_lo, exec_lo, s65
	s_wait_dscnt 0x0
	s_barrier_signal -1
	s_barrier_wait -1
	s_and_saveexec_b32 s47, s98
	s_cbranch_execz .LBB30_605
; %bb.604:                              ;   in Loop: Header=BB30_3 Depth=1
	ds_load_b64 v[40:41], v51 offset:13504
	ds_load_b64 v[92:93], v49
	s_wait_dscnt 0x0
	v_fma_f64 v[38:39], -v[40:41], v[92:93], v[38:39]
.LBB30_605:                             ;   in Loop: Header=BB30_3 Depth=1
	s_or_b32 exec_lo, exec_lo, s47
	s_barrier_signal -1
	s_barrier_wait -1
	s_and_saveexec_b32 s65, s99
	s_cbranch_execz .LBB30_607
; %bb.606:                              ;   in Loop: Header=BB30_3 Depth=1
	ds_load_b64 v[40:41], v3 offset:13000
	s_wait_dscnt 0x0
	v_mul_f64_e32 v[38:39], v[38:39], v[40:41]
	s_delay_alu instid0(VALU_DEP_1) | instskip(NEXT) | instid1(VALU_DEP_2)
	v_xor_b32_e32 v41, 0x80000000, v39
	v_mov_b32_e32 v40, v38
	ds_store_b64 v49, v[40:41]
.LBB30_607:                             ;   in Loop: Header=BB30_3 Depth=1
	s_or_b32 exec_lo, exec_lo, s65
	s_wait_dscnt 0x0
	;; [unrolled: 26-line block ×3, first 2 shown]
	s_barrier_signal -1
	s_barrier_wait -1
	s_barrier_signal -1
	s_barrier_wait -1
	s_and_saveexec_b32 s47, s2
; %bb.612:                              ;   in Loop: Header=BB30_3 Depth=1
	ds_store_b64 v52, v[38:39] offset:16064
; %bb.613:                              ;   in Loop: Header=BB30_3 Depth=1
	s_or_b32 exec_lo, exec_lo, s47
	s_wait_dscnt 0x0
	s_barrier_signal -1
	s_barrier_wait -1
	s_barrier_signal -1
	s_barrier_wait -1
	s_and_saveexec_b32 s65, s101
	s_cbranch_execz .LBB30_615
; %bb.614:                              ;   in Loop: Header=BB30_3 Depth=1
	ds_load_b64 v[38:39], v68 offset:14528
	s_wait_dscnt 0x0
	ds_store_b64 v69, v[38:39] offset:12512
	ds_load_b64 v[38:39], v68 offset:14536
	s_wait_dscnt 0x0
	ds_store_b64 v69, v[38:39] offset:13024
	;; [unrolled: 3-line block ×4, first 2 shown]
.LBB30_615:                             ;   in Loop: Header=BB30_3 Depth=1
	s_or_b32 exec_lo, exec_lo, s65
	s_wait_dscnt 0x0
	s_barrier_signal -1
	s_barrier_wait -1
	s_and_saveexec_b32 s65, s14
	s_cbranch_execz .LBB30_617
; %bb.616:                              ;   in Loop: Header=BB30_3 Depth=1
	ds_load_b128 v[38:41], v3 offset:14032
	ds_load_b64 v[92:93], v3 offset:13520
	v_add_nc_u32_e64 v2, 0x3000, 0
	s_wait_dscnt 0x0
	v_mul_f64_e32 v[40:41], v[92:93], v[40:41]
	s_delay_alu instid0(VALU_DEP_1)
	v_mul_f64_e32 v[38:39], v[38:39], v[40:41]
	ds_store_2addr_b64 v2, v[38:39], v[38:39] offset0:155 offset1:218
.LBB30_617:                             ;   in Loop: Header=BB30_3 Depth=1
	s_or_b32 exec_lo, exec_lo, s65
	v_mov_b64_e32 v[38:39], 0
	s_wait_dscnt 0x0
	s_barrier_signal -1
	s_barrier_wait -1
	global_wb scope:SCOPE_DEV
	s_wait_storecnt 0x0
	global_inv scope:SCOPE_DEV
	s_and_saveexec_b32 s65, s0
	s_cbranch_execz .LBB30_621
; %bb.618:                              ;   in Loop: Header=BB30_3 Depth=1
	ds_load_b64 v[38:39], v45 offset:13504
	ds_load_b64 v[40:41], v44 offset:14032
	s_wait_dscnt 0x0
	v_fma_f64 v[38:39], v[38:39], v[40:41], 0
	s_and_saveexec_b32 s47, s15
	s_cbranch_execz .LBB30_620
; %bb.619:                              ;   in Loop: Header=BB30_3 Depth=1
	ds_load_b64 v[40:41], v69 offset:14016
	ds_load_b64 v[92:93], v3 offset:14040
	s_wait_dscnt 0x0
	v_fmac_f64_e32 v[38:39], v[40:41], v[92:93]
.LBB30_620:                             ;   in Loop: Header=BB30_3 Depth=1
	s_or_b32 exec_lo, exec_lo, s47
.LBB30_621:                             ;   in Loop: Header=BB30_3 Depth=1
	s_delay_alu instid0(SALU_CYCLE_1)
	s_or_b32 exec_lo, exec_lo, s65
	s_and_saveexec_b32 s65, s92
	s_cbranch_execz .LBB30_623
; %bb.622:                              ;   in Loop: Header=BB30_3 Depth=1
	ds_load_b64 v[40:41], v3 offset:13000
	s_wait_dscnt 0x0
	v_mul_f64_e32 v[38:39], v[38:39], v[40:41]
	s_delay_alu instid0(VALU_DEP_1) | instskip(NEXT) | instid1(VALU_DEP_2)
	v_xor_b32_e32 v41, 0x80000000, v39
	v_mov_b32_e32 v40, v38
	ds_store_b64 v5, v[40:41]
.LBB30_623:                             ;   in Loop: Header=BB30_3 Depth=1
	s_or_b32 exec_lo, exec_lo, s65
	s_wait_loadcnt_dscnt 0x0
	s_barrier_signal -1
	s_barrier_wait -1
	s_and_saveexec_b32 s47, s93
	s_cbranch_execz .LBB30_625
; %bb.624:                              ;   in Loop: Header=BB30_3 Depth=1
	ds_load_b64 v[40:41], v3 offset:12992
	ds_load_b64 v[92:93], v5
	s_wait_dscnt 0x0
	v_fma_f64 v[38:39], -v[40:41], v[92:93], v[38:39]
.LBB30_625:                             ;   in Loop: Header=BB30_3 Depth=1
	s_or_b32 exec_lo, exec_lo, s47
	s_barrier_signal -1
	s_barrier_wait -1
	s_and_saveexec_b32 s65, s93
	s_cbranch_execz .LBB30_627
; %bb.626:                              ;   in Loop: Header=BB30_3 Depth=1
	ds_load_b64 v[40:41], v3 offset:12480
	s_wait_dscnt 0x0
	v_mul_f64_e32 v[38:39], v[38:39], v[40:41]
	s_delay_alu instid0(VALU_DEP_1) | instskip(NEXT) | instid1(VALU_DEP_2)
	v_xor_b32_e32 v41, 0x80000000, v39
	v_mov_b32_e32 v40, v38
	ds_store_b64 v5, v[40:41]
.LBB30_627:                             ;   in Loop: Header=BB30_3 Depth=1
	s_or_b32 exec_lo, exec_lo, s65
	s_wait_dscnt 0x0
	s_barrier_signal -1
	s_barrier_wait -1
	s_barrier_signal -1
	s_barrier_wait -1
	s_and_saveexec_b32 s47, s0
; %bb.628:                              ;   in Loop: Header=BB30_3 Depth=1
	ds_store_b64 v47, v[38:39] offset:14016
; %bb.629:                              ;   in Loop: Header=BB30_3 Depth=1
	s_or_b32 exec_lo, exec_lo, s47
	s_wait_dscnt 0x0
	s_barrier_signal -1
	s_barrier_wait -1
	s_barrier_signal -1
	s_barrier_wait -1
	s_and_saveexec_b32 s47, s94
	s_cbranch_execz .LBB30_631
; %bb.630:                              ;   in Loop: Header=BB30_3 Depth=1
	ds_load_b64 v[38:39], v70 offset:13504
	s_wait_dscnt 0x0
	ds_store_b64 v69, v[38:39] offset:12496
	ds_load_b64 v[38:39], v70 offset:13512
	s_wait_dscnt 0x0
	ds_store_b64 v69, v[38:39] offset:13008
.LBB30_631:                             ;   in Loop: Header=BB30_3 Depth=1
	s_or_b32 exec_lo, exec_lo, s47
	s_wait_dscnt 0x0
	s_barrier_signal -1
	s_barrier_wait -1
	s_and_saveexec_b32 s65, s14
	s_cbranch_execz .LBB30_633
; %bb.632:                              ;   in Loop: Header=BB30_3 Depth=1
	ds_load_b128 v[38:41], v3 offset:12992
	ds_load_b64 v[92:93], v3 offset:12480
	v_add_nc_u32_e64 v2, 0x3000, 0
	s_wait_dscnt 0x0
	v_mul_f64_e32 v[40:41], v[92:93], v[40:41]
	s_delay_alu instid0(VALU_DEP_1)
	v_mul_f64_e32 v[38:39], v[38:39], v[40:41]
	ds_store_2addr_b64 v2, v[38:39], v[38:39] offset0:25 offset1:88
.LBB30_633:                             ;   in Loop: Header=BB30_3 Depth=1
	s_or_b32 exec_lo, exec_lo, s65
	v_mov_b64_e32 v[38:39], 0
	s_wait_dscnt 0x0
	s_barrier_signal -1
	s_barrier_wait -1
	global_wb scope:SCOPE_DEV
	s_wait_storecnt 0x0
	global_inv scope:SCOPE_DEV
	s_and_saveexec_b32 s65, s3
	s_cbranch_execz .LBB30_643
; %bb.634:                              ;   in Loop: Header=BB30_3 Depth=1
	ds_load_b64 v[38:39], v55 offset:12416
	ds_load_b64 v[40:41], v54 offset:16064
	s_wait_dscnt 0x0
	v_fma_f64 v[38:39], v[38:39], v[40:41], 0
	s_and_saveexec_b32 s47, s18
	s_cbranch_execnz .LBB30_1127
; %bb.635:                              ;   in Loop: Header=BB30_3 Depth=1
	s_or_b32 exec_lo, exec_lo, s47
	s_and_saveexec_b32 s47, s19
	s_cbranch_execnz .LBB30_1128
.LBB30_636:                             ;   in Loop: Header=BB30_3 Depth=1
	s_or_b32 exec_lo, exec_lo, s47
	s_and_saveexec_b32 s47, s20
	s_cbranch_execnz .LBB30_1129
.LBB30_637:                             ;   in Loop: Header=BB30_3 Depth=1
	s_or_b32 exec_lo, exec_lo, s47
	s_and_saveexec_b32 s47, s21
	s_cbranch_execnz .LBB30_1130
.LBB30_638:                             ;   in Loop: Header=BB30_3 Depth=1
	s_or_b32 exec_lo, exec_lo, s47
	s_and_saveexec_b32 s47, s22
	s_cbranch_execnz .LBB30_1131
.LBB30_639:                             ;   in Loop: Header=BB30_3 Depth=1
	s_or_b32 exec_lo, exec_lo, s47
	s_and_saveexec_b32 s47, s2
	s_cbranch_execnz .LBB30_1132
.LBB30_640:                             ;   in Loop: Header=BB30_3 Depth=1
	s_or_b32 exec_lo, exec_lo, s47
	s_and_saveexec_b32 s47, s17
	s_cbranch_execz .LBB30_642
.LBB30_641:                             ;   in Loop: Header=BB30_3 Depth=1
	ds_load_b64 v[40:41], v71 offset:16000
	ds_load_b64 v[92:93], v3 offset:16120
	s_wait_dscnt 0x0
	v_fmac_f64_e32 v[38:39], v[40:41], v[92:93]
.LBB30_642:                             ;   in Loop: Header=BB30_3 Depth=1
	s_or_b32 exec_lo, exec_lo, s47
.LBB30_643:                             ;   in Loop: Header=BB30_3 Depth=1
	s_delay_alu instid0(SALU_CYCLE_1)
	s_or_b32 exec_lo, exec_lo, s65
	s_and_saveexec_b32 s65, s102
	s_cbranch_execz .LBB30_645
; %bb.644:                              ;   in Loop: Header=BB30_3 Depth=1
	ds_load_b64 v[40:41], v3 offset:11960
	s_wait_dscnt 0x0
	v_mul_f64_e32 v[38:39], v[38:39], v[40:41]
	s_delay_alu instid0(VALU_DEP_1) | instskip(NEXT) | instid1(VALU_DEP_2)
	v_xor_b32_e32 v41, 0x80000000, v39
	v_mov_b32_e32 v40, v38
	ds_store_b64 v53, v[40:41]
.LBB30_645:                             ;   in Loop: Header=BB30_3 Depth=1
	s_or_b32 exec_lo, exec_lo, s65
	s_wait_loadcnt_dscnt 0x0
	s_barrier_signal -1
	s_barrier_wait -1
	s_and_saveexec_b32 s47, s103
	s_cbranch_execz .LBB30_647
; %bb.646:                              ;   in Loop: Header=BB30_3 Depth=1
	ds_load_b64 v[40:41], v55 offset:11904
	ds_load_b64 v[92:93], v53
	s_wait_dscnt 0x0
	v_fma_f64 v[38:39], -v[40:41], v[92:93], v[38:39]
.LBB30_647:                             ;   in Loop: Header=BB30_3 Depth=1
	s_or_b32 exec_lo, exec_lo, s47
	s_barrier_signal -1
	s_barrier_wait -1
	s_and_saveexec_b32 s65, s104
	s_cbranch_execz .LBB30_649
; %bb.648:                              ;   in Loop: Header=BB30_3 Depth=1
	ds_load_b64 v[40:41], v3 offset:11440
	s_wait_dscnt 0x0
	v_mul_f64_e32 v[38:39], v[38:39], v[40:41]
	s_delay_alu instid0(VALU_DEP_1) | instskip(NEXT) | instid1(VALU_DEP_2)
	v_xor_b32_e32 v41, 0x80000000, v39
	v_mov_b32_e32 v40, v38
	ds_store_b64 v53, v[40:41]
.LBB30_649:                             ;   in Loop: Header=BB30_3 Depth=1
	s_or_b32 exec_lo, exec_lo, s65
	s_wait_dscnt 0x0
	s_barrier_signal -1
	s_barrier_wait -1
	s_and_saveexec_b32 s47, vcc_hi
	s_cbranch_execz .LBB30_651
; %bb.650:                              ;   in Loop: Header=BB30_3 Depth=1
	ds_load_b64 v[40:41], v55 offset:11392
	ds_load_b64 v[92:93], v53
	s_wait_dscnt 0x0
	v_fma_f64 v[38:39], -v[40:41], v[92:93], v[38:39]
.LBB30_651:                             ;   in Loop: Header=BB30_3 Depth=1
	s_or_b32 exec_lo, exec_lo, s47
	s_barrier_signal -1
	s_barrier_wait -1
	s_and_saveexec_b32 s65, s36
	s_cbranch_execz .LBB30_653
; %bb.652:                              ;   in Loop: Header=BB30_3 Depth=1
	ds_load_b64 v[40:41], v3 offset:10920
	s_wait_dscnt 0x0
	v_mul_f64_e32 v[38:39], v[38:39], v[40:41]
	s_delay_alu instid0(VALU_DEP_1) | instskip(NEXT) | instid1(VALU_DEP_2)
	v_xor_b32_e32 v41, 0x80000000, v39
	v_mov_b32_e32 v40, v38
	ds_store_b64 v53, v[40:41]
.LBB30_653:                             ;   in Loop: Header=BB30_3 Depth=1
	s_or_b32 exec_lo, exec_lo, s65
	s_wait_dscnt 0x0
	s_barrier_signal -1
	s_barrier_wait -1
	s_and_saveexec_b32 s47, s37
	s_cbranch_execz .LBB30_655
; %bb.654:                              ;   in Loop: Header=BB30_3 Depth=1
	ds_load_b64 v[40:41], v55 offset:10880
	ds_load_b64 v[92:93], v53
	s_wait_dscnt 0x0
	v_fma_f64 v[38:39], -v[40:41], v[92:93], v[38:39]
.LBB30_655:                             ;   in Loop: Header=BB30_3 Depth=1
	s_or_b32 exec_lo, exec_lo, s47
	s_barrier_signal -1
	s_barrier_wait -1
	s_and_saveexec_b32 s65, s38
	s_cbranch_execz .LBB30_657
; %bb.656:                              ;   in Loop: Header=BB30_3 Depth=1
	ds_load_b64 v[40:41], v3 offset:10400
	s_wait_dscnt 0x0
	v_mul_f64_e32 v[38:39], v[38:39], v[40:41]
	s_delay_alu instid0(VALU_DEP_1) | instskip(NEXT) | instid1(VALU_DEP_2)
	v_xor_b32_e32 v41, 0x80000000, v39
	v_mov_b32_e32 v40, v38
	ds_store_b64 v53, v[40:41]
.LBB30_657:                             ;   in Loop: Header=BB30_3 Depth=1
	s_or_b32 exec_lo, exec_lo, s65
	s_wait_dscnt 0x0
	s_barrier_signal -1
	s_barrier_wait -1
	s_and_saveexec_b32 s47, s39
	;; [unrolled: 26-line block ×5, first 2 shown]
	s_cbranch_execz .LBB30_671
; %bb.670:                              ;   in Loop: Header=BB30_3 Depth=1
	ds_load_b64 v[40:41], v3 offset:8832
	ds_load_b64 v[92:93], v53
	s_wait_dscnt 0x0
	v_fma_f64 v[38:39], -v[40:41], v[92:93], v[38:39]
.LBB30_671:                             ;   in Loop: Header=BB30_3 Depth=1
	s_or_b32 exec_lo, exec_lo, s47
	s_barrier_signal -1
	s_barrier_wait -1
	s_and_saveexec_b32 s65, s45
	s_cbranch_execz .LBB30_673
; %bb.672:                              ;   in Loop: Header=BB30_3 Depth=1
	ds_load_b64 v[40:41], v3 offset:8320
	s_wait_dscnt 0x0
	v_mul_f64_e32 v[38:39], v[38:39], v[40:41]
	s_delay_alu instid0(VALU_DEP_1) | instskip(NEXT) | instid1(VALU_DEP_2)
	v_xor_b32_e32 v41, 0x80000000, v39
	v_mov_b32_e32 v40, v38
	ds_store_b64 v53, v[40:41]
.LBB30_673:                             ;   in Loop: Header=BB30_3 Depth=1
	s_or_b32 exec_lo, exec_lo, s65
	s_wait_dscnt 0x0
	s_barrier_signal -1
	s_barrier_wait -1
	s_barrier_signal -1
	s_barrier_wait -1
	s_and_saveexec_b32 s47, s3
; %bb.674:                              ;   in Loop: Header=BB30_3 Depth=1
	ds_store_b64 v56, v[38:39] offset:16000
; %bb.675:                              ;   in Loop: Header=BB30_3 Depth=1
	s_or_b32 exec_lo, exec_lo, s47
	s_wait_dscnt 0x0
	s_barrier_signal -1
	s_barrier_wait -1
	s_barrier_signal -1
	s_barrier_wait -1
	s_and_saveexec_b32 s65, s46
	s_cbranch_execz .LBB30_677
; %bb.676:                              ;   in Loop: Header=BB30_3 Depth=1
	ds_load_b64 v[38:39], v72 offset:12416
	s_wait_dscnt 0x0
	ds_store_b64 v73, v[38:39] offset:8384
	ds_load_b64 v[38:39], v72 offset:12424
	s_wait_dscnt 0x0
	ds_store_b64 v73, v[38:39] offset:8896
	;; [unrolled: 3-line block ×8, first 2 shown]
.LBB30_677:                             ;   in Loop: Header=BB30_3 Depth=1
	s_or_b32 exec_lo, exec_lo, s65
	s_wait_dscnt 0x0
	s_barrier_signal -1
	s_barrier_wait -1
	s_and_saveexec_b32 s65, s14
	s_cbranch_execz .LBB30_679
; %bb.678:                              ;   in Loop: Header=BB30_3 Depth=1
	ds_load_b128 v[38:41], v3 offset:11952
	ds_load_b64 v[92:93], v3 offset:11440
	v_add_nc_u32_e64 v2, 0x2800, 0
	s_wait_dscnt 0x0
	v_mul_f64_e32 v[40:41], v[92:93], v[40:41]
	s_delay_alu instid0(VALU_DEP_1)
	v_mul_f64_e32 v[38:39], v[38:39], v[40:41]
	ds_store_2addr_b64 v2, v[38:39], v[38:39] offset0:151 offset1:214
.LBB30_679:                             ;   in Loop: Header=BB30_3 Depth=1
	s_or_b32 exec_lo, exec_lo, s65
	v_mov_b64_e32 v[38:39], 0
	s_wait_dscnt 0x0
	s_barrier_signal -1
	s_barrier_wait -1
	global_wb scope:SCOPE_DEV
	s_wait_storecnt 0x0
	global_inv scope:SCOPE_DEV
	s_and_saveexec_b32 s65, s0
	s_cbranch_execz .LBB30_683
; %bb.680:                              ;   in Loop: Header=BB30_3 Depth=1
	ds_load_b64 v[38:39], v45 offset:11424
	ds_load_b64 v[40:41], v44 offset:11952
	s_wait_dscnt 0x0
	v_fma_f64 v[38:39], v[38:39], v[40:41], 0
	s_and_saveexec_b32 s47, s15
	s_cbranch_execz .LBB30_682
; %bb.681:                              ;   in Loop: Header=BB30_3 Depth=1
	ds_load_b64 v[40:41], v73 offset:11936
	ds_load_b64 v[92:93], v3 offset:11960
	s_wait_dscnt 0x0
	v_fmac_f64_e32 v[38:39], v[40:41], v[92:93]
.LBB30_682:                             ;   in Loop: Header=BB30_3 Depth=1
	s_or_b32 exec_lo, exec_lo, s47
.LBB30_683:                             ;   in Loop: Header=BB30_3 Depth=1
	s_delay_alu instid0(SALU_CYCLE_1)
	s_or_b32 exec_lo, exec_lo, s65
	s_and_saveexec_b32 s65, s92
	s_cbranch_execz .LBB30_685
; %bb.684:                              ;   in Loop: Header=BB30_3 Depth=1
	ds_load_b64 v[40:41], v3 offset:10920
	s_wait_dscnt 0x0
	v_mul_f64_e32 v[38:39], v[38:39], v[40:41]
	s_delay_alu instid0(VALU_DEP_1) | instskip(NEXT) | instid1(VALU_DEP_2)
	v_xor_b32_e32 v41, 0x80000000, v39
	v_mov_b32_e32 v40, v38
	ds_store_b64 v5, v[40:41]
.LBB30_685:                             ;   in Loop: Header=BB30_3 Depth=1
	s_or_b32 exec_lo, exec_lo, s65
	s_wait_loadcnt_dscnt 0x0
	s_barrier_signal -1
	s_barrier_wait -1
	s_and_saveexec_b32 s47, s93
	s_cbranch_execz .LBB30_687
; %bb.686:                              ;   in Loop: Header=BB30_3 Depth=1
	ds_load_b64 v[40:41], v3 offset:10912
	ds_load_b64 v[92:93], v5
	s_wait_dscnt 0x0
	v_fma_f64 v[38:39], -v[40:41], v[92:93], v[38:39]
.LBB30_687:                             ;   in Loop: Header=BB30_3 Depth=1
	s_or_b32 exec_lo, exec_lo, s47
	s_barrier_signal -1
	s_barrier_wait -1
	s_and_saveexec_b32 s65, s93
	s_cbranch_execz .LBB30_689
; %bb.688:                              ;   in Loop: Header=BB30_3 Depth=1
	ds_load_b64 v[40:41], v3 offset:10400
	s_wait_dscnt 0x0
	v_mul_f64_e32 v[38:39], v[38:39], v[40:41]
	s_delay_alu instid0(VALU_DEP_1) | instskip(NEXT) | instid1(VALU_DEP_2)
	v_xor_b32_e32 v41, 0x80000000, v39
	v_mov_b32_e32 v40, v38
	ds_store_b64 v5, v[40:41]
.LBB30_689:                             ;   in Loop: Header=BB30_3 Depth=1
	s_or_b32 exec_lo, exec_lo, s65
	s_wait_dscnt 0x0
	s_barrier_signal -1
	s_barrier_wait -1
	s_barrier_signal -1
	s_barrier_wait -1
	s_and_saveexec_b32 s47, s0
; %bb.690:                              ;   in Loop: Header=BB30_3 Depth=1
	ds_store_b64 v47, v[38:39] offset:11936
; %bb.691:                              ;   in Loop: Header=BB30_3 Depth=1
	s_or_b32 exec_lo, exec_lo, s47
	s_wait_dscnt 0x0
	s_barrier_signal -1
	s_barrier_wait -1
	s_barrier_signal -1
	s_barrier_wait -1
	s_and_saveexec_b32 s47, s94
	s_cbranch_execz .LBB30_693
; %bb.692:                              ;   in Loop: Header=BB30_3 Depth=1
	ds_load_b64 v[38:39], v74 offset:11424
	s_wait_dscnt 0x0
	ds_store_b64 v73, v[38:39] offset:10416
	ds_load_b64 v[38:39], v74 offset:11432
	s_wait_dscnt 0x0
	ds_store_b64 v73, v[38:39] offset:10928
.LBB30_693:                             ;   in Loop: Header=BB30_3 Depth=1
	s_or_b32 exec_lo, exec_lo, s47
	s_wait_dscnt 0x0
	s_barrier_signal -1
	s_barrier_wait -1
	s_and_saveexec_b32 s65, s14
	s_cbranch_execz .LBB30_695
; %bb.694:                              ;   in Loop: Header=BB30_3 Depth=1
	ds_load_b128 v[38:41], v3 offset:10912
	ds_load_b64 v[92:93], v3 offset:10400
	v_add_nc_u32_e64 v2, 0x2800, 0
	s_wait_dscnt 0x0
	v_mul_f64_e32 v[40:41], v[92:93], v[40:41]
	s_delay_alu instid0(VALU_DEP_1)
	v_mul_f64_e32 v[38:39], v[38:39], v[40:41]
	ds_store_2addr_b64 v2, v[38:39], v[38:39] offset0:21 offset1:84
.LBB30_695:                             ;   in Loop: Header=BB30_3 Depth=1
	s_or_b32 exec_lo, exec_lo, s65
	v_mov_b64_e32 v[38:39], 0
	s_wait_dscnt 0x0
	s_barrier_signal -1
	s_barrier_wait -1
	global_wb scope:SCOPE_DEV
	s_wait_storecnt 0x0
	global_inv scope:SCOPE_DEV
	s_and_saveexec_b32 s65, s2
	s_cbranch_execz .LBB30_701
; %bb.696:                              ;   in Loop: Header=BB30_3 Depth=1
	ds_load_b64 v[38:39], v51 offset:10368
	ds_load_b64 v[40:41], v50 offset:11936
	s_wait_dscnt 0x0
	v_fma_f64 v[38:39], v[38:39], v[40:41], 0
	s_and_saveexec_b32 s47, s16
	s_cbranch_execnz .LBB30_1133
; %bb.697:                              ;   in Loop: Header=BB30_3 Depth=1
	s_or_b32 exec_lo, exec_lo, s47
	s_and_saveexec_b32 s47, s17
	s_cbranch_execnz .LBB30_1134
.LBB30_698:                             ;   in Loop: Header=BB30_3 Depth=1
	s_or_b32 exec_lo, exec_lo, s47
	s_and_saveexec_b32 s47, s0
	s_cbranch_execz .LBB30_700
.LBB30_699:                             ;   in Loop: Header=BB30_3 Depth=1
	ds_load_b64 v[40:41], v75 offset:11904
	ds_load_b64 v[92:93], v3 offset:11960
	s_wait_dscnt 0x0
	v_fmac_f64_e32 v[38:39], v[40:41], v[92:93]
.LBB30_700:                             ;   in Loop: Header=BB30_3 Depth=1
	s_or_b32 exec_lo, exec_lo, s47
.LBB30_701:                             ;   in Loop: Header=BB30_3 Depth=1
	s_delay_alu instid0(SALU_CYCLE_1)
	s_or_b32 exec_lo, exec_lo, s65
	s_and_saveexec_b32 s65, s95
	s_cbranch_execz .LBB30_703
; %bb.702:                              ;   in Loop: Header=BB30_3 Depth=1
	ds_load_b64 v[40:41], v3 offset:9880
	s_wait_dscnt 0x0
	v_mul_f64_e32 v[38:39], v[38:39], v[40:41]
	s_delay_alu instid0(VALU_DEP_1) | instskip(NEXT) | instid1(VALU_DEP_2)
	v_xor_b32_e32 v41, 0x80000000, v39
	v_mov_b32_e32 v40, v38
	ds_store_b64 v49, v[40:41]
.LBB30_703:                             ;   in Loop: Header=BB30_3 Depth=1
	s_or_b32 exec_lo, exec_lo, s65
	s_wait_loadcnt_dscnt 0x0
	s_barrier_signal -1
	s_barrier_wait -1
	s_and_saveexec_b32 s47, s96
	s_cbranch_execz .LBB30_705
; %bb.704:                              ;   in Loop: Header=BB30_3 Depth=1
	ds_load_b64 v[40:41], v51 offset:9856
	ds_load_b64 v[92:93], v49
	s_wait_dscnt 0x0
	v_fma_f64 v[38:39], -v[40:41], v[92:93], v[38:39]
.LBB30_705:                             ;   in Loop: Header=BB30_3 Depth=1
	s_or_b32 exec_lo, exec_lo, s47
	s_barrier_signal -1
	s_barrier_wait -1
	s_and_saveexec_b32 s65, s97
	s_cbranch_execz .LBB30_707
; %bb.706:                              ;   in Loop: Header=BB30_3 Depth=1
	ds_load_b64 v[40:41], v3 offset:9360
	s_wait_dscnt 0x0
	v_mul_f64_e32 v[38:39], v[38:39], v[40:41]
	s_delay_alu instid0(VALU_DEP_1) | instskip(NEXT) | instid1(VALU_DEP_2)
	v_xor_b32_e32 v41, 0x80000000, v39
	v_mov_b32_e32 v40, v38
	ds_store_b64 v49, v[40:41]
.LBB30_707:                             ;   in Loop: Header=BB30_3 Depth=1
	s_or_b32 exec_lo, exec_lo, s65
	s_wait_dscnt 0x0
	s_barrier_signal -1
	s_barrier_wait -1
	s_and_saveexec_b32 s47, s98
	s_cbranch_execz .LBB30_709
; %bb.708:                              ;   in Loop: Header=BB30_3 Depth=1
	ds_load_b64 v[40:41], v51 offset:9344
	ds_load_b64 v[92:93], v49
	s_wait_dscnt 0x0
	v_fma_f64 v[38:39], -v[40:41], v[92:93], v[38:39]
.LBB30_709:                             ;   in Loop: Header=BB30_3 Depth=1
	s_or_b32 exec_lo, exec_lo, s47
	s_barrier_signal -1
	s_barrier_wait -1
	s_and_saveexec_b32 s65, s99
	s_cbranch_execz .LBB30_711
; %bb.710:                              ;   in Loop: Header=BB30_3 Depth=1
	ds_load_b64 v[40:41], v3 offset:8840
	s_wait_dscnt 0x0
	v_mul_f64_e32 v[38:39], v[38:39], v[40:41]
	s_delay_alu instid0(VALU_DEP_1) | instskip(NEXT) | instid1(VALU_DEP_2)
	v_xor_b32_e32 v41, 0x80000000, v39
	v_mov_b32_e32 v40, v38
	ds_store_b64 v49, v[40:41]
.LBB30_711:                             ;   in Loop: Header=BB30_3 Depth=1
	s_or_b32 exec_lo, exec_lo, s65
	s_wait_dscnt 0x0
	;; [unrolled: 26-line block ×3, first 2 shown]
	s_barrier_signal -1
	s_barrier_wait -1
	s_barrier_signal -1
	s_barrier_wait -1
	s_and_saveexec_b32 s47, s2
; %bb.716:                              ;   in Loop: Header=BB30_3 Depth=1
	ds_store_b64 v52, v[38:39] offset:11904
; %bb.717:                              ;   in Loop: Header=BB30_3 Depth=1
	s_or_b32 exec_lo, exec_lo, s47
	s_wait_dscnt 0x0
	s_barrier_signal -1
	s_barrier_wait -1
	s_barrier_signal -1
	s_barrier_wait -1
	s_and_saveexec_b32 s65, s101
	s_cbranch_execz .LBB30_719
; %bb.718:                              ;   in Loop: Header=BB30_3 Depth=1
	ds_load_b64 v[38:39], v79 offset:10368
	s_wait_dscnt 0x0
	ds_store_b64 v82, v[38:39] offset:8352
	ds_load_b64 v[38:39], v79 offset:10376
	s_wait_dscnt 0x0
	ds_store_b64 v82, v[38:39] offset:8864
	;; [unrolled: 3-line block ×4, first 2 shown]
.LBB30_719:                             ;   in Loop: Header=BB30_3 Depth=1
	s_or_b32 exec_lo, exec_lo, s65
	s_wait_dscnt 0x0
	s_barrier_signal -1
	s_barrier_wait -1
	s_and_saveexec_b32 s65, s14
	s_cbranch_execz .LBB30_721
; %bb.720:                              ;   in Loop: Header=BB30_3 Depth=1
	ds_load_b128 v[38:41], v3 offset:9872
	ds_load_b64 v[92:93], v3 offset:9360
	v_add_nc_u32_e64 v2, 0x2000, 0
	s_wait_dscnt 0x0
	v_mul_f64_e32 v[40:41], v[92:93], v[40:41]
	s_delay_alu instid0(VALU_DEP_1)
	v_mul_f64_e32 v[38:39], v[38:39], v[40:41]
	ds_store_2addr_b64 v2, v[38:39], v[38:39] offset0:147 offset1:210
.LBB30_721:                             ;   in Loop: Header=BB30_3 Depth=1
	s_or_b32 exec_lo, exec_lo, s65
	v_mov_b64_e32 v[38:39], 0
	s_wait_dscnt 0x0
	s_barrier_signal -1
	s_barrier_wait -1
	global_wb scope:SCOPE_DEV
	s_wait_storecnt 0x0
	global_inv scope:SCOPE_DEV
	s_and_saveexec_b32 s65, s0
	s_cbranch_execz .LBB30_725
; %bb.722:                              ;   in Loop: Header=BB30_3 Depth=1
	ds_load_b64 v[38:39], v45 offset:9344
	ds_load_b64 v[40:41], v44 offset:9872
	s_wait_dscnt 0x0
	v_fma_f64 v[38:39], v[38:39], v[40:41], 0
	s_and_saveexec_b32 s47, s15
	s_cbranch_execz .LBB30_724
; %bb.723:                              ;   in Loop: Header=BB30_3 Depth=1
	ds_load_b64 v[40:41], v82 offset:9856
	ds_load_b64 v[92:93], v3 offset:9880
	s_wait_dscnt 0x0
	v_fmac_f64_e32 v[38:39], v[40:41], v[92:93]
.LBB30_724:                             ;   in Loop: Header=BB30_3 Depth=1
	s_or_b32 exec_lo, exec_lo, s47
.LBB30_725:                             ;   in Loop: Header=BB30_3 Depth=1
	s_delay_alu instid0(SALU_CYCLE_1)
	s_or_b32 exec_lo, exec_lo, s65
	s_and_saveexec_b32 s65, s92
	s_cbranch_execz .LBB30_727
; %bb.726:                              ;   in Loop: Header=BB30_3 Depth=1
	ds_load_b64 v[40:41], v3 offset:8840
	s_wait_dscnt 0x0
	v_mul_f64_e32 v[38:39], v[38:39], v[40:41]
	s_delay_alu instid0(VALU_DEP_1) | instskip(NEXT) | instid1(VALU_DEP_2)
	v_xor_b32_e32 v41, 0x80000000, v39
	v_mov_b32_e32 v40, v38
	ds_store_b64 v5, v[40:41]
.LBB30_727:                             ;   in Loop: Header=BB30_3 Depth=1
	s_or_b32 exec_lo, exec_lo, s65
	s_wait_loadcnt_dscnt 0x0
	s_barrier_signal -1
	s_barrier_wait -1
	s_and_saveexec_b32 s47, s93
	s_cbranch_execz .LBB30_729
; %bb.728:                              ;   in Loop: Header=BB30_3 Depth=1
	ds_load_b64 v[40:41], v3 offset:8832
	ds_load_b64 v[92:93], v5
	s_wait_dscnt 0x0
	v_fma_f64 v[38:39], -v[40:41], v[92:93], v[38:39]
.LBB30_729:                             ;   in Loop: Header=BB30_3 Depth=1
	s_or_b32 exec_lo, exec_lo, s47
	s_barrier_signal -1
	s_barrier_wait -1
	s_and_saveexec_b32 s65, s93
	s_cbranch_execz .LBB30_731
; %bb.730:                              ;   in Loop: Header=BB30_3 Depth=1
	ds_load_b64 v[40:41], v3 offset:8320
	s_wait_dscnt 0x0
	v_mul_f64_e32 v[38:39], v[38:39], v[40:41]
	s_delay_alu instid0(VALU_DEP_1) | instskip(NEXT) | instid1(VALU_DEP_2)
	v_xor_b32_e32 v41, 0x80000000, v39
	v_mov_b32_e32 v40, v38
	ds_store_b64 v5, v[40:41]
.LBB30_731:                             ;   in Loop: Header=BB30_3 Depth=1
	s_or_b32 exec_lo, exec_lo, s65
	s_wait_dscnt 0x0
	s_barrier_signal -1
	s_barrier_wait -1
	s_barrier_signal -1
	s_barrier_wait -1
	s_and_saveexec_b32 s47, s0
; %bb.732:                              ;   in Loop: Header=BB30_3 Depth=1
	ds_store_b64 v47, v[38:39] offset:9856
; %bb.733:                              ;   in Loop: Header=BB30_3 Depth=1
	s_or_b32 exec_lo, exec_lo, s47
	s_wait_dscnt 0x0
	s_barrier_signal -1
	s_barrier_wait -1
	s_barrier_signal -1
	s_barrier_wait -1
	s_and_saveexec_b32 s47, s94
	s_cbranch_execz .LBB30_735
; %bb.734:                              ;   in Loop: Header=BB30_3 Depth=1
	ds_load_b64 v[38:39], v83 offset:9344
	s_wait_dscnt 0x0
	ds_store_b64 v82, v[38:39] offset:8336
	ds_load_b64 v[38:39], v83 offset:9352
	s_wait_dscnt 0x0
	ds_store_b64 v82, v[38:39] offset:8848
.LBB30_735:                             ;   in Loop: Header=BB30_3 Depth=1
	s_or_b32 exec_lo, exec_lo, s47
	s_wait_dscnt 0x0
	s_barrier_signal -1
	s_barrier_wait -1
	s_and_saveexec_b32 s65, s14
	s_cbranch_execz .LBB30_737
; %bb.736:                              ;   in Loop: Header=BB30_3 Depth=1
	ds_load_b128 v[38:41], v3 offset:8832
	ds_load_b64 v[92:93], v3 offset:8320
	v_add_nc_u32_e64 v2, 0x2000, 0
	s_wait_dscnt 0x0
	v_mul_f64_e32 v[40:41], v[92:93], v[40:41]
	s_delay_alu instid0(VALU_DEP_1)
	v_mul_f64_e32 v[38:39], v[38:39], v[40:41]
	ds_store_2addr_b64 v2, v[38:39], v[38:39] offset0:17 offset1:80
.LBB30_737:                             ;   in Loop: Header=BB30_3 Depth=1
	s_or_b32 exec_lo, exec_lo, s65
	v_mov_b64_e32 v[38:39], 0
	s_wait_dscnt 0x0
	s_barrier_signal -1
	s_barrier_wait -1
	global_wb scope:SCOPE_DEV
	s_wait_storecnt 0x0
	global_inv scope:SCOPE_DEV
	s_and_saveexec_b32 s65, s4
	s_cbranch_execz .LBB30_765
; %bb.738:                              ;   in Loop: Header=BB30_3 Depth=1
	ds_load_b64 v[38:39], v59 offset:8192
	ds_load_b64 v[40:41], v58 offset:16000
	s_wait_dscnt 0x0
	v_fma_f64 v[38:39], v[38:39], v[40:41], 0
	s_mov_b32 s47, exec_lo
	v_readlane_b32 s82, v101, 25
	s_and_b32 s82, s47, s82
	s_delay_alu instid0(SALU_CYCLE_1)
	s_mov_b32 exec_lo, s82
	s_cbranch_execz .LBB30_740
; %bb.739:                              ;   in Loop: Header=BB30_3 Depth=1
	ds_load_b64 v[40:41], v59 offset:8704
	ds_load_b64 v[92:93], v58 offset:16008
	s_wait_dscnt 0x0
	v_fmac_f64_e32 v[38:39], v[40:41], v[92:93]
.LBB30_740:                             ;   in Loop: Header=BB30_3 Depth=1
	s_or_b32 exec_lo, exec_lo, s47
	s_delay_alu instid0(SALU_CYCLE_1) | instskip(SKIP_2) | instid1(SALU_CYCLE_1)
	s_mov_b32 s47, exec_lo
	v_readlane_b32 s82, v101, 26
	s_and_b32 s82, s47, s82
	s_mov_b32 exec_lo, s82
	s_cbranch_execz .LBB30_742
; %bb.741:                              ;   in Loop: Header=BB30_3 Depth=1
	ds_load_b64 v[40:41], v59 offset:9216
	ds_load_b64 v[92:93], v58 offset:16016
	s_wait_dscnt 0x0
	v_fmac_f64_e32 v[38:39], v[40:41], v[92:93]
.LBB30_742:                             ;   in Loop: Header=BB30_3 Depth=1
	s_or_b32 exec_lo, exec_lo, s47
	s_delay_alu instid0(SALU_CYCLE_1) | instskip(SKIP_2) | instid1(SALU_CYCLE_1)
	s_mov_b32 s47, exec_lo
	v_readlane_b32 s82, v101, 27
	s_and_b32 s82, s47, s82
	;; [unrolled: 13-line block ×10, first 2 shown]
	s_mov_b32 exec_lo, s82
	s_cbranch_execnz .LBB30_1135
; %bb.759:                              ;   in Loop: Header=BB30_3 Depth=1
	s_or_b32 exec_lo, exec_lo, s47
	s_and_saveexec_b32 s47, s3
	s_cbranch_execnz .LBB30_1136
.LBB30_760:                             ;   in Loop: Header=BB30_3 Depth=1
	s_or_b32 exec_lo, exec_lo, s47
	s_and_saveexec_b32 s47, s19
	s_cbranch_execnz .LBB30_1137
.LBB30_761:                             ;   in Loop: Header=BB30_3 Depth=1
	s_or_b32 exec_lo, exec_lo, s47
	s_and_saveexec_b32 s47, s21
	s_cbranch_execnz .LBB30_1138
.LBB30_762:                             ;   in Loop: Header=BB30_3 Depth=1
	s_or_b32 exec_lo, exec_lo, s47
	s_and_saveexec_b32 s47, s2
	s_cbranch_execz .LBB30_764
.LBB30_763:                             ;   in Loop: Header=BB30_3 Depth=1
	ds_load_b64 v[40:41], v46 offset:15872
	ds_load_b64 v[92:93], v3 offset:16120
	s_wait_dscnt 0x0
	v_fmac_f64_e32 v[38:39], v[40:41], v[92:93]
.LBB30_764:                             ;   in Loop: Header=BB30_3 Depth=1
	s_or_b32 exec_lo, exec_lo, s47
.LBB30_765:                             ;   in Loop: Header=BB30_3 Depth=1
	s_delay_alu instid0(SALU_CYCLE_1) | instskip(NEXT) | instid1(SALU_CYCLE_1)
	s_or_b32 exec_lo, exec_lo, s65
	s_mov_b32 s65, exec_lo
	v_readlane_b32 s47, v101, 6
	s_and_b32 s47, s65, s47
	s_delay_alu instid0(SALU_CYCLE_1)
	s_mov_b32 exec_lo, s47
	s_cbranch_execz .LBB30_767
; %bb.766:                              ;   in Loop: Header=BB30_3 Depth=1
	ds_load_b64 v[40:41], v3 offset:7800
	s_wait_dscnt 0x0
	v_mul_f64_e32 v[38:39], v[38:39], v[40:41]
	s_delay_alu instid0(VALU_DEP_1) | instskip(NEXT) | instid1(VALU_DEP_2)
	v_xor_b32_e32 v41, 0x80000000, v39
	v_mov_b32_e32 v40, v38
	ds_store_b64 v57, v[40:41]
.LBB30_767:                             ;   in Loop: Header=BB30_3 Depth=1
	s_or_b32 exec_lo, exec_lo, s65
	s_wait_loadcnt_dscnt 0x0
	s_barrier_signal -1
	s_barrier_wait -1
	s_and_saveexec_b32 s47, s48
	s_cbranch_execz .LBB30_769
; %bb.768:                              ;   in Loop: Header=BB30_3 Depth=1
	ds_load_b64 v[40:41], v59 offset:7680
	ds_load_b64 v[92:93], v57
	s_wait_dscnt 0x0
	v_fma_f64 v[38:39], -v[40:41], v[92:93], v[38:39]
.LBB30_769:                             ;   in Loop: Header=BB30_3 Depth=1
	s_or_b32 exec_lo, exec_lo, s47
	s_barrier_signal -1
	s_barrier_wait -1
	s_and_saveexec_b32 s65, s49
	s_cbranch_execz .LBB30_771
; %bb.770:                              ;   in Loop: Header=BB30_3 Depth=1
	ds_load_b64 v[40:41], v3 offset:7280
	s_wait_dscnt 0x0
	v_mul_f64_e32 v[38:39], v[38:39], v[40:41]
	s_delay_alu instid0(VALU_DEP_1) | instskip(NEXT) | instid1(VALU_DEP_2)
	v_xor_b32_e32 v41, 0x80000000, v39
	v_mov_b32_e32 v40, v38
	ds_store_b64 v57, v[40:41]
.LBB30_771:                             ;   in Loop: Header=BB30_3 Depth=1
	s_or_b32 exec_lo, exec_lo, s65
	s_wait_dscnt 0x0
	s_barrier_signal -1
	s_barrier_wait -1
	s_and_saveexec_b32 s47, s50
	s_cbranch_execz .LBB30_773
; %bb.772:                              ;   in Loop: Header=BB30_3 Depth=1
	ds_load_b64 v[40:41], v59 offset:7168
	ds_load_b64 v[92:93], v57
	s_wait_dscnt 0x0
	v_fma_f64 v[38:39], -v[40:41], v[92:93], v[38:39]
.LBB30_773:                             ;   in Loop: Header=BB30_3 Depth=1
	s_or_b32 exec_lo, exec_lo, s47
	s_barrier_signal -1
	s_barrier_wait -1
	s_and_saveexec_b32 s65, s51
	s_cbranch_execz .LBB30_775
; %bb.774:                              ;   in Loop: Header=BB30_3 Depth=1
	ds_load_b64 v[40:41], v3 offset:6760
	s_wait_dscnt 0x0
	v_mul_f64_e32 v[38:39], v[38:39], v[40:41]
	s_delay_alu instid0(VALU_DEP_1) | instskip(NEXT) | instid1(VALU_DEP_2)
	v_xor_b32_e32 v41, 0x80000000, v39
	v_mov_b32_e32 v40, v38
	ds_store_b64 v57, v[40:41]
.LBB30_775:                             ;   in Loop: Header=BB30_3 Depth=1
	s_or_b32 exec_lo, exec_lo, s65
	s_wait_dscnt 0x0
	;; [unrolled: 26-line block ×14, first 2 shown]
	s_barrier_signal -1
	s_barrier_wait -1
	s_and_saveexec_b32 s47, s73
	s_cbranch_execz .LBB30_825
; %bb.824:                              ;   in Loop: Header=BB30_3 Depth=1
	ds_load_b64 v[40:41], v3 offset:512
	ds_load_b64 v[92:93], v57
	s_wait_dscnt 0x0
	v_fma_f64 v[38:39], -v[40:41], v[92:93], v[38:39]
.LBB30_825:                             ;   in Loop: Header=BB30_3 Depth=1
	s_or_b32 exec_lo, exec_lo, s47
	s_barrier_signal -1
	s_barrier_wait -1
	s_and_saveexec_b32 s65, s73
	s_cbranch_execz .LBB30_827
; %bb.826:                              ;   in Loop: Header=BB30_3 Depth=1
	ds_load_b64 v[40:41], v3
	s_wait_dscnt 0x0
	v_mul_f64_e32 v[38:39], v[38:39], v[40:41]
	s_delay_alu instid0(VALU_DEP_1) | instskip(NEXT) | instid1(VALU_DEP_2)
	v_xor_b32_e32 v41, 0x80000000, v39
	v_mov_b32_e32 v40, v38
	ds_store_b64 v57, v[40:41]
.LBB30_827:                             ;   in Loop: Header=BB30_3 Depth=1
	s_or_b32 exec_lo, exec_lo, s65
	s_wait_dscnt 0x0
	s_barrier_signal -1
	s_barrier_wait -1
	s_barrier_signal -1
	s_barrier_wait -1
	s_and_saveexec_b32 s47, s4
; %bb.828:                              ;   in Loop: Header=BB30_3 Depth=1
	ds_store_b64 v60, v[38:39] offset:15872
; %bb.829:                              ;   in Loop: Header=BB30_3 Depth=1
	s_or_b32 exec_lo, exec_lo, s47
	s_wait_dscnt 0x0
	s_barrier_signal -1
	s_barrier_wait -1
	s_barrier_signal -1
	s_barrier_wait -1
	s_and_saveexec_b32 s65, s10
	s_cbranch_execz .LBB30_831
; %bb.830:                              ;   in Loop: Header=BB30_3 Depth=1
	ds_load_b64 v[38:39], v48 offset:8192
	s_wait_dscnt 0x0
	ds_store_b64 v65, v[38:39] offset:128
	ds_load_b64 v[38:39], v48 offset:8200
	s_wait_dscnt 0x0
	ds_store_b64 v65, v[38:39] offset:640
	;; [unrolled: 3-line block ×16, first 2 shown]
.LBB30_831:                             ;   in Loop: Header=BB30_3 Depth=1
	s_or_b32 exec_lo, exec_lo, s65
	s_wait_dscnt 0x0
	s_barrier_signal -1
	s_barrier_wait -1
	s_and_saveexec_b32 s65, s14
	s_cbranch_execz .LBB30_833
; %bb.832:                              ;   in Loop: Header=BB30_3 Depth=1
	ds_load_b128 v[38:41], v3 offset:7792
	ds_load_b64 v[92:93], v3 offset:7280
	v_add_nc_u32_e64 v2, 0x1800, 0
	s_wait_dscnt 0x0
	v_mul_f64_e32 v[40:41], v[92:93], v[40:41]
	s_delay_alu instid0(VALU_DEP_1)
	v_mul_f64_e32 v[38:39], v[38:39], v[40:41]
	ds_store_2addr_b64 v2, v[38:39], v[38:39] offset0:143 offset1:206
.LBB30_833:                             ;   in Loop: Header=BB30_3 Depth=1
	s_or_b32 exec_lo, exec_lo, s65
	v_mov_b64_e32 v[38:39], 0
	s_wait_dscnt 0x0
	s_barrier_signal -1
	s_barrier_wait -1
	global_wb scope:SCOPE_DEV
	s_wait_storecnt 0x0
	global_inv scope:SCOPE_DEV
	s_and_saveexec_b32 s65, s0
	s_cbranch_execz .LBB30_837
; %bb.834:                              ;   in Loop: Header=BB30_3 Depth=1
	ds_load_b64 v[38:39], v45 offset:7264
	ds_load_b64 v[40:41], v44 offset:7792
	s_wait_dscnt 0x0
	v_fma_f64 v[38:39], v[38:39], v[40:41], 0
	s_and_saveexec_b32 s47, s15
	s_cbranch_execz .LBB30_836
; %bb.835:                              ;   in Loop: Header=BB30_3 Depth=1
	ds_load_b64 v[40:41], v46 offset:7776
	ds_load_b64 v[92:93], v3 offset:7800
	s_wait_dscnt 0x0
	v_fmac_f64_e32 v[38:39], v[40:41], v[92:93]
.LBB30_836:                             ;   in Loop: Header=BB30_3 Depth=1
	s_or_b32 exec_lo, exec_lo, s47
.LBB30_837:                             ;   in Loop: Header=BB30_3 Depth=1
	s_delay_alu instid0(SALU_CYCLE_1)
	s_or_b32 exec_lo, exec_lo, s65
	s_and_saveexec_b32 s65, s92
	s_cbranch_execz .LBB30_839
; %bb.838:                              ;   in Loop: Header=BB30_3 Depth=1
	ds_load_b64 v[40:41], v3 offset:6760
	s_wait_dscnt 0x0
	v_mul_f64_e32 v[38:39], v[38:39], v[40:41]
	s_delay_alu instid0(VALU_DEP_1) | instskip(NEXT) | instid1(VALU_DEP_2)
	v_xor_b32_e32 v41, 0x80000000, v39
	v_mov_b32_e32 v40, v38
	ds_store_b64 v5, v[40:41]
.LBB30_839:                             ;   in Loop: Header=BB30_3 Depth=1
	s_or_b32 exec_lo, exec_lo, s65
	s_wait_loadcnt_dscnt 0x0
	s_barrier_signal -1
	s_barrier_wait -1
	s_and_saveexec_b32 s47, s93
	s_cbranch_execz .LBB30_841
; %bb.840:                              ;   in Loop: Header=BB30_3 Depth=1
	ds_load_b64 v[40:41], v3 offset:6752
	ds_load_b64 v[92:93], v5
	s_wait_dscnt 0x0
	v_fma_f64 v[38:39], -v[40:41], v[92:93], v[38:39]
.LBB30_841:                             ;   in Loop: Header=BB30_3 Depth=1
	s_or_b32 exec_lo, exec_lo, s47
	s_barrier_signal -1
	s_barrier_wait -1
	s_and_saveexec_b32 s65, s93
	s_cbranch_execz .LBB30_843
; %bb.842:                              ;   in Loop: Header=BB30_3 Depth=1
	ds_load_b64 v[40:41], v3 offset:6240
	s_wait_dscnt 0x0
	v_mul_f64_e32 v[38:39], v[38:39], v[40:41]
	s_delay_alu instid0(VALU_DEP_1) | instskip(NEXT) | instid1(VALU_DEP_2)
	v_xor_b32_e32 v41, 0x80000000, v39
	v_mov_b32_e32 v40, v38
	ds_store_b64 v5, v[40:41]
.LBB30_843:                             ;   in Loop: Header=BB30_3 Depth=1
	s_or_b32 exec_lo, exec_lo, s65
	s_wait_dscnt 0x0
	s_barrier_signal -1
	s_barrier_wait -1
	s_barrier_signal -1
	s_barrier_wait -1
	s_and_saveexec_b32 s47, s0
; %bb.844:                              ;   in Loop: Header=BB30_3 Depth=1
	ds_store_b64 v47, v[38:39] offset:7776
; %bb.845:                              ;   in Loop: Header=BB30_3 Depth=1
	s_or_b32 exec_lo, exec_lo, s47
	s_wait_dscnt 0x0
	s_barrier_signal -1
	s_barrier_wait -1
	s_barrier_signal -1
	s_barrier_wait -1
	s_and_saveexec_b32 s47, s94
	s_cbranch_execz .LBB30_847
; %bb.846:                              ;   in Loop: Header=BB30_3 Depth=1
	ds_load_b64 v[38:39], v48 offset:7264
	s_wait_dscnt 0x0
	ds_store_b64 v46, v[38:39] offset:6256
	ds_load_b64 v[38:39], v48 offset:7272
	s_wait_dscnt 0x0
	ds_store_b64 v46, v[38:39] offset:6768
.LBB30_847:                             ;   in Loop: Header=BB30_3 Depth=1
	s_or_b32 exec_lo, exec_lo, s47
	s_wait_dscnt 0x0
	s_barrier_signal -1
	s_barrier_wait -1
	s_and_saveexec_b32 s65, s14
	s_cbranch_execz .LBB30_849
; %bb.848:                              ;   in Loop: Header=BB30_3 Depth=1
	ds_load_b128 v[38:41], v3 offset:6752
	ds_load_b64 v[92:93], v3 offset:6240
	v_add_nc_u32_e64 v2, 0x1800, 0
	s_wait_dscnt 0x0
	v_mul_f64_e32 v[40:41], v[92:93], v[40:41]
	s_delay_alu instid0(VALU_DEP_1)
	v_mul_f64_e32 v[38:39], v[38:39], v[40:41]
	ds_store_2addr_b64 v2, v[38:39], v[38:39] offset0:13 offset1:76
.LBB30_849:                             ;   in Loop: Header=BB30_3 Depth=1
	s_or_b32 exec_lo, exec_lo, s65
	v_mov_b64_e32 v[38:39], 0
	s_wait_dscnt 0x0
	s_barrier_signal -1
	s_barrier_wait -1
	global_wb scope:SCOPE_DEV
	s_wait_storecnt 0x0
	global_inv scope:SCOPE_DEV
	s_and_saveexec_b32 s65, s2
	s_cbranch_execz .LBB30_855
; %bb.850:                              ;   in Loop: Header=BB30_3 Depth=1
	ds_load_b64 v[38:39], v51 offset:6208
	ds_load_b64 v[40:41], v50 offset:7776
	s_wait_dscnt 0x0
	v_fma_f64 v[38:39], v[38:39], v[40:41], 0
	s_and_saveexec_b32 s47, s16
	s_cbranch_execnz .LBB30_1139
; %bb.851:                              ;   in Loop: Header=BB30_3 Depth=1
	s_or_b32 exec_lo, exec_lo, s47
	s_and_saveexec_b32 s47, s17
	s_cbranch_execnz .LBB30_1140
.LBB30_852:                             ;   in Loop: Header=BB30_3 Depth=1
	s_or_b32 exec_lo, exec_lo, s47
	s_and_saveexec_b32 s47, s0
	s_cbranch_execz .LBB30_854
.LBB30_853:                             ;   in Loop: Header=BB30_3 Depth=1
	ds_load_b64 v[40:41], v65 offset:7744
	ds_load_b64 v[92:93], v3 offset:7800
	s_wait_dscnt 0x0
	v_fmac_f64_e32 v[38:39], v[40:41], v[92:93]
.LBB30_854:                             ;   in Loop: Header=BB30_3 Depth=1
	s_or_b32 exec_lo, exec_lo, s47
.LBB30_855:                             ;   in Loop: Header=BB30_3 Depth=1
	s_delay_alu instid0(SALU_CYCLE_1)
	s_or_b32 exec_lo, exec_lo, s65
	s_and_saveexec_b32 s65, s95
	s_cbranch_execz .LBB30_857
; %bb.856:                              ;   in Loop: Header=BB30_3 Depth=1
	ds_load_b64 v[40:41], v3 offset:5720
	s_wait_dscnt 0x0
	v_mul_f64_e32 v[38:39], v[38:39], v[40:41]
	s_delay_alu instid0(VALU_DEP_1) | instskip(NEXT) | instid1(VALU_DEP_2)
	v_xor_b32_e32 v41, 0x80000000, v39
	v_mov_b32_e32 v40, v38
	ds_store_b64 v49, v[40:41]
.LBB30_857:                             ;   in Loop: Header=BB30_3 Depth=1
	s_or_b32 exec_lo, exec_lo, s65
	s_wait_loadcnt_dscnt 0x0
	s_barrier_signal -1
	s_barrier_wait -1
	s_and_saveexec_b32 s47, s96
	s_cbranch_execz .LBB30_859
; %bb.858:                              ;   in Loop: Header=BB30_3 Depth=1
	ds_load_b64 v[40:41], v51 offset:5696
	ds_load_b64 v[92:93], v49
	s_wait_dscnt 0x0
	v_fma_f64 v[38:39], -v[40:41], v[92:93], v[38:39]
.LBB30_859:                             ;   in Loop: Header=BB30_3 Depth=1
	s_or_b32 exec_lo, exec_lo, s47
	s_barrier_signal -1
	s_barrier_wait -1
	s_and_saveexec_b32 s65, s97
	s_cbranch_execz .LBB30_861
; %bb.860:                              ;   in Loop: Header=BB30_3 Depth=1
	ds_load_b64 v[40:41], v3 offset:5200
	s_wait_dscnt 0x0
	v_mul_f64_e32 v[38:39], v[38:39], v[40:41]
	s_delay_alu instid0(VALU_DEP_1) | instskip(NEXT) | instid1(VALU_DEP_2)
	v_xor_b32_e32 v41, 0x80000000, v39
	v_mov_b32_e32 v40, v38
	ds_store_b64 v49, v[40:41]
.LBB30_861:                             ;   in Loop: Header=BB30_3 Depth=1
	s_or_b32 exec_lo, exec_lo, s65
	s_wait_dscnt 0x0
	s_barrier_signal -1
	s_barrier_wait -1
	s_and_saveexec_b32 s47, s98
	s_cbranch_execz .LBB30_863
; %bb.862:                              ;   in Loop: Header=BB30_3 Depth=1
	ds_load_b64 v[40:41], v51 offset:5184
	ds_load_b64 v[92:93], v49
	s_wait_dscnt 0x0
	v_fma_f64 v[38:39], -v[40:41], v[92:93], v[38:39]
.LBB30_863:                             ;   in Loop: Header=BB30_3 Depth=1
	s_or_b32 exec_lo, exec_lo, s47
	s_barrier_signal -1
	s_barrier_wait -1
	s_and_saveexec_b32 s65, s99
	s_cbranch_execz .LBB30_865
; %bb.864:                              ;   in Loop: Header=BB30_3 Depth=1
	ds_load_b64 v[40:41], v3 offset:4680
	s_wait_dscnt 0x0
	v_mul_f64_e32 v[38:39], v[38:39], v[40:41]
	s_delay_alu instid0(VALU_DEP_1) | instskip(NEXT) | instid1(VALU_DEP_2)
	v_xor_b32_e32 v41, 0x80000000, v39
	v_mov_b32_e32 v40, v38
	ds_store_b64 v49, v[40:41]
.LBB30_865:                             ;   in Loop: Header=BB30_3 Depth=1
	s_or_b32 exec_lo, exec_lo, s65
	s_wait_dscnt 0x0
	;; [unrolled: 26-line block ×3, first 2 shown]
	s_barrier_signal -1
	s_barrier_wait -1
	s_barrier_signal -1
	s_barrier_wait -1
	s_and_saveexec_b32 s47, s2
; %bb.870:                              ;   in Loop: Header=BB30_3 Depth=1
	ds_store_b64 v52, v[38:39] offset:7744
; %bb.871:                              ;   in Loop: Header=BB30_3 Depth=1
	s_or_b32 exec_lo, exec_lo, s47
	s_wait_dscnt 0x0
	s_barrier_signal -1
	s_barrier_wait -1
	s_barrier_signal -1
	s_barrier_wait -1
	s_and_saveexec_b32 s65, s101
	s_cbranch_execz .LBB30_873
; %bb.872:                              ;   in Loop: Header=BB30_3 Depth=1
	ds_load_b64 v[38:39], v68 offset:6208
	s_wait_dscnt 0x0
	ds_store_b64 v69, v[38:39] offset:4192
	ds_load_b64 v[38:39], v68 offset:6216
	s_wait_dscnt 0x0
	ds_store_b64 v69, v[38:39] offset:4704
	;; [unrolled: 3-line block ×4, first 2 shown]
.LBB30_873:                             ;   in Loop: Header=BB30_3 Depth=1
	s_or_b32 exec_lo, exec_lo, s65
	s_wait_dscnt 0x0
	s_barrier_signal -1
	s_barrier_wait -1
	s_and_saveexec_b32 s65, s14
	s_cbranch_execz .LBB30_875
; %bb.874:                              ;   in Loop: Header=BB30_3 Depth=1
	ds_load_b128 v[38:41], v3 offset:5712
	ds_load_b64 v[92:93], v3 offset:5200
	v_add_nc_u32_e64 v2, 0x1000, 0
	s_wait_dscnt 0x0
	v_mul_f64_e32 v[40:41], v[92:93], v[40:41]
	s_delay_alu instid0(VALU_DEP_1)
	v_mul_f64_e32 v[38:39], v[38:39], v[40:41]
	ds_store_2addr_b64 v2, v[38:39], v[38:39] offset0:139 offset1:202
.LBB30_875:                             ;   in Loop: Header=BB30_3 Depth=1
	s_or_b32 exec_lo, exec_lo, s65
	v_mov_b64_e32 v[38:39], 0
	s_wait_dscnt 0x0
	s_barrier_signal -1
	s_barrier_wait -1
	global_wb scope:SCOPE_DEV
	s_wait_storecnt 0x0
	global_inv scope:SCOPE_DEV
	s_and_saveexec_b32 s65, s0
	s_cbranch_execz .LBB30_879
; %bb.876:                              ;   in Loop: Header=BB30_3 Depth=1
	ds_load_b64 v[38:39], v45 offset:5184
	ds_load_b64 v[40:41], v44 offset:5712
	s_wait_dscnt 0x0
	v_fma_f64 v[38:39], v[38:39], v[40:41], 0
	s_and_saveexec_b32 s47, s15
	s_cbranch_execz .LBB30_878
; %bb.877:                              ;   in Loop: Header=BB30_3 Depth=1
	ds_load_b64 v[40:41], v69 offset:5696
	ds_load_b64 v[92:93], v3 offset:5720
	s_wait_dscnt 0x0
	v_fmac_f64_e32 v[38:39], v[40:41], v[92:93]
.LBB30_878:                             ;   in Loop: Header=BB30_3 Depth=1
	s_or_b32 exec_lo, exec_lo, s47
.LBB30_879:                             ;   in Loop: Header=BB30_3 Depth=1
	s_delay_alu instid0(SALU_CYCLE_1)
	s_or_b32 exec_lo, exec_lo, s65
	s_and_saveexec_b32 s65, s92
	s_cbranch_execz .LBB30_881
; %bb.880:                              ;   in Loop: Header=BB30_3 Depth=1
	ds_load_b64 v[40:41], v3 offset:4680
	s_wait_dscnt 0x0
	v_mul_f64_e32 v[38:39], v[38:39], v[40:41]
	s_delay_alu instid0(VALU_DEP_1) | instskip(NEXT) | instid1(VALU_DEP_2)
	v_xor_b32_e32 v41, 0x80000000, v39
	v_mov_b32_e32 v40, v38
	ds_store_b64 v5, v[40:41]
.LBB30_881:                             ;   in Loop: Header=BB30_3 Depth=1
	s_or_b32 exec_lo, exec_lo, s65
	s_wait_loadcnt_dscnt 0x0
	s_barrier_signal -1
	s_barrier_wait -1
	s_and_saveexec_b32 s47, s93
	s_cbranch_execz .LBB30_883
; %bb.882:                              ;   in Loop: Header=BB30_3 Depth=1
	ds_load_b64 v[40:41], v3 offset:4672
	ds_load_b64 v[92:93], v5
	s_wait_dscnt 0x0
	v_fma_f64 v[38:39], -v[40:41], v[92:93], v[38:39]
.LBB30_883:                             ;   in Loop: Header=BB30_3 Depth=1
	s_or_b32 exec_lo, exec_lo, s47
	s_barrier_signal -1
	s_barrier_wait -1
	s_and_saveexec_b32 s65, s93
	s_cbranch_execz .LBB30_885
; %bb.884:                              ;   in Loop: Header=BB30_3 Depth=1
	ds_load_b64 v[40:41], v3 offset:4160
	s_wait_dscnt 0x0
	v_mul_f64_e32 v[38:39], v[38:39], v[40:41]
	s_delay_alu instid0(VALU_DEP_1) | instskip(NEXT) | instid1(VALU_DEP_2)
	v_xor_b32_e32 v41, 0x80000000, v39
	v_mov_b32_e32 v40, v38
	ds_store_b64 v5, v[40:41]
.LBB30_885:                             ;   in Loop: Header=BB30_3 Depth=1
	s_or_b32 exec_lo, exec_lo, s65
	s_wait_dscnt 0x0
	s_barrier_signal -1
	s_barrier_wait -1
	s_barrier_signal -1
	s_barrier_wait -1
	s_and_saveexec_b32 s47, s0
; %bb.886:                              ;   in Loop: Header=BB30_3 Depth=1
	ds_store_b64 v47, v[38:39] offset:5696
; %bb.887:                              ;   in Loop: Header=BB30_3 Depth=1
	s_or_b32 exec_lo, exec_lo, s47
	s_wait_dscnt 0x0
	s_barrier_signal -1
	s_barrier_wait -1
	s_barrier_signal -1
	s_barrier_wait -1
	s_and_saveexec_b32 s47, s94
	s_cbranch_execz .LBB30_889
; %bb.888:                              ;   in Loop: Header=BB30_3 Depth=1
	ds_load_b64 v[38:39], v70 offset:5184
	s_wait_dscnt 0x0
	ds_store_b64 v69, v[38:39] offset:4176
	ds_load_b64 v[38:39], v70 offset:5192
	s_wait_dscnt 0x0
	ds_store_b64 v69, v[38:39] offset:4688
.LBB30_889:                             ;   in Loop: Header=BB30_3 Depth=1
	s_or_b32 exec_lo, exec_lo, s47
	s_wait_dscnt 0x0
	s_barrier_signal -1
	s_barrier_wait -1
	s_and_saveexec_b32 s65, s14
	s_cbranch_execz .LBB30_891
; %bb.890:                              ;   in Loop: Header=BB30_3 Depth=1
	ds_load_b128 v[38:41], v3 offset:4672
	ds_load_b64 v[92:93], v3 offset:4160
	v_add_nc_u32_e64 v2, 0x1000, 0
	s_wait_dscnt 0x0
	v_mul_f64_e32 v[40:41], v[92:93], v[40:41]
	s_delay_alu instid0(VALU_DEP_1)
	v_mul_f64_e32 v[38:39], v[38:39], v[40:41]
	ds_store_2addr_b64 v2, v[38:39], v[38:39] offset0:9 offset1:72
.LBB30_891:                             ;   in Loop: Header=BB30_3 Depth=1
	s_or_b32 exec_lo, exec_lo, s65
	v_mov_b64_e32 v[38:39], 0
	s_wait_dscnt 0x0
	s_barrier_signal -1
	s_barrier_wait -1
	global_wb scope:SCOPE_DEV
	s_wait_storecnt 0x0
	global_inv scope:SCOPE_DEV
	s_and_saveexec_b32 s65, s3
	s_cbranch_execz .LBB30_901
; %bb.892:                              ;   in Loop: Header=BB30_3 Depth=1
	ds_load_b64 v[38:39], v55 offset:4096
	ds_load_b64 v[40:41], v54 offset:7744
	s_wait_dscnt 0x0
	v_fma_f64 v[38:39], v[38:39], v[40:41], 0
	s_and_saveexec_b32 s47, s18
	s_cbranch_execnz .LBB30_1141
; %bb.893:                              ;   in Loop: Header=BB30_3 Depth=1
	s_or_b32 exec_lo, exec_lo, s47
	s_and_saveexec_b32 s47, s19
	s_cbranch_execnz .LBB30_1142
.LBB30_894:                             ;   in Loop: Header=BB30_3 Depth=1
	s_or_b32 exec_lo, exec_lo, s47
	s_and_saveexec_b32 s47, s20
	s_cbranch_execnz .LBB30_1143
.LBB30_895:                             ;   in Loop: Header=BB30_3 Depth=1
	s_or_b32 exec_lo, exec_lo, s47
	s_and_saveexec_b32 s47, s21
	s_cbranch_execnz .LBB30_1144
.LBB30_896:                             ;   in Loop: Header=BB30_3 Depth=1
	s_or_b32 exec_lo, exec_lo, s47
	s_and_saveexec_b32 s47, s22
	s_cbranch_execnz .LBB30_1145
.LBB30_897:                             ;   in Loop: Header=BB30_3 Depth=1
	s_or_b32 exec_lo, exec_lo, s47
	s_and_saveexec_b32 s47, s2
	s_cbranch_execnz .LBB30_1146
.LBB30_898:                             ;   in Loop: Header=BB30_3 Depth=1
	s_or_b32 exec_lo, exec_lo, s47
	s_and_saveexec_b32 s47, s17
	s_cbranch_execz .LBB30_900
.LBB30_899:                             ;   in Loop: Header=BB30_3 Depth=1
	ds_load_b64 v[40:41], v71 offset:7680
	ds_load_b64 v[92:93], v3 offset:7800
	s_wait_dscnt 0x0
	v_fmac_f64_e32 v[38:39], v[40:41], v[92:93]
.LBB30_900:                             ;   in Loop: Header=BB30_3 Depth=1
	s_or_b32 exec_lo, exec_lo, s47
.LBB30_901:                             ;   in Loop: Header=BB30_3 Depth=1
	s_delay_alu instid0(SALU_CYCLE_1)
	s_or_b32 exec_lo, exec_lo, s65
	s_and_saveexec_b32 s65, s102
	s_cbranch_execz .LBB30_903
; %bb.902:                              ;   in Loop: Header=BB30_3 Depth=1
	ds_load_b64 v[40:41], v3 offset:3640
	s_wait_dscnt 0x0
	v_mul_f64_e32 v[38:39], v[38:39], v[40:41]
	s_delay_alu instid0(VALU_DEP_1) | instskip(NEXT) | instid1(VALU_DEP_2)
	v_xor_b32_e32 v41, 0x80000000, v39
	v_mov_b32_e32 v40, v38
	ds_store_b64 v53, v[40:41]
.LBB30_903:                             ;   in Loop: Header=BB30_3 Depth=1
	s_or_b32 exec_lo, exec_lo, s65
	s_wait_loadcnt_dscnt 0x0
	s_barrier_signal -1
	s_barrier_wait -1
	s_and_saveexec_b32 s47, s103
	s_cbranch_execz .LBB30_905
; %bb.904:                              ;   in Loop: Header=BB30_3 Depth=1
	ds_load_b64 v[40:41], v55 offset:3584
	ds_load_b64 v[92:93], v53
	s_wait_dscnt 0x0
	v_fma_f64 v[38:39], -v[40:41], v[92:93], v[38:39]
.LBB30_905:                             ;   in Loop: Header=BB30_3 Depth=1
	s_or_b32 exec_lo, exec_lo, s47
	s_barrier_signal -1
	s_barrier_wait -1
	s_and_saveexec_b32 s65, s104
	s_cbranch_execz .LBB30_907
; %bb.906:                              ;   in Loop: Header=BB30_3 Depth=1
	ds_load_b64 v[40:41], v3 offset:3120
	s_wait_dscnt 0x0
	v_mul_f64_e32 v[38:39], v[38:39], v[40:41]
	s_delay_alu instid0(VALU_DEP_1) | instskip(NEXT) | instid1(VALU_DEP_2)
	v_xor_b32_e32 v41, 0x80000000, v39
	v_mov_b32_e32 v40, v38
	ds_store_b64 v53, v[40:41]
.LBB30_907:                             ;   in Loop: Header=BB30_3 Depth=1
	s_or_b32 exec_lo, exec_lo, s65
	s_wait_dscnt 0x0
	s_barrier_signal -1
	s_barrier_wait -1
	s_and_saveexec_b32 s47, vcc_hi
	s_cbranch_execz .LBB30_909
; %bb.908:                              ;   in Loop: Header=BB30_3 Depth=1
	ds_load_b64 v[40:41], v55 offset:3072
	ds_load_b64 v[92:93], v53
	s_wait_dscnt 0x0
	v_fma_f64 v[38:39], -v[40:41], v[92:93], v[38:39]
.LBB30_909:                             ;   in Loop: Header=BB30_3 Depth=1
	s_or_b32 exec_lo, exec_lo, s47
	s_barrier_signal -1
	s_barrier_wait -1
	s_and_saveexec_b32 s65, s36
	s_cbranch_execz .LBB30_911
; %bb.910:                              ;   in Loop: Header=BB30_3 Depth=1
	ds_load_b64 v[40:41], v3 offset:2600
	s_wait_dscnt 0x0
	v_mul_f64_e32 v[38:39], v[38:39], v[40:41]
	s_delay_alu instid0(VALU_DEP_1) | instskip(NEXT) | instid1(VALU_DEP_2)
	v_xor_b32_e32 v41, 0x80000000, v39
	v_mov_b32_e32 v40, v38
	ds_store_b64 v53, v[40:41]
.LBB30_911:                             ;   in Loop: Header=BB30_3 Depth=1
	s_or_b32 exec_lo, exec_lo, s65
	s_wait_dscnt 0x0
	s_barrier_signal -1
	s_barrier_wait -1
	s_and_saveexec_b32 s47, s37
	s_cbranch_execz .LBB30_913
; %bb.912:                              ;   in Loop: Header=BB30_3 Depth=1
	ds_load_b64 v[40:41], v55 offset:2560
	ds_load_b64 v[92:93], v53
	s_wait_dscnt 0x0
	v_fma_f64 v[38:39], -v[40:41], v[92:93], v[38:39]
.LBB30_913:                             ;   in Loop: Header=BB30_3 Depth=1
	s_or_b32 exec_lo, exec_lo, s47
	s_barrier_signal -1
	s_barrier_wait -1
	s_and_saveexec_b32 s65, s38
	s_cbranch_execz .LBB30_915
; %bb.914:                              ;   in Loop: Header=BB30_3 Depth=1
	ds_load_b64 v[40:41], v3 offset:2080
	s_wait_dscnt 0x0
	v_mul_f64_e32 v[38:39], v[38:39], v[40:41]
	s_delay_alu instid0(VALU_DEP_1) | instskip(NEXT) | instid1(VALU_DEP_2)
	v_xor_b32_e32 v41, 0x80000000, v39
	v_mov_b32_e32 v40, v38
	ds_store_b64 v53, v[40:41]
.LBB30_915:                             ;   in Loop: Header=BB30_3 Depth=1
	s_or_b32 exec_lo, exec_lo, s65
	s_wait_dscnt 0x0
	s_barrier_signal -1
	s_barrier_wait -1
	s_and_saveexec_b32 s47, s39
	;; [unrolled: 26-line block ×5, first 2 shown]
	s_cbranch_execz .LBB30_929
; %bb.928:                              ;   in Loop: Header=BB30_3 Depth=1
	ds_load_b64 v[40:41], v3 offset:512
	ds_load_b64 v[92:93], v53
	s_wait_dscnt 0x0
	v_fma_f64 v[38:39], -v[40:41], v[92:93], v[38:39]
.LBB30_929:                             ;   in Loop: Header=BB30_3 Depth=1
	s_or_b32 exec_lo, exec_lo, s47
	s_barrier_signal -1
	s_barrier_wait -1
	s_and_saveexec_b32 s65, s45
	s_cbranch_execz .LBB30_931
; %bb.930:                              ;   in Loop: Header=BB30_3 Depth=1
	ds_load_b64 v[40:41], v3
	s_wait_dscnt 0x0
	v_mul_f64_e32 v[38:39], v[38:39], v[40:41]
	s_delay_alu instid0(VALU_DEP_1) | instskip(NEXT) | instid1(VALU_DEP_2)
	v_xor_b32_e32 v41, 0x80000000, v39
	v_mov_b32_e32 v40, v38
	ds_store_b64 v53, v[40:41]
.LBB30_931:                             ;   in Loop: Header=BB30_3 Depth=1
	s_or_b32 exec_lo, exec_lo, s65
	s_wait_dscnt 0x0
	s_barrier_signal -1
	s_barrier_wait -1
	s_barrier_signal -1
	s_barrier_wait -1
	s_and_saveexec_b32 s47, s3
; %bb.932:                              ;   in Loop: Header=BB30_3 Depth=1
	ds_store_b64 v56, v[38:39] offset:7680
; %bb.933:                              ;   in Loop: Header=BB30_3 Depth=1
	s_or_b32 exec_lo, exec_lo, s47
	s_wait_dscnt 0x0
	s_barrier_signal -1
	s_barrier_wait -1
	s_barrier_signal -1
	s_barrier_wait -1
	s_and_saveexec_b32 s65, s46
	s_cbranch_execz .LBB30_935
; %bb.934:                              ;   in Loop: Header=BB30_3 Depth=1
	ds_load_b64 v[38:39], v72 offset:4096
	s_wait_dscnt 0x0
	ds_store_b64 v73, v[38:39] offset:64
	ds_load_b64 v[38:39], v72 offset:4104
	s_wait_dscnt 0x0
	ds_store_b64 v73, v[38:39] offset:576
	;; [unrolled: 3-line block ×8, first 2 shown]
.LBB30_935:                             ;   in Loop: Header=BB30_3 Depth=1
	s_or_b32 exec_lo, exec_lo, s65
	s_wait_dscnt 0x0
	s_barrier_signal -1
	s_barrier_wait -1
	s_and_saveexec_b32 s65, s14
	s_cbranch_execz .LBB30_937
; %bb.936:                              ;   in Loop: Header=BB30_3 Depth=1
	ds_load_b128 v[38:41], v3 offset:3632
	ds_load_b64 v[92:93], v3 offset:3120
	v_add_nc_u32_e64 v2, 0x800, 0
	s_wait_dscnt 0x0
	v_mul_f64_e32 v[40:41], v[92:93], v[40:41]
	s_delay_alu instid0(VALU_DEP_1)
	v_mul_f64_e32 v[38:39], v[38:39], v[40:41]
	ds_store_2addr_b64 v2, v[38:39], v[38:39] offset0:135 offset1:198
.LBB30_937:                             ;   in Loop: Header=BB30_3 Depth=1
	s_or_b32 exec_lo, exec_lo, s65
	v_mov_b64_e32 v[38:39], 0
	s_wait_dscnt 0x0
	s_barrier_signal -1
	s_barrier_wait -1
	global_wb scope:SCOPE_DEV
	s_wait_storecnt 0x0
	global_inv scope:SCOPE_DEV
	s_and_saveexec_b32 s65, s0
	s_cbranch_execz .LBB30_941
; %bb.938:                              ;   in Loop: Header=BB30_3 Depth=1
	ds_load_b64 v[38:39], v45 offset:3104
	ds_load_b64 v[40:41], v44 offset:3632
	s_wait_dscnt 0x0
	v_fma_f64 v[38:39], v[38:39], v[40:41], 0
	s_and_saveexec_b32 s47, s15
	s_cbranch_execz .LBB30_940
; %bb.939:                              ;   in Loop: Header=BB30_3 Depth=1
	ds_load_b64 v[40:41], v73 offset:3616
	ds_load_b64 v[92:93], v3 offset:3640
	s_wait_dscnt 0x0
	v_fmac_f64_e32 v[38:39], v[40:41], v[92:93]
.LBB30_940:                             ;   in Loop: Header=BB30_3 Depth=1
	s_or_b32 exec_lo, exec_lo, s47
.LBB30_941:                             ;   in Loop: Header=BB30_3 Depth=1
	s_delay_alu instid0(SALU_CYCLE_1)
	s_or_b32 exec_lo, exec_lo, s65
	s_and_saveexec_b32 s65, s92
	s_cbranch_execz .LBB30_943
; %bb.942:                              ;   in Loop: Header=BB30_3 Depth=1
	ds_load_b64 v[40:41], v3 offset:2600
	s_wait_dscnt 0x0
	v_mul_f64_e32 v[38:39], v[38:39], v[40:41]
	s_delay_alu instid0(VALU_DEP_1) | instskip(NEXT) | instid1(VALU_DEP_2)
	v_xor_b32_e32 v41, 0x80000000, v39
	v_mov_b32_e32 v40, v38
	ds_store_b64 v5, v[40:41]
.LBB30_943:                             ;   in Loop: Header=BB30_3 Depth=1
	s_or_b32 exec_lo, exec_lo, s65
	s_wait_loadcnt_dscnt 0x0
	s_barrier_signal -1
	s_barrier_wait -1
	s_and_saveexec_b32 s47, s93
	s_cbranch_execz .LBB30_945
; %bb.944:                              ;   in Loop: Header=BB30_3 Depth=1
	ds_load_b64 v[40:41], v3 offset:2592
	ds_load_b64 v[92:93], v5
	s_wait_dscnt 0x0
	v_fma_f64 v[38:39], -v[40:41], v[92:93], v[38:39]
.LBB30_945:                             ;   in Loop: Header=BB30_3 Depth=1
	s_or_b32 exec_lo, exec_lo, s47
	s_barrier_signal -1
	s_barrier_wait -1
	s_and_saveexec_b32 s65, s93
	s_cbranch_execz .LBB30_947
; %bb.946:                              ;   in Loop: Header=BB30_3 Depth=1
	ds_load_b64 v[40:41], v3 offset:2080
	s_wait_dscnt 0x0
	v_mul_f64_e32 v[38:39], v[38:39], v[40:41]
	s_delay_alu instid0(VALU_DEP_1) | instskip(NEXT) | instid1(VALU_DEP_2)
	v_xor_b32_e32 v41, 0x80000000, v39
	v_mov_b32_e32 v40, v38
	ds_store_b64 v5, v[40:41]
.LBB30_947:                             ;   in Loop: Header=BB30_3 Depth=1
	s_or_b32 exec_lo, exec_lo, s65
	s_wait_dscnt 0x0
	s_barrier_signal -1
	s_barrier_wait -1
	s_barrier_signal -1
	s_barrier_wait -1
	s_and_saveexec_b32 s47, s0
; %bb.948:                              ;   in Loop: Header=BB30_3 Depth=1
	ds_store_b64 v47, v[38:39] offset:3616
; %bb.949:                              ;   in Loop: Header=BB30_3 Depth=1
	s_or_b32 exec_lo, exec_lo, s47
	s_wait_dscnt 0x0
	s_barrier_signal -1
	s_barrier_wait -1
	s_barrier_signal -1
	s_barrier_wait -1
	s_and_saveexec_b32 s47, s94
	s_cbranch_execz .LBB30_951
; %bb.950:                              ;   in Loop: Header=BB30_3 Depth=1
	ds_load_b64 v[38:39], v74 offset:3104
	s_wait_dscnt 0x0
	ds_store_b64 v73, v[38:39] offset:2096
	ds_load_b64 v[38:39], v74 offset:3112
	s_wait_dscnt 0x0
	ds_store_b64 v73, v[38:39] offset:2608
.LBB30_951:                             ;   in Loop: Header=BB30_3 Depth=1
	s_or_b32 exec_lo, exec_lo, s47
	s_wait_dscnt 0x0
	s_barrier_signal -1
	s_barrier_wait -1
	s_and_saveexec_b32 s65, s14
	s_cbranch_execz .LBB30_953
; %bb.952:                              ;   in Loop: Header=BB30_3 Depth=1
	ds_load_b128 v[38:41], v3 offset:2592
	ds_load_b64 v[92:93], v3 offset:2080
	v_add_nc_u32_e64 v2, 0x800, 0
	s_wait_dscnt 0x0
	v_mul_f64_e32 v[40:41], v[92:93], v[40:41]
	s_delay_alu instid0(VALU_DEP_1)
	v_mul_f64_e32 v[38:39], v[38:39], v[40:41]
	ds_store_2addr_b64 v2, v[38:39], v[38:39] offset0:5 offset1:68
.LBB30_953:                             ;   in Loop: Header=BB30_3 Depth=1
	s_or_b32 exec_lo, exec_lo, s65
	v_mov_b64_e32 v[38:39], 0
	s_wait_dscnt 0x0
	s_barrier_signal -1
	s_barrier_wait -1
	global_wb scope:SCOPE_DEV
	s_wait_storecnt 0x0
	global_inv scope:SCOPE_DEV
	s_and_saveexec_b32 s65, s2
	s_cbranch_execz .LBB30_959
; %bb.954:                              ;   in Loop: Header=BB30_3 Depth=1
	ds_load_b64 v[38:39], v51 offset:2048
	ds_load_b64 v[40:41], v50 offset:3616
	s_wait_dscnt 0x0
	v_fma_f64 v[38:39], v[38:39], v[40:41], 0
	s_and_saveexec_b32 s47, s16
	s_cbranch_execnz .LBB30_1147
; %bb.955:                              ;   in Loop: Header=BB30_3 Depth=1
	s_or_b32 exec_lo, exec_lo, s47
	s_and_saveexec_b32 s47, s17
	s_cbranch_execnz .LBB30_1148
.LBB30_956:                             ;   in Loop: Header=BB30_3 Depth=1
	s_or_b32 exec_lo, exec_lo, s47
	s_and_saveexec_b32 s47, s0
	s_cbranch_execz .LBB30_958
.LBB30_957:                             ;   in Loop: Header=BB30_3 Depth=1
	ds_load_b64 v[40:41], v75 offset:3584
	ds_load_b64 v[92:93], v3 offset:3640
	s_wait_dscnt 0x0
	v_fmac_f64_e32 v[38:39], v[40:41], v[92:93]
.LBB30_958:                             ;   in Loop: Header=BB30_3 Depth=1
	s_or_b32 exec_lo, exec_lo, s47
.LBB30_959:                             ;   in Loop: Header=BB30_3 Depth=1
	s_delay_alu instid0(SALU_CYCLE_1)
	s_or_b32 exec_lo, exec_lo, s65
	s_and_saveexec_b32 s65, s95
	s_cbranch_execz .LBB30_961
; %bb.960:                              ;   in Loop: Header=BB30_3 Depth=1
	ds_load_b64 v[40:41], v3 offset:1560
	s_wait_dscnt 0x0
	v_mul_f64_e32 v[38:39], v[38:39], v[40:41]
	s_delay_alu instid0(VALU_DEP_1) | instskip(NEXT) | instid1(VALU_DEP_2)
	v_xor_b32_e32 v41, 0x80000000, v39
	v_mov_b32_e32 v40, v38
	ds_store_b64 v49, v[40:41]
.LBB30_961:                             ;   in Loop: Header=BB30_3 Depth=1
	s_or_b32 exec_lo, exec_lo, s65
	s_wait_loadcnt_dscnt 0x0
	s_barrier_signal -1
	s_barrier_wait -1
	s_and_saveexec_b32 s47, s96
	s_cbranch_execz .LBB30_963
; %bb.962:                              ;   in Loop: Header=BB30_3 Depth=1
	ds_load_b64 v[40:41], v51 offset:1536
	ds_load_b64 v[92:93], v49
	s_wait_dscnt 0x0
	v_fma_f64 v[38:39], -v[40:41], v[92:93], v[38:39]
.LBB30_963:                             ;   in Loop: Header=BB30_3 Depth=1
	s_or_b32 exec_lo, exec_lo, s47
	s_barrier_signal -1
	s_barrier_wait -1
	s_and_saveexec_b32 s65, s97
	s_cbranch_execz .LBB30_965
; %bb.964:                              ;   in Loop: Header=BB30_3 Depth=1
	ds_load_b64 v[40:41], v3 offset:1040
	s_wait_dscnt 0x0
	v_mul_f64_e32 v[38:39], v[38:39], v[40:41]
	s_delay_alu instid0(VALU_DEP_1) | instskip(NEXT) | instid1(VALU_DEP_2)
	v_xor_b32_e32 v41, 0x80000000, v39
	v_mov_b32_e32 v40, v38
	ds_store_b64 v49, v[40:41]
.LBB30_965:                             ;   in Loop: Header=BB30_3 Depth=1
	s_or_b32 exec_lo, exec_lo, s65
	s_wait_dscnt 0x0
	s_barrier_signal -1
	s_barrier_wait -1
	s_and_saveexec_b32 s47, s98
	s_cbranch_execz .LBB30_967
; %bb.966:                              ;   in Loop: Header=BB30_3 Depth=1
	ds_load_b64 v[40:41], v51 offset:1024
	ds_load_b64 v[92:93], v49
	s_wait_dscnt 0x0
	v_fma_f64 v[38:39], -v[40:41], v[92:93], v[38:39]
.LBB30_967:                             ;   in Loop: Header=BB30_3 Depth=1
	s_or_b32 exec_lo, exec_lo, s47
	s_barrier_signal -1
	s_barrier_wait -1
	s_and_saveexec_b32 s65, s99
	s_cbranch_execz .LBB30_969
; %bb.968:                              ;   in Loop: Header=BB30_3 Depth=1
	ds_load_b64 v[40:41], v3 offset:520
	s_wait_dscnt 0x0
	v_mul_f64_e32 v[38:39], v[38:39], v[40:41]
	s_delay_alu instid0(VALU_DEP_1) | instskip(NEXT) | instid1(VALU_DEP_2)
	v_xor_b32_e32 v41, 0x80000000, v39
	v_mov_b32_e32 v40, v38
	ds_store_b64 v49, v[40:41]
.LBB30_969:                             ;   in Loop: Header=BB30_3 Depth=1
	s_or_b32 exec_lo, exec_lo, s65
	s_wait_dscnt 0x0
	s_barrier_signal -1
	s_barrier_wait -1
	s_and_saveexec_b32 s47, s100
	s_cbranch_execz .LBB30_971
; %bb.970:                              ;   in Loop: Header=BB30_3 Depth=1
	ds_load_b64 v[40:41], v3 offset:512
	ds_load_b64 v[92:93], v49
	s_wait_dscnt 0x0
	v_fma_f64 v[38:39], -v[40:41], v[92:93], v[38:39]
.LBB30_971:                             ;   in Loop: Header=BB30_3 Depth=1
	s_or_b32 exec_lo, exec_lo, s47
	s_barrier_signal -1
	s_barrier_wait -1
	s_and_saveexec_b32 s65, s100
	s_cbranch_execz .LBB30_973
; %bb.972:                              ;   in Loop: Header=BB30_3 Depth=1
	ds_load_b64 v[40:41], v3
	s_wait_dscnt 0x0
	v_mul_f64_e32 v[38:39], v[38:39], v[40:41]
	s_delay_alu instid0(VALU_DEP_1) | instskip(NEXT) | instid1(VALU_DEP_2)
	v_xor_b32_e32 v41, 0x80000000, v39
	v_mov_b32_e32 v40, v38
	ds_store_b64 v49, v[40:41]
.LBB30_973:                             ;   in Loop: Header=BB30_3 Depth=1
	s_or_b32 exec_lo, exec_lo, s65
	s_wait_dscnt 0x0
	s_barrier_signal -1
	s_barrier_wait -1
	s_barrier_signal -1
	s_barrier_wait -1
	s_and_saveexec_b32 s47, s2
; %bb.974:                              ;   in Loop: Header=BB30_3 Depth=1
	ds_store_b64 v52, v[38:39] offset:3584
; %bb.975:                              ;   in Loop: Header=BB30_3 Depth=1
	s_or_b32 exec_lo, exec_lo, s47
	s_wait_dscnt 0x0
	s_barrier_signal -1
	s_barrier_wait -1
	s_barrier_signal -1
	s_barrier_wait -1
	s_and_saveexec_b32 s65, s101
	s_cbranch_execz .LBB30_977
; %bb.976:                              ;   in Loop: Header=BB30_3 Depth=1
	ds_load_b64 v[38:39], v79 offset:2048
	s_wait_dscnt 0x0
	ds_store_b64 v82, v[38:39] offset:32
	ds_load_b64 v[38:39], v79 offset:2056
	s_wait_dscnt 0x0
	ds_store_b64 v82, v[38:39] offset:544
	;; [unrolled: 3-line block ×4, first 2 shown]
.LBB30_977:                             ;   in Loop: Header=BB30_3 Depth=1
	s_or_b32 exec_lo, exec_lo, s65
	s_wait_dscnt 0x0
	s_barrier_signal -1
	s_barrier_wait -1
	s_and_saveexec_b32 s65, s14
	s_cbranch_execz .LBB30_979
; %bb.978:                              ;   in Loop: Header=BB30_3 Depth=1
	ds_load_b128 v[38:41], v3 offset:1552
	ds_load_b64 v[92:93], v3 offset:1040
	s_wait_dscnt 0x0
	v_mul_f64_e32 v[40:41], v[92:93], v[40:41]
	s_delay_alu instid0(VALU_DEP_1)
	v_mul_f64_e32 v[38:39], v[38:39], v[40:41]
	ds_store_2addr_b64 v3, v[38:39], v[38:39] offset0:131 offset1:194
.LBB30_979:                             ;   in Loop: Header=BB30_3 Depth=1
	s_or_b32 exec_lo, exec_lo, s65
	v_mov_b64_e32 v[38:39], 0
	s_wait_dscnt 0x0
	s_barrier_signal -1
	s_barrier_wait -1
	global_wb scope:SCOPE_DEV
	s_wait_storecnt 0x0
	global_inv scope:SCOPE_DEV
	s_and_saveexec_b32 s65, s0
	s_cbranch_execz .LBB30_983
; %bb.980:                              ;   in Loop: Header=BB30_3 Depth=1
	ds_load_b64 v[38:39], v45 offset:1024
	ds_load_b64 v[40:41], v44 offset:1552
	s_wait_dscnt 0x0
	v_fma_f64 v[38:39], v[38:39], v[40:41], 0
	s_and_saveexec_b32 s47, s15
	s_cbranch_execz .LBB30_982
; %bb.981:                              ;   in Loop: Header=BB30_3 Depth=1
	ds_load_b64 v[40:41], v82 offset:1536
	ds_load_b64 v[92:93], v3 offset:1560
	s_wait_dscnt 0x0
	v_fmac_f64_e32 v[38:39], v[40:41], v[92:93]
.LBB30_982:                             ;   in Loop: Header=BB30_3 Depth=1
	s_or_b32 exec_lo, exec_lo, s47
.LBB30_983:                             ;   in Loop: Header=BB30_3 Depth=1
	s_delay_alu instid0(SALU_CYCLE_1)
	s_or_b32 exec_lo, exec_lo, s65
	s_and_saveexec_b32 s65, s92
	s_cbranch_execz .LBB30_985
; %bb.984:                              ;   in Loop: Header=BB30_3 Depth=1
	ds_load_b64 v[40:41], v3 offset:520
	s_wait_dscnt 0x0
	v_mul_f64_e32 v[38:39], v[38:39], v[40:41]
	s_delay_alu instid0(VALU_DEP_1) | instskip(NEXT) | instid1(VALU_DEP_2)
	v_xor_b32_e32 v41, 0x80000000, v39
	v_mov_b32_e32 v40, v38
	ds_store_b64 v5, v[40:41]
.LBB30_985:                             ;   in Loop: Header=BB30_3 Depth=1
	s_or_b32 exec_lo, exec_lo, s65
	s_wait_loadcnt_dscnt 0x0
	s_barrier_signal -1
	s_barrier_wait -1
	s_and_saveexec_b32 s47, s93
	s_cbranch_execz .LBB30_987
; %bb.986:                              ;   in Loop: Header=BB30_3 Depth=1
	ds_load_b64 v[40:41], v3 offset:512
	ds_load_b64 v[92:93], v5
	s_wait_dscnt 0x0
	v_fma_f64 v[38:39], -v[40:41], v[92:93], v[38:39]
.LBB30_987:                             ;   in Loop: Header=BB30_3 Depth=1
	s_or_b32 exec_lo, exec_lo, s47
	s_barrier_signal -1
	s_barrier_wait -1
	s_and_saveexec_b32 s65, s93
	s_cbranch_execz .LBB30_989
; %bb.988:                              ;   in Loop: Header=BB30_3 Depth=1
	ds_load_b64 v[40:41], v3
	s_wait_dscnt 0x0
	v_mul_f64_e32 v[38:39], v[38:39], v[40:41]
	s_delay_alu instid0(VALU_DEP_1) | instskip(NEXT) | instid1(VALU_DEP_2)
	v_xor_b32_e32 v41, 0x80000000, v39
	v_mov_b32_e32 v40, v38
	ds_store_b64 v5, v[40:41]
.LBB30_989:                             ;   in Loop: Header=BB30_3 Depth=1
	s_or_b32 exec_lo, exec_lo, s65
	s_wait_dscnt 0x0
	s_barrier_signal -1
	s_barrier_wait -1
	s_barrier_signal -1
	s_barrier_wait -1
	s_and_saveexec_b32 s47, s0
; %bb.990:                              ;   in Loop: Header=BB30_3 Depth=1
	ds_store_b64 v47, v[38:39] offset:1536
; %bb.991:                              ;   in Loop: Header=BB30_3 Depth=1
	s_or_b32 exec_lo, exec_lo, s47
	s_wait_dscnt 0x0
	s_barrier_signal -1
	s_barrier_wait -1
	s_barrier_signal -1
	s_barrier_wait -1
	s_and_saveexec_b32 s47, s94
	s_cbranch_execz .LBB30_993
; %bb.992:                              ;   in Loop: Header=BB30_3 Depth=1
	ds_load_b64 v[38:39], v83 offset:1024
	s_wait_dscnt 0x0
	ds_store_b64 v82, v[38:39] offset:16
	ds_load_b64 v[38:39], v83 offset:1032
	s_wait_dscnt 0x0
	ds_store_b64 v82, v[38:39] offset:528
.LBB30_993:                             ;   in Loop: Header=BB30_3 Depth=1
	s_or_b32 exec_lo, exec_lo, s47
	s_wait_dscnt 0x0
	s_barrier_signal -1
	s_barrier_wait -1
	s_and_saveexec_b32 s65, s14
	s_cbranch_execz .LBB30_995
; %bb.994:                              ;   in Loop: Header=BB30_3 Depth=1
	ds_load_b128 v[38:41], v3 offset:512
	ds_load_b64 v[92:93], v3
	s_wait_dscnt 0x0
	v_mul_f64_e32 v[40:41], v[92:93], v[40:41]
	s_delay_alu instid0(VALU_DEP_1)
	v_mul_f64_e32 v[38:39], v[38:39], v[40:41]
	ds_store_2addr_b64 v3, v[38:39], v[38:39] offset0:1 offset1:64
.LBB30_995:                             ;   in Loop: Header=BB30_3 Depth=1
	s_or_b32 exec_lo, exec_lo, s65
.LBB30_996:                             ;   in Loop: Header=BB30_3 Depth=1
	v_readlane_b32 s84, v101, 3
	v_mov_b64_e32 v[38:39], 0
	v_readlane_b32 s85, v101, 4
	s_mul_u64 s[82:83], s[76:77], s[80:81]
	s_wait_dscnt 0x0
	s_lshl_b64 s[82:83], s[82:83], 3
	s_barrier_signal -1
	s_add_nc_u64 s[82:83], s[84:85], s[82:83]
	s_barrier_wait -1
	s_and_saveexec_b32 s47, s70
	s_cbranch_execz .LBB30_998
; %bb.997:                              ;   in Loop: Header=BB30_3 Depth=1
	v_lshl_add_u64 v[38:39], v[0:1], 3, s[82:83]
	global_load_b64 v[38:39], v[38:39], off
	s_wait_loadcnt 0x0
	v_mul_f64_e64 v[38:39], v[38:39], -v[36:37]
.LBB30_998:                             ;   in Loop: Header=BB30_3 Depth=1
	s_or_b32 exec_lo, exec_lo, s47
	s_delay_alu instid0(SALU_CYCLE_1)
	s_and_not1_b32 vcc_lo, exec_lo, s71
	s_cbranch_vccnz .LBB30_1024
; %bb.999:                              ;   in Loop: Header=BB30_3 Depth=1
	v_mov_b32_e32 v92, -1
	s_lshl_b64 s[84:85], s[80:81], 2
	s_mov_b32 s89, 0
	s_add_nc_u64 s[84:85], s[78:79], s[84:85]
	s_branch .LBB30_1002
.LBB30_1000:                            ;   in Loop: Header=BB30_1002 Depth=2
	s_wait_xcnt 0x0
	ds_load_b64 v[36:37], v84 offset:384
	s_wait_loadcnt_dscnt 0x0
	v_fmac_f64_e32 v[38:39], v[40:41], v[36:37]
.LBB30_1001:                            ;   in Loop: Header=BB30_1002 Depth=2
	s_or_b32 exec_lo, exec_lo, s65
	s_add_co_i32 s89, s89, 1
	s_delay_alu instid0(SALU_CYCLE_1)
	s_cmp_eq_u32 s89, s88
	s_cbranch_scc1 .LBB30_1024
.LBB30_1002:                            ;   Parent Loop BB30_3 Depth=1
                                        ; =>  This Loop Header: Depth=2
                                        ;       Child Loop BB30_1004 Depth 3
	v_cmp_gt_i32_e32 vcc_lo, s89, v92
	s_and_b32 s47, s59, vcc_lo
	s_delay_alu instid0(SALU_CYCLE_1)
	s_and_saveexec_b32 s65, s47
	s_cbranch_execz .LBB30_1005
; %bb.1003:                             ;   in Loop: Header=BB30_1002 Depth=2
	global_load_b32 v92, v3, s[84:85]
	s_wait_loadcnt 0x0
	v_cmp_le_i32_e32 vcc_lo, s89, v92
	s_cbranch_vccnz .LBB30_1005
.LBB30_1004:                            ;   Parent Loop BB30_3 Depth=1
                                        ;     Parent Loop BB30_1002 Depth=2
                                        ; =>    This Inner Loop Header: Depth=3
	global_wb scope:SCOPE_DEV
	s_wait_storecnt 0x0
	global_inv scope:SCOPE_DEV
	global_load_b32 v92, v3, s[84:85]
	s_wait_loadcnt 0x0
	v_cmp_gt_i32_e32 vcc_lo, s89, v92
	s_cbranch_vccnz .LBB30_1004
.LBB30_1005:                            ;   in Loop: Header=BB30_1002 Depth=2
	s_or_b32 exec_lo, exec_lo, s65
	s_lshl_b32 s65, s89, 6
	global_wb scope:SCOPE_DEV
	s_wait_storecnt 0x0
	global_inv scope:SCOPE_DEV
	s_wait_loadcnt 0x0
	s_barrier_signal -1
	s_barrier_wait -1
	s_and_saveexec_b32 s86, s60
	s_cbranch_execz .LBB30_1009
; %bb.1006:                             ;   in Loop: Header=BB30_1002 Depth=2
	v_mov_b64_e32 v[36:37], 0
	v_or_b32_e32 v2, s65, v6
	s_mov_b32 s47, exec_lo
	s_delay_alu instid0(VALU_DEP_1)
	v_cmpx_gt_i32_e64 s87, v2
	s_cbranch_execz .LBB30_1008
; %bb.1007:                             ;   in Loop: Header=BB30_1002 Depth=2
	v_mul_u64_e32 v[36:37], s[74:75], v[2:3]
	s_delay_alu instid0(VALU_DEP_1)
	v_lshl_add_u64 v[36:37], v[36:37], 3, s[82:83]
	global_load_b64 v[36:37], v[36:37], off
.LBB30_1008:                            ;   in Loop: Header=BB30_1002 Depth=2
	s_wait_xcnt 0x0
	s_or_b32 exec_lo, exec_lo, s47
	s_wait_loadcnt 0x0
	ds_store_b64 v87, v[36:37]
.LBB30_1009:                            ;   in Loop: Header=BB30_1002 Depth=2
	s_or_b32 exec_lo, exec_lo, s86
	v_add_nc_u32_e32 v2, s65, v42
	v_cmp_ne_u32_e32 vcc_lo, s89, v43
	s_wait_dscnt 0x0
	s_barrier_signal -1
	s_barrier_wait -1
	v_cmp_gt_i32_e64 s65, s87, v2
	v_lshl_add_u64 v[36:37], v[2:3], 3, v[34:35]
	v_cndmask_b32_e64 v93, 0, 1, vcc_lo
	s_and_b32 s47, s65, s5
	s_delay_alu instid0(SALU_CYCLE_1)
	s_and_saveexec_b32 s65, s47
	s_cbranch_execz .LBB30_1013
; %bb.1010:                             ;   in Loop: Header=BB30_1002 Depth=2
	v_mov_b64_e32 v[40:41], v[26:27]
	s_and_not1_b32 vcc_lo, exec_lo, vcc_lo
	s_cbranch_vccnz .LBB30_1012
; %bb.1011:                             ;   in Loop: Header=BB30_1002 Depth=2
	global_load_b64 v[40:41], v[36:37], off
.LBB30_1012:                            ;   in Loop: Header=BB30_1002 Depth=2
	ds_load_b64 v[94:95], v84
	s_wait_loadcnt_dscnt 0x0
	v_fmac_f64_e32 v[38:39], v[40:41], v[94:95]
.LBB30_1013:                            ;   in Loop: Header=BB30_1002 Depth=2
	s_or_b32 exec_lo, exec_lo, s65
	v_add_nc_u32_e32 v40, 16, v2
	s_delay_alu instid0(VALU_DEP_1) | instskip(SKIP_1) | instid1(SALU_CYCLE_1)
	v_cmp_gt_i32_e32 vcc_lo, s87, v40
	s_and_b32 s47, vcc_lo, s5
	s_and_saveexec_b32 s65, s47
	s_cbranch_execz .LBB30_1017
; %bb.1014:                             ;   in Loop: Header=BB30_1002 Depth=2
	v_cmp_ne_u32_e32 vcc_lo, 1, v93
	v_mov_b64_e32 v[40:41], v[28:29]
	s_cbranch_vccnz .LBB30_1016
; %bb.1015:                             ;   in Loop: Header=BB30_1002 Depth=2
	global_load_b64 v[40:41], v[36:37], off offset:128
.LBB30_1016:                            ;   in Loop: Header=BB30_1002 Depth=2
	ds_load_b64 v[94:95], v84 offset:128
	s_wait_loadcnt_dscnt 0x0
	v_fmac_f64_e32 v[38:39], v[40:41], v[94:95]
.LBB30_1017:                            ;   in Loop: Header=BB30_1002 Depth=2
	s_or_b32 exec_lo, exec_lo, s65
	v_add_nc_u32_e32 v40, 32, v2
	s_delay_alu instid0(VALU_DEP_1) | instskip(SKIP_1) | instid1(SALU_CYCLE_1)
	v_cmp_gt_i32_e32 vcc_lo, s87, v40
	s_and_b32 s47, vcc_lo, s5
	s_and_saveexec_b32 s65, s47
	s_cbranch_execz .LBB30_1021
; %bb.1018:                             ;   in Loop: Header=BB30_1002 Depth=2
	v_cmp_ne_u32_e32 vcc_lo, 1, v93
	v_mov_b64_e32 v[40:41], v[30:31]
	s_cbranch_vccnz .LBB30_1020
; %bb.1019:                             ;   in Loop: Header=BB30_1002 Depth=2
	global_load_b64 v[40:41], v[36:37], off offset:256
.LBB30_1020:                            ;   in Loop: Header=BB30_1002 Depth=2
	ds_load_b64 v[94:95], v84 offset:256
	s_wait_loadcnt_dscnt 0x0
	v_fmac_f64_e32 v[38:39], v[40:41], v[94:95]
.LBB30_1021:                            ;   in Loop: Header=BB30_1002 Depth=2
	s_or_b32 exec_lo, exec_lo, s65
	v_add_nc_u32_e32 v2, 48, v2
	s_delay_alu instid0(VALU_DEP_1) | instskip(SKIP_1) | instid1(SALU_CYCLE_1)
	v_cmp_gt_i32_e32 vcc_lo, s87, v2
	s_and_b32 s47, vcc_lo, s5
	s_and_saveexec_b32 s65, s47
	s_cbranch_execz .LBB30_1001
; %bb.1022:                             ;   in Loop: Header=BB30_1002 Depth=2
	v_cmp_ne_u32_e32 vcc_lo, 1, v93
	v_mov_b64_e32 v[40:41], v[32:33]
	s_cbranch_vccnz .LBB30_1000
; %bb.1023:                             ;   in Loop: Header=BB30_1002 Depth=2
	global_load_b64 v[40:41], v[36:37], off offset:384
	s_branch .LBB30_1000
.LBB30_1024:                            ;   in Loop: Header=BB30_3 Depth=1
	ds_store_b64 v88, v[38:39]
	s_wait_dscnt 0x0
	s_barrier_signal -1
	s_barrier_wait -1
	s_and_saveexec_b32 s65, s1
	s_cbranch_execz .LBB30_1026
; %bb.1025:                             ;   in Loop: Header=BB30_3 Depth=1
	ds_load_2addr_stride64_b64 v[34:37], v89 offset0:1 offset1:2
	ds_load_2addr_stride64_b64 v[92:95], v89 offset0:3 offset1:4
	s_wait_dscnt 0x1
	v_add_f64_e32 v[34:35], v[38:39], v[34:35]
	s_delay_alu instid0(VALU_DEP_1) | instskip(SKIP_1) | instid1(VALU_DEP_1)
	v_add_f64_e32 v[34:35], v[34:35], v[36:37]
	s_wait_dscnt 0x0
	v_add_f64_e32 v[34:35], v[34:35], v[92:93]
	s_delay_alu instid0(VALU_DEP_1) | instskip(SKIP_4) | instid1(VALU_DEP_1)
	v_add_f64_e32 v[92:93], v[34:35], v[94:95]
	ds_load_2addr_stride64_b64 v[34:37], v89 offset0:5 offset1:6
	ds_load_2addr_stride64_b64 v[38:41], v89 offset0:7 offset1:8
	s_wait_dscnt 0x1
	v_add_f64_e32 v[34:35], v[92:93], v[34:35]
	v_add_f64_e32 v[34:35], v[34:35], v[36:37]
	s_wait_dscnt 0x0
	s_delay_alu instid0(VALU_DEP_1) | instskip(NEXT) | instid1(VALU_DEP_1)
	v_add_f64_e32 v[34:35], v[34:35], v[38:39]
	v_add_f64_e32 v[92:93], v[34:35], v[40:41]
	ds_load_2addr_stride64_b64 v[34:37], v89 offset0:9 offset1:10
	ds_load_2addr_stride64_b64 v[38:41], v89 offset0:11 offset1:12
	s_wait_dscnt 0x1
	v_add_f64_e32 v[34:35], v[92:93], v[34:35]
	s_delay_alu instid0(VALU_DEP_1) | instskip(SKIP_1) | instid1(VALU_DEP_1)
	v_add_f64_e32 v[34:35], v[34:35], v[36:37]
	s_wait_dscnt 0x0
	v_add_f64_e32 v[34:35], v[34:35], v[38:39]
	s_delay_alu instid0(VALU_DEP_1) | instskip(SKIP_4) | instid1(VALU_DEP_1)
	v_add_f64_e32 v[38:39], v[34:35], v[40:41]
	ds_load_2addr_stride64_b64 v[34:37], v89 offset0:13 offset1:14
	ds_load_b64 v[40:41], v89 offset:7680
	s_wait_dscnt 0x1
	v_add_f64_e32 v[34:35], v[38:39], v[34:35]
	v_add_f64_e32 v[34:35], v[34:35], v[36:37]
	s_wait_dscnt 0x0
	s_delay_alu instid0(VALU_DEP_1) | instskip(NEXT) | instid1(VALU_DEP_1)
	v_add_f64_e32 v[34:35], v[34:35], v[40:41]
	v_xor_b32_e32 v2, 0x80000000, v35
	s_delay_alu instid0(VALU_DEP_2) | instskip(NEXT) | instid1(VALU_DEP_2)
	v_cndmask_b32_e64 v38, v34, 0, s11
	v_cndmask_b32_e64 v39, v2, 0, s11
.LBB30_1026:                            ;   in Loop: Header=BB30_3 Depth=1
	s_or_b32 exec_lo, exec_lo, s65
	s_delay_alu instid0(SALU_CYCLE_1)
	s_and_not1_b32 vcc_lo, exec_lo, s91
	s_cbranch_vccnz .LBB30_1036
; %bb.1027:                             ;   in Loop: Header=BB30_3 Depth=1
	s_and_saveexec_b32 s47, s1
; %bb.1028:                             ;   in Loop: Header=BB30_3 Depth=1
	ds_store_b64 v91, v[38:39]
; %bb.1029:                             ;   in Loop: Header=BB30_3 Depth=1
	s_or_b32 exec_lo, exec_lo, s47
	v_mov_b64_e32 v[34:35], 0
	s_wait_dscnt 0x0
	s_barrier_signal -1
	s_barrier_wait -1
	s_and_saveexec_b32 s47, s6
	s_cbranch_execnz .LBB30_1091
; %bb.1030:                             ;   in Loop: Header=BB30_3 Depth=1
	s_or_b32 exec_lo, exec_lo, s47
	s_and_saveexec_b32 s47, s7
	s_cbranch_execnz .LBB30_1092
.LBB30_1031:                            ;   in Loop: Header=BB30_3 Depth=1
	s_or_b32 exec_lo, exec_lo, s47
	s_and_saveexec_b32 s47, s8
	s_cbranch_execnz .LBB30_1093
.LBB30_1032:                            ;   in Loop: Header=BB30_3 Depth=1
	s_or_b32 exec_lo, exec_lo, s47
	s_and_saveexec_b32 s47, s9
	s_cbranch_execz .LBB30_1034
.LBB30_1033:                            ;   in Loop: Header=BB30_3 Depth=1
	ds_load_b64 v[36:37], v90 offset:24576
	ds_load_b64 v[40:41], v84 offset:384
	s_wait_dscnt 0x0
	v_fmac_f64_e32 v[34:35], v[36:37], v[40:41]
.LBB30_1034:                            ;   in Loop: Header=BB30_3 Depth=1
	s_or_b32 exec_lo, exec_lo, s47
	s_mov_b32 s84, 0
	s_mov_b32 s65, 0
	ds_store_b64 v88, v[34:35]
	s_wait_dscnt 0x0
	s_barrier_signal -1
	s_barrier_wait -1
                                        ; implicit-def: $vgpr36_vgpr37
	s_and_saveexec_b32 s85, s1
	s_cbranch_execz .LBB30_1094
; %bb.1035:                             ;   in Loop: Header=BB30_3 Depth=1
	ds_load_2addr_stride64_b64 v[92:95], v89 offset0:1 offset1:2
	ds_load_2addr_stride64_b64 v[96:99], v89 offset0:3 offset1:4
	s_mov_b32 s65, exec_lo
	s_wait_dscnt 0x1
	v_add_f64_e32 v[34:35], v[34:35], v[92:93]
	s_delay_alu instid0(VALU_DEP_1) | instskip(SKIP_1) | instid1(VALU_DEP_1)
	v_add_f64_e32 v[34:35], v[94:95], v[34:35]
	s_wait_dscnt 0x0
	v_add_f64_e32 v[34:35], v[96:97], v[34:35]
	s_delay_alu instid0(VALU_DEP_1) | instskip(SKIP_4) | instid1(VALU_DEP_1)
	v_add_f64_e32 v[40:41], v[98:99], v[34:35]
	ds_load_2addr_stride64_b64 v[34:37], v89 offset0:5 offset1:6
	ds_load_2addr_stride64_b64 v[92:95], v89 offset0:7 offset1:8
	s_wait_dscnt 0x1
	v_add_f64_e32 v[34:35], v[34:35], v[40:41]
	v_add_f64_e32 v[34:35], v[36:37], v[34:35]
	s_wait_dscnt 0x0
	s_delay_alu instid0(VALU_DEP_1) | instskip(NEXT) | instid1(VALU_DEP_1)
	v_add_f64_e32 v[34:35], v[92:93], v[34:35]
	v_add_f64_e32 v[40:41], v[94:95], v[34:35]
	ds_load_2addr_stride64_b64 v[34:37], v89 offset0:9 offset1:10
	ds_load_2addr_stride64_b64 v[92:95], v89 offset0:11 offset1:12
	s_wait_dscnt 0x1
	v_add_f64_e32 v[34:35], v[34:35], v[40:41]
	s_delay_alu instid0(VALU_DEP_1) | instskip(SKIP_1) | instid1(VALU_DEP_1)
	v_add_f64_e32 v[34:35], v[36:37], v[34:35]
	s_wait_dscnt 0x0
	v_add_f64_e32 v[34:35], v[92:93], v[34:35]
	s_delay_alu instid0(VALU_DEP_1) | instskip(SKIP_4) | instid1(VALU_DEP_1)
	v_add_f64_e32 v[40:41], v[94:95], v[34:35]
	ds_load_2addr_stride64_b64 v[34:37], v89 offset0:13 offset1:14
	ds_load_b64 v[92:93], v89 offset:7680
	s_wait_dscnt 0x1
	v_add_f64_e32 v[34:35], v[34:35], v[40:41]
	v_add_f64_e32 v[34:35], v[36:37], v[34:35]
	s_wait_dscnt 0x0
	s_delay_alu instid0(VALU_DEP_1) | instskip(SKIP_1) | instid1(SALU_CYCLE_1)
	v_add_f64_e32 v[36:37], v[92:93], v[34:35]
	s_or_b32 exec_lo, exec_lo, s85
	s_and_b32 vcc_lo, exec_lo, s84
	s_cbranch_vccnz .LBB30_1037
	s_branch .LBB30_1095
.LBB30_1036:                            ;   in Loop: Header=BB30_3 Depth=1
	s_mov_b32 s65, 0
                                        ; implicit-def: $vgpr36_vgpr37
	s_cbranch_execz .LBB30_1095
.LBB30_1037:                            ;   in Loop: Header=BB30_3 Depth=1
	v_dual_mov_b32 v2, v4 :: v_dual_mov_b32 v34, v78
	s_mov_b32 s84, 0
	s_branch .LBB30_1039
.LBB30_1038:                            ;   in Loop: Header=BB30_1039 Depth=2
	s_or_b32 exec_lo, exec_lo, s47
	v_add_nc_u32_e32 v34, 0x800, v34
	v_add_nc_u32_e32 v2, -4, v2
	s_add_co_i32 s84, s84, 4
	s_delay_alu instid0(SALU_CYCLE_1)
	s_cmp_lg_u32 s84, 64
	s_barrier_signal -1
	s_barrier_wait -1
	s_cbranch_scc0 .LBB30_1055
.LBB30_1039:                            ;   Parent Loop BB30_3 Depth=1
                                        ; =>  This Inner Loop Header: Depth=2
	s_delay_alu instid0(VALU_DEP_1) | instskip(SKIP_2) | instid1(SALU_CYCLE_1)
	v_cmp_eq_u32_e32 vcc_lo, 0, v2
	v_add_nc_u32_e32 v35, v83, v46
	s_and_b32 s85, s1, vcc_lo
	s_and_saveexec_b32 s47, s85
	s_cbranch_execz .LBB30_1041
; %bb.1040:                             ;   in Loop: Header=BB30_1039 Depth=2
	ds_load_b64 v[36:37], v35
	s_wait_dscnt 0x0
	v_mul_f64_e32 v[38:39], v[38:39], v[36:37]
	ds_store_b64 v3, v[38:39] offset:41472
.LBB30_1041:                            ;   in Loop: Header=BB30_1039 Depth=2
	s_or_b32 exec_lo, exec_lo, s47
	v_cmp_lt_u32_e32 vcc_lo, s84, v4
	s_wait_dscnt 0x0
	s_barrier_signal -1
	s_barrier_wait -1
	s_and_b32 s85, s1, vcc_lo
	s_delay_alu instid0(SALU_CYCLE_1)
	s_and_saveexec_b32 s47, s85
	s_cbranch_execz .LBB30_1043
; %bb.1042:                             ;   in Loop: Header=BB30_1039 Depth=2
	ds_load_b64 v[36:37], v34
	ds_load_b64 v[40:41], v3 offset:41472
	s_wait_dscnt 0x0
	v_fmac_f64_e32 v[38:39], v[36:37], v[40:41]
.LBB30_1043:                            ;   in Loop: Header=BB30_1039 Depth=2
	s_or_b32 exec_lo, exec_lo, s47
	s_or_b32 s85, s84, 1
	s_delay_alu instid0(SALU_CYCLE_1) | instskip(SKIP_3) | instid1(SALU_CYCLE_1)
	v_cmp_eq_u32_e32 vcc_lo, s85, v4
	s_barrier_signal -1
	s_barrier_wait -1
	s_and_b32 s86, s1, vcc_lo
	s_and_saveexec_b32 s47, s86
	s_cbranch_execz .LBB30_1045
; %bb.1044:                             ;   in Loop: Header=BB30_1039 Depth=2
	ds_load_b64 v[36:37], v35
	s_wait_dscnt 0x0
	v_mul_f64_e32 v[38:39], v[38:39], v[36:37]
	ds_store_b64 v3, v[38:39] offset:41472
.LBB30_1045:                            ;   in Loop: Header=BB30_1039 Depth=2
	s_or_b32 exec_lo, exec_lo, s47
	v_cmp_lt_u32_e32 vcc_lo, s85, v4
	s_wait_dscnt 0x0
	s_barrier_signal -1
	s_barrier_wait -1
	s_and_b32 s85, s1, vcc_lo
	s_delay_alu instid0(SALU_CYCLE_1)
	s_and_saveexec_b32 s47, s85
	s_cbranch_execz .LBB30_1047
; %bb.1046:                             ;   in Loop: Header=BB30_1039 Depth=2
	ds_load_b64 v[36:37], v34 offset:512
	ds_load_b64 v[40:41], v3 offset:41472
	s_wait_dscnt 0x0
	v_fmac_f64_e32 v[38:39], v[36:37], v[40:41]
.LBB30_1047:                            ;   in Loop: Header=BB30_1039 Depth=2
	s_or_b32 exec_lo, exec_lo, s47
	s_or_b32 s85, s84, 2
	s_delay_alu instid0(SALU_CYCLE_1) | instskip(SKIP_3) | instid1(SALU_CYCLE_1)
	v_cmp_eq_u32_e32 vcc_lo, s85, v4
	s_barrier_signal -1
	s_barrier_wait -1
	s_and_b32 s86, s1, vcc_lo
	s_and_saveexec_b32 s47, s86
	s_cbranch_execz .LBB30_1049
; %bb.1048:                             ;   in Loop: Header=BB30_1039 Depth=2
	ds_load_b64 v[36:37], v35
	s_wait_dscnt 0x0
	v_mul_f64_e32 v[38:39], v[38:39], v[36:37]
	ds_store_b64 v3, v[38:39] offset:41472
.LBB30_1049:                            ;   in Loop: Header=BB30_1039 Depth=2
	s_or_b32 exec_lo, exec_lo, s47
	v_cmp_lt_u32_e32 vcc_lo, s85, v4
	s_wait_dscnt 0x0
	s_barrier_signal -1
	s_barrier_wait -1
	s_and_b32 s85, s1, vcc_lo
	s_delay_alu instid0(SALU_CYCLE_1)
	s_and_saveexec_b32 s47, s85
	s_cbranch_execz .LBB30_1051
; %bb.1050:                             ;   in Loop: Header=BB30_1039 Depth=2
	ds_load_b64 v[36:37], v34 offset:1024
	ds_load_b64 v[40:41], v3 offset:41472
	s_wait_dscnt 0x0
	v_fmac_f64_e32 v[38:39], v[36:37], v[40:41]
.LBB30_1051:                            ;   in Loop: Header=BB30_1039 Depth=2
	s_or_b32 exec_lo, exec_lo, s47
	s_or_b32 s85, s84, 3
	s_delay_alu instid0(SALU_CYCLE_1) | instskip(SKIP_3) | instid1(SALU_CYCLE_1)
	v_cmp_eq_u32_e32 vcc_lo, s85, v4
	s_barrier_signal -1
	s_barrier_wait -1
	s_and_b32 s86, s1, vcc_lo
	s_and_saveexec_b32 s47, s86
	s_cbranch_execz .LBB30_1053
; %bb.1052:                             ;   in Loop: Header=BB30_1039 Depth=2
	ds_load_b64 v[36:37], v35
	s_wait_dscnt 0x0
	v_mul_f64_e32 v[38:39], v[38:39], v[36:37]
	ds_store_b64 v3, v[38:39] offset:41472
.LBB30_1053:                            ;   in Loop: Header=BB30_1039 Depth=2
	s_or_b32 exec_lo, exec_lo, s47
	v_cmp_lt_u32_e32 vcc_lo, s85, v4
	s_wait_dscnt 0x0
	s_barrier_signal -1
	s_barrier_wait -1
	s_and_b32 s85, s1, vcc_lo
	s_delay_alu instid0(SALU_CYCLE_1)
	s_and_saveexec_b32 s47, s85
	s_cbranch_execz .LBB30_1038
; %bb.1054:                             ;   in Loop: Header=BB30_1039 Depth=2
	ds_load_b64 v[36:37], v34 offset:1536
	ds_load_b64 v[40:41], v3 offset:41472
	s_wait_dscnt 0x0
	v_fmac_f64_e32 v[38:39], v[36:37], v[40:41]
	s_branch .LBB30_1038
.LBB30_1055:                            ;   in Loop: Header=BB30_3 Depth=1
	s_and_b32 vcc_lo, exec_lo, s90
	s_mov_b32 s84, -1
	s_cbranch_vccz .LBB30_1057
; %bb.1056:                             ;   in Loop: Header=BB30_3 Depth=1
	s_and_not1_b32 s47, s65, exec_lo
	s_and_b32 s65, s1, exec_lo
	s_mov_b32 s84, 0
	s_or_b32 s65, s47, s65
.LBB30_1057:                            ;   in Loop: Header=BB30_3 Depth=1
	s_and_not1_b32 vcc_lo, exec_lo, s84
	s_cbranch_vccnz .LBB30_1059
; %bb.1058:                             ;   in Loop: Header=BB30_3 Depth=1
	s_and_not1_b32 s47, s65, exec_lo
	v_readlane_b32 s65, v101, 8
	s_and_b32 s65, s65, exec_lo
	s_delay_alu instid0(SALU_CYCLE_1)
	s_or_b32 s65, s47, s65
.LBB30_1059:                            ;   in Loop: Header=BB30_3 Depth=1
	v_mov_b64_e32 v[34:35], v[12:13]
	s_and_saveexec_b32 s47, s65
	s_cbranch_execnz .LBB30_1096
	s_branch .LBB30_1097
.LBB30_1060:                            ;   in Loop: Header=BB30_3 Depth=1
	v_readlane_b32 s84, v101, 17
	s_and_saveexec_b32 s47, s84
	s_delay_alu instid0(SALU_CYCLE_1)
	s_xor_b32 s84, exec_lo, s47
	s_cbranch_execz .LBB30_1064
; %bb.1061:                             ;   in Loop: Header=BB30_3 Depth=1
	s_mov_b32 s47, exec_lo
	v_readlane_b32 s85, v100, 27
	s_and_b32 s85, s47, s85
	s_delay_alu instid0(SALU_CYCLE_1)
	s_mov_b32 exec_lo, s85
; %bb.1062:                             ;   in Loop: Header=BB30_3 Depth=1
	ds_store_b64 v76, v[24:25]
; %bb.1063:                             ;   in Loop: Header=BB30_3 Depth=1
	s_or_b32 exec_lo, exec_lo, s47
.LBB30_1064:                            ;   in Loop: Header=BB30_3 Depth=1
	s_and_not1_saveexec_b32 s84, s84
	s_cbranch_execz .LBB30_1066
; %bb.1065:                             ;   in Loop: Header=BB30_3 Depth=1
	v_lshl_add_u64 v[38:39], v[14:15], 3, s[82:83]
	global_load_b64 v[38:39], v[38:39], off
	s_wait_loadcnt 0x0
	v_div_scale_f64 v[40:41], null, v[38:39], v[38:39], 1.0
	s_delay_alu instid0(VALU_DEP_1) | instskip(SKIP_1) | instid1(TRANS32_DEP_1)
	v_rcp_f64_e32 v[92:93], v[40:41]
	v_nop
	v_fma_f64 v[94:95], -v[40:41], v[92:93], 1.0
	s_delay_alu instid0(VALU_DEP_1) | instskip(NEXT) | instid1(VALU_DEP_1)
	v_fmac_f64_e32 v[92:93], v[92:93], v[94:95]
	v_fma_f64 v[94:95], -v[40:41], v[92:93], 1.0
	s_delay_alu instid0(VALU_DEP_1) | instskip(SKIP_1) | instid1(VALU_DEP_1)
	v_fmac_f64_e32 v[92:93], v[92:93], v[94:95]
	v_div_scale_f64 v[94:95], vcc_lo, 1.0, v[38:39], 1.0
	v_mul_f64_e32 v[96:97], v[94:95], v[92:93]
	s_delay_alu instid0(VALU_DEP_1) | instskip(NEXT) | instid1(VALU_DEP_1)
	v_fma_f64 v[40:41], -v[40:41], v[96:97], v[94:95]
	v_div_fmas_f64 v[40:41], v[40:41], v[92:93], v[96:97]
	s_delay_alu instid0(VALU_DEP_1)
	v_div_fixup_f64 v[38:39], v[40:41], v[38:39], 1.0
	ds_store_b64 v76, v[38:39]
.LBB30_1066:                            ;   in Loop: Header=BB30_3 Depth=1
	s_or_b32 exec_lo, exec_lo, s84
	s_and_not1_saveexec_b32 s65, s65
	s_cbranch_execz .LBB30_17
.LBB30_1067:                            ;   in Loop: Header=BB30_3 Depth=1
	v_lshl_add_u64 v[38:39], v[14:15], 3, s[82:83]
	global_load_b64 v[38:39], v[38:39], off
	s_wait_loadcnt 0x0
	v_xor_b32_e32 v39, 0x80000000, v39
	ds_store_b64 v76, v[38:39]
	s_or_b32 exec_lo, exec_lo, s65
	s_and_saveexec_b32 s47, s7
	s_delay_alu instid0(SALU_CYCLE_1)
	s_xor_b32 s65, exec_lo, s47
	s_cbranch_execz .LBB30_18
.LBB30_1068:                            ;   in Loop: Header=BB30_3 Depth=1
	v_readlane_b32 s84, v101, 19
	s_and_saveexec_b32 s47, s84
	s_delay_alu instid0(SALU_CYCLE_1)
	s_xor_b32 s84, exec_lo, s47
	s_cbranch_execz .LBB30_1072
; %bb.1069:                             ;   in Loop: Header=BB30_3 Depth=1
	s_mov_b32 s47, exec_lo
	v_readlane_b32 s85, v100, 28
	s_and_b32 s85, s47, s85
	s_delay_alu instid0(SALU_CYCLE_1)
	s_mov_b32 exec_lo, s85
; %bb.1070:                             ;   in Loop: Header=BB30_3 Depth=1
	ds_store_b64 v77, v[24:25]
; %bb.1071:                             ;   in Loop: Header=BB30_3 Depth=1
	s_or_b32 exec_lo, exec_lo, s47
.LBB30_1072:                            ;   in Loop: Header=BB30_3 Depth=1
	s_and_not1_saveexec_b32 s84, s84
	s_cbranch_execz .LBB30_1074
; %bb.1073:                             ;   in Loop: Header=BB30_3 Depth=1
	v_lshl_add_u64 v[38:39], v[16:17], 3, s[82:83]
	global_load_b64 v[38:39], v[38:39], off
	s_wait_loadcnt 0x0
	v_div_scale_f64 v[40:41], null, v[38:39], v[38:39], 1.0
	s_delay_alu instid0(VALU_DEP_1) | instskip(SKIP_1) | instid1(TRANS32_DEP_1)
	v_rcp_f64_e32 v[92:93], v[40:41]
	v_nop
	v_fma_f64 v[94:95], -v[40:41], v[92:93], 1.0
	s_delay_alu instid0(VALU_DEP_1) | instskip(NEXT) | instid1(VALU_DEP_1)
	v_fmac_f64_e32 v[92:93], v[92:93], v[94:95]
	v_fma_f64 v[94:95], -v[40:41], v[92:93], 1.0
	s_delay_alu instid0(VALU_DEP_1) | instskip(SKIP_1) | instid1(VALU_DEP_1)
	v_fmac_f64_e32 v[92:93], v[92:93], v[94:95]
	v_div_scale_f64 v[94:95], vcc_lo, 1.0, v[38:39], 1.0
	v_mul_f64_e32 v[96:97], v[94:95], v[92:93]
	s_delay_alu instid0(VALU_DEP_1) | instskip(NEXT) | instid1(VALU_DEP_1)
	v_fma_f64 v[40:41], -v[40:41], v[96:97], v[94:95]
	v_div_fmas_f64 v[40:41], v[40:41], v[92:93], v[96:97]
	s_delay_alu instid0(VALU_DEP_1)
	v_div_fixup_f64 v[38:39], v[40:41], v[38:39], 1.0
	ds_store_b64 v77, v[38:39]
.LBB30_1074:                            ;   in Loop: Header=BB30_3 Depth=1
	s_or_b32 exec_lo, exec_lo, s84
	s_and_not1_saveexec_b32 s65, s65
	s_cbranch_execz .LBB30_19
.LBB30_1075:                            ;   in Loop: Header=BB30_3 Depth=1
	v_lshl_add_u64 v[38:39], v[16:17], 3, s[82:83]
	global_load_b64 v[38:39], v[38:39], off
	s_wait_loadcnt 0x0
	v_xor_b32_e32 v39, 0x80000000, v39
	ds_store_b64 v77, v[38:39]
	s_or_b32 exec_lo, exec_lo, s65
	s_and_saveexec_b32 s47, s8
	s_delay_alu instid0(SALU_CYCLE_1)
	s_xor_b32 s65, exec_lo, s47
	s_cbranch_execz .LBB30_20
.LBB30_1076:                            ;   in Loop: Header=BB30_3 Depth=1
	v_readlane_b32 s84, v101, 21
	s_and_saveexec_b32 s47, s84
	s_delay_alu instid0(SALU_CYCLE_1)
	s_xor_b32 s84, exec_lo, s47
	s_cbranch_execz .LBB30_1080
; %bb.1077:                             ;   in Loop: Header=BB30_3 Depth=1
	s_mov_b32 s47, exec_lo
	v_readlane_b32 s85, v100, 29
	s_and_b32 s85, s47, s85
	s_delay_alu instid0(SALU_CYCLE_1)
	s_mov_b32 exec_lo, s85
; %bb.1078:                             ;   in Loop: Header=BB30_3 Depth=1
	ds_store_b64 v80, v[24:25]
; %bb.1079:                             ;   in Loop: Header=BB30_3 Depth=1
	s_or_b32 exec_lo, exec_lo, s47
.LBB30_1080:                            ;   in Loop: Header=BB30_3 Depth=1
	s_and_not1_saveexec_b32 s84, s84
	s_cbranch_execz .LBB30_1082
; %bb.1081:                             ;   in Loop: Header=BB30_3 Depth=1
	v_lshl_add_u64 v[38:39], v[18:19], 3, s[82:83]
	global_load_b64 v[38:39], v[38:39], off
	s_wait_loadcnt 0x0
	v_div_scale_f64 v[40:41], null, v[38:39], v[38:39], 1.0
	s_delay_alu instid0(VALU_DEP_1) | instskip(SKIP_1) | instid1(TRANS32_DEP_1)
	v_rcp_f64_e32 v[92:93], v[40:41]
	v_nop
	v_fma_f64 v[94:95], -v[40:41], v[92:93], 1.0
	s_delay_alu instid0(VALU_DEP_1) | instskip(NEXT) | instid1(VALU_DEP_1)
	v_fmac_f64_e32 v[92:93], v[92:93], v[94:95]
	v_fma_f64 v[94:95], -v[40:41], v[92:93], 1.0
	s_delay_alu instid0(VALU_DEP_1) | instskip(SKIP_1) | instid1(VALU_DEP_1)
	v_fmac_f64_e32 v[92:93], v[92:93], v[94:95]
	v_div_scale_f64 v[94:95], vcc_lo, 1.0, v[38:39], 1.0
	v_mul_f64_e32 v[96:97], v[94:95], v[92:93]
	s_delay_alu instid0(VALU_DEP_1) | instskip(NEXT) | instid1(VALU_DEP_1)
	v_fma_f64 v[40:41], -v[40:41], v[96:97], v[94:95]
	v_div_fmas_f64 v[40:41], v[40:41], v[92:93], v[96:97]
	s_delay_alu instid0(VALU_DEP_1)
	v_div_fixup_f64 v[38:39], v[40:41], v[38:39], 1.0
	ds_store_b64 v80, v[38:39]
.LBB30_1082:                            ;   in Loop: Header=BB30_3 Depth=1
	s_or_b32 exec_lo, exec_lo, s84
	s_and_not1_saveexec_b32 s65, s65
	s_cbranch_execz .LBB30_21
.LBB30_1083:                            ;   in Loop: Header=BB30_3 Depth=1
	v_lshl_add_u64 v[38:39], v[18:19], 3, s[82:83]
	global_load_b64 v[38:39], v[38:39], off
	s_wait_loadcnt 0x0
	v_xor_b32_e32 v39, 0x80000000, v39
	ds_store_b64 v80, v[38:39]
	s_or_b32 exec_lo, exec_lo, s65
	s_and_saveexec_b32 s47, s9
	s_delay_alu instid0(SALU_CYCLE_1)
	s_xor_b32 s65, exec_lo, s47
	s_cbranch_execz .LBB30_22
.LBB30_1084:                            ;   in Loop: Header=BB30_3 Depth=1
	v_readlane_b32 s84, v101, 23
	s_and_saveexec_b32 s47, s84
	s_delay_alu instid0(SALU_CYCLE_1)
	s_xor_b32 s84, exec_lo, s47
	s_cbranch_execz .LBB30_1088
; %bb.1085:                             ;   in Loop: Header=BB30_3 Depth=1
	s_mov_b32 s47, exec_lo
	v_readlane_b32 s85, v100, 30
	s_and_b32 s85, s47, s85
	s_delay_alu instid0(SALU_CYCLE_1)
	s_mov_b32 exec_lo, s85
; %bb.1086:                             ;   in Loop: Header=BB30_3 Depth=1
	ds_store_b64 v81, v[24:25]
; %bb.1087:                             ;   in Loop: Header=BB30_3 Depth=1
	s_or_b32 exec_lo, exec_lo, s47
.LBB30_1088:                            ;   in Loop: Header=BB30_3 Depth=1
	s_and_not1_saveexec_b32 s84, s84
	s_cbranch_execz .LBB30_1090
; %bb.1089:                             ;   in Loop: Header=BB30_3 Depth=1
	v_lshl_add_u64 v[38:39], v[20:21], 3, s[82:83]
	global_load_b64 v[38:39], v[38:39], off
	s_wait_loadcnt 0x0
	v_div_scale_f64 v[40:41], null, v[38:39], v[38:39], 1.0
	s_delay_alu instid0(VALU_DEP_1) | instskip(SKIP_1) | instid1(TRANS32_DEP_1)
	v_rcp_f64_e32 v[92:93], v[40:41]
	v_nop
	v_fma_f64 v[94:95], -v[40:41], v[92:93], 1.0
	s_delay_alu instid0(VALU_DEP_1) | instskip(NEXT) | instid1(VALU_DEP_1)
	v_fmac_f64_e32 v[92:93], v[92:93], v[94:95]
	v_fma_f64 v[94:95], -v[40:41], v[92:93], 1.0
	s_delay_alu instid0(VALU_DEP_1) | instskip(SKIP_1) | instid1(VALU_DEP_1)
	v_fmac_f64_e32 v[92:93], v[92:93], v[94:95]
	v_div_scale_f64 v[94:95], vcc_lo, 1.0, v[38:39], 1.0
	v_mul_f64_e32 v[96:97], v[94:95], v[92:93]
	s_delay_alu instid0(VALU_DEP_1) | instskip(NEXT) | instid1(VALU_DEP_1)
	v_fma_f64 v[40:41], -v[40:41], v[96:97], v[94:95]
	v_div_fmas_f64 v[40:41], v[40:41], v[92:93], v[96:97]
	s_delay_alu instid0(VALU_DEP_1)
	v_div_fixup_f64 v[38:39], v[40:41], v[38:39], 1.0
	ds_store_b64 v81, v[38:39]
.LBB30_1090:                            ;   in Loop: Header=BB30_3 Depth=1
	s_or_b32 exec_lo, exec_lo, s84
	s_and_not1_saveexec_b32 s65, s65
	s_cbranch_execnz .LBB30_23
	s_branch .LBB30_24
.LBB30_1091:                            ;   in Loop: Header=BB30_3 Depth=1
	ds_load_b64 v[34:35], v90
	ds_load_b64 v[36:37], v84
	s_wait_dscnt 0x0
	v_fma_f64 v[34:35], v[34:35], v[36:37], 0
	s_or_b32 exec_lo, exec_lo, s47
	s_and_saveexec_b32 s47, s7
	s_cbranch_execz .LBB30_1031
.LBB30_1092:                            ;   in Loop: Header=BB30_3 Depth=1
	ds_load_b64 v[36:37], v90 offset:8192
	ds_load_b64 v[40:41], v84 offset:128
	s_wait_dscnt 0x0
	v_fmac_f64_e32 v[34:35], v[36:37], v[40:41]
	s_or_b32 exec_lo, exec_lo, s47
	s_and_saveexec_b32 s47, s8
	s_cbranch_execz .LBB30_1032
.LBB30_1093:                            ;   in Loop: Header=BB30_3 Depth=1
	ds_load_b64 v[36:37], v90 offset:16384
	ds_load_b64 v[40:41], v84 offset:256
	s_wait_dscnt 0x0
	v_fmac_f64_e32 v[34:35], v[36:37], v[40:41]
	s_or_b32 exec_lo, exec_lo, s47
	s_and_saveexec_b32 s47, s9
	s_cbranch_execnz .LBB30_1033
	s_branch .LBB30_1034
.LBB30_1094:                            ;   in Loop: Header=BB30_3 Depth=1
	s_or_b32 exec_lo, exec_lo, s85
	s_delay_alu instid0(SALU_CYCLE_1)
	s_and_b32 vcc_lo, exec_lo, s84
	s_cbranch_vccnz .LBB30_1037
.LBB30_1095:                            ;   in Loop: Header=BB30_3 Depth=1
	s_delay_alu instid0(VALU_DEP_1)
	v_mov_b64_e32 v[38:39], v[36:37]
	v_mov_b64_e32 v[34:35], v[22:23]
	s_and_saveexec_b32 s47, s65
	s_cbranch_execz .LBB30_1097
.LBB30_1096:                            ;   in Loop: Header=BB30_3 Depth=1
	s_delay_alu instid0(VALU_DEP_1)
	v_lshl_add_u64 v[34:35], v[34:35], 3, s[82:83]
	global_store_b64 v[34:35], v[38:39], off
.LBB30_1097:                            ;   in Loop: Header=BB30_3 Depth=1
	s_wait_xcnt 0x0
	s_or_b32 exec_lo, exec_lo, s47
	global_wb scope:SCOPE_DEV
	s_wait_storecnt 0x0
	global_inv scope:SCOPE_DEV
	s_wait_loadcnt 0x0
	s_barrier_signal -1
	s_barrier_wait -1
	s_and_saveexec_b32 s47, s59
	s_cbranch_execz .LBB30_2
; %bb.1098:                             ;   in Loop: Header=BB30_3 Depth=1
	s_lshl_b64 s[82:83], s[80:81], 2
	s_delay_alu instid0(SALU_CYCLE_1)
	s_add_nc_u64 s[82:83], s[78:79], s[82:83]
	global_load_b32 v2, v3, s[82:83]
	s_wait_loadcnt 0x0
	v_add_nc_u32_e32 v2, 1, v2
	global_store_b32 v3, v2, s[82:83]
	s_branch .LBB30_2
.LBB30_1099:                            ;   in Loop: Header=BB30_3 Depth=1
	ds_load_b64 v[40:41], v51 offset:31680
	ds_load_b64 v[92:93], v50 offset:32744
	s_wait_dscnt 0x0
	v_fmac_f64_e32 v[38:39], v[40:41], v[92:93]
	s_or_b32 exec_lo, exec_lo, s47
	s_and_saveexec_b32 s47, s17
	s_cbranch_execz .LBB30_88
.LBB30_1100:                            ;   in Loop: Header=BB30_3 Depth=1
	ds_load_b64 v[40:41], v51 offset:32192
	ds_load_b64 v[92:93], v50 offset:32752
	s_wait_dscnt 0x0
	v_fmac_f64_e32 v[38:39], v[40:41], v[92:93]
	s_or_b32 exec_lo, exec_lo, s47
	s_and_saveexec_b32 s47, s0
	s_cbranch_execnz .LBB30_89
	s_branch .LBB30_90
.LBB30_1101:                            ;   in Loop: Header=BB30_3 Depth=1
	ds_load_b64 v[40:41], v55 offset:29568
	ds_load_b64 v[92:93], v54 offset:32712
	s_wait_dscnt 0x0
	v_fmac_f64_e32 v[38:39], v[40:41], v[92:93]
	s_or_b32 exec_lo, exec_lo, s47
	s_and_saveexec_b32 s47, s19
	s_cbranch_execz .LBB30_130
.LBB30_1102:                            ;   in Loop: Header=BB30_3 Depth=1
	ds_load_b64 v[40:41], v55 offset:30080
	ds_load_b64 v[92:93], v54 offset:32720
	s_wait_dscnt 0x0
	v_fmac_f64_e32 v[38:39], v[40:41], v[92:93]
	s_or_b32 exec_lo, exec_lo, s47
	s_and_saveexec_b32 s47, s20
	s_cbranch_execz .LBB30_131
.LBB30_1103:                            ;   in Loop: Header=BB30_3 Depth=1
	ds_load_b64 v[40:41], v55 offset:30592
	ds_load_b64 v[92:93], v54 offset:32728
	s_wait_dscnt 0x0
	v_fmac_f64_e32 v[38:39], v[40:41], v[92:93]
	s_or_b32 exec_lo, exec_lo, s47
	s_and_saveexec_b32 s47, s21
	s_cbranch_execz .LBB30_132
.LBB30_1104:                            ;   in Loop: Header=BB30_3 Depth=1
	ds_load_b64 v[40:41], v55 offset:31104
	ds_load_b64 v[92:93], v54 offset:32736
	s_wait_dscnt 0x0
	v_fmac_f64_e32 v[38:39], v[40:41], v[92:93]
	s_or_b32 exec_lo, exec_lo, s47
	s_and_saveexec_b32 s47, s22
	s_cbranch_execz .LBB30_133
.LBB30_1105:                            ;   in Loop: Header=BB30_3 Depth=1
	ds_load_b64 v[40:41], v55 offset:31616
	ds_load_b64 v[92:93], v54 offset:32744
	s_wait_dscnt 0x0
	v_fmac_f64_e32 v[38:39], v[40:41], v[92:93]
	s_or_b32 exec_lo, exec_lo, s47
	s_and_saveexec_b32 s47, s2
	s_cbranch_execz .LBB30_134
.LBB30_1106:                            ;   in Loop: Header=BB30_3 Depth=1
	ds_load_b64 v[40:41], v55 offset:32128
	ds_load_b64 v[92:93], v54 offset:32752
	s_wait_dscnt 0x0
	v_fmac_f64_e32 v[38:39], v[40:41], v[92:93]
	s_or_b32 exec_lo, exec_lo, s47
	s_and_saveexec_b32 s47, s17
	s_cbranch_execnz .LBB30_135
	s_branch .LBB30_136
.LBB30_1107:                            ;   in Loop: Header=BB30_3 Depth=1
	ds_load_b64 v[40:41], v51 offset:27520
	ds_load_b64 v[92:93], v50 offset:28584
	s_wait_dscnt 0x0
	v_fmac_f64_e32 v[38:39], v[40:41], v[92:93]
	s_or_b32 exec_lo, exec_lo, s47
	s_and_saveexec_b32 s47, s17
	s_cbranch_execz .LBB30_192
.LBB30_1108:                            ;   in Loop: Header=BB30_3 Depth=1
	ds_load_b64 v[40:41], v51 offset:28032
	ds_load_b64 v[92:93], v50 offset:28592
	s_wait_dscnt 0x0
	v_fmac_f64_e32 v[38:39], v[40:41], v[92:93]
	s_or_b32 exec_lo, exec_lo, s47
	s_and_saveexec_b32 s47, s0
	s_cbranch_execnz .LBB30_193
	s_branch .LBB30_194
.LBB30_1109:                            ;   in Loop: Header=BB30_3 Depth=1
	ds_load_b64 v[40:41], v59 offset:30464
	ds_load_b64 v[92:93], v58 offset:32728
	s_wait_dscnt 0x0
	v_fmac_f64_e32 v[38:39], v[40:41], v[92:93]
	s_or_b32 exec_lo, exec_lo, s47
	s_and_saveexec_b32 s47, s3
	s_cbranch_execz .LBB30_254
.LBB30_1110:                            ;   in Loop: Header=BB30_3 Depth=1
	ds_load_b64 v[40:41], v59 offset:30976
	ds_load_b64 v[92:93], v58 offset:32736
	s_wait_dscnt 0x0
	v_fmac_f64_e32 v[38:39], v[40:41], v[92:93]
	s_or_b32 exec_lo, exec_lo, s47
	s_and_saveexec_b32 s47, s19
	s_cbranch_execz .LBB30_255
.LBB30_1111:                            ;   in Loop: Header=BB30_3 Depth=1
	ds_load_b64 v[40:41], v59 offset:31488
	ds_load_b64 v[92:93], v58 offset:32744
	s_wait_dscnt 0x0
	v_fmac_f64_e32 v[38:39], v[40:41], v[92:93]
	s_or_b32 exec_lo, exec_lo, s47
	s_and_saveexec_b32 s47, s21
	s_cbranch_execz .LBB30_256
.LBB30_1112:                            ;   in Loop: Header=BB30_3 Depth=1
	ds_load_b64 v[40:41], v59 offset:32000
	ds_load_b64 v[92:93], v58 offset:32752
	s_wait_dscnt 0x0
	v_fmac_f64_e32 v[38:39], v[40:41], v[92:93]
	s_or_b32 exec_lo, exec_lo, s47
	s_and_saveexec_b32 s47, s2
	s_cbranch_execnz .LBB30_257
	s_branch .LBB30_258
.LBB30_1113:                            ;   in Loop: Header=BB30_3 Depth=1
	ds_load_b64 v[40:41], v51 offset:23360
	ds_load_b64 v[92:93], v50 offset:24424
	s_wait_dscnt 0x0
	v_fmac_f64_e32 v[38:39], v[40:41], v[92:93]
	s_or_b32 exec_lo, exec_lo, s47
	s_and_saveexec_b32 s47, s17
	s_cbranch_execz .LBB30_346
.LBB30_1114:                            ;   in Loop: Header=BB30_3 Depth=1
	ds_load_b64 v[40:41], v51 offset:23872
	ds_load_b64 v[92:93], v50 offset:24432
	s_wait_dscnt 0x0
	v_fmac_f64_e32 v[38:39], v[40:41], v[92:93]
	s_or_b32 exec_lo, exec_lo, s47
	s_and_saveexec_b32 s47, s0
	s_cbranch_execnz .LBB30_347
	s_branch .LBB30_348
.LBB30_1115:                            ;   in Loop: Header=BB30_3 Depth=1
	ds_load_b64 v[40:41], v55 offset:21248
	ds_load_b64 v[92:93], v54 offset:24392
	s_wait_dscnt 0x0
	v_fmac_f64_e32 v[38:39], v[40:41], v[92:93]
	s_or_b32 exec_lo, exec_lo, s47
	s_and_saveexec_b32 s47, s19
	s_cbranch_execz .LBB30_388
.LBB30_1116:                            ;   in Loop: Header=BB30_3 Depth=1
	ds_load_b64 v[40:41], v55 offset:21760
	ds_load_b64 v[92:93], v54 offset:24400
	s_wait_dscnt 0x0
	v_fmac_f64_e32 v[38:39], v[40:41], v[92:93]
	s_or_b32 exec_lo, exec_lo, s47
	s_and_saveexec_b32 s47, s20
	s_cbranch_execz .LBB30_389
.LBB30_1117:                            ;   in Loop: Header=BB30_3 Depth=1
	ds_load_b64 v[40:41], v55 offset:22272
	ds_load_b64 v[92:93], v54 offset:24408
	s_wait_dscnt 0x0
	v_fmac_f64_e32 v[38:39], v[40:41], v[92:93]
	s_or_b32 exec_lo, exec_lo, s47
	s_and_saveexec_b32 s47, s21
	s_cbranch_execz .LBB30_390
.LBB30_1118:                            ;   in Loop: Header=BB30_3 Depth=1
	ds_load_b64 v[40:41], v55 offset:22784
	ds_load_b64 v[92:93], v54 offset:24416
	s_wait_dscnt 0x0
	v_fmac_f64_e32 v[38:39], v[40:41], v[92:93]
	s_or_b32 exec_lo, exec_lo, s47
	s_and_saveexec_b32 s47, s22
	s_cbranch_execz .LBB30_391
.LBB30_1119:                            ;   in Loop: Header=BB30_3 Depth=1
	ds_load_b64 v[40:41], v55 offset:23296
	ds_load_b64 v[92:93], v54 offset:24424
	s_wait_dscnt 0x0
	v_fmac_f64_e32 v[38:39], v[40:41], v[92:93]
	s_or_b32 exec_lo, exec_lo, s47
	s_and_saveexec_b32 s47, s2
	s_cbranch_execz .LBB30_392
.LBB30_1120:                            ;   in Loop: Header=BB30_3 Depth=1
	ds_load_b64 v[40:41], v55 offset:23808
	ds_load_b64 v[92:93], v54 offset:24432
	s_wait_dscnt 0x0
	v_fmac_f64_e32 v[38:39], v[40:41], v[92:93]
	s_or_b32 exec_lo, exec_lo, s47
	s_and_saveexec_b32 s47, s17
	s_cbranch_execnz .LBB30_393
	s_branch .LBB30_394
.LBB30_1121:                            ;   in Loop: Header=BB30_3 Depth=1
	ds_load_b64 v[40:41], v51 offset:19200
	ds_load_b64 v[92:93], v50 offset:20264
	s_wait_dscnt 0x0
	v_fmac_f64_e32 v[38:39], v[40:41], v[92:93]
	s_or_b32 exec_lo, exec_lo, s47
	s_and_saveexec_b32 s47, s17
	s_cbranch_execz .LBB30_450
.LBB30_1122:                            ;   in Loop: Header=BB30_3 Depth=1
	ds_load_b64 v[40:41], v51 offset:19712
	ds_load_b64 v[92:93], v50 offset:20272
	s_wait_dscnt 0x0
	v_fmac_f64_e32 v[38:39], v[40:41], v[92:93]
	s_or_b32 exec_lo, exec_lo, s47
	s_and_saveexec_b32 s47, s0
	s_cbranch_execnz .LBB30_451
	s_branch .LBB30_452
.LBB30_1123:                            ;   in Loop: Header=BB30_3 Depth=1
	ds_load_b64 v[40:41], v62 offset:31232
	ds_load_b64 v[92:93], v63 offset:32744
	s_wait_dscnt 0x0
	v_fmac_f64_e32 v[38:39], v[40:41], v[92:93]
	s_or_b32 exec_lo, exec_lo, s47
	s_and_saveexec_b32 s47, s3
	s_cbranch_execz .LBB30_548
.LBB30_1124:                            ;   in Loop: Header=BB30_3 Depth=1
	ds_load_b64 v[40:41], v62 offset:31744
	ds_load_b64 v[92:93], v63 offset:32752
	s_wait_dscnt 0x0
	v_fmac_f64_e32 v[38:39], v[40:41], v[92:93]
	s_or_b32 exec_lo, exec_lo, s47
	s_and_saveexec_b32 s47, s21
	s_delay_alu instid0(SALU_CYCLE_1)
	s_xor_b32 s47, exec_lo, s47
	s_cbranch_execnz .LBB30_549
	s_branch .LBB30_550
.LBB30_1125:                            ;   in Loop: Header=BB30_3 Depth=1
	ds_load_b64 v[40:41], v51 offset:15040
	ds_load_b64 v[92:93], v50 offset:16104
	s_wait_dscnt 0x0
	v_fmac_f64_e32 v[38:39], v[40:41], v[92:93]
	s_or_b32 exec_lo, exec_lo, s47
	s_and_saveexec_b32 s47, s17
	s_cbranch_execz .LBB30_594
.LBB30_1126:                            ;   in Loop: Header=BB30_3 Depth=1
	ds_load_b64 v[40:41], v51 offset:15552
	ds_load_b64 v[92:93], v50 offset:16112
	s_wait_dscnt 0x0
	v_fmac_f64_e32 v[38:39], v[40:41], v[92:93]
	s_or_b32 exec_lo, exec_lo, s47
	s_and_saveexec_b32 s47, s0
	s_cbranch_execnz .LBB30_595
	s_branch .LBB30_596
.LBB30_1127:                            ;   in Loop: Header=BB30_3 Depth=1
	ds_load_b64 v[40:41], v55 offset:12928
	ds_load_b64 v[92:93], v54 offset:16072
	s_wait_dscnt 0x0
	v_fmac_f64_e32 v[38:39], v[40:41], v[92:93]
	s_or_b32 exec_lo, exec_lo, s47
	s_and_saveexec_b32 s47, s19
	s_cbranch_execz .LBB30_636
.LBB30_1128:                            ;   in Loop: Header=BB30_3 Depth=1
	ds_load_b64 v[40:41], v55 offset:13440
	ds_load_b64 v[92:93], v54 offset:16080
	s_wait_dscnt 0x0
	v_fmac_f64_e32 v[38:39], v[40:41], v[92:93]
	s_or_b32 exec_lo, exec_lo, s47
	s_and_saveexec_b32 s47, s20
	s_cbranch_execz .LBB30_637
.LBB30_1129:                            ;   in Loop: Header=BB30_3 Depth=1
	ds_load_b64 v[40:41], v55 offset:13952
	ds_load_b64 v[92:93], v54 offset:16088
	s_wait_dscnt 0x0
	v_fmac_f64_e32 v[38:39], v[40:41], v[92:93]
	s_or_b32 exec_lo, exec_lo, s47
	s_and_saveexec_b32 s47, s21
	s_cbranch_execz .LBB30_638
.LBB30_1130:                            ;   in Loop: Header=BB30_3 Depth=1
	ds_load_b64 v[40:41], v55 offset:14464
	ds_load_b64 v[92:93], v54 offset:16096
	s_wait_dscnt 0x0
	v_fmac_f64_e32 v[38:39], v[40:41], v[92:93]
	s_or_b32 exec_lo, exec_lo, s47
	s_and_saveexec_b32 s47, s22
	s_cbranch_execz .LBB30_639
.LBB30_1131:                            ;   in Loop: Header=BB30_3 Depth=1
	ds_load_b64 v[40:41], v55 offset:14976
	ds_load_b64 v[92:93], v54 offset:16104
	s_wait_dscnt 0x0
	v_fmac_f64_e32 v[38:39], v[40:41], v[92:93]
	s_or_b32 exec_lo, exec_lo, s47
	s_and_saveexec_b32 s47, s2
	s_cbranch_execz .LBB30_640
.LBB30_1132:                            ;   in Loop: Header=BB30_3 Depth=1
	ds_load_b64 v[40:41], v55 offset:15488
	ds_load_b64 v[92:93], v54 offset:16112
	s_wait_dscnt 0x0
	v_fmac_f64_e32 v[38:39], v[40:41], v[92:93]
	s_or_b32 exec_lo, exec_lo, s47
	s_and_saveexec_b32 s47, s17
	s_cbranch_execnz .LBB30_641
	s_branch .LBB30_642
.LBB30_1133:                            ;   in Loop: Header=BB30_3 Depth=1
	ds_load_b64 v[40:41], v51 offset:10880
	ds_load_b64 v[92:93], v50 offset:11944
	s_wait_dscnt 0x0
	v_fmac_f64_e32 v[38:39], v[40:41], v[92:93]
	s_or_b32 exec_lo, exec_lo, s47
	s_and_saveexec_b32 s47, s17
	s_cbranch_execz .LBB30_698
.LBB30_1134:                            ;   in Loop: Header=BB30_3 Depth=1
	ds_load_b64 v[40:41], v51 offset:11392
	ds_load_b64 v[92:93], v50 offset:11952
	s_wait_dscnt 0x0
	v_fmac_f64_e32 v[38:39], v[40:41], v[92:93]
	s_or_b32 exec_lo, exec_lo, s47
	s_and_saveexec_b32 s47, s0
	s_cbranch_execnz .LBB30_699
	s_branch .LBB30_700
.LBB30_1135:                            ;   in Loop: Header=BB30_3 Depth=1
	ds_load_b64 v[40:41], v59 offset:13824
	ds_load_b64 v[92:93], v58 offset:16088
	s_wait_dscnt 0x0
	v_fmac_f64_e32 v[38:39], v[40:41], v[92:93]
	s_or_b32 exec_lo, exec_lo, s47
	s_and_saveexec_b32 s47, s3
	s_cbranch_execz .LBB30_760
.LBB30_1136:                            ;   in Loop: Header=BB30_3 Depth=1
	ds_load_b64 v[40:41], v59 offset:14336
	ds_load_b64 v[92:93], v58 offset:16096
	s_wait_dscnt 0x0
	v_fmac_f64_e32 v[38:39], v[40:41], v[92:93]
	s_or_b32 exec_lo, exec_lo, s47
	s_and_saveexec_b32 s47, s19
	s_cbranch_execz .LBB30_761
.LBB30_1137:                            ;   in Loop: Header=BB30_3 Depth=1
	ds_load_b64 v[40:41], v59 offset:14848
	ds_load_b64 v[92:93], v58 offset:16104
	s_wait_dscnt 0x0
	v_fmac_f64_e32 v[38:39], v[40:41], v[92:93]
	s_or_b32 exec_lo, exec_lo, s47
	s_and_saveexec_b32 s47, s21
	s_cbranch_execz .LBB30_762
.LBB30_1138:                            ;   in Loop: Header=BB30_3 Depth=1
	ds_load_b64 v[40:41], v59 offset:15360
	ds_load_b64 v[92:93], v58 offset:16112
	s_wait_dscnt 0x0
	v_fmac_f64_e32 v[38:39], v[40:41], v[92:93]
	s_or_b32 exec_lo, exec_lo, s47
	s_and_saveexec_b32 s47, s2
	s_cbranch_execnz .LBB30_763
	s_branch .LBB30_764
.LBB30_1139:                            ;   in Loop: Header=BB30_3 Depth=1
	ds_load_b64 v[40:41], v51 offset:6720
	ds_load_b64 v[92:93], v50 offset:7784
	s_wait_dscnt 0x0
	v_fmac_f64_e32 v[38:39], v[40:41], v[92:93]
	s_or_b32 exec_lo, exec_lo, s47
	s_and_saveexec_b32 s47, s17
	s_cbranch_execz .LBB30_852
.LBB30_1140:                            ;   in Loop: Header=BB30_3 Depth=1
	ds_load_b64 v[40:41], v51 offset:7232
	ds_load_b64 v[92:93], v50 offset:7792
	s_wait_dscnt 0x0
	v_fmac_f64_e32 v[38:39], v[40:41], v[92:93]
	s_or_b32 exec_lo, exec_lo, s47
	s_and_saveexec_b32 s47, s0
	s_cbranch_execnz .LBB30_853
	s_branch .LBB30_854
.LBB30_1141:                            ;   in Loop: Header=BB30_3 Depth=1
	ds_load_b64 v[40:41], v55 offset:4608
	ds_load_b64 v[92:93], v54 offset:7752
	s_wait_dscnt 0x0
	v_fmac_f64_e32 v[38:39], v[40:41], v[92:93]
	s_or_b32 exec_lo, exec_lo, s47
	s_and_saveexec_b32 s47, s19
	s_cbranch_execz .LBB30_894
.LBB30_1142:                            ;   in Loop: Header=BB30_3 Depth=1
	ds_load_b64 v[40:41], v55 offset:5120
	ds_load_b64 v[92:93], v54 offset:7760
	s_wait_dscnt 0x0
	v_fmac_f64_e32 v[38:39], v[40:41], v[92:93]
	s_or_b32 exec_lo, exec_lo, s47
	s_and_saveexec_b32 s47, s20
	s_cbranch_execz .LBB30_895
.LBB30_1143:                            ;   in Loop: Header=BB30_3 Depth=1
	ds_load_b64 v[40:41], v55 offset:5632
	ds_load_b64 v[92:93], v54 offset:7768
	s_wait_dscnt 0x0
	v_fmac_f64_e32 v[38:39], v[40:41], v[92:93]
	s_or_b32 exec_lo, exec_lo, s47
	s_and_saveexec_b32 s47, s21
	s_cbranch_execz .LBB30_896
.LBB30_1144:                            ;   in Loop: Header=BB30_3 Depth=1
	ds_load_b64 v[40:41], v55 offset:6144
	ds_load_b64 v[92:93], v54 offset:7776
	s_wait_dscnt 0x0
	v_fmac_f64_e32 v[38:39], v[40:41], v[92:93]
	s_or_b32 exec_lo, exec_lo, s47
	s_and_saveexec_b32 s47, s22
	s_cbranch_execz .LBB30_897
.LBB30_1145:                            ;   in Loop: Header=BB30_3 Depth=1
	ds_load_b64 v[40:41], v55 offset:6656
	ds_load_b64 v[92:93], v54 offset:7784
	s_wait_dscnt 0x0
	v_fmac_f64_e32 v[38:39], v[40:41], v[92:93]
	s_or_b32 exec_lo, exec_lo, s47
	s_and_saveexec_b32 s47, s2
	s_cbranch_execz .LBB30_898
.LBB30_1146:                            ;   in Loop: Header=BB30_3 Depth=1
	ds_load_b64 v[40:41], v55 offset:7168
	ds_load_b64 v[92:93], v54 offset:7792
	s_wait_dscnt 0x0
	v_fmac_f64_e32 v[38:39], v[40:41], v[92:93]
	s_or_b32 exec_lo, exec_lo, s47
	s_and_saveexec_b32 s47, s17
	s_cbranch_execnz .LBB30_899
	s_branch .LBB30_900
.LBB30_1147:                            ;   in Loop: Header=BB30_3 Depth=1
	ds_load_b64 v[40:41], v51 offset:2560
	ds_load_b64 v[92:93], v50 offset:3624
	s_wait_dscnt 0x0
	v_fmac_f64_e32 v[38:39], v[40:41], v[92:93]
	s_or_b32 exec_lo, exec_lo, s47
	s_and_saveexec_b32 s47, s17
	s_cbranch_execz .LBB30_956
.LBB30_1148:                            ;   in Loop: Header=BB30_3 Depth=1
	ds_load_b64 v[40:41], v51 offset:3072
	ds_load_b64 v[92:93], v50 offset:3632
	s_wait_dscnt 0x0
	v_fmac_f64_e32 v[38:39], v[40:41], v[92:93]
	s_or_b32 exec_lo, exec_lo, s47
	s_and_saveexec_b32 s47, s0
	s_cbranch_execnz .LBB30_957
	s_branch .LBB30_958
.LBB30_1149:
	s_endpgm
	.section	.rodata,"a",@progbits
	.p2align	6, 0x0
	.amdhsa_kernel _ZL19rocblas_trsv_deviceILi64ELi16ELb0ELb1ELb1ELb0EdPKdS1_PdEviT7_lllT6_T8_lllPii
		.amdhsa_group_segment_fixed_size 41480
		.amdhsa_private_segment_fixed_size 0
		.amdhsa_kernarg_size 352
		.amdhsa_user_sgpr_count 2
		.amdhsa_user_sgpr_dispatch_ptr 0
		.amdhsa_user_sgpr_queue_ptr 0
		.amdhsa_user_sgpr_kernarg_segment_ptr 1
		.amdhsa_user_sgpr_dispatch_id 0
		.amdhsa_user_sgpr_kernarg_preload_length 0
		.amdhsa_user_sgpr_kernarg_preload_offset 0
		.amdhsa_user_sgpr_private_segment_size 0
		.amdhsa_wavefront_size32 1
		.amdhsa_uses_dynamic_stack 0
		.amdhsa_enable_private_segment 0
		.amdhsa_system_sgpr_workgroup_id_x 1
		.amdhsa_system_sgpr_workgroup_id_y 0
		.amdhsa_system_sgpr_workgroup_id_z 1
		.amdhsa_system_sgpr_workgroup_info 0
		.amdhsa_system_vgpr_workitem_id 1
		.amdhsa_next_free_vgpr 102
		.amdhsa_next_free_sgpr 105
		.amdhsa_named_barrier_count 0
		.amdhsa_reserve_vcc 1
		.amdhsa_float_round_mode_32 0
		.amdhsa_float_round_mode_16_64 0
		.amdhsa_float_denorm_mode_32 3
		.amdhsa_float_denorm_mode_16_64 3
		.amdhsa_fp16_overflow 0
		.amdhsa_memory_ordered 1
		.amdhsa_forward_progress 1
		.amdhsa_inst_pref_size 255
		.amdhsa_round_robin_scheduling 0
		.amdhsa_exception_fp_ieee_invalid_op 0
		.amdhsa_exception_fp_denorm_src 0
		.amdhsa_exception_fp_ieee_div_zero 0
		.amdhsa_exception_fp_ieee_overflow 0
		.amdhsa_exception_fp_ieee_underflow 0
		.amdhsa_exception_fp_ieee_inexact 0
		.amdhsa_exception_int_div_zero 0
	.end_amdhsa_kernel
	.section	.text._ZL19rocblas_trsv_deviceILi64ELi16ELb0ELb1ELb1ELb0EdPKdS1_PdEviT7_lllT6_T8_lllPii,"axG",@progbits,_ZL19rocblas_trsv_deviceILi64ELi16ELb0ELb1ELb1ELb0EdPKdS1_PdEviT7_lllT6_T8_lllPii,comdat
.Lfunc_end30:
	.size	_ZL19rocblas_trsv_deviceILi64ELi16ELb0ELb1ELb1ELb0EdPKdS1_PdEviT7_lllT6_T8_lllPii, .Lfunc_end30-_ZL19rocblas_trsv_deviceILi64ELi16ELb0ELb1ELb1ELb0EdPKdS1_PdEviT7_lllT6_T8_lllPii
                                        ; -- End function
	.set _ZL19rocblas_trsv_deviceILi64ELi16ELb0ELb1ELb1ELb0EdPKdS1_PdEviT7_lllT6_T8_lllPii.num_vgpr, 102
	.set _ZL19rocblas_trsv_deviceILi64ELi16ELb0ELb1ELb1ELb0EdPKdS1_PdEviT7_lllT6_T8_lllPii.num_agpr, 0
	.set _ZL19rocblas_trsv_deviceILi64ELi16ELb0ELb1ELb1ELb0EdPKdS1_PdEviT7_lllT6_T8_lllPii.numbered_sgpr, 105
	.set _ZL19rocblas_trsv_deviceILi64ELi16ELb0ELb1ELb1ELb0EdPKdS1_PdEviT7_lllT6_T8_lllPii.num_named_barrier, 0
	.set _ZL19rocblas_trsv_deviceILi64ELi16ELb0ELb1ELb1ELb0EdPKdS1_PdEviT7_lllT6_T8_lllPii.private_seg_size, 0
	.set _ZL19rocblas_trsv_deviceILi64ELi16ELb0ELb1ELb1ELb0EdPKdS1_PdEviT7_lllT6_T8_lllPii.uses_vcc, 1
	.set _ZL19rocblas_trsv_deviceILi64ELi16ELb0ELb1ELb1ELb0EdPKdS1_PdEviT7_lllT6_T8_lllPii.uses_flat_scratch, 0
	.set _ZL19rocblas_trsv_deviceILi64ELi16ELb0ELb1ELb1ELb0EdPKdS1_PdEviT7_lllT6_T8_lllPii.has_dyn_sized_stack, 0
	.set _ZL19rocblas_trsv_deviceILi64ELi16ELb0ELb1ELb1ELb0EdPKdS1_PdEviT7_lllT6_T8_lllPii.has_recursion, 0
	.set _ZL19rocblas_trsv_deviceILi64ELi16ELb0ELb1ELb1ELb0EdPKdS1_PdEviT7_lllT6_T8_lllPii.has_indirect_call, 0
	.section	.AMDGPU.csdata,"",@progbits
; Kernel info:
; codeLenInByte = 38080
; TotalNumSgprs: 107
; NumVgprs: 102
; ScratchSize: 0
; MemoryBound: 0
; FloatMode: 240
; IeeeMode: 1
; LDSByteSize: 41480 bytes/workgroup (compile time only)
; SGPRBlocks: 0
; VGPRBlocks: 6
; NumSGPRsForWavesPerEU: 107
; NumVGPRsForWavesPerEU: 102
; NamedBarCnt: 0
; Occupancy: 9
; WaveLimiterHint : 0
; COMPUTE_PGM_RSRC2:SCRATCH_EN: 0
; COMPUTE_PGM_RSRC2:USER_SGPR: 2
; COMPUTE_PGM_RSRC2:TRAP_HANDLER: 0
; COMPUTE_PGM_RSRC2:TGID_X_EN: 1
; COMPUTE_PGM_RSRC2:TGID_Y_EN: 0
; COMPUTE_PGM_RSRC2:TGID_Z_EN: 1
; COMPUTE_PGM_RSRC2:TIDIG_COMP_CNT: 1
	.section	.text._ZL19rocblas_trsv_deviceILi64ELi16ELb1ELb0ELb0ELb1EdPKdS1_PdEviT7_lllT6_T8_lllPii,"axG",@progbits,_ZL19rocblas_trsv_deviceILi64ELi16ELb1ELb0ELb0ELb1EdPKdS1_PdEviT7_lllT6_T8_lllPii,comdat
	.globl	_ZL19rocblas_trsv_deviceILi64ELi16ELb1ELb0ELb0ELb1EdPKdS1_PdEviT7_lllT6_T8_lllPii ; -- Begin function _ZL19rocblas_trsv_deviceILi64ELi16ELb1ELb0ELb0ELb1EdPKdS1_PdEviT7_lllT6_T8_lllPii
	.p2align	8
	.type	_ZL19rocblas_trsv_deviceILi64ELi16ELb1ELb0ELb0ELb1EdPKdS1_PdEviT7_lllT6_T8_lllPii,@function
_ZL19rocblas_trsv_deviceILi64ELi16ELb1ELb0ELb0ELb1EdPKdS1_PdEviT7_lllT6_T8_lllPii: ; @_ZL19rocblas_trsv_deviceILi64ELi16ELb1ELb0ELb0ELb1EdPKdS1_PdEviT7_lllT6_T8_lllPii
; %bb.0:
	s_load_b32 s6, s[0:1], 0x58
	s_bfe_u32 s2, ttmp6, 0x40014
	s_lshr_b32 s3, ttmp7, 16
	s_add_co_i32 s2, s2, 1
	s_bfe_u32 s5, ttmp6, 0x40008
	s_mul_i32 s4, s3, s2
	s_getreg_b32 s2, hwreg(HW_REG_IB_STS2, 6, 4)
	s_add_co_i32 s5, s5, s4
	s_cmp_eq_u32 s2, 0
	s_mov_b32 s85, 0
	s_cselect_b32 s84, s3, s5
                                        ; implicit-def: $vgpr85 : SGPR spill to VGPR lane
	s_wait_kmcnt 0x0
	s_cmp_ge_u32 s84, s6
	v_writelane_b32 v85, s6, 0
	s_cbranch_scc1 .LBB31_1055
; %bb.1:
	s_clause 0x2
	s_load_b512 s[64:79], s[0:1], 0x8
	s_load_b32 s3, s[0:1], 0x6c
	s_load_b32 s99, s[0:1], 0x0
	s_bfe_u32 s4, ttmp6, 0x4000c
	s_and_b32 s5, ttmp6, 15
	s_add_co_i32 s4, s4, 1
	v_bfe_u32 v2, v0, 10, 10
	s_mul_i32 s4, ttmp9, s4
	v_and_b32_e32 v4, 0x3ff, v0
	s_add_co_i32 s8, s5, s4
	s_delay_alu instid0(VALU_DEP_2) | instskip(SKIP_2) | instid1(VALU_DEP_3)
	v_dual_mov_b32 v1, 0 :: v_dual_lshlrev_b32 v13, 6, v2
	v_lshl_add_u32 v73, v2, 3, 0xa000
	v_dual_add_nc_u32 v44, 16, v2 :: v_dual_add_nc_u32 v42, 32, v2
	v_dual_add_nc_u32 v40, 48, v2 :: v_dual_bitop2_b32 v12, v13, v4 bitop3:0x40
	v_dual_add_nc_u32 v46, v13, v4 :: v_dual_lshlrev_b32 v51, 3, v4
                                        ; implicit-def: $vgpr84 : SGPR spill to VGPR lane
	s_load_b128 s[80:83], s[0:1], 0x48
	s_wait_kmcnt 0x0
	s_lshl_b64 s[4:5], s[66:67], 3
	s_lshl_b64 s[6:7], s[76:77], 3
	s_cmp_eq_u32 s2, 0
	s_add_nc_u64 s[4:5], s[64:65], s[4:5]
	s_cselect_b32 s67, ttmp9, s8
	s_add_co_i32 s2, s99, -1
	s_and_b32 s8, s3, 0xffff
	s_ashr_i32 s3, s99, 31
	s_ashr_i32 s9, s2, 31
	s_lshr_b32 s3, s3, 26
	s_lshr_b32 s9, s9, 26
	s_add_co_i32 s3, s99, s3
	s_add_co_i32 s2, s2, s9
	s_and_not1_b32 s3, s3, 63
	s_ashr_i32 s2, s2, 6
	s_sub_co_i32 s14, s99, s3
	v_writelane_b32 v85, s4, 1
	s_cmp_eq_u32 s2, s67
	s_add_nc_u64 s[6:7], s[74:75], s[6:7]
	s_cselect_b32 s9, -1, 0
	s_cmp_lg_u32 s14, 0
	v_writelane_b32 v85, s5, 2
	s_cselect_b32 s4, -1, 0
	s_lshl_b32 s10, s67, 6
	s_delay_alu instid0(SALU_CYCLE_1) | instskip(SKIP_3) | instid1(VALU_DEP_3)
	v_dual_add_nc_u32 v8, s10, v4 :: v_dual_bitop2_b32 v3, v13, v4 bitop3:0x14
	v_mov_b32_e32 v7, v1
	s_and_b32 s15, s4, s9
	v_writelane_b32 v85, s6, 3
	v_lshrrev_b16 v14, 1, v3
	v_add_nc_u32_e32 v3, s10, v2
	v_sub_co_u32 v5, s5, s67, 1
	s_xor_b32 s5, s5, -1
	v_add_nc_u16 v15, v12, v14
	v_subrev_nc_u32_e32 v16, 64, v3
	v_dual_lshrrev_b32 v14, 10, v0 :: v_dual_bitop2_b32 v12, 1, v0 bitop3:0x40
	s_ashr_i32 s11, s10, 31
	s_delay_alu instid0(VALU_DEP_3) | instskip(NEXT) | instid1(VALU_DEP_3)
	v_and_b32_e32 v13, 0xffff, v15
	v_ashrrev_i32_e32 v17, 31, v16
	s_xor_b32 s101, s15, -1
	v_lshlrev_b32_e32 v15, 3, v12
	v_cmp_eq_u32_e64 s4, 1, v12
	v_lshrrev_b32_e32 v12, 2, v46
	v_bitop3_b32 v47, v0, v14, 0x3ff bitop3:0xa8
	v_lshl_add_u32 v48, v13, 3, 0x8000
	v_mul_u32_u24_e32 v50, 0x208, v13
	s_add_nc_u64 s[2:3], s[68:69], 1
	v_lshlrev_b32_e32 v14, 3, v12
	v_lshl_or_b32 v49, v13, 9, v15
	v_mul_u32_u24_e32 v53, 0x208, v12
	v_and_b32_e32 v13, 3, v0
	s_cmp_gt_i32 s67, 4
	v_writelane_b32 v85, s7, 4
	s_mul_u64 s[12:13], s[2:3], s[10:11]
	s_cselect_b32 s3, -1, 0
	v_dual_ashrrev_i32 v9, 31, v8 :: v_dual_lshlrev_b32 v52, 3, v13
	s_and_b32 s102, s3, s101
	v_cmp_gt_u32_e64 s3, 4, v46
	v_writelane_b32 v85, s5, 5
	s_xor_b32 s5, s4, -1
	v_lshl_or_b32 v55, v12, 9, v52
	v_sub_nc_u32_e32 v12, v53, v14
	s_and_b32 s103, s5, s3
	s_and_b32 s104, s4, s3
	v_cmp_gt_u32_e64 s4, 16, v46
	v_cmp_eq_u32_e64 s5, 0, v13
	v_cmp_ne_u32_e64 s6, 0, v13
	v_mad_u32_u24 v6, v2, s8, v4
	v_add_nc_u32_e32 v54, 0x8000, v14
	v_cmp_eq_u32_e64 s7, 1, v13
	v_cmp_lt_u32_e64 s8, 1, v13
	s_and_b32 vcc_hi, s5, s4
	s_and_b32 s34, s6, s4
	v_cmp_eq_u32_e64 s5, 2, v13
	v_cmp_eq_u32_e64 s6, 3, v13
	v_and_b32_e32 v14, 0x1fff8, v46
	v_and_b32_e32 v13, 7, v0
	v_dual_add_nc_u32 v56, v12, v52 :: v_dual_lshrrev_b32 v12, 3, v46
	s_and_b32 s35, s7, s4
	s_and_b32 s37, s5, s4
	;; [unrolled: 1-line block ×3, first 2 shown]
	v_cmp_gt_u32_e64 s5, 64, v46
	v_mul_u32_u24_e32 v57, 0x208, v12
	s_and_b32 s36, s8, s4
	v_add_nc_u32_e32 v59, 0x8000, v14
	v_cmp_gt_i32_e32 vcc_lo, s14, v4
	v_cmp_gt_i32_e64 s2, s99, v8
	v_sub_nc_u32_e32 v15, v57, v14
	v_cmp_eq_u32_e64 s6, 0, v13
	v_cmp_ne_u32_e64 s7, 0, v13
	v_lshlrev_b32_e32 v58, 3, v13
	v_cmp_eq_u32_e64 s8, 2, v13
	v_cmp_lt_u32_e64 s9, 2, v13
	s_and_b32 s39, s6, s5
	v_cmp_eq_u32_e64 s6, 1, v13
	s_and_b32 s40, s7, s5
	v_cmp_lt_u32_e64 s7, 1, v13
	v_add_nc_u32_e32 v61, v15, v58
	s_and_b32 s43, s8, s5
	s_and_b32 s41, s6, s5
	v_cmp_eq_u32_e64 s6, 3, v13
	s_and_b32 s42, s7, s5
	v_cmp_lt_u32_e64 s7, 3, v13
	s_and_b32 s44, s9, s5
	v_cmp_lt_u32_e64 s8, 4, v13
	s_and_b32 s45, s6, s5
	v_cmp_eq_u32_e64 s6, 4, v13
	s_and_b32 s46, s7, s5
	v_cmp_lt_u32_e64 s7, 5, v13
	v_cmp_eq_u32_e64 s9, 5, v13
	s_and_b32 s48, s8, s5
	s_and_b32 s47, s6, s5
	v_cmp_eq_u32_e64 s6, 6, v13
	s_and_b32 s50, s7, s5
	v_cmp_eq_u32_e64 s7, 7, v13
	v_and_b32_e32 v13, 15, v0
	s_and_b32 s49, s9, s5
	s_and_b32 s51, s6, s5
	v_cmp_gt_u32_e64 s6, 0x100, v46
	s_and_b32 s52, s7, s5
	v_cmp_eq_u32_e64 s7, 0, v13
	v_cmp_ne_u32_e64 s8, 0, v13
	v_cmp_eq_u32_e64 s9, 1, v13
	v_lshl_or_b32 v60, v12, 9, v58
	v_dual_lshrrev_b32 v12, 4, v46 :: v_dual_lshlrev_b32 v63, 3, v13
	s_and_b32 s7, s7, s6
	s_and_b32 s8, s8, s6
	v_writelane_b32 v85, s7, 6
	v_cmp_lt_u32_e64 s7, 1, v13
	s_and_b32 s9, s9, s6
	v_lshlrev_b32_e32 v14, 3, v12
	v_mul_u32_u24_e32 v62, 0x208, v12
	v_writelane_b32 v85, s8, 7
	v_cmp_eq_u32_e64 s8, 2, v13
	s_and_b32 s7, s7, s6
	v_dual_sub_nc_u32 v15, v62, v14 :: v_dual_bitop2_b32 v67, 31, v0 bitop3:0x40
	v_writelane_b32 v85, s9, 8
	s_and_b32 s21, s8, s6
	v_cmp_lt_u32_e64 s8, 3, v13
	v_cmp_lt_u32_e64 s9, 2, v13
	v_dual_add_nc_u32 v0, s10, v6 :: v_dual_add_nc_u32 v77, v73, v51
	v_writelane_b32 v85, s7, 9
	v_cmp_eq_u32_e64 s7, 3, v13
	s_and_b32 s27, s8, s6
	v_cmp_eq_u32_e64 s8, 5, v13
	s_and_b32 s23, s9, s6
	v_cmp_eq_u32_e64 s9, 4, v13
	s_and_b32 s25, s7, s6
	v_cmp_lt_u32_e64 s7, 4, v13
	s_and_b32 s59, s8, s6
	v_cmp_lt_u32_e64 s8, 6, v13
	s_and_b32 s29, s9, s6
	v_cmp_lt_u32_e64 s9, 5, v13
	s_and_b32 s31, s7, s6
	v_cmp_eq_u32_e64 s7, 6, v13
	s_and_b32 s62, s8, s6
	v_cmp_eq_u32_e64 s8, 8, v13
	s_and_b32 s60, s9, s6
	v_cmp_eq_u32_e64 s9, 7, v13
	s_and_b32 s61, s7, s6
	v_cmp_lt_u32_e64 s7, 7, v13
	s_and_b32 s65, s8, s6
	v_cmp_lt_u32_e64 s8, 9, v13
	s_and_b32 s63, s9, s6
	v_cmp_lt_u32_e64 s9, 8, v13
	s_and_b32 s64, s7, s6
	;; [unrolled: 12-line block ×3, first 2 shown]
	v_cmp_eq_u32_e64 s7, 12, v13
	s_and_b32 s74, s8, s6
	v_cmp_eq_u32_e64 s8, 14, v13
	s_and_b32 s76, s9, s6
	;; [unrolled: 2-line block ×3, first 2 shown]
	v_cmp_lt_u32_e64 s7, 13, v13
	s_and_b32 s98, s8, s6
	v_cmp_le_i32_e64 s8, s14, v4
	s_and_b32 s75, s9, s6
	v_cmp_eq_u32_e64 s9, 15, v13
	s_and_b32 s100, s7, s6
	v_cmp_eq_u32_e64 s7, 0, v2
	s_and_b32 s54, s8, s15
	v_lshl_or_b32 v65, v12, 9, v63
	s_and_b32 s53, s9, s6
	s_xor_b32 s9, s54, -1
	v_add_nc_u32_e32 v66, v15, v63
	s_and_b32 s55, s7, s9
	s_cmp_gt_i32 s67, 0
	v_dual_mov_b32 v45, v1 :: v_dual_add_nc_u32 v64, 0x8000, v14
	v_dual_lshrrev_b32 v12, 5, v46 :: v_dual_lshlrev_b32 v26, 3, v67
	s_cselect_b32 s56, -1, 0
	v_mul_u64_e32 v[14:15], s[78:79], v[0:1]
	v_subrev_nc_u32_e32 v0, 48, v3
	s_and_b32 s9, s7, vcc_lo
	v_cmp_gt_i32_e32 vcc_lo, s99, v16
	v_writelane_b32 v85, s9, 10
	v_dual_lshlrev_b32 v68, 3, v12 :: v_dual_lshlrev_b32 v69, 9, v12
	v_add_nc_u64_e32 v[18:19], s[10:11], v[6:7]
	v_subrev_nc_u32_e32 v7, 32, v3
	v_cmp_gt_i32_e64 s9, s99, v0
	s_and_b32 s15, s2, vcc_lo
	v_dual_add_nc_u32 v3, -16, v3 :: v_dual_bitop2_b32 v71, v69, v26 bitop3:0x54
	v_writelane_b32 v85, s15, 11
	v_cmp_gt_i32_e64 s10, s99, v7
	s_and_b32 s9, s2, s9
	v_cmp_le_i32_e32 vcc_lo, s14, v2
	v_cmp_gt_i32_e64 s11, s99, v3
	v_writelane_b32 v85, s9, 12
	s_and_b32 s9, s2, s10
	v_cmp_le_i32_e64 s10, s14, v42
	v_or_b32_e32 v0, v44, v4
	v_cmp_le_u32_e64 s15, v4, v44
	v_writelane_b32 v85, s9, 13
	s_and_b32 s9, s2, s11
	v_cmp_le_i32_e64 s11, s14, v40
	s_or_b32 s10, s10, s8
	v_dual_mov_b32 v43, v1 :: v_dual_add_nc_u32 v70, 0x8000, v68
	v_writelane_b32 v85, s9, 14
	v_cmp_le_i32_e64 s9, s14, v44
	s_or_b32 s14, vcc_lo, s8
	v_mov_b32_e32 v3, v1
	v_mul_u64_e32 v[20:21], s[68:69], v[44:45]
	v_dual_mov_b32 v41, v1 :: v_dual_bitop2_b32 v45, v42, v4 bitop3:0x54
	s_or_b32 s9, s9, s8
	s_or_b32 s8, s11, s8
	v_cmp_le_u32_e64 s11, v4, v2
	s_or_b32 s9, s9, s15
	v_mul_u64_e32 v[10:11], s[68:69], v[16:17]
	v_mul_u64_e32 v[12:13], s[78:79], v[8:9]
	;; [unrolled: 1-line block ×3, first 2 shown]
	v_writelane_b32 v85, s11, 15
	s_or_b32 s11, s14, s11
	v_mul_u64_e32 v[18:19], s[68:69], v[2:3]
	v_mul_u64_e32 v[22:23], s[68:69], v[42:43]
	;; [unrolled: 1-line block ×3, first 2 shown]
	v_writelane_b32 v85, s11, 16
	v_or_b32_e32 v43, v40, v4
	v_mov_b64_e32 v[28:29], 0
	v_mov_b64_e32 v[30:31], 1.0
	v_cmp_lt_u32_e32 vcc_lo, 0x3ff, v46
	v_writelane_b32 v85, s15, 17
	v_lshl_add_u32 v72, v6, 3, 0xa000
	v_lshl_add_u32 v74, v46, 3, 0x8000
	v_add_nc_u32_e32 v75, 0x8000, v51
	v_lshl_add_u32 v76, v2, 9, v51
	v_writelane_b32 v85, s9, 18
	v_cmp_le_u32_e64 s9, v4, v42
	v_lshl_add_u32 v3, v44, 9, v51
	v_lshl_add_u32 v7, v42, 9, v51
	;; [unrolled: 1-line block ×3, first 2 shown]
	v_or_b32_e32 v79, 0x4100, v26
	v_writelane_b32 v85, s9, 19
	s_or_b32 s9, s10, s9
	s_lshl_b64 s[86:87], s[12:13], 3
	v_dual_mov_b32 v27, v1 :: v_dual_lshlrev_b32 v26, 3, v4
	v_writelane_b32 v85, s9, 20
	v_cmp_le_u32_e64 s9, v4, v40
	v_cmp_eq_u32_e64 s12, 0, v47
	v_cmp_gt_u32_e64 s13, 2, v46
	v_cmp_gt_u32_e64 s14, 12, v46
	;; [unrolled: 1-line block ×3, first 2 shown]
	v_writelane_b32 v85, s9, 21
	s_or_b32 s8, s8, s9
	v_cmp_gt_u32_e64 s16, 56, v46
	v_cmp_gt_u32_e64 s17, 48, v46
	;; [unrolled: 1-line block ×3, first 2 shown]
	v_writelane_b32 v85, s8, 22
	v_cmp_gt_u32_e64 s8, 0xf0, v46
	v_cmp_gt_u32_e64 s19, 32, v46
	;; [unrolled: 1-line block ×5, first 2 shown]
	v_writelane_b32 v85, s8, 23
	v_cmp_gt_u32_e64 s8, 0xe0, v46
	v_cmp_eq_u32_e64 s57, 0, v6
	v_cmp_gt_u32_e64 s58, 64, v6
	s_xor_b32 s11, vcc_lo, -1
	s_lshl_b64 s[88:89], s[68:69], 7
	v_writelane_b32 v85, s8, 24
	v_cmp_gt_u32_e64 s8, 0xd0, v46
	s_lshl_b64 s[90:91], s[68:69], 8
	s_mul_u64 s[92:93], s[68:69], 0x180
                                        ; implicit-def: $vgpr32_vgpr33
                                        ; implicit-def: $vgpr34_vgpr35
                                        ; implicit-def: $vgpr36_vgpr37
                                        ; implicit-def: $vgpr38_vgpr39
	v_writelane_b32 v85, s8, 25
	v_cmp_gt_u32_e64 s8, 0xc0, v46
	s_delay_alu instid0(VALU_DEP_1) | instskip(SKIP_1) | instid1(VALU_DEP_1)
	v_writelane_b32 v85, s8, 26
	v_cmp_gt_u32_e64 s8, 0xb0, v46
	v_writelane_b32 v85, s8, 27
	v_cmp_gt_u32_e64 s8, 0xa0, v46
	s_delay_alu instid0(VALU_DEP_1) | instskip(SKIP_1) | instid1(VALU_DEP_1)
	v_writelane_b32 v85, s8, 28
	v_cmp_gt_u32_e64 s8, 0x90, v46
	v_writelane_b32 v85, s8, 29
	v_cmp_gt_u32_e64 s8, 0x80, v46
	s_delay_alu instid0(VALU_DEP_1) | instskip(SKIP_1) | instid1(VALU_DEP_1)
	v_writelane_b32 v85, s8, 30
	v_cmp_gt_u32_e64 s8, 0x70, v46
	v_writelane_b32 v85, s8, 31
	v_cmp_gt_u32_e64 s8, 0x50, v46
	s_delay_alu instid0(VALU_DEP_1) | instskip(SKIP_1) | instid1(VALU_DEP_1)
	v_writelane_b32 v84, s8, 0
	v_cmp_gt_u32_e64 s8, 0x3e0, v46
	v_writelane_b32 v84, s8, 1
	v_cmp_gt_u32_e64 s8, 0x3c0, v46
	s_delay_alu instid0(VALU_DEP_1) | instskip(SKIP_1) | instid1(VALU_DEP_1)
	v_writelane_b32 v84, s8, 2
	v_cmp_gt_u32_e64 s8, 0x3a0, v46
	v_writelane_b32 v84, s8, 3
	v_cmp_gt_u32_e64 s8, 0x380, v46
	s_delay_alu instid0(VALU_DEP_1) | instskip(SKIP_1) | instid1(VALU_DEP_1)
	v_writelane_b32 v84, s8, 4
	v_cmp_gt_u32_e64 s8, 0x360, v46
	v_writelane_b32 v84, s8, 5
	v_cmp_gt_u32_e64 s8, 0x340, v46
	s_delay_alu instid0(VALU_DEP_1) | instskip(SKIP_1) | instid1(VALU_DEP_1)
	v_writelane_b32 v84, s8, 6
	v_cmp_gt_u32_e64 s8, 0x320, v46
	v_writelane_b32 v84, s8, 7
	v_cmp_gt_u32_e64 s8, 0x300, v46
	s_delay_alu instid0(VALU_DEP_1) | instskip(SKIP_1) | instid1(VALU_DEP_1)
	v_writelane_b32 v84, s8, 8
	v_cmp_gt_u32_e64 s8, 0x2e0, v46
	v_writelane_b32 v84, s8, 9
	v_cmp_gt_u32_e64 s8, 0x2c0, v46
	s_delay_alu instid0(VALU_DEP_1) | instskip(SKIP_1) | instid1(VALU_DEP_1)
	v_writelane_b32 v84, s8, 10
	v_cmp_gt_u32_e64 s8, 0x2a0, v46
	v_writelane_b32 v84, s8, 11
	v_cmp_gt_u32_e64 s8, 0x280, v46
	s_delay_alu instid0(VALU_DEP_1) | instskip(SKIP_1) | instid1(VALU_DEP_1)
	v_writelane_b32 v84, s8, 12
	v_cmp_gt_u32_e64 s8, 0x260, v46
	v_writelane_b32 v84, s8, 13
	v_cmp_gt_u32_e64 s8, 0x240, v46
	s_delay_alu instid0(VALU_DEP_1) | instskip(SKIP_1) | instid1(VALU_DEP_1)
	v_writelane_b32 v84, s8, 14
	v_cmp_gt_u32_e64 s8, 0x220, v46
	v_writelane_b32 v84, s8, 15
	v_cmp_gt_u32_e64 s8, 0x200, v46
	s_delay_alu instid0(VALU_DEP_1) | instskip(SKIP_1) | instid1(VALU_DEP_1)
	v_writelane_b32 v84, s8, 16
	v_cmp_gt_u32_e64 s8, 0x1e0, v46
	v_writelane_b32 v84, s8, 17
	v_cmp_gt_u32_e64 s8, 0x1c0, v46
	s_delay_alu instid0(VALU_DEP_1) | instskip(SKIP_1) | instid1(VALU_DEP_1)
	v_writelane_b32 v84, s8, 18
	v_cmp_gt_u32_e64 s8, 0x1a0, v46
	v_writelane_b32 v84, s8, 19
	v_cmp_gt_u32_e64 s8, 0x180, v46
	s_delay_alu instid0(VALU_DEP_1) | instskip(SKIP_1) | instid1(VALU_DEP_1)
	v_writelane_b32 v84, s8, 20
	v_cmp_gt_u32_e64 s8, 0x160, v46
	v_writelane_b32 v84, s8, 21
	v_cmp_gt_u32_e64 s8, 0x140, v46
	s_delay_alu instid0(VALU_DEP_1) | instskip(SKIP_1) | instid1(VALU_DEP_1)
	v_writelane_b32 v84, s8, 22
	v_cmp_gt_u32_e64 s8, 0x120, v46
	v_writelane_b32 v84, s8, 23
	v_cmp_ge_u32_e64 s8, v4, v2
	s_delay_alu instid0(VALU_DEP_1) | instskip(SKIP_1) | instid1(VALU_DEP_1)
	v_writelane_b32 v84, s8, 24
	v_cmp_ge_u32_e64 s8, v4, v44
	v_writelane_b32 v84, s8, 25
	v_cmp_ge_u32_e64 s8, v4, v42
	s_delay_alu instid0(VALU_DEP_1) | instskip(SKIP_1) | instid1(VALU_DEP_1)
	v_writelane_b32 v84, s8, 26
	v_cmp_ge_u32_e64 s8, v4, v40
	v_writelane_b32 v84, s8, 27
	v_cmp_gt_u32_e64 s8, 64, v47
	s_delay_alu instid0(VALU_DEP_1) | instskip(SKIP_1) | instid1(VALU_DEP_1)
	v_writelane_b32 v84, s8, 28
	v_cmp_gt_u32_e64 s8, 64, v0
	v_writelane_b32 v84, s8, 29
	v_cmp_gt_u32_e64 s8, 64, v45
	s_delay_alu instid0(VALU_DEP_1) | instskip(SKIP_1) | instid1(VALU_DEP_1)
	v_writelane_b32 v84, s8, 30
	v_cmp_gt_u32_e64 s8, 64, v43
	v_writelane_b32 v84, s8, 31
	s_branch .LBB31_3
.LBB31_2:                               ;   in Loop: Header=BB31_3 Depth=1
	s_wait_xcnt 0x0
	s_or_b32 exec_lo, exec_lo, s0
	v_readlane_b32 s0, v85, 0
	s_add_co_i32 s84, s84, 0x10000
	global_wb scope:SCOPE_DEV
	s_wait_storecnt 0x0
	global_inv scope:SCOPE_DEV
	s_cmp_lt_u32 s84, s0
	s_cbranch_scc0 .LBB31_1055
.LBB31_3:                               ; =>This Loop Header: Depth=1
                                        ;     Child Loop BB31_517 Depth 2
                                        ;     Child Loop BB31_934 Depth 2
                                        ;       Child Loop BB31_936 Depth 3
                                        ;     Child Loop BB31_974 Depth 2
	global_load_b64 v[40:41], v1, s[72:73]
	v_readlane_b32 s8, v85, 5
	s_mul_u64 s[0:1], s[70:71], s[84:85]
	s_delay_alu instid0(SALU_CYCLE_1)
	s_lshl_b64 s[0:1], s[0:1], 3
	s_and_not1_b32 vcc_lo, exec_lo, s8
	v_readlane_b32 s8, v85, 1
	v_readlane_b32 s9, v85, 2
	s_add_nc_u64 s[0:1], s[8:9], s[0:1]
	s_cbranch_vccnz .LBB31_13
; %bb.4:                                ;   in Loop: Header=BB31_3 Depth=1
	v_lshl_add_u64 v[36:37], v[10:11], 3, s[0:1]
	v_mov_b64_e32 v[34:35], 0
	v_mov_b64_e32 v[32:33], 0
	s_wait_loadcnt 0x0
	s_barrier_signal -1
	v_lshl_add_u64 v[42:43], v[8:9], 3, v[36:37]
	s_barrier_wait -1
	s_wait_xcnt 0x0
	s_mov_b32 s8, exec_lo
	v_readlane_b32 s9, v85, 11
	s_and_b32 s9, s8, s9
	s_delay_alu instid0(SALU_CYCLE_1)
	s_mov_b32 exec_lo, s9
	s_cbranch_execz .LBB31_6
; %bb.5:                                ;   in Loop: Header=BB31_3 Depth=1
	global_load_b64 v[32:33], v[42:43], off
.LBB31_6:                               ;   in Loop: Header=BB31_3 Depth=1
	s_wait_xcnt 0x0
	s_or_b32 exec_lo, exec_lo, s8
	s_wait_loadcnt 0x0
	s_barrier_signal -1
	s_barrier_wait -1
	s_mov_b32 s8, exec_lo
	v_readlane_b32 s9, v85, 12
	s_and_b32 s9, s8, s9
	s_delay_alu instid0(SALU_CYCLE_1)
	s_mov_b32 exec_lo, s9
	s_cbranch_execz .LBB31_8
; %bb.7:                                ;   in Loop: Header=BB31_3 Depth=1
	v_add_nc_u64_e32 v[34:35], s[88:89], v[42:43]
	global_load_b64 v[34:35], v[34:35], off
.LBB31_8:                               ;   in Loop: Header=BB31_3 Depth=1
	s_wait_xcnt 0x0
	s_or_b32 exec_lo, exec_lo, s8
	v_mov_b64_e32 v[38:39], 0
	v_mov_b64_e32 v[36:37], 0
	s_wait_loadcnt 0x0
	s_barrier_signal -1
	s_barrier_wait -1
	s_mov_b32 s8, exec_lo
	v_readlane_b32 s9, v85, 13
	s_and_b32 s9, s8, s9
	s_delay_alu instid0(SALU_CYCLE_1)
	s_mov_b32 exec_lo, s9
	s_cbranch_execz .LBB31_10
; %bb.9:                                ;   in Loop: Header=BB31_3 Depth=1
	v_add_nc_u64_e32 v[36:37], s[90:91], v[42:43]
	global_load_b64 v[36:37], v[36:37], off
.LBB31_10:                              ;   in Loop: Header=BB31_3 Depth=1
	s_wait_xcnt 0x0
	s_or_b32 exec_lo, exec_lo, s8
	s_wait_loadcnt 0x0
	s_barrier_signal -1
	s_barrier_wait -1
	s_mov_b32 s8, exec_lo
	v_readlane_b32 s9, v85, 14
	s_and_b32 s9, s8, s9
	s_delay_alu instid0(SALU_CYCLE_1)
	s_mov_b32 exec_lo, s9
	s_cbranch_execz .LBB31_12
; %bb.11:                               ;   in Loop: Header=BB31_3 Depth=1
	v_add_nc_u64_e32 v[38:39], s[92:93], v[42:43]
	global_load_b64 v[38:39], v[38:39], off
.LBB31_12:                              ;   in Loop: Header=BB31_3 Depth=1
	s_wait_xcnt 0x0
	s_or_b32 exec_lo, exec_lo, s8
.LBB31_13:                              ;   in Loop: Header=BB31_3 Depth=1
	s_add_nc_u64 s[8:9], s[0:1], s[86:87]
	s_and_not1_b32 vcc_lo, exec_lo, s101
	v_add_nc_u64_e32 v[42:43], s[8:9], v[26:27]
	s_mov_b32 s8, -1
	s_cbranch_vccnz .LBB31_37
; %bb.14:                               ;   in Loop: Header=BB31_3 Depth=1
	s_mov_b32 s94, 0
	s_wait_xcnt 0x0
	s_mov_b32 s8, exec_lo
	v_readlane_b32 s9, v85, 15
	s_and_b32 s9, s8, s9
	s_delay_alu instid0(SALU_CYCLE_1)
	s_xor_b32 s8, s9, s8
	s_mov_b32 exec_lo, s9
	s_cbranch_execnz .LBB31_995
; %bb.15:                               ;   in Loop: Header=BB31_3 Depth=1
	s_or_saveexec_b32 s8, s8
	v_mov_b64_e32 v[44:45], 0
	s_xor_b32 exec_lo, exec_lo, s8
	s_cbranch_execnz .LBB31_996
.LBB31_16:                              ;   in Loop: Header=BB31_3 Depth=1
	s_or_b32 exec_lo, exec_lo, s8
	s_and_saveexec_b32 s8, s94
.LBB31_17:                              ;   in Loop: Header=BB31_3 Depth=1
	ds_store_b64 v76, v[44:45]
.LBB31_18:                              ;   in Loop: Header=BB31_3 Depth=1
	s_or_b32 exec_lo, exec_lo, s8
	s_delay_alu instid0(SALU_CYCLE_1) | instskip(SKIP_2) | instid1(SALU_CYCLE_1)
	s_mov_b32 s8, exec_lo
	v_readlane_b32 s9, v85, 17
	s_and_b32 s9, s8, s9
	s_xor_b32 s8, s9, s8
	s_mov_b32 exec_lo, s9
	s_cbranch_execz .LBB31_22
; %bb.19:                               ;   in Loop: Header=BB31_3 Depth=1
	s_mov_b32 s9, exec_lo
	v_readlane_b32 s94, v84, 29
	s_and_b32 s94, s9, s94
	s_delay_alu instid0(SALU_CYCLE_1)
	s_mov_b32 exec_lo, s94
; %bb.20:                               ;   in Loop: Header=BB31_3 Depth=1
	ds_store_b64 v3, v[28:29]
; %bb.21:                               ;   in Loop: Header=BB31_3 Depth=1
	s_or_b32 exec_lo, exec_lo, s9
.LBB31_22:                              ;   in Loop: Header=BB31_3 Depth=1
	s_and_not1_saveexec_b32 s8, s8
	s_cbranch_execz .LBB31_24
; %bb.23:                               ;   in Loop: Header=BB31_3 Depth=1
	v_lshl_add_u64 v[44:45], v[20:21], 3, v[42:43]
	global_load_b64 v[44:45], v[44:45], off
	s_wait_loadcnt 0x0
	v_xor_b32_e32 v45, 0x80000000, v45
	ds_store_b64 v3, v[44:45]
.LBB31_24:                              ;   in Loop: Header=BB31_3 Depth=1
	s_or_b32 exec_lo, exec_lo, s8
	s_delay_alu instid0(SALU_CYCLE_1) | instskip(SKIP_2) | instid1(SALU_CYCLE_1)
	s_mov_b32 s8, exec_lo
	v_readlane_b32 s9, v85, 19
	s_and_b32 s9, s8, s9
	s_xor_b32 s8, s9, s8
	s_mov_b32 exec_lo, s9
	s_cbranch_execz .LBB31_28
; %bb.25:                               ;   in Loop: Header=BB31_3 Depth=1
	s_mov_b32 s9, exec_lo
	v_readlane_b32 s94, v84, 30
	s_and_b32 s94, s9, s94
	s_delay_alu instid0(SALU_CYCLE_1)
	s_mov_b32 exec_lo, s94
; %bb.26:                               ;   in Loop: Header=BB31_3 Depth=1
	ds_store_b64 v7, v[28:29]
; %bb.27:                               ;   in Loop: Header=BB31_3 Depth=1
	s_or_b32 exec_lo, exec_lo, s9
.LBB31_28:                              ;   in Loop: Header=BB31_3 Depth=1
	s_and_not1_saveexec_b32 s8, s8
	s_cbranch_execz .LBB31_30
; %bb.29:                               ;   in Loop: Header=BB31_3 Depth=1
	v_lshl_add_u64 v[44:45], v[22:23], 3, v[42:43]
	global_load_b64 v[44:45], v[44:45], off
	s_wait_loadcnt 0x0
	v_xor_b32_e32 v45, 0x80000000, v45
	ds_store_b64 v7, v[44:45]
.LBB31_30:                              ;   in Loop: Header=BB31_3 Depth=1
	;; [unrolled: 28-line block ×3, first 2 shown]
	s_or_b32 exec_lo, exec_lo, s8
	s_mov_b32 s8, 0
.LBB31_37:                              ;   in Loop: Header=BB31_3 Depth=1
	s_delay_alu instid0(SALU_CYCLE_1)
	s_and_b32 vcc_lo, exec_lo, s8
	s_cbranch_vccz .LBB31_61
; %bb.38:                               ;   in Loop: Header=BB31_3 Depth=1
	s_mov_b32 s94, 0
	s_wait_xcnt 0x0
	s_mov_b32 s8, exec_lo
	v_readlane_b32 s9, v85, 16
	s_and_b32 s9, s8, s9
	s_delay_alu instid0(SALU_CYCLE_1)
	s_xor_b32 s8, s9, s8
	s_mov_b32 exec_lo, s9
	s_cbranch_execnz .LBB31_997
; %bb.39:                               ;   in Loop: Header=BB31_3 Depth=1
	s_or_saveexec_b32 s8, s8
	v_mov_b64_e32 v[44:45], 0
	s_xor_b32 exec_lo, exec_lo, s8
	s_cbranch_execnz .LBB31_998
.LBB31_40:                              ;   in Loop: Header=BB31_3 Depth=1
	s_or_b32 exec_lo, exec_lo, s8
	s_and_saveexec_b32 s8, s94
.LBB31_41:                              ;   in Loop: Header=BB31_3 Depth=1
	ds_store_b64 v76, v[44:45]
.LBB31_42:                              ;   in Loop: Header=BB31_3 Depth=1
	s_or_b32 exec_lo, exec_lo, s8
	s_delay_alu instid0(SALU_CYCLE_1) | instskip(SKIP_2) | instid1(SALU_CYCLE_1)
	s_mov_b32 s8, exec_lo
	v_readlane_b32 s9, v85, 18
	s_and_b32 s9, s8, s9
	s_xor_b32 s8, s9, s8
	s_mov_b32 exec_lo, s9
	s_cbranch_execz .LBB31_46
; %bb.43:                               ;   in Loop: Header=BB31_3 Depth=1
	s_mov_b32 s9, exec_lo
	v_readlane_b32 s94, v84, 29
	s_and_b32 s94, s9, s94
	s_delay_alu instid0(SALU_CYCLE_1)
	s_mov_b32 exec_lo, s94
; %bb.44:                               ;   in Loop: Header=BB31_3 Depth=1
	ds_store_b64 v3, v[28:29]
; %bb.45:                               ;   in Loop: Header=BB31_3 Depth=1
	s_or_b32 exec_lo, exec_lo, s9
.LBB31_46:                              ;   in Loop: Header=BB31_3 Depth=1
	s_and_not1_saveexec_b32 s8, s8
	s_cbranch_execz .LBB31_48
; %bb.47:                               ;   in Loop: Header=BB31_3 Depth=1
	v_lshl_add_u64 v[44:45], v[20:21], 3, v[42:43]
	global_load_b64 v[44:45], v[44:45], off
	s_wait_loadcnt 0x0
	v_xor_b32_e32 v45, 0x80000000, v45
	ds_store_b64 v3, v[44:45]
.LBB31_48:                              ;   in Loop: Header=BB31_3 Depth=1
	s_or_b32 exec_lo, exec_lo, s8
	s_delay_alu instid0(SALU_CYCLE_1) | instskip(SKIP_2) | instid1(SALU_CYCLE_1)
	s_mov_b32 s8, exec_lo
	v_readlane_b32 s9, v85, 20
	s_and_b32 s9, s8, s9
	s_xor_b32 s8, s9, s8
	s_mov_b32 exec_lo, s9
	s_cbranch_execz .LBB31_52
; %bb.49:                               ;   in Loop: Header=BB31_3 Depth=1
	s_mov_b32 s9, exec_lo
	v_readlane_b32 s94, v84, 30
	s_and_b32 s94, s9, s94
	s_delay_alu instid0(SALU_CYCLE_1)
	s_mov_b32 exec_lo, s94
; %bb.50:                               ;   in Loop: Header=BB31_3 Depth=1
	ds_store_b64 v7, v[28:29]
; %bb.51:                               ;   in Loop: Header=BB31_3 Depth=1
	s_or_b32 exec_lo, exec_lo, s9
.LBB31_52:                              ;   in Loop: Header=BB31_3 Depth=1
	s_and_not1_saveexec_b32 s8, s8
	s_cbranch_execz .LBB31_54
; %bb.53:                               ;   in Loop: Header=BB31_3 Depth=1
	v_lshl_add_u64 v[44:45], v[22:23], 3, v[42:43]
	global_load_b64 v[44:45], v[44:45], off
	s_wait_loadcnt 0x0
	v_xor_b32_e32 v45, 0x80000000, v45
	ds_store_b64 v7, v[44:45]
.LBB31_54:                              ;   in Loop: Header=BB31_3 Depth=1
	s_or_b32 exec_lo, exec_lo, s8
	s_delay_alu instid0(SALU_CYCLE_1) | instskip(SKIP_2) | instid1(SALU_CYCLE_1)
	s_mov_b32 s8, exec_lo
	v_readlane_b32 s9, v85, 22
	s_and_b32 s9, s8, s9
	s_xor_b32 s8, s9, s8
	s_mov_b32 exec_lo, s9
	s_cbranch_execz .LBB31_58
; %bb.55:                               ;   in Loop: Header=BB31_3 Depth=1
	s_mov_b32 s9, exec_lo
	v_readlane_b32 s94, v84, 31
	s_and_b32 s94, s9, s94
	s_delay_alu instid0(SALU_CYCLE_1)
	s_mov_b32 exec_lo, s94
; %bb.56:                               ;   in Loop: Header=BB31_3 Depth=1
	ds_store_b64 v78, v[28:29]
; %bb.57:                               ;   in Loop: Header=BB31_3 Depth=1
	s_or_b32 exec_lo, exec_lo, s9
                                        ; implicit-def: $vgpr42_vgpr43
.LBB31_58:                              ;   in Loop: Header=BB31_3 Depth=1
	s_and_not1_saveexec_b32 s8, s8
	s_cbranch_execz .LBB31_60
; %bb.59:                               ;   in Loop: Header=BB31_3 Depth=1
	v_lshl_add_u64 v[42:43], v[24:25], 3, v[42:43]
	global_load_b64 v[42:43], v[42:43], off
	s_wait_loadcnt 0x0
	v_xor_b32_e32 v43, 0x80000000, v43
	ds_store_b64 v78, v[42:43]
.LBB31_60:                              ;   in Loop: Header=BB31_3 Depth=1
	s_or_b32 exec_lo, exec_lo, s8
.LBB31_61:                              ;   in Loop: Header=BB31_3 Depth=1
	s_delay_alu instid0(SALU_CYCLE_1)
	s_and_not1_b32 vcc_lo, exec_lo, s102
	s_wait_loadcnt_dscnt 0x0
	s_barrier_signal -1
	s_barrier_wait -1
	s_cbranch_vccnz .LBB31_928
; %bb.62:                               ;   in Loop: Header=BB31_3 Depth=1
	s_and_saveexec_b32 s8, s12
; %bb.63:                               ;   in Loop: Header=BB31_3 Depth=1
	ds_store_2addr_b64 v1, v[30:31], v[30:31] offset1:65
; %bb.64:                               ;   in Loop: Header=BB31_3 Depth=1
	s_or_b32 exec_lo, exec_lo, s8
	v_mov_b64_e32 v[42:43], 0
	s_wait_dscnt 0x0
	s_barrier_signal -1
	s_barrier_wait -1
	s_and_saveexec_b32 s94, s3
	s_cbranch_execz .LBB31_68
; %bb.65:                               ;   in Loop: Header=BB31_3 Depth=1
	ds_load_b64 v[42:43], v49 offset:16
	ds_load_b64 v[44:45], v50
	s_wait_dscnt 0x0
	v_fma_f64 v[42:43], v[42:43], v[44:45], 0
	s_and_saveexec_b32 s8, s13
	s_cbranch_execz .LBB31_67
; %bb.66:                               ;   in Loop: Header=BB31_3 Depth=1
	ds_load_b64 v[44:45], v51 offset:528
	ds_load_b64 v[46:47], v1 offset:8
	s_wait_dscnt 0x0
	v_fmac_f64_e32 v[42:43], v[44:45], v[46:47]
.LBB31_67:                              ;   in Loop: Header=BB31_3 Depth=1
	s_or_b32 exec_lo, exec_lo, s8
	s_delay_alu instid0(VALU_DEP_1)
	v_xor_b32_e32 v43, 0x80000000, v43
.LBB31_68:                              ;   in Loop: Header=BB31_3 Depth=1
	s_or_b32 exec_lo, exec_lo, s94
	s_and_saveexec_b32 s8, s103
; %bb.69:                               ;   in Loop: Header=BB31_3 Depth=1
	ds_store_b64 v48, v[42:43]
; %bb.70:                               ;   in Loop: Header=BB31_3 Depth=1
	s_or_b32 exec_lo, exec_lo, s8
	s_wait_dscnt 0x0
	s_barrier_signal -1
	s_barrier_wait -1
	s_and_saveexec_b32 s8, s104
	s_cbranch_execz .LBB31_72
; %bb.71:                               ;   in Loop: Header=BB31_3 Depth=1
	ds_load_b64 v[44:45], v1 offset:1048
	ds_load_b64 v[46:47], v48
	s_wait_dscnt 0x0
	v_fmac_f64_e32 v[42:43], v[44:45], v[46:47]
.LBB31_72:                              ;   in Loop: Header=BB31_3 Depth=1
	s_or_b32 exec_lo, exec_lo, s8
	s_barrier_signal -1
	s_barrier_wait -1
	s_and_saveexec_b32 s8, s104
; %bb.73:                               ;   in Loop: Header=BB31_3 Depth=1
	ds_store_b64 v48, v[42:43]
; %bb.74:                               ;   in Loop: Header=BB31_3 Depth=1
	s_or_b32 exec_lo, exec_lo, s8
	s_wait_dscnt 0x0
	s_barrier_signal -1
	s_barrier_wait -1
	s_barrier_signal -1
	s_barrier_wait -1
	s_and_saveexec_b32 s8, s3
; %bb.75:                               ;   in Loop: Header=BB31_3 Depth=1
	v_xor_b32_e32 v43, 0x80000000, v43
	ds_store_b64 v49, v[42:43] offset:16
; %bb.76:                               ;   in Loop: Header=BB31_3 Depth=1
	s_or_b32 exec_lo, exec_lo, s8
	s_wait_dscnt 0x0
	s_barrier_signal -1
	s_barrier_wait -1
	s_barrier_signal -1
	s_barrier_wait -1
	s_and_saveexec_b32 s8, s12
; %bb.77:                               ;   in Loop: Header=BB31_3 Depth=1
	ds_store_2addr_b64 v1, v[30:31], v[30:31] offset0:130 offset1:195
; %bb.78:                               ;   in Loop: Header=BB31_3 Depth=1
	s_or_b32 exec_lo, exec_lo, s8
	v_mov_b64_e32 v[42:43], 0
	s_wait_dscnt 0x0
	s_barrier_signal -1
	s_barrier_wait -1
	s_and_saveexec_b32 s94, s4
	s_cbranch_execz .LBB31_84
; %bb.79:                               ;   in Loop: Header=BB31_3 Depth=1
	ds_load_b64 v[42:43], v55 offset:32
	ds_load_b64 v[44:45], v53
	s_wait_dscnt 0x0
	v_fma_f64 v[42:43], v[42:43], v[44:45], 0
	s_and_saveexec_b32 s8, s14
	s_cbranch_execnz .LBB31_1004
; %bb.80:                               ;   in Loop: Header=BB31_3 Depth=1
	s_or_b32 exec_lo, exec_lo, s8
	s_and_saveexec_b32 s8, s15
	s_cbranch_execnz .LBB31_1005
.LBB31_81:                              ;   in Loop: Header=BB31_3 Depth=1
	s_or_b32 exec_lo, exec_lo, s8
	s_and_saveexec_b32 s8, s3
	s_cbranch_execz .LBB31_83
.LBB31_82:                              ;   in Loop: Header=BB31_3 Depth=1
	ds_load_b64 v[44:45], v51 offset:1568
	ds_load_b64 v[46:47], v1 offset:24
	s_wait_dscnt 0x0
	v_fmac_f64_e32 v[42:43], v[44:45], v[46:47]
.LBB31_83:                              ;   in Loop: Header=BB31_3 Depth=1
	s_or_b32 exec_lo, exec_lo, s8
	s_delay_alu instid0(VALU_DEP_1)
	v_xor_b32_e32 v43, 0x80000000, v43
.LBB31_84:                              ;   in Loop: Header=BB31_3 Depth=1
	s_or_b32 exec_lo, exec_lo, s94
	s_and_saveexec_b32 s8, vcc_hi
; %bb.85:                               ;   in Loop: Header=BB31_3 Depth=1
	ds_store_b64 v54, v[42:43]
; %bb.86:                               ;   in Loop: Header=BB31_3 Depth=1
	s_or_b32 exec_lo, exec_lo, s8
	s_wait_dscnt 0x0
	s_barrier_signal -1
	s_barrier_wait -1
	s_and_saveexec_b32 s8, s34
	s_cbranch_execz .LBB31_88
; %bb.87:                               ;   in Loop: Header=BB31_3 Depth=1
	ds_load_b64 v[44:45], v52 offset:2080
	ds_load_b64 v[46:47], v54
	s_wait_dscnt 0x0
	v_fmac_f64_e32 v[42:43], v[44:45], v[46:47]
.LBB31_88:                              ;   in Loop: Header=BB31_3 Depth=1
	s_or_b32 exec_lo, exec_lo, s8
	s_barrier_signal -1
	s_barrier_wait -1
	s_and_saveexec_b32 s8, s35
; %bb.89:                               ;   in Loop: Header=BB31_3 Depth=1
	ds_store_b64 v54, v[42:43]
; %bb.90:                               ;   in Loop: Header=BB31_3 Depth=1
	s_or_b32 exec_lo, exec_lo, s8
	s_wait_dscnt 0x0
	s_barrier_signal -1
	s_barrier_wait -1
	s_and_saveexec_b32 s8, s36
	s_cbranch_execz .LBB31_92
; %bb.91:                               ;   in Loop: Header=BB31_3 Depth=1
	ds_load_b64 v[44:45], v52 offset:2592
	ds_load_b64 v[46:47], v54
	s_wait_dscnt 0x0
	v_fmac_f64_e32 v[42:43], v[44:45], v[46:47]
.LBB31_92:                              ;   in Loop: Header=BB31_3 Depth=1
	s_or_b32 exec_lo, exec_lo, s8
	s_barrier_signal -1
	s_barrier_wait -1
	s_and_saveexec_b32 s8, s37
	;; [unrolled: 19-line block ×3, first 2 shown]
; %bb.97:                               ;   in Loop: Header=BB31_3 Depth=1
	ds_store_b64 v54, v[42:43]
; %bb.98:                               ;   in Loop: Header=BB31_3 Depth=1
	s_or_b32 exec_lo, exec_lo, s8
	s_wait_dscnt 0x0
	s_barrier_signal -1
	s_barrier_wait -1
	s_barrier_signal -1
	s_barrier_wait -1
	s_and_saveexec_b32 s8, s4
; %bb.99:                               ;   in Loop: Header=BB31_3 Depth=1
	v_xor_b32_e32 v43, 0x80000000, v43
	ds_store_b64 v55, v[42:43] offset:32
; %bb.100:                              ;   in Loop: Header=BB31_3 Depth=1
	s_or_b32 exec_lo, exec_lo, s8
	s_wait_dscnt 0x0
	s_barrier_signal -1
	s_barrier_wait -1
	s_barrier_signal -1
	s_barrier_wait -1
	s_and_saveexec_b32 s8, s12
; %bb.101:                              ;   in Loop: Header=BB31_3 Depth=1
	v_add_nc_u32_e64 v0, 0x800, 0
	ds_store_2addr_b64 v0, v[30:31], v[30:31] offset0:4 offset1:69
; %bb.102:                              ;   in Loop: Header=BB31_3 Depth=1
	s_or_b32 exec_lo, exec_lo, s8
	v_mov_b64_e32 v[42:43], 0
	s_wait_dscnt 0x0
	s_barrier_signal -1
	s_barrier_wait -1
	s_and_saveexec_b32 s94, s3
	s_cbranch_execz .LBB31_106
; %bb.103:                              ;   in Loop: Header=BB31_3 Depth=1
	ds_load_b64 v[42:43], v49 offset:2096
	ds_load_b64 v[44:45], v50 offset:2080
	s_wait_dscnt 0x0
	v_fma_f64 v[42:43], v[42:43], v[44:45], 0
	s_and_saveexec_b32 s8, s13
	s_cbranch_execz .LBB31_105
; %bb.104:                              ;   in Loop: Header=BB31_3 Depth=1
	ds_load_b64 v[44:45], v51 offset:2608
	ds_load_b64 v[46:47], v1 offset:2088
	s_wait_dscnt 0x0
	v_fmac_f64_e32 v[42:43], v[44:45], v[46:47]
.LBB31_105:                             ;   in Loop: Header=BB31_3 Depth=1
	s_or_b32 exec_lo, exec_lo, s8
	s_delay_alu instid0(VALU_DEP_1)
	v_xor_b32_e32 v43, 0x80000000, v43
.LBB31_106:                             ;   in Loop: Header=BB31_3 Depth=1
	s_or_b32 exec_lo, exec_lo, s94
	s_and_saveexec_b32 s8, s103
; %bb.107:                              ;   in Loop: Header=BB31_3 Depth=1
	ds_store_b64 v48, v[42:43]
; %bb.108:                              ;   in Loop: Header=BB31_3 Depth=1
	s_or_b32 exec_lo, exec_lo, s8
	s_wait_dscnt 0x0
	s_barrier_signal -1
	s_barrier_wait -1
	s_and_saveexec_b32 s8, s104
	s_cbranch_execz .LBB31_110
; %bb.109:                              ;   in Loop: Header=BB31_3 Depth=1
	ds_load_b64 v[44:45], v1 offset:3128
	ds_load_b64 v[46:47], v48
	s_wait_dscnt 0x0
	v_fmac_f64_e32 v[42:43], v[44:45], v[46:47]
.LBB31_110:                             ;   in Loop: Header=BB31_3 Depth=1
	s_or_b32 exec_lo, exec_lo, s8
	s_barrier_signal -1
	s_barrier_wait -1
	s_and_saveexec_b32 s8, s104
; %bb.111:                              ;   in Loop: Header=BB31_3 Depth=1
	ds_store_b64 v48, v[42:43]
; %bb.112:                              ;   in Loop: Header=BB31_3 Depth=1
	s_or_b32 exec_lo, exec_lo, s8
	s_wait_dscnt 0x0
	s_barrier_signal -1
	s_barrier_wait -1
	s_barrier_signal -1
	s_barrier_wait -1
	s_and_saveexec_b32 s8, s3
; %bb.113:                              ;   in Loop: Header=BB31_3 Depth=1
	v_xor_b32_e32 v43, 0x80000000, v43
	ds_store_b64 v49, v[42:43] offset:2096
; %bb.114:                              ;   in Loop: Header=BB31_3 Depth=1
	s_or_b32 exec_lo, exec_lo, s8
	s_wait_dscnt 0x0
	s_barrier_signal -1
	s_barrier_wait -1
	s_barrier_signal -1
	s_barrier_wait -1
	s_and_saveexec_b32 s8, s12
; %bb.115:                              ;   in Loop: Header=BB31_3 Depth=1
	v_add_nc_u32_e64 v0, 0x800, 0
	ds_store_2addr_b64 v0, v[30:31], v[30:31] offset0:134 offset1:199
; %bb.116:                              ;   in Loop: Header=BB31_3 Depth=1
	s_or_b32 exec_lo, exec_lo, s8
	v_mov_b64_e32 v[42:43], 0
	s_wait_dscnt 0x0
	s_barrier_signal -1
	s_barrier_wait -1
	s_and_saveexec_b32 s94, s5
	s_cbranch_execz .LBB31_126
; %bb.117:                              ;   in Loop: Header=BB31_3 Depth=1
	ds_load_b64 v[42:43], v60 offset:64
	ds_load_b64 v[44:45], v57
	s_wait_dscnt 0x0
	v_fma_f64 v[42:43], v[42:43], v[44:45], 0
	s_and_saveexec_b32 s8, s16
	s_cbranch_execnz .LBB31_1006
; %bb.118:                              ;   in Loop: Header=BB31_3 Depth=1
	s_or_b32 exec_lo, exec_lo, s8
	s_and_saveexec_b32 s8, s17
	s_cbranch_execnz .LBB31_1007
.LBB31_119:                             ;   in Loop: Header=BB31_3 Depth=1
	s_or_b32 exec_lo, exec_lo, s8
	s_and_saveexec_b32 s8, s18
	s_cbranch_execnz .LBB31_1008
.LBB31_120:                             ;   in Loop: Header=BB31_3 Depth=1
	s_or_b32 exec_lo, exec_lo, s8
	s_and_saveexec_b32 s8, s19
	s_cbranch_execnz .LBB31_1009
.LBB31_121:                             ;   in Loop: Header=BB31_3 Depth=1
	s_or_b32 exec_lo, exec_lo, s8
	s_and_saveexec_b32 s8, s20
	s_cbranch_execnz .LBB31_1010
.LBB31_122:                             ;   in Loop: Header=BB31_3 Depth=1
	s_or_b32 exec_lo, exec_lo, s8
	s_and_saveexec_b32 s8, s4
	s_cbranch_execnz .LBB31_1011
.LBB31_123:                             ;   in Loop: Header=BB31_3 Depth=1
	s_or_b32 exec_lo, exec_lo, s8
	s_and_saveexec_b32 s8, s15
	s_cbranch_execz .LBB31_125
.LBB31_124:                             ;   in Loop: Header=BB31_3 Depth=1
	ds_load_b64 v[44:45], v51 offset:3648
	ds_load_b64 v[46:47], v1 offset:56
	s_wait_dscnt 0x0
	v_fmac_f64_e32 v[42:43], v[44:45], v[46:47]
.LBB31_125:                             ;   in Loop: Header=BB31_3 Depth=1
	s_or_b32 exec_lo, exec_lo, s8
	s_delay_alu instid0(VALU_DEP_1)
	v_xor_b32_e32 v43, 0x80000000, v43
.LBB31_126:                             ;   in Loop: Header=BB31_3 Depth=1
	s_or_b32 exec_lo, exec_lo, s94
	s_and_saveexec_b32 s8, s39
; %bb.127:                              ;   in Loop: Header=BB31_3 Depth=1
	ds_store_b64 v59, v[42:43]
; %bb.128:                              ;   in Loop: Header=BB31_3 Depth=1
	s_or_b32 exec_lo, exec_lo, s8
	s_wait_dscnt 0x0
	s_barrier_signal -1
	s_barrier_wait -1
	s_and_saveexec_b32 s8, s40
	s_cbranch_execz .LBB31_130
; %bb.129:                              ;   in Loop: Header=BB31_3 Depth=1
	ds_load_b64 v[44:45], v58 offset:4160
	ds_load_b64 v[46:47], v59
	s_wait_dscnt 0x0
	v_fmac_f64_e32 v[42:43], v[44:45], v[46:47]
.LBB31_130:                             ;   in Loop: Header=BB31_3 Depth=1
	s_or_b32 exec_lo, exec_lo, s8
	s_barrier_signal -1
	s_barrier_wait -1
	s_and_saveexec_b32 s8, s41
; %bb.131:                              ;   in Loop: Header=BB31_3 Depth=1
	ds_store_b64 v59, v[42:43]
; %bb.132:                              ;   in Loop: Header=BB31_3 Depth=1
	s_or_b32 exec_lo, exec_lo, s8
	s_wait_dscnt 0x0
	s_barrier_signal -1
	s_barrier_wait -1
	s_and_saveexec_b32 s8, s42
	s_cbranch_execz .LBB31_134
; %bb.133:                              ;   in Loop: Header=BB31_3 Depth=1
	ds_load_b64 v[44:45], v58 offset:4672
	ds_load_b64 v[46:47], v59
	s_wait_dscnt 0x0
	v_fmac_f64_e32 v[42:43], v[44:45], v[46:47]
.LBB31_134:                             ;   in Loop: Header=BB31_3 Depth=1
	s_or_b32 exec_lo, exec_lo, s8
	s_barrier_signal -1
	s_barrier_wait -1
	s_and_saveexec_b32 s8, s43
; %bb.135:                              ;   in Loop: Header=BB31_3 Depth=1
	ds_store_b64 v59, v[42:43]
; %bb.136:                              ;   in Loop: Header=BB31_3 Depth=1
	s_or_b32 exec_lo, exec_lo, s8
	s_wait_dscnt 0x0
	s_barrier_signal -1
	s_barrier_wait -1
	s_and_saveexec_b32 s8, s44
	s_cbranch_execz .LBB31_138
; %bb.137:                              ;   in Loop: Header=BB31_3 Depth=1
	ds_load_b64 v[44:45], v58 offset:5184
	ds_load_b64 v[46:47], v59
	s_wait_dscnt 0x0
	v_fmac_f64_e32 v[42:43], v[44:45], v[46:47]
.LBB31_138:                             ;   in Loop: Header=BB31_3 Depth=1
	s_or_b32 exec_lo, exec_lo, s8
	s_barrier_signal -1
	s_barrier_wait -1
	s_and_saveexec_b32 s8, s45
; %bb.139:                              ;   in Loop: Header=BB31_3 Depth=1
	ds_store_b64 v59, v[42:43]
; %bb.140:                              ;   in Loop: Header=BB31_3 Depth=1
	s_or_b32 exec_lo, exec_lo, s8
	s_wait_dscnt 0x0
	s_barrier_signal -1
	s_barrier_wait -1
	s_and_saveexec_b32 s8, s46
	s_cbranch_execz .LBB31_142
; %bb.141:                              ;   in Loop: Header=BB31_3 Depth=1
	ds_load_b64 v[44:45], v58 offset:5696
	ds_load_b64 v[46:47], v59
	s_wait_dscnt 0x0
	v_fmac_f64_e32 v[42:43], v[44:45], v[46:47]
.LBB31_142:                             ;   in Loop: Header=BB31_3 Depth=1
	s_or_b32 exec_lo, exec_lo, s8
	s_barrier_signal -1
	s_barrier_wait -1
	s_and_saveexec_b32 s8, s47
; %bb.143:                              ;   in Loop: Header=BB31_3 Depth=1
	ds_store_b64 v59, v[42:43]
; %bb.144:                              ;   in Loop: Header=BB31_3 Depth=1
	s_or_b32 exec_lo, exec_lo, s8
	s_wait_dscnt 0x0
	s_barrier_signal -1
	s_barrier_wait -1
	s_and_saveexec_b32 s8, s48
	s_cbranch_execz .LBB31_146
; %bb.145:                              ;   in Loop: Header=BB31_3 Depth=1
	ds_load_b64 v[44:45], v58 offset:6208
	ds_load_b64 v[46:47], v59
	s_wait_dscnt 0x0
	v_fmac_f64_e32 v[42:43], v[44:45], v[46:47]
.LBB31_146:                             ;   in Loop: Header=BB31_3 Depth=1
	s_or_b32 exec_lo, exec_lo, s8
	s_barrier_signal -1
	s_barrier_wait -1
	s_and_saveexec_b32 s8, s49
; %bb.147:                              ;   in Loop: Header=BB31_3 Depth=1
	ds_store_b64 v59, v[42:43]
; %bb.148:                              ;   in Loop: Header=BB31_3 Depth=1
	s_or_b32 exec_lo, exec_lo, s8
	s_wait_dscnt 0x0
	s_barrier_signal -1
	s_barrier_wait -1
	s_and_saveexec_b32 s8, s50
	s_cbranch_execz .LBB31_150
; %bb.149:                              ;   in Loop: Header=BB31_3 Depth=1
	ds_load_b64 v[44:45], v58 offset:6720
	ds_load_b64 v[46:47], v59
	s_wait_dscnt 0x0
	v_fmac_f64_e32 v[42:43], v[44:45], v[46:47]
.LBB31_150:                             ;   in Loop: Header=BB31_3 Depth=1
	s_or_b32 exec_lo, exec_lo, s8
	s_barrier_signal -1
	s_barrier_wait -1
	s_and_saveexec_b32 s8, s51
; %bb.151:                              ;   in Loop: Header=BB31_3 Depth=1
	ds_store_b64 v59, v[42:43]
; %bb.152:                              ;   in Loop: Header=BB31_3 Depth=1
	s_or_b32 exec_lo, exec_lo, s8
	s_wait_dscnt 0x0
	s_barrier_signal -1
	s_barrier_wait -1
	s_and_saveexec_b32 s8, s52
	s_cbranch_execz .LBB31_154
; %bb.153:                              ;   in Loop: Header=BB31_3 Depth=1
	ds_load_b64 v[44:45], v1 offset:7288
	ds_load_b64 v[46:47], v59
	s_wait_dscnt 0x0
	v_fmac_f64_e32 v[42:43], v[44:45], v[46:47]
.LBB31_154:                             ;   in Loop: Header=BB31_3 Depth=1
	s_or_b32 exec_lo, exec_lo, s8
	s_barrier_signal -1
	s_barrier_wait -1
	s_and_saveexec_b32 s8, s52
; %bb.155:                              ;   in Loop: Header=BB31_3 Depth=1
	ds_store_b64 v59, v[42:43]
; %bb.156:                              ;   in Loop: Header=BB31_3 Depth=1
	s_or_b32 exec_lo, exec_lo, s8
	s_wait_dscnt 0x0
	s_barrier_signal -1
	s_barrier_wait -1
	s_barrier_signal -1
	s_barrier_wait -1
	s_and_saveexec_b32 s8, s5
; %bb.157:                              ;   in Loop: Header=BB31_3 Depth=1
	v_xor_b32_e32 v43, 0x80000000, v43
	ds_store_b64 v60, v[42:43] offset:64
; %bb.158:                              ;   in Loop: Header=BB31_3 Depth=1
	s_or_b32 exec_lo, exec_lo, s8
	s_wait_dscnt 0x0
	s_barrier_signal -1
	s_barrier_wait -1
	s_barrier_signal -1
	s_barrier_wait -1
	s_and_saveexec_b32 s8, s12
; %bb.159:                              ;   in Loop: Header=BB31_3 Depth=1
	v_add_nc_u32_e64 v0, 0x1000, 0
	ds_store_2addr_b64 v0, v[30:31], v[30:31] offset0:8 offset1:73
; %bb.160:                              ;   in Loop: Header=BB31_3 Depth=1
	s_or_b32 exec_lo, exec_lo, s8
	v_mov_b64_e32 v[42:43], 0
	s_wait_dscnt 0x0
	s_barrier_signal -1
	s_barrier_wait -1
	s_and_saveexec_b32 s94, s3
	s_cbranch_execz .LBB31_164
; %bb.161:                              ;   in Loop: Header=BB31_3 Depth=1
	ds_load_b64 v[42:43], v49 offset:4176
	ds_load_b64 v[44:45], v50 offset:4160
	s_wait_dscnt 0x0
	v_fma_f64 v[42:43], v[42:43], v[44:45], 0
	s_and_saveexec_b32 s8, s13
	s_cbranch_execz .LBB31_163
; %bb.162:                              ;   in Loop: Header=BB31_3 Depth=1
	ds_load_b64 v[44:45], v51 offset:4688
	ds_load_b64 v[46:47], v1 offset:4168
	s_wait_dscnt 0x0
	v_fmac_f64_e32 v[42:43], v[44:45], v[46:47]
.LBB31_163:                             ;   in Loop: Header=BB31_3 Depth=1
	s_or_b32 exec_lo, exec_lo, s8
	s_delay_alu instid0(VALU_DEP_1)
	v_xor_b32_e32 v43, 0x80000000, v43
.LBB31_164:                             ;   in Loop: Header=BB31_3 Depth=1
	s_or_b32 exec_lo, exec_lo, s94
	s_and_saveexec_b32 s8, s103
; %bb.165:                              ;   in Loop: Header=BB31_3 Depth=1
	ds_store_b64 v48, v[42:43]
; %bb.166:                              ;   in Loop: Header=BB31_3 Depth=1
	s_or_b32 exec_lo, exec_lo, s8
	s_wait_dscnt 0x0
	s_barrier_signal -1
	s_barrier_wait -1
	s_and_saveexec_b32 s8, s104
	s_cbranch_execz .LBB31_168
; %bb.167:                              ;   in Loop: Header=BB31_3 Depth=1
	ds_load_b64 v[44:45], v1 offset:5208
	ds_load_b64 v[46:47], v48
	s_wait_dscnt 0x0
	v_fmac_f64_e32 v[42:43], v[44:45], v[46:47]
.LBB31_168:                             ;   in Loop: Header=BB31_3 Depth=1
	s_or_b32 exec_lo, exec_lo, s8
	s_barrier_signal -1
	s_barrier_wait -1
	s_and_saveexec_b32 s8, s104
; %bb.169:                              ;   in Loop: Header=BB31_3 Depth=1
	ds_store_b64 v48, v[42:43]
; %bb.170:                              ;   in Loop: Header=BB31_3 Depth=1
	s_or_b32 exec_lo, exec_lo, s8
	s_wait_dscnt 0x0
	s_barrier_signal -1
	s_barrier_wait -1
	s_barrier_signal -1
	s_barrier_wait -1
	s_and_saveexec_b32 s8, s3
; %bb.171:                              ;   in Loop: Header=BB31_3 Depth=1
	v_xor_b32_e32 v43, 0x80000000, v43
	ds_store_b64 v49, v[42:43] offset:4176
; %bb.172:                              ;   in Loop: Header=BB31_3 Depth=1
	s_or_b32 exec_lo, exec_lo, s8
	s_wait_dscnt 0x0
	s_barrier_signal -1
	s_barrier_wait -1
	s_barrier_signal -1
	s_barrier_wait -1
	s_and_saveexec_b32 s8, s12
; %bb.173:                              ;   in Loop: Header=BB31_3 Depth=1
	v_add_nc_u32_e64 v0, 0x1000, 0
	ds_store_2addr_b64 v0, v[30:31], v[30:31] offset0:138 offset1:203
; %bb.174:                              ;   in Loop: Header=BB31_3 Depth=1
	s_or_b32 exec_lo, exec_lo, s8
	v_mov_b64_e32 v[42:43], 0
	s_wait_dscnt 0x0
	s_barrier_signal -1
	s_barrier_wait -1
	s_and_saveexec_b32 s94, s4
	s_cbranch_execz .LBB31_180
; %bb.175:                              ;   in Loop: Header=BB31_3 Depth=1
	ds_load_b64 v[42:43], v55 offset:4192
	ds_load_b64 v[44:45], v53 offset:4160
	s_wait_dscnt 0x0
	v_fma_f64 v[42:43], v[42:43], v[44:45], 0
	s_and_saveexec_b32 s8, s14
	s_cbranch_execnz .LBB31_1012
; %bb.176:                              ;   in Loop: Header=BB31_3 Depth=1
	s_or_b32 exec_lo, exec_lo, s8
	s_and_saveexec_b32 s8, s15
	s_cbranch_execnz .LBB31_1013
.LBB31_177:                             ;   in Loop: Header=BB31_3 Depth=1
	s_or_b32 exec_lo, exec_lo, s8
	s_and_saveexec_b32 s8, s3
	s_cbranch_execz .LBB31_179
.LBB31_178:                             ;   in Loop: Header=BB31_3 Depth=1
	ds_load_b64 v[44:45], v51 offset:5728
	ds_load_b64 v[46:47], v1 offset:4184
	s_wait_dscnt 0x0
	v_fmac_f64_e32 v[42:43], v[44:45], v[46:47]
.LBB31_179:                             ;   in Loop: Header=BB31_3 Depth=1
	s_or_b32 exec_lo, exec_lo, s8
	s_delay_alu instid0(VALU_DEP_1)
	v_xor_b32_e32 v43, 0x80000000, v43
.LBB31_180:                             ;   in Loop: Header=BB31_3 Depth=1
	s_or_b32 exec_lo, exec_lo, s94
	s_and_saveexec_b32 s8, vcc_hi
; %bb.181:                              ;   in Loop: Header=BB31_3 Depth=1
	ds_store_b64 v54, v[42:43]
; %bb.182:                              ;   in Loop: Header=BB31_3 Depth=1
	s_or_b32 exec_lo, exec_lo, s8
	s_wait_dscnt 0x0
	s_barrier_signal -1
	s_barrier_wait -1
	s_and_saveexec_b32 s8, s34
	s_cbranch_execz .LBB31_184
; %bb.183:                              ;   in Loop: Header=BB31_3 Depth=1
	ds_load_b64 v[44:45], v52 offset:6240
	ds_load_b64 v[46:47], v54
	s_wait_dscnt 0x0
	v_fmac_f64_e32 v[42:43], v[44:45], v[46:47]
.LBB31_184:                             ;   in Loop: Header=BB31_3 Depth=1
	s_or_b32 exec_lo, exec_lo, s8
	s_barrier_signal -1
	s_barrier_wait -1
	s_and_saveexec_b32 s8, s35
; %bb.185:                              ;   in Loop: Header=BB31_3 Depth=1
	ds_store_b64 v54, v[42:43]
; %bb.186:                              ;   in Loop: Header=BB31_3 Depth=1
	s_or_b32 exec_lo, exec_lo, s8
	s_wait_dscnt 0x0
	s_barrier_signal -1
	s_barrier_wait -1
	s_and_saveexec_b32 s8, s36
	s_cbranch_execz .LBB31_188
; %bb.187:                              ;   in Loop: Header=BB31_3 Depth=1
	ds_load_b64 v[44:45], v52 offset:6752
	ds_load_b64 v[46:47], v54
	s_wait_dscnt 0x0
	v_fmac_f64_e32 v[42:43], v[44:45], v[46:47]
.LBB31_188:                             ;   in Loop: Header=BB31_3 Depth=1
	s_or_b32 exec_lo, exec_lo, s8
	s_barrier_signal -1
	s_barrier_wait -1
	s_and_saveexec_b32 s8, s37
	;; [unrolled: 19-line block ×3, first 2 shown]
; %bb.193:                              ;   in Loop: Header=BB31_3 Depth=1
	ds_store_b64 v54, v[42:43]
; %bb.194:                              ;   in Loop: Header=BB31_3 Depth=1
	s_or_b32 exec_lo, exec_lo, s8
	s_wait_dscnt 0x0
	s_barrier_signal -1
	s_barrier_wait -1
	s_barrier_signal -1
	s_barrier_wait -1
	s_and_saveexec_b32 s8, s4
; %bb.195:                              ;   in Loop: Header=BB31_3 Depth=1
	v_xor_b32_e32 v43, 0x80000000, v43
	ds_store_b64 v55, v[42:43] offset:4192
; %bb.196:                              ;   in Loop: Header=BB31_3 Depth=1
	s_or_b32 exec_lo, exec_lo, s8
	s_wait_dscnt 0x0
	s_barrier_signal -1
	s_barrier_wait -1
	s_barrier_signal -1
	s_barrier_wait -1
	s_and_saveexec_b32 s8, s12
; %bb.197:                              ;   in Loop: Header=BB31_3 Depth=1
	v_add_nc_u32_e64 v0, 0x1800, 0
	ds_store_2addr_b64 v0, v[30:31], v[30:31] offset0:12 offset1:77
; %bb.198:                              ;   in Loop: Header=BB31_3 Depth=1
	s_or_b32 exec_lo, exec_lo, s8
	v_mov_b64_e32 v[42:43], 0
	s_wait_dscnt 0x0
	s_barrier_signal -1
	s_barrier_wait -1
	s_and_saveexec_b32 s94, s3
	s_cbranch_execz .LBB31_202
; %bb.199:                              ;   in Loop: Header=BB31_3 Depth=1
	ds_load_b64 v[42:43], v49 offset:6256
	ds_load_b64 v[44:45], v50 offset:6240
	s_wait_dscnt 0x0
	v_fma_f64 v[42:43], v[42:43], v[44:45], 0
	s_and_saveexec_b32 s8, s13
	s_cbranch_execz .LBB31_201
; %bb.200:                              ;   in Loop: Header=BB31_3 Depth=1
	ds_load_b64 v[44:45], v51 offset:6768
	ds_load_b64 v[46:47], v1 offset:6248
	s_wait_dscnt 0x0
	v_fmac_f64_e32 v[42:43], v[44:45], v[46:47]
.LBB31_201:                             ;   in Loop: Header=BB31_3 Depth=1
	s_or_b32 exec_lo, exec_lo, s8
	s_delay_alu instid0(VALU_DEP_1)
	v_xor_b32_e32 v43, 0x80000000, v43
.LBB31_202:                             ;   in Loop: Header=BB31_3 Depth=1
	s_or_b32 exec_lo, exec_lo, s94
	s_and_saveexec_b32 s8, s103
; %bb.203:                              ;   in Loop: Header=BB31_3 Depth=1
	ds_store_b64 v48, v[42:43]
; %bb.204:                              ;   in Loop: Header=BB31_3 Depth=1
	s_or_b32 exec_lo, exec_lo, s8
	s_wait_dscnt 0x0
	s_barrier_signal -1
	s_barrier_wait -1
	s_and_saveexec_b32 s8, s104
	s_cbranch_execz .LBB31_206
; %bb.205:                              ;   in Loop: Header=BB31_3 Depth=1
	ds_load_b64 v[44:45], v1 offset:7288
	ds_load_b64 v[46:47], v48
	s_wait_dscnt 0x0
	v_fmac_f64_e32 v[42:43], v[44:45], v[46:47]
.LBB31_206:                             ;   in Loop: Header=BB31_3 Depth=1
	s_or_b32 exec_lo, exec_lo, s8
	s_barrier_signal -1
	s_barrier_wait -1
	s_and_saveexec_b32 s8, s104
; %bb.207:                              ;   in Loop: Header=BB31_3 Depth=1
	ds_store_b64 v48, v[42:43]
; %bb.208:                              ;   in Loop: Header=BB31_3 Depth=1
	s_or_b32 exec_lo, exec_lo, s8
	s_wait_dscnt 0x0
	s_barrier_signal -1
	s_barrier_wait -1
	s_barrier_signal -1
	s_barrier_wait -1
	s_and_saveexec_b32 s8, s3
; %bb.209:                              ;   in Loop: Header=BB31_3 Depth=1
	v_xor_b32_e32 v43, 0x80000000, v43
	ds_store_b64 v49, v[42:43] offset:6256
; %bb.210:                              ;   in Loop: Header=BB31_3 Depth=1
	s_or_b32 exec_lo, exec_lo, s8
	s_wait_dscnt 0x0
	s_barrier_signal -1
	s_barrier_wait -1
	s_barrier_signal -1
	s_barrier_wait -1
	s_and_saveexec_b32 s8, s12
; %bb.211:                              ;   in Loop: Header=BB31_3 Depth=1
	v_add_nc_u32_e64 v0, 0x1800, 0
	ds_store_2addr_b64 v0, v[30:31], v[30:31] offset0:142 offset1:207
; %bb.212:                              ;   in Loop: Header=BB31_3 Depth=1
	s_or_b32 exec_lo, exec_lo, s8
	v_mov_b64_e32 v[42:43], 0
	s_wait_dscnt 0x0
	s_barrier_signal -1
	s_barrier_wait -1
	s_and_saveexec_b32 s94, s6
	s_cbranch_execz .LBB31_240
; %bb.213:                              ;   in Loop: Header=BB31_3 Depth=1
	ds_load_b64 v[42:43], v65 offset:128
	ds_load_b64 v[44:45], v62
	s_wait_dscnt 0x0
	v_fma_f64 v[42:43], v[42:43], v[44:45], 0
	s_mov_b32 s8, exec_lo
	v_readlane_b32 s9, v85, 23
	s_and_b32 s9, s8, s9
	s_delay_alu instid0(SALU_CYCLE_1)
	s_mov_b32 exec_lo, s9
	s_cbranch_execz .LBB31_215
; %bb.214:                              ;   in Loop: Header=BB31_3 Depth=1
	ds_load_b64 v[44:45], v66 offset:640
	ds_load_b64 v[46:47], v62 offset:8
	s_wait_dscnt 0x0
	v_fmac_f64_e32 v[42:43], v[44:45], v[46:47]
.LBB31_215:                             ;   in Loop: Header=BB31_3 Depth=1
	s_or_b32 exec_lo, exec_lo, s8
	s_delay_alu instid0(SALU_CYCLE_1) | instskip(SKIP_2) | instid1(SALU_CYCLE_1)
	s_mov_b32 s8, exec_lo
	v_readlane_b32 s9, v85, 24
	s_and_b32 s9, s8, s9
	s_mov_b32 exec_lo, s9
	s_cbranch_execz .LBB31_217
; %bb.216:                              ;   in Loop: Header=BB31_3 Depth=1
	ds_load_b64 v[44:45], v66 offset:1152
	ds_load_b64 v[46:47], v62 offset:16
	s_wait_dscnt 0x0
	v_fmac_f64_e32 v[42:43], v[44:45], v[46:47]
.LBB31_217:                             ;   in Loop: Header=BB31_3 Depth=1
	s_or_b32 exec_lo, exec_lo, s8
	s_delay_alu instid0(SALU_CYCLE_1) | instskip(SKIP_2) | instid1(SALU_CYCLE_1)
	s_mov_b32 s8, exec_lo
	v_readlane_b32 s9, v85, 25
	s_and_b32 s9, s8, s9
	;; [unrolled: 13-line block ×8, first 2 shown]
	s_mov_b32 exec_lo, s9
	s_cbranch_execz .LBB31_231
; %bb.230:                              ;   in Loop: Header=BB31_3 Depth=1
	ds_load_b64 v[44:45], v66 offset:4736
	ds_load_b64 v[46:47], v62 offset:72
	s_wait_dscnt 0x0
	v_fmac_f64_e32 v[42:43], v[44:45], v[46:47]
.LBB31_231:                             ;   in Loop: Header=BB31_3 Depth=1
	s_or_b32 exec_lo, exec_lo, s8
	s_and_saveexec_b32 s8, s10
	s_cbranch_execz .LBB31_233
; %bb.232:                              ;   in Loop: Header=BB31_3 Depth=1
	ds_load_b64 v[44:45], v66 offset:5248
	ds_load_b64 v[46:47], v62 offset:80
	s_wait_dscnt 0x0
	v_fmac_f64_e32 v[42:43], v[44:45], v[46:47]
.LBB31_233:                             ;   in Loop: Header=BB31_3 Depth=1
	s_or_b32 exec_lo, exec_lo, s8
	s_delay_alu instid0(SALU_CYCLE_1) | instskip(SKIP_2) | instid1(SALU_CYCLE_1)
	s_mov_b32 s8, exec_lo
	v_readlane_b32 s9, v84, 0
	s_and_b32 s9, s8, s9
	s_mov_b32 exec_lo, s9
	s_cbranch_execnz .LBB31_1014
; %bb.234:                              ;   in Loop: Header=BB31_3 Depth=1
	s_or_b32 exec_lo, exec_lo, s8
	s_and_saveexec_b32 s8, s5
	s_cbranch_execnz .LBB31_1015
.LBB31_235:                             ;   in Loop: Header=BB31_3 Depth=1
	s_or_b32 exec_lo, exec_lo, s8
	s_and_saveexec_b32 s8, s17
	s_cbranch_execnz .LBB31_1016
.LBB31_236:                             ;   in Loop: Header=BB31_3 Depth=1
	s_or_b32 exec_lo, exec_lo, s8
	s_and_saveexec_b32 s8, s19
	s_cbranch_execnz .LBB31_1017
.LBB31_237:                             ;   in Loop: Header=BB31_3 Depth=1
	s_or_b32 exec_lo, exec_lo, s8
	s_and_saveexec_b32 s8, s4
	s_cbranch_execz .LBB31_239
.LBB31_238:                             ;   in Loop: Header=BB31_3 Depth=1
	ds_load_b64 v[44:45], v51 offset:7808
	ds_load_b64 v[46:47], v1 offset:120
	s_wait_dscnt 0x0
	v_fmac_f64_e32 v[42:43], v[44:45], v[46:47]
.LBB31_239:                             ;   in Loop: Header=BB31_3 Depth=1
	s_or_b32 exec_lo, exec_lo, s8
	s_delay_alu instid0(VALU_DEP_1)
	v_xor_b32_e32 v43, 0x80000000, v43
.LBB31_240:                             ;   in Loop: Header=BB31_3 Depth=1
	s_or_b32 exec_lo, exec_lo, s94
	s_delay_alu instid0(SALU_CYCLE_1) | instskip(SKIP_2) | instid1(SALU_CYCLE_1)
	s_mov_b32 s8, exec_lo
	v_readlane_b32 s9, v85, 6
	s_and_b32 s9, s8, s9
	s_mov_b32 exec_lo, s9
; %bb.241:                              ;   in Loop: Header=BB31_3 Depth=1
	ds_store_b64 v64, v[42:43]
; %bb.242:                              ;   in Loop: Header=BB31_3 Depth=1
	s_or_b32 exec_lo, exec_lo, s8
	s_wait_dscnt 0x0
	s_barrier_signal -1
	s_barrier_wait -1
	s_mov_b32 s8, exec_lo
	v_readlane_b32 s9, v85, 7
	s_and_b32 s9, s8, s9
	s_delay_alu instid0(SALU_CYCLE_1)
	s_mov_b32 exec_lo, s9
	s_cbranch_execz .LBB31_244
; %bb.243:                              ;   in Loop: Header=BB31_3 Depth=1
	ds_load_b64 v[44:45], v63 offset:8320
	ds_load_b64 v[46:47], v64
	s_wait_dscnt 0x0
	v_fmac_f64_e32 v[42:43], v[44:45], v[46:47]
.LBB31_244:                             ;   in Loop: Header=BB31_3 Depth=1
	s_or_b32 exec_lo, exec_lo, s8
	s_barrier_signal -1
	s_barrier_wait -1
	s_mov_b32 s8, exec_lo
	v_readlane_b32 s9, v85, 8
	s_and_b32 s9, s8, s9
	s_delay_alu instid0(SALU_CYCLE_1)
	s_mov_b32 exec_lo, s9
; %bb.245:                              ;   in Loop: Header=BB31_3 Depth=1
	ds_store_b64 v64, v[42:43]
; %bb.246:                              ;   in Loop: Header=BB31_3 Depth=1
	s_or_b32 exec_lo, exec_lo, s8
	s_wait_dscnt 0x0
	s_barrier_signal -1
	s_barrier_wait -1
	s_mov_b32 s8, exec_lo
	v_readlane_b32 s9, v85, 9
	s_and_b32 s9, s8, s9
	s_delay_alu instid0(SALU_CYCLE_1)
	s_mov_b32 exec_lo, s9
	s_cbranch_execz .LBB31_248
; %bb.247:                              ;   in Loop: Header=BB31_3 Depth=1
	ds_load_b64 v[44:45], v63 offset:8832
	ds_load_b64 v[46:47], v64
	s_wait_dscnt 0x0
	v_fmac_f64_e32 v[42:43], v[44:45], v[46:47]
.LBB31_248:                             ;   in Loop: Header=BB31_3 Depth=1
	s_or_b32 exec_lo, exec_lo, s8
	s_barrier_signal -1
	s_barrier_wait -1
	s_and_saveexec_b32 s8, s21
; %bb.249:                              ;   in Loop: Header=BB31_3 Depth=1
	ds_store_b64 v64, v[42:43]
; %bb.250:                              ;   in Loop: Header=BB31_3 Depth=1
	s_or_b32 exec_lo, exec_lo, s8
	s_wait_dscnt 0x0
	s_barrier_signal -1
	s_barrier_wait -1
	s_and_saveexec_b32 s8, s23
	s_cbranch_execz .LBB31_252
; %bb.251:                              ;   in Loop: Header=BB31_3 Depth=1
	ds_load_b64 v[44:45], v63 offset:9344
	ds_load_b64 v[46:47], v64
	s_wait_dscnt 0x0
	v_fmac_f64_e32 v[42:43], v[44:45], v[46:47]
.LBB31_252:                             ;   in Loop: Header=BB31_3 Depth=1
	s_or_b32 exec_lo, exec_lo, s8
	s_barrier_signal -1
	s_barrier_wait -1
	s_and_saveexec_b32 s8, s25
; %bb.253:                              ;   in Loop: Header=BB31_3 Depth=1
	ds_store_b64 v64, v[42:43]
; %bb.254:                              ;   in Loop: Header=BB31_3 Depth=1
	s_or_b32 exec_lo, exec_lo, s8
	s_wait_dscnt 0x0
	s_barrier_signal -1
	s_barrier_wait -1
	s_and_saveexec_b32 s8, s27
	;; [unrolled: 19-line block ×13, first 2 shown]
	s_cbranch_execz .LBB31_300
; %bb.299:                              ;   in Loop: Header=BB31_3 Depth=1
	ds_load_b64 v[44:45], v1 offset:15608
	ds_load_b64 v[46:47], v64
	s_wait_dscnt 0x0
	v_fmac_f64_e32 v[42:43], v[44:45], v[46:47]
.LBB31_300:                             ;   in Loop: Header=BB31_3 Depth=1
	s_or_b32 exec_lo, exec_lo, s8
	s_barrier_signal -1
	s_barrier_wait -1
	s_and_saveexec_b32 s8, s53
; %bb.301:                              ;   in Loop: Header=BB31_3 Depth=1
	ds_store_b64 v64, v[42:43]
; %bb.302:                              ;   in Loop: Header=BB31_3 Depth=1
	s_or_b32 exec_lo, exec_lo, s8
	s_wait_dscnt 0x0
	s_barrier_signal -1
	s_barrier_wait -1
	s_barrier_signal -1
	s_barrier_wait -1
	s_and_saveexec_b32 s8, s6
; %bb.303:                              ;   in Loop: Header=BB31_3 Depth=1
	v_xor_b32_e32 v43, 0x80000000, v43
	ds_store_b64 v65, v[42:43] offset:128
; %bb.304:                              ;   in Loop: Header=BB31_3 Depth=1
	s_or_b32 exec_lo, exec_lo, s8
	s_wait_dscnt 0x0
	s_barrier_signal -1
	s_barrier_wait -1
	s_barrier_signal -1
	s_barrier_wait -1
	s_and_saveexec_b32 s8, s12
; %bb.305:                              ;   in Loop: Header=BB31_3 Depth=1
	v_add_nc_u32_e64 v0, 0x2000, 0
	ds_store_2addr_b64 v0, v[30:31], v[30:31] offset0:16 offset1:81
; %bb.306:                              ;   in Loop: Header=BB31_3 Depth=1
	s_or_b32 exec_lo, exec_lo, s8
	v_mov_b64_e32 v[42:43], 0
	s_wait_dscnt 0x0
	s_barrier_signal -1
	s_barrier_wait -1
	s_and_saveexec_b32 s94, s3
	s_cbranch_execz .LBB31_310
; %bb.307:                              ;   in Loop: Header=BB31_3 Depth=1
	ds_load_b64 v[42:43], v49 offset:8336
	ds_load_b64 v[44:45], v50 offset:8320
	s_wait_dscnt 0x0
	v_fma_f64 v[42:43], v[42:43], v[44:45], 0
	s_and_saveexec_b32 s8, s13
	s_cbranch_execz .LBB31_309
; %bb.308:                              ;   in Loop: Header=BB31_3 Depth=1
	ds_load_b64 v[44:45], v51 offset:8848
	ds_load_b64 v[46:47], v1 offset:8328
	s_wait_dscnt 0x0
	v_fmac_f64_e32 v[42:43], v[44:45], v[46:47]
.LBB31_309:                             ;   in Loop: Header=BB31_3 Depth=1
	s_or_b32 exec_lo, exec_lo, s8
	s_delay_alu instid0(VALU_DEP_1)
	v_xor_b32_e32 v43, 0x80000000, v43
.LBB31_310:                             ;   in Loop: Header=BB31_3 Depth=1
	s_or_b32 exec_lo, exec_lo, s94
	s_and_saveexec_b32 s8, s103
; %bb.311:                              ;   in Loop: Header=BB31_3 Depth=1
	ds_store_b64 v48, v[42:43]
; %bb.312:                              ;   in Loop: Header=BB31_3 Depth=1
	s_or_b32 exec_lo, exec_lo, s8
	s_wait_dscnt 0x0
	s_barrier_signal -1
	s_barrier_wait -1
	s_and_saveexec_b32 s8, s104
	s_cbranch_execz .LBB31_314
; %bb.313:                              ;   in Loop: Header=BB31_3 Depth=1
	ds_load_b64 v[44:45], v1 offset:9368
	ds_load_b64 v[46:47], v48
	s_wait_dscnt 0x0
	v_fmac_f64_e32 v[42:43], v[44:45], v[46:47]
.LBB31_314:                             ;   in Loop: Header=BB31_3 Depth=1
	s_or_b32 exec_lo, exec_lo, s8
	s_barrier_signal -1
	s_barrier_wait -1
	s_and_saveexec_b32 s8, s104
; %bb.315:                              ;   in Loop: Header=BB31_3 Depth=1
	ds_store_b64 v48, v[42:43]
; %bb.316:                              ;   in Loop: Header=BB31_3 Depth=1
	s_or_b32 exec_lo, exec_lo, s8
	s_wait_dscnt 0x0
	s_barrier_signal -1
	s_barrier_wait -1
	s_barrier_signal -1
	s_barrier_wait -1
	s_and_saveexec_b32 s8, s3
; %bb.317:                              ;   in Loop: Header=BB31_3 Depth=1
	v_xor_b32_e32 v43, 0x80000000, v43
	ds_store_b64 v49, v[42:43] offset:8336
; %bb.318:                              ;   in Loop: Header=BB31_3 Depth=1
	s_or_b32 exec_lo, exec_lo, s8
	s_wait_dscnt 0x0
	s_barrier_signal -1
	s_barrier_wait -1
	s_barrier_signal -1
	s_barrier_wait -1
	s_and_saveexec_b32 s8, s12
; %bb.319:                              ;   in Loop: Header=BB31_3 Depth=1
	v_add_nc_u32_e64 v0, 0x2000, 0
	ds_store_2addr_b64 v0, v[30:31], v[30:31] offset0:146 offset1:211
; %bb.320:                              ;   in Loop: Header=BB31_3 Depth=1
	s_or_b32 exec_lo, exec_lo, s8
	v_mov_b64_e32 v[42:43], 0
	s_wait_dscnt 0x0
	s_barrier_signal -1
	s_barrier_wait -1
	s_and_saveexec_b32 s94, s4
	s_cbranch_execz .LBB31_326
; %bb.321:                              ;   in Loop: Header=BB31_3 Depth=1
	ds_load_b64 v[42:43], v55 offset:8352
	ds_load_b64 v[44:45], v53 offset:8320
	s_wait_dscnt 0x0
	v_fma_f64 v[42:43], v[42:43], v[44:45], 0
	s_and_saveexec_b32 s8, s14
	s_cbranch_execnz .LBB31_1018
; %bb.322:                              ;   in Loop: Header=BB31_3 Depth=1
	s_or_b32 exec_lo, exec_lo, s8
	s_and_saveexec_b32 s8, s15
	s_cbranch_execnz .LBB31_1019
.LBB31_323:                             ;   in Loop: Header=BB31_3 Depth=1
	s_or_b32 exec_lo, exec_lo, s8
	s_and_saveexec_b32 s8, s3
	s_cbranch_execz .LBB31_325
.LBB31_324:                             ;   in Loop: Header=BB31_3 Depth=1
	ds_load_b64 v[44:45], v51 offset:9888
	ds_load_b64 v[46:47], v1 offset:8344
	s_wait_dscnt 0x0
	v_fmac_f64_e32 v[42:43], v[44:45], v[46:47]
.LBB31_325:                             ;   in Loop: Header=BB31_3 Depth=1
	s_or_b32 exec_lo, exec_lo, s8
	s_delay_alu instid0(VALU_DEP_1)
	v_xor_b32_e32 v43, 0x80000000, v43
.LBB31_326:                             ;   in Loop: Header=BB31_3 Depth=1
	s_or_b32 exec_lo, exec_lo, s94
	s_and_saveexec_b32 s8, vcc_hi
; %bb.327:                              ;   in Loop: Header=BB31_3 Depth=1
	ds_store_b64 v54, v[42:43]
; %bb.328:                              ;   in Loop: Header=BB31_3 Depth=1
	s_or_b32 exec_lo, exec_lo, s8
	s_wait_dscnt 0x0
	s_barrier_signal -1
	s_barrier_wait -1
	s_and_saveexec_b32 s8, s34
	s_cbranch_execz .LBB31_330
; %bb.329:                              ;   in Loop: Header=BB31_3 Depth=1
	ds_load_b64 v[44:45], v52 offset:10400
	ds_load_b64 v[46:47], v54
	s_wait_dscnt 0x0
	v_fmac_f64_e32 v[42:43], v[44:45], v[46:47]
.LBB31_330:                             ;   in Loop: Header=BB31_3 Depth=1
	s_or_b32 exec_lo, exec_lo, s8
	s_barrier_signal -1
	s_barrier_wait -1
	s_and_saveexec_b32 s8, s35
; %bb.331:                              ;   in Loop: Header=BB31_3 Depth=1
	ds_store_b64 v54, v[42:43]
; %bb.332:                              ;   in Loop: Header=BB31_3 Depth=1
	s_or_b32 exec_lo, exec_lo, s8
	s_wait_dscnt 0x0
	s_barrier_signal -1
	s_barrier_wait -1
	s_and_saveexec_b32 s8, s36
	s_cbranch_execz .LBB31_334
; %bb.333:                              ;   in Loop: Header=BB31_3 Depth=1
	ds_load_b64 v[44:45], v52 offset:10912
	ds_load_b64 v[46:47], v54
	s_wait_dscnt 0x0
	v_fmac_f64_e32 v[42:43], v[44:45], v[46:47]
.LBB31_334:                             ;   in Loop: Header=BB31_3 Depth=1
	s_or_b32 exec_lo, exec_lo, s8
	s_barrier_signal -1
	s_barrier_wait -1
	s_and_saveexec_b32 s8, s37
	;; [unrolled: 19-line block ×3, first 2 shown]
; %bb.339:                              ;   in Loop: Header=BB31_3 Depth=1
	ds_store_b64 v54, v[42:43]
; %bb.340:                              ;   in Loop: Header=BB31_3 Depth=1
	s_or_b32 exec_lo, exec_lo, s8
	s_wait_dscnt 0x0
	s_barrier_signal -1
	s_barrier_wait -1
	s_barrier_signal -1
	s_barrier_wait -1
	s_and_saveexec_b32 s8, s4
; %bb.341:                              ;   in Loop: Header=BB31_3 Depth=1
	v_xor_b32_e32 v43, 0x80000000, v43
	ds_store_b64 v55, v[42:43] offset:8352
; %bb.342:                              ;   in Loop: Header=BB31_3 Depth=1
	s_or_b32 exec_lo, exec_lo, s8
	s_wait_dscnt 0x0
	s_barrier_signal -1
	s_barrier_wait -1
	s_barrier_signal -1
	s_barrier_wait -1
	s_and_saveexec_b32 s8, s12
; %bb.343:                              ;   in Loop: Header=BB31_3 Depth=1
	v_add_nc_u32_e64 v0, 0x2800, 0
	ds_store_2addr_b64 v0, v[30:31], v[30:31] offset0:20 offset1:85
; %bb.344:                              ;   in Loop: Header=BB31_3 Depth=1
	s_or_b32 exec_lo, exec_lo, s8
	v_mov_b64_e32 v[42:43], 0
	s_wait_dscnt 0x0
	s_barrier_signal -1
	s_barrier_wait -1
	s_and_saveexec_b32 s94, s3
	s_cbranch_execz .LBB31_348
; %bb.345:                              ;   in Loop: Header=BB31_3 Depth=1
	ds_load_b64 v[42:43], v49 offset:10416
	ds_load_b64 v[44:45], v50 offset:10400
	s_wait_dscnt 0x0
	v_fma_f64 v[42:43], v[42:43], v[44:45], 0
	s_and_saveexec_b32 s8, s13
	s_cbranch_execz .LBB31_347
; %bb.346:                              ;   in Loop: Header=BB31_3 Depth=1
	ds_load_b64 v[44:45], v51 offset:10928
	ds_load_b64 v[46:47], v1 offset:10408
	s_wait_dscnt 0x0
	v_fmac_f64_e32 v[42:43], v[44:45], v[46:47]
.LBB31_347:                             ;   in Loop: Header=BB31_3 Depth=1
	s_or_b32 exec_lo, exec_lo, s8
	s_delay_alu instid0(VALU_DEP_1)
	v_xor_b32_e32 v43, 0x80000000, v43
.LBB31_348:                             ;   in Loop: Header=BB31_3 Depth=1
	s_or_b32 exec_lo, exec_lo, s94
	s_and_saveexec_b32 s8, s103
; %bb.349:                              ;   in Loop: Header=BB31_3 Depth=1
	ds_store_b64 v48, v[42:43]
; %bb.350:                              ;   in Loop: Header=BB31_3 Depth=1
	s_or_b32 exec_lo, exec_lo, s8
	s_wait_dscnt 0x0
	s_barrier_signal -1
	s_barrier_wait -1
	s_and_saveexec_b32 s8, s104
	s_cbranch_execz .LBB31_352
; %bb.351:                              ;   in Loop: Header=BB31_3 Depth=1
	ds_load_b64 v[44:45], v1 offset:11448
	ds_load_b64 v[46:47], v48
	s_wait_dscnt 0x0
	v_fmac_f64_e32 v[42:43], v[44:45], v[46:47]
.LBB31_352:                             ;   in Loop: Header=BB31_3 Depth=1
	s_or_b32 exec_lo, exec_lo, s8
	s_barrier_signal -1
	s_barrier_wait -1
	s_and_saveexec_b32 s8, s104
; %bb.353:                              ;   in Loop: Header=BB31_3 Depth=1
	ds_store_b64 v48, v[42:43]
; %bb.354:                              ;   in Loop: Header=BB31_3 Depth=1
	s_or_b32 exec_lo, exec_lo, s8
	s_wait_dscnt 0x0
	s_barrier_signal -1
	s_barrier_wait -1
	s_barrier_signal -1
	s_barrier_wait -1
	s_and_saveexec_b32 s8, s3
; %bb.355:                              ;   in Loop: Header=BB31_3 Depth=1
	v_xor_b32_e32 v43, 0x80000000, v43
	ds_store_b64 v49, v[42:43] offset:10416
; %bb.356:                              ;   in Loop: Header=BB31_3 Depth=1
	s_or_b32 exec_lo, exec_lo, s8
	s_wait_dscnt 0x0
	s_barrier_signal -1
	s_barrier_wait -1
	s_barrier_signal -1
	s_barrier_wait -1
	s_and_saveexec_b32 s8, s12
; %bb.357:                              ;   in Loop: Header=BB31_3 Depth=1
	v_add_nc_u32_e64 v0, 0x2800, 0
	ds_store_2addr_b64 v0, v[30:31], v[30:31] offset0:150 offset1:215
; %bb.358:                              ;   in Loop: Header=BB31_3 Depth=1
	s_or_b32 exec_lo, exec_lo, s8
	v_mov_b64_e32 v[42:43], 0
	s_wait_dscnt 0x0
	s_barrier_signal -1
	s_barrier_wait -1
	s_and_saveexec_b32 s94, s5
	s_cbranch_execz .LBB31_368
; %bb.359:                              ;   in Loop: Header=BB31_3 Depth=1
	ds_load_b64 v[42:43], v60 offset:8384
	ds_load_b64 v[44:45], v57 offset:8320
	s_wait_dscnt 0x0
	v_fma_f64 v[42:43], v[42:43], v[44:45], 0
	s_and_saveexec_b32 s8, s16
	s_cbranch_execnz .LBB31_1020
; %bb.360:                              ;   in Loop: Header=BB31_3 Depth=1
	s_or_b32 exec_lo, exec_lo, s8
	s_and_saveexec_b32 s8, s17
	s_cbranch_execnz .LBB31_1021
.LBB31_361:                             ;   in Loop: Header=BB31_3 Depth=1
	s_or_b32 exec_lo, exec_lo, s8
	s_and_saveexec_b32 s8, s18
	s_cbranch_execnz .LBB31_1022
.LBB31_362:                             ;   in Loop: Header=BB31_3 Depth=1
	s_or_b32 exec_lo, exec_lo, s8
	s_and_saveexec_b32 s8, s19
	s_cbranch_execnz .LBB31_1023
.LBB31_363:                             ;   in Loop: Header=BB31_3 Depth=1
	s_or_b32 exec_lo, exec_lo, s8
	s_and_saveexec_b32 s8, s20
	s_cbranch_execnz .LBB31_1024
.LBB31_364:                             ;   in Loop: Header=BB31_3 Depth=1
	s_or_b32 exec_lo, exec_lo, s8
	s_and_saveexec_b32 s8, s4
	s_cbranch_execnz .LBB31_1025
.LBB31_365:                             ;   in Loop: Header=BB31_3 Depth=1
	s_or_b32 exec_lo, exec_lo, s8
	s_and_saveexec_b32 s8, s15
	s_cbranch_execz .LBB31_367
.LBB31_366:                             ;   in Loop: Header=BB31_3 Depth=1
	ds_load_b64 v[44:45], v51 offset:11968
	ds_load_b64 v[46:47], v1 offset:8376
	s_wait_dscnt 0x0
	v_fmac_f64_e32 v[42:43], v[44:45], v[46:47]
.LBB31_367:                             ;   in Loop: Header=BB31_3 Depth=1
	s_or_b32 exec_lo, exec_lo, s8
	s_delay_alu instid0(VALU_DEP_1)
	v_xor_b32_e32 v43, 0x80000000, v43
.LBB31_368:                             ;   in Loop: Header=BB31_3 Depth=1
	s_or_b32 exec_lo, exec_lo, s94
	s_and_saveexec_b32 s8, s39
; %bb.369:                              ;   in Loop: Header=BB31_3 Depth=1
	ds_store_b64 v59, v[42:43]
; %bb.370:                              ;   in Loop: Header=BB31_3 Depth=1
	s_or_b32 exec_lo, exec_lo, s8
	s_wait_dscnt 0x0
	s_barrier_signal -1
	s_barrier_wait -1
	s_and_saveexec_b32 s8, s40
	s_cbranch_execz .LBB31_372
; %bb.371:                              ;   in Loop: Header=BB31_3 Depth=1
	ds_load_b64 v[44:45], v58 offset:12480
	ds_load_b64 v[46:47], v59
	s_wait_dscnt 0x0
	v_fmac_f64_e32 v[42:43], v[44:45], v[46:47]
.LBB31_372:                             ;   in Loop: Header=BB31_3 Depth=1
	s_or_b32 exec_lo, exec_lo, s8
	s_barrier_signal -1
	s_barrier_wait -1
	s_and_saveexec_b32 s8, s41
; %bb.373:                              ;   in Loop: Header=BB31_3 Depth=1
	ds_store_b64 v59, v[42:43]
; %bb.374:                              ;   in Loop: Header=BB31_3 Depth=1
	s_or_b32 exec_lo, exec_lo, s8
	s_wait_dscnt 0x0
	s_barrier_signal -1
	s_barrier_wait -1
	s_and_saveexec_b32 s8, s42
	s_cbranch_execz .LBB31_376
; %bb.375:                              ;   in Loop: Header=BB31_3 Depth=1
	ds_load_b64 v[44:45], v58 offset:12992
	ds_load_b64 v[46:47], v59
	s_wait_dscnt 0x0
	v_fmac_f64_e32 v[42:43], v[44:45], v[46:47]
.LBB31_376:                             ;   in Loop: Header=BB31_3 Depth=1
	s_or_b32 exec_lo, exec_lo, s8
	s_barrier_signal -1
	s_barrier_wait -1
	;; [unrolled: 19-line block ×7, first 2 shown]
	s_and_saveexec_b32 s8, s52
; %bb.397:                              ;   in Loop: Header=BB31_3 Depth=1
	ds_store_b64 v59, v[42:43]
; %bb.398:                              ;   in Loop: Header=BB31_3 Depth=1
	s_or_b32 exec_lo, exec_lo, s8
	s_wait_dscnt 0x0
	s_barrier_signal -1
	s_barrier_wait -1
	s_barrier_signal -1
	s_barrier_wait -1
	s_and_saveexec_b32 s8, s5
; %bb.399:                              ;   in Loop: Header=BB31_3 Depth=1
	v_xor_b32_e32 v43, 0x80000000, v43
	ds_store_b64 v60, v[42:43] offset:8384
; %bb.400:                              ;   in Loop: Header=BB31_3 Depth=1
	s_or_b32 exec_lo, exec_lo, s8
	s_wait_dscnt 0x0
	s_barrier_signal -1
	s_barrier_wait -1
	s_barrier_signal -1
	s_barrier_wait -1
	s_and_saveexec_b32 s8, s12
; %bb.401:                              ;   in Loop: Header=BB31_3 Depth=1
	v_add_nc_u32_e64 v0, 0x3000, 0
	ds_store_2addr_b64 v0, v[30:31], v[30:31] offset0:24 offset1:89
; %bb.402:                              ;   in Loop: Header=BB31_3 Depth=1
	s_or_b32 exec_lo, exec_lo, s8
	v_mov_b64_e32 v[42:43], 0
	s_wait_dscnt 0x0
	s_barrier_signal -1
	s_barrier_wait -1
	s_and_saveexec_b32 s94, s3
	s_cbranch_execz .LBB31_406
; %bb.403:                              ;   in Loop: Header=BB31_3 Depth=1
	ds_load_b64 v[42:43], v49 offset:12496
	ds_load_b64 v[44:45], v50 offset:12480
	s_wait_dscnt 0x0
	v_fma_f64 v[42:43], v[42:43], v[44:45], 0
	s_and_saveexec_b32 s8, s13
	s_cbranch_execz .LBB31_405
; %bb.404:                              ;   in Loop: Header=BB31_3 Depth=1
	ds_load_b64 v[44:45], v51 offset:13008
	ds_load_b64 v[46:47], v1 offset:12488
	s_wait_dscnt 0x0
	v_fmac_f64_e32 v[42:43], v[44:45], v[46:47]
.LBB31_405:                             ;   in Loop: Header=BB31_3 Depth=1
	s_or_b32 exec_lo, exec_lo, s8
	s_delay_alu instid0(VALU_DEP_1)
	v_xor_b32_e32 v43, 0x80000000, v43
.LBB31_406:                             ;   in Loop: Header=BB31_3 Depth=1
	s_or_b32 exec_lo, exec_lo, s94
	s_and_saveexec_b32 s8, s103
; %bb.407:                              ;   in Loop: Header=BB31_3 Depth=1
	ds_store_b64 v48, v[42:43]
; %bb.408:                              ;   in Loop: Header=BB31_3 Depth=1
	s_or_b32 exec_lo, exec_lo, s8
	s_wait_dscnt 0x0
	s_barrier_signal -1
	s_barrier_wait -1
	s_and_saveexec_b32 s8, s104
	s_cbranch_execz .LBB31_410
; %bb.409:                              ;   in Loop: Header=BB31_3 Depth=1
	ds_load_b64 v[44:45], v1 offset:13528
	ds_load_b64 v[46:47], v48
	s_wait_dscnt 0x0
	v_fmac_f64_e32 v[42:43], v[44:45], v[46:47]
.LBB31_410:                             ;   in Loop: Header=BB31_3 Depth=1
	s_or_b32 exec_lo, exec_lo, s8
	s_barrier_signal -1
	s_barrier_wait -1
	s_and_saveexec_b32 s8, s104
; %bb.411:                              ;   in Loop: Header=BB31_3 Depth=1
	ds_store_b64 v48, v[42:43]
; %bb.412:                              ;   in Loop: Header=BB31_3 Depth=1
	s_or_b32 exec_lo, exec_lo, s8
	s_wait_dscnt 0x0
	s_barrier_signal -1
	s_barrier_wait -1
	s_barrier_signal -1
	s_barrier_wait -1
	s_and_saveexec_b32 s8, s3
; %bb.413:                              ;   in Loop: Header=BB31_3 Depth=1
	v_xor_b32_e32 v43, 0x80000000, v43
	ds_store_b64 v49, v[42:43] offset:12496
; %bb.414:                              ;   in Loop: Header=BB31_3 Depth=1
	s_or_b32 exec_lo, exec_lo, s8
	s_wait_dscnt 0x0
	s_barrier_signal -1
	s_barrier_wait -1
	s_barrier_signal -1
	s_barrier_wait -1
	s_and_saveexec_b32 s8, s12
; %bb.415:                              ;   in Loop: Header=BB31_3 Depth=1
	v_add_nc_u32_e64 v0, 0x3000, 0
	ds_store_2addr_b64 v0, v[30:31], v[30:31] offset0:154 offset1:219
; %bb.416:                              ;   in Loop: Header=BB31_3 Depth=1
	s_or_b32 exec_lo, exec_lo, s8
	v_mov_b64_e32 v[42:43], 0
	s_wait_dscnt 0x0
	s_barrier_signal -1
	s_barrier_wait -1
	s_and_saveexec_b32 s94, s4
	s_cbranch_execz .LBB31_422
; %bb.417:                              ;   in Loop: Header=BB31_3 Depth=1
	ds_load_b64 v[42:43], v55 offset:12512
	ds_load_b64 v[44:45], v53 offset:12480
	s_wait_dscnt 0x0
	v_fma_f64 v[42:43], v[42:43], v[44:45], 0
	s_and_saveexec_b32 s8, s14
	s_cbranch_execnz .LBB31_1026
; %bb.418:                              ;   in Loop: Header=BB31_3 Depth=1
	s_or_b32 exec_lo, exec_lo, s8
	s_and_saveexec_b32 s8, s15
	s_cbranch_execnz .LBB31_1027
.LBB31_419:                             ;   in Loop: Header=BB31_3 Depth=1
	s_or_b32 exec_lo, exec_lo, s8
	s_and_saveexec_b32 s8, s3
	s_cbranch_execz .LBB31_421
.LBB31_420:                             ;   in Loop: Header=BB31_3 Depth=1
	ds_load_b64 v[44:45], v51 offset:14048
	ds_load_b64 v[46:47], v1 offset:12504
	s_wait_dscnt 0x0
	v_fmac_f64_e32 v[42:43], v[44:45], v[46:47]
.LBB31_421:                             ;   in Loop: Header=BB31_3 Depth=1
	s_or_b32 exec_lo, exec_lo, s8
	s_delay_alu instid0(VALU_DEP_1)
	v_xor_b32_e32 v43, 0x80000000, v43
.LBB31_422:                             ;   in Loop: Header=BB31_3 Depth=1
	s_or_b32 exec_lo, exec_lo, s94
	s_and_saveexec_b32 s8, vcc_hi
; %bb.423:                              ;   in Loop: Header=BB31_3 Depth=1
	ds_store_b64 v54, v[42:43]
; %bb.424:                              ;   in Loop: Header=BB31_3 Depth=1
	s_or_b32 exec_lo, exec_lo, s8
	s_wait_dscnt 0x0
	s_barrier_signal -1
	s_barrier_wait -1
	s_and_saveexec_b32 s8, s34
	s_cbranch_execz .LBB31_426
; %bb.425:                              ;   in Loop: Header=BB31_3 Depth=1
	ds_load_b64 v[44:45], v52 offset:14560
	ds_load_b64 v[46:47], v54
	s_wait_dscnt 0x0
	v_fmac_f64_e32 v[42:43], v[44:45], v[46:47]
.LBB31_426:                             ;   in Loop: Header=BB31_3 Depth=1
	s_or_b32 exec_lo, exec_lo, s8
	s_barrier_signal -1
	s_barrier_wait -1
	s_and_saveexec_b32 s8, s35
; %bb.427:                              ;   in Loop: Header=BB31_3 Depth=1
	ds_store_b64 v54, v[42:43]
; %bb.428:                              ;   in Loop: Header=BB31_3 Depth=1
	s_or_b32 exec_lo, exec_lo, s8
	s_wait_dscnt 0x0
	s_barrier_signal -1
	s_barrier_wait -1
	s_and_saveexec_b32 s8, s36
	s_cbranch_execz .LBB31_430
; %bb.429:                              ;   in Loop: Header=BB31_3 Depth=1
	ds_load_b64 v[44:45], v52 offset:15072
	ds_load_b64 v[46:47], v54
	s_wait_dscnt 0x0
	v_fmac_f64_e32 v[42:43], v[44:45], v[46:47]
.LBB31_430:                             ;   in Loop: Header=BB31_3 Depth=1
	s_or_b32 exec_lo, exec_lo, s8
	s_barrier_signal -1
	s_barrier_wait -1
	s_and_saveexec_b32 s8, s37
	;; [unrolled: 19-line block ×3, first 2 shown]
; %bb.435:                              ;   in Loop: Header=BB31_3 Depth=1
	ds_store_b64 v54, v[42:43]
; %bb.436:                              ;   in Loop: Header=BB31_3 Depth=1
	s_or_b32 exec_lo, exec_lo, s8
	s_wait_dscnt 0x0
	s_barrier_signal -1
	s_barrier_wait -1
	s_barrier_signal -1
	s_barrier_wait -1
	s_and_saveexec_b32 s8, s4
; %bb.437:                              ;   in Loop: Header=BB31_3 Depth=1
	v_xor_b32_e32 v43, 0x80000000, v43
	ds_store_b64 v55, v[42:43] offset:12512
; %bb.438:                              ;   in Loop: Header=BB31_3 Depth=1
	s_or_b32 exec_lo, exec_lo, s8
	s_wait_dscnt 0x0
	s_barrier_signal -1
	s_barrier_wait -1
	s_barrier_signal -1
	s_barrier_wait -1
	s_and_saveexec_b32 s8, s12
; %bb.439:                              ;   in Loop: Header=BB31_3 Depth=1
	v_add_nc_u32_e64 v0, 0x3800, 0
	ds_store_2addr_b64 v0, v[30:31], v[30:31] offset0:28 offset1:93
; %bb.440:                              ;   in Loop: Header=BB31_3 Depth=1
	s_or_b32 exec_lo, exec_lo, s8
	v_mov_b64_e32 v[42:43], 0
	s_wait_dscnt 0x0
	s_barrier_signal -1
	s_barrier_wait -1
	s_and_saveexec_b32 s94, s3
	s_cbranch_execz .LBB31_444
; %bb.441:                              ;   in Loop: Header=BB31_3 Depth=1
	ds_load_b64 v[42:43], v49 offset:14576
	ds_load_b64 v[44:45], v50 offset:14560
	s_wait_dscnt 0x0
	v_fma_f64 v[42:43], v[42:43], v[44:45], 0
	s_and_saveexec_b32 s8, s13
	s_cbranch_execz .LBB31_443
; %bb.442:                              ;   in Loop: Header=BB31_3 Depth=1
	ds_load_b64 v[44:45], v51 offset:15088
	ds_load_b64 v[46:47], v1 offset:14568
	s_wait_dscnt 0x0
	v_fmac_f64_e32 v[42:43], v[44:45], v[46:47]
.LBB31_443:                             ;   in Loop: Header=BB31_3 Depth=1
	s_or_b32 exec_lo, exec_lo, s8
	s_delay_alu instid0(VALU_DEP_1)
	v_xor_b32_e32 v43, 0x80000000, v43
.LBB31_444:                             ;   in Loop: Header=BB31_3 Depth=1
	s_or_b32 exec_lo, exec_lo, s94
	s_and_saveexec_b32 s8, s103
; %bb.445:                              ;   in Loop: Header=BB31_3 Depth=1
	ds_store_b64 v48, v[42:43]
; %bb.446:                              ;   in Loop: Header=BB31_3 Depth=1
	s_or_b32 exec_lo, exec_lo, s8
	s_wait_dscnt 0x0
	s_barrier_signal -1
	s_barrier_wait -1
	s_and_saveexec_b32 s8, s104
	s_cbranch_execz .LBB31_448
; %bb.447:                              ;   in Loop: Header=BB31_3 Depth=1
	ds_load_b64 v[44:45], v1 offset:15608
	ds_load_b64 v[46:47], v48
	s_wait_dscnt 0x0
	v_fmac_f64_e32 v[42:43], v[44:45], v[46:47]
.LBB31_448:                             ;   in Loop: Header=BB31_3 Depth=1
	s_or_b32 exec_lo, exec_lo, s8
	s_barrier_signal -1
	s_barrier_wait -1
	s_and_saveexec_b32 s8, s104
; %bb.449:                              ;   in Loop: Header=BB31_3 Depth=1
	ds_store_b64 v48, v[42:43]
; %bb.450:                              ;   in Loop: Header=BB31_3 Depth=1
	s_or_b32 exec_lo, exec_lo, s8
	s_wait_dscnt 0x0
	s_barrier_signal -1
	s_barrier_wait -1
	s_barrier_signal -1
	s_barrier_wait -1
	s_and_saveexec_b32 s8, s3
; %bb.451:                              ;   in Loop: Header=BB31_3 Depth=1
	v_xor_b32_e32 v43, 0x80000000, v43
	ds_store_b64 v49, v[42:43] offset:14576
; %bb.452:                              ;   in Loop: Header=BB31_3 Depth=1
	s_or_b32 exec_lo, exec_lo, s8
	s_wait_dscnt 0x0
	s_barrier_signal -1
	s_barrier_wait -1
	s_barrier_signal -1
	s_barrier_wait -1
	s_and_saveexec_b32 s8, s12
; %bb.453:                              ;   in Loop: Header=BB31_3 Depth=1
	v_add_nc_u32_e64 v0, 0x3800, 0
	ds_store_2addr_b64 v0, v[30:31], v[30:31] offset0:158 offset1:223
; %bb.454:                              ;   in Loop: Header=BB31_3 Depth=1
	s_or_b32 exec_lo, exec_lo, s8
	v_mov_b64_e32 v[42:43], 0
	s_wait_dscnt 0x0
	s_barrier_signal -1
	s_barrier_wait -1
	s_and_saveexec_b32 s94, s33
	s_cbranch_execz .LBB31_515
; %bb.455:                              ;   in Loop: Header=BB31_3 Depth=1
	v_add_nc_u32_e32 v0, v69, v68
	ds_load_b64 v[42:43], v71 offset:256
	ds_load_b64 v[44:45], v0
	s_wait_dscnt 0x0
	v_fma_f64 v[42:43], v[42:43], v[44:45], 0
	s_mov_b32 s8, exec_lo
	v_readlane_b32 s9, v84, 1
	s_and_b32 s9, s8, s9
	s_delay_alu instid0(SALU_CYCLE_1)
	s_mov_b32 exec_lo, s9
	s_cbranch_execz .LBB31_457
; %bb.456:                              ;   in Loop: Header=BB31_3 Depth=1
	ds_load_b64 v[44:45], v71 offset:768
	ds_load_b64 v[46:47], v0 offset:8
	s_wait_dscnt 0x0
	v_fmac_f64_e32 v[42:43], v[44:45], v[46:47]
.LBB31_457:                             ;   in Loop: Header=BB31_3 Depth=1
	s_or_b32 exec_lo, exec_lo, s8
	s_delay_alu instid0(SALU_CYCLE_1) | instskip(SKIP_2) | instid1(SALU_CYCLE_1)
	s_mov_b32 s8, exec_lo
	v_readlane_b32 s9, v84, 2
	s_and_b32 s9, s8, s9
	s_mov_b32 exec_lo, s9
	s_cbranch_execz .LBB31_459
; %bb.458:                              ;   in Loop: Header=BB31_3 Depth=1
	ds_load_b64 v[44:45], v71 offset:1280
	ds_load_b64 v[46:47], v0 offset:16
	s_wait_dscnt 0x0
	v_fmac_f64_e32 v[42:43], v[44:45], v[46:47]
.LBB31_459:                             ;   in Loop: Header=BB31_3 Depth=1
	s_or_b32 exec_lo, exec_lo, s8
	s_delay_alu instid0(SALU_CYCLE_1) | instskip(SKIP_2) | instid1(SALU_CYCLE_1)
	s_mov_b32 s8, exec_lo
	v_readlane_b32 s9, v84, 3
	s_and_b32 s9, s8, s9
	;; [unrolled: 13-line block ×22, first 2 shown]
	s_mov_b32 exec_lo, s9
	s_cbranch_execz .LBB31_501
; %bb.500:                              ;   in Loop: Header=BB31_3 Depth=1
	ds_load_b64 v[44:45], v71 offset:12032
	ds_load_b64 v[46:47], v0 offset:184
	s_wait_dscnt 0x0
	v_fmac_f64_e32 v[42:43], v[44:45], v[46:47]
.LBB31_501:                             ;   in Loop: Header=BB31_3 Depth=1
	s_or_b32 exec_lo, exec_lo, s8
	s_and_saveexec_b32 s8, s6
	s_cbranch_execz .LBB31_503
; %bb.502:                              ;   in Loop: Header=BB31_3 Depth=1
	ds_load_b64 v[44:45], v71 offset:12544
	ds_load_b64 v[46:47], v0 offset:192
	s_wait_dscnt 0x0
	v_fmac_f64_e32 v[42:43], v[44:45], v[46:47]
.LBB31_503:                             ;   in Loop: Header=BB31_3 Depth=1
	s_or_b32 exec_lo, exec_lo, s8
	s_delay_alu instid0(SALU_CYCLE_1) | instskip(SKIP_2) | instid1(SALU_CYCLE_1)
	s_mov_b32 s8, exec_lo
	v_readlane_b32 s9, v85, 24
	s_and_b32 s9, s8, s9
	s_mov_b32 exec_lo, s9
	s_cbranch_execz .LBB31_505
; %bb.504:                              ;   in Loop: Header=BB31_3 Depth=1
	ds_load_b64 v[44:45], v71 offset:13056
	ds_load_b64 v[46:47], v0 offset:200
	s_wait_dscnt 0x0
	v_fmac_f64_e32 v[42:43], v[44:45], v[46:47]
.LBB31_505:                             ;   in Loop: Header=BB31_3 Depth=1
	s_or_b32 exec_lo, exec_lo, s8
	s_delay_alu instid0(SALU_CYCLE_1) | instskip(SKIP_2) | instid1(SALU_CYCLE_1)
	s_mov_b32 s8, exec_lo
	v_readlane_b32 s9, v85, 26
	s_and_b32 s9, s8, s9
	s_mov_b32 exec_lo, s9
	;; [unrolled: 13-line block ×4, first 2 shown]
	s_cbranch_execnz .LBB31_1028
; %bb.510:                              ;   in Loop: Header=BB31_3 Depth=1
	s_or_b32 exec_lo, exec_lo, s8
	s_and_saveexec_b32 s8, s10
	s_cbranch_execnz .LBB31_1029
.LBB31_511:                             ;   in Loop: Header=BB31_3 Depth=1
	s_or_b32 exec_lo, exec_lo, s8
	s_and_saveexec_b32 s8, s5
	s_cbranch_execnz .LBB31_1030
.LBB31_512:                             ;   in Loop: Header=BB31_3 Depth=1
	s_or_b32 exec_lo, exec_lo, s8
	s_and_saveexec_b32 s8, s19
	s_cbranch_execz .LBB31_514
.LBB31_513:                             ;   in Loop: Header=BB31_3 Depth=1
	ds_load_b64 v[44:45], v51 offset:16128
	ds_load_b64 v[46:47], v1 offset:248
	s_wait_dscnt 0x0
	v_fmac_f64_e32 v[42:43], v[44:45], v[46:47]
.LBB31_514:                             ;   in Loop: Header=BB31_3 Depth=1
	s_or_b32 exec_lo, exec_lo, s8
	s_delay_alu instid0(VALU_DEP_1)
	v_xor_b32_e32 v43, 0x80000000, v43
.LBB31_515:                             ;   in Loop: Header=BB31_3 Depth=1
	s_or_b32 exec_lo, exec_lo, s94
	v_dual_mov_b32 v0, v67 :: v_dual_mov_b32 v44, v79
	s_mov_b32 s94, 0
	s_branch .LBB31_517
.LBB31_516:                             ;   in Loop: Header=BB31_517 Depth=2
	s_or_b32 exec_lo, exec_lo, s8
	v_add_nc_u32_e32 v44, 0x800, v44
	v_add_nc_u32_e32 v0, -4, v0
	s_add_co_i32 s94, s94, 4
	s_delay_alu instid0(SALU_CYCLE_1)
	s_cmp_eq_u32 s94, 32
	s_barrier_signal -1
	s_barrier_wait -1
	s_cbranch_scc1 .LBB31_533
.LBB31_517:                             ;   Parent Loop BB31_3 Depth=1
                                        ; =>  This Inner Loop Header: Depth=2
	s_delay_alu instid0(VALU_DEP_1) | instskip(SKIP_1) | instid1(SALU_CYCLE_1)
	v_cmp_eq_u32_e32 vcc_lo, 0, v0
	s_and_b32 s9, s11, vcc_lo
	s_and_saveexec_b32 s8, s9
; %bb.518:                              ;   in Loop: Header=BB31_517 Depth=2
	ds_store_b64 v70, v[42:43]
; %bb.519:                              ;   in Loop: Header=BB31_517 Depth=2
	s_or_b32 exec_lo, exec_lo, s8
	v_cmp_lt_u32_e32 vcc_lo, s94, v67
	s_wait_dscnt 0x0
	s_barrier_signal -1
	s_barrier_wait -1
	s_and_b32 s9, s11, vcc_lo
	s_delay_alu instid0(SALU_CYCLE_1)
	s_and_saveexec_b32 s8, s9
	s_cbranch_execz .LBB31_521
; %bb.520:                              ;   in Loop: Header=BB31_517 Depth=2
	ds_load_b64 v[46:47], v44
	ds_load_b64 v[80:81], v70
	s_wait_dscnt 0x0
	v_fmac_f64_e32 v[42:43], v[46:47], v[80:81]
.LBB31_521:                             ;   in Loop: Header=BB31_517 Depth=2
	s_or_b32 exec_lo, exec_lo, s8
	s_or_b32 s8, s94, 1
	s_delay_alu instid0(SALU_CYCLE_1) | instskip(SKIP_3) | instid1(SALU_CYCLE_1)
	v_cmp_eq_u32_e32 vcc_lo, s8, v67
	s_barrier_signal -1
	s_barrier_wait -1
	s_and_b32 s95, s11, vcc_lo
	s_and_saveexec_b32 s9, s95
; %bb.522:                              ;   in Loop: Header=BB31_517 Depth=2
	ds_store_b64 v70, v[42:43]
; %bb.523:                              ;   in Loop: Header=BB31_517 Depth=2
	s_or_b32 exec_lo, exec_lo, s9
	v_cmp_lt_u32_e32 vcc_lo, s8, v67
	s_wait_dscnt 0x0
	s_barrier_signal -1
	s_barrier_wait -1
	s_and_b32 s9, s11, vcc_lo
	s_delay_alu instid0(SALU_CYCLE_1)
	s_and_saveexec_b32 s8, s9
	s_cbranch_execz .LBB31_525
; %bb.524:                              ;   in Loop: Header=BB31_517 Depth=2
	ds_load_b64 v[46:47], v44 offset:512
	ds_load_b64 v[80:81], v70
	s_wait_dscnt 0x0
	v_fmac_f64_e32 v[42:43], v[46:47], v[80:81]
.LBB31_525:                             ;   in Loop: Header=BB31_517 Depth=2
	s_or_b32 exec_lo, exec_lo, s8
	s_or_b32 s8, s94, 2
	s_delay_alu instid0(SALU_CYCLE_1) | instskip(SKIP_3) | instid1(SALU_CYCLE_1)
	v_cmp_eq_u32_e32 vcc_lo, s8, v67
	s_barrier_signal -1
	s_barrier_wait -1
	s_and_b32 s95, s11, vcc_lo
	s_and_saveexec_b32 s9, s95
; %bb.526:                              ;   in Loop: Header=BB31_517 Depth=2
	ds_store_b64 v70, v[42:43]
; %bb.527:                              ;   in Loop: Header=BB31_517 Depth=2
	s_or_b32 exec_lo, exec_lo, s9
	v_cmp_lt_u32_e32 vcc_lo, s8, v67
	s_wait_dscnt 0x0
	s_barrier_signal -1
	s_barrier_wait -1
	s_and_b32 s9, s11, vcc_lo
	s_delay_alu instid0(SALU_CYCLE_1)
	s_and_saveexec_b32 s8, s9
	s_cbranch_execz .LBB31_529
; %bb.528:                              ;   in Loop: Header=BB31_517 Depth=2
	ds_load_b64 v[46:47], v44 offset:1024
	ds_load_b64 v[80:81], v70
	s_wait_dscnt 0x0
	v_fmac_f64_e32 v[42:43], v[46:47], v[80:81]
.LBB31_529:                             ;   in Loop: Header=BB31_517 Depth=2
	s_or_b32 exec_lo, exec_lo, s8
	s_or_b32 s8, s94, 3
	s_delay_alu instid0(SALU_CYCLE_1) | instskip(SKIP_3) | instid1(SALU_CYCLE_1)
	v_cmp_eq_u32_e32 vcc_lo, s8, v67
	s_barrier_signal -1
	s_barrier_wait -1
	s_and_b32 s95, s11, vcc_lo
	s_and_saveexec_b32 s9, s95
; %bb.530:                              ;   in Loop: Header=BB31_517 Depth=2
	ds_store_b64 v70, v[42:43]
; %bb.531:                              ;   in Loop: Header=BB31_517 Depth=2
	s_or_b32 exec_lo, exec_lo, s9
	v_cmp_lt_u32_e32 vcc_lo, s8, v67
	s_wait_dscnt 0x0
	s_barrier_signal -1
	s_barrier_wait -1
	s_and_b32 s9, s11, vcc_lo
	s_delay_alu instid0(SALU_CYCLE_1)
	s_and_saveexec_b32 s8, s9
	s_cbranch_execz .LBB31_516
; %bb.532:                              ;   in Loop: Header=BB31_517 Depth=2
	ds_load_b64 v[46:47], v44 offset:1536
	ds_load_b64 v[80:81], v70
	s_wait_dscnt 0x0
	v_fmac_f64_e32 v[42:43], v[46:47], v[80:81]
	s_branch .LBB31_516
.LBB31_533:                             ;   in Loop: Header=BB31_3 Depth=1
	s_and_saveexec_b32 s8, s33
; %bb.534:                              ;   in Loop: Header=BB31_3 Depth=1
	s_delay_alu instid0(VALU_DEP_3)
	v_xor_b32_e32 v43, 0x80000000, v43
	ds_store_b64 v71, v[42:43] offset:256
; %bb.535:                              ;   in Loop: Header=BB31_3 Depth=1
	s_or_b32 exec_lo, exec_lo, s8
	s_wait_dscnt 0x0
	s_barrier_signal -1
	s_barrier_wait -1
	s_barrier_signal -1
	s_barrier_wait -1
	s_and_saveexec_b32 s8, s12
; %bb.536:                              ;   in Loop: Header=BB31_3 Depth=1
	v_add_nc_u32_e64 v0, 0x4000, 0
	ds_store_2addr_b64 v0, v[30:31], v[30:31] offset0:32 offset1:97
; %bb.537:                              ;   in Loop: Header=BB31_3 Depth=1
	s_or_b32 exec_lo, exec_lo, s8
	v_mov_b64_e32 v[42:43], 0
	s_wait_dscnt 0x0
	s_barrier_signal -1
	s_barrier_wait -1
	s_and_saveexec_b32 s94, s3
	s_cbranch_execz .LBB31_541
; %bb.538:                              ;   in Loop: Header=BB31_3 Depth=1
	ds_load_b64 v[42:43], v49 offset:16656
	ds_load_b64 v[44:45], v50 offset:16640
	s_wait_dscnt 0x0
	v_fma_f64 v[42:43], v[42:43], v[44:45], 0
	s_and_saveexec_b32 s8, s13
	s_cbranch_execz .LBB31_540
; %bb.539:                              ;   in Loop: Header=BB31_3 Depth=1
	ds_load_b64 v[44:45], v51 offset:17168
	ds_load_b64 v[46:47], v1 offset:16648
	s_wait_dscnt 0x0
	v_fmac_f64_e32 v[42:43], v[44:45], v[46:47]
.LBB31_540:                             ;   in Loop: Header=BB31_3 Depth=1
	s_or_b32 exec_lo, exec_lo, s8
	s_delay_alu instid0(VALU_DEP_1)
	v_xor_b32_e32 v43, 0x80000000, v43
.LBB31_541:                             ;   in Loop: Header=BB31_3 Depth=1
	s_or_b32 exec_lo, exec_lo, s94
	s_and_saveexec_b32 s8, s103
; %bb.542:                              ;   in Loop: Header=BB31_3 Depth=1
	ds_store_b64 v48, v[42:43]
; %bb.543:                              ;   in Loop: Header=BB31_3 Depth=1
	s_or_b32 exec_lo, exec_lo, s8
	s_wait_dscnt 0x0
	s_barrier_signal -1
	s_barrier_wait -1
	s_and_saveexec_b32 s8, s104
	s_cbranch_execz .LBB31_545
; %bb.544:                              ;   in Loop: Header=BB31_3 Depth=1
	ds_load_b64 v[44:45], v1 offset:17688
	ds_load_b64 v[46:47], v48
	s_wait_dscnt 0x0
	v_fmac_f64_e32 v[42:43], v[44:45], v[46:47]
.LBB31_545:                             ;   in Loop: Header=BB31_3 Depth=1
	s_or_b32 exec_lo, exec_lo, s8
	s_barrier_signal -1
	s_barrier_wait -1
	s_and_saveexec_b32 s8, s104
; %bb.546:                              ;   in Loop: Header=BB31_3 Depth=1
	ds_store_b64 v48, v[42:43]
; %bb.547:                              ;   in Loop: Header=BB31_3 Depth=1
	s_or_b32 exec_lo, exec_lo, s8
	s_wait_dscnt 0x0
	s_barrier_signal -1
	s_barrier_wait -1
	s_barrier_signal -1
	s_barrier_wait -1
	s_and_saveexec_b32 s8, s3
; %bb.548:                              ;   in Loop: Header=BB31_3 Depth=1
	v_xor_b32_e32 v43, 0x80000000, v43
	ds_store_b64 v49, v[42:43] offset:16656
; %bb.549:                              ;   in Loop: Header=BB31_3 Depth=1
	s_or_b32 exec_lo, exec_lo, s8
	s_wait_dscnt 0x0
	s_barrier_signal -1
	s_barrier_wait -1
	s_barrier_signal -1
	s_barrier_wait -1
	s_and_saveexec_b32 s8, s12
; %bb.550:                              ;   in Loop: Header=BB31_3 Depth=1
	v_add_nc_u32_e64 v0, 0x4000, 0
	ds_store_2addr_b64 v0, v[30:31], v[30:31] offset0:162 offset1:227
; %bb.551:                              ;   in Loop: Header=BB31_3 Depth=1
	s_or_b32 exec_lo, exec_lo, s8
	v_mov_b64_e32 v[42:43], 0
	s_wait_dscnt 0x0
	s_barrier_signal -1
	s_barrier_wait -1
	s_and_saveexec_b32 s94, s4
	s_cbranch_execz .LBB31_557
; %bb.552:                              ;   in Loop: Header=BB31_3 Depth=1
	ds_load_b64 v[42:43], v55 offset:16672
	ds_load_b64 v[44:45], v53 offset:16640
	s_wait_dscnt 0x0
	v_fma_f64 v[42:43], v[42:43], v[44:45], 0
	s_and_saveexec_b32 s8, s14
	s_cbranch_execnz .LBB31_1031
; %bb.553:                              ;   in Loop: Header=BB31_3 Depth=1
	s_or_b32 exec_lo, exec_lo, s8
	s_and_saveexec_b32 s8, s15
	s_cbranch_execnz .LBB31_1032
.LBB31_554:                             ;   in Loop: Header=BB31_3 Depth=1
	s_or_b32 exec_lo, exec_lo, s8
	s_and_saveexec_b32 s8, s3
	s_cbranch_execz .LBB31_556
.LBB31_555:                             ;   in Loop: Header=BB31_3 Depth=1
	ds_load_b64 v[44:45], v51 offset:18208
	ds_load_b64 v[46:47], v1 offset:16664
	s_wait_dscnt 0x0
	v_fmac_f64_e32 v[42:43], v[44:45], v[46:47]
.LBB31_556:                             ;   in Loop: Header=BB31_3 Depth=1
	s_or_b32 exec_lo, exec_lo, s8
	s_delay_alu instid0(VALU_DEP_1)
	v_xor_b32_e32 v43, 0x80000000, v43
.LBB31_557:                             ;   in Loop: Header=BB31_3 Depth=1
	s_or_b32 exec_lo, exec_lo, s94
	s_and_saveexec_b32 s8, vcc_hi
; %bb.558:                              ;   in Loop: Header=BB31_3 Depth=1
	ds_store_b64 v54, v[42:43]
; %bb.559:                              ;   in Loop: Header=BB31_3 Depth=1
	s_or_b32 exec_lo, exec_lo, s8
	s_wait_dscnt 0x0
	s_barrier_signal -1
	s_barrier_wait -1
	s_and_saveexec_b32 s8, s34
	s_cbranch_execz .LBB31_561
; %bb.560:                              ;   in Loop: Header=BB31_3 Depth=1
	ds_load_b64 v[44:45], v52 offset:18720
	ds_load_b64 v[46:47], v54
	s_wait_dscnt 0x0
	v_fmac_f64_e32 v[42:43], v[44:45], v[46:47]
.LBB31_561:                             ;   in Loop: Header=BB31_3 Depth=1
	s_or_b32 exec_lo, exec_lo, s8
	s_barrier_signal -1
	s_barrier_wait -1
	s_and_saveexec_b32 s8, s35
; %bb.562:                              ;   in Loop: Header=BB31_3 Depth=1
	ds_store_b64 v54, v[42:43]
; %bb.563:                              ;   in Loop: Header=BB31_3 Depth=1
	s_or_b32 exec_lo, exec_lo, s8
	s_wait_dscnt 0x0
	s_barrier_signal -1
	s_barrier_wait -1
	s_and_saveexec_b32 s8, s36
	s_cbranch_execz .LBB31_565
; %bb.564:                              ;   in Loop: Header=BB31_3 Depth=1
	ds_load_b64 v[44:45], v52 offset:19232
	ds_load_b64 v[46:47], v54
	s_wait_dscnt 0x0
	v_fmac_f64_e32 v[42:43], v[44:45], v[46:47]
.LBB31_565:                             ;   in Loop: Header=BB31_3 Depth=1
	s_or_b32 exec_lo, exec_lo, s8
	s_barrier_signal -1
	s_barrier_wait -1
	s_and_saveexec_b32 s8, s37
	;; [unrolled: 19-line block ×3, first 2 shown]
; %bb.570:                              ;   in Loop: Header=BB31_3 Depth=1
	ds_store_b64 v54, v[42:43]
; %bb.571:                              ;   in Loop: Header=BB31_3 Depth=1
	s_or_b32 exec_lo, exec_lo, s8
	s_wait_dscnt 0x0
	s_barrier_signal -1
	s_barrier_wait -1
	s_barrier_signal -1
	s_barrier_wait -1
	s_and_saveexec_b32 s8, s4
; %bb.572:                              ;   in Loop: Header=BB31_3 Depth=1
	v_xor_b32_e32 v43, 0x80000000, v43
	ds_store_b64 v55, v[42:43] offset:16672
; %bb.573:                              ;   in Loop: Header=BB31_3 Depth=1
	s_or_b32 exec_lo, exec_lo, s8
	s_wait_dscnt 0x0
	s_barrier_signal -1
	s_barrier_wait -1
	s_barrier_signal -1
	s_barrier_wait -1
	s_and_saveexec_b32 s8, s12
; %bb.574:                              ;   in Loop: Header=BB31_3 Depth=1
	v_add_nc_u32_e64 v0, 0x4800, 0
	ds_store_2addr_b64 v0, v[30:31], v[30:31] offset0:36 offset1:101
; %bb.575:                              ;   in Loop: Header=BB31_3 Depth=1
	s_or_b32 exec_lo, exec_lo, s8
	v_mov_b64_e32 v[42:43], 0
	s_wait_dscnt 0x0
	s_barrier_signal -1
	s_barrier_wait -1
	s_and_saveexec_b32 s94, s3
	s_cbranch_execz .LBB31_579
; %bb.576:                              ;   in Loop: Header=BB31_3 Depth=1
	ds_load_b64 v[42:43], v49 offset:18736
	ds_load_b64 v[44:45], v50 offset:18720
	s_wait_dscnt 0x0
	v_fma_f64 v[42:43], v[42:43], v[44:45], 0
	s_and_saveexec_b32 s8, s13
	s_cbranch_execz .LBB31_578
; %bb.577:                              ;   in Loop: Header=BB31_3 Depth=1
	ds_load_b64 v[44:45], v51 offset:19248
	ds_load_b64 v[46:47], v1 offset:18728
	s_wait_dscnt 0x0
	v_fmac_f64_e32 v[42:43], v[44:45], v[46:47]
.LBB31_578:                             ;   in Loop: Header=BB31_3 Depth=1
	s_or_b32 exec_lo, exec_lo, s8
	s_delay_alu instid0(VALU_DEP_1)
	v_xor_b32_e32 v43, 0x80000000, v43
.LBB31_579:                             ;   in Loop: Header=BB31_3 Depth=1
	s_or_b32 exec_lo, exec_lo, s94
	s_and_saveexec_b32 s8, s103
; %bb.580:                              ;   in Loop: Header=BB31_3 Depth=1
	ds_store_b64 v48, v[42:43]
; %bb.581:                              ;   in Loop: Header=BB31_3 Depth=1
	s_or_b32 exec_lo, exec_lo, s8
	s_wait_dscnt 0x0
	s_barrier_signal -1
	s_barrier_wait -1
	s_and_saveexec_b32 s8, s104
	s_cbranch_execz .LBB31_583
; %bb.582:                              ;   in Loop: Header=BB31_3 Depth=1
	ds_load_b64 v[44:45], v1 offset:19768
	ds_load_b64 v[46:47], v48
	s_wait_dscnt 0x0
	v_fmac_f64_e32 v[42:43], v[44:45], v[46:47]
.LBB31_583:                             ;   in Loop: Header=BB31_3 Depth=1
	s_or_b32 exec_lo, exec_lo, s8
	s_barrier_signal -1
	s_barrier_wait -1
	s_and_saveexec_b32 s8, s104
; %bb.584:                              ;   in Loop: Header=BB31_3 Depth=1
	ds_store_b64 v48, v[42:43]
; %bb.585:                              ;   in Loop: Header=BB31_3 Depth=1
	s_or_b32 exec_lo, exec_lo, s8
	s_wait_dscnt 0x0
	s_barrier_signal -1
	s_barrier_wait -1
	s_barrier_signal -1
	s_barrier_wait -1
	s_and_saveexec_b32 s8, s3
; %bb.586:                              ;   in Loop: Header=BB31_3 Depth=1
	v_xor_b32_e32 v43, 0x80000000, v43
	ds_store_b64 v49, v[42:43] offset:18736
; %bb.587:                              ;   in Loop: Header=BB31_3 Depth=1
	s_or_b32 exec_lo, exec_lo, s8
	s_wait_dscnt 0x0
	s_barrier_signal -1
	s_barrier_wait -1
	s_barrier_signal -1
	s_barrier_wait -1
	s_and_saveexec_b32 s8, s12
; %bb.588:                              ;   in Loop: Header=BB31_3 Depth=1
	v_add_nc_u32_e64 v0, 0x4800, 0
	ds_store_2addr_b64 v0, v[30:31], v[30:31] offset0:166 offset1:231
; %bb.589:                              ;   in Loop: Header=BB31_3 Depth=1
	s_or_b32 exec_lo, exec_lo, s8
	v_mov_b64_e32 v[42:43], 0
	s_wait_dscnt 0x0
	s_barrier_signal -1
	s_barrier_wait -1
	s_and_saveexec_b32 s94, s5
	s_cbranch_execz .LBB31_599
; %bb.590:                              ;   in Loop: Header=BB31_3 Depth=1
	ds_load_b64 v[42:43], v60 offset:16704
	ds_load_b64 v[44:45], v57 offset:16640
	s_wait_dscnt 0x0
	v_fma_f64 v[42:43], v[42:43], v[44:45], 0
	s_and_saveexec_b32 s8, s16
	s_cbranch_execnz .LBB31_1033
; %bb.591:                              ;   in Loop: Header=BB31_3 Depth=1
	s_or_b32 exec_lo, exec_lo, s8
	s_and_saveexec_b32 s8, s17
	s_cbranch_execnz .LBB31_1034
.LBB31_592:                             ;   in Loop: Header=BB31_3 Depth=1
	s_or_b32 exec_lo, exec_lo, s8
	s_and_saveexec_b32 s8, s18
	s_cbranch_execnz .LBB31_1035
.LBB31_593:                             ;   in Loop: Header=BB31_3 Depth=1
	s_or_b32 exec_lo, exec_lo, s8
	s_and_saveexec_b32 s8, s19
	s_cbranch_execnz .LBB31_1036
.LBB31_594:                             ;   in Loop: Header=BB31_3 Depth=1
	s_or_b32 exec_lo, exec_lo, s8
	s_and_saveexec_b32 s8, s20
	s_cbranch_execnz .LBB31_1037
.LBB31_595:                             ;   in Loop: Header=BB31_3 Depth=1
	s_or_b32 exec_lo, exec_lo, s8
	s_and_saveexec_b32 s8, s4
	s_cbranch_execnz .LBB31_1038
.LBB31_596:                             ;   in Loop: Header=BB31_3 Depth=1
	s_or_b32 exec_lo, exec_lo, s8
	s_and_saveexec_b32 s8, s15
	s_cbranch_execz .LBB31_598
.LBB31_597:                             ;   in Loop: Header=BB31_3 Depth=1
	ds_load_b64 v[44:45], v51 offset:20288
	ds_load_b64 v[46:47], v1 offset:16696
	s_wait_dscnt 0x0
	v_fmac_f64_e32 v[42:43], v[44:45], v[46:47]
.LBB31_598:                             ;   in Loop: Header=BB31_3 Depth=1
	s_or_b32 exec_lo, exec_lo, s8
	s_delay_alu instid0(VALU_DEP_1)
	v_xor_b32_e32 v43, 0x80000000, v43
.LBB31_599:                             ;   in Loop: Header=BB31_3 Depth=1
	s_or_b32 exec_lo, exec_lo, s94
	s_and_saveexec_b32 s8, s39
; %bb.600:                              ;   in Loop: Header=BB31_3 Depth=1
	ds_store_b64 v59, v[42:43]
; %bb.601:                              ;   in Loop: Header=BB31_3 Depth=1
	s_or_b32 exec_lo, exec_lo, s8
	s_wait_dscnt 0x0
	s_barrier_signal -1
	s_barrier_wait -1
	s_and_saveexec_b32 s8, s40
	s_cbranch_execz .LBB31_603
; %bb.602:                              ;   in Loop: Header=BB31_3 Depth=1
	ds_load_b64 v[44:45], v58 offset:20800
	ds_load_b64 v[46:47], v59
	s_wait_dscnt 0x0
	v_fmac_f64_e32 v[42:43], v[44:45], v[46:47]
.LBB31_603:                             ;   in Loop: Header=BB31_3 Depth=1
	s_or_b32 exec_lo, exec_lo, s8
	s_barrier_signal -1
	s_barrier_wait -1
	s_and_saveexec_b32 s8, s41
; %bb.604:                              ;   in Loop: Header=BB31_3 Depth=1
	ds_store_b64 v59, v[42:43]
; %bb.605:                              ;   in Loop: Header=BB31_3 Depth=1
	s_or_b32 exec_lo, exec_lo, s8
	s_wait_dscnt 0x0
	s_barrier_signal -1
	s_barrier_wait -1
	s_and_saveexec_b32 s8, s42
	s_cbranch_execz .LBB31_607
; %bb.606:                              ;   in Loop: Header=BB31_3 Depth=1
	ds_load_b64 v[44:45], v58 offset:21312
	ds_load_b64 v[46:47], v59
	s_wait_dscnt 0x0
	v_fmac_f64_e32 v[42:43], v[44:45], v[46:47]
.LBB31_607:                             ;   in Loop: Header=BB31_3 Depth=1
	s_or_b32 exec_lo, exec_lo, s8
	s_barrier_signal -1
	s_barrier_wait -1
	;; [unrolled: 19-line block ×7, first 2 shown]
	s_and_saveexec_b32 s8, s52
; %bb.628:                              ;   in Loop: Header=BB31_3 Depth=1
	ds_store_b64 v59, v[42:43]
; %bb.629:                              ;   in Loop: Header=BB31_3 Depth=1
	s_or_b32 exec_lo, exec_lo, s8
	s_wait_dscnt 0x0
	s_barrier_signal -1
	s_barrier_wait -1
	s_barrier_signal -1
	s_barrier_wait -1
	s_and_saveexec_b32 s8, s5
; %bb.630:                              ;   in Loop: Header=BB31_3 Depth=1
	v_xor_b32_e32 v43, 0x80000000, v43
	ds_store_b64 v60, v[42:43] offset:16704
; %bb.631:                              ;   in Loop: Header=BB31_3 Depth=1
	s_or_b32 exec_lo, exec_lo, s8
	s_wait_dscnt 0x0
	s_barrier_signal -1
	s_barrier_wait -1
	s_barrier_signal -1
	s_barrier_wait -1
	s_and_saveexec_b32 s8, s12
; %bb.632:                              ;   in Loop: Header=BB31_3 Depth=1
	v_add_nc_u32_e64 v0, 0x5000, 0
	ds_store_2addr_b64 v0, v[30:31], v[30:31] offset0:40 offset1:105
; %bb.633:                              ;   in Loop: Header=BB31_3 Depth=1
	s_or_b32 exec_lo, exec_lo, s8
	v_mov_b64_e32 v[42:43], 0
	s_wait_dscnt 0x0
	s_barrier_signal -1
	s_barrier_wait -1
	s_and_saveexec_b32 s94, s3
	s_cbranch_execz .LBB31_637
; %bb.634:                              ;   in Loop: Header=BB31_3 Depth=1
	ds_load_b64 v[42:43], v49 offset:20816
	ds_load_b64 v[44:45], v50 offset:20800
	s_wait_dscnt 0x0
	v_fma_f64 v[42:43], v[42:43], v[44:45], 0
	s_and_saveexec_b32 s8, s13
	s_cbranch_execz .LBB31_636
; %bb.635:                              ;   in Loop: Header=BB31_3 Depth=1
	ds_load_b64 v[44:45], v51 offset:21328
	ds_load_b64 v[46:47], v1 offset:20808
	s_wait_dscnt 0x0
	v_fmac_f64_e32 v[42:43], v[44:45], v[46:47]
.LBB31_636:                             ;   in Loop: Header=BB31_3 Depth=1
	s_or_b32 exec_lo, exec_lo, s8
	s_delay_alu instid0(VALU_DEP_1)
	v_xor_b32_e32 v43, 0x80000000, v43
.LBB31_637:                             ;   in Loop: Header=BB31_3 Depth=1
	s_or_b32 exec_lo, exec_lo, s94
	s_and_saveexec_b32 s8, s103
; %bb.638:                              ;   in Loop: Header=BB31_3 Depth=1
	ds_store_b64 v48, v[42:43]
; %bb.639:                              ;   in Loop: Header=BB31_3 Depth=1
	s_or_b32 exec_lo, exec_lo, s8
	s_wait_dscnt 0x0
	s_barrier_signal -1
	s_barrier_wait -1
	s_and_saveexec_b32 s8, s104
	s_cbranch_execz .LBB31_641
; %bb.640:                              ;   in Loop: Header=BB31_3 Depth=1
	ds_load_b64 v[44:45], v1 offset:21848
	ds_load_b64 v[46:47], v48
	s_wait_dscnt 0x0
	v_fmac_f64_e32 v[42:43], v[44:45], v[46:47]
.LBB31_641:                             ;   in Loop: Header=BB31_3 Depth=1
	s_or_b32 exec_lo, exec_lo, s8
	s_barrier_signal -1
	s_barrier_wait -1
	s_and_saveexec_b32 s8, s104
; %bb.642:                              ;   in Loop: Header=BB31_3 Depth=1
	ds_store_b64 v48, v[42:43]
; %bb.643:                              ;   in Loop: Header=BB31_3 Depth=1
	s_or_b32 exec_lo, exec_lo, s8
	s_wait_dscnt 0x0
	s_barrier_signal -1
	s_barrier_wait -1
	s_barrier_signal -1
	s_barrier_wait -1
	s_and_saveexec_b32 s8, s3
; %bb.644:                              ;   in Loop: Header=BB31_3 Depth=1
	v_xor_b32_e32 v43, 0x80000000, v43
	ds_store_b64 v49, v[42:43] offset:20816
; %bb.645:                              ;   in Loop: Header=BB31_3 Depth=1
	s_or_b32 exec_lo, exec_lo, s8
	s_wait_dscnt 0x0
	s_barrier_signal -1
	s_barrier_wait -1
	s_barrier_signal -1
	s_barrier_wait -1
	s_and_saveexec_b32 s8, s12
; %bb.646:                              ;   in Loop: Header=BB31_3 Depth=1
	v_add_nc_u32_e64 v0, 0x5000, 0
	ds_store_2addr_b64 v0, v[30:31], v[30:31] offset0:170 offset1:235
; %bb.647:                              ;   in Loop: Header=BB31_3 Depth=1
	s_or_b32 exec_lo, exec_lo, s8
	v_mov_b64_e32 v[42:43], 0
	s_wait_dscnt 0x0
	s_barrier_signal -1
	s_barrier_wait -1
	s_and_saveexec_b32 s94, s4
	s_cbranch_execz .LBB31_653
; %bb.648:                              ;   in Loop: Header=BB31_3 Depth=1
	ds_load_b64 v[42:43], v55 offset:20832
	ds_load_b64 v[44:45], v53 offset:20800
	s_wait_dscnt 0x0
	v_fma_f64 v[42:43], v[42:43], v[44:45], 0
	s_and_saveexec_b32 s8, s14
	s_cbranch_execnz .LBB31_1039
; %bb.649:                              ;   in Loop: Header=BB31_3 Depth=1
	s_or_b32 exec_lo, exec_lo, s8
	s_and_saveexec_b32 s8, s15
	s_cbranch_execnz .LBB31_1040
.LBB31_650:                             ;   in Loop: Header=BB31_3 Depth=1
	s_or_b32 exec_lo, exec_lo, s8
	s_and_saveexec_b32 s8, s3
	s_cbranch_execz .LBB31_652
.LBB31_651:                             ;   in Loop: Header=BB31_3 Depth=1
	ds_load_b64 v[44:45], v51 offset:22368
	ds_load_b64 v[46:47], v1 offset:20824
	s_wait_dscnt 0x0
	v_fmac_f64_e32 v[42:43], v[44:45], v[46:47]
.LBB31_652:                             ;   in Loop: Header=BB31_3 Depth=1
	s_or_b32 exec_lo, exec_lo, s8
	s_delay_alu instid0(VALU_DEP_1)
	v_xor_b32_e32 v43, 0x80000000, v43
.LBB31_653:                             ;   in Loop: Header=BB31_3 Depth=1
	s_or_b32 exec_lo, exec_lo, s94
	s_and_saveexec_b32 s8, vcc_hi
; %bb.654:                              ;   in Loop: Header=BB31_3 Depth=1
	ds_store_b64 v54, v[42:43]
; %bb.655:                              ;   in Loop: Header=BB31_3 Depth=1
	s_or_b32 exec_lo, exec_lo, s8
	s_wait_dscnt 0x0
	s_barrier_signal -1
	s_barrier_wait -1
	s_and_saveexec_b32 s8, s34
	s_cbranch_execz .LBB31_657
; %bb.656:                              ;   in Loop: Header=BB31_3 Depth=1
	ds_load_b64 v[44:45], v52 offset:22880
	ds_load_b64 v[46:47], v54
	s_wait_dscnt 0x0
	v_fmac_f64_e32 v[42:43], v[44:45], v[46:47]
.LBB31_657:                             ;   in Loop: Header=BB31_3 Depth=1
	s_or_b32 exec_lo, exec_lo, s8
	s_barrier_signal -1
	s_barrier_wait -1
	s_and_saveexec_b32 s8, s35
; %bb.658:                              ;   in Loop: Header=BB31_3 Depth=1
	ds_store_b64 v54, v[42:43]
; %bb.659:                              ;   in Loop: Header=BB31_3 Depth=1
	s_or_b32 exec_lo, exec_lo, s8
	s_wait_dscnt 0x0
	s_barrier_signal -1
	s_barrier_wait -1
	s_and_saveexec_b32 s8, s36
	s_cbranch_execz .LBB31_661
; %bb.660:                              ;   in Loop: Header=BB31_3 Depth=1
	ds_load_b64 v[44:45], v52 offset:23392
	ds_load_b64 v[46:47], v54
	s_wait_dscnt 0x0
	v_fmac_f64_e32 v[42:43], v[44:45], v[46:47]
.LBB31_661:                             ;   in Loop: Header=BB31_3 Depth=1
	s_or_b32 exec_lo, exec_lo, s8
	s_barrier_signal -1
	s_barrier_wait -1
	s_and_saveexec_b32 s8, s37
; %bb.662:                              ;   in Loop: Header=BB31_3 Depth=1
	ds_store_b64 v54, v[42:43]
; %bb.663:                              ;   in Loop: Header=BB31_3 Depth=1
	s_or_b32 exec_lo, exec_lo, s8
	s_wait_dscnt 0x0
	s_barrier_signal -1
	s_barrier_wait -1
	s_and_saveexec_b32 s8, s38
	s_cbranch_execz .LBB31_665
; %bb.664:                              ;   in Loop: Header=BB31_3 Depth=1
	ds_load_b64 v[44:45], v1 offset:23928
	ds_load_b64 v[46:47], v54
	s_wait_dscnt 0x0
	v_fmac_f64_e32 v[42:43], v[44:45], v[46:47]
.LBB31_665:                             ;   in Loop: Header=BB31_3 Depth=1
	s_or_b32 exec_lo, exec_lo, s8
	s_barrier_signal -1
	s_barrier_wait -1
	s_and_saveexec_b32 s8, s38
; %bb.666:                              ;   in Loop: Header=BB31_3 Depth=1
	ds_store_b64 v54, v[42:43]
; %bb.667:                              ;   in Loop: Header=BB31_3 Depth=1
	s_or_b32 exec_lo, exec_lo, s8
	s_wait_dscnt 0x0
	s_barrier_signal -1
	s_barrier_wait -1
	s_barrier_signal -1
	s_barrier_wait -1
	s_and_saveexec_b32 s8, s4
; %bb.668:                              ;   in Loop: Header=BB31_3 Depth=1
	v_xor_b32_e32 v43, 0x80000000, v43
	ds_store_b64 v55, v[42:43] offset:20832
; %bb.669:                              ;   in Loop: Header=BB31_3 Depth=1
	s_or_b32 exec_lo, exec_lo, s8
	s_wait_dscnt 0x0
	s_barrier_signal -1
	s_barrier_wait -1
	s_barrier_signal -1
	s_barrier_wait -1
	s_and_saveexec_b32 s8, s12
; %bb.670:                              ;   in Loop: Header=BB31_3 Depth=1
	v_add_nc_u32_e64 v0, 0x5800, 0
	ds_store_2addr_b64 v0, v[30:31], v[30:31] offset0:44 offset1:109
; %bb.671:                              ;   in Loop: Header=BB31_3 Depth=1
	s_or_b32 exec_lo, exec_lo, s8
	v_mov_b64_e32 v[42:43], 0
	s_wait_dscnt 0x0
	s_barrier_signal -1
	s_barrier_wait -1
	s_and_saveexec_b32 s94, s3
	s_cbranch_execz .LBB31_675
; %bb.672:                              ;   in Loop: Header=BB31_3 Depth=1
	ds_load_b64 v[42:43], v49 offset:22896
	ds_load_b64 v[44:45], v50 offset:22880
	s_wait_dscnt 0x0
	v_fma_f64 v[42:43], v[42:43], v[44:45], 0
	s_and_saveexec_b32 s8, s13
	s_cbranch_execz .LBB31_674
; %bb.673:                              ;   in Loop: Header=BB31_3 Depth=1
	ds_load_b64 v[44:45], v51 offset:23408
	ds_load_b64 v[46:47], v1 offset:22888
	s_wait_dscnt 0x0
	v_fmac_f64_e32 v[42:43], v[44:45], v[46:47]
.LBB31_674:                             ;   in Loop: Header=BB31_3 Depth=1
	s_or_b32 exec_lo, exec_lo, s8
	s_delay_alu instid0(VALU_DEP_1)
	v_xor_b32_e32 v43, 0x80000000, v43
.LBB31_675:                             ;   in Loop: Header=BB31_3 Depth=1
	s_or_b32 exec_lo, exec_lo, s94
	s_and_saveexec_b32 s8, s103
; %bb.676:                              ;   in Loop: Header=BB31_3 Depth=1
	ds_store_b64 v48, v[42:43]
; %bb.677:                              ;   in Loop: Header=BB31_3 Depth=1
	s_or_b32 exec_lo, exec_lo, s8
	s_wait_dscnt 0x0
	s_barrier_signal -1
	s_barrier_wait -1
	s_and_saveexec_b32 s8, s104
	s_cbranch_execz .LBB31_679
; %bb.678:                              ;   in Loop: Header=BB31_3 Depth=1
	ds_load_b64 v[44:45], v1 offset:23928
	ds_load_b64 v[46:47], v48
	s_wait_dscnt 0x0
	v_fmac_f64_e32 v[42:43], v[44:45], v[46:47]
.LBB31_679:                             ;   in Loop: Header=BB31_3 Depth=1
	s_or_b32 exec_lo, exec_lo, s8
	s_barrier_signal -1
	s_barrier_wait -1
	s_and_saveexec_b32 s8, s104
; %bb.680:                              ;   in Loop: Header=BB31_3 Depth=1
	ds_store_b64 v48, v[42:43]
; %bb.681:                              ;   in Loop: Header=BB31_3 Depth=1
	s_or_b32 exec_lo, exec_lo, s8
	s_wait_dscnt 0x0
	s_barrier_signal -1
	s_barrier_wait -1
	s_barrier_signal -1
	s_barrier_wait -1
	s_and_saveexec_b32 s8, s3
; %bb.682:                              ;   in Loop: Header=BB31_3 Depth=1
	v_xor_b32_e32 v43, 0x80000000, v43
	ds_store_b64 v49, v[42:43] offset:22896
; %bb.683:                              ;   in Loop: Header=BB31_3 Depth=1
	s_or_b32 exec_lo, exec_lo, s8
	s_wait_dscnt 0x0
	s_barrier_signal -1
	s_barrier_wait -1
	s_barrier_signal -1
	s_barrier_wait -1
	s_and_saveexec_b32 s8, s12
; %bb.684:                              ;   in Loop: Header=BB31_3 Depth=1
	v_add_nc_u32_e64 v0, 0x5800, 0
	ds_store_2addr_b64 v0, v[30:31], v[30:31] offset0:174 offset1:239
; %bb.685:                              ;   in Loop: Header=BB31_3 Depth=1
	s_or_b32 exec_lo, exec_lo, s8
	v_mov_b64_e32 v[42:43], 0
	s_wait_dscnt 0x0
	s_barrier_signal -1
	s_barrier_wait -1
	s_and_saveexec_b32 s94, s6
	s_cbranch_execz .LBB31_713
; %bb.686:                              ;   in Loop: Header=BB31_3 Depth=1
	ds_load_b64 v[42:43], v65 offset:16768
	ds_load_b64 v[44:45], v62 offset:16640
	s_wait_dscnt 0x0
	v_fma_f64 v[42:43], v[42:43], v[44:45], 0
	s_mov_b32 s8, exec_lo
	v_readlane_b32 s9, v85, 23
	s_and_b32 s9, s8, s9
	s_delay_alu instid0(SALU_CYCLE_1)
	s_mov_b32 exec_lo, s9
	s_cbranch_execz .LBB31_688
; %bb.687:                              ;   in Loop: Header=BB31_3 Depth=1
	ds_load_b64 v[44:45], v66 offset:17280
	ds_load_b64 v[46:47], v62 offset:16648
	s_wait_dscnt 0x0
	v_fmac_f64_e32 v[42:43], v[44:45], v[46:47]
.LBB31_688:                             ;   in Loop: Header=BB31_3 Depth=1
	s_or_b32 exec_lo, exec_lo, s8
	s_delay_alu instid0(SALU_CYCLE_1) | instskip(SKIP_2) | instid1(SALU_CYCLE_1)
	s_mov_b32 s8, exec_lo
	v_readlane_b32 s9, v85, 24
	s_and_b32 s9, s8, s9
	s_mov_b32 exec_lo, s9
	s_cbranch_execz .LBB31_690
; %bb.689:                              ;   in Loop: Header=BB31_3 Depth=1
	ds_load_b64 v[44:45], v66 offset:17792
	ds_load_b64 v[46:47], v62 offset:16656
	s_wait_dscnt 0x0
	v_fmac_f64_e32 v[42:43], v[44:45], v[46:47]
.LBB31_690:                             ;   in Loop: Header=BB31_3 Depth=1
	s_or_b32 exec_lo, exec_lo, s8
	s_delay_alu instid0(SALU_CYCLE_1) | instskip(SKIP_2) | instid1(SALU_CYCLE_1)
	s_mov_b32 s8, exec_lo
	v_readlane_b32 s9, v85, 25
	s_and_b32 s9, s8, s9
	;; [unrolled: 13-line block ×8, first 2 shown]
	s_mov_b32 exec_lo, s9
	s_cbranch_execz .LBB31_704
; %bb.703:                              ;   in Loop: Header=BB31_3 Depth=1
	ds_load_b64 v[44:45], v66 offset:21376
	ds_load_b64 v[46:47], v62 offset:16712
	s_wait_dscnt 0x0
	v_fmac_f64_e32 v[42:43], v[44:45], v[46:47]
.LBB31_704:                             ;   in Loop: Header=BB31_3 Depth=1
	s_or_b32 exec_lo, exec_lo, s8
	s_and_saveexec_b32 s8, s10
	s_cbranch_execz .LBB31_706
; %bb.705:                              ;   in Loop: Header=BB31_3 Depth=1
	ds_load_b64 v[44:45], v66 offset:21888
	ds_load_b64 v[46:47], v62 offset:16720
	s_wait_dscnt 0x0
	v_fmac_f64_e32 v[42:43], v[44:45], v[46:47]
.LBB31_706:                             ;   in Loop: Header=BB31_3 Depth=1
	s_or_b32 exec_lo, exec_lo, s8
	s_delay_alu instid0(SALU_CYCLE_1) | instskip(SKIP_2) | instid1(SALU_CYCLE_1)
	s_mov_b32 s8, exec_lo
	v_readlane_b32 s9, v84, 0
	s_and_b32 s9, s8, s9
	s_mov_b32 exec_lo, s9
	s_cbranch_execnz .LBB31_1041
; %bb.707:                              ;   in Loop: Header=BB31_3 Depth=1
	s_or_b32 exec_lo, exec_lo, s8
	s_and_saveexec_b32 s8, s5
	s_cbranch_execnz .LBB31_1042
.LBB31_708:                             ;   in Loop: Header=BB31_3 Depth=1
	s_or_b32 exec_lo, exec_lo, s8
	s_and_saveexec_b32 s8, s17
	s_cbranch_execnz .LBB31_1043
.LBB31_709:                             ;   in Loop: Header=BB31_3 Depth=1
	s_or_b32 exec_lo, exec_lo, s8
	s_and_saveexec_b32 s8, s19
	s_cbranch_execnz .LBB31_1044
.LBB31_710:                             ;   in Loop: Header=BB31_3 Depth=1
	s_or_b32 exec_lo, exec_lo, s8
	s_and_saveexec_b32 s8, s4
	s_cbranch_execz .LBB31_712
.LBB31_711:                             ;   in Loop: Header=BB31_3 Depth=1
	ds_load_b64 v[44:45], v51 offset:24448
	ds_load_b64 v[46:47], v1 offset:16760
	s_wait_dscnt 0x0
	v_fmac_f64_e32 v[42:43], v[44:45], v[46:47]
.LBB31_712:                             ;   in Loop: Header=BB31_3 Depth=1
	s_or_b32 exec_lo, exec_lo, s8
	s_delay_alu instid0(VALU_DEP_1)
	v_xor_b32_e32 v43, 0x80000000, v43
.LBB31_713:                             ;   in Loop: Header=BB31_3 Depth=1
	s_or_b32 exec_lo, exec_lo, s94
	s_delay_alu instid0(SALU_CYCLE_1) | instskip(SKIP_2) | instid1(SALU_CYCLE_1)
	s_mov_b32 s8, exec_lo
	v_readlane_b32 s9, v85, 6
	s_and_b32 s9, s8, s9
	s_mov_b32 exec_lo, s9
; %bb.714:                              ;   in Loop: Header=BB31_3 Depth=1
	ds_store_b64 v64, v[42:43]
; %bb.715:                              ;   in Loop: Header=BB31_3 Depth=1
	s_or_b32 exec_lo, exec_lo, s8
	s_wait_dscnt 0x0
	s_barrier_signal -1
	s_barrier_wait -1
	s_mov_b32 s8, exec_lo
	v_readlane_b32 s9, v85, 7
	s_and_b32 s9, s8, s9
	s_delay_alu instid0(SALU_CYCLE_1)
	s_mov_b32 exec_lo, s9
	s_cbranch_execz .LBB31_717
; %bb.716:                              ;   in Loop: Header=BB31_3 Depth=1
	ds_load_b64 v[44:45], v63 offset:24960
	ds_load_b64 v[46:47], v64
	s_wait_dscnt 0x0
	v_fmac_f64_e32 v[42:43], v[44:45], v[46:47]
.LBB31_717:                             ;   in Loop: Header=BB31_3 Depth=1
	s_or_b32 exec_lo, exec_lo, s8
	s_barrier_signal -1
	s_barrier_wait -1
	s_mov_b32 s8, exec_lo
	v_readlane_b32 s9, v85, 8
	s_and_b32 s9, s8, s9
	s_delay_alu instid0(SALU_CYCLE_1)
	s_mov_b32 exec_lo, s9
; %bb.718:                              ;   in Loop: Header=BB31_3 Depth=1
	ds_store_b64 v64, v[42:43]
; %bb.719:                              ;   in Loop: Header=BB31_3 Depth=1
	s_or_b32 exec_lo, exec_lo, s8
	s_wait_dscnt 0x0
	s_barrier_signal -1
	s_barrier_wait -1
	s_mov_b32 s8, exec_lo
	v_readlane_b32 s9, v85, 9
	s_and_b32 s9, s8, s9
	s_delay_alu instid0(SALU_CYCLE_1)
	s_mov_b32 exec_lo, s9
	s_cbranch_execz .LBB31_721
; %bb.720:                              ;   in Loop: Header=BB31_3 Depth=1
	ds_load_b64 v[44:45], v63 offset:25472
	ds_load_b64 v[46:47], v64
	s_wait_dscnt 0x0
	v_fmac_f64_e32 v[42:43], v[44:45], v[46:47]
.LBB31_721:                             ;   in Loop: Header=BB31_3 Depth=1
	s_or_b32 exec_lo, exec_lo, s8
	s_barrier_signal -1
	s_barrier_wait -1
	s_and_saveexec_b32 s8, s21
; %bb.722:                              ;   in Loop: Header=BB31_3 Depth=1
	ds_store_b64 v64, v[42:43]
; %bb.723:                              ;   in Loop: Header=BB31_3 Depth=1
	s_or_b32 exec_lo, exec_lo, s8
	s_wait_dscnt 0x0
	s_barrier_signal -1
	s_barrier_wait -1
	s_and_saveexec_b32 s8, s23
	s_cbranch_execz .LBB31_725
; %bb.724:                              ;   in Loop: Header=BB31_3 Depth=1
	ds_load_b64 v[44:45], v63 offset:25984
	ds_load_b64 v[46:47], v64
	s_wait_dscnt 0x0
	v_fmac_f64_e32 v[42:43], v[44:45], v[46:47]
.LBB31_725:                             ;   in Loop: Header=BB31_3 Depth=1
	s_or_b32 exec_lo, exec_lo, s8
	s_barrier_signal -1
	s_barrier_wait -1
	s_and_saveexec_b32 s8, s25
; %bb.726:                              ;   in Loop: Header=BB31_3 Depth=1
	ds_store_b64 v64, v[42:43]
; %bb.727:                              ;   in Loop: Header=BB31_3 Depth=1
	s_or_b32 exec_lo, exec_lo, s8
	s_wait_dscnt 0x0
	s_barrier_signal -1
	s_barrier_wait -1
	s_and_saveexec_b32 s8, s27
	;; [unrolled: 19-line block ×13, first 2 shown]
	s_cbranch_execz .LBB31_773
; %bb.772:                              ;   in Loop: Header=BB31_3 Depth=1
	ds_load_b64 v[44:45], v1 offset:32248
	ds_load_b64 v[46:47], v64
	s_wait_dscnt 0x0
	v_fmac_f64_e32 v[42:43], v[44:45], v[46:47]
.LBB31_773:                             ;   in Loop: Header=BB31_3 Depth=1
	s_or_b32 exec_lo, exec_lo, s8
	s_barrier_signal -1
	s_barrier_wait -1
	s_and_saveexec_b32 s8, s53
; %bb.774:                              ;   in Loop: Header=BB31_3 Depth=1
	ds_store_b64 v64, v[42:43]
; %bb.775:                              ;   in Loop: Header=BB31_3 Depth=1
	s_or_b32 exec_lo, exec_lo, s8
	s_wait_dscnt 0x0
	s_barrier_signal -1
	s_barrier_wait -1
	s_barrier_signal -1
	s_barrier_wait -1
	s_and_saveexec_b32 s8, s6
; %bb.776:                              ;   in Loop: Header=BB31_3 Depth=1
	v_xor_b32_e32 v43, 0x80000000, v43
	ds_store_b64 v65, v[42:43] offset:16768
; %bb.777:                              ;   in Loop: Header=BB31_3 Depth=1
	s_or_b32 exec_lo, exec_lo, s8
	s_wait_dscnt 0x0
	s_barrier_signal -1
	s_barrier_wait -1
	s_barrier_signal -1
	s_barrier_wait -1
	s_and_saveexec_b32 s8, s12
; %bb.778:                              ;   in Loop: Header=BB31_3 Depth=1
	v_add_nc_u32_e64 v0, 0x6000, 0
	ds_store_2addr_b64 v0, v[30:31], v[30:31] offset0:48 offset1:113
; %bb.779:                              ;   in Loop: Header=BB31_3 Depth=1
	s_or_b32 exec_lo, exec_lo, s8
	v_mov_b64_e32 v[42:43], 0
	s_wait_dscnt 0x0
	s_barrier_signal -1
	s_barrier_wait -1
	s_and_saveexec_b32 s94, s3
	s_cbranch_execz .LBB31_783
; %bb.780:                              ;   in Loop: Header=BB31_3 Depth=1
	ds_load_b64 v[42:43], v49 offset:24976
	ds_load_b64 v[44:45], v50 offset:24960
	s_wait_dscnt 0x0
	v_fma_f64 v[42:43], v[42:43], v[44:45], 0
	s_and_saveexec_b32 s8, s13
	s_cbranch_execz .LBB31_782
; %bb.781:                              ;   in Loop: Header=BB31_3 Depth=1
	ds_load_b64 v[44:45], v51 offset:25488
	ds_load_b64 v[46:47], v1 offset:24968
	s_wait_dscnt 0x0
	v_fmac_f64_e32 v[42:43], v[44:45], v[46:47]
.LBB31_782:                             ;   in Loop: Header=BB31_3 Depth=1
	s_or_b32 exec_lo, exec_lo, s8
	s_delay_alu instid0(VALU_DEP_1)
	v_xor_b32_e32 v43, 0x80000000, v43
.LBB31_783:                             ;   in Loop: Header=BB31_3 Depth=1
	s_or_b32 exec_lo, exec_lo, s94
	s_and_saveexec_b32 s8, s103
; %bb.784:                              ;   in Loop: Header=BB31_3 Depth=1
	ds_store_b64 v48, v[42:43]
; %bb.785:                              ;   in Loop: Header=BB31_3 Depth=1
	s_or_b32 exec_lo, exec_lo, s8
	s_wait_dscnt 0x0
	s_barrier_signal -1
	s_barrier_wait -1
	s_and_saveexec_b32 s8, s104
	s_cbranch_execz .LBB31_787
; %bb.786:                              ;   in Loop: Header=BB31_3 Depth=1
	ds_load_b64 v[44:45], v1 offset:26008
	ds_load_b64 v[46:47], v48
	s_wait_dscnt 0x0
	v_fmac_f64_e32 v[42:43], v[44:45], v[46:47]
.LBB31_787:                             ;   in Loop: Header=BB31_3 Depth=1
	s_or_b32 exec_lo, exec_lo, s8
	s_barrier_signal -1
	s_barrier_wait -1
	s_and_saveexec_b32 s8, s104
; %bb.788:                              ;   in Loop: Header=BB31_3 Depth=1
	ds_store_b64 v48, v[42:43]
; %bb.789:                              ;   in Loop: Header=BB31_3 Depth=1
	s_or_b32 exec_lo, exec_lo, s8
	s_wait_dscnt 0x0
	s_barrier_signal -1
	s_barrier_wait -1
	s_barrier_signal -1
	s_barrier_wait -1
	s_and_saveexec_b32 s8, s3
; %bb.790:                              ;   in Loop: Header=BB31_3 Depth=1
	v_xor_b32_e32 v43, 0x80000000, v43
	ds_store_b64 v49, v[42:43] offset:24976
; %bb.791:                              ;   in Loop: Header=BB31_3 Depth=1
	s_or_b32 exec_lo, exec_lo, s8
	s_wait_dscnt 0x0
	s_barrier_signal -1
	s_barrier_wait -1
	s_barrier_signal -1
	s_barrier_wait -1
	s_and_saveexec_b32 s8, s12
; %bb.792:                              ;   in Loop: Header=BB31_3 Depth=1
	v_add_nc_u32_e64 v0, 0x6000, 0
	ds_store_2addr_b64 v0, v[30:31], v[30:31] offset0:178 offset1:243
; %bb.793:                              ;   in Loop: Header=BB31_3 Depth=1
	s_or_b32 exec_lo, exec_lo, s8
	v_mov_b64_e32 v[42:43], 0
	s_wait_dscnt 0x0
	s_barrier_signal -1
	s_barrier_wait -1
	s_and_saveexec_b32 s94, s4
	s_cbranch_execz .LBB31_799
; %bb.794:                              ;   in Loop: Header=BB31_3 Depth=1
	ds_load_b64 v[42:43], v55 offset:24992
	ds_load_b64 v[44:45], v53 offset:24960
	s_wait_dscnt 0x0
	v_fma_f64 v[42:43], v[42:43], v[44:45], 0
	s_and_saveexec_b32 s8, s14
	s_cbranch_execnz .LBB31_1045
; %bb.795:                              ;   in Loop: Header=BB31_3 Depth=1
	s_or_b32 exec_lo, exec_lo, s8
	s_and_saveexec_b32 s8, s15
	s_cbranch_execnz .LBB31_1046
.LBB31_796:                             ;   in Loop: Header=BB31_3 Depth=1
	s_or_b32 exec_lo, exec_lo, s8
	s_and_saveexec_b32 s8, s3
	s_cbranch_execz .LBB31_798
.LBB31_797:                             ;   in Loop: Header=BB31_3 Depth=1
	ds_load_b64 v[44:45], v51 offset:26528
	ds_load_b64 v[46:47], v1 offset:24984
	s_wait_dscnt 0x0
	v_fmac_f64_e32 v[42:43], v[44:45], v[46:47]
.LBB31_798:                             ;   in Loop: Header=BB31_3 Depth=1
	s_or_b32 exec_lo, exec_lo, s8
	s_delay_alu instid0(VALU_DEP_1)
	v_xor_b32_e32 v43, 0x80000000, v43
.LBB31_799:                             ;   in Loop: Header=BB31_3 Depth=1
	s_or_b32 exec_lo, exec_lo, s94
	s_and_saveexec_b32 s8, vcc_hi
; %bb.800:                              ;   in Loop: Header=BB31_3 Depth=1
	ds_store_b64 v54, v[42:43]
; %bb.801:                              ;   in Loop: Header=BB31_3 Depth=1
	s_or_b32 exec_lo, exec_lo, s8
	s_wait_dscnt 0x0
	s_barrier_signal -1
	s_barrier_wait -1
	s_and_saveexec_b32 s8, s34
	s_cbranch_execz .LBB31_803
; %bb.802:                              ;   in Loop: Header=BB31_3 Depth=1
	ds_load_b64 v[44:45], v52 offset:27040
	ds_load_b64 v[46:47], v54
	s_wait_dscnt 0x0
	v_fmac_f64_e32 v[42:43], v[44:45], v[46:47]
.LBB31_803:                             ;   in Loop: Header=BB31_3 Depth=1
	s_or_b32 exec_lo, exec_lo, s8
	s_barrier_signal -1
	s_barrier_wait -1
	s_and_saveexec_b32 s8, s35
; %bb.804:                              ;   in Loop: Header=BB31_3 Depth=1
	ds_store_b64 v54, v[42:43]
; %bb.805:                              ;   in Loop: Header=BB31_3 Depth=1
	s_or_b32 exec_lo, exec_lo, s8
	s_wait_dscnt 0x0
	s_barrier_signal -1
	s_barrier_wait -1
	s_and_saveexec_b32 s8, s36
	s_cbranch_execz .LBB31_807
; %bb.806:                              ;   in Loop: Header=BB31_3 Depth=1
	ds_load_b64 v[44:45], v52 offset:27552
	ds_load_b64 v[46:47], v54
	s_wait_dscnt 0x0
	v_fmac_f64_e32 v[42:43], v[44:45], v[46:47]
.LBB31_807:                             ;   in Loop: Header=BB31_3 Depth=1
	s_or_b32 exec_lo, exec_lo, s8
	s_barrier_signal -1
	s_barrier_wait -1
	s_and_saveexec_b32 s8, s37
	;; [unrolled: 19-line block ×3, first 2 shown]
; %bb.812:                              ;   in Loop: Header=BB31_3 Depth=1
	ds_store_b64 v54, v[42:43]
; %bb.813:                              ;   in Loop: Header=BB31_3 Depth=1
	s_or_b32 exec_lo, exec_lo, s8
	s_wait_dscnt 0x0
	s_barrier_signal -1
	s_barrier_wait -1
	s_barrier_signal -1
	s_barrier_wait -1
	s_and_saveexec_b32 s8, s4
; %bb.814:                              ;   in Loop: Header=BB31_3 Depth=1
	v_xor_b32_e32 v43, 0x80000000, v43
	ds_store_b64 v55, v[42:43] offset:24992
; %bb.815:                              ;   in Loop: Header=BB31_3 Depth=1
	s_or_b32 exec_lo, exec_lo, s8
	s_wait_dscnt 0x0
	s_barrier_signal -1
	s_barrier_wait -1
	s_barrier_signal -1
	s_barrier_wait -1
	s_and_saveexec_b32 s8, s12
; %bb.816:                              ;   in Loop: Header=BB31_3 Depth=1
	v_add_nc_u32_e64 v0, 0x6800, 0
	ds_store_2addr_b64 v0, v[30:31], v[30:31] offset0:52 offset1:117
; %bb.817:                              ;   in Loop: Header=BB31_3 Depth=1
	s_or_b32 exec_lo, exec_lo, s8
	v_mov_b64_e32 v[42:43], 0
	s_wait_dscnt 0x0
	s_barrier_signal -1
	s_barrier_wait -1
	s_and_saveexec_b32 s94, s3
	s_cbranch_execz .LBB31_821
; %bb.818:                              ;   in Loop: Header=BB31_3 Depth=1
	ds_load_b64 v[42:43], v49 offset:27056
	ds_load_b64 v[44:45], v50 offset:27040
	s_wait_dscnt 0x0
	v_fma_f64 v[42:43], v[42:43], v[44:45], 0
	s_and_saveexec_b32 s8, s13
	s_cbranch_execz .LBB31_820
; %bb.819:                              ;   in Loop: Header=BB31_3 Depth=1
	ds_load_b64 v[44:45], v51 offset:27568
	ds_load_b64 v[46:47], v1 offset:27048
	s_wait_dscnt 0x0
	v_fmac_f64_e32 v[42:43], v[44:45], v[46:47]
.LBB31_820:                             ;   in Loop: Header=BB31_3 Depth=1
	s_or_b32 exec_lo, exec_lo, s8
	s_delay_alu instid0(VALU_DEP_1)
	v_xor_b32_e32 v43, 0x80000000, v43
.LBB31_821:                             ;   in Loop: Header=BB31_3 Depth=1
	s_or_b32 exec_lo, exec_lo, s94
	s_and_saveexec_b32 s8, s103
; %bb.822:                              ;   in Loop: Header=BB31_3 Depth=1
	ds_store_b64 v48, v[42:43]
; %bb.823:                              ;   in Loop: Header=BB31_3 Depth=1
	s_or_b32 exec_lo, exec_lo, s8
	s_wait_dscnt 0x0
	s_barrier_signal -1
	s_barrier_wait -1
	s_and_saveexec_b32 s8, s104
	s_cbranch_execz .LBB31_825
; %bb.824:                              ;   in Loop: Header=BB31_3 Depth=1
	ds_load_b64 v[44:45], v1 offset:28088
	ds_load_b64 v[46:47], v48
	s_wait_dscnt 0x0
	v_fmac_f64_e32 v[42:43], v[44:45], v[46:47]
.LBB31_825:                             ;   in Loop: Header=BB31_3 Depth=1
	s_or_b32 exec_lo, exec_lo, s8
	s_barrier_signal -1
	s_barrier_wait -1
	s_and_saveexec_b32 s8, s104
; %bb.826:                              ;   in Loop: Header=BB31_3 Depth=1
	ds_store_b64 v48, v[42:43]
; %bb.827:                              ;   in Loop: Header=BB31_3 Depth=1
	s_or_b32 exec_lo, exec_lo, s8
	s_wait_dscnt 0x0
	s_barrier_signal -1
	s_barrier_wait -1
	s_barrier_signal -1
	s_barrier_wait -1
	s_and_saveexec_b32 s8, s3
; %bb.828:                              ;   in Loop: Header=BB31_3 Depth=1
	v_xor_b32_e32 v43, 0x80000000, v43
	ds_store_b64 v49, v[42:43] offset:27056
; %bb.829:                              ;   in Loop: Header=BB31_3 Depth=1
	s_or_b32 exec_lo, exec_lo, s8
	s_wait_dscnt 0x0
	s_barrier_signal -1
	s_barrier_wait -1
	s_barrier_signal -1
	s_barrier_wait -1
	s_and_saveexec_b32 s8, s12
; %bb.830:                              ;   in Loop: Header=BB31_3 Depth=1
	v_add_nc_u32_e64 v0, 0x6800, 0
	ds_store_2addr_b64 v0, v[30:31], v[30:31] offset0:182 offset1:247
; %bb.831:                              ;   in Loop: Header=BB31_3 Depth=1
	s_or_b32 exec_lo, exec_lo, s8
	v_mov_b64_e32 v[42:43], 0
	s_wait_dscnt 0x0
	s_barrier_signal -1
	s_barrier_wait -1
	s_and_saveexec_b32 s94, s5
	s_cbranch_execz .LBB31_841
; %bb.832:                              ;   in Loop: Header=BB31_3 Depth=1
	ds_load_b64 v[42:43], v60 offset:25024
	ds_load_b64 v[44:45], v57 offset:24960
	s_wait_dscnt 0x0
	v_fma_f64 v[42:43], v[42:43], v[44:45], 0
	s_and_saveexec_b32 s8, s16
	s_cbranch_execnz .LBB31_1047
; %bb.833:                              ;   in Loop: Header=BB31_3 Depth=1
	s_or_b32 exec_lo, exec_lo, s8
	s_and_saveexec_b32 s8, s17
	s_cbranch_execnz .LBB31_1048
.LBB31_834:                             ;   in Loop: Header=BB31_3 Depth=1
	s_or_b32 exec_lo, exec_lo, s8
	s_and_saveexec_b32 s8, s18
	s_cbranch_execnz .LBB31_1049
.LBB31_835:                             ;   in Loop: Header=BB31_3 Depth=1
	s_or_b32 exec_lo, exec_lo, s8
	s_and_saveexec_b32 s8, s19
	s_cbranch_execnz .LBB31_1050
.LBB31_836:                             ;   in Loop: Header=BB31_3 Depth=1
	s_or_b32 exec_lo, exec_lo, s8
	s_and_saveexec_b32 s8, s20
	s_cbranch_execnz .LBB31_1051
.LBB31_837:                             ;   in Loop: Header=BB31_3 Depth=1
	s_or_b32 exec_lo, exec_lo, s8
	s_and_saveexec_b32 s8, s4
	s_cbranch_execnz .LBB31_1052
.LBB31_838:                             ;   in Loop: Header=BB31_3 Depth=1
	s_or_b32 exec_lo, exec_lo, s8
	s_and_saveexec_b32 s8, s15
	s_cbranch_execz .LBB31_840
.LBB31_839:                             ;   in Loop: Header=BB31_3 Depth=1
	ds_load_b64 v[44:45], v51 offset:28608
	ds_load_b64 v[46:47], v1 offset:25016
	s_wait_dscnt 0x0
	v_fmac_f64_e32 v[42:43], v[44:45], v[46:47]
.LBB31_840:                             ;   in Loop: Header=BB31_3 Depth=1
	s_or_b32 exec_lo, exec_lo, s8
	s_delay_alu instid0(VALU_DEP_1)
	v_xor_b32_e32 v43, 0x80000000, v43
.LBB31_841:                             ;   in Loop: Header=BB31_3 Depth=1
	s_or_b32 exec_lo, exec_lo, s94
	s_and_saveexec_b32 s8, s39
; %bb.842:                              ;   in Loop: Header=BB31_3 Depth=1
	ds_store_b64 v59, v[42:43]
; %bb.843:                              ;   in Loop: Header=BB31_3 Depth=1
	s_or_b32 exec_lo, exec_lo, s8
	s_wait_dscnt 0x0
	s_barrier_signal -1
	s_barrier_wait -1
	s_and_saveexec_b32 s8, s40
	s_cbranch_execz .LBB31_845
; %bb.844:                              ;   in Loop: Header=BB31_3 Depth=1
	ds_load_b64 v[44:45], v58 offset:29120
	ds_load_b64 v[46:47], v59
	s_wait_dscnt 0x0
	v_fmac_f64_e32 v[42:43], v[44:45], v[46:47]
.LBB31_845:                             ;   in Loop: Header=BB31_3 Depth=1
	s_or_b32 exec_lo, exec_lo, s8
	s_barrier_signal -1
	s_barrier_wait -1
	s_and_saveexec_b32 s8, s41
; %bb.846:                              ;   in Loop: Header=BB31_3 Depth=1
	ds_store_b64 v59, v[42:43]
; %bb.847:                              ;   in Loop: Header=BB31_3 Depth=1
	s_or_b32 exec_lo, exec_lo, s8
	s_wait_dscnt 0x0
	s_barrier_signal -1
	s_barrier_wait -1
	s_and_saveexec_b32 s8, s42
	s_cbranch_execz .LBB31_849
; %bb.848:                              ;   in Loop: Header=BB31_3 Depth=1
	ds_load_b64 v[44:45], v58 offset:29632
	ds_load_b64 v[46:47], v59
	s_wait_dscnt 0x0
	v_fmac_f64_e32 v[42:43], v[44:45], v[46:47]
.LBB31_849:                             ;   in Loop: Header=BB31_3 Depth=1
	s_or_b32 exec_lo, exec_lo, s8
	s_barrier_signal -1
	s_barrier_wait -1
	s_and_saveexec_b32 s8, s43
; %bb.850:                              ;   in Loop: Header=BB31_3 Depth=1
	ds_store_b64 v59, v[42:43]
; %bb.851:                              ;   in Loop: Header=BB31_3 Depth=1
	s_or_b32 exec_lo, exec_lo, s8
	s_wait_dscnt 0x0
	s_barrier_signal -1
	s_barrier_wait -1
	s_and_saveexec_b32 s8, s44
	s_cbranch_execz .LBB31_853
; %bb.852:                              ;   in Loop: Header=BB31_3 Depth=1
	ds_load_b64 v[44:45], v58 offset:30144
	ds_load_b64 v[46:47], v59
	s_wait_dscnt 0x0
	v_fmac_f64_e32 v[42:43], v[44:45], v[46:47]
.LBB31_853:                             ;   in Loop: Header=BB31_3 Depth=1
	s_or_b32 exec_lo, exec_lo, s8
	s_barrier_signal -1
	s_barrier_wait -1
	s_and_saveexec_b32 s8, s45
; %bb.854:                              ;   in Loop: Header=BB31_3 Depth=1
	ds_store_b64 v59, v[42:43]
; %bb.855:                              ;   in Loop: Header=BB31_3 Depth=1
	s_or_b32 exec_lo, exec_lo, s8
	s_wait_dscnt 0x0
	s_barrier_signal -1
	s_barrier_wait -1
	s_and_saveexec_b32 s8, s46
	s_cbranch_execz .LBB31_857
; %bb.856:                              ;   in Loop: Header=BB31_3 Depth=1
	ds_load_b64 v[44:45], v58 offset:30656
	ds_load_b64 v[46:47], v59
	s_wait_dscnt 0x0
	v_fmac_f64_e32 v[42:43], v[44:45], v[46:47]
.LBB31_857:                             ;   in Loop: Header=BB31_3 Depth=1
	s_or_b32 exec_lo, exec_lo, s8
	s_barrier_signal -1
	s_barrier_wait -1
	s_and_saveexec_b32 s8, s47
; %bb.858:                              ;   in Loop: Header=BB31_3 Depth=1
	ds_store_b64 v59, v[42:43]
; %bb.859:                              ;   in Loop: Header=BB31_3 Depth=1
	s_or_b32 exec_lo, exec_lo, s8
	s_wait_dscnt 0x0
	s_barrier_signal -1
	s_barrier_wait -1
	s_and_saveexec_b32 s8, s48
	s_cbranch_execz .LBB31_861
; %bb.860:                              ;   in Loop: Header=BB31_3 Depth=1
	ds_load_b64 v[44:45], v58 offset:31168
	ds_load_b64 v[46:47], v59
	s_wait_dscnt 0x0
	v_fmac_f64_e32 v[42:43], v[44:45], v[46:47]
.LBB31_861:                             ;   in Loop: Header=BB31_3 Depth=1
	s_or_b32 exec_lo, exec_lo, s8
	s_barrier_signal -1
	s_barrier_wait -1
	s_and_saveexec_b32 s8, s49
; %bb.862:                              ;   in Loop: Header=BB31_3 Depth=1
	ds_store_b64 v59, v[42:43]
; %bb.863:                              ;   in Loop: Header=BB31_3 Depth=1
	s_or_b32 exec_lo, exec_lo, s8
	s_wait_dscnt 0x0
	s_barrier_signal -1
	s_barrier_wait -1
	s_and_saveexec_b32 s8, s50
	s_cbranch_execz .LBB31_865
; %bb.864:                              ;   in Loop: Header=BB31_3 Depth=1
	ds_load_b64 v[44:45], v58 offset:31680
	ds_load_b64 v[46:47], v59
	s_wait_dscnt 0x0
	v_fmac_f64_e32 v[42:43], v[44:45], v[46:47]
.LBB31_865:                             ;   in Loop: Header=BB31_3 Depth=1
	s_or_b32 exec_lo, exec_lo, s8
	s_barrier_signal -1
	s_barrier_wait -1
	s_and_saveexec_b32 s8, s51
; %bb.866:                              ;   in Loop: Header=BB31_3 Depth=1
	ds_store_b64 v59, v[42:43]
; %bb.867:                              ;   in Loop: Header=BB31_3 Depth=1
	s_or_b32 exec_lo, exec_lo, s8
	s_wait_dscnt 0x0
	s_barrier_signal -1
	s_barrier_wait -1
	s_and_saveexec_b32 s8, s52
	s_cbranch_execz .LBB31_869
; %bb.868:                              ;   in Loop: Header=BB31_3 Depth=1
	ds_load_b64 v[44:45], v1 offset:32248
	ds_load_b64 v[46:47], v59
	s_wait_dscnt 0x0
	v_fmac_f64_e32 v[42:43], v[44:45], v[46:47]
.LBB31_869:                             ;   in Loop: Header=BB31_3 Depth=1
	s_or_b32 exec_lo, exec_lo, s8
	s_barrier_signal -1
	s_barrier_wait -1
	s_and_saveexec_b32 s8, s52
; %bb.870:                              ;   in Loop: Header=BB31_3 Depth=1
	ds_store_b64 v59, v[42:43]
; %bb.871:                              ;   in Loop: Header=BB31_3 Depth=1
	s_or_b32 exec_lo, exec_lo, s8
	s_wait_dscnt 0x0
	s_barrier_signal -1
	s_barrier_wait -1
	s_barrier_signal -1
	s_barrier_wait -1
	s_and_saveexec_b32 s8, s5
; %bb.872:                              ;   in Loop: Header=BB31_3 Depth=1
	v_xor_b32_e32 v43, 0x80000000, v43
	ds_store_b64 v60, v[42:43] offset:25024
; %bb.873:                              ;   in Loop: Header=BB31_3 Depth=1
	s_or_b32 exec_lo, exec_lo, s8
	s_wait_dscnt 0x0
	s_barrier_signal -1
	s_barrier_wait -1
	s_barrier_signal -1
	s_barrier_wait -1
	s_and_saveexec_b32 s8, s12
; %bb.874:                              ;   in Loop: Header=BB31_3 Depth=1
	v_add_nc_u32_e64 v0, 0x7000, 0
	ds_store_2addr_b64 v0, v[30:31], v[30:31] offset0:56 offset1:121
; %bb.875:                              ;   in Loop: Header=BB31_3 Depth=1
	s_or_b32 exec_lo, exec_lo, s8
	v_mov_b64_e32 v[42:43], 0
	s_wait_dscnt 0x0
	s_barrier_signal -1
	s_barrier_wait -1
	s_and_saveexec_b32 s94, s3
	s_cbranch_execz .LBB31_879
; %bb.876:                              ;   in Loop: Header=BB31_3 Depth=1
	ds_load_b64 v[42:43], v49 offset:29136
	ds_load_b64 v[44:45], v50 offset:29120
	s_wait_dscnt 0x0
	v_fma_f64 v[42:43], v[42:43], v[44:45], 0
	s_and_saveexec_b32 s8, s13
	s_cbranch_execz .LBB31_878
; %bb.877:                              ;   in Loop: Header=BB31_3 Depth=1
	ds_load_b64 v[44:45], v51 offset:29648
	ds_load_b64 v[46:47], v1 offset:29128
	s_wait_dscnt 0x0
	v_fmac_f64_e32 v[42:43], v[44:45], v[46:47]
.LBB31_878:                             ;   in Loop: Header=BB31_3 Depth=1
	s_or_b32 exec_lo, exec_lo, s8
	s_delay_alu instid0(VALU_DEP_1)
	v_xor_b32_e32 v43, 0x80000000, v43
.LBB31_879:                             ;   in Loop: Header=BB31_3 Depth=1
	s_or_b32 exec_lo, exec_lo, s94
	s_and_saveexec_b32 s8, s103
; %bb.880:                              ;   in Loop: Header=BB31_3 Depth=1
	ds_store_b64 v48, v[42:43]
; %bb.881:                              ;   in Loop: Header=BB31_3 Depth=1
	s_or_b32 exec_lo, exec_lo, s8
	s_wait_dscnt 0x0
	s_barrier_signal -1
	s_barrier_wait -1
	s_and_saveexec_b32 s8, s104
	s_cbranch_execz .LBB31_883
; %bb.882:                              ;   in Loop: Header=BB31_3 Depth=1
	ds_load_b64 v[44:45], v1 offset:30168
	ds_load_b64 v[46:47], v48
	s_wait_dscnt 0x0
	v_fmac_f64_e32 v[42:43], v[44:45], v[46:47]
.LBB31_883:                             ;   in Loop: Header=BB31_3 Depth=1
	s_or_b32 exec_lo, exec_lo, s8
	s_barrier_signal -1
	s_barrier_wait -1
	s_and_saveexec_b32 s8, s104
; %bb.884:                              ;   in Loop: Header=BB31_3 Depth=1
	ds_store_b64 v48, v[42:43]
; %bb.885:                              ;   in Loop: Header=BB31_3 Depth=1
	s_or_b32 exec_lo, exec_lo, s8
	s_wait_dscnt 0x0
	s_barrier_signal -1
	s_barrier_wait -1
	s_barrier_signal -1
	s_barrier_wait -1
	s_and_saveexec_b32 s8, s3
; %bb.886:                              ;   in Loop: Header=BB31_3 Depth=1
	v_xor_b32_e32 v43, 0x80000000, v43
	ds_store_b64 v49, v[42:43] offset:29136
; %bb.887:                              ;   in Loop: Header=BB31_3 Depth=1
	s_or_b32 exec_lo, exec_lo, s8
	s_wait_dscnt 0x0
	s_barrier_signal -1
	s_barrier_wait -1
	s_barrier_signal -1
	s_barrier_wait -1
	s_and_saveexec_b32 s8, s12
; %bb.888:                              ;   in Loop: Header=BB31_3 Depth=1
	v_add_nc_u32_e64 v0, 0x7000, 0
	ds_store_2addr_b64 v0, v[30:31], v[30:31] offset0:186 offset1:251
; %bb.889:                              ;   in Loop: Header=BB31_3 Depth=1
	s_or_b32 exec_lo, exec_lo, s8
	v_mov_b64_e32 v[42:43], 0
	s_wait_dscnt 0x0
	s_barrier_signal -1
	s_barrier_wait -1
	s_and_saveexec_b32 s94, s4
	s_cbranch_execz .LBB31_895
; %bb.890:                              ;   in Loop: Header=BB31_3 Depth=1
	ds_load_b64 v[42:43], v55 offset:29152
	ds_load_b64 v[44:45], v53 offset:29120
	s_wait_dscnt 0x0
	v_fma_f64 v[42:43], v[42:43], v[44:45], 0
	s_and_saveexec_b32 s8, s14
	s_cbranch_execnz .LBB31_1053
; %bb.891:                              ;   in Loop: Header=BB31_3 Depth=1
	s_or_b32 exec_lo, exec_lo, s8
	s_and_saveexec_b32 s8, s15
	s_cbranch_execnz .LBB31_1054
.LBB31_892:                             ;   in Loop: Header=BB31_3 Depth=1
	s_or_b32 exec_lo, exec_lo, s8
	s_and_saveexec_b32 s8, s3
	s_cbranch_execz .LBB31_894
.LBB31_893:                             ;   in Loop: Header=BB31_3 Depth=1
	ds_load_b64 v[44:45], v51 offset:30688
	ds_load_b64 v[46:47], v1 offset:29144
	s_wait_dscnt 0x0
	v_fmac_f64_e32 v[42:43], v[44:45], v[46:47]
.LBB31_894:                             ;   in Loop: Header=BB31_3 Depth=1
	s_or_b32 exec_lo, exec_lo, s8
	s_delay_alu instid0(VALU_DEP_1)
	v_xor_b32_e32 v43, 0x80000000, v43
.LBB31_895:                             ;   in Loop: Header=BB31_3 Depth=1
	s_or_b32 exec_lo, exec_lo, s94
	s_and_saveexec_b32 s8, vcc_hi
; %bb.896:                              ;   in Loop: Header=BB31_3 Depth=1
	ds_store_b64 v54, v[42:43]
; %bb.897:                              ;   in Loop: Header=BB31_3 Depth=1
	s_or_b32 exec_lo, exec_lo, s8
	s_wait_dscnt 0x0
	s_barrier_signal -1
	s_barrier_wait -1
	s_and_saveexec_b32 s8, s34
	s_cbranch_execz .LBB31_899
; %bb.898:                              ;   in Loop: Header=BB31_3 Depth=1
	ds_load_b64 v[44:45], v52 offset:31200
	ds_load_b64 v[46:47], v54
	s_wait_dscnt 0x0
	v_fmac_f64_e32 v[42:43], v[44:45], v[46:47]
.LBB31_899:                             ;   in Loop: Header=BB31_3 Depth=1
	s_or_b32 exec_lo, exec_lo, s8
	s_barrier_signal -1
	s_barrier_wait -1
	s_and_saveexec_b32 s8, s35
; %bb.900:                              ;   in Loop: Header=BB31_3 Depth=1
	ds_store_b64 v54, v[42:43]
; %bb.901:                              ;   in Loop: Header=BB31_3 Depth=1
	s_or_b32 exec_lo, exec_lo, s8
	s_wait_dscnt 0x0
	s_barrier_signal -1
	s_barrier_wait -1
	s_and_saveexec_b32 s8, s36
	s_cbranch_execz .LBB31_903
; %bb.902:                              ;   in Loop: Header=BB31_3 Depth=1
	ds_load_b64 v[44:45], v52 offset:31712
	ds_load_b64 v[46:47], v54
	s_wait_dscnt 0x0
	v_fmac_f64_e32 v[42:43], v[44:45], v[46:47]
.LBB31_903:                             ;   in Loop: Header=BB31_3 Depth=1
	s_or_b32 exec_lo, exec_lo, s8
	s_barrier_signal -1
	s_barrier_wait -1
	s_and_saveexec_b32 s8, s37
	;; [unrolled: 19-line block ×3, first 2 shown]
; %bb.908:                              ;   in Loop: Header=BB31_3 Depth=1
	ds_store_b64 v54, v[42:43]
; %bb.909:                              ;   in Loop: Header=BB31_3 Depth=1
	s_or_b32 exec_lo, exec_lo, s8
	s_wait_dscnt 0x0
	s_barrier_signal -1
	s_barrier_wait -1
	s_barrier_signal -1
	s_barrier_wait -1
	s_and_saveexec_b32 s8, s4
; %bb.910:                              ;   in Loop: Header=BB31_3 Depth=1
	v_xor_b32_e32 v43, 0x80000000, v43
	ds_store_b64 v55, v[42:43] offset:29152
; %bb.911:                              ;   in Loop: Header=BB31_3 Depth=1
	s_or_b32 exec_lo, exec_lo, s8
	s_wait_dscnt 0x0
	s_barrier_signal -1
	s_barrier_wait -1
	s_barrier_signal -1
	s_barrier_wait -1
	s_and_saveexec_b32 s8, s12
; %bb.912:                              ;   in Loop: Header=BB31_3 Depth=1
	v_add_nc_u32_e64 v0, 0x7800, 0
	ds_store_2addr_b64 v0, v[30:31], v[30:31] offset0:60 offset1:125
; %bb.913:                              ;   in Loop: Header=BB31_3 Depth=1
	s_or_b32 exec_lo, exec_lo, s8
	v_mov_b64_e32 v[42:43], 0
	s_wait_dscnt 0x0
	s_barrier_signal -1
	s_barrier_wait -1
	s_and_saveexec_b32 s94, s3
	s_cbranch_execz .LBB31_917
; %bb.914:                              ;   in Loop: Header=BB31_3 Depth=1
	ds_load_b64 v[42:43], v49 offset:31216
	ds_load_b64 v[44:45], v50 offset:31200
	s_wait_dscnt 0x0
	v_fma_f64 v[42:43], v[42:43], v[44:45], 0
	s_and_saveexec_b32 s8, s13
	s_cbranch_execz .LBB31_916
; %bb.915:                              ;   in Loop: Header=BB31_3 Depth=1
	ds_load_b64 v[44:45], v51 offset:31728
	ds_load_b64 v[46:47], v1 offset:31208
	s_wait_dscnt 0x0
	v_fmac_f64_e32 v[42:43], v[44:45], v[46:47]
.LBB31_916:                             ;   in Loop: Header=BB31_3 Depth=1
	s_or_b32 exec_lo, exec_lo, s8
	s_delay_alu instid0(VALU_DEP_1)
	v_xor_b32_e32 v43, 0x80000000, v43
.LBB31_917:                             ;   in Loop: Header=BB31_3 Depth=1
	s_or_b32 exec_lo, exec_lo, s94
	s_and_saveexec_b32 s8, s103
; %bb.918:                              ;   in Loop: Header=BB31_3 Depth=1
	ds_store_b64 v48, v[42:43]
; %bb.919:                              ;   in Loop: Header=BB31_3 Depth=1
	s_or_b32 exec_lo, exec_lo, s8
	s_wait_dscnt 0x0
	s_barrier_signal -1
	s_barrier_wait -1
	s_and_saveexec_b32 s8, s104
	s_cbranch_execz .LBB31_921
; %bb.920:                              ;   in Loop: Header=BB31_3 Depth=1
	ds_load_b64 v[44:45], v1 offset:32248
	ds_load_b64 v[46:47], v48
	s_wait_dscnt 0x0
	v_fmac_f64_e32 v[42:43], v[44:45], v[46:47]
.LBB31_921:                             ;   in Loop: Header=BB31_3 Depth=1
	s_or_b32 exec_lo, exec_lo, s8
	s_barrier_signal -1
	s_barrier_wait -1
	s_and_saveexec_b32 s8, s104
; %bb.922:                              ;   in Loop: Header=BB31_3 Depth=1
	ds_store_b64 v48, v[42:43]
; %bb.923:                              ;   in Loop: Header=BB31_3 Depth=1
	s_or_b32 exec_lo, exec_lo, s8
	s_wait_dscnt 0x0
	s_barrier_signal -1
	s_barrier_wait -1
	s_barrier_signal -1
	s_barrier_wait -1
	s_and_saveexec_b32 s8, s3
; %bb.924:                              ;   in Loop: Header=BB31_3 Depth=1
	v_xor_b32_e32 v43, 0x80000000, v43
	ds_store_b64 v49, v[42:43] offset:31216
; %bb.925:                              ;   in Loop: Header=BB31_3 Depth=1
	s_or_b32 exec_lo, exec_lo, s8
	s_wait_dscnt 0x0
	s_barrier_signal -1
	s_barrier_wait -1
	s_barrier_signal -1
	s_barrier_wait -1
	s_and_saveexec_b32 s8, s12
; %bb.926:                              ;   in Loop: Header=BB31_3 Depth=1
	v_add_nc_u32_e64 v0, 0x7800, 0
	ds_store_2addr_b64 v0, v[30:31], v[30:31] offset0:190 offset1:255
; %bb.927:                              ;   in Loop: Header=BB31_3 Depth=1
	s_or_b32 exec_lo, exec_lo, s8
.LBB31_928:                             ;   in Loop: Header=BB31_3 Depth=1
	v_readlane_b32 s94, v85, 3
	v_mov_b64_e32 v[42:43], 0
	v_readlane_b32 s95, v85, 4
	s_mul_u64 s[8:9], s[80:81], s[84:85]
	s_wait_dscnt 0x0
	s_lshl_b64 s[8:9], s[8:9], 3
	s_barrier_signal -1
	s_add_nc_u64 s[94:95], s[94:95], s[8:9]
	s_barrier_wait -1
	s_and_saveexec_b32 s8, s55
	s_cbranch_execz .LBB31_930
; %bb.929:                              ;   in Loop: Header=BB31_3 Depth=1
	v_lshl_add_u64 v[42:43], v[12:13], 3, s[94:95]
	global_load_b64 v[42:43], v[42:43], off
	s_wait_loadcnt 0x0
	v_mul_f64_e64 v[42:43], v[42:43], -v[40:41]
.LBB31_930:                             ;   in Loop: Header=BB31_3 Depth=1
	s_or_b32 exec_lo, exec_lo, s8
	s_delay_alu instid0(SALU_CYCLE_1)
	s_and_not1_b32 vcc_lo, exec_lo, s56
	s_cbranch_vccnz .LBB31_956
; %bb.931:                              ;   in Loop: Header=BB31_3 Depth=1
	v_lshl_add_u64 v[40:41], v[8:9], 3, s[0:1]
	v_mov_b32_e32 v80, -1
	s_lshl_b64 s[8:9], s[84:85], 2
	s_mov_b32 s1, 0
	s_add_nc_u64 s[96:97], s[82:83], s[8:9]
	s_branch .LBB31_934
.LBB31_932:                             ;   in Loop: Header=BB31_934 Depth=2
	s_wait_xcnt 0x0
	ds_load_b64 v[44:45], v73 offset:384
	s_wait_loadcnt_dscnt 0x0
	v_fmac_f64_e32 v[42:43], v[46:47], v[44:45]
.LBB31_933:                             ;   in Loop: Header=BB31_934 Depth=2
	s_or_b32 exec_lo, exec_lo, s0
	s_add_co_i32 s1, s1, 1
	s_delay_alu instid0(SALU_CYCLE_1)
	s_cmp_eq_u32 s1, s67
	s_cbranch_scc1 .LBB31_956
.LBB31_934:                             ;   Parent Loop BB31_3 Depth=1
                                        ; =>  This Loop Header: Depth=2
                                        ;       Child Loop BB31_936 Depth 3
	v_cmp_gt_i32_e32 vcc_lo, s1, v80
	s_and_b32 s8, s57, vcc_lo
	s_delay_alu instid0(SALU_CYCLE_1)
	s_and_saveexec_b32 s0, s8
	s_cbranch_execz .LBB31_937
; %bb.935:                              ;   in Loop: Header=BB31_934 Depth=2
	global_load_b32 v80, v1, s[96:97]
	s_wait_loadcnt 0x0
	v_cmp_le_i32_e32 vcc_lo, s1, v80
	s_cbranch_vccnz .LBB31_937
.LBB31_936:                             ;   Parent Loop BB31_3 Depth=1
                                        ;     Parent Loop BB31_934 Depth=2
                                        ; =>    This Inner Loop Header: Depth=3
	global_wb scope:SCOPE_DEV
	s_wait_storecnt 0x0
	global_inv scope:SCOPE_DEV
	global_load_b32 v80, v1, s[96:97]
	s_wait_loadcnt 0x0
	v_cmp_gt_i32_e32 vcc_lo, s1, v80
	s_cbranch_vccnz .LBB31_936
.LBB31_937:                             ;   in Loop: Header=BB31_934 Depth=2
	s_or_b32 exec_lo, exec_lo, s0
	s_lshl_b32 s0, s1, 6
	global_wb scope:SCOPE_DEV
	s_wait_storecnt 0x0
	global_inv scope:SCOPE_DEV
	s_wait_loadcnt 0x0
	s_barrier_signal -1
	s_barrier_wait -1
	s_and_saveexec_b32 s8, s58
	s_cbranch_execz .LBB31_941
; %bb.938:                              ;   in Loop: Header=BB31_934 Depth=2
	v_mov_b64_e32 v[44:45], 0
	v_or_b32_e32 v0, s0, v6
	s_mov_b32 s9, exec_lo
	s_delay_alu instid0(VALU_DEP_1)
	v_cmpx_gt_i32_e64 s99, v0
	s_cbranch_execz .LBB31_940
; %bb.939:                              ;   in Loop: Header=BB31_934 Depth=2
	v_mul_u64_e32 v[44:45], s[78:79], v[0:1]
	s_delay_alu instid0(VALU_DEP_1)
	v_lshl_add_u64 v[44:45], v[44:45], 3, s[94:95]
	global_load_b64 v[44:45], v[44:45], off
.LBB31_940:                             ;   in Loop: Header=BB31_934 Depth=2
	s_wait_xcnt 0x0
	s_or_b32 exec_lo, exec_lo, s9
	s_wait_loadcnt 0x0
	ds_store_b64 v72, v[44:45]
.LBB31_941:                             ;   in Loop: Header=BB31_934 Depth=2
	s_or_b32 exec_lo, exec_lo, s8
	v_add_nc_u32_e32 v0, s0, v2
	v_cmp_ne_u32_e32 vcc_lo, s1, v5
	s_wait_dscnt 0x0
	s_barrier_signal -1
	s_barrier_wait -1
	v_mul_u64_e32 v[44:45], s[68:69], v[0:1]
	v_cmp_gt_i32_e64 s0, s99, v0
	v_cndmask_b32_e64 v81, 0, 1, vcc_lo
	s_and_b32 s8, s2, s0
	v_lshl_add_u64 v[44:45], v[44:45], 3, v[40:41]
	s_and_saveexec_b32 s0, s8
	s_cbranch_execz .LBB31_945
; %bb.942:                              ;   in Loop: Header=BB31_934 Depth=2
	v_mov_b64_e32 v[46:47], v[32:33]
	s_and_not1_b32 vcc_lo, exec_lo, vcc_lo
	s_cbranch_vccnz .LBB31_944
; %bb.943:                              ;   in Loop: Header=BB31_934 Depth=2
	global_load_b64 v[46:47], v[44:45], off
.LBB31_944:                             ;   in Loop: Header=BB31_934 Depth=2
	ds_load_b64 v[82:83], v73
	s_wait_loadcnt_dscnt 0x0
	v_fmac_f64_e32 v[42:43], v[46:47], v[82:83]
.LBB31_945:                             ;   in Loop: Header=BB31_934 Depth=2
	s_or_b32 exec_lo, exec_lo, s0
	v_add_nc_u32_e32 v46, 16, v0
	s_delay_alu instid0(VALU_DEP_1) | instskip(SKIP_1) | instid1(SALU_CYCLE_1)
	v_cmp_gt_i32_e32 vcc_lo, s99, v46
	s_and_b32 s8, s2, vcc_lo
	s_and_saveexec_b32 s0, s8
	s_cbranch_execz .LBB31_949
; %bb.946:                              ;   in Loop: Header=BB31_934 Depth=2
	v_cmp_ne_u32_e32 vcc_lo, 1, v81
	v_mov_b64_e32 v[46:47], v[34:35]
	s_cbranch_vccnz .LBB31_948
; %bb.947:                              ;   in Loop: Header=BB31_934 Depth=2
	v_add_nc_u64_e32 v[46:47], s[88:89], v[44:45]
	global_load_b64 v[46:47], v[46:47], off
.LBB31_948:                             ;   in Loop: Header=BB31_934 Depth=2
	ds_load_b64 v[82:83], v73 offset:128
	s_wait_loadcnt_dscnt 0x0
	v_fmac_f64_e32 v[42:43], v[46:47], v[82:83]
.LBB31_949:                             ;   in Loop: Header=BB31_934 Depth=2
	s_or_b32 exec_lo, exec_lo, s0
	v_add_nc_u32_e32 v46, 32, v0
	s_delay_alu instid0(VALU_DEP_1) | instskip(SKIP_1) | instid1(SALU_CYCLE_1)
	v_cmp_gt_i32_e32 vcc_lo, s99, v46
	s_and_b32 s8, s2, vcc_lo
	s_and_saveexec_b32 s0, s8
	s_cbranch_execz .LBB31_953
; %bb.950:                              ;   in Loop: Header=BB31_934 Depth=2
	v_cmp_ne_u32_e32 vcc_lo, 1, v81
	v_mov_b64_e32 v[46:47], v[36:37]
	s_cbranch_vccnz .LBB31_952
; %bb.951:                              ;   in Loop: Header=BB31_934 Depth=2
	v_add_nc_u64_e32 v[46:47], s[90:91], v[44:45]
	global_load_b64 v[46:47], v[46:47], off
.LBB31_952:                             ;   in Loop: Header=BB31_934 Depth=2
	ds_load_b64 v[82:83], v73 offset:256
	s_wait_loadcnt_dscnt 0x0
	v_fmac_f64_e32 v[42:43], v[46:47], v[82:83]
.LBB31_953:                             ;   in Loop: Header=BB31_934 Depth=2
	s_or_b32 exec_lo, exec_lo, s0
	v_add_nc_u32_e32 v0, 48, v0
	s_delay_alu instid0(VALU_DEP_1) | instskip(SKIP_1) | instid1(SALU_CYCLE_1)
	v_cmp_gt_i32_e32 vcc_lo, s99, v0
	s_and_b32 s8, s2, vcc_lo
	s_and_saveexec_b32 s0, s8
	s_cbranch_execz .LBB31_933
; %bb.954:                              ;   in Loop: Header=BB31_934 Depth=2
	v_cmp_ne_u32_e32 vcc_lo, 1, v81
	v_mov_b64_e32 v[46:47], v[38:39]
	s_cbranch_vccnz .LBB31_932
; %bb.955:                              ;   in Loop: Header=BB31_934 Depth=2
	v_add_nc_u64_e32 v[44:45], s[92:93], v[44:45]
	global_load_b64 v[46:47], v[44:45], off
	s_branch .LBB31_932
.LBB31_956:                             ;   in Loop: Header=BB31_3 Depth=1
	ds_store_b64 v74, v[42:43]
	s_wait_dscnt 0x0
	s_barrier_signal -1
	s_barrier_wait -1
	s_and_saveexec_b32 s0, s7
	s_cbranch_execz .LBB31_958
; %bb.957:                              ;   in Loop: Header=BB31_3 Depth=1
	ds_load_2addr_stride64_b64 v[44:47], v75 offset0:1 offset1:2
	ds_load_2addr_stride64_b64 v[80:83], v75 offset0:3 offset1:4
	s_wait_dscnt 0x1
	v_add_f64_e32 v[40:41], v[42:43], v[44:45]
	s_delay_alu instid0(VALU_DEP_1) | instskip(SKIP_1) | instid1(VALU_DEP_1)
	v_add_f64_e32 v[40:41], v[40:41], v[46:47]
	s_wait_dscnt 0x0
	v_add_f64_e32 v[40:41], v[40:41], v[80:81]
	s_delay_alu instid0(VALU_DEP_1) | instskip(SKIP_4) | instid1(VALU_DEP_1)
	v_add_f64_e32 v[80:81], v[40:41], v[82:83]
	ds_load_2addr_stride64_b64 v[40:43], v75 offset0:5 offset1:6
	ds_load_2addr_stride64_b64 v[44:47], v75 offset0:7 offset1:8
	s_wait_dscnt 0x1
	v_add_f64_e32 v[40:41], v[80:81], v[40:41]
	v_add_f64_e32 v[40:41], v[40:41], v[42:43]
	s_wait_dscnt 0x0
	s_delay_alu instid0(VALU_DEP_1) | instskip(NEXT) | instid1(VALU_DEP_1)
	v_add_f64_e32 v[40:41], v[40:41], v[44:45]
	v_add_f64_e32 v[80:81], v[40:41], v[46:47]
	ds_load_2addr_stride64_b64 v[40:43], v75 offset0:9 offset1:10
	ds_load_2addr_stride64_b64 v[44:47], v75 offset0:11 offset1:12
	s_wait_dscnt 0x1
	v_add_f64_e32 v[40:41], v[80:81], v[40:41]
	s_delay_alu instid0(VALU_DEP_1) | instskip(SKIP_1) | instid1(VALU_DEP_1)
	v_add_f64_e32 v[40:41], v[40:41], v[42:43]
	s_wait_dscnt 0x0
	v_add_f64_e32 v[40:41], v[40:41], v[44:45]
	s_delay_alu instid0(VALU_DEP_1) | instskip(SKIP_4) | instid1(VALU_DEP_1)
	v_add_f64_e32 v[44:45], v[40:41], v[46:47]
	ds_load_2addr_stride64_b64 v[40:43], v75 offset0:13 offset1:14
	ds_load_b64 v[46:47], v75 offset:7680
	s_wait_dscnt 0x1
	v_add_f64_e32 v[40:41], v[44:45], v[40:41]
	v_add_f64_e32 v[40:41], v[40:41], v[42:43]
	s_wait_dscnt 0x0
	s_delay_alu instid0(VALU_DEP_1) | instskip(NEXT) | instid1(VALU_DEP_1)
	v_add_f64_e32 v[40:41], v[40:41], v[46:47]
	v_xor_b32_e32 v0, 0x80000000, v41
	s_delay_alu instid0(VALU_DEP_2) | instskip(NEXT) | instid1(VALU_DEP_2)
	v_cndmask_b32_e64 v42, v40, 0, s54
	v_cndmask_b32_e64 v43, v0, 0, s54
.LBB31_958:                             ;   in Loop: Header=BB31_3 Depth=1
	s_or_b32 exec_lo, exec_lo, s0
	s_delay_alu instid0(SALU_CYCLE_1)
	s_and_not1_b32 vcc_lo, exec_lo, s102
	s_cbranch_vccnz .LBB31_971
; %bb.959:                              ;   in Loop: Header=BB31_3 Depth=1
	s_and_saveexec_b32 s0, s7
; %bb.960:                              ;   in Loop: Header=BB31_3 Depth=1
	ds_store_b64 v77, v[42:43]
; %bb.961:                              ;   in Loop: Header=BB31_3 Depth=1
	s_or_b32 exec_lo, exec_lo, s0
	v_mov_b64_e32 v[40:41], 0
	s_wait_dscnt 0x0
	s_barrier_signal -1
	s_barrier_wait -1
	s_mov_b32 s0, exec_lo
	v_readlane_b32 s1, v84, 24
	s_and_b32 s1, s0, s1
	s_delay_alu instid0(SALU_CYCLE_1)
	s_mov_b32 exec_lo, s1
	s_cbranch_execz .LBB31_963
; %bb.962:                              ;   in Loop: Header=BB31_3 Depth=1
	ds_load_b64 v[40:41], v76
	ds_load_b64 v[44:45], v73
	s_wait_dscnt 0x0
	v_fma_f64 v[40:41], v[40:41], v[44:45], 0
.LBB31_963:                             ;   in Loop: Header=BB31_3 Depth=1
	s_or_b32 exec_lo, exec_lo, s0
	s_delay_alu instid0(SALU_CYCLE_1) | instskip(SKIP_2) | instid1(SALU_CYCLE_1)
	s_mov_b32 s0, exec_lo
	v_readlane_b32 s1, v84, 25
	s_and_b32 s1, s0, s1
	s_mov_b32 exec_lo, s1
	s_cbranch_execz .LBB31_965
; %bb.964:                              ;   in Loop: Header=BB31_3 Depth=1
	ds_load_b64 v[44:45], v76 offset:8192
	ds_load_b64 v[46:47], v73 offset:128
	s_wait_dscnt 0x0
	v_fmac_f64_e32 v[40:41], v[44:45], v[46:47]
.LBB31_965:                             ;   in Loop: Header=BB31_3 Depth=1
	s_or_b32 exec_lo, exec_lo, s0
	s_delay_alu instid0(SALU_CYCLE_1) | instskip(SKIP_2) | instid1(SALU_CYCLE_1)
	s_mov_b32 s0, exec_lo
	v_readlane_b32 s1, v84, 26
	s_and_b32 s1, s0, s1
	s_mov_b32 exec_lo, s1
	s_cbranch_execz .LBB31_967
; %bb.966:                              ;   in Loop: Header=BB31_3 Depth=1
	ds_load_b64 v[44:45], v76 offset:16384
	ds_load_b64 v[46:47], v73 offset:256
	s_wait_dscnt 0x0
	v_fmac_f64_e32 v[40:41], v[44:45], v[46:47]
.LBB31_967:                             ;   in Loop: Header=BB31_3 Depth=1
	;; [unrolled: 13-line block ×3, first 2 shown]
	s_or_b32 exec_lo, exec_lo, s0
	s_mov_b32 s1, 0
	s_mov_b32 s0, 0
	ds_store_b64 v74, v[40:41]
	s_wait_dscnt 0x0
	s_barrier_signal -1
	s_barrier_wait -1
                                        ; implicit-def: $vgpr44_vgpr45
	s_and_saveexec_b32 s96, s7
	s_cbranch_execz .LBB31_999
; %bb.970:                              ;   in Loop: Header=BB31_3 Depth=1
	ds_load_2addr_stride64_b64 v[44:47], v75 offset0:1 offset1:2
	ds_load_2addr_stride64_b64 v[80:83], v75 offset0:3 offset1:4
	s_mov_b32 s0, exec_lo
	s_wait_dscnt 0x1
	v_add_f64_e32 v[40:41], v[40:41], v[44:45]
	s_delay_alu instid0(VALU_DEP_1) | instskip(SKIP_1) | instid1(VALU_DEP_1)
	v_add_f64_e32 v[40:41], v[46:47], v[40:41]
	s_wait_dscnt 0x0
	v_add_f64_e32 v[40:41], v[80:81], v[40:41]
	s_delay_alu instid0(VALU_DEP_1) | instskip(SKIP_4) | instid1(VALU_DEP_1)
	v_add_f64_e32 v[40:41], v[82:83], v[40:41]
	ds_load_2addr_stride64_b64 v[44:47], v75 offset0:5 offset1:6
	ds_load_2addr_stride64_b64 v[80:83], v75 offset0:7 offset1:8
	s_wait_dscnt 0x1
	v_add_f64_e32 v[40:41], v[44:45], v[40:41]
	v_add_f64_e32 v[40:41], v[46:47], v[40:41]
	s_wait_dscnt 0x0
	s_delay_alu instid0(VALU_DEP_1) | instskip(NEXT) | instid1(VALU_DEP_1)
	v_add_f64_e32 v[40:41], v[80:81], v[40:41]
	v_add_f64_e32 v[40:41], v[82:83], v[40:41]
	ds_load_2addr_stride64_b64 v[44:47], v75 offset0:9 offset1:10
	ds_load_2addr_stride64_b64 v[80:83], v75 offset0:11 offset1:12
	s_wait_dscnt 0x1
	v_add_f64_e32 v[40:41], v[44:45], v[40:41]
	s_delay_alu instid0(VALU_DEP_1) | instskip(SKIP_1) | instid1(VALU_DEP_1)
	v_add_f64_e32 v[40:41], v[46:47], v[40:41]
	s_wait_dscnt 0x0
	v_add_f64_e32 v[40:41], v[80:81], v[40:41]
	ds_load_2addr_stride64_b64 v[44:47], v75 offset0:13 offset1:14
	ds_load_b64 v[80:81], v75 offset:7680
	v_add_f64_e32 v[40:41], v[82:83], v[40:41]
	s_wait_dscnt 0x1
	s_delay_alu instid0(VALU_DEP_1) | instskip(NEXT) | instid1(VALU_DEP_1)
	v_add_f64_e32 v[40:41], v[44:45], v[40:41]
	v_add_f64_e32 v[40:41], v[46:47], v[40:41]
	s_wait_dscnt 0x0
	s_delay_alu instid0(VALU_DEP_1) | instskip(SKIP_1) | instid1(SALU_CYCLE_1)
	v_add_f64_e32 v[44:45], v[80:81], v[40:41]
	s_or_b32 exec_lo, exec_lo, s96
	s_and_b32 vcc_lo, exec_lo, s1
	s_cbranch_vccnz .LBB31_972
	s_branch .LBB31_1000
.LBB31_971:                             ;   in Loop: Header=BB31_3 Depth=1
	s_mov_b32 s0, 0
                                        ; implicit-def: $vgpr44_vgpr45
	s_cbranch_execz .LBB31_1000
.LBB31_972:                             ;   in Loop: Header=BB31_3 Depth=1
	v_dual_mov_b32 v0, v4 :: v_dual_mov_b32 v40, v51
	s_mov_b32 s1, 0
	s_branch .LBB31_974
.LBB31_973:                             ;   in Loop: Header=BB31_974 Depth=2
	s_or_b32 exec_lo, exec_lo, s8
	v_add_nc_u32_e32 v40, 0x800, v40
	v_add_nc_u32_e32 v0, -4, v0
	s_add_co_i32 s1, s1, 4
	s_delay_alu instid0(SALU_CYCLE_1)
	s_cmp_lg_u32 s1, 64
	s_barrier_signal -1
	s_barrier_wait -1
	s_cbranch_scc0 .LBB31_990
.LBB31_974:                             ;   Parent Loop BB31_3 Depth=1
                                        ; =>  This Inner Loop Header: Depth=2
	s_delay_alu instid0(VALU_DEP_1) | instskip(SKIP_1) | instid1(SALU_CYCLE_1)
	v_cmp_eq_u32_e32 vcc_lo, 0, v0
	s_and_b32 s9, s7, vcc_lo
	s_and_saveexec_b32 s8, s9
; %bb.975:                              ;   in Loop: Header=BB31_974 Depth=2
	ds_store_b64 v1, v[42:43] offset:41472
; %bb.976:                              ;   in Loop: Header=BB31_974 Depth=2
	s_or_b32 exec_lo, exec_lo, s8
	v_cmp_lt_u32_e32 vcc_lo, s1, v4
	s_wait_dscnt 0x0
	s_barrier_signal -1
	s_barrier_wait -1
	s_and_b32 s9, s7, vcc_lo
	s_delay_alu instid0(SALU_CYCLE_1)
	s_and_saveexec_b32 s8, s9
	s_cbranch_execz .LBB31_978
; %bb.977:                              ;   in Loop: Header=BB31_974 Depth=2
	ds_load_b64 v[44:45], v40
	ds_load_b64 v[46:47], v1 offset:41472
	s_wait_dscnt 0x0
	v_fmac_f64_e32 v[42:43], v[44:45], v[46:47]
.LBB31_978:                             ;   in Loop: Header=BB31_974 Depth=2
	s_or_b32 exec_lo, exec_lo, s8
	s_or_b32 s8, s1, 1
	s_delay_alu instid0(SALU_CYCLE_1) | instskip(SKIP_3) | instid1(SALU_CYCLE_1)
	v_cmp_eq_u32_e32 vcc_lo, s8, v4
	s_barrier_signal -1
	s_barrier_wait -1
	s_and_b32 s96, s7, vcc_lo
	s_and_saveexec_b32 s9, s96
; %bb.979:                              ;   in Loop: Header=BB31_974 Depth=2
	ds_store_b64 v1, v[42:43] offset:41472
; %bb.980:                              ;   in Loop: Header=BB31_974 Depth=2
	s_or_b32 exec_lo, exec_lo, s9
	v_cmp_lt_u32_e32 vcc_lo, s8, v4
	s_wait_dscnt 0x0
	s_barrier_signal -1
	s_barrier_wait -1
	s_and_b32 s9, s7, vcc_lo
	s_delay_alu instid0(SALU_CYCLE_1)
	s_and_saveexec_b32 s8, s9
	s_cbranch_execz .LBB31_982
; %bb.981:                              ;   in Loop: Header=BB31_974 Depth=2
	ds_load_b64 v[44:45], v40 offset:512
	ds_load_b64 v[46:47], v1 offset:41472
	s_wait_dscnt 0x0
	v_fmac_f64_e32 v[42:43], v[44:45], v[46:47]
.LBB31_982:                             ;   in Loop: Header=BB31_974 Depth=2
	s_or_b32 exec_lo, exec_lo, s8
	s_or_b32 s8, s1, 2
	s_delay_alu instid0(SALU_CYCLE_1) | instskip(SKIP_3) | instid1(SALU_CYCLE_1)
	v_cmp_eq_u32_e32 vcc_lo, s8, v4
	s_barrier_signal -1
	s_barrier_wait -1
	s_and_b32 s96, s7, vcc_lo
	s_and_saveexec_b32 s9, s96
; %bb.983:                              ;   in Loop: Header=BB31_974 Depth=2
	ds_store_b64 v1, v[42:43] offset:41472
; %bb.984:                              ;   in Loop: Header=BB31_974 Depth=2
	s_or_b32 exec_lo, exec_lo, s9
	v_cmp_lt_u32_e32 vcc_lo, s8, v4
	s_wait_dscnt 0x0
	s_barrier_signal -1
	s_barrier_wait -1
	s_and_b32 s9, s7, vcc_lo
	s_delay_alu instid0(SALU_CYCLE_1)
	s_and_saveexec_b32 s8, s9
	s_cbranch_execz .LBB31_986
; %bb.985:                              ;   in Loop: Header=BB31_974 Depth=2
	ds_load_b64 v[44:45], v40 offset:1024
	ds_load_b64 v[46:47], v1 offset:41472
	s_wait_dscnt 0x0
	v_fmac_f64_e32 v[42:43], v[44:45], v[46:47]
.LBB31_986:                             ;   in Loop: Header=BB31_974 Depth=2
	s_or_b32 exec_lo, exec_lo, s8
	s_or_b32 s8, s1, 3
	s_delay_alu instid0(SALU_CYCLE_1) | instskip(SKIP_3) | instid1(SALU_CYCLE_1)
	v_cmp_eq_u32_e32 vcc_lo, s8, v4
	s_barrier_signal -1
	s_barrier_wait -1
	s_and_b32 s96, s7, vcc_lo
	s_and_saveexec_b32 s9, s96
; %bb.987:                              ;   in Loop: Header=BB31_974 Depth=2
	ds_store_b64 v1, v[42:43] offset:41472
; %bb.988:                              ;   in Loop: Header=BB31_974 Depth=2
	s_or_b32 exec_lo, exec_lo, s9
	v_cmp_lt_u32_e32 vcc_lo, s8, v4
	s_wait_dscnt 0x0
	s_barrier_signal -1
	s_barrier_wait -1
	s_and_b32 s9, s7, vcc_lo
	s_delay_alu instid0(SALU_CYCLE_1)
	s_and_saveexec_b32 s8, s9
	s_cbranch_execz .LBB31_973
; %bb.989:                              ;   in Loop: Header=BB31_974 Depth=2
	ds_load_b64 v[44:45], v40 offset:1536
	ds_load_b64 v[46:47], v1 offset:41472
	s_wait_dscnt 0x0
	v_fmac_f64_e32 v[42:43], v[44:45], v[46:47]
	s_branch .LBB31_973
.LBB31_990:                             ;   in Loop: Header=BB31_3 Depth=1
	s_and_b32 vcc_lo, exec_lo, s101
	s_mov_b32 s1, -1
	s_cbranch_vccz .LBB31_992
; %bb.991:                              ;   in Loop: Header=BB31_3 Depth=1
	s_and_not1_b32 s0, s0, exec_lo
	s_and_b32 s8, s7, exec_lo
	s_mov_b32 s1, 0
	s_or_b32 s0, s0, s8
.LBB31_992:                             ;   in Loop: Header=BB31_3 Depth=1
	s_and_not1_b32 vcc_lo, exec_lo, s1
	s_cbranch_vccnz .LBB31_994
; %bb.993:                              ;   in Loop: Header=BB31_3 Depth=1
	v_readlane_b32 s1, v85, 10
	s_and_not1_b32 s0, s0, exec_lo
	s_and_b32 s1, s1, exec_lo
	s_delay_alu instid0(SALU_CYCLE_1)
	s_or_b32 s0, s0, s1
.LBB31_994:                             ;   in Loop: Header=BB31_3 Depth=1
	v_mov_b64_e32 v[40:41], v[16:17]
	s_and_saveexec_b32 s1, s0
	s_cbranch_execnz .LBB31_1001
	s_branch .LBB31_1002
.LBB31_995:                             ;   in Loop: Header=BB31_3 Depth=1
	v_readlane_b32 s9, v84, 28
	s_and_b32 s94, s9, exec_lo
	s_or_saveexec_b32 s8, s8
	v_mov_b64_e32 v[44:45], 0
	s_xor_b32 exec_lo, exec_lo, s8
	s_cbranch_execz .LBB31_16
.LBB31_996:                             ;   in Loop: Header=BB31_3 Depth=1
	v_lshl_add_u64 v[44:45], v[18:19], 3, v[42:43]
	s_or_b32 s94, s94, exec_lo
	global_load_b64 v[44:45], v[44:45], off
	s_wait_loadcnt 0x0
	v_xor_b32_e32 v45, 0x80000000, v45
	s_or_b32 exec_lo, exec_lo, s8
	s_and_saveexec_b32 s8, s94
	s_cbranch_execnz .LBB31_17
	s_branch .LBB31_18
.LBB31_997:                             ;   in Loop: Header=BB31_3 Depth=1
	v_readlane_b32 s9, v84, 28
	s_and_b32 s94, s9, exec_lo
	s_or_saveexec_b32 s8, s8
	v_mov_b64_e32 v[44:45], 0
	s_xor_b32 exec_lo, exec_lo, s8
	s_cbranch_execz .LBB31_40
.LBB31_998:                             ;   in Loop: Header=BB31_3 Depth=1
	v_lshl_add_u64 v[44:45], v[18:19], 3, v[42:43]
	s_or_b32 s94, s94, exec_lo
	global_load_b64 v[44:45], v[44:45], off
	s_wait_loadcnt 0x0
	v_xor_b32_e32 v45, 0x80000000, v45
	s_or_b32 exec_lo, exec_lo, s8
	s_and_saveexec_b32 s8, s94
	s_cbranch_execnz .LBB31_41
	s_branch .LBB31_42
.LBB31_999:                             ;   in Loop: Header=BB31_3 Depth=1
	s_or_b32 exec_lo, exec_lo, s96
	s_delay_alu instid0(SALU_CYCLE_1)
	s_and_b32 vcc_lo, exec_lo, s1
	s_cbranch_vccnz .LBB31_972
.LBB31_1000:                            ;   in Loop: Header=BB31_3 Depth=1
	s_delay_alu instid0(VALU_DEP_1)
	v_mov_b64_e32 v[42:43], v[44:45]
	v_mov_b64_e32 v[40:41], v[14:15]
	s_and_saveexec_b32 s1, s0
	s_cbranch_execz .LBB31_1002
.LBB31_1001:                            ;   in Loop: Header=BB31_3 Depth=1
	s_delay_alu instid0(VALU_DEP_1)
	v_lshl_add_u64 v[40:41], v[40:41], 3, s[94:95]
	global_store_b64 v[40:41], v[42:43], off
.LBB31_1002:                            ;   in Loop: Header=BB31_3 Depth=1
	s_wait_xcnt 0x0
	s_or_b32 exec_lo, exec_lo, s1
	global_wb scope:SCOPE_DEV
	s_wait_storecnt 0x0
	global_inv scope:SCOPE_DEV
	s_wait_loadcnt 0x0
	s_barrier_signal -1
	s_barrier_wait -1
	s_and_saveexec_b32 s0, s57
	s_cbranch_execz .LBB31_2
; %bb.1003:                             ;   in Loop: Header=BB31_3 Depth=1
	s_lshl_b64 s[8:9], s[84:85], 2
	s_delay_alu instid0(SALU_CYCLE_1)
	s_add_nc_u64 s[8:9], s[82:83], s[8:9]
	global_load_b32 v0, v1, s[8:9]
	s_wait_loadcnt 0x0
	v_add_nc_u32_e32 v0, 1, v0
	global_store_b32 v1, v0, s[8:9]
	s_branch .LBB31_2
.LBB31_1004:                            ;   in Loop: Header=BB31_3 Depth=1
	ds_load_b64 v[44:45], v56 offset:544
	ds_load_b64 v[46:47], v53 offset:8
	s_wait_dscnt 0x0
	v_fmac_f64_e32 v[42:43], v[44:45], v[46:47]
	s_or_b32 exec_lo, exec_lo, s8
	s_and_saveexec_b32 s8, s15
	s_cbranch_execz .LBB31_81
.LBB31_1005:                            ;   in Loop: Header=BB31_3 Depth=1
	ds_load_b64 v[44:45], v55 offset:1056
	ds_load_b64 v[46:47], v53 offset:16
	s_wait_dscnt 0x0
	v_fmac_f64_e32 v[42:43], v[44:45], v[46:47]
	s_or_b32 exec_lo, exec_lo, s8
	s_and_saveexec_b32 s8, s3
	s_cbranch_execnz .LBB31_82
	s_branch .LBB31_83
.LBB31_1006:                            ;   in Loop: Header=BB31_3 Depth=1
	ds_load_b64 v[44:45], v61 offset:576
	ds_load_b64 v[46:47], v57 offset:8
	s_wait_dscnt 0x0
	v_fmac_f64_e32 v[42:43], v[44:45], v[46:47]
	s_or_b32 exec_lo, exec_lo, s8
	s_and_saveexec_b32 s8, s17
	s_cbranch_execz .LBB31_119
.LBB31_1007:                            ;   in Loop: Header=BB31_3 Depth=1
	ds_load_b64 v[44:45], v61 offset:1088
	ds_load_b64 v[46:47], v57 offset:16
	s_wait_dscnt 0x0
	v_fmac_f64_e32 v[42:43], v[44:45], v[46:47]
	s_or_b32 exec_lo, exec_lo, s8
	s_and_saveexec_b32 s8, s18
	s_cbranch_execz .LBB31_120
.LBB31_1008:                            ;   in Loop: Header=BB31_3 Depth=1
	ds_load_b64 v[44:45], v61 offset:1600
	ds_load_b64 v[46:47], v57 offset:24
	s_wait_dscnt 0x0
	v_fmac_f64_e32 v[42:43], v[44:45], v[46:47]
	s_or_b32 exec_lo, exec_lo, s8
	s_and_saveexec_b32 s8, s19
	s_cbranch_execz .LBB31_121
.LBB31_1009:                            ;   in Loop: Header=BB31_3 Depth=1
	ds_load_b64 v[44:45], v60 offset:2112
	ds_load_b64 v[46:47], v57 offset:32
	s_wait_dscnt 0x0
	v_fmac_f64_e32 v[42:43], v[44:45], v[46:47]
	s_or_b32 exec_lo, exec_lo, s8
	s_and_saveexec_b32 s8, s20
	s_cbranch_execz .LBB31_122
.LBB31_1010:                            ;   in Loop: Header=BB31_3 Depth=1
	ds_load_b64 v[44:45], v61 offset:2624
	ds_load_b64 v[46:47], v57 offset:40
	s_wait_dscnt 0x0
	v_fmac_f64_e32 v[42:43], v[44:45], v[46:47]
	s_or_b32 exec_lo, exec_lo, s8
	s_and_saveexec_b32 s8, s4
	s_cbranch_execz .LBB31_123
.LBB31_1011:                            ;   in Loop: Header=BB31_3 Depth=1
	ds_load_b64 v[44:45], v60 offset:3136
	ds_load_b64 v[46:47], v57 offset:48
	s_wait_dscnt 0x0
	v_fmac_f64_e32 v[42:43], v[44:45], v[46:47]
	s_or_b32 exec_lo, exec_lo, s8
	s_and_saveexec_b32 s8, s15
	s_cbranch_execnz .LBB31_124
	s_branch .LBB31_125
.LBB31_1012:                            ;   in Loop: Header=BB31_3 Depth=1
	ds_load_b64 v[44:45], v56 offset:4704
	ds_load_b64 v[46:47], v53 offset:4168
	s_wait_dscnt 0x0
	v_fmac_f64_e32 v[42:43], v[44:45], v[46:47]
	s_or_b32 exec_lo, exec_lo, s8
	s_and_saveexec_b32 s8, s15
	s_cbranch_execz .LBB31_177
.LBB31_1013:                            ;   in Loop: Header=BB31_3 Depth=1
	ds_load_b64 v[44:45], v55 offset:5216
	ds_load_b64 v[46:47], v53 offset:4176
	s_wait_dscnt 0x0
	v_fmac_f64_e32 v[42:43], v[44:45], v[46:47]
	s_or_b32 exec_lo, exec_lo, s8
	s_and_saveexec_b32 s8, s3
	s_cbranch_execnz .LBB31_178
	s_branch .LBB31_179
.LBB31_1014:                            ;   in Loop: Header=BB31_3 Depth=1
	ds_load_b64 v[44:45], v66 offset:5760
	ds_load_b64 v[46:47], v62 offset:88
	s_wait_dscnt 0x0
	v_fmac_f64_e32 v[42:43], v[44:45], v[46:47]
	s_or_b32 exec_lo, exec_lo, s8
	s_and_saveexec_b32 s8, s5
	s_cbranch_execz .LBB31_235
.LBB31_1015:                            ;   in Loop: Header=BB31_3 Depth=1
	ds_load_b64 v[44:45], v65 offset:6272
	ds_load_b64 v[46:47], v62 offset:96
	s_wait_dscnt 0x0
	v_fmac_f64_e32 v[42:43], v[44:45], v[46:47]
	s_or_b32 exec_lo, exec_lo, s8
	s_and_saveexec_b32 s8, s17
	s_cbranch_execz .LBB31_236
.LBB31_1016:                            ;   in Loop: Header=BB31_3 Depth=1
	ds_load_b64 v[44:45], v66 offset:6784
	ds_load_b64 v[46:47], v62 offset:104
	s_wait_dscnt 0x0
	v_fmac_f64_e32 v[42:43], v[44:45], v[46:47]
	s_or_b32 exec_lo, exec_lo, s8
	s_and_saveexec_b32 s8, s19
	s_cbranch_execz .LBB31_237
.LBB31_1017:                            ;   in Loop: Header=BB31_3 Depth=1
	ds_load_b64 v[44:45], v65 offset:7296
	ds_load_b64 v[46:47], v62 offset:112
	s_wait_dscnt 0x0
	v_fmac_f64_e32 v[42:43], v[44:45], v[46:47]
	s_or_b32 exec_lo, exec_lo, s8
	s_and_saveexec_b32 s8, s4
	s_cbranch_execnz .LBB31_238
	s_branch .LBB31_239
.LBB31_1018:                            ;   in Loop: Header=BB31_3 Depth=1
	ds_load_b64 v[44:45], v56 offset:8864
	ds_load_b64 v[46:47], v53 offset:8328
	s_wait_dscnt 0x0
	v_fmac_f64_e32 v[42:43], v[44:45], v[46:47]
	s_or_b32 exec_lo, exec_lo, s8
	s_and_saveexec_b32 s8, s15
	s_cbranch_execz .LBB31_323
.LBB31_1019:                            ;   in Loop: Header=BB31_3 Depth=1
	ds_load_b64 v[44:45], v55 offset:9376
	ds_load_b64 v[46:47], v53 offset:8336
	s_wait_dscnt 0x0
	v_fmac_f64_e32 v[42:43], v[44:45], v[46:47]
	s_or_b32 exec_lo, exec_lo, s8
	s_and_saveexec_b32 s8, s3
	s_cbranch_execnz .LBB31_324
	s_branch .LBB31_325
.LBB31_1020:                            ;   in Loop: Header=BB31_3 Depth=1
	ds_load_b64 v[44:45], v61 offset:8896
	ds_load_b64 v[46:47], v57 offset:8328
	s_wait_dscnt 0x0
	v_fmac_f64_e32 v[42:43], v[44:45], v[46:47]
	s_or_b32 exec_lo, exec_lo, s8
	s_and_saveexec_b32 s8, s17
	s_cbranch_execz .LBB31_361
.LBB31_1021:                            ;   in Loop: Header=BB31_3 Depth=1
	ds_load_b64 v[44:45], v61 offset:9408
	ds_load_b64 v[46:47], v57 offset:8336
	s_wait_dscnt 0x0
	v_fmac_f64_e32 v[42:43], v[44:45], v[46:47]
	s_or_b32 exec_lo, exec_lo, s8
	s_and_saveexec_b32 s8, s18
	s_cbranch_execz .LBB31_362
.LBB31_1022:                            ;   in Loop: Header=BB31_3 Depth=1
	ds_load_b64 v[44:45], v61 offset:9920
	ds_load_b64 v[46:47], v57 offset:8344
	s_wait_dscnt 0x0
	v_fmac_f64_e32 v[42:43], v[44:45], v[46:47]
	s_or_b32 exec_lo, exec_lo, s8
	s_and_saveexec_b32 s8, s19
	s_cbranch_execz .LBB31_363
.LBB31_1023:                            ;   in Loop: Header=BB31_3 Depth=1
	ds_load_b64 v[44:45], v60 offset:10432
	ds_load_b64 v[46:47], v57 offset:8352
	s_wait_dscnt 0x0
	v_fmac_f64_e32 v[42:43], v[44:45], v[46:47]
	s_or_b32 exec_lo, exec_lo, s8
	s_and_saveexec_b32 s8, s20
	s_cbranch_execz .LBB31_364
.LBB31_1024:                            ;   in Loop: Header=BB31_3 Depth=1
	ds_load_b64 v[44:45], v61 offset:10944
	ds_load_b64 v[46:47], v57 offset:8360
	s_wait_dscnt 0x0
	v_fmac_f64_e32 v[42:43], v[44:45], v[46:47]
	s_or_b32 exec_lo, exec_lo, s8
	s_and_saveexec_b32 s8, s4
	s_cbranch_execz .LBB31_365
.LBB31_1025:                            ;   in Loop: Header=BB31_3 Depth=1
	ds_load_b64 v[44:45], v60 offset:11456
	ds_load_b64 v[46:47], v57 offset:8368
	s_wait_dscnt 0x0
	v_fmac_f64_e32 v[42:43], v[44:45], v[46:47]
	s_or_b32 exec_lo, exec_lo, s8
	s_and_saveexec_b32 s8, s15
	s_cbranch_execnz .LBB31_366
	s_branch .LBB31_367
.LBB31_1026:                            ;   in Loop: Header=BB31_3 Depth=1
	ds_load_b64 v[44:45], v56 offset:13024
	ds_load_b64 v[46:47], v53 offset:12488
	s_wait_dscnt 0x0
	v_fmac_f64_e32 v[42:43], v[44:45], v[46:47]
	s_or_b32 exec_lo, exec_lo, s8
	s_and_saveexec_b32 s8, s15
	s_cbranch_execz .LBB31_419
.LBB31_1027:                            ;   in Loop: Header=BB31_3 Depth=1
	ds_load_b64 v[44:45], v55 offset:13536
	ds_load_b64 v[46:47], v53 offset:12496
	s_wait_dscnt 0x0
	v_fmac_f64_e32 v[42:43], v[44:45], v[46:47]
	s_or_b32 exec_lo, exec_lo, s8
	s_and_saveexec_b32 s8, s3
	s_cbranch_execnz .LBB31_420
	s_branch .LBB31_421
.LBB31_1028:                            ;   in Loop: Header=BB31_3 Depth=1
	ds_load_b64 v[44:45], v71 offset:14592
	ds_load_b64 v[46:47], v0 offset:224
	s_wait_dscnt 0x0
	v_fmac_f64_e32 v[42:43], v[44:45], v[46:47]
	s_or_b32 exec_lo, exec_lo, s8
	s_and_saveexec_b32 s8, s10
	s_cbranch_execz .LBB31_511
.LBB31_1029:                            ;   in Loop: Header=BB31_3 Depth=1
	ds_load_b64 v[44:45], v71 offset:15104
	ds_load_b64 v[46:47], v0 offset:232
	s_wait_dscnt 0x0
	v_fmac_f64_e32 v[42:43], v[44:45], v[46:47]
	s_or_b32 exec_lo, exec_lo, s8
	s_and_saveexec_b32 s8, s5
	s_cbranch_execz .LBB31_512
.LBB31_1030:                            ;   in Loop: Header=BB31_3 Depth=1
	ds_load_b64 v[44:45], v71 offset:15616
	ds_load_b64 v[46:47], v0 offset:240
	s_wait_dscnt 0x0
	v_fmac_f64_e32 v[42:43], v[44:45], v[46:47]
	s_or_b32 exec_lo, exec_lo, s8
	s_and_saveexec_b32 s8, s19
	s_cbranch_execnz .LBB31_513
	s_branch .LBB31_514
.LBB31_1031:                            ;   in Loop: Header=BB31_3 Depth=1
	ds_load_b64 v[44:45], v56 offset:17184
	ds_load_b64 v[46:47], v53 offset:16648
	s_wait_dscnt 0x0
	v_fmac_f64_e32 v[42:43], v[44:45], v[46:47]
	s_or_b32 exec_lo, exec_lo, s8
	s_and_saveexec_b32 s8, s15
	s_cbranch_execz .LBB31_554
.LBB31_1032:                            ;   in Loop: Header=BB31_3 Depth=1
	ds_load_b64 v[44:45], v55 offset:17696
	ds_load_b64 v[46:47], v53 offset:16656
	s_wait_dscnt 0x0
	v_fmac_f64_e32 v[42:43], v[44:45], v[46:47]
	s_or_b32 exec_lo, exec_lo, s8
	s_and_saveexec_b32 s8, s3
	s_cbranch_execnz .LBB31_555
	s_branch .LBB31_556
.LBB31_1033:                            ;   in Loop: Header=BB31_3 Depth=1
	ds_load_b64 v[44:45], v61 offset:17216
	ds_load_b64 v[46:47], v57 offset:16648
	s_wait_dscnt 0x0
	v_fmac_f64_e32 v[42:43], v[44:45], v[46:47]
	s_or_b32 exec_lo, exec_lo, s8
	s_and_saveexec_b32 s8, s17
	s_cbranch_execz .LBB31_592
.LBB31_1034:                            ;   in Loop: Header=BB31_3 Depth=1
	ds_load_b64 v[44:45], v61 offset:17728
	ds_load_b64 v[46:47], v57 offset:16656
	s_wait_dscnt 0x0
	v_fmac_f64_e32 v[42:43], v[44:45], v[46:47]
	s_or_b32 exec_lo, exec_lo, s8
	s_and_saveexec_b32 s8, s18
	s_cbranch_execz .LBB31_593
.LBB31_1035:                            ;   in Loop: Header=BB31_3 Depth=1
	ds_load_b64 v[44:45], v61 offset:18240
	ds_load_b64 v[46:47], v57 offset:16664
	s_wait_dscnt 0x0
	v_fmac_f64_e32 v[42:43], v[44:45], v[46:47]
	s_or_b32 exec_lo, exec_lo, s8
	s_and_saveexec_b32 s8, s19
	s_cbranch_execz .LBB31_594
.LBB31_1036:                            ;   in Loop: Header=BB31_3 Depth=1
	ds_load_b64 v[44:45], v60 offset:18752
	ds_load_b64 v[46:47], v57 offset:16672
	s_wait_dscnt 0x0
	v_fmac_f64_e32 v[42:43], v[44:45], v[46:47]
	s_or_b32 exec_lo, exec_lo, s8
	s_and_saveexec_b32 s8, s20
	s_cbranch_execz .LBB31_595
.LBB31_1037:                            ;   in Loop: Header=BB31_3 Depth=1
	ds_load_b64 v[44:45], v61 offset:19264
	ds_load_b64 v[46:47], v57 offset:16680
	s_wait_dscnt 0x0
	v_fmac_f64_e32 v[42:43], v[44:45], v[46:47]
	s_or_b32 exec_lo, exec_lo, s8
	s_and_saveexec_b32 s8, s4
	s_cbranch_execz .LBB31_596
.LBB31_1038:                            ;   in Loop: Header=BB31_3 Depth=1
	ds_load_b64 v[44:45], v60 offset:19776
	ds_load_b64 v[46:47], v57 offset:16688
	s_wait_dscnt 0x0
	v_fmac_f64_e32 v[42:43], v[44:45], v[46:47]
	s_or_b32 exec_lo, exec_lo, s8
	s_and_saveexec_b32 s8, s15
	s_cbranch_execnz .LBB31_597
	s_branch .LBB31_598
.LBB31_1039:                            ;   in Loop: Header=BB31_3 Depth=1
	ds_load_b64 v[44:45], v56 offset:21344
	ds_load_b64 v[46:47], v53 offset:20808
	s_wait_dscnt 0x0
	v_fmac_f64_e32 v[42:43], v[44:45], v[46:47]
	s_or_b32 exec_lo, exec_lo, s8
	s_and_saveexec_b32 s8, s15
	s_cbranch_execz .LBB31_650
.LBB31_1040:                            ;   in Loop: Header=BB31_3 Depth=1
	ds_load_b64 v[44:45], v55 offset:21856
	ds_load_b64 v[46:47], v53 offset:20816
	s_wait_dscnt 0x0
	v_fmac_f64_e32 v[42:43], v[44:45], v[46:47]
	s_or_b32 exec_lo, exec_lo, s8
	s_and_saveexec_b32 s8, s3
	s_cbranch_execnz .LBB31_651
	s_branch .LBB31_652
.LBB31_1041:                            ;   in Loop: Header=BB31_3 Depth=1
	ds_load_b64 v[44:45], v66 offset:22400
	ds_load_b64 v[46:47], v62 offset:16728
	s_wait_dscnt 0x0
	v_fmac_f64_e32 v[42:43], v[44:45], v[46:47]
	s_or_b32 exec_lo, exec_lo, s8
	s_and_saveexec_b32 s8, s5
	s_cbranch_execz .LBB31_708
.LBB31_1042:                            ;   in Loop: Header=BB31_3 Depth=1
	ds_load_b64 v[44:45], v65 offset:22912
	ds_load_b64 v[46:47], v62 offset:16736
	s_wait_dscnt 0x0
	v_fmac_f64_e32 v[42:43], v[44:45], v[46:47]
	s_or_b32 exec_lo, exec_lo, s8
	s_and_saveexec_b32 s8, s17
	s_cbranch_execz .LBB31_709
.LBB31_1043:                            ;   in Loop: Header=BB31_3 Depth=1
	ds_load_b64 v[44:45], v66 offset:23424
	ds_load_b64 v[46:47], v62 offset:16744
	s_wait_dscnt 0x0
	v_fmac_f64_e32 v[42:43], v[44:45], v[46:47]
	s_or_b32 exec_lo, exec_lo, s8
	s_and_saveexec_b32 s8, s19
	s_cbranch_execz .LBB31_710
.LBB31_1044:                            ;   in Loop: Header=BB31_3 Depth=1
	ds_load_b64 v[44:45], v65 offset:23936
	ds_load_b64 v[46:47], v62 offset:16752
	s_wait_dscnt 0x0
	v_fmac_f64_e32 v[42:43], v[44:45], v[46:47]
	s_or_b32 exec_lo, exec_lo, s8
	s_and_saveexec_b32 s8, s4
	s_cbranch_execnz .LBB31_711
	s_branch .LBB31_712
.LBB31_1045:                            ;   in Loop: Header=BB31_3 Depth=1
	ds_load_b64 v[44:45], v56 offset:25504
	ds_load_b64 v[46:47], v53 offset:24968
	s_wait_dscnt 0x0
	v_fmac_f64_e32 v[42:43], v[44:45], v[46:47]
	s_or_b32 exec_lo, exec_lo, s8
	s_and_saveexec_b32 s8, s15
	s_cbranch_execz .LBB31_796
.LBB31_1046:                            ;   in Loop: Header=BB31_3 Depth=1
	ds_load_b64 v[44:45], v55 offset:26016
	ds_load_b64 v[46:47], v53 offset:24976
	s_wait_dscnt 0x0
	v_fmac_f64_e32 v[42:43], v[44:45], v[46:47]
	s_or_b32 exec_lo, exec_lo, s8
	s_and_saveexec_b32 s8, s3
	s_cbranch_execnz .LBB31_797
	s_branch .LBB31_798
.LBB31_1047:                            ;   in Loop: Header=BB31_3 Depth=1
	ds_load_b64 v[44:45], v61 offset:25536
	ds_load_b64 v[46:47], v57 offset:24968
	s_wait_dscnt 0x0
	v_fmac_f64_e32 v[42:43], v[44:45], v[46:47]
	s_or_b32 exec_lo, exec_lo, s8
	s_and_saveexec_b32 s8, s17
	s_cbranch_execz .LBB31_834
.LBB31_1048:                            ;   in Loop: Header=BB31_3 Depth=1
	ds_load_b64 v[44:45], v61 offset:26048
	ds_load_b64 v[46:47], v57 offset:24976
	s_wait_dscnt 0x0
	v_fmac_f64_e32 v[42:43], v[44:45], v[46:47]
	s_or_b32 exec_lo, exec_lo, s8
	s_and_saveexec_b32 s8, s18
	s_cbranch_execz .LBB31_835
.LBB31_1049:                            ;   in Loop: Header=BB31_3 Depth=1
	ds_load_b64 v[44:45], v61 offset:26560
	ds_load_b64 v[46:47], v57 offset:24984
	s_wait_dscnt 0x0
	v_fmac_f64_e32 v[42:43], v[44:45], v[46:47]
	s_or_b32 exec_lo, exec_lo, s8
	s_and_saveexec_b32 s8, s19
	s_cbranch_execz .LBB31_836
.LBB31_1050:                            ;   in Loop: Header=BB31_3 Depth=1
	ds_load_b64 v[44:45], v60 offset:27072
	ds_load_b64 v[46:47], v57 offset:24992
	s_wait_dscnt 0x0
	v_fmac_f64_e32 v[42:43], v[44:45], v[46:47]
	s_or_b32 exec_lo, exec_lo, s8
	s_and_saveexec_b32 s8, s20
	s_cbranch_execz .LBB31_837
.LBB31_1051:                            ;   in Loop: Header=BB31_3 Depth=1
	ds_load_b64 v[44:45], v61 offset:27584
	ds_load_b64 v[46:47], v57 offset:25000
	s_wait_dscnt 0x0
	v_fmac_f64_e32 v[42:43], v[44:45], v[46:47]
	s_or_b32 exec_lo, exec_lo, s8
	s_and_saveexec_b32 s8, s4
	s_cbranch_execz .LBB31_838
.LBB31_1052:                            ;   in Loop: Header=BB31_3 Depth=1
	ds_load_b64 v[44:45], v60 offset:28096
	ds_load_b64 v[46:47], v57 offset:25008
	s_wait_dscnt 0x0
	v_fmac_f64_e32 v[42:43], v[44:45], v[46:47]
	s_or_b32 exec_lo, exec_lo, s8
	s_and_saveexec_b32 s8, s15
	s_cbranch_execnz .LBB31_839
	s_branch .LBB31_840
.LBB31_1053:                            ;   in Loop: Header=BB31_3 Depth=1
	ds_load_b64 v[44:45], v56 offset:29664
	ds_load_b64 v[46:47], v53 offset:29128
	s_wait_dscnt 0x0
	v_fmac_f64_e32 v[42:43], v[44:45], v[46:47]
	s_or_b32 exec_lo, exec_lo, s8
	s_and_saveexec_b32 s8, s15
	s_cbranch_execz .LBB31_892
.LBB31_1054:                            ;   in Loop: Header=BB31_3 Depth=1
	ds_load_b64 v[44:45], v55 offset:30176
	ds_load_b64 v[46:47], v53 offset:29136
	s_wait_dscnt 0x0
	v_fmac_f64_e32 v[42:43], v[44:45], v[46:47]
	s_or_b32 exec_lo, exec_lo, s8
	s_and_saveexec_b32 s8, s3
	s_cbranch_execnz .LBB31_893
	s_branch .LBB31_894
.LBB31_1055:
	s_endpgm
	.section	.rodata,"a",@progbits
	.p2align	6, 0x0
	.amdhsa_kernel _ZL19rocblas_trsv_deviceILi64ELi16ELb1ELb0ELb0ELb1EdPKdS1_PdEviT7_lllT6_T8_lllPii
		.amdhsa_group_segment_fixed_size 41480
		.amdhsa_private_segment_fixed_size 0
		.amdhsa_kernarg_size 352
		.amdhsa_user_sgpr_count 2
		.amdhsa_user_sgpr_dispatch_ptr 0
		.amdhsa_user_sgpr_queue_ptr 0
		.amdhsa_user_sgpr_kernarg_segment_ptr 1
		.amdhsa_user_sgpr_dispatch_id 0
		.amdhsa_user_sgpr_kernarg_preload_length 0
		.amdhsa_user_sgpr_kernarg_preload_offset 0
		.amdhsa_user_sgpr_private_segment_size 0
		.amdhsa_wavefront_size32 1
		.amdhsa_uses_dynamic_stack 0
		.amdhsa_enable_private_segment 0
		.amdhsa_system_sgpr_workgroup_id_x 1
		.amdhsa_system_sgpr_workgroup_id_y 0
		.amdhsa_system_sgpr_workgroup_id_z 1
		.amdhsa_system_sgpr_workgroup_info 0
		.amdhsa_system_vgpr_workitem_id 1
		.amdhsa_next_free_vgpr 86
		.amdhsa_next_free_sgpr 105
		.amdhsa_named_barrier_count 0
		.amdhsa_reserve_vcc 1
		.amdhsa_float_round_mode_32 0
		.amdhsa_float_round_mode_16_64 0
		.amdhsa_float_denorm_mode_32 3
		.amdhsa_float_denorm_mode_16_64 3
		.amdhsa_fp16_overflow 0
		.amdhsa_memory_ordered 1
		.amdhsa_forward_progress 1
		.amdhsa_inst_pref_size 203
		.amdhsa_round_robin_scheduling 0
		.amdhsa_exception_fp_ieee_invalid_op 0
		.amdhsa_exception_fp_denorm_src 0
		.amdhsa_exception_fp_ieee_div_zero 0
		.amdhsa_exception_fp_ieee_overflow 0
		.amdhsa_exception_fp_ieee_underflow 0
		.amdhsa_exception_fp_ieee_inexact 0
		.amdhsa_exception_int_div_zero 0
	.end_amdhsa_kernel
	.section	.text._ZL19rocblas_trsv_deviceILi64ELi16ELb1ELb0ELb0ELb1EdPKdS1_PdEviT7_lllT6_T8_lllPii,"axG",@progbits,_ZL19rocblas_trsv_deviceILi64ELi16ELb1ELb0ELb0ELb1EdPKdS1_PdEviT7_lllT6_T8_lllPii,comdat
.Lfunc_end31:
	.size	_ZL19rocblas_trsv_deviceILi64ELi16ELb1ELb0ELb0ELb1EdPKdS1_PdEviT7_lllT6_T8_lllPii, .Lfunc_end31-_ZL19rocblas_trsv_deviceILi64ELi16ELb1ELb0ELb0ELb1EdPKdS1_PdEviT7_lllT6_T8_lllPii
                                        ; -- End function
	.set _ZL19rocblas_trsv_deviceILi64ELi16ELb1ELb0ELb0ELb1EdPKdS1_PdEviT7_lllT6_T8_lllPii.num_vgpr, 86
	.set _ZL19rocblas_trsv_deviceILi64ELi16ELb1ELb0ELb0ELb1EdPKdS1_PdEviT7_lllT6_T8_lllPii.num_agpr, 0
	.set _ZL19rocblas_trsv_deviceILi64ELi16ELb1ELb0ELb0ELb1EdPKdS1_PdEviT7_lllT6_T8_lllPii.numbered_sgpr, 105
	.set _ZL19rocblas_trsv_deviceILi64ELi16ELb1ELb0ELb0ELb1EdPKdS1_PdEviT7_lllT6_T8_lllPii.num_named_barrier, 0
	.set _ZL19rocblas_trsv_deviceILi64ELi16ELb1ELb0ELb0ELb1EdPKdS1_PdEviT7_lllT6_T8_lllPii.private_seg_size, 0
	.set _ZL19rocblas_trsv_deviceILi64ELi16ELb1ELb0ELb0ELb1EdPKdS1_PdEviT7_lllT6_T8_lllPii.uses_vcc, 1
	.set _ZL19rocblas_trsv_deviceILi64ELi16ELb1ELb0ELb0ELb1EdPKdS1_PdEviT7_lllT6_T8_lllPii.uses_flat_scratch, 0
	.set _ZL19rocblas_trsv_deviceILi64ELi16ELb1ELb0ELb0ELb1EdPKdS1_PdEviT7_lllT6_T8_lllPii.has_dyn_sized_stack, 0
	.set _ZL19rocblas_trsv_deviceILi64ELi16ELb1ELb0ELb0ELb1EdPKdS1_PdEviT7_lllT6_T8_lllPii.has_recursion, 0
	.set _ZL19rocblas_trsv_deviceILi64ELi16ELb1ELb0ELb0ELb1EdPKdS1_PdEviT7_lllT6_T8_lllPii.has_indirect_call, 0
	.section	.AMDGPU.csdata,"",@progbits
; Kernel info:
; codeLenInByte = 25908
; TotalNumSgprs: 107
; NumVgprs: 86
; ScratchSize: 0
; MemoryBound: 0
; FloatMode: 240
; IeeeMode: 1
; LDSByteSize: 41480 bytes/workgroup (compile time only)
; SGPRBlocks: 0
; VGPRBlocks: 5
; NumSGPRsForWavesPerEU: 107
; NumVGPRsForWavesPerEU: 86
; NamedBarCnt: 0
; Occupancy: 10
; WaveLimiterHint : 0
; COMPUTE_PGM_RSRC2:SCRATCH_EN: 0
; COMPUTE_PGM_RSRC2:USER_SGPR: 2
; COMPUTE_PGM_RSRC2:TRAP_HANDLER: 0
; COMPUTE_PGM_RSRC2:TGID_X_EN: 1
; COMPUTE_PGM_RSRC2:TGID_Y_EN: 0
; COMPUTE_PGM_RSRC2:TGID_Z_EN: 1
; COMPUTE_PGM_RSRC2:TIDIG_COMP_CNT: 1
	.section	.text._ZL19rocblas_trsv_deviceILi64ELi16ELb1ELb1ELb0ELb1EdPKdS1_PdEviT7_lllT6_T8_lllPii,"axG",@progbits,_ZL19rocblas_trsv_deviceILi64ELi16ELb1ELb1ELb0ELb1EdPKdS1_PdEviT7_lllT6_T8_lllPii,comdat
	.globl	_ZL19rocblas_trsv_deviceILi64ELi16ELb1ELb1ELb0ELb1EdPKdS1_PdEviT7_lllT6_T8_lllPii ; -- Begin function _ZL19rocblas_trsv_deviceILi64ELi16ELb1ELb1ELb0ELb1EdPKdS1_PdEviT7_lllT6_T8_lllPii
	.p2align	8
	.type	_ZL19rocblas_trsv_deviceILi64ELi16ELb1ELb1ELb0ELb1EdPKdS1_PdEviT7_lllT6_T8_lllPii,@function
_ZL19rocblas_trsv_deviceILi64ELi16ELb1ELb1ELb0ELb1EdPKdS1_PdEviT7_lllT6_T8_lllPii: ; @_ZL19rocblas_trsv_deviceILi64ELi16ELb1ELb1ELb0ELb1EdPKdS1_PdEviT7_lllT6_T8_lllPii
; %bb.0:
	s_load_b32 s6, s[0:1], 0x58
	s_bfe_u32 s2, ttmp6, 0x40014
	s_lshr_b32 s3, ttmp7, 16
	s_add_co_i32 s2, s2, 1
	s_bfe_u32 s5, ttmp6, 0x40008
	s_mul_i32 s4, s3, s2
	s_getreg_b32 s2, hwreg(HW_REG_IB_STS2, 6, 4)
	s_add_co_i32 s5, s5, s4
	s_cmp_eq_u32 s2, 0
	s_mov_b32 s77, 0
	s_cselect_b32 s76, s3, s5
                                        ; implicit-def: $vgpr102 : SGPR spill to VGPR lane
	s_wait_kmcnt 0x0
	s_cmp_ge_u32 s76, s6
	v_writelane_b32 v102, s6, 0
	s_cbranch_scc1 .LBB32_1117
; %bb.1:
	s_clause 0x3
	s_load_b512 s[56:71], s[0:1], 0x8
	s_load_b32 s3, s[0:1], 0x6c
	s_load_b32 s88, s[0:1], 0x60
	;; [unrolled: 1-line block ×3, first 2 shown]
	s_bfe_u32 s5, ttmp6, 0x4000c
	s_and_b32 s4, ttmp6, 15
	s_add_co_i32 s5, s5, 1
	s_load_b128 s[72:75], s[0:1], 0x48
	s_mul_i32 s5, ttmp9, s5
	v_and_b32_e32 v6, 0x3ff, v0
	s_add_co_i32 s4, s4, s5
	v_bfe_u32 v4, v0, 10, 10
	v_mov_b32_e32 v9, 0
                                        ; implicit-def: $vgpr97 : SGPR spill to VGPR lane
	s_delay_alu instid0(VALU_DEP_3) | instskip(SKIP_1) | instid1(VALU_DEP_3)
	v_dual_lshlrev_b32 v3, 6, v6 :: v_dual_bitop2_b32 v17, 3, v0 bitop3:0x40
	v_and_b32_e32 v77, 31, v0
	v_dual_mov_b32 v11, v9 :: v_dual_add_nc_u32 v8, 16, v4
	v_lshl_add_u32 v1, v4, 6, v6
	v_dual_add_nc_u32 v22, 32, v4 :: v_dual_add_nc_u32 v24, 48, v4
	s_wait_kmcnt 0x0
	s_lshl_b64 s[12:13], s[58:59], 3
	s_lshl_b64 s[14:15], s[68:69], 3
	s_cmp_eq_u32 s2, 0
	v_add_nc_u32_e32 v7, v8, v3
	s_cselect_b32 s87, ttmp9, s4
	s_add_co_i32 s1, s78, -1
	s_ashr_i32 s79, s78, 31
	s_ashr_i32 s2, s1, 31
	s_and_b32 s0, s3, 0xffff
	s_lshr_b32 s3, s79, 26
	s_lshr_b32 s2, s2, 26
	s_add_co_i32 s3, s78, s3
	s_add_co_i32 s88, s88, -1
	s_add_co_i32 s1, s1, s2
	s_and_not1_b32 s3, s3, 63
	s_sub_co_i32 s9, s88, s87
	s_ashr_i32 s1, s1, 6
	s_sub_co_i32 s18, s78, s3
	s_cmp_eq_u32 s1, s9
	v_mad_u32_u24 v10, v4, s0, v6
	s_cselect_b32 s1, -1, 0
	s_cmp_lg_u32 s18, 0
	v_lshl_add_u32 v12, v8, 6, v6
	s_cselect_b32 s2, -1, 0
	v_cmp_gt_u32_e64 s3, 2, v6
	s_and_b32 s30, s2, s1
	v_and_b32_e32 v18, 7, v0
	s_xor_b32 s89, s30, -1
	s_cmp_lg_u32 s87, 0
	v_and_b32_e32 v19, 15, v0
	s_cselect_b32 s0, -1, 0
	s_lshl_b32 s16, s9, 6
	s_cmp_lt_i32 s87, 5
	v_dual_add_nc_u32 v5, v4, v3 :: v_dual_add_nc_u32 v2, s16, v6
	s_cselect_b32 vcc_lo, -1, 0
	v_and_b32_e32 v16, 1, v0
	v_add_nc_u32_e32 v20, s16, v4
	v_writelane_b32 v102, s0, 1
	s_add_nc_u64 s[0:1], s[60:61], 1
	s_ashr_i32 s17, s16, 31
	v_cndmask_b32_e32 v5, v1, v5, vcc_lo
	v_cmp_eq_u32_e64 s2, 1, v16
	s_or_b32 vcc_lo, vcc_lo, s30
	s_mul_u64 s[10:11], s[0:1], s[16:17]
	v_cndmask_b32_e32 v21, v12, v7, vcc_lo
	v_cmp_gt_u32_e64 s0, 4, v1
	s_xor_b32 s4, s2, -1
	v_cmp_eq_u32_e64 s1, 0, v4
	v_cmp_eq_u32_e64 s5, 1, v17
	v_cmp_lt_u32_e64 s6, 1, v17
	s_and_b32 s92, s4, s0
	s_and_b32 s93, s2, s0
	v_cmp_gt_u32_e64 s2, 16, v1
	v_cmp_eq_u32_e64 s4, 0, v17
	s_and_b32 s94, s1, s3
	v_cmp_ne_u32_e64 s3, 0, v17
	v_add_nc_u32_e32 v7, v22, v3
	s_and_b32 s97, s5, s2
	s_and_b32 s95, s4, s2
	v_cmp_eq_u32_e64 s4, 2, v17
	s_and_b32 s96, s3, s2
	v_cmp_gt_u32_e64 s3, 64, v1
	s_and_b32 s98, s6, s2
	v_cmp_gt_u32_e64 s5, 4, v6
	s_and_b32 s99, s4, s2
	v_cmp_eq_u32_e64 s4, 3, v17
	v_cmp_eq_u32_e64 s6, 0, v18
	v_cmp_ne_u32_e64 s7, 0, v18
	s_and_b32 s101, s1, s5
	v_cmp_lt_u32_e64 s5, 1, v18
	s_and_b32 s100, s4, s2
	v_cmp_eq_u32_e64 s4, 1, v18
	s_and_b32 s102, s6, s3
	s_and_b32 s103, s7, s3
	v_cmp_lt_u32_e64 s6, 2, v18
	v_cmp_eq_u32_e64 s7, 3, v18
	s_and_b32 s104, s4, s3
	v_cmp_eq_u32_e64 s4, 2, v18
	s_and_b32 vcc_hi, s5, s3
	v_cmp_lt_u32_e64 s5, 3, v18
	s_and_b32 s33, s6, s3
	s_and_b32 s34, s7, s3
	;; [unrolled: 1-line block ×3, first 2 shown]
	v_cmp_eq_u32_e64 s4, 4, v18
	v_cmp_eq_u32_e64 s6, 5, v18
	v_cmp_lt_u32_e64 s7, 5, v18
	s_and_b32 s35, s5, s3
	v_cmp_lt_u32_e64 s5, 4, v18
	s_and_b32 s36, s4, s3
	v_cmp_eq_u32_e64 s4, 6, v18
	s_and_b32 s38, s6, s3
	s_and_b32 s39, s7, s3
	v_cmp_gt_u32_e64 s6, 8, v6
	v_add_nc_u32_e32 v3, v24, v3
	s_and_b32 s40, s4, s3
	v_cmp_gt_u32_e64 s4, 0x100, v1
	v_cmp_eq_u32_e64 s7, 0, v19
	s_and_b32 s37, s5, s3
	v_cmp_eq_u32_e64 s5, 7, v18
	v_cmp_ne_u32_e64 s8, 0, v19
	s_and_b32 s42, s1, s6
	s_and_b32 s6, s7, s4
	v_cmp_lt_u32_e64 s7, 2, v19
	v_writelane_b32 v102, s6, 2
	s_and_b32 s41, s5, s3
	v_cmp_eq_u32_e64 s5, 1, v19
	s_and_b32 s6, s8, s4
	v_cmp_eq_u32_e64 s8, 3, v19
	v_writelane_b32 v102, s6, 3
	v_cmp_lt_u32_e64 s6, 1, v19
	s_and_b32 s5, s5, s4
	v_add_nc_u64_e32 v[14:15], s[16:17], v[10:11]
	v_lshl_add_u32 v11, v22, 6, v6
	v_writelane_b32 v102, s5, 4
	v_cmp_eq_u32_e64 s5, 2, v19
	s_and_b32 s6, s6, s4
	v_lshl_add_u32 v12, v24, 6, v6
	v_dual_cndmask_b32 v23, v11, v7, vcc_lo :: v_dual_lshlrev_b32 v7, 3, v6
	v_writelane_b32 v102, s6, 5
	s_and_b32 s5, s5, s4
	v_cmp_lt_u32_e64 s6, 3, v19
	s_xor_b32 s91, vcc_lo, -1
	v_mad_u32_u24 v11, 0x1f8, v6, v7
	v_writelane_b32 v102, s5, 6
	s_and_b32 s5, s7, s4
	s_and_b32 s6, s6, s4
	v_cmp_eq_u32_e64 s7, 5, v19
	v_mad_i32_i24 v48, 0xfffffe08, v6, v11
	v_writelane_b32 v102, s5, 7
	s_and_b32 s5, s8, s4
	v_cmp_lt_u32_e64 s8, 5, v19
	v_dual_cndmask_b32 v25, v12, v3 :: v_dual_lshrrev_b32 v26, 2, v1
	v_writelane_b32 v102, s5, 8
	v_cmp_eq_u32_e64 s5, 4, v19
	s_and_b32 s54, s8, s4
	v_cmp_eq_u32_e64 s8, 8, v19
	v_mad_u32_u24 v49, 0x1f8, v6, v48
	v_writelane_b32 v102, s6, 9
	v_cmp_lt_u32_e64 s6, 4, v19
	s_and_b32 s5, s5, s4
	v_cmp_eq_u32_e32 vcc_lo, 14, v19
	s_and_b32 s27, s8, s4
	v_writelane_b32 v102, s5, 10
	s_and_b32 s6, s6, s4
	v_cmp_eq_u32_e64 s5, 6, v19
	v_cmp_lt_u32_e64 s8, 10, v19
	v_mad_i32_i24 v50, 0xfffffe08, v6, v49
	v_writelane_b32 v102, s6, 11
	s_and_b32 s6, s7, s4
	s_and_b32 s19, s5, s4
	v_cmp_eq_u32_e64 s5, 7, v19
	v_cmp_lt_u32_e64 s7, 7, v19
	v_writelane_b32 v102, s6, 12
	v_cmp_lt_u32_e64 s6, 6, v19
	s_and_b32 s45, vcc_lo, s4
	s_and_b32 s23, s5, s4
	v_cmp_eq_u32_e64 s5, 9, v19
	s_and_b32 s25, s7, s4
	s_and_b32 s21, s6, s4
	v_cmp_lt_u32_e64 s6, 8, v19
	v_cmp_eq_u32_e64 s7, 10, v19
	s_and_b32 s58, s5, s4
	v_cmp_eq_u32_e64 s5, 11, v19
	v_cmp_gt_u32_e32 vcc_lo, 32, v6
	s_and_b32 s29, s6, s4
	v_cmp_lt_u32_e64 s6, 9, v19
	s_and_b32 s20, s7, s4
	s_and_b32 s24, s5, s4
	v_cmp_eq_u32_e64 s5, 12, v19
	v_cmp_lt_u32_e64 s7, 12, v19
	s_and_b32 s59, s6, s4
	v_cmp_lt_u32_e64 s6, 11, v19
	s_and_b32 s22, s8, s4
	s_and_b32 s28, s5, s4
	;; [unrolled: 1-line block ×3, first 2 shown]
	v_cmp_eq_u32_e64 s5, 15, v19
	s_and_b32 s26, s6, s4
	v_cmp_lt_u32_e64 s6, 13, v19
	v_cmp_gt_u32_e64 s7, 16, v6
	v_cmp_eq_u32_e64 s8, 13, v19
	v_mad_u32_u24 v51, 0x1f8, v6, v50
	s_and_b32 s46, s5, s4
	s_and_b32 s44, s6, s4
	v_cmp_le_i32_e64 s6, s18, v6
	s_and_b32 s48, s1, s7
	s_and_b32 s7, s1, vcc_lo
	v_cmp_le_i32_e32 vcc_lo, s18, v4
	s_and_b32 s43, s8, s4
	s_and_b32 s47, s6, s30
	v_mad_i32_i24 v52, 0xfffffe08, v6, v51
	s_xor_b32 s5, s47, -1
	v_writelane_b32 v102, s7, 13
	s_and_b32 s49, s1, s5
	s_cmp_gt_i32 s87, 0
	v_mad_u32_u24 v53, 0x1f8, v6, v52
	s_cselect_b32 s50, -1, 0
	s_or_b32 s7, vcc_lo, s6
	v_cmp_le_i32_e32 vcc_lo, s18, v8
	v_dual_add_nc_u32 v12, 64, v20 :: v_dual_lshrrev_b32 v27, 1, v1
	v_mad_i32_i24 v54, 0xfffffe08, v6, v53
	v_dual_lshrrev_b32 v28, 10, v0 :: v_dual_lshlrev_b32 v29, 3, v26
	s_or_b32 s8, vcc_lo, s6
	v_cmp_le_i32_e32 vcc_lo, s18, v22
	s_delay_alu instid0(VALU_DEP_3)
	v_mad_u32_u24 v57, 0x1f8, v6, v54
	v_add_nc_u32_e32 v39, 0x50, v20
	v_dual_lshlrev_b32 v16, 3, v16 :: v_dual_ashrrev_i32 v3, 31, v2
	s_or_b32 s16, vcc_lo, s6
	v_cmp_le_i32_e32 vcc_lo, s18, v24
	v_mad_i32_i24 v59, 0xfffffe08, v6, v57
	v_bitop3_b32 v40, v0, v28, 0x3ff bitop3:0xa8
	v_lshlrev_b32_e32 v70, 3, v19
	v_add_nc_u32_e32 v0, 0x60, v20
	s_or_b32 s17, vcc_lo, s6
	v_cmp_gt_i32_e32 vcc_lo, s18, v6
	v_mad_u32_u24 v61, 0x1f8, v6, v59
	v_dual_lshlrev_b32 v63, 3, v17 :: v_dual_lshlrev_b32 v67, 3, v18
	v_lshl_or_b32 v64, v27, 9, v16
	s_and_b32 s5, s1, vcc_lo
	v_cmp_gt_i32_e32 vcc_lo, s78, v12
	v_writelane_b32 v102, s5, 14
	v_cmp_gt_i32_e64 s5, s78, v2
	v_mad_i32_i24 v79, 0xfffffe08, v6, v61
	v_mul_u64_e32 v[16:17], s[60:61], v[2:3]
	v_mul_u64_e32 v[18:19], s[70:71], v[2:3]
	v_add_nc_u32_e32 v2, 0x70, v20
	s_and_b32 s6, vcc_lo, s5
	v_cmp_gt_i32_e32 vcc_lo, s78, v39
	v_writelane_b32 v102, s6, 15
	v_mad_u32_u24 v80, 0x1f8, v6, v79
	v_dual_lshlrev_b32 v85, 3, v25 :: v_dual_mov_b32 v25, v9
	s_and_b32 s6, vcc_lo, s5
	v_cmp_gt_i32_e32 vcc_lo, s78, v0
	v_writelane_b32 v102, s6, 16
	s_add_nc_u64 s[68:69], s[56:57], s[12:13]
	s_add_co_i32 s57, s9, 1
	v_cmp_gt_u32_e64 s30, 0xf0, v1
	s_and_b32 s6, vcc_lo, s5
	v_cmp_gt_i32_e32 vcc_lo, s78, v2
	v_writelane_b32 v102, s6, 17
	v_cmp_gt_u32_e64 s51, 0x3e0, v1
	v_dual_lshrrev_b32 v30, 3, v1 :: v_dual_lshrrev_b32 v31, 4, v1
	s_and_b32 s6, vcc_lo, s5
	v_mul_u32_u24_e32 v55, 0x208, v26
	v_writelane_b32 v102, s6, 18
	v_cmp_le_u32_e64 s6, v6, v4
	v_dual_lshrrev_b32 v35, 5, v1 :: v_dual_bitop2_b32 v33, -8, v1 bitop3:0x40
	v_mul_u32_u24_e32 v58, 0x208, v30
	v_dual_sub_nc_u32 v32, v55, v29 :: v_dual_lshlrev_b32 v34, 3, v31
	s_or_b32 s7, s7, s6
	v_mul_u32_u24_e32 v60, 0x208, v31
	v_writelane_b32 v102, s7, 19
	v_cmp_le_u32_e64 s7, v6, v8
	v_dual_sub_nc_u32 v37, v58, v33 :: v_dual_lshlrev_b32 v78, 9, v35
	s_delay_alu instid0(VALU_DEP_4) | instskip(SKIP_1) | instid1(VALU_DEP_2)
	v_dual_lshlrev_b32 v0, 3, v4 :: v_dual_sub_nc_u32 v38, v60, v34
	s_or_b32 s8, s8, s7
	v_dual_add_nc_u32 v73, v37, v67 :: v_dual_lshlrev_b32 v3, 3, v77
	v_writelane_b32 v102, s8, 20
	v_cmp_le_u32_e64 s8, v6, v22
	v_add_nc_u32_e32 v66, 0x8000, v29
	v_add_nc_u32_e32 v74, 0x8000, v34
	v_dual_lshlrev_b32 v82, 3, v5 :: v_dual_bitop2_b32 v81, v78, v3 bitop3:0x54
	s_or_b32 s9, s16, s8
	v_mov_b32_e32 v5, v9
	v_writelane_b32 v102, s9, 21
	v_cmp_le_u32_e64 s9, v6, v24
	v_dual_lshlrev_b32 v83, 3, v21 :: v_dual_lshlrev_b32 v84, 3, v23
	v_mov_b32_e32 v23, v9
	v_lshl_add_u32 v56, v27, 3, 0x8000
	s_or_b32 s12, s17, s9
	v_mul_u32_u24_e32 v65, 0x208, v27
	v_writelane_b32 v102, s12, 22
	v_lshl_or_b32 v68, v26, 9, v63
	v_mul_u64_e32 v[14:15], s[70:71], v[14:15]
	v_or_b32_e32 v86, 0xa000, v0
	v_or_b32_e32 v41, v22, v6
	v_writelane_b32 v102, s30, 23
	v_cmp_gt_u32_e64 s30, 0xe0, v1
	v_mul_u64_e32 v[20:21], s[60:61], v[22:23]
	v_dual_add_nc_u32 v95, v86, v7 :: v_dual_bitop2_b32 v42, v24, v6 bitop3:0x54
	v_mul_u64_e32 v[22:23], s[60:61], v[24:25]
	s_delay_alu instid0(VALU_DEP_4)
	v_writelane_b32 v102, s30, 24
	v_cmp_gt_u32_e64 s30, 0xd0, v1
	v_mul_u64_e32 v[24:25], s[60:61], v[8:9]
	v_mul_u64_e32 v[26:27], s[60:61], v[4:5]
	v_mul_i32_i24_e32 v36, 0xfffffe08, v6
	v_add_nc_u32_e32 v87, v80, v0
	v_writelane_b32 v102, s30, 25
	v_cmp_gt_u32_e64 s30, 0xc0, v1
	v_dual_lshlrev_b32 v8, 3, v6 :: v_dual_bitop2_b32 v2, v8, v6 bitop3:0x54
	v_mad_u32_u24 v0, 0x1f8, v6, v36
	v_dual_lshlrev_b32 v62, 3, v35 :: v_dual_ashrrev_i32 v13, 31, v12
	s_delay_alu instid0(VALU_DEP_4) | instskip(SKIP_1) | instid1(VALU_DEP_4)
	v_writelane_b32 v102, s30, 26
	v_cmp_gt_u32_e64 s30, 0xb0, v1
	v_mul_lo_u32 v0, v0, 7
	v_lshl_or_b32 v72, v30, 9, v67
	v_lshl_or_b32 v75, v31, 9, v70
	v_cmp_lt_u32_e32 vcc_lo, 0x3ff, v1
	v_writelane_b32 v102, s30, 27
	v_cmp_gt_u32_e64 s30, 0xa0, v1
	v_mov_b64_e32 v[28:29], 0
	v_mov_b64_e32 v[30:31], 1.0
	s_add_nc_u64 s[66:67], s[66:67], s[14:15]
	v_dual_add_nc_u32 v69, v32, v63 :: v_dual_add_nc_u32 v76, v38, v70
	v_writelane_b32 v102, s30, 28
	v_cmp_gt_u32_e64 s30, 0x90, v1
	v_add_nc_u32_e32 v71, 0x8000, v33
	v_or_b32_e32 v88, 0x4100, v3
	v_add3_u32 v89, v7, v0, 0x7800
	s_lshl_b64 s[80:81], s[10:11], 3
	v_writelane_b32 v102, s30, 29
	v_cmp_gt_u32_e64 s30, 0x80, v1
	v_add_nc_u32_e32 v90, 0x8000, v62
	v_lshl_add_u32 v91, v10, 3, 0xa000
	v_lshl_add_u32 v92, v1, 3, 0x8000
	v_add_nc_u32_e32 v93, 0x8000, v7
	v_writelane_b32 v102, s30, 30
	v_cmp_gt_u32_e64 s30, 0x70, v1
	v_lshl_add_u32 v94, v4, 9, v59
	v_subrev_nc_u32_e32 v96, 63, v6
	v_mov_b32_e32 v3, 0x3ff00000
	v_cmp_eq_u32_e64 s10, 0, v40
	v_writelane_b32 v102, s30, 31
	v_cmp_gt_u32_e64 s30, 0x60, v1
	v_cmp_gt_u32_e64 s11, 2, v1
	;; [unrolled: 1-line block ×5, first 2 shown]
	v_writelane_b32 v97, s30, 0
	v_cmp_gt_u32_e64 s30, 0x50, v1
	v_cmp_gt_u32_e64 s15, 48, v1
	;; [unrolled: 1-line block ×5, first 2 shown]
	v_writelane_b32 v97, s30, 1
	v_cmp_gt_u32_e64 s30, 0x400, v1
	v_cmp_eq_u32_e64 s55, 0, v10
	v_cmp_gt_u32_e64 s56, 64, v10
	s_xor_b32 s86, vcc_lo, -1
	v_writelane_b32 v97, s51, 2
	v_cmp_gt_u32_e64 s51, 0x3c0, v1
                                        ; implicit-def: $vgpr32_vgpr33
                                        ; implicit-def: $vgpr34_vgpr35
                                        ; implicit-def: $vgpr36_vgpr37
                                        ; implicit-def: $vgpr38_vgpr39
	s_delay_alu instid0(VALU_DEP_1) | instskip(SKIP_1) | instid1(VALU_DEP_1)
	v_writelane_b32 v97, s51, 3
	v_cmp_gt_u32_e64 s51, 0x3a0, v1
	v_writelane_b32 v97, s51, 4
	v_cmp_gt_u32_e64 s51, 0x380, v1
	s_delay_alu instid0(VALU_DEP_1) | instskip(SKIP_1) | instid1(VALU_DEP_1)
	v_writelane_b32 v97, s51, 5
	v_cmp_gt_u32_e64 s51, 0x360, v1
	v_writelane_b32 v97, s51, 6
	v_cmp_gt_u32_e64 s51, 0x340, v1
	;; [unrolled: 5-line block ×12, first 2 shown]
	s_delay_alu instid0(VALU_DEP_1) | instskip(SKIP_1) | instid1(VALU_DEP_1)
	v_writelane_b32 v97, s51, 27
	v_cmp_gt_u32_e64 s51, 64, v42
	v_writelane_b32 v97, s51, 28
	s_branch .LBB32_3
.LBB32_2:                               ;   in Loop: Header=BB32_3 Depth=1
	s_wait_xcnt 0x0
	s_or_b32 exec_lo, exec_lo, s51
	v_readlane_b32 s51, v102, 0
	s_add_co_i32 s76, s76, 0x10000
	global_wb scope:SCOPE_DEV
	s_wait_storecnt 0x0
	global_inv scope:SCOPE_DEV
	s_cmp_lt_u32 s76, s51
	s_cbranch_scc0 .LBB32_1117
.LBB32_3:                               ; =>This Loop Header: Depth=1
                                        ;     Child Loop BB32_537 Depth 2
                                        ;     Child Loop BB32_986 Depth 2
                                        ;       Child Loop BB32_988 Depth 3
                                        ;     Child Loop BB32_1023 Depth 2
	global_load_b64 v[42:43], v9, s[64:65]
	s_mul_u64 s[52:53], s[62:63], s[76:77]
	v_readlane_b32 s51, v102, 1
	s_lshl_b64 s[52:53], s[52:53], 3
	s_delay_alu instid0(SALU_CYCLE_1) | instskip(NEXT) | instid1(SALU_CYCLE_1)
	s_add_nc_u64 s[82:83], s[68:69], s[52:53]
	v_lshl_add_u64 v[40:41], v[16:17], 3, s[82:83]
	s_and_not1_b32 vcc_lo, exec_lo, s51
	s_cbranch_vccnz .LBB32_13
; %bb.4:                                ;   in Loop: Header=BB32_3 Depth=1
	v_mov_b64_e32 v[34:35], 0
	v_mov_b64_e32 v[32:33], 0
	v_lshl_add_u64 v[0:1], v[12:13], 3, v[40:41]
	s_wait_loadcnt 0x0
	s_barrier_signal -1
	s_barrier_wait -1
	s_wait_xcnt 0x0
	s_mov_b32 s51, exec_lo
	v_readlane_b32 s52, v102, 15
	s_and_b32 s52, s51, s52
	s_delay_alu instid0(SALU_CYCLE_1)
	s_mov_b32 exec_lo, s52
	s_cbranch_execz .LBB32_6
; %bb.5:                                ;   in Loop: Header=BB32_3 Depth=1
	global_load_b64 v[32:33], v[0:1], off
.LBB32_6:                               ;   in Loop: Header=BB32_3 Depth=1
	s_wait_xcnt 0x0
	s_or_b32 exec_lo, exec_lo, s51
	s_wait_loadcnt 0x0
	s_barrier_signal -1
	s_barrier_wait -1
	s_mov_b32 s51, exec_lo
	v_readlane_b32 s52, v102, 16
	s_and_b32 s52, s51, s52
	s_delay_alu instid0(SALU_CYCLE_1)
	s_mov_b32 exec_lo, s52
	s_cbranch_execz .LBB32_8
; %bb.7:                                ;   in Loop: Header=BB32_3 Depth=1
	global_load_b64 v[34:35], v[0:1], off offset:128
.LBB32_8:                               ;   in Loop: Header=BB32_3 Depth=1
	s_wait_xcnt 0x0
	s_or_b32 exec_lo, exec_lo, s51
	v_mov_b64_e32 v[38:39], 0
	v_mov_b64_e32 v[36:37], 0
	s_wait_loadcnt 0x0
	s_barrier_signal -1
	s_barrier_wait -1
	s_mov_b32 s51, exec_lo
	v_readlane_b32 s52, v102, 17
	s_and_b32 s52, s51, s52
	s_delay_alu instid0(SALU_CYCLE_1)
	s_mov_b32 exec_lo, s52
	s_cbranch_execz .LBB32_10
; %bb.9:                                ;   in Loop: Header=BB32_3 Depth=1
	global_load_b64 v[36:37], v[0:1], off offset:256
.LBB32_10:                              ;   in Loop: Header=BB32_3 Depth=1
	s_wait_xcnt 0x0
	s_or_b32 exec_lo, exec_lo, s51
	s_wait_loadcnt 0x0
	s_barrier_signal -1
	s_barrier_wait -1
	s_mov_b32 s51, exec_lo
	v_readlane_b32 s52, v102, 18
	s_and_b32 s52, s51, s52
	s_delay_alu instid0(SALU_CYCLE_1)
	s_mov_b32 exec_lo, s52
	s_cbranch_execz .LBB32_12
; %bb.11:                               ;   in Loop: Header=BB32_3 Depth=1
	global_load_b64 v[38:39], v[0:1], off offset:384
.LBB32_12:                              ;   in Loop: Header=BB32_3 Depth=1
	s_wait_xcnt 0x0
	s_or_b32 exec_lo, exec_lo, s51
.LBB32_13:                              ;   in Loop: Header=BB32_3 Depth=1
	s_add_nc_u64 s[52:53], s[82:83], s[80:81]
	s_and_not1_b32 vcc_lo, exec_lo, s89
	v_add_nc_u64_e32 v[0:1], s[52:53], v[8:9]
	s_mov_b32 s51, -1
	s_cbranch_vccnz .LBB32_24
; %bb.14:                               ;   in Loop: Header=BB32_3 Depth=1
	s_wait_xcnt 0x0
	s_and_saveexec_b32 s51, s6
	s_delay_alu instid0(SALU_CYCLE_1)
	s_xor_b32 s51, exec_lo, s51
	s_cbranch_execnz .LBB32_1045
; %bb.15:                               ;   in Loop: Header=BB32_3 Depth=1
	s_and_not1_saveexec_b32 s51, s51
	s_cbranch_execnz .LBB32_1048
.LBB32_16:                              ;   in Loop: Header=BB32_3 Depth=1
	s_or_b32 exec_lo, exec_lo, s51
	s_and_saveexec_b32 s51, s7
	s_delay_alu instid0(SALU_CYCLE_1)
	s_xor_b32 s51, exec_lo, s51
	s_cbranch_execnz .LBB32_1049
.LBB32_17:                              ;   in Loop: Header=BB32_3 Depth=1
	s_and_not1_saveexec_b32 s51, s51
	s_cbranch_execnz .LBB32_1052
.LBB32_18:                              ;   in Loop: Header=BB32_3 Depth=1
	s_or_b32 exec_lo, exec_lo, s51
	s_and_saveexec_b32 s51, s8
	s_delay_alu instid0(SALU_CYCLE_1)
	s_xor_b32 s51, exec_lo, s51
	s_cbranch_execnz .LBB32_1053
.LBB32_19:                              ;   in Loop: Header=BB32_3 Depth=1
	s_and_not1_saveexec_b32 s51, s51
	s_cbranch_execnz .LBB32_1056
.LBB32_20:                              ;   in Loop: Header=BB32_3 Depth=1
	s_or_b32 exec_lo, exec_lo, s51
	s_and_saveexec_b32 s51, s9
	s_delay_alu instid0(SALU_CYCLE_1)
	s_xor_b32 s51, exec_lo, s51
	s_cbranch_execnz .LBB32_1057
.LBB32_21:                              ;   in Loop: Header=BB32_3 Depth=1
	s_and_not1_saveexec_b32 s51, s51
	s_cbranch_execz .LBB32_23
.LBB32_22:                              ;   in Loop: Header=BB32_3 Depth=1
	v_lshl_add_u64 v[44:45], v[22:23], 3, v[0:1]
	global_load_b64 v[44:45], v[44:45], off
	s_wait_loadcnt 0x0
	v_xor_b32_e32 v45, 0x80000000, v45
	ds_store_b64 v85, v[44:45]
.LBB32_23:                              ;   in Loop: Header=BB32_3 Depth=1
	s_or_b32 exec_lo, exec_lo, s51
	s_mov_b32 s51, 0
.LBB32_24:                              ;   in Loop: Header=BB32_3 Depth=1
	s_delay_alu instid0(SALU_CYCLE_1)
	s_and_b32 vcc_lo, exec_lo, s51
	s_cbranch_vccz .LBB32_50
; %bb.25:                               ;   in Loop: Header=BB32_3 Depth=1
	s_wait_xcnt 0x0
	s_mov_b32 s51, exec_lo
	v_readlane_b32 s52, v102, 19
	s_and_b32 s52, s51, s52
	s_delay_alu instid0(SALU_CYCLE_1)
	s_xor_b32 s51, s52, s51
	s_mov_b32 exec_lo, s52
	s_cbranch_execz .LBB32_29
; %bb.26:                               ;   in Loop: Header=BB32_3 Depth=1
	s_mov_b32 s52, exec_lo
	v_readlane_b32 s53, v97, 25
	s_and_b32 s53, s52, s53
	s_delay_alu instid0(SALU_CYCLE_1)
	s_mov_b32 exec_lo, s53
; %bb.27:                               ;   in Loop: Header=BB32_3 Depth=1
	ds_store_b64 v87, v[28:29]
; %bb.28:                               ;   in Loop: Header=BB32_3 Depth=1
	s_or_b32 exec_lo, exec_lo, s52
.LBB32_29:                              ;   in Loop: Header=BB32_3 Depth=1
	s_and_not1_saveexec_b32 s51, s51
	s_cbranch_execz .LBB32_31
; %bb.30:                               ;   in Loop: Header=BB32_3 Depth=1
	v_lshl_add_u64 v[44:45], v[26:27], 3, v[0:1]
	global_load_b64 v[44:45], v[44:45], off
	s_wait_loadcnt 0x0
	v_xor_b32_e32 v45, 0x80000000, v45
	ds_store_b64 v87, v[44:45]
.LBB32_31:                              ;   in Loop: Header=BB32_3 Depth=1
	s_or_b32 exec_lo, exec_lo, s51
	s_delay_alu instid0(SALU_CYCLE_1) | instskip(SKIP_2) | instid1(SALU_CYCLE_1)
	s_mov_b32 s51, exec_lo
	v_readlane_b32 s52, v102, 20
	s_and_b32 s52, s51, s52
	s_xor_b32 s51, s52, s51
	s_mov_b32 exec_lo, s52
	s_cbranch_execz .LBB32_35
; %bb.32:                               ;   in Loop: Header=BB32_3 Depth=1
	s_mov_b32 s52, exec_lo
	v_readlane_b32 s53, v97, 26
	s_and_b32 s53, s52, s53
	s_delay_alu instid0(SALU_CYCLE_1)
	s_mov_b32 exec_lo, s53
; %bb.33:                               ;   in Loop: Header=BB32_3 Depth=1
	ds_store_b64 v83, v[28:29]
; %bb.34:                               ;   in Loop: Header=BB32_3 Depth=1
	s_or_b32 exec_lo, exec_lo, s52
.LBB32_35:                              ;   in Loop: Header=BB32_3 Depth=1
	s_and_not1_saveexec_b32 s51, s51
	s_cbranch_execz .LBB32_37
; %bb.36:                               ;   in Loop: Header=BB32_3 Depth=1
	v_lshl_add_u64 v[44:45], v[24:25], 3, v[0:1]
	global_load_b64 v[44:45], v[44:45], off
	s_wait_loadcnt 0x0
	v_xor_b32_e32 v45, 0x80000000, v45
	ds_store_b64 v83, v[44:45]
.LBB32_37:                              ;   in Loop: Header=BB32_3 Depth=1
	s_or_b32 exec_lo, exec_lo, s51
	s_delay_alu instid0(SALU_CYCLE_1) | instskip(SKIP_2) | instid1(SALU_CYCLE_1)
	s_mov_b32 s51, exec_lo
	v_readlane_b32 s52, v102, 21
	s_and_b32 s52, s51, s52
	;; [unrolled: 28-line block ×3, first 2 shown]
	s_xor_b32 s51, s52, s51
	s_mov_b32 exec_lo, s52
	s_cbranch_execz .LBB32_47
; %bb.44:                               ;   in Loop: Header=BB32_3 Depth=1
	s_mov_b32 s52, exec_lo
	v_readlane_b32 s53, v97, 28
	s_and_b32 s53, s52, s53
	s_delay_alu instid0(SALU_CYCLE_1)
	s_mov_b32 exec_lo, s53
; %bb.45:                               ;   in Loop: Header=BB32_3 Depth=1
	ds_store_b64 v85, v[28:29]
; %bb.46:                               ;   in Loop: Header=BB32_3 Depth=1
	s_or_b32 exec_lo, exec_lo, s52
                                        ; implicit-def: $vgpr0_vgpr1
.LBB32_47:                              ;   in Loop: Header=BB32_3 Depth=1
	s_and_not1_saveexec_b32 s51, s51
	s_cbranch_execz .LBB32_49
; %bb.48:                               ;   in Loop: Header=BB32_3 Depth=1
	v_lshl_add_u64 v[0:1], v[22:23], 3, v[0:1]
	global_load_b64 v[0:1], v[0:1], off
	s_wait_loadcnt 0x0
	v_xor_b32_e32 v1, 0x80000000, v1
	ds_store_b64 v85, v[0:1]
.LBB32_49:                              ;   in Loop: Header=BB32_3 Depth=1
	s_or_b32 exec_lo, exec_lo, s51
.LBB32_50:                              ;   in Loop: Header=BB32_3 Depth=1
	s_delay_alu instid0(SALU_CYCLE_1)
	s_and_not1_b32 vcc_lo, exec_lo, s91
	s_wait_loadcnt_dscnt 0x0
	s_barrier_signal -1
	s_barrier_wait -1
	s_cbranch_vccnz .LBB32_980
; %bb.51:                               ;   in Loop: Header=BB32_3 Depth=1
	s_and_saveexec_b32 s51, s10
	s_cbranch_execz .LBB32_53
; %bb.52:                               ;   in Loop: Header=BB32_3 Depth=1
	ds_load_b64 v[0:1], v9 offset:8
	v_mov_b32_e32 v2, v9
	ds_store_b64 v9, v[30:31]
	s_wait_dscnt 0x1
	ds_store_b128 v9, v[0:3] offset:512
.LBB32_53:                              ;   in Loop: Header=BB32_3 Depth=1
	s_or_b32 exec_lo, exec_lo, s51
	v_mov_b64_e32 v[0:1], 0
	s_wait_dscnt 0x0
	s_barrier_signal -1
	s_barrier_wait -1
	s_and_saveexec_b32 s51, s0
	s_cbranch_execz .LBB32_57
; %bb.54:                               ;   in Loop: Header=BB32_3 Depth=1
	ds_load_b64 v[0:1], v64 offset:16
	ds_load_b64 v[44:45], v65
	s_wait_dscnt 0x0
	v_fma_f64 v[0:1], v[0:1], v[44:45], 0
	s_and_saveexec_b32 s52, s11
	s_cbranch_execz .LBB32_56
; %bb.55:                               ;   in Loop: Header=BB32_3 Depth=1
	ds_load_b64 v[44:45], v7 offset:528
	ds_load_b64 v[46:47], v9 offset:8
	s_wait_dscnt 0x0
	v_fmac_f64_e32 v[0:1], v[44:45], v[46:47]
.LBB32_56:                              ;   in Loop: Header=BB32_3 Depth=1
	s_or_b32 exec_lo, exec_lo, s52
	s_delay_alu instid0(VALU_DEP_1)
	v_xor_b32_e32 v1, 0x80000000, v1
.LBB32_57:                              ;   in Loop: Header=BB32_3 Depth=1
	s_or_b32 exec_lo, exec_lo, s51
	s_and_saveexec_b32 s51, s92
; %bb.58:                               ;   in Loop: Header=BB32_3 Depth=1
	ds_store_b64 v56, v[0:1]
; %bb.59:                               ;   in Loop: Header=BB32_3 Depth=1
	s_or_b32 exec_lo, exec_lo, s51
	s_wait_dscnt 0x0
	s_barrier_signal -1
	s_barrier_wait -1
	s_and_saveexec_b32 s51, s93
	s_cbranch_execz .LBB32_61
; %bb.60:                               ;   in Loop: Header=BB32_3 Depth=1
	ds_load_b64 v[44:45], v9 offset:1048
	ds_load_b64 v[46:47], v56
	s_wait_dscnt 0x0
	v_fmac_f64_e32 v[0:1], v[44:45], v[46:47]
.LBB32_61:                              ;   in Loop: Header=BB32_3 Depth=1
	s_or_b32 exec_lo, exec_lo, s51
	s_barrier_signal -1
	s_barrier_wait -1
	s_and_saveexec_b32 s51, s93
; %bb.62:                               ;   in Loop: Header=BB32_3 Depth=1
	ds_store_b64 v56, v[0:1]
; %bb.63:                               ;   in Loop: Header=BB32_3 Depth=1
	s_or_b32 exec_lo, exec_lo, s51
	s_wait_dscnt 0x0
	s_barrier_signal -1
	s_barrier_wait -1
	s_barrier_signal -1
	s_barrier_wait -1
	s_and_saveexec_b32 s51, s0
; %bb.64:                               ;   in Loop: Header=BB32_3 Depth=1
	v_xor_b32_e32 v1, 0x80000000, v1
	ds_store_b64 v64, v[0:1] offset:16
; %bb.65:                               ;   in Loop: Header=BB32_3 Depth=1
	s_or_b32 exec_lo, exec_lo, s51
	s_wait_dscnt 0x0
	s_barrier_signal -1
	s_barrier_wait -1
	s_barrier_signal -1
	s_barrier_wait -1
	s_and_saveexec_b32 s51, s94
	s_cbranch_execz .LBB32_67
; %bb.66:                               ;   in Loop: Header=BB32_3 Depth=1
	ds_load_b64 v[0:1], v11 offset:16
	s_wait_dscnt 0x0
	ds_store_b64 v7, v[0:1] offset:1024
	ds_load_b64 v[0:1], v11 offset:24
	s_wait_dscnt 0x0
	ds_store_b64 v7, v[0:1] offset:1536
.LBB32_67:                              ;   in Loop: Header=BB32_3 Depth=1
	s_or_b32 exec_lo, exec_lo, s51
	s_wait_dscnt 0x0
	s_barrier_signal -1
	s_barrier_wait -1
	s_and_saveexec_b32 s51, s10
	s_cbranch_execz .LBB32_69
; %bb.68:                               ;   in Loop: Header=BB32_3 Depth=1
	ds_load_b64 v[0:1], v9 offset:1048
	v_mov_b32_e32 v2, v9
	ds_store_b64 v9, v[30:31] offset:1040
	s_wait_dscnt 0x1
	ds_store_b128 v9, v[0:3] offset:1552
.LBB32_69:                              ;   in Loop: Header=BB32_3 Depth=1
	s_or_b32 exec_lo, exec_lo, s51
	v_mov_b64_e32 v[0:1], 0
	s_wait_dscnt 0x0
	s_barrier_signal -1
	s_barrier_wait -1
	s_and_saveexec_b32 s61, s2
	s_cbranch_execz .LBB32_75
; %bb.70:                               ;   in Loop: Header=BB32_3 Depth=1
	ds_load_b64 v[0:1], v68 offset:32
	ds_load_b64 v[44:45], v55
	s_wait_dscnt 0x0
	v_fma_f64 v[0:1], v[0:1], v[44:45], 0
	s_and_saveexec_b32 s51, s12
	s_cbranch_execnz .LBB32_1067
; %bb.71:                               ;   in Loop: Header=BB32_3 Depth=1
	s_or_b32 exec_lo, exec_lo, s51
	s_and_saveexec_b32 s51, s13
	s_cbranch_execnz .LBB32_1068
.LBB32_72:                              ;   in Loop: Header=BB32_3 Depth=1
	s_or_b32 exec_lo, exec_lo, s51
	s_and_saveexec_b32 s51, s0
	s_cbranch_execz .LBB32_74
.LBB32_73:                              ;   in Loop: Header=BB32_3 Depth=1
	ds_load_b64 v[44:45], v48 offset:1568
	ds_load_b64 v[46:47], v9 offset:24
	s_wait_dscnt 0x0
	v_fmac_f64_e32 v[0:1], v[44:45], v[46:47]
.LBB32_74:                              ;   in Loop: Header=BB32_3 Depth=1
	s_or_b32 exec_lo, exec_lo, s51
	s_delay_alu instid0(VALU_DEP_1)
	v_xor_b32_e32 v1, 0x80000000, v1
.LBB32_75:                              ;   in Loop: Header=BB32_3 Depth=1
	s_or_b32 exec_lo, exec_lo, s61
	s_and_saveexec_b32 s51, s95
; %bb.76:                               ;   in Loop: Header=BB32_3 Depth=1
	ds_store_b64 v66, v[0:1]
; %bb.77:                               ;   in Loop: Header=BB32_3 Depth=1
	s_or_b32 exec_lo, exec_lo, s51
	s_wait_dscnt 0x0
	s_barrier_signal -1
	s_barrier_wait -1
	s_and_saveexec_b32 s51, s96
	s_cbranch_execz .LBB32_79
; %bb.78:                               ;   in Loop: Header=BB32_3 Depth=1
	ds_load_b64 v[44:45], v63 offset:2080
	ds_load_b64 v[46:47], v66
	s_wait_dscnt 0x0
	v_fmac_f64_e32 v[0:1], v[44:45], v[46:47]
.LBB32_79:                              ;   in Loop: Header=BB32_3 Depth=1
	s_or_b32 exec_lo, exec_lo, s51
	s_barrier_signal -1
	s_barrier_wait -1
	s_and_saveexec_b32 s51, s97
; %bb.80:                               ;   in Loop: Header=BB32_3 Depth=1
	ds_store_b64 v66, v[0:1]
; %bb.81:                               ;   in Loop: Header=BB32_3 Depth=1
	s_or_b32 exec_lo, exec_lo, s51
	s_wait_dscnt 0x0
	s_barrier_signal -1
	s_barrier_wait -1
	s_and_saveexec_b32 s51, s98
	s_cbranch_execz .LBB32_83
; %bb.82:                               ;   in Loop: Header=BB32_3 Depth=1
	ds_load_b64 v[44:45], v63 offset:2592
	ds_load_b64 v[46:47], v66
	s_wait_dscnt 0x0
	v_fmac_f64_e32 v[0:1], v[44:45], v[46:47]
.LBB32_83:                              ;   in Loop: Header=BB32_3 Depth=1
	s_or_b32 exec_lo, exec_lo, s51
	s_barrier_signal -1
	s_barrier_wait -1
	;; [unrolled: 19-line block ×3, first 2 shown]
	s_and_saveexec_b32 s51, s100
; %bb.88:                               ;   in Loop: Header=BB32_3 Depth=1
	ds_store_b64 v66, v[0:1]
; %bb.89:                               ;   in Loop: Header=BB32_3 Depth=1
	s_or_b32 exec_lo, exec_lo, s51
	s_wait_dscnt 0x0
	s_barrier_signal -1
	s_barrier_wait -1
	s_barrier_signal -1
	s_barrier_wait -1
	s_and_saveexec_b32 s51, s2
; %bb.90:                               ;   in Loop: Header=BB32_3 Depth=1
	v_xor_b32_e32 v1, 0x80000000, v1
	ds_store_b64 v68, v[0:1] offset:32
; %bb.91:                               ;   in Loop: Header=BB32_3 Depth=1
	s_or_b32 exec_lo, exec_lo, s51
	s_wait_dscnt 0x0
	s_barrier_signal -1
	s_barrier_wait -1
	s_barrier_signal -1
	s_barrier_wait -1
	s_and_saveexec_b32 s51, s101
	s_cbranch_execz .LBB32_93
; %bb.92:                               ;   in Loop: Header=BB32_3 Depth=1
	ds_load_b64 v[0:1], v49 offset:32
	s_wait_dscnt 0x0
	ds_store_b64 v50, v[0:1] offset:2048
	ds_load_b64 v[0:1], v49 offset:40
	s_wait_dscnt 0x0
	ds_store_b64 v50, v[0:1] offset:2560
	;; [unrolled: 3-line block ×4, first 2 shown]
.LBB32_93:                              ;   in Loop: Header=BB32_3 Depth=1
	s_or_b32 exec_lo, exec_lo, s51
	s_wait_dscnt 0x0
	s_barrier_signal -1
	s_barrier_wait -1
	s_and_saveexec_b32 s51, s10
	s_cbranch_execz .LBB32_95
; %bb.94:                               ;   in Loop: Header=BB32_3 Depth=1
	ds_load_b64 v[0:1], v9 offset:2088
	v_mov_b32_e32 v2, v9
	ds_store_b64 v9, v[30:31] offset:2080
	s_wait_dscnt 0x1
	ds_store_b128 v9, v[0:3] offset:2592
.LBB32_95:                              ;   in Loop: Header=BB32_3 Depth=1
	s_or_b32 exec_lo, exec_lo, s51
	v_mov_b64_e32 v[0:1], 0
	s_wait_dscnt 0x0
	s_barrier_signal -1
	s_barrier_wait -1
	s_and_saveexec_b32 s51, s0
	s_cbranch_execz .LBB32_99
; %bb.96:                               ;   in Loop: Header=BB32_3 Depth=1
	ds_load_b64 v[0:1], v64 offset:2096
	ds_load_b64 v[44:45], v65 offset:2080
	s_wait_dscnt 0x0
	v_fma_f64 v[0:1], v[0:1], v[44:45], 0
	s_and_saveexec_b32 s52, s11
	s_cbranch_execz .LBB32_98
; %bb.97:                               ;   in Loop: Header=BB32_3 Depth=1
	ds_load_b64 v[44:45], v50 offset:2608
	ds_load_b64 v[46:47], v9 offset:2088
	s_wait_dscnt 0x0
	v_fmac_f64_e32 v[0:1], v[44:45], v[46:47]
.LBB32_98:                              ;   in Loop: Header=BB32_3 Depth=1
	s_or_b32 exec_lo, exec_lo, s52
	s_delay_alu instid0(VALU_DEP_1)
	v_xor_b32_e32 v1, 0x80000000, v1
.LBB32_99:                              ;   in Loop: Header=BB32_3 Depth=1
	s_or_b32 exec_lo, exec_lo, s51
	s_and_saveexec_b32 s51, s92
; %bb.100:                              ;   in Loop: Header=BB32_3 Depth=1
	ds_store_b64 v56, v[0:1]
; %bb.101:                              ;   in Loop: Header=BB32_3 Depth=1
	s_or_b32 exec_lo, exec_lo, s51
	s_wait_dscnt 0x0
	s_barrier_signal -1
	s_barrier_wait -1
	s_and_saveexec_b32 s51, s93
	s_cbranch_execz .LBB32_103
; %bb.102:                              ;   in Loop: Header=BB32_3 Depth=1
	ds_load_b64 v[44:45], v9 offset:3128
	ds_load_b64 v[46:47], v56
	s_wait_dscnt 0x0
	v_fmac_f64_e32 v[0:1], v[44:45], v[46:47]
.LBB32_103:                             ;   in Loop: Header=BB32_3 Depth=1
	s_or_b32 exec_lo, exec_lo, s51
	s_barrier_signal -1
	s_barrier_wait -1
	s_and_saveexec_b32 s51, s93
; %bb.104:                              ;   in Loop: Header=BB32_3 Depth=1
	ds_store_b64 v56, v[0:1]
; %bb.105:                              ;   in Loop: Header=BB32_3 Depth=1
	s_or_b32 exec_lo, exec_lo, s51
	s_wait_dscnt 0x0
	s_barrier_signal -1
	s_barrier_wait -1
	s_barrier_signal -1
	s_barrier_wait -1
	s_and_saveexec_b32 s51, s0
; %bb.106:                              ;   in Loop: Header=BB32_3 Depth=1
	v_xor_b32_e32 v1, 0x80000000, v1
	ds_store_b64 v64, v[0:1] offset:2096
; %bb.107:                              ;   in Loop: Header=BB32_3 Depth=1
	s_or_b32 exec_lo, exec_lo, s51
	s_wait_dscnt 0x0
	s_barrier_signal -1
	s_barrier_wait -1
	s_barrier_signal -1
	s_barrier_wait -1
	s_and_saveexec_b32 s51, s94
	s_cbranch_execz .LBB32_109
; %bb.108:                              ;   in Loop: Header=BB32_3 Depth=1
	ds_load_b64 v[0:1], v51 offset:2096
	s_wait_dscnt 0x0
	ds_store_b64 v50, v[0:1] offset:3104
	ds_load_b64 v[0:1], v51 offset:2104
	s_wait_dscnt 0x0
	ds_store_b64 v50, v[0:1] offset:3616
.LBB32_109:                             ;   in Loop: Header=BB32_3 Depth=1
	s_or_b32 exec_lo, exec_lo, s51
	s_wait_dscnt 0x0
	s_barrier_signal -1
	s_barrier_wait -1
	s_and_saveexec_b32 s51, s10
	s_cbranch_execz .LBB32_111
; %bb.110:                              ;   in Loop: Header=BB32_3 Depth=1
	ds_load_b64 v[0:1], v9 offset:3128
	v_mov_b32_e32 v2, v9
	ds_store_b64 v9, v[30:31] offset:3120
	s_wait_dscnt 0x1
	ds_store_b128 v9, v[0:3] offset:3632
.LBB32_111:                             ;   in Loop: Header=BB32_3 Depth=1
	s_or_b32 exec_lo, exec_lo, s51
	v_mov_b64_e32 v[0:1], 0
	s_wait_dscnt 0x0
	s_barrier_signal -1
	s_barrier_wait -1
	s_and_saveexec_b32 s61, s3
	s_cbranch_execz .LBB32_121
; %bb.112:                              ;   in Loop: Header=BB32_3 Depth=1
	ds_load_b64 v[0:1], v72 offset:64
	ds_load_b64 v[44:45], v58
	s_wait_dscnt 0x0
	v_fma_f64 v[0:1], v[0:1], v[44:45], 0
	s_and_saveexec_b32 s51, s14
	s_cbranch_execnz .LBB32_1069
; %bb.113:                              ;   in Loop: Header=BB32_3 Depth=1
	s_or_b32 exec_lo, exec_lo, s51
	s_and_saveexec_b32 s51, s15
	s_cbranch_execnz .LBB32_1070
.LBB32_114:                             ;   in Loop: Header=BB32_3 Depth=1
	s_or_b32 exec_lo, exec_lo, s51
	s_and_saveexec_b32 s51, s16
	s_cbranch_execnz .LBB32_1071
.LBB32_115:                             ;   in Loop: Header=BB32_3 Depth=1
	s_or_b32 exec_lo, exec_lo, s51
	s_and_saveexec_b32 s51, s17
	s_cbranch_execnz .LBB32_1072
.LBB32_116:                             ;   in Loop: Header=BB32_3 Depth=1
	s_or_b32 exec_lo, exec_lo, s51
	s_and_saveexec_b32 s51, s18
	s_cbranch_execnz .LBB32_1073
.LBB32_117:                             ;   in Loop: Header=BB32_3 Depth=1
	s_or_b32 exec_lo, exec_lo, s51
	s_and_saveexec_b32 s51, s2
	s_cbranch_execnz .LBB32_1074
.LBB32_118:                             ;   in Loop: Header=BB32_3 Depth=1
	s_or_b32 exec_lo, exec_lo, s51
	s_and_saveexec_b32 s51, s13
	s_cbranch_execz .LBB32_120
.LBB32_119:                             ;   in Loop: Header=BB32_3 Depth=1
	ds_load_b64 v[44:45], v52 offset:3648
	ds_load_b64 v[46:47], v9 offset:56
	s_wait_dscnt 0x0
	v_fmac_f64_e32 v[0:1], v[44:45], v[46:47]
.LBB32_120:                             ;   in Loop: Header=BB32_3 Depth=1
	s_or_b32 exec_lo, exec_lo, s51
	s_delay_alu instid0(VALU_DEP_1)
	v_xor_b32_e32 v1, 0x80000000, v1
.LBB32_121:                             ;   in Loop: Header=BB32_3 Depth=1
	s_or_b32 exec_lo, exec_lo, s61
	s_and_saveexec_b32 s51, s102
; %bb.122:                              ;   in Loop: Header=BB32_3 Depth=1
	ds_store_b64 v71, v[0:1]
; %bb.123:                              ;   in Loop: Header=BB32_3 Depth=1
	s_or_b32 exec_lo, exec_lo, s51
	s_wait_dscnt 0x0
	s_barrier_signal -1
	s_barrier_wait -1
	s_and_saveexec_b32 s51, s103
	s_cbranch_execz .LBB32_125
; %bb.124:                              ;   in Loop: Header=BB32_3 Depth=1
	ds_load_b64 v[44:45], v67 offset:4160
	ds_load_b64 v[46:47], v71
	s_wait_dscnt 0x0
	v_fmac_f64_e32 v[0:1], v[44:45], v[46:47]
.LBB32_125:                             ;   in Loop: Header=BB32_3 Depth=1
	s_or_b32 exec_lo, exec_lo, s51
	s_barrier_signal -1
	s_barrier_wait -1
	s_and_saveexec_b32 s51, s104
; %bb.126:                              ;   in Loop: Header=BB32_3 Depth=1
	ds_store_b64 v71, v[0:1]
; %bb.127:                              ;   in Loop: Header=BB32_3 Depth=1
	s_or_b32 exec_lo, exec_lo, s51
	s_wait_dscnt 0x0
	s_barrier_signal -1
	s_barrier_wait -1
	s_and_saveexec_b32 s51, vcc_hi
	s_cbranch_execz .LBB32_129
; %bb.128:                              ;   in Loop: Header=BB32_3 Depth=1
	ds_load_b64 v[44:45], v67 offset:4672
	ds_load_b64 v[46:47], v71
	s_wait_dscnt 0x0
	v_fmac_f64_e32 v[0:1], v[44:45], v[46:47]
.LBB32_129:                             ;   in Loop: Header=BB32_3 Depth=1
	s_or_b32 exec_lo, exec_lo, s51
	s_barrier_signal -1
	s_barrier_wait -1
	s_and_saveexec_b32 s51, s31
; %bb.130:                              ;   in Loop: Header=BB32_3 Depth=1
	ds_store_b64 v71, v[0:1]
; %bb.131:                              ;   in Loop: Header=BB32_3 Depth=1
	s_or_b32 exec_lo, exec_lo, s51
	s_wait_dscnt 0x0
	s_barrier_signal -1
	s_barrier_wait -1
	s_and_saveexec_b32 s51, s33
	s_cbranch_execz .LBB32_133
; %bb.132:                              ;   in Loop: Header=BB32_3 Depth=1
	ds_load_b64 v[44:45], v67 offset:5184
	ds_load_b64 v[46:47], v71
	s_wait_dscnt 0x0
	v_fmac_f64_e32 v[0:1], v[44:45], v[46:47]
.LBB32_133:                             ;   in Loop: Header=BB32_3 Depth=1
	s_or_b32 exec_lo, exec_lo, s51
	s_barrier_signal -1
	s_barrier_wait -1
	s_and_saveexec_b32 s51, s34
; %bb.134:                              ;   in Loop: Header=BB32_3 Depth=1
	ds_store_b64 v71, v[0:1]
; %bb.135:                              ;   in Loop: Header=BB32_3 Depth=1
	s_or_b32 exec_lo, exec_lo, s51
	s_wait_dscnt 0x0
	s_barrier_signal -1
	s_barrier_wait -1
	s_and_saveexec_b32 s51, s35
	;; [unrolled: 19-line block ×5, first 2 shown]
	s_cbranch_execz .LBB32_149
; %bb.148:                              ;   in Loop: Header=BB32_3 Depth=1
	ds_load_b64 v[44:45], v9 offset:7288
	ds_load_b64 v[46:47], v71
	s_wait_dscnt 0x0
	v_fmac_f64_e32 v[0:1], v[44:45], v[46:47]
.LBB32_149:                             ;   in Loop: Header=BB32_3 Depth=1
	s_or_b32 exec_lo, exec_lo, s51
	s_barrier_signal -1
	s_barrier_wait -1
	s_and_saveexec_b32 s51, s41
; %bb.150:                              ;   in Loop: Header=BB32_3 Depth=1
	ds_store_b64 v71, v[0:1]
; %bb.151:                              ;   in Loop: Header=BB32_3 Depth=1
	s_or_b32 exec_lo, exec_lo, s51
	s_wait_dscnt 0x0
	s_barrier_signal -1
	s_barrier_wait -1
	s_barrier_signal -1
	s_barrier_wait -1
	s_and_saveexec_b32 s51, s3
; %bb.152:                              ;   in Loop: Header=BB32_3 Depth=1
	v_xor_b32_e32 v1, 0x80000000, v1
	ds_store_b64 v72, v[0:1] offset:64
; %bb.153:                              ;   in Loop: Header=BB32_3 Depth=1
	s_or_b32 exec_lo, exec_lo, s51
	s_wait_dscnt 0x0
	s_barrier_signal -1
	s_barrier_wait -1
	s_barrier_signal -1
	s_barrier_wait -1
	s_and_saveexec_b32 s51, s42
	s_cbranch_execz .LBB32_155
; %bb.154:                              ;   in Loop: Header=BB32_3 Depth=1
	ds_load_b64 v[0:1], v53 offset:64
	s_wait_dscnt 0x0
	ds_store_b64 v54, v[0:1] offset:4096
	ds_load_b64 v[0:1], v53 offset:72
	s_wait_dscnt 0x0
	ds_store_b64 v54, v[0:1] offset:4608
	;; [unrolled: 3-line block ×8, first 2 shown]
.LBB32_155:                             ;   in Loop: Header=BB32_3 Depth=1
	s_or_b32 exec_lo, exec_lo, s51
	s_wait_dscnt 0x0
	s_barrier_signal -1
	s_barrier_wait -1
	s_and_saveexec_b32 s51, s10
	s_cbranch_execz .LBB32_157
; %bb.156:                              ;   in Loop: Header=BB32_3 Depth=1
	ds_load_b64 v[0:1], v9 offset:4168
	v_mov_b32_e32 v2, v9
	ds_store_b64 v9, v[30:31] offset:4160
	s_wait_dscnt 0x1
	ds_store_b128 v9, v[0:3] offset:4672
.LBB32_157:                             ;   in Loop: Header=BB32_3 Depth=1
	s_or_b32 exec_lo, exec_lo, s51
	v_mov_b64_e32 v[0:1], 0
	s_wait_dscnt 0x0
	s_barrier_signal -1
	s_barrier_wait -1
	s_and_saveexec_b32 s51, s0
	s_cbranch_execz .LBB32_161
; %bb.158:                              ;   in Loop: Header=BB32_3 Depth=1
	ds_load_b64 v[0:1], v64 offset:4176
	ds_load_b64 v[44:45], v65 offset:4160
	s_wait_dscnt 0x0
	v_fma_f64 v[0:1], v[0:1], v[44:45], 0
	s_and_saveexec_b32 s52, s11
	s_cbranch_execz .LBB32_160
; %bb.159:                              ;   in Loop: Header=BB32_3 Depth=1
	ds_load_b64 v[44:45], v54 offset:4688
	ds_load_b64 v[46:47], v9 offset:4168
	s_wait_dscnt 0x0
	v_fmac_f64_e32 v[0:1], v[44:45], v[46:47]
.LBB32_160:                             ;   in Loop: Header=BB32_3 Depth=1
	s_or_b32 exec_lo, exec_lo, s52
	s_delay_alu instid0(VALU_DEP_1)
	v_xor_b32_e32 v1, 0x80000000, v1
.LBB32_161:                             ;   in Loop: Header=BB32_3 Depth=1
	s_or_b32 exec_lo, exec_lo, s51
	s_and_saveexec_b32 s51, s92
; %bb.162:                              ;   in Loop: Header=BB32_3 Depth=1
	ds_store_b64 v56, v[0:1]
; %bb.163:                              ;   in Loop: Header=BB32_3 Depth=1
	s_or_b32 exec_lo, exec_lo, s51
	s_wait_dscnt 0x0
	s_barrier_signal -1
	s_barrier_wait -1
	s_and_saveexec_b32 s51, s93
	s_cbranch_execz .LBB32_165
; %bb.164:                              ;   in Loop: Header=BB32_3 Depth=1
	ds_load_b64 v[44:45], v9 offset:5208
	ds_load_b64 v[46:47], v56
	s_wait_dscnt 0x0
	v_fmac_f64_e32 v[0:1], v[44:45], v[46:47]
.LBB32_165:                             ;   in Loop: Header=BB32_3 Depth=1
	s_or_b32 exec_lo, exec_lo, s51
	s_barrier_signal -1
	s_barrier_wait -1
	s_and_saveexec_b32 s51, s93
; %bb.166:                              ;   in Loop: Header=BB32_3 Depth=1
	ds_store_b64 v56, v[0:1]
; %bb.167:                              ;   in Loop: Header=BB32_3 Depth=1
	s_or_b32 exec_lo, exec_lo, s51
	s_wait_dscnt 0x0
	s_barrier_signal -1
	s_barrier_wait -1
	s_barrier_signal -1
	s_barrier_wait -1
	s_and_saveexec_b32 s51, s0
; %bb.168:                              ;   in Loop: Header=BB32_3 Depth=1
	v_xor_b32_e32 v1, 0x80000000, v1
	ds_store_b64 v64, v[0:1] offset:4176
; %bb.169:                              ;   in Loop: Header=BB32_3 Depth=1
	s_or_b32 exec_lo, exec_lo, s51
	s_wait_dscnt 0x0
	s_barrier_signal -1
	s_barrier_wait -1
	s_barrier_signal -1
	s_barrier_wait -1
	s_and_saveexec_b32 s51, s94
	s_cbranch_execz .LBB32_171
; %bb.170:                              ;   in Loop: Header=BB32_3 Depth=1
	ds_load_b64 v[0:1], v57 offset:4176
	s_wait_dscnt 0x0
	ds_store_b64 v54, v[0:1] offset:5184
	ds_load_b64 v[0:1], v57 offset:4184
	s_wait_dscnt 0x0
	ds_store_b64 v54, v[0:1] offset:5696
.LBB32_171:                             ;   in Loop: Header=BB32_3 Depth=1
	s_or_b32 exec_lo, exec_lo, s51
	s_wait_dscnt 0x0
	s_barrier_signal -1
	s_barrier_wait -1
	s_and_saveexec_b32 s51, s10
	s_cbranch_execz .LBB32_173
; %bb.172:                              ;   in Loop: Header=BB32_3 Depth=1
	ds_load_b64 v[0:1], v9 offset:5208
	v_mov_b32_e32 v2, v9
	ds_store_b64 v9, v[30:31] offset:5200
	s_wait_dscnt 0x1
	ds_store_b128 v9, v[0:3] offset:5712
.LBB32_173:                             ;   in Loop: Header=BB32_3 Depth=1
	s_or_b32 exec_lo, exec_lo, s51
	v_mov_b64_e32 v[0:1], 0
	s_wait_dscnt 0x0
	s_barrier_signal -1
	s_barrier_wait -1
	s_and_saveexec_b32 s61, s2
	s_cbranch_execz .LBB32_179
; %bb.174:                              ;   in Loop: Header=BB32_3 Depth=1
	ds_load_b64 v[0:1], v68 offset:4192
	ds_load_b64 v[44:45], v55 offset:4160
	s_wait_dscnt 0x0
	v_fma_f64 v[0:1], v[0:1], v[44:45], 0
	s_and_saveexec_b32 s51, s12
	s_cbranch_execnz .LBB32_1075
; %bb.175:                              ;   in Loop: Header=BB32_3 Depth=1
	s_or_b32 exec_lo, exec_lo, s51
	s_and_saveexec_b32 s51, s13
	s_cbranch_execnz .LBB32_1076
.LBB32_176:                             ;   in Loop: Header=BB32_3 Depth=1
	s_or_b32 exec_lo, exec_lo, s51
	s_and_saveexec_b32 s51, s0
	s_cbranch_execz .LBB32_178
.LBB32_177:                             ;   in Loop: Header=BB32_3 Depth=1
	ds_load_b64 v[44:45], v59 offset:5728
	ds_load_b64 v[46:47], v9 offset:4184
	s_wait_dscnt 0x0
	v_fmac_f64_e32 v[0:1], v[44:45], v[46:47]
.LBB32_178:                             ;   in Loop: Header=BB32_3 Depth=1
	s_or_b32 exec_lo, exec_lo, s51
	s_delay_alu instid0(VALU_DEP_1)
	v_xor_b32_e32 v1, 0x80000000, v1
.LBB32_179:                             ;   in Loop: Header=BB32_3 Depth=1
	s_or_b32 exec_lo, exec_lo, s61
	s_and_saveexec_b32 s51, s95
; %bb.180:                              ;   in Loop: Header=BB32_3 Depth=1
	ds_store_b64 v66, v[0:1]
; %bb.181:                              ;   in Loop: Header=BB32_3 Depth=1
	s_or_b32 exec_lo, exec_lo, s51
	s_wait_dscnt 0x0
	s_barrier_signal -1
	s_barrier_wait -1
	s_and_saveexec_b32 s51, s96
	s_cbranch_execz .LBB32_183
; %bb.182:                              ;   in Loop: Header=BB32_3 Depth=1
	ds_load_b64 v[44:45], v63 offset:6240
	ds_load_b64 v[46:47], v66
	s_wait_dscnt 0x0
	v_fmac_f64_e32 v[0:1], v[44:45], v[46:47]
.LBB32_183:                             ;   in Loop: Header=BB32_3 Depth=1
	s_or_b32 exec_lo, exec_lo, s51
	s_barrier_signal -1
	s_barrier_wait -1
	s_and_saveexec_b32 s51, s97
; %bb.184:                              ;   in Loop: Header=BB32_3 Depth=1
	ds_store_b64 v66, v[0:1]
; %bb.185:                              ;   in Loop: Header=BB32_3 Depth=1
	s_or_b32 exec_lo, exec_lo, s51
	s_wait_dscnt 0x0
	s_barrier_signal -1
	s_barrier_wait -1
	s_and_saveexec_b32 s51, s98
	s_cbranch_execz .LBB32_187
; %bb.186:                              ;   in Loop: Header=BB32_3 Depth=1
	ds_load_b64 v[44:45], v63 offset:6752
	ds_load_b64 v[46:47], v66
	s_wait_dscnt 0x0
	v_fmac_f64_e32 v[0:1], v[44:45], v[46:47]
.LBB32_187:                             ;   in Loop: Header=BB32_3 Depth=1
	s_or_b32 exec_lo, exec_lo, s51
	s_barrier_signal -1
	s_barrier_wait -1
	;; [unrolled: 19-line block ×3, first 2 shown]
	s_and_saveexec_b32 s51, s100
; %bb.192:                              ;   in Loop: Header=BB32_3 Depth=1
	ds_store_b64 v66, v[0:1]
; %bb.193:                              ;   in Loop: Header=BB32_3 Depth=1
	s_or_b32 exec_lo, exec_lo, s51
	s_wait_dscnt 0x0
	s_barrier_signal -1
	s_barrier_wait -1
	s_barrier_signal -1
	s_barrier_wait -1
	s_and_saveexec_b32 s51, s2
; %bb.194:                              ;   in Loop: Header=BB32_3 Depth=1
	v_xor_b32_e32 v1, 0x80000000, v1
	ds_store_b64 v68, v[0:1] offset:4192
; %bb.195:                              ;   in Loop: Header=BB32_3 Depth=1
	s_or_b32 exec_lo, exec_lo, s51
	s_wait_dscnt 0x0
	s_barrier_signal -1
	s_barrier_wait -1
	s_barrier_signal -1
	s_barrier_wait -1
	s_and_saveexec_b32 s51, s101
	s_cbranch_execz .LBB32_197
; %bb.196:                              ;   in Loop: Header=BB32_3 Depth=1
	ds_load_b64 v[0:1], v61 offset:4192
	s_wait_dscnt 0x0
	ds_store_b64 v79, v[0:1] offset:6208
	ds_load_b64 v[0:1], v61 offset:4200
	s_wait_dscnt 0x0
	ds_store_b64 v79, v[0:1] offset:6720
	;; [unrolled: 3-line block ×4, first 2 shown]
.LBB32_197:                             ;   in Loop: Header=BB32_3 Depth=1
	s_or_b32 exec_lo, exec_lo, s51
	s_wait_dscnt 0x0
	s_barrier_signal -1
	s_barrier_wait -1
	s_and_saveexec_b32 s51, s10
	s_cbranch_execz .LBB32_199
; %bb.198:                              ;   in Loop: Header=BB32_3 Depth=1
	ds_load_b64 v[0:1], v9 offset:6248
	v_mov_b32_e32 v2, v9
	ds_store_b64 v9, v[30:31] offset:6240
	s_wait_dscnt 0x1
	ds_store_b128 v9, v[0:3] offset:6752
.LBB32_199:                             ;   in Loop: Header=BB32_3 Depth=1
	s_or_b32 exec_lo, exec_lo, s51
	v_mov_b64_e32 v[0:1], 0
	s_wait_dscnt 0x0
	s_barrier_signal -1
	s_barrier_wait -1
	s_and_saveexec_b32 s51, s0
	s_cbranch_execz .LBB32_203
; %bb.200:                              ;   in Loop: Header=BB32_3 Depth=1
	ds_load_b64 v[0:1], v64 offset:6256
	ds_load_b64 v[44:45], v65 offset:6240
	s_wait_dscnt 0x0
	v_fma_f64 v[0:1], v[0:1], v[44:45], 0
	s_and_saveexec_b32 s52, s11
	s_cbranch_execz .LBB32_202
; %bb.201:                              ;   in Loop: Header=BB32_3 Depth=1
	ds_load_b64 v[44:45], v79 offset:6768
	ds_load_b64 v[46:47], v9 offset:6248
	s_wait_dscnt 0x0
	v_fmac_f64_e32 v[0:1], v[44:45], v[46:47]
.LBB32_202:                             ;   in Loop: Header=BB32_3 Depth=1
	s_or_b32 exec_lo, exec_lo, s52
	s_delay_alu instid0(VALU_DEP_1)
	v_xor_b32_e32 v1, 0x80000000, v1
.LBB32_203:                             ;   in Loop: Header=BB32_3 Depth=1
	s_or_b32 exec_lo, exec_lo, s51
	s_and_saveexec_b32 s51, s92
; %bb.204:                              ;   in Loop: Header=BB32_3 Depth=1
	ds_store_b64 v56, v[0:1]
; %bb.205:                              ;   in Loop: Header=BB32_3 Depth=1
	s_or_b32 exec_lo, exec_lo, s51
	s_wait_dscnt 0x0
	s_barrier_signal -1
	s_barrier_wait -1
	s_and_saveexec_b32 s51, s93
	s_cbranch_execz .LBB32_207
; %bb.206:                              ;   in Loop: Header=BB32_3 Depth=1
	ds_load_b64 v[44:45], v9 offset:7288
	ds_load_b64 v[46:47], v56
	s_wait_dscnt 0x0
	v_fmac_f64_e32 v[0:1], v[44:45], v[46:47]
.LBB32_207:                             ;   in Loop: Header=BB32_3 Depth=1
	s_or_b32 exec_lo, exec_lo, s51
	s_barrier_signal -1
	s_barrier_wait -1
	s_and_saveexec_b32 s51, s93
; %bb.208:                              ;   in Loop: Header=BB32_3 Depth=1
	ds_store_b64 v56, v[0:1]
; %bb.209:                              ;   in Loop: Header=BB32_3 Depth=1
	s_or_b32 exec_lo, exec_lo, s51
	s_wait_dscnt 0x0
	s_barrier_signal -1
	s_barrier_wait -1
	s_barrier_signal -1
	s_barrier_wait -1
	s_and_saveexec_b32 s51, s0
; %bb.210:                              ;   in Loop: Header=BB32_3 Depth=1
	v_xor_b32_e32 v1, 0x80000000, v1
	ds_store_b64 v64, v[0:1] offset:6256
; %bb.211:                              ;   in Loop: Header=BB32_3 Depth=1
	s_or_b32 exec_lo, exec_lo, s51
	s_wait_dscnt 0x0
	s_barrier_signal -1
	s_barrier_wait -1
	s_barrier_signal -1
	s_barrier_wait -1
	s_and_saveexec_b32 s51, s94
	s_cbranch_execz .LBB32_213
; %bb.212:                              ;   in Loop: Header=BB32_3 Depth=1
	ds_load_b64 v[0:1], v80 offset:6256
	s_wait_dscnt 0x0
	ds_store_b64 v79, v[0:1] offset:7264
	ds_load_b64 v[0:1], v80 offset:6264
	s_wait_dscnt 0x0
	ds_store_b64 v79, v[0:1] offset:7776
.LBB32_213:                             ;   in Loop: Header=BB32_3 Depth=1
	s_or_b32 exec_lo, exec_lo, s51
	s_wait_dscnt 0x0
	s_barrier_signal -1
	s_barrier_wait -1
	s_and_saveexec_b32 s51, s10
	s_cbranch_execz .LBB32_215
; %bb.214:                              ;   in Loop: Header=BB32_3 Depth=1
	ds_load_b64 v[0:1], v9 offset:7288
	v_mov_b32_e32 v2, v9
	ds_store_b64 v9, v[30:31] offset:7280
	s_wait_dscnt 0x1
	ds_store_b128 v9, v[0:3] offset:7792
.LBB32_215:                             ;   in Loop: Header=BB32_3 Depth=1
	s_or_b32 exec_lo, exec_lo, s51
	v_mov_b64_e32 v[0:1], 0
	s_wait_dscnt 0x0
	s_barrier_signal -1
	s_barrier_wait -1
	s_and_saveexec_b32 s82, s4
	s_cbranch_execz .LBB32_243
; %bb.216:                              ;   in Loop: Header=BB32_3 Depth=1
	ds_load_b64 v[0:1], v75 offset:128
	ds_load_b64 v[44:45], v60
	s_wait_dscnt 0x0
	v_fma_f64 v[0:1], v[0:1], v[44:45], 0
	s_mov_b32 s51, exec_lo
	v_readlane_b32 s52, v102, 23
	s_and_b32 s52, s51, s52
	s_delay_alu instid0(SALU_CYCLE_1)
	s_mov_b32 exec_lo, s52
	s_cbranch_execz .LBB32_218
; %bb.217:                              ;   in Loop: Header=BB32_3 Depth=1
	ds_load_b64 v[44:45], v76 offset:640
	ds_load_b64 v[46:47], v60 offset:8
	s_wait_dscnt 0x0
	v_fmac_f64_e32 v[0:1], v[44:45], v[46:47]
.LBB32_218:                             ;   in Loop: Header=BB32_3 Depth=1
	s_or_b32 exec_lo, exec_lo, s51
	s_delay_alu instid0(SALU_CYCLE_1) | instskip(SKIP_2) | instid1(SALU_CYCLE_1)
	s_mov_b32 s51, exec_lo
	v_readlane_b32 s52, v102, 24
	s_and_b32 s52, s51, s52
	s_mov_b32 exec_lo, s52
	s_cbranch_execz .LBB32_220
; %bb.219:                              ;   in Loop: Header=BB32_3 Depth=1
	ds_load_b64 v[44:45], v76 offset:1152
	ds_load_b64 v[46:47], v60 offset:16
	s_wait_dscnt 0x0
	v_fmac_f64_e32 v[0:1], v[44:45], v[46:47]
.LBB32_220:                             ;   in Loop: Header=BB32_3 Depth=1
	s_or_b32 exec_lo, exec_lo, s51
	s_delay_alu instid0(SALU_CYCLE_1) | instskip(SKIP_2) | instid1(SALU_CYCLE_1)
	s_mov_b32 s51, exec_lo
	v_readlane_b32 s52, v102, 25
	s_and_b32 s52, s51, s52
	s_mov_b32 exec_lo, s52
	s_cbranch_execz .LBB32_222
; %bb.221:                              ;   in Loop: Header=BB32_3 Depth=1
	ds_load_b64 v[44:45], v76 offset:1664
	ds_load_b64 v[46:47], v60 offset:24
	s_wait_dscnt 0x0
	v_fmac_f64_e32 v[0:1], v[44:45], v[46:47]
.LBB32_222:                             ;   in Loop: Header=BB32_3 Depth=1
	s_or_b32 exec_lo, exec_lo, s51
	s_delay_alu instid0(SALU_CYCLE_1) | instskip(SKIP_2) | instid1(SALU_CYCLE_1)
	s_mov_b32 s51, exec_lo
	v_readlane_b32 s52, v102, 26
	s_and_b32 s52, s51, s52
	s_mov_b32 exec_lo, s52
	s_cbranch_execz .LBB32_224
; %bb.223:                              ;   in Loop: Header=BB32_3 Depth=1
	ds_load_b64 v[44:45], v76 offset:2176
	ds_load_b64 v[46:47], v60 offset:32
	s_wait_dscnt 0x0
	v_fmac_f64_e32 v[0:1], v[44:45], v[46:47]
.LBB32_224:                             ;   in Loop: Header=BB32_3 Depth=1
	s_or_b32 exec_lo, exec_lo, s51
	s_delay_alu instid0(SALU_CYCLE_1) | instskip(SKIP_2) | instid1(SALU_CYCLE_1)
	s_mov_b32 s51, exec_lo
	v_readlane_b32 s52, v102, 27
	s_and_b32 s52, s51, s52
	s_mov_b32 exec_lo, s52
	s_cbranch_execz .LBB32_226
; %bb.225:                              ;   in Loop: Header=BB32_3 Depth=1
	ds_load_b64 v[44:45], v76 offset:2688
	ds_load_b64 v[46:47], v60 offset:40
	s_wait_dscnt 0x0
	v_fmac_f64_e32 v[0:1], v[44:45], v[46:47]
.LBB32_226:                             ;   in Loop: Header=BB32_3 Depth=1
	s_or_b32 exec_lo, exec_lo, s51
	s_delay_alu instid0(SALU_CYCLE_1) | instskip(SKIP_2) | instid1(SALU_CYCLE_1)
	s_mov_b32 s51, exec_lo
	v_readlane_b32 s52, v102, 28
	s_and_b32 s52, s51, s52
	s_mov_b32 exec_lo, s52
	s_cbranch_execz .LBB32_228
; %bb.227:                              ;   in Loop: Header=BB32_3 Depth=1
	ds_load_b64 v[44:45], v76 offset:3200
	ds_load_b64 v[46:47], v60 offset:48
	s_wait_dscnt 0x0
	v_fmac_f64_e32 v[0:1], v[44:45], v[46:47]
.LBB32_228:                             ;   in Loop: Header=BB32_3 Depth=1
	s_or_b32 exec_lo, exec_lo, s51
	s_delay_alu instid0(SALU_CYCLE_1) | instskip(SKIP_2) | instid1(SALU_CYCLE_1)
	s_mov_b32 s51, exec_lo
	v_readlane_b32 s52, v102, 29
	s_and_b32 s52, s51, s52
	s_mov_b32 exec_lo, s52
	s_cbranch_execz .LBB32_230
; %bb.229:                              ;   in Loop: Header=BB32_3 Depth=1
	ds_load_b64 v[44:45], v76 offset:3712
	ds_load_b64 v[46:47], v60 offset:56
	s_wait_dscnt 0x0
	v_fmac_f64_e32 v[0:1], v[44:45], v[46:47]
.LBB32_230:                             ;   in Loop: Header=BB32_3 Depth=1
	s_or_b32 exec_lo, exec_lo, s51
	s_delay_alu instid0(SALU_CYCLE_1) | instskip(SKIP_2) | instid1(SALU_CYCLE_1)
	s_mov_b32 s51, exec_lo
	v_readlane_b32 s52, v102, 30
	s_and_b32 s52, s51, s52
	s_mov_b32 exec_lo, s52
	s_cbranch_execz .LBB32_232
; %bb.231:                              ;   in Loop: Header=BB32_3 Depth=1
	ds_load_b64 v[44:45], v75 offset:4224
	ds_load_b64 v[46:47], v60 offset:64
	s_wait_dscnt 0x0
	v_fmac_f64_e32 v[0:1], v[44:45], v[46:47]
.LBB32_232:                             ;   in Loop: Header=BB32_3 Depth=1
	s_or_b32 exec_lo, exec_lo, s51
	s_delay_alu instid0(SALU_CYCLE_1) | instskip(SKIP_2) | instid1(SALU_CYCLE_1)
	s_mov_b32 s51, exec_lo
	v_readlane_b32 s52, v102, 31
	s_and_b32 s52, s51, s52
	s_mov_b32 exec_lo, s52
	s_cbranch_execz .LBB32_234
; %bb.233:                              ;   in Loop: Header=BB32_3 Depth=1
	ds_load_b64 v[44:45], v76 offset:4736
	ds_load_b64 v[46:47], v60 offset:72
	s_wait_dscnt 0x0
	v_fmac_f64_e32 v[0:1], v[44:45], v[46:47]
.LBB32_234:                             ;   in Loop: Header=BB32_3 Depth=1
	s_or_b32 exec_lo, exec_lo, s51
	s_delay_alu instid0(SALU_CYCLE_1) | instskip(SKIP_2) | instid1(SALU_CYCLE_1)
	s_mov_b32 s51, exec_lo
	v_readlane_b32 s52, v97, 0
	s_and_b32 s52, s51, s52
	s_mov_b32 exec_lo, s52
	s_cbranch_execz .LBB32_236
; %bb.235:                              ;   in Loop: Header=BB32_3 Depth=1
	ds_load_b64 v[44:45], v76 offset:5248
	ds_load_b64 v[46:47], v60 offset:80
	s_wait_dscnt 0x0
	v_fmac_f64_e32 v[0:1], v[44:45], v[46:47]
.LBB32_236:                             ;   in Loop: Header=BB32_3 Depth=1
	s_or_b32 exec_lo, exec_lo, s51
	s_delay_alu instid0(SALU_CYCLE_1) | instskip(SKIP_2) | instid1(SALU_CYCLE_1)
	s_mov_b32 s51, exec_lo
	v_readlane_b32 s52, v97, 1
	s_and_b32 s52, s51, s52
	s_mov_b32 exec_lo, s52
	s_cbranch_execnz .LBB32_1077
; %bb.237:                              ;   in Loop: Header=BB32_3 Depth=1
	s_or_b32 exec_lo, exec_lo, s51
	s_and_saveexec_b32 s51, s3
	s_cbranch_execnz .LBB32_1078
.LBB32_238:                             ;   in Loop: Header=BB32_3 Depth=1
	s_or_b32 exec_lo, exec_lo, s51
	s_and_saveexec_b32 s51, s15
	s_cbranch_execnz .LBB32_1079
.LBB32_239:                             ;   in Loop: Header=BB32_3 Depth=1
	s_or_b32 exec_lo, exec_lo, s51
	s_and_saveexec_b32 s51, s17
	s_cbranch_execnz .LBB32_1080
.LBB32_240:                             ;   in Loop: Header=BB32_3 Depth=1
	s_or_b32 exec_lo, exec_lo, s51
	s_and_saveexec_b32 s51, s2
	s_cbranch_execz .LBB32_242
.LBB32_241:                             ;   in Loop: Header=BB32_3 Depth=1
	ds_load_b64 v[44:45], v7 offset:7808
	ds_load_b64 v[46:47], v9 offset:120
	s_wait_dscnt 0x0
	v_fmac_f64_e32 v[0:1], v[44:45], v[46:47]
.LBB32_242:                             ;   in Loop: Header=BB32_3 Depth=1
	s_or_b32 exec_lo, exec_lo, s51
	s_delay_alu instid0(VALU_DEP_1)
	v_xor_b32_e32 v1, 0x80000000, v1
.LBB32_243:                             ;   in Loop: Header=BB32_3 Depth=1
	s_or_b32 exec_lo, exec_lo, s82
	s_delay_alu instid0(SALU_CYCLE_1) | instskip(SKIP_2) | instid1(SALU_CYCLE_1)
	s_mov_b32 s51, exec_lo
	v_readlane_b32 s52, v102, 2
	s_and_b32 s52, s51, s52
	s_mov_b32 exec_lo, s52
; %bb.244:                              ;   in Loop: Header=BB32_3 Depth=1
	ds_store_b64 v74, v[0:1]
; %bb.245:                              ;   in Loop: Header=BB32_3 Depth=1
	s_or_b32 exec_lo, exec_lo, s51
	s_wait_dscnt 0x0
	s_barrier_signal -1
	s_barrier_wait -1
	s_mov_b32 s51, exec_lo
	v_readlane_b32 s52, v102, 3
	s_and_b32 s52, s51, s52
	s_delay_alu instid0(SALU_CYCLE_1)
	s_mov_b32 exec_lo, s52
	s_cbranch_execz .LBB32_247
; %bb.246:                              ;   in Loop: Header=BB32_3 Depth=1
	ds_load_b64 v[44:45], v70 offset:8320
	ds_load_b64 v[46:47], v74
	s_wait_dscnt 0x0
	v_fmac_f64_e32 v[0:1], v[44:45], v[46:47]
.LBB32_247:                             ;   in Loop: Header=BB32_3 Depth=1
	s_or_b32 exec_lo, exec_lo, s51
	s_barrier_signal -1
	s_barrier_wait -1
	s_mov_b32 s51, exec_lo
	v_readlane_b32 s52, v102, 4
	s_and_b32 s52, s51, s52
	s_delay_alu instid0(SALU_CYCLE_1)
	s_mov_b32 exec_lo, s52
; %bb.248:                              ;   in Loop: Header=BB32_3 Depth=1
	ds_store_b64 v74, v[0:1]
; %bb.249:                              ;   in Loop: Header=BB32_3 Depth=1
	s_or_b32 exec_lo, exec_lo, s51
	s_wait_dscnt 0x0
	s_barrier_signal -1
	s_barrier_wait -1
	s_mov_b32 s51, exec_lo
	v_readlane_b32 s52, v102, 5
	s_and_b32 s52, s51, s52
	s_delay_alu instid0(SALU_CYCLE_1)
	s_mov_b32 exec_lo, s52
	s_cbranch_execz .LBB32_251
; %bb.250:                              ;   in Loop: Header=BB32_3 Depth=1
	ds_load_b64 v[44:45], v70 offset:8832
	ds_load_b64 v[46:47], v74
	s_wait_dscnt 0x0
	v_fmac_f64_e32 v[0:1], v[44:45], v[46:47]
.LBB32_251:                             ;   in Loop: Header=BB32_3 Depth=1
	s_or_b32 exec_lo, exec_lo, s51
	s_barrier_signal -1
	s_barrier_wait -1
	s_mov_b32 s51, exec_lo
	v_readlane_b32 s52, v102, 6
	s_and_b32 s52, s51, s52
	s_delay_alu instid0(SALU_CYCLE_1)
	;; [unrolled: 27-line block ×5, first 2 shown]
	s_mov_b32 exec_lo, s52
; %bb.264:                              ;   in Loop: Header=BB32_3 Depth=1
	ds_store_b64 v74, v[0:1]
; %bb.265:                              ;   in Loop: Header=BB32_3 Depth=1
	s_or_b32 exec_lo, exec_lo, s51
	s_wait_dscnt 0x0
	s_barrier_signal -1
	s_barrier_wait -1
	s_and_saveexec_b32 s51, s54
	s_cbranch_execz .LBB32_267
; %bb.266:                              ;   in Loop: Header=BB32_3 Depth=1
	ds_load_b64 v[44:45], v70 offset:10880
	ds_load_b64 v[46:47], v74
	s_wait_dscnt 0x0
	v_fmac_f64_e32 v[0:1], v[44:45], v[46:47]
.LBB32_267:                             ;   in Loop: Header=BB32_3 Depth=1
	s_or_b32 exec_lo, exec_lo, s51
	s_barrier_signal -1
	s_barrier_wait -1
	s_and_saveexec_b32 s51, s19
; %bb.268:                              ;   in Loop: Header=BB32_3 Depth=1
	ds_store_b64 v74, v[0:1]
; %bb.269:                              ;   in Loop: Header=BB32_3 Depth=1
	s_or_b32 exec_lo, exec_lo, s51
	s_wait_dscnt 0x0
	s_barrier_signal -1
	s_barrier_wait -1
	s_and_saveexec_b32 s51, s21
	s_cbranch_execz .LBB32_271
; %bb.270:                              ;   in Loop: Header=BB32_3 Depth=1
	ds_load_b64 v[44:45], v70 offset:11392
	ds_load_b64 v[46:47], v74
	s_wait_dscnt 0x0
	v_fmac_f64_e32 v[0:1], v[44:45], v[46:47]
.LBB32_271:                             ;   in Loop: Header=BB32_3 Depth=1
	s_or_b32 exec_lo, exec_lo, s51
	s_barrier_signal -1
	s_barrier_wait -1
	s_and_saveexec_b32 s51, s23
; %bb.272:                              ;   in Loop: Header=BB32_3 Depth=1
	ds_store_b64 v74, v[0:1]
; %bb.273:                              ;   in Loop: Header=BB32_3 Depth=1
	s_or_b32 exec_lo, exec_lo, s51
	s_wait_dscnt 0x0
	s_barrier_signal -1
	s_barrier_wait -1
	s_and_saveexec_b32 s51, s25
	s_cbranch_execz .LBB32_275
; %bb.274:                              ;   in Loop: Header=BB32_3 Depth=1
	ds_load_b64 v[44:45], v70 offset:11904
	ds_load_b64 v[46:47], v74
	s_wait_dscnt 0x0
	v_fmac_f64_e32 v[0:1], v[44:45], v[46:47]
.LBB32_275:                             ;   in Loop: Header=BB32_3 Depth=1
	s_or_b32 exec_lo, exec_lo, s51
	s_barrier_signal -1
	s_barrier_wait -1
	s_and_saveexec_b32 s51, s27
; %bb.276:                              ;   in Loop: Header=BB32_3 Depth=1
	ds_store_b64 v74, v[0:1]
; %bb.277:                              ;   in Loop: Header=BB32_3 Depth=1
	s_or_b32 exec_lo, exec_lo, s51
	s_wait_dscnt 0x0
	s_barrier_signal -1
	s_barrier_wait -1
	s_and_saveexec_b32 s51, s29
	s_cbranch_execz .LBB32_279
; %bb.278:                              ;   in Loop: Header=BB32_3 Depth=1
	ds_load_b64 v[44:45], v70 offset:12416
	ds_load_b64 v[46:47], v74
	s_wait_dscnt 0x0
	v_fmac_f64_e32 v[0:1], v[44:45], v[46:47]
.LBB32_279:                             ;   in Loop: Header=BB32_3 Depth=1
	s_or_b32 exec_lo, exec_lo, s51
	s_barrier_signal -1
	s_barrier_wait -1
	s_and_saveexec_b32 s51, s58
; %bb.280:                              ;   in Loop: Header=BB32_3 Depth=1
	ds_store_b64 v74, v[0:1]
; %bb.281:                              ;   in Loop: Header=BB32_3 Depth=1
	s_or_b32 exec_lo, exec_lo, s51
	s_wait_dscnt 0x0
	s_barrier_signal -1
	s_barrier_wait -1
	s_and_saveexec_b32 s51, s59
	s_cbranch_execz .LBB32_283
; %bb.282:                              ;   in Loop: Header=BB32_3 Depth=1
	ds_load_b64 v[44:45], v70 offset:12928
	ds_load_b64 v[46:47], v74
	s_wait_dscnt 0x0
	v_fmac_f64_e32 v[0:1], v[44:45], v[46:47]
.LBB32_283:                             ;   in Loop: Header=BB32_3 Depth=1
	s_or_b32 exec_lo, exec_lo, s51
	s_barrier_signal -1
	s_barrier_wait -1
	s_and_saveexec_b32 s51, s20
; %bb.284:                              ;   in Loop: Header=BB32_3 Depth=1
	ds_store_b64 v74, v[0:1]
; %bb.285:                              ;   in Loop: Header=BB32_3 Depth=1
	s_or_b32 exec_lo, exec_lo, s51
	s_wait_dscnt 0x0
	s_barrier_signal -1
	s_barrier_wait -1
	s_and_saveexec_b32 s51, s22
	s_cbranch_execz .LBB32_287
; %bb.286:                              ;   in Loop: Header=BB32_3 Depth=1
	ds_load_b64 v[44:45], v70 offset:13440
	ds_load_b64 v[46:47], v74
	s_wait_dscnt 0x0
	v_fmac_f64_e32 v[0:1], v[44:45], v[46:47]
.LBB32_287:                             ;   in Loop: Header=BB32_3 Depth=1
	s_or_b32 exec_lo, exec_lo, s51
	s_barrier_signal -1
	s_barrier_wait -1
	s_and_saveexec_b32 s51, s24
; %bb.288:                              ;   in Loop: Header=BB32_3 Depth=1
	ds_store_b64 v74, v[0:1]
; %bb.289:                              ;   in Loop: Header=BB32_3 Depth=1
	s_or_b32 exec_lo, exec_lo, s51
	s_wait_dscnt 0x0
	s_barrier_signal -1
	s_barrier_wait -1
	s_and_saveexec_b32 s51, s26
	s_cbranch_execz .LBB32_291
; %bb.290:                              ;   in Loop: Header=BB32_3 Depth=1
	ds_load_b64 v[44:45], v70 offset:13952
	ds_load_b64 v[46:47], v74
	s_wait_dscnt 0x0
	v_fmac_f64_e32 v[0:1], v[44:45], v[46:47]
.LBB32_291:                             ;   in Loop: Header=BB32_3 Depth=1
	s_or_b32 exec_lo, exec_lo, s51
	s_barrier_signal -1
	s_barrier_wait -1
	s_and_saveexec_b32 s51, s28
; %bb.292:                              ;   in Loop: Header=BB32_3 Depth=1
	ds_store_b64 v74, v[0:1]
; %bb.293:                              ;   in Loop: Header=BB32_3 Depth=1
	s_or_b32 exec_lo, exec_lo, s51
	s_wait_dscnt 0x0
	s_barrier_signal -1
	s_barrier_wait -1
	s_and_saveexec_b32 s51, s90
	s_cbranch_execz .LBB32_295
; %bb.294:                              ;   in Loop: Header=BB32_3 Depth=1
	ds_load_b64 v[44:45], v70 offset:14464
	ds_load_b64 v[46:47], v74
	s_wait_dscnt 0x0
	v_fmac_f64_e32 v[0:1], v[44:45], v[46:47]
.LBB32_295:                             ;   in Loop: Header=BB32_3 Depth=1
	s_or_b32 exec_lo, exec_lo, s51
	s_barrier_signal -1
	s_barrier_wait -1
	s_and_saveexec_b32 s51, s43
; %bb.296:                              ;   in Loop: Header=BB32_3 Depth=1
	ds_store_b64 v74, v[0:1]
; %bb.297:                              ;   in Loop: Header=BB32_3 Depth=1
	s_or_b32 exec_lo, exec_lo, s51
	s_wait_dscnt 0x0
	s_barrier_signal -1
	s_barrier_wait -1
	s_and_saveexec_b32 s51, s44
	s_cbranch_execz .LBB32_299
; %bb.298:                              ;   in Loop: Header=BB32_3 Depth=1
	ds_load_b64 v[44:45], v70 offset:14976
	ds_load_b64 v[46:47], v74
	s_wait_dscnt 0x0
	v_fmac_f64_e32 v[0:1], v[44:45], v[46:47]
.LBB32_299:                             ;   in Loop: Header=BB32_3 Depth=1
	s_or_b32 exec_lo, exec_lo, s51
	s_barrier_signal -1
	s_barrier_wait -1
	s_and_saveexec_b32 s51, s45
; %bb.300:                              ;   in Loop: Header=BB32_3 Depth=1
	ds_store_b64 v74, v[0:1]
; %bb.301:                              ;   in Loop: Header=BB32_3 Depth=1
	s_or_b32 exec_lo, exec_lo, s51
	s_wait_dscnt 0x0
	s_barrier_signal -1
	s_barrier_wait -1
	s_and_saveexec_b32 s51, s46
	s_cbranch_execz .LBB32_303
; %bb.302:                              ;   in Loop: Header=BB32_3 Depth=1
	ds_load_b64 v[44:45], v9 offset:15608
	ds_load_b64 v[46:47], v74
	s_wait_dscnt 0x0
	v_fmac_f64_e32 v[0:1], v[44:45], v[46:47]
.LBB32_303:                             ;   in Loop: Header=BB32_3 Depth=1
	s_or_b32 exec_lo, exec_lo, s51
	s_barrier_signal -1
	s_barrier_wait -1
	s_and_saveexec_b32 s51, s46
; %bb.304:                              ;   in Loop: Header=BB32_3 Depth=1
	ds_store_b64 v74, v[0:1]
; %bb.305:                              ;   in Loop: Header=BB32_3 Depth=1
	s_or_b32 exec_lo, exec_lo, s51
	s_wait_dscnt 0x0
	s_barrier_signal -1
	s_barrier_wait -1
	s_barrier_signal -1
	s_barrier_wait -1
	s_and_saveexec_b32 s51, s4
; %bb.306:                              ;   in Loop: Header=BB32_3 Depth=1
	v_xor_b32_e32 v1, 0x80000000, v1
	ds_store_b64 v75, v[0:1] offset:128
; %bb.307:                              ;   in Loop: Header=BB32_3 Depth=1
	s_or_b32 exec_lo, exec_lo, s51
	s_wait_dscnt 0x0
	s_barrier_signal -1
	s_barrier_wait -1
	s_barrier_signal -1
	s_barrier_wait -1
	s_and_saveexec_b32 s51, s48
	s_cbranch_execz .LBB32_309
; %bb.308:                              ;   in Loop: Header=BB32_3 Depth=1
	ds_load_b64 v[0:1], v11 offset:128
	s_wait_dscnt 0x0
	ds_store_b64 v48, v[0:1] offset:8192
	ds_load_b64 v[0:1], v11 offset:136
	s_wait_dscnt 0x0
	ds_store_b64 v48, v[0:1] offset:8704
	;; [unrolled: 3-line block ×16, first 2 shown]
.LBB32_309:                             ;   in Loop: Header=BB32_3 Depth=1
	s_or_b32 exec_lo, exec_lo, s51
	s_wait_dscnt 0x0
	s_barrier_signal -1
	s_barrier_wait -1
	s_and_saveexec_b32 s51, s10
	s_cbranch_execz .LBB32_311
; %bb.310:                              ;   in Loop: Header=BB32_3 Depth=1
	ds_load_b64 v[0:1], v9 offset:8328
	v_mov_b32_e32 v2, v9
	ds_store_b64 v9, v[30:31] offset:8320
	s_wait_dscnt 0x1
	ds_store_b128 v9, v[0:3] offset:8832
.LBB32_311:                             ;   in Loop: Header=BB32_3 Depth=1
	s_or_b32 exec_lo, exec_lo, s51
	v_mov_b64_e32 v[0:1], 0
	s_wait_dscnt 0x0
	s_barrier_signal -1
	s_barrier_wait -1
	s_and_saveexec_b32 s51, s0
	s_cbranch_execz .LBB32_315
; %bb.312:                              ;   in Loop: Header=BB32_3 Depth=1
	ds_load_b64 v[0:1], v64 offset:8336
	ds_load_b64 v[44:45], v65 offset:8320
	s_wait_dscnt 0x0
	v_fma_f64 v[0:1], v[0:1], v[44:45], 0
	s_and_saveexec_b32 s52, s11
	s_cbranch_execz .LBB32_314
; %bb.313:                              ;   in Loop: Header=BB32_3 Depth=1
	ds_load_b64 v[44:45], v7 offset:8848
	ds_load_b64 v[46:47], v9 offset:8328
	s_wait_dscnt 0x0
	v_fmac_f64_e32 v[0:1], v[44:45], v[46:47]
.LBB32_314:                             ;   in Loop: Header=BB32_3 Depth=1
	s_or_b32 exec_lo, exec_lo, s52
	s_delay_alu instid0(VALU_DEP_1)
	v_xor_b32_e32 v1, 0x80000000, v1
.LBB32_315:                             ;   in Loop: Header=BB32_3 Depth=1
	s_or_b32 exec_lo, exec_lo, s51
	s_and_saveexec_b32 s51, s92
; %bb.316:                              ;   in Loop: Header=BB32_3 Depth=1
	ds_store_b64 v56, v[0:1]
; %bb.317:                              ;   in Loop: Header=BB32_3 Depth=1
	s_or_b32 exec_lo, exec_lo, s51
	s_wait_dscnt 0x0
	s_barrier_signal -1
	s_barrier_wait -1
	s_and_saveexec_b32 s51, s93
	s_cbranch_execz .LBB32_319
; %bb.318:                              ;   in Loop: Header=BB32_3 Depth=1
	ds_load_b64 v[44:45], v9 offset:9368
	ds_load_b64 v[46:47], v56
	s_wait_dscnt 0x0
	v_fmac_f64_e32 v[0:1], v[44:45], v[46:47]
.LBB32_319:                             ;   in Loop: Header=BB32_3 Depth=1
	s_or_b32 exec_lo, exec_lo, s51
	s_barrier_signal -1
	s_barrier_wait -1
	s_and_saveexec_b32 s51, s93
; %bb.320:                              ;   in Loop: Header=BB32_3 Depth=1
	ds_store_b64 v56, v[0:1]
; %bb.321:                              ;   in Loop: Header=BB32_3 Depth=1
	s_or_b32 exec_lo, exec_lo, s51
	s_wait_dscnt 0x0
	s_barrier_signal -1
	s_barrier_wait -1
	s_barrier_signal -1
	s_barrier_wait -1
	s_and_saveexec_b32 s51, s0
; %bb.322:                              ;   in Loop: Header=BB32_3 Depth=1
	v_xor_b32_e32 v1, 0x80000000, v1
	ds_store_b64 v64, v[0:1] offset:8336
; %bb.323:                              ;   in Loop: Header=BB32_3 Depth=1
	s_or_b32 exec_lo, exec_lo, s51
	s_wait_dscnt 0x0
	s_barrier_signal -1
	s_barrier_wait -1
	s_barrier_signal -1
	s_barrier_wait -1
	s_and_saveexec_b32 s51, s94
	s_cbranch_execz .LBB32_325
; %bb.324:                              ;   in Loop: Header=BB32_3 Depth=1
	ds_load_b64 v[0:1], v11 offset:8336
	s_wait_dscnt 0x0
	ds_store_b64 v7, v[0:1] offset:9344
	ds_load_b64 v[0:1], v11 offset:8344
	s_wait_dscnt 0x0
	ds_store_b64 v7, v[0:1] offset:9856
.LBB32_325:                             ;   in Loop: Header=BB32_3 Depth=1
	s_or_b32 exec_lo, exec_lo, s51
	s_wait_dscnt 0x0
	s_barrier_signal -1
	s_barrier_wait -1
	s_and_saveexec_b32 s51, s10
	s_cbranch_execz .LBB32_327
; %bb.326:                              ;   in Loop: Header=BB32_3 Depth=1
	ds_load_b64 v[0:1], v9 offset:9368
	v_mov_b32_e32 v2, v9
	ds_store_b64 v9, v[30:31] offset:9360
	s_wait_dscnt 0x1
	ds_store_b128 v9, v[0:3] offset:9872
.LBB32_327:                             ;   in Loop: Header=BB32_3 Depth=1
	s_or_b32 exec_lo, exec_lo, s51
	v_mov_b64_e32 v[0:1], 0
	s_wait_dscnt 0x0
	s_barrier_signal -1
	s_barrier_wait -1
	s_and_saveexec_b32 s61, s2
	s_cbranch_execz .LBB32_333
; %bb.328:                              ;   in Loop: Header=BB32_3 Depth=1
	ds_load_b64 v[0:1], v68 offset:8352
	ds_load_b64 v[44:45], v55 offset:8320
	s_wait_dscnt 0x0
	v_fma_f64 v[0:1], v[0:1], v[44:45], 0
	s_and_saveexec_b32 s51, s12
	s_cbranch_execnz .LBB32_1081
; %bb.329:                              ;   in Loop: Header=BB32_3 Depth=1
	s_or_b32 exec_lo, exec_lo, s51
	s_and_saveexec_b32 s51, s13
	s_cbranch_execnz .LBB32_1082
.LBB32_330:                             ;   in Loop: Header=BB32_3 Depth=1
	s_or_b32 exec_lo, exec_lo, s51
	s_and_saveexec_b32 s51, s0
	s_cbranch_execz .LBB32_332
.LBB32_331:                             ;   in Loop: Header=BB32_3 Depth=1
	ds_load_b64 v[44:45], v48 offset:9888
	ds_load_b64 v[46:47], v9 offset:8344
	s_wait_dscnt 0x0
	v_fmac_f64_e32 v[0:1], v[44:45], v[46:47]
.LBB32_332:                             ;   in Loop: Header=BB32_3 Depth=1
	s_or_b32 exec_lo, exec_lo, s51
	s_delay_alu instid0(VALU_DEP_1)
	v_xor_b32_e32 v1, 0x80000000, v1
.LBB32_333:                             ;   in Loop: Header=BB32_3 Depth=1
	s_or_b32 exec_lo, exec_lo, s61
	s_and_saveexec_b32 s51, s95
; %bb.334:                              ;   in Loop: Header=BB32_3 Depth=1
	ds_store_b64 v66, v[0:1]
; %bb.335:                              ;   in Loop: Header=BB32_3 Depth=1
	s_or_b32 exec_lo, exec_lo, s51
	s_wait_dscnt 0x0
	s_barrier_signal -1
	s_barrier_wait -1
	s_and_saveexec_b32 s51, s96
	s_cbranch_execz .LBB32_337
; %bb.336:                              ;   in Loop: Header=BB32_3 Depth=1
	ds_load_b64 v[44:45], v63 offset:10400
	ds_load_b64 v[46:47], v66
	s_wait_dscnt 0x0
	v_fmac_f64_e32 v[0:1], v[44:45], v[46:47]
.LBB32_337:                             ;   in Loop: Header=BB32_3 Depth=1
	s_or_b32 exec_lo, exec_lo, s51
	s_barrier_signal -1
	s_barrier_wait -1
	s_and_saveexec_b32 s51, s97
; %bb.338:                              ;   in Loop: Header=BB32_3 Depth=1
	ds_store_b64 v66, v[0:1]
; %bb.339:                              ;   in Loop: Header=BB32_3 Depth=1
	s_or_b32 exec_lo, exec_lo, s51
	s_wait_dscnt 0x0
	s_barrier_signal -1
	s_barrier_wait -1
	s_and_saveexec_b32 s51, s98
	s_cbranch_execz .LBB32_341
; %bb.340:                              ;   in Loop: Header=BB32_3 Depth=1
	ds_load_b64 v[44:45], v63 offset:10912
	ds_load_b64 v[46:47], v66
	s_wait_dscnt 0x0
	v_fmac_f64_e32 v[0:1], v[44:45], v[46:47]
.LBB32_341:                             ;   in Loop: Header=BB32_3 Depth=1
	s_or_b32 exec_lo, exec_lo, s51
	s_barrier_signal -1
	s_barrier_wait -1
	;; [unrolled: 19-line block ×3, first 2 shown]
	s_and_saveexec_b32 s51, s100
; %bb.346:                              ;   in Loop: Header=BB32_3 Depth=1
	ds_store_b64 v66, v[0:1]
; %bb.347:                              ;   in Loop: Header=BB32_3 Depth=1
	s_or_b32 exec_lo, exec_lo, s51
	s_wait_dscnt 0x0
	s_barrier_signal -1
	s_barrier_wait -1
	s_barrier_signal -1
	s_barrier_wait -1
	s_and_saveexec_b32 s51, s2
; %bb.348:                              ;   in Loop: Header=BB32_3 Depth=1
	v_xor_b32_e32 v1, 0x80000000, v1
	ds_store_b64 v68, v[0:1] offset:8352
; %bb.349:                              ;   in Loop: Header=BB32_3 Depth=1
	s_or_b32 exec_lo, exec_lo, s51
	s_wait_dscnt 0x0
	s_barrier_signal -1
	s_barrier_wait -1
	s_barrier_signal -1
	s_barrier_wait -1
	s_and_saveexec_b32 s51, s101
	s_cbranch_execz .LBB32_351
; %bb.350:                              ;   in Loop: Header=BB32_3 Depth=1
	ds_load_b64 v[0:1], v49 offset:8352
	s_wait_dscnt 0x0
	ds_store_b64 v50, v[0:1] offset:10368
	ds_load_b64 v[0:1], v49 offset:8360
	s_wait_dscnt 0x0
	ds_store_b64 v50, v[0:1] offset:10880
	;; [unrolled: 3-line block ×4, first 2 shown]
.LBB32_351:                             ;   in Loop: Header=BB32_3 Depth=1
	s_or_b32 exec_lo, exec_lo, s51
	s_wait_dscnt 0x0
	s_barrier_signal -1
	s_barrier_wait -1
	s_and_saveexec_b32 s51, s10
	s_cbranch_execz .LBB32_353
; %bb.352:                              ;   in Loop: Header=BB32_3 Depth=1
	ds_load_b64 v[0:1], v9 offset:10408
	v_mov_b32_e32 v2, v9
	ds_store_b64 v9, v[30:31] offset:10400
	s_wait_dscnt 0x1
	ds_store_b128 v9, v[0:3] offset:10912
.LBB32_353:                             ;   in Loop: Header=BB32_3 Depth=1
	s_or_b32 exec_lo, exec_lo, s51
	v_mov_b64_e32 v[0:1], 0
	s_wait_dscnt 0x0
	s_barrier_signal -1
	s_barrier_wait -1
	s_and_saveexec_b32 s51, s0
	s_cbranch_execz .LBB32_357
; %bb.354:                              ;   in Loop: Header=BB32_3 Depth=1
	ds_load_b64 v[0:1], v64 offset:10416
	ds_load_b64 v[44:45], v65 offset:10400
	s_wait_dscnt 0x0
	v_fma_f64 v[0:1], v[0:1], v[44:45], 0
	s_and_saveexec_b32 s52, s11
	s_cbranch_execz .LBB32_356
; %bb.355:                              ;   in Loop: Header=BB32_3 Depth=1
	ds_load_b64 v[44:45], v50 offset:10928
	ds_load_b64 v[46:47], v9 offset:10408
	s_wait_dscnt 0x0
	v_fmac_f64_e32 v[0:1], v[44:45], v[46:47]
.LBB32_356:                             ;   in Loop: Header=BB32_3 Depth=1
	s_or_b32 exec_lo, exec_lo, s52
	s_delay_alu instid0(VALU_DEP_1)
	v_xor_b32_e32 v1, 0x80000000, v1
.LBB32_357:                             ;   in Loop: Header=BB32_3 Depth=1
	s_or_b32 exec_lo, exec_lo, s51
	s_and_saveexec_b32 s51, s92
; %bb.358:                              ;   in Loop: Header=BB32_3 Depth=1
	ds_store_b64 v56, v[0:1]
; %bb.359:                              ;   in Loop: Header=BB32_3 Depth=1
	s_or_b32 exec_lo, exec_lo, s51
	s_wait_dscnt 0x0
	s_barrier_signal -1
	s_barrier_wait -1
	s_and_saveexec_b32 s51, s93
	s_cbranch_execz .LBB32_361
; %bb.360:                              ;   in Loop: Header=BB32_3 Depth=1
	ds_load_b64 v[44:45], v9 offset:11448
	ds_load_b64 v[46:47], v56
	s_wait_dscnt 0x0
	v_fmac_f64_e32 v[0:1], v[44:45], v[46:47]
.LBB32_361:                             ;   in Loop: Header=BB32_3 Depth=1
	s_or_b32 exec_lo, exec_lo, s51
	s_barrier_signal -1
	s_barrier_wait -1
	s_and_saveexec_b32 s51, s93
; %bb.362:                              ;   in Loop: Header=BB32_3 Depth=1
	ds_store_b64 v56, v[0:1]
; %bb.363:                              ;   in Loop: Header=BB32_3 Depth=1
	s_or_b32 exec_lo, exec_lo, s51
	s_wait_dscnt 0x0
	s_barrier_signal -1
	s_barrier_wait -1
	s_barrier_signal -1
	s_barrier_wait -1
	s_and_saveexec_b32 s51, s0
; %bb.364:                              ;   in Loop: Header=BB32_3 Depth=1
	v_xor_b32_e32 v1, 0x80000000, v1
	ds_store_b64 v64, v[0:1] offset:10416
; %bb.365:                              ;   in Loop: Header=BB32_3 Depth=1
	s_or_b32 exec_lo, exec_lo, s51
	s_wait_dscnt 0x0
	s_barrier_signal -1
	s_barrier_wait -1
	s_barrier_signal -1
	s_barrier_wait -1
	s_and_saveexec_b32 s51, s94
	s_cbranch_execz .LBB32_367
; %bb.366:                              ;   in Loop: Header=BB32_3 Depth=1
	ds_load_b64 v[0:1], v51 offset:10416
	s_wait_dscnt 0x0
	ds_store_b64 v50, v[0:1] offset:11424
	ds_load_b64 v[0:1], v51 offset:10424
	s_wait_dscnt 0x0
	ds_store_b64 v50, v[0:1] offset:11936
.LBB32_367:                             ;   in Loop: Header=BB32_3 Depth=1
	s_or_b32 exec_lo, exec_lo, s51
	s_wait_dscnt 0x0
	s_barrier_signal -1
	s_barrier_wait -1
	s_and_saveexec_b32 s51, s10
	s_cbranch_execz .LBB32_369
; %bb.368:                              ;   in Loop: Header=BB32_3 Depth=1
	ds_load_b64 v[0:1], v9 offset:11448
	v_mov_b32_e32 v2, v9
	ds_store_b64 v9, v[30:31] offset:11440
	s_wait_dscnt 0x1
	ds_store_b128 v9, v[0:3] offset:11952
.LBB32_369:                             ;   in Loop: Header=BB32_3 Depth=1
	s_or_b32 exec_lo, exec_lo, s51
	v_mov_b64_e32 v[0:1], 0
	s_wait_dscnt 0x0
	s_barrier_signal -1
	s_barrier_wait -1
	s_and_saveexec_b32 s61, s3
	s_cbranch_execz .LBB32_379
; %bb.370:                              ;   in Loop: Header=BB32_3 Depth=1
	ds_load_b64 v[0:1], v72 offset:8384
	ds_load_b64 v[44:45], v58 offset:8320
	s_wait_dscnt 0x0
	v_fma_f64 v[0:1], v[0:1], v[44:45], 0
	s_and_saveexec_b32 s51, s14
	s_cbranch_execnz .LBB32_1083
; %bb.371:                              ;   in Loop: Header=BB32_3 Depth=1
	s_or_b32 exec_lo, exec_lo, s51
	s_and_saveexec_b32 s51, s15
	s_cbranch_execnz .LBB32_1084
.LBB32_372:                             ;   in Loop: Header=BB32_3 Depth=1
	s_or_b32 exec_lo, exec_lo, s51
	s_and_saveexec_b32 s51, s16
	s_cbranch_execnz .LBB32_1085
.LBB32_373:                             ;   in Loop: Header=BB32_3 Depth=1
	s_or_b32 exec_lo, exec_lo, s51
	s_and_saveexec_b32 s51, s17
	s_cbranch_execnz .LBB32_1086
.LBB32_374:                             ;   in Loop: Header=BB32_3 Depth=1
	s_or_b32 exec_lo, exec_lo, s51
	s_and_saveexec_b32 s51, s18
	s_cbranch_execnz .LBB32_1087
.LBB32_375:                             ;   in Loop: Header=BB32_3 Depth=1
	s_or_b32 exec_lo, exec_lo, s51
	s_and_saveexec_b32 s51, s2
	s_cbranch_execnz .LBB32_1088
.LBB32_376:                             ;   in Loop: Header=BB32_3 Depth=1
	s_or_b32 exec_lo, exec_lo, s51
	s_and_saveexec_b32 s51, s13
	s_cbranch_execz .LBB32_378
.LBB32_377:                             ;   in Loop: Header=BB32_3 Depth=1
	ds_load_b64 v[44:45], v52 offset:11968
	ds_load_b64 v[46:47], v9 offset:8376
	s_wait_dscnt 0x0
	v_fmac_f64_e32 v[0:1], v[44:45], v[46:47]
.LBB32_378:                             ;   in Loop: Header=BB32_3 Depth=1
	s_or_b32 exec_lo, exec_lo, s51
	s_delay_alu instid0(VALU_DEP_1)
	v_xor_b32_e32 v1, 0x80000000, v1
.LBB32_379:                             ;   in Loop: Header=BB32_3 Depth=1
	s_or_b32 exec_lo, exec_lo, s61
	s_and_saveexec_b32 s51, s102
; %bb.380:                              ;   in Loop: Header=BB32_3 Depth=1
	ds_store_b64 v71, v[0:1]
; %bb.381:                              ;   in Loop: Header=BB32_3 Depth=1
	s_or_b32 exec_lo, exec_lo, s51
	s_wait_dscnt 0x0
	s_barrier_signal -1
	s_barrier_wait -1
	s_and_saveexec_b32 s51, s103
	s_cbranch_execz .LBB32_383
; %bb.382:                              ;   in Loop: Header=BB32_3 Depth=1
	ds_load_b64 v[44:45], v67 offset:12480
	ds_load_b64 v[46:47], v71
	s_wait_dscnt 0x0
	v_fmac_f64_e32 v[0:1], v[44:45], v[46:47]
.LBB32_383:                             ;   in Loop: Header=BB32_3 Depth=1
	s_or_b32 exec_lo, exec_lo, s51
	s_barrier_signal -1
	s_barrier_wait -1
	s_and_saveexec_b32 s51, s104
; %bb.384:                              ;   in Loop: Header=BB32_3 Depth=1
	ds_store_b64 v71, v[0:1]
; %bb.385:                              ;   in Loop: Header=BB32_3 Depth=1
	s_or_b32 exec_lo, exec_lo, s51
	s_wait_dscnt 0x0
	s_barrier_signal -1
	s_barrier_wait -1
	s_and_saveexec_b32 s51, vcc_hi
	s_cbranch_execz .LBB32_387
; %bb.386:                              ;   in Loop: Header=BB32_3 Depth=1
	ds_load_b64 v[44:45], v67 offset:12992
	ds_load_b64 v[46:47], v71
	s_wait_dscnt 0x0
	v_fmac_f64_e32 v[0:1], v[44:45], v[46:47]
.LBB32_387:                             ;   in Loop: Header=BB32_3 Depth=1
	s_or_b32 exec_lo, exec_lo, s51
	s_barrier_signal -1
	s_barrier_wait -1
	s_and_saveexec_b32 s51, s31
; %bb.388:                              ;   in Loop: Header=BB32_3 Depth=1
	ds_store_b64 v71, v[0:1]
; %bb.389:                              ;   in Loop: Header=BB32_3 Depth=1
	s_or_b32 exec_lo, exec_lo, s51
	s_wait_dscnt 0x0
	s_barrier_signal -1
	s_barrier_wait -1
	s_and_saveexec_b32 s51, s33
	s_cbranch_execz .LBB32_391
; %bb.390:                              ;   in Loop: Header=BB32_3 Depth=1
	ds_load_b64 v[44:45], v67 offset:13504
	ds_load_b64 v[46:47], v71
	s_wait_dscnt 0x0
	v_fmac_f64_e32 v[0:1], v[44:45], v[46:47]
.LBB32_391:                             ;   in Loop: Header=BB32_3 Depth=1
	s_or_b32 exec_lo, exec_lo, s51
	s_barrier_signal -1
	s_barrier_wait -1
	s_and_saveexec_b32 s51, s34
; %bb.392:                              ;   in Loop: Header=BB32_3 Depth=1
	ds_store_b64 v71, v[0:1]
; %bb.393:                              ;   in Loop: Header=BB32_3 Depth=1
	s_or_b32 exec_lo, exec_lo, s51
	s_wait_dscnt 0x0
	s_barrier_signal -1
	s_barrier_wait -1
	s_and_saveexec_b32 s51, s35
	;; [unrolled: 19-line block ×5, first 2 shown]
	s_cbranch_execz .LBB32_407
; %bb.406:                              ;   in Loop: Header=BB32_3 Depth=1
	ds_load_b64 v[44:45], v9 offset:15608
	ds_load_b64 v[46:47], v71
	s_wait_dscnt 0x0
	v_fmac_f64_e32 v[0:1], v[44:45], v[46:47]
.LBB32_407:                             ;   in Loop: Header=BB32_3 Depth=1
	s_or_b32 exec_lo, exec_lo, s51
	s_barrier_signal -1
	s_barrier_wait -1
	s_and_saveexec_b32 s51, s41
; %bb.408:                              ;   in Loop: Header=BB32_3 Depth=1
	ds_store_b64 v71, v[0:1]
; %bb.409:                              ;   in Loop: Header=BB32_3 Depth=1
	s_or_b32 exec_lo, exec_lo, s51
	s_wait_dscnt 0x0
	s_barrier_signal -1
	s_barrier_wait -1
	s_barrier_signal -1
	s_barrier_wait -1
	s_and_saveexec_b32 s51, s3
; %bb.410:                              ;   in Loop: Header=BB32_3 Depth=1
	v_xor_b32_e32 v1, 0x80000000, v1
	ds_store_b64 v72, v[0:1] offset:8384
; %bb.411:                              ;   in Loop: Header=BB32_3 Depth=1
	s_or_b32 exec_lo, exec_lo, s51
	s_wait_dscnt 0x0
	s_barrier_signal -1
	s_barrier_wait -1
	s_barrier_signal -1
	s_barrier_wait -1
	s_and_saveexec_b32 s51, s42
	s_cbranch_execz .LBB32_413
; %bb.412:                              ;   in Loop: Header=BB32_3 Depth=1
	ds_load_b64 v[0:1], v53 offset:8384
	s_wait_dscnt 0x0
	ds_store_b64 v54, v[0:1] offset:12416
	ds_load_b64 v[0:1], v53 offset:8392
	s_wait_dscnt 0x0
	ds_store_b64 v54, v[0:1] offset:12928
	;; [unrolled: 3-line block ×8, first 2 shown]
.LBB32_413:                             ;   in Loop: Header=BB32_3 Depth=1
	s_or_b32 exec_lo, exec_lo, s51
	s_wait_dscnt 0x0
	s_barrier_signal -1
	s_barrier_wait -1
	s_and_saveexec_b32 s51, s10
	s_cbranch_execz .LBB32_415
; %bb.414:                              ;   in Loop: Header=BB32_3 Depth=1
	ds_load_b64 v[0:1], v9 offset:12488
	v_mov_b32_e32 v2, v9
	ds_store_b64 v9, v[30:31] offset:12480
	s_wait_dscnt 0x1
	ds_store_b128 v9, v[0:3] offset:12992
.LBB32_415:                             ;   in Loop: Header=BB32_3 Depth=1
	s_or_b32 exec_lo, exec_lo, s51
	v_mov_b64_e32 v[0:1], 0
	s_wait_dscnt 0x0
	s_barrier_signal -1
	s_barrier_wait -1
	s_and_saveexec_b32 s51, s0
	s_cbranch_execz .LBB32_419
; %bb.416:                              ;   in Loop: Header=BB32_3 Depth=1
	ds_load_b64 v[0:1], v64 offset:12496
	ds_load_b64 v[44:45], v65 offset:12480
	s_wait_dscnt 0x0
	v_fma_f64 v[0:1], v[0:1], v[44:45], 0
	s_and_saveexec_b32 s52, s11
	s_cbranch_execz .LBB32_418
; %bb.417:                              ;   in Loop: Header=BB32_3 Depth=1
	ds_load_b64 v[44:45], v54 offset:13008
	ds_load_b64 v[46:47], v9 offset:12488
	s_wait_dscnt 0x0
	v_fmac_f64_e32 v[0:1], v[44:45], v[46:47]
.LBB32_418:                             ;   in Loop: Header=BB32_3 Depth=1
	s_or_b32 exec_lo, exec_lo, s52
	s_delay_alu instid0(VALU_DEP_1)
	v_xor_b32_e32 v1, 0x80000000, v1
.LBB32_419:                             ;   in Loop: Header=BB32_3 Depth=1
	s_or_b32 exec_lo, exec_lo, s51
	s_and_saveexec_b32 s51, s92
; %bb.420:                              ;   in Loop: Header=BB32_3 Depth=1
	ds_store_b64 v56, v[0:1]
; %bb.421:                              ;   in Loop: Header=BB32_3 Depth=1
	s_or_b32 exec_lo, exec_lo, s51
	s_wait_dscnt 0x0
	s_barrier_signal -1
	s_barrier_wait -1
	s_and_saveexec_b32 s51, s93
	s_cbranch_execz .LBB32_423
; %bb.422:                              ;   in Loop: Header=BB32_3 Depth=1
	ds_load_b64 v[44:45], v9 offset:13528
	ds_load_b64 v[46:47], v56
	s_wait_dscnt 0x0
	v_fmac_f64_e32 v[0:1], v[44:45], v[46:47]
.LBB32_423:                             ;   in Loop: Header=BB32_3 Depth=1
	s_or_b32 exec_lo, exec_lo, s51
	s_barrier_signal -1
	s_barrier_wait -1
	s_and_saveexec_b32 s51, s93
; %bb.424:                              ;   in Loop: Header=BB32_3 Depth=1
	ds_store_b64 v56, v[0:1]
; %bb.425:                              ;   in Loop: Header=BB32_3 Depth=1
	s_or_b32 exec_lo, exec_lo, s51
	s_wait_dscnt 0x0
	s_barrier_signal -1
	s_barrier_wait -1
	s_barrier_signal -1
	s_barrier_wait -1
	s_and_saveexec_b32 s51, s0
; %bb.426:                              ;   in Loop: Header=BB32_3 Depth=1
	v_xor_b32_e32 v1, 0x80000000, v1
	ds_store_b64 v64, v[0:1] offset:12496
; %bb.427:                              ;   in Loop: Header=BB32_3 Depth=1
	s_or_b32 exec_lo, exec_lo, s51
	s_wait_dscnt 0x0
	s_barrier_signal -1
	s_barrier_wait -1
	s_barrier_signal -1
	s_barrier_wait -1
	s_and_saveexec_b32 s51, s94
	s_cbranch_execz .LBB32_429
; %bb.428:                              ;   in Loop: Header=BB32_3 Depth=1
	ds_load_b64 v[0:1], v57 offset:12496
	s_wait_dscnt 0x0
	ds_store_b64 v54, v[0:1] offset:13504
	ds_load_b64 v[0:1], v57 offset:12504
	s_wait_dscnt 0x0
	ds_store_b64 v54, v[0:1] offset:14016
.LBB32_429:                             ;   in Loop: Header=BB32_3 Depth=1
	s_or_b32 exec_lo, exec_lo, s51
	s_wait_dscnt 0x0
	s_barrier_signal -1
	s_barrier_wait -1
	s_and_saveexec_b32 s51, s10
	s_cbranch_execz .LBB32_431
; %bb.430:                              ;   in Loop: Header=BB32_3 Depth=1
	ds_load_b64 v[0:1], v9 offset:13528
	v_mov_b32_e32 v2, v9
	ds_store_b64 v9, v[30:31] offset:13520
	s_wait_dscnt 0x1
	ds_store_b128 v9, v[0:3] offset:14032
.LBB32_431:                             ;   in Loop: Header=BB32_3 Depth=1
	s_or_b32 exec_lo, exec_lo, s51
	v_mov_b64_e32 v[0:1], 0
	s_wait_dscnt 0x0
	s_barrier_signal -1
	s_barrier_wait -1
	s_and_saveexec_b32 s61, s2
	s_cbranch_execz .LBB32_437
; %bb.432:                              ;   in Loop: Header=BB32_3 Depth=1
	ds_load_b64 v[0:1], v68 offset:12512
	ds_load_b64 v[44:45], v55 offset:12480
	s_wait_dscnt 0x0
	v_fma_f64 v[0:1], v[0:1], v[44:45], 0
	s_and_saveexec_b32 s51, s12
	s_cbranch_execnz .LBB32_1089
; %bb.433:                              ;   in Loop: Header=BB32_3 Depth=1
	s_or_b32 exec_lo, exec_lo, s51
	s_and_saveexec_b32 s51, s13
	s_cbranch_execnz .LBB32_1090
.LBB32_434:                             ;   in Loop: Header=BB32_3 Depth=1
	s_or_b32 exec_lo, exec_lo, s51
	s_and_saveexec_b32 s51, s0
	s_cbranch_execz .LBB32_436
.LBB32_435:                             ;   in Loop: Header=BB32_3 Depth=1
	ds_load_b64 v[44:45], v59 offset:14048
	ds_load_b64 v[46:47], v9 offset:12504
	s_wait_dscnt 0x0
	v_fmac_f64_e32 v[0:1], v[44:45], v[46:47]
.LBB32_436:                             ;   in Loop: Header=BB32_3 Depth=1
	s_or_b32 exec_lo, exec_lo, s51
	s_delay_alu instid0(VALU_DEP_1)
	v_xor_b32_e32 v1, 0x80000000, v1
.LBB32_437:                             ;   in Loop: Header=BB32_3 Depth=1
	s_or_b32 exec_lo, exec_lo, s61
	s_and_saveexec_b32 s51, s95
; %bb.438:                              ;   in Loop: Header=BB32_3 Depth=1
	ds_store_b64 v66, v[0:1]
; %bb.439:                              ;   in Loop: Header=BB32_3 Depth=1
	s_or_b32 exec_lo, exec_lo, s51
	s_wait_dscnt 0x0
	s_barrier_signal -1
	s_barrier_wait -1
	s_and_saveexec_b32 s51, s96
	s_cbranch_execz .LBB32_441
; %bb.440:                              ;   in Loop: Header=BB32_3 Depth=1
	ds_load_b64 v[44:45], v63 offset:14560
	ds_load_b64 v[46:47], v66
	s_wait_dscnt 0x0
	v_fmac_f64_e32 v[0:1], v[44:45], v[46:47]
.LBB32_441:                             ;   in Loop: Header=BB32_3 Depth=1
	s_or_b32 exec_lo, exec_lo, s51
	s_barrier_signal -1
	s_barrier_wait -1
	s_and_saveexec_b32 s51, s97
; %bb.442:                              ;   in Loop: Header=BB32_3 Depth=1
	ds_store_b64 v66, v[0:1]
; %bb.443:                              ;   in Loop: Header=BB32_3 Depth=1
	s_or_b32 exec_lo, exec_lo, s51
	s_wait_dscnt 0x0
	s_barrier_signal -1
	s_barrier_wait -1
	s_and_saveexec_b32 s51, s98
	s_cbranch_execz .LBB32_445
; %bb.444:                              ;   in Loop: Header=BB32_3 Depth=1
	ds_load_b64 v[44:45], v63 offset:15072
	ds_load_b64 v[46:47], v66
	s_wait_dscnt 0x0
	v_fmac_f64_e32 v[0:1], v[44:45], v[46:47]
.LBB32_445:                             ;   in Loop: Header=BB32_3 Depth=1
	s_or_b32 exec_lo, exec_lo, s51
	s_barrier_signal -1
	s_barrier_wait -1
	;; [unrolled: 19-line block ×3, first 2 shown]
	s_and_saveexec_b32 s51, s100
; %bb.450:                              ;   in Loop: Header=BB32_3 Depth=1
	ds_store_b64 v66, v[0:1]
; %bb.451:                              ;   in Loop: Header=BB32_3 Depth=1
	s_or_b32 exec_lo, exec_lo, s51
	s_wait_dscnt 0x0
	s_barrier_signal -1
	s_barrier_wait -1
	s_barrier_signal -1
	s_barrier_wait -1
	s_and_saveexec_b32 s51, s2
; %bb.452:                              ;   in Loop: Header=BB32_3 Depth=1
	v_xor_b32_e32 v1, 0x80000000, v1
	ds_store_b64 v68, v[0:1] offset:12512
; %bb.453:                              ;   in Loop: Header=BB32_3 Depth=1
	s_or_b32 exec_lo, exec_lo, s51
	s_wait_dscnt 0x0
	s_barrier_signal -1
	s_barrier_wait -1
	s_barrier_signal -1
	s_barrier_wait -1
	s_and_saveexec_b32 s51, s101
	s_cbranch_execz .LBB32_455
; %bb.454:                              ;   in Loop: Header=BB32_3 Depth=1
	ds_load_b64 v[0:1], v61 offset:12512
	s_wait_dscnt 0x0
	ds_store_b64 v79, v[0:1] offset:14528
	ds_load_b64 v[0:1], v61 offset:12520
	s_wait_dscnt 0x0
	ds_store_b64 v79, v[0:1] offset:15040
	;; [unrolled: 3-line block ×4, first 2 shown]
.LBB32_455:                             ;   in Loop: Header=BB32_3 Depth=1
	s_or_b32 exec_lo, exec_lo, s51
	s_wait_dscnt 0x0
	s_barrier_signal -1
	s_barrier_wait -1
	s_and_saveexec_b32 s51, s10
	s_cbranch_execz .LBB32_457
; %bb.456:                              ;   in Loop: Header=BB32_3 Depth=1
	ds_load_b64 v[0:1], v9 offset:14568
	v_mov_b32_e32 v2, v9
	ds_store_b64 v9, v[30:31] offset:14560
	s_wait_dscnt 0x1
	ds_store_b128 v9, v[0:3] offset:15072
.LBB32_457:                             ;   in Loop: Header=BB32_3 Depth=1
	s_or_b32 exec_lo, exec_lo, s51
	v_mov_b64_e32 v[0:1], 0
	s_wait_dscnt 0x0
	s_barrier_signal -1
	s_barrier_wait -1
	s_and_saveexec_b32 s51, s0
	s_cbranch_execz .LBB32_461
; %bb.458:                              ;   in Loop: Header=BB32_3 Depth=1
	ds_load_b64 v[0:1], v64 offset:14576
	ds_load_b64 v[44:45], v65 offset:14560
	s_wait_dscnt 0x0
	v_fma_f64 v[0:1], v[0:1], v[44:45], 0
	s_and_saveexec_b32 s52, s11
	s_cbranch_execz .LBB32_460
; %bb.459:                              ;   in Loop: Header=BB32_3 Depth=1
	ds_load_b64 v[44:45], v79 offset:15088
	ds_load_b64 v[46:47], v9 offset:14568
	s_wait_dscnt 0x0
	v_fmac_f64_e32 v[0:1], v[44:45], v[46:47]
.LBB32_460:                             ;   in Loop: Header=BB32_3 Depth=1
	s_or_b32 exec_lo, exec_lo, s52
	s_delay_alu instid0(VALU_DEP_1)
	v_xor_b32_e32 v1, 0x80000000, v1
.LBB32_461:                             ;   in Loop: Header=BB32_3 Depth=1
	s_or_b32 exec_lo, exec_lo, s51
	s_and_saveexec_b32 s51, s92
; %bb.462:                              ;   in Loop: Header=BB32_3 Depth=1
	ds_store_b64 v56, v[0:1]
; %bb.463:                              ;   in Loop: Header=BB32_3 Depth=1
	s_or_b32 exec_lo, exec_lo, s51
	s_wait_dscnt 0x0
	s_barrier_signal -1
	s_barrier_wait -1
	s_and_saveexec_b32 s51, s93
	s_cbranch_execz .LBB32_465
; %bb.464:                              ;   in Loop: Header=BB32_3 Depth=1
	ds_load_b64 v[44:45], v9 offset:15608
	ds_load_b64 v[46:47], v56
	s_wait_dscnt 0x0
	v_fmac_f64_e32 v[0:1], v[44:45], v[46:47]
.LBB32_465:                             ;   in Loop: Header=BB32_3 Depth=1
	s_or_b32 exec_lo, exec_lo, s51
	s_barrier_signal -1
	s_barrier_wait -1
	s_and_saveexec_b32 s51, s93
; %bb.466:                              ;   in Loop: Header=BB32_3 Depth=1
	ds_store_b64 v56, v[0:1]
; %bb.467:                              ;   in Loop: Header=BB32_3 Depth=1
	s_or_b32 exec_lo, exec_lo, s51
	s_wait_dscnt 0x0
	s_barrier_signal -1
	s_barrier_wait -1
	s_barrier_signal -1
	s_barrier_wait -1
	s_and_saveexec_b32 s51, s0
; %bb.468:                              ;   in Loop: Header=BB32_3 Depth=1
	v_xor_b32_e32 v1, 0x80000000, v1
	ds_store_b64 v64, v[0:1] offset:14576
; %bb.469:                              ;   in Loop: Header=BB32_3 Depth=1
	s_or_b32 exec_lo, exec_lo, s51
	s_wait_dscnt 0x0
	s_barrier_signal -1
	s_barrier_wait -1
	s_barrier_signal -1
	s_barrier_wait -1
	s_and_saveexec_b32 s51, s94
	s_cbranch_execz .LBB32_471
; %bb.470:                              ;   in Loop: Header=BB32_3 Depth=1
	ds_load_b64 v[0:1], v80 offset:14576
	s_wait_dscnt 0x0
	ds_store_b64 v79, v[0:1] offset:15584
	ds_load_b64 v[0:1], v80 offset:14584
	s_wait_dscnt 0x0
	ds_store_b64 v79, v[0:1] offset:16096
.LBB32_471:                             ;   in Loop: Header=BB32_3 Depth=1
	s_or_b32 exec_lo, exec_lo, s51
	s_wait_dscnt 0x0
	s_barrier_signal -1
	s_barrier_wait -1
	s_and_saveexec_b32 s51, s10
	s_cbranch_execz .LBB32_473
; %bb.472:                              ;   in Loop: Header=BB32_3 Depth=1
	ds_load_b64 v[0:1], v9 offset:15608
	v_mov_b32_e32 v2, v9
	ds_store_b64 v9, v[30:31] offset:15600
	s_wait_dscnt 0x1
	ds_store_b128 v9, v[0:3] offset:16112
.LBB32_473:                             ;   in Loop: Header=BB32_3 Depth=1
	s_or_b32 exec_lo, exec_lo, s51
	v_mov_b64_e32 v[0:1], 0
	s_wait_dscnt 0x0
	s_barrier_signal -1
	s_barrier_wait -1
	s_and_saveexec_b32 s82, s30
	s_cbranch_execz .LBB32_535
; %bb.474:                              ;   in Loop: Header=BB32_3 Depth=1
	v_add_nc_u32_e32 v2, v78, v62
	ds_load_b64 v[0:1], v81 offset:256
	ds_load_b64 v[44:45], v2
	s_wait_dscnt 0x0
	v_fma_f64 v[0:1], v[0:1], v[44:45], 0
	s_mov_b32 s51, exec_lo
	v_readlane_b32 s52, v97, 2
	s_and_b32 s52, s51, s52
	s_delay_alu instid0(SALU_CYCLE_1)
	s_mov_b32 exec_lo, s52
	s_cbranch_execz .LBB32_476
; %bb.475:                              ;   in Loop: Header=BB32_3 Depth=1
	ds_load_b64 v[44:45], v81 offset:768
	ds_load_b64 v[46:47], v2 offset:8
	s_wait_dscnt 0x0
	v_fmac_f64_e32 v[0:1], v[44:45], v[46:47]
.LBB32_476:                             ;   in Loop: Header=BB32_3 Depth=1
	s_or_b32 exec_lo, exec_lo, s51
	s_delay_alu instid0(SALU_CYCLE_1) | instskip(SKIP_2) | instid1(SALU_CYCLE_1)
	s_mov_b32 s51, exec_lo
	v_readlane_b32 s52, v97, 3
	s_and_b32 s52, s51, s52
	s_mov_b32 exec_lo, s52
	s_cbranch_execz .LBB32_478
; %bb.477:                              ;   in Loop: Header=BB32_3 Depth=1
	ds_load_b64 v[44:45], v81 offset:1280
	ds_load_b64 v[46:47], v2 offset:16
	s_wait_dscnt 0x0
	v_fmac_f64_e32 v[0:1], v[44:45], v[46:47]
.LBB32_478:                             ;   in Loop: Header=BB32_3 Depth=1
	s_or_b32 exec_lo, exec_lo, s51
	s_delay_alu instid0(SALU_CYCLE_1) | instskip(SKIP_2) | instid1(SALU_CYCLE_1)
	s_mov_b32 s51, exec_lo
	v_readlane_b32 s52, v97, 4
	s_and_b32 s52, s51, s52
	s_mov_b32 exec_lo, s52
	s_cbranch_execz .LBB32_480
; %bb.479:                              ;   in Loop: Header=BB32_3 Depth=1
	ds_load_b64 v[44:45], v81 offset:1792
	ds_load_b64 v[46:47], v2 offset:24
	s_wait_dscnt 0x0
	v_fmac_f64_e32 v[0:1], v[44:45], v[46:47]
.LBB32_480:                             ;   in Loop: Header=BB32_3 Depth=1
	s_or_b32 exec_lo, exec_lo, s51
	s_delay_alu instid0(SALU_CYCLE_1) | instskip(SKIP_2) | instid1(SALU_CYCLE_1)
	s_mov_b32 s51, exec_lo
	v_readlane_b32 s52, v97, 5
	s_and_b32 s52, s51, s52
	s_mov_b32 exec_lo, s52
	s_cbranch_execz .LBB32_482
; %bb.481:                              ;   in Loop: Header=BB32_3 Depth=1
	ds_load_b64 v[44:45], v81 offset:2304
	ds_load_b64 v[46:47], v2 offset:32
	s_wait_dscnt 0x0
	v_fmac_f64_e32 v[0:1], v[44:45], v[46:47]
.LBB32_482:                             ;   in Loop: Header=BB32_3 Depth=1
	s_or_b32 exec_lo, exec_lo, s51
	s_delay_alu instid0(SALU_CYCLE_1) | instskip(SKIP_2) | instid1(SALU_CYCLE_1)
	s_mov_b32 s51, exec_lo
	v_readlane_b32 s52, v97, 6
	s_and_b32 s52, s51, s52
	s_mov_b32 exec_lo, s52
	s_cbranch_execz .LBB32_484
; %bb.483:                              ;   in Loop: Header=BB32_3 Depth=1
	ds_load_b64 v[44:45], v81 offset:2816
	ds_load_b64 v[46:47], v2 offset:40
	s_wait_dscnt 0x0
	v_fmac_f64_e32 v[0:1], v[44:45], v[46:47]
.LBB32_484:                             ;   in Loop: Header=BB32_3 Depth=1
	s_or_b32 exec_lo, exec_lo, s51
	s_delay_alu instid0(SALU_CYCLE_1) | instskip(SKIP_2) | instid1(SALU_CYCLE_1)
	s_mov_b32 s51, exec_lo
	v_readlane_b32 s52, v97, 7
	s_and_b32 s52, s51, s52
	s_mov_b32 exec_lo, s52
	s_cbranch_execz .LBB32_486
; %bb.485:                              ;   in Loop: Header=BB32_3 Depth=1
	ds_load_b64 v[44:45], v81 offset:3328
	ds_load_b64 v[46:47], v2 offset:48
	s_wait_dscnt 0x0
	v_fmac_f64_e32 v[0:1], v[44:45], v[46:47]
.LBB32_486:                             ;   in Loop: Header=BB32_3 Depth=1
	s_or_b32 exec_lo, exec_lo, s51
	s_delay_alu instid0(SALU_CYCLE_1) | instskip(SKIP_2) | instid1(SALU_CYCLE_1)
	s_mov_b32 s51, exec_lo
	v_readlane_b32 s52, v97, 8
	s_and_b32 s52, s51, s52
	s_mov_b32 exec_lo, s52
	s_cbranch_execz .LBB32_488
; %bb.487:                              ;   in Loop: Header=BB32_3 Depth=1
	ds_load_b64 v[44:45], v81 offset:3840
	ds_load_b64 v[46:47], v2 offset:56
	s_wait_dscnt 0x0
	v_fmac_f64_e32 v[0:1], v[44:45], v[46:47]
.LBB32_488:                             ;   in Loop: Header=BB32_3 Depth=1
	s_or_b32 exec_lo, exec_lo, s51
	s_delay_alu instid0(SALU_CYCLE_1) | instskip(SKIP_2) | instid1(SALU_CYCLE_1)
	s_mov_b32 s51, exec_lo
	v_readlane_b32 s52, v97, 9
	s_and_b32 s52, s51, s52
	s_mov_b32 exec_lo, s52
	s_cbranch_execz .LBB32_490
; %bb.489:                              ;   in Loop: Header=BB32_3 Depth=1
	ds_load_b64 v[44:45], v81 offset:4352
	ds_load_b64 v[46:47], v2 offset:64
	s_wait_dscnt 0x0
	v_fmac_f64_e32 v[0:1], v[44:45], v[46:47]
.LBB32_490:                             ;   in Loop: Header=BB32_3 Depth=1
	s_or_b32 exec_lo, exec_lo, s51
	s_delay_alu instid0(SALU_CYCLE_1) | instskip(SKIP_2) | instid1(SALU_CYCLE_1)
	s_mov_b32 s51, exec_lo
	v_readlane_b32 s52, v97, 10
	s_and_b32 s52, s51, s52
	s_mov_b32 exec_lo, s52
	s_cbranch_execz .LBB32_492
; %bb.491:                              ;   in Loop: Header=BB32_3 Depth=1
	ds_load_b64 v[44:45], v81 offset:4864
	ds_load_b64 v[46:47], v2 offset:72
	s_wait_dscnt 0x0
	v_fmac_f64_e32 v[0:1], v[44:45], v[46:47]
.LBB32_492:                             ;   in Loop: Header=BB32_3 Depth=1
	s_or_b32 exec_lo, exec_lo, s51
	s_delay_alu instid0(SALU_CYCLE_1) | instskip(SKIP_2) | instid1(SALU_CYCLE_1)
	s_mov_b32 s51, exec_lo
	v_readlane_b32 s52, v97, 11
	s_and_b32 s52, s51, s52
	s_mov_b32 exec_lo, s52
	s_cbranch_execz .LBB32_494
; %bb.493:                              ;   in Loop: Header=BB32_3 Depth=1
	ds_load_b64 v[44:45], v81 offset:5376
	ds_load_b64 v[46:47], v2 offset:80
	s_wait_dscnt 0x0
	v_fmac_f64_e32 v[0:1], v[44:45], v[46:47]
.LBB32_494:                             ;   in Loop: Header=BB32_3 Depth=1
	s_or_b32 exec_lo, exec_lo, s51
	s_delay_alu instid0(SALU_CYCLE_1) | instskip(SKIP_2) | instid1(SALU_CYCLE_1)
	s_mov_b32 s51, exec_lo
	v_readlane_b32 s52, v97, 12
	s_and_b32 s52, s51, s52
	s_mov_b32 exec_lo, s52
	s_cbranch_execz .LBB32_496
; %bb.495:                              ;   in Loop: Header=BB32_3 Depth=1
	ds_load_b64 v[44:45], v81 offset:5888
	ds_load_b64 v[46:47], v2 offset:88
	s_wait_dscnt 0x0
	v_fmac_f64_e32 v[0:1], v[44:45], v[46:47]
.LBB32_496:                             ;   in Loop: Header=BB32_3 Depth=1
	s_or_b32 exec_lo, exec_lo, s51
	s_delay_alu instid0(SALU_CYCLE_1) | instskip(SKIP_2) | instid1(SALU_CYCLE_1)
	s_mov_b32 s51, exec_lo
	v_readlane_b32 s52, v97, 13
	s_and_b32 s52, s51, s52
	s_mov_b32 exec_lo, s52
	s_cbranch_execz .LBB32_498
; %bb.497:                              ;   in Loop: Header=BB32_3 Depth=1
	ds_load_b64 v[44:45], v81 offset:6400
	ds_load_b64 v[46:47], v2 offset:96
	s_wait_dscnt 0x0
	v_fmac_f64_e32 v[0:1], v[44:45], v[46:47]
.LBB32_498:                             ;   in Loop: Header=BB32_3 Depth=1
	s_or_b32 exec_lo, exec_lo, s51
	s_delay_alu instid0(SALU_CYCLE_1) | instskip(SKIP_2) | instid1(SALU_CYCLE_1)
	s_mov_b32 s51, exec_lo
	v_readlane_b32 s52, v97, 14
	s_and_b32 s52, s51, s52
	s_mov_b32 exec_lo, s52
	s_cbranch_execz .LBB32_500
; %bb.499:                              ;   in Loop: Header=BB32_3 Depth=1
	ds_load_b64 v[44:45], v81 offset:6912
	ds_load_b64 v[46:47], v2 offset:104
	s_wait_dscnt 0x0
	v_fmac_f64_e32 v[0:1], v[44:45], v[46:47]
.LBB32_500:                             ;   in Loop: Header=BB32_3 Depth=1
	s_or_b32 exec_lo, exec_lo, s51
	s_delay_alu instid0(SALU_CYCLE_1) | instskip(SKIP_2) | instid1(SALU_CYCLE_1)
	s_mov_b32 s51, exec_lo
	v_readlane_b32 s52, v97, 15
	s_and_b32 s52, s51, s52
	s_mov_b32 exec_lo, s52
	s_cbranch_execz .LBB32_502
; %bb.501:                              ;   in Loop: Header=BB32_3 Depth=1
	ds_load_b64 v[44:45], v81 offset:7424
	ds_load_b64 v[46:47], v2 offset:112
	s_wait_dscnt 0x0
	v_fmac_f64_e32 v[0:1], v[44:45], v[46:47]
.LBB32_502:                             ;   in Loop: Header=BB32_3 Depth=1
	s_or_b32 exec_lo, exec_lo, s51
	s_delay_alu instid0(SALU_CYCLE_1) | instskip(SKIP_2) | instid1(SALU_CYCLE_1)
	s_mov_b32 s51, exec_lo
	v_readlane_b32 s52, v97, 16
	s_and_b32 s52, s51, s52
	s_mov_b32 exec_lo, s52
	s_cbranch_execz .LBB32_504
; %bb.503:                              ;   in Loop: Header=BB32_3 Depth=1
	ds_load_b64 v[44:45], v81 offset:7936
	ds_load_b64 v[46:47], v2 offset:120
	s_wait_dscnt 0x0
	v_fmac_f64_e32 v[0:1], v[44:45], v[46:47]
.LBB32_504:                             ;   in Loop: Header=BB32_3 Depth=1
	s_or_b32 exec_lo, exec_lo, s51
	s_delay_alu instid0(SALU_CYCLE_1) | instskip(SKIP_2) | instid1(SALU_CYCLE_1)
	s_mov_b32 s51, exec_lo
	v_readlane_b32 s52, v97, 17
	s_and_b32 s52, s51, s52
	s_mov_b32 exec_lo, s52
	s_cbranch_execz .LBB32_506
; %bb.505:                              ;   in Loop: Header=BB32_3 Depth=1
	ds_load_b64 v[44:45], v81 offset:8448
	ds_load_b64 v[46:47], v2 offset:128
	s_wait_dscnt 0x0
	v_fmac_f64_e32 v[0:1], v[44:45], v[46:47]
.LBB32_506:                             ;   in Loop: Header=BB32_3 Depth=1
	s_or_b32 exec_lo, exec_lo, s51
	s_delay_alu instid0(SALU_CYCLE_1) | instskip(SKIP_2) | instid1(SALU_CYCLE_1)
	s_mov_b32 s51, exec_lo
	v_readlane_b32 s52, v97, 18
	s_and_b32 s52, s51, s52
	s_mov_b32 exec_lo, s52
	s_cbranch_execz .LBB32_508
; %bb.507:                              ;   in Loop: Header=BB32_3 Depth=1
	ds_load_b64 v[44:45], v81 offset:8960
	ds_load_b64 v[46:47], v2 offset:136
	s_wait_dscnt 0x0
	v_fmac_f64_e32 v[0:1], v[44:45], v[46:47]
.LBB32_508:                             ;   in Loop: Header=BB32_3 Depth=1
	s_or_b32 exec_lo, exec_lo, s51
	s_delay_alu instid0(SALU_CYCLE_1) | instskip(SKIP_2) | instid1(SALU_CYCLE_1)
	s_mov_b32 s51, exec_lo
	v_readlane_b32 s52, v97, 19
	s_and_b32 s52, s51, s52
	s_mov_b32 exec_lo, s52
	s_cbranch_execz .LBB32_510
; %bb.509:                              ;   in Loop: Header=BB32_3 Depth=1
	ds_load_b64 v[44:45], v81 offset:9472
	ds_load_b64 v[46:47], v2 offset:144
	s_wait_dscnt 0x0
	v_fmac_f64_e32 v[0:1], v[44:45], v[46:47]
.LBB32_510:                             ;   in Loop: Header=BB32_3 Depth=1
	s_or_b32 exec_lo, exec_lo, s51
	s_delay_alu instid0(SALU_CYCLE_1) | instskip(SKIP_2) | instid1(SALU_CYCLE_1)
	s_mov_b32 s51, exec_lo
	v_readlane_b32 s52, v97, 20
	s_and_b32 s52, s51, s52
	s_mov_b32 exec_lo, s52
	s_cbranch_execz .LBB32_512
; %bb.511:                              ;   in Loop: Header=BB32_3 Depth=1
	ds_load_b64 v[44:45], v81 offset:9984
	ds_load_b64 v[46:47], v2 offset:152
	s_wait_dscnt 0x0
	v_fmac_f64_e32 v[0:1], v[44:45], v[46:47]
.LBB32_512:                             ;   in Loop: Header=BB32_3 Depth=1
	s_or_b32 exec_lo, exec_lo, s51
	s_delay_alu instid0(SALU_CYCLE_1) | instskip(SKIP_2) | instid1(SALU_CYCLE_1)
	s_mov_b32 s51, exec_lo
	v_readlane_b32 s52, v97, 21
	s_and_b32 s52, s51, s52
	s_mov_b32 exec_lo, s52
	s_cbranch_execz .LBB32_514
; %bb.513:                              ;   in Loop: Header=BB32_3 Depth=1
	ds_load_b64 v[44:45], v81 offset:10496
	ds_load_b64 v[46:47], v2 offset:160
	s_wait_dscnt 0x0
	v_fmac_f64_e32 v[0:1], v[44:45], v[46:47]
.LBB32_514:                             ;   in Loop: Header=BB32_3 Depth=1
	s_or_b32 exec_lo, exec_lo, s51
	s_delay_alu instid0(SALU_CYCLE_1) | instskip(SKIP_2) | instid1(SALU_CYCLE_1)
	s_mov_b32 s51, exec_lo
	v_readlane_b32 s52, v97, 22
	s_and_b32 s52, s51, s52
	s_mov_b32 exec_lo, s52
	s_cbranch_execz .LBB32_516
; %bb.515:                              ;   in Loop: Header=BB32_3 Depth=1
	ds_load_b64 v[44:45], v81 offset:11008
	ds_load_b64 v[46:47], v2 offset:168
	s_wait_dscnt 0x0
	v_fmac_f64_e32 v[0:1], v[44:45], v[46:47]
.LBB32_516:                             ;   in Loop: Header=BB32_3 Depth=1
	s_or_b32 exec_lo, exec_lo, s51
	s_delay_alu instid0(SALU_CYCLE_1) | instskip(SKIP_2) | instid1(SALU_CYCLE_1)
	s_mov_b32 s51, exec_lo
	v_readlane_b32 s52, v97, 23
	s_and_b32 s52, s51, s52
	s_mov_b32 exec_lo, s52
	s_cbranch_execz .LBB32_518
; %bb.517:                              ;   in Loop: Header=BB32_3 Depth=1
	ds_load_b64 v[44:45], v81 offset:11520
	ds_load_b64 v[46:47], v2 offset:176
	s_wait_dscnt 0x0
	v_fmac_f64_e32 v[0:1], v[44:45], v[46:47]
.LBB32_518:                             ;   in Loop: Header=BB32_3 Depth=1
	s_or_b32 exec_lo, exec_lo, s51
	s_delay_alu instid0(SALU_CYCLE_1) | instskip(SKIP_2) | instid1(SALU_CYCLE_1)
	s_mov_b32 s51, exec_lo
	v_readlane_b32 s52, v97, 24
	s_and_b32 s52, s51, s52
	s_mov_b32 exec_lo, s52
	s_cbranch_execz .LBB32_520
; %bb.519:                              ;   in Loop: Header=BB32_3 Depth=1
	ds_load_b64 v[44:45], v81 offset:12032
	ds_load_b64 v[46:47], v2 offset:184
	s_wait_dscnt 0x0
	v_fmac_f64_e32 v[0:1], v[44:45], v[46:47]
.LBB32_520:                             ;   in Loop: Header=BB32_3 Depth=1
	s_or_b32 exec_lo, exec_lo, s51
	s_and_saveexec_b32 s51, s4
	s_cbranch_execz .LBB32_522
; %bb.521:                              ;   in Loop: Header=BB32_3 Depth=1
	ds_load_b64 v[44:45], v81 offset:12544
	ds_load_b64 v[46:47], v2 offset:192
	s_wait_dscnt 0x0
	v_fmac_f64_e32 v[0:1], v[44:45], v[46:47]
.LBB32_522:                             ;   in Loop: Header=BB32_3 Depth=1
	s_or_b32 exec_lo, exec_lo, s51
	s_delay_alu instid0(SALU_CYCLE_1) | instskip(SKIP_2) | instid1(SALU_CYCLE_1)
	s_mov_b32 s51, exec_lo
	v_readlane_b32 s52, v102, 24
	s_and_b32 s52, s51, s52
	s_mov_b32 exec_lo, s52
	s_cbranch_execz .LBB32_524
; %bb.523:                              ;   in Loop: Header=BB32_3 Depth=1
	ds_load_b64 v[44:45], v81 offset:13056
	ds_load_b64 v[46:47], v2 offset:200
	s_wait_dscnt 0x0
	v_fmac_f64_e32 v[0:1], v[44:45], v[46:47]
.LBB32_524:                             ;   in Loop: Header=BB32_3 Depth=1
	s_or_b32 exec_lo, exec_lo, s51
	s_delay_alu instid0(SALU_CYCLE_1) | instskip(SKIP_2) | instid1(SALU_CYCLE_1)
	s_mov_b32 s51, exec_lo
	v_readlane_b32 s52, v102, 26
	s_and_b32 s52, s51, s52
	s_mov_b32 exec_lo, s52
	;; [unrolled: 13-line block ×5, first 2 shown]
	s_cbranch_execnz .LBB32_1091
; %bb.531:                              ;   in Loop: Header=BB32_3 Depth=1
	s_or_b32 exec_lo, exec_lo, s51
	s_and_saveexec_b32 s51, s3
	s_cbranch_execnz .LBB32_1092
.LBB32_532:                             ;   in Loop: Header=BB32_3 Depth=1
	s_or_b32 exec_lo, exec_lo, s51
	s_and_saveexec_b32 s51, s17
	s_cbranch_execz .LBB32_534
.LBB32_533:                             ;   in Loop: Header=BB32_3 Depth=1
	ds_load_b64 v[44:45], v7 offset:16128
	ds_load_b64 v[46:47], v9 offset:248
	s_wait_dscnt 0x0
	v_fmac_f64_e32 v[0:1], v[44:45], v[46:47]
.LBB32_534:                             ;   in Loop: Header=BB32_3 Depth=1
	s_or_b32 exec_lo, exec_lo, s51
	s_delay_alu instid0(VALU_DEP_1)
	v_xor_b32_e32 v1, 0x80000000, v1
.LBB32_535:                             ;   in Loop: Header=BB32_3 Depth=1
	s_or_b32 exec_lo, exec_lo, s82
	v_dual_mov_b32 v2, v77 :: v_dual_mov_b32 v5, v88
	s_mov_b32 s61, 0
	s_branch .LBB32_537
.LBB32_536:                             ;   in Loop: Header=BB32_537 Depth=2
	s_or_b32 exec_lo, exec_lo, s51
	v_add_nc_u32_e32 v5, 0x800, v5
	v_add_nc_u32_e32 v2, -4, v2
	s_add_co_i32 s61, s61, 4
	s_delay_alu instid0(SALU_CYCLE_1)
	s_cmp_eq_u32 s61, 32
	s_barrier_signal -1
	s_barrier_wait -1
	s_cbranch_scc1 .LBB32_553
.LBB32_537:                             ;   Parent Loop BB32_3 Depth=1
                                        ; =>  This Inner Loop Header: Depth=2
	s_delay_alu instid0(VALU_DEP_1) | instskip(SKIP_1) | instid1(SALU_CYCLE_1)
	v_cmp_eq_u32_e32 vcc_lo, 0, v2
	s_and_b32 s52, s86, vcc_lo
	s_and_saveexec_b32 s51, s52
; %bb.538:                              ;   in Loop: Header=BB32_537 Depth=2
	ds_store_b64 v90, v[0:1]
; %bb.539:                              ;   in Loop: Header=BB32_537 Depth=2
	s_or_b32 exec_lo, exec_lo, s51
	v_cmp_lt_u32_e32 vcc_lo, s61, v77
	s_wait_dscnt 0x0
	s_barrier_signal -1
	s_barrier_wait -1
	s_and_b32 s52, s86, vcc_lo
	s_delay_alu instid0(SALU_CYCLE_1)
	s_and_saveexec_b32 s51, s52
	s_cbranch_execz .LBB32_541
; %bb.540:                              ;   in Loop: Header=BB32_537 Depth=2
	ds_load_b64 v[44:45], v5
	ds_load_b64 v[46:47], v90
	s_wait_dscnt 0x0
	v_fmac_f64_e32 v[0:1], v[44:45], v[46:47]
.LBB32_541:                             ;   in Loop: Header=BB32_537 Depth=2
	s_or_b32 exec_lo, exec_lo, s51
	s_or_b32 s51, s61, 1
	s_delay_alu instid0(SALU_CYCLE_1) | instskip(SKIP_3) | instid1(SALU_CYCLE_1)
	v_cmp_eq_u32_e32 vcc_lo, s51, v77
	s_barrier_signal -1
	s_barrier_wait -1
	s_and_b32 s53, s86, vcc_lo
	s_and_saveexec_b32 s52, s53
; %bb.542:                              ;   in Loop: Header=BB32_537 Depth=2
	ds_store_b64 v90, v[0:1]
; %bb.543:                              ;   in Loop: Header=BB32_537 Depth=2
	s_or_b32 exec_lo, exec_lo, s52
	v_cmp_lt_u32_e32 vcc_lo, s51, v77
	s_wait_dscnt 0x0
	s_barrier_signal -1
	s_barrier_wait -1
	s_and_b32 s52, s86, vcc_lo
	s_delay_alu instid0(SALU_CYCLE_1)
	s_and_saveexec_b32 s51, s52
	s_cbranch_execz .LBB32_545
; %bb.544:                              ;   in Loop: Header=BB32_537 Depth=2
	ds_load_b64 v[44:45], v5 offset:512
	ds_load_b64 v[46:47], v90
	s_wait_dscnt 0x0
	v_fmac_f64_e32 v[0:1], v[44:45], v[46:47]
.LBB32_545:                             ;   in Loop: Header=BB32_537 Depth=2
	s_or_b32 exec_lo, exec_lo, s51
	s_or_b32 s51, s61, 2
	s_delay_alu instid0(SALU_CYCLE_1) | instskip(SKIP_3) | instid1(SALU_CYCLE_1)
	v_cmp_eq_u32_e32 vcc_lo, s51, v77
	s_barrier_signal -1
	s_barrier_wait -1
	s_and_b32 s53, s86, vcc_lo
	s_and_saveexec_b32 s52, s53
; %bb.546:                              ;   in Loop: Header=BB32_537 Depth=2
	ds_store_b64 v90, v[0:1]
; %bb.547:                              ;   in Loop: Header=BB32_537 Depth=2
	s_or_b32 exec_lo, exec_lo, s52
	v_cmp_lt_u32_e32 vcc_lo, s51, v77
	s_wait_dscnt 0x0
	s_barrier_signal -1
	s_barrier_wait -1
	s_and_b32 s52, s86, vcc_lo
	s_delay_alu instid0(SALU_CYCLE_1)
	s_and_saveexec_b32 s51, s52
	s_cbranch_execz .LBB32_549
; %bb.548:                              ;   in Loop: Header=BB32_537 Depth=2
	ds_load_b64 v[44:45], v5 offset:1024
	ds_load_b64 v[46:47], v90
	s_wait_dscnt 0x0
	v_fmac_f64_e32 v[0:1], v[44:45], v[46:47]
.LBB32_549:                             ;   in Loop: Header=BB32_537 Depth=2
	s_or_b32 exec_lo, exec_lo, s51
	s_or_b32 s51, s61, 3
	s_delay_alu instid0(SALU_CYCLE_1) | instskip(SKIP_3) | instid1(SALU_CYCLE_1)
	v_cmp_eq_u32_e32 vcc_lo, s51, v77
	s_barrier_signal -1
	s_barrier_wait -1
	s_and_b32 s53, s86, vcc_lo
	s_and_saveexec_b32 s52, s53
; %bb.550:                              ;   in Loop: Header=BB32_537 Depth=2
	ds_store_b64 v90, v[0:1]
; %bb.551:                              ;   in Loop: Header=BB32_537 Depth=2
	s_or_b32 exec_lo, exec_lo, s52
	v_cmp_lt_u32_e32 vcc_lo, s51, v77
	s_wait_dscnt 0x0
	s_barrier_signal -1
	s_barrier_wait -1
	s_and_b32 s52, s86, vcc_lo
	s_delay_alu instid0(SALU_CYCLE_1)
	s_and_saveexec_b32 s51, s52
	s_cbranch_execz .LBB32_536
; %bb.552:                              ;   in Loop: Header=BB32_537 Depth=2
	ds_load_b64 v[44:45], v5 offset:1536
	ds_load_b64 v[46:47], v90
	s_wait_dscnt 0x0
	v_fmac_f64_e32 v[0:1], v[44:45], v[46:47]
	s_branch .LBB32_536
.LBB32_553:                             ;   in Loop: Header=BB32_3 Depth=1
	s_and_saveexec_b32 s51, s30
; %bb.554:                              ;   in Loop: Header=BB32_3 Depth=1
	s_delay_alu instid0(VALU_DEP_3)
	v_xor_b32_e32 v1, 0x80000000, v1
	ds_store_b64 v81, v[0:1] offset:256
; %bb.555:                              ;   in Loop: Header=BB32_3 Depth=1
	s_or_b32 exec_lo, exec_lo, s51
	s_wait_dscnt 0x0
	s_barrier_signal -1
	s_barrier_wait -1
	s_barrier_signal -1
	s_barrier_wait -1
	s_mov_b32 s61, exec_lo
	v_readlane_b32 s51, v102, 13
	s_and_b32 s51, s61, s51
	s_delay_alu instid0(SALU_CYCLE_1)
	s_mov_b32 exec_lo, s51
	s_cbranch_execz .LBB32_557
; %bb.556:                              ;   in Loop: Header=BB32_3 Depth=1
	ds_load_b64 v[0:1], v11 offset:256
	s_wait_dscnt 0x0
	ds_store_b64 v48, v[0:1] offset:16384
	ds_load_b64 v[0:1], v11 offset:264
	s_wait_dscnt 0x0
	ds_store_b64 v48, v[0:1] offset:16896
	;; [unrolled: 3-line block ×32, first 2 shown]
.LBB32_557:                             ;   in Loop: Header=BB32_3 Depth=1
	s_or_b32 exec_lo, exec_lo, s61
	s_wait_dscnt 0x0
	s_barrier_signal -1
	s_barrier_wait -1
	s_and_saveexec_b32 s51, s10
	s_cbranch_execz .LBB32_559
; %bb.558:                              ;   in Loop: Header=BB32_3 Depth=1
	ds_load_b64 v[0:1], v9 offset:16648
	v_mov_b32_e32 v2, v9
	ds_store_b64 v9, v[30:31] offset:16640
	s_wait_dscnt 0x1
	ds_store_b128 v9, v[0:3] offset:17152
.LBB32_559:                             ;   in Loop: Header=BB32_3 Depth=1
	s_or_b32 exec_lo, exec_lo, s51
	v_mov_b64_e32 v[0:1], 0
	s_wait_dscnt 0x0
	s_barrier_signal -1
	s_barrier_wait -1
	s_and_saveexec_b32 s51, s0
	s_cbranch_execz .LBB32_563
; %bb.560:                              ;   in Loop: Header=BB32_3 Depth=1
	ds_load_b64 v[0:1], v64 offset:16656
	ds_load_b64 v[44:45], v65 offset:16640
	s_wait_dscnt 0x0
	v_fma_f64 v[0:1], v[0:1], v[44:45], 0
	s_and_saveexec_b32 s52, s11
	s_cbranch_execz .LBB32_562
; %bb.561:                              ;   in Loop: Header=BB32_3 Depth=1
	ds_load_b64 v[44:45], v7 offset:17168
	ds_load_b64 v[46:47], v9 offset:16648
	s_wait_dscnt 0x0
	v_fmac_f64_e32 v[0:1], v[44:45], v[46:47]
.LBB32_562:                             ;   in Loop: Header=BB32_3 Depth=1
	s_or_b32 exec_lo, exec_lo, s52
	s_delay_alu instid0(VALU_DEP_1)
	v_xor_b32_e32 v1, 0x80000000, v1
.LBB32_563:                             ;   in Loop: Header=BB32_3 Depth=1
	s_or_b32 exec_lo, exec_lo, s51
	s_and_saveexec_b32 s51, s92
; %bb.564:                              ;   in Loop: Header=BB32_3 Depth=1
	ds_store_b64 v56, v[0:1]
; %bb.565:                              ;   in Loop: Header=BB32_3 Depth=1
	s_or_b32 exec_lo, exec_lo, s51
	s_wait_dscnt 0x0
	s_barrier_signal -1
	s_barrier_wait -1
	s_and_saveexec_b32 s51, s93
	s_cbranch_execz .LBB32_567
; %bb.566:                              ;   in Loop: Header=BB32_3 Depth=1
	ds_load_b64 v[44:45], v9 offset:17688
	ds_load_b64 v[46:47], v56
	s_wait_dscnt 0x0
	v_fmac_f64_e32 v[0:1], v[44:45], v[46:47]
.LBB32_567:                             ;   in Loop: Header=BB32_3 Depth=1
	s_or_b32 exec_lo, exec_lo, s51
	s_barrier_signal -1
	s_barrier_wait -1
	s_and_saveexec_b32 s51, s93
; %bb.568:                              ;   in Loop: Header=BB32_3 Depth=1
	ds_store_b64 v56, v[0:1]
; %bb.569:                              ;   in Loop: Header=BB32_3 Depth=1
	s_or_b32 exec_lo, exec_lo, s51
	s_wait_dscnt 0x0
	s_barrier_signal -1
	s_barrier_wait -1
	s_barrier_signal -1
	s_barrier_wait -1
	s_and_saveexec_b32 s51, s0
; %bb.570:                              ;   in Loop: Header=BB32_3 Depth=1
	v_xor_b32_e32 v1, 0x80000000, v1
	ds_store_b64 v64, v[0:1] offset:16656
; %bb.571:                              ;   in Loop: Header=BB32_3 Depth=1
	s_or_b32 exec_lo, exec_lo, s51
	s_wait_dscnt 0x0
	s_barrier_signal -1
	s_barrier_wait -1
	s_barrier_signal -1
	s_barrier_wait -1
	s_and_saveexec_b32 s51, s94
	s_cbranch_execz .LBB32_573
; %bb.572:                              ;   in Loop: Header=BB32_3 Depth=1
	ds_load_b64 v[0:1], v11 offset:16656
	s_wait_dscnt 0x0
	ds_store_b64 v7, v[0:1] offset:17664
	ds_load_b64 v[0:1], v11 offset:16664
	s_wait_dscnt 0x0
	ds_store_b64 v7, v[0:1] offset:18176
.LBB32_573:                             ;   in Loop: Header=BB32_3 Depth=1
	s_or_b32 exec_lo, exec_lo, s51
	s_wait_dscnt 0x0
	s_barrier_signal -1
	s_barrier_wait -1
	s_and_saveexec_b32 s51, s10
	s_cbranch_execz .LBB32_575
; %bb.574:                              ;   in Loop: Header=BB32_3 Depth=1
	ds_load_b64 v[0:1], v9 offset:17688
	v_mov_b32_e32 v2, v9
	ds_store_b64 v9, v[30:31] offset:17680
	s_wait_dscnt 0x1
	ds_store_b128 v9, v[0:3] offset:18192
.LBB32_575:                             ;   in Loop: Header=BB32_3 Depth=1
	s_or_b32 exec_lo, exec_lo, s51
	v_mov_b64_e32 v[0:1], 0
	s_wait_dscnt 0x0
	s_barrier_signal -1
	s_barrier_wait -1
	s_and_saveexec_b32 s61, s2
	s_cbranch_execz .LBB32_581
; %bb.576:                              ;   in Loop: Header=BB32_3 Depth=1
	ds_load_b64 v[0:1], v68 offset:16672
	ds_load_b64 v[44:45], v55 offset:16640
	s_wait_dscnt 0x0
	v_fma_f64 v[0:1], v[0:1], v[44:45], 0
	s_and_saveexec_b32 s51, s12
	s_cbranch_execnz .LBB32_1093
; %bb.577:                              ;   in Loop: Header=BB32_3 Depth=1
	s_or_b32 exec_lo, exec_lo, s51
	s_and_saveexec_b32 s51, s13
	s_cbranch_execnz .LBB32_1094
.LBB32_578:                             ;   in Loop: Header=BB32_3 Depth=1
	s_or_b32 exec_lo, exec_lo, s51
	s_and_saveexec_b32 s51, s0
	s_cbranch_execz .LBB32_580
.LBB32_579:                             ;   in Loop: Header=BB32_3 Depth=1
	ds_load_b64 v[44:45], v48 offset:18208
	ds_load_b64 v[46:47], v9 offset:16664
	s_wait_dscnt 0x0
	v_fmac_f64_e32 v[0:1], v[44:45], v[46:47]
.LBB32_580:                             ;   in Loop: Header=BB32_3 Depth=1
	s_or_b32 exec_lo, exec_lo, s51
	s_delay_alu instid0(VALU_DEP_1)
	v_xor_b32_e32 v1, 0x80000000, v1
.LBB32_581:                             ;   in Loop: Header=BB32_3 Depth=1
	s_or_b32 exec_lo, exec_lo, s61
	s_and_saveexec_b32 s51, s95
; %bb.582:                              ;   in Loop: Header=BB32_3 Depth=1
	ds_store_b64 v66, v[0:1]
; %bb.583:                              ;   in Loop: Header=BB32_3 Depth=1
	s_or_b32 exec_lo, exec_lo, s51
	s_wait_dscnt 0x0
	s_barrier_signal -1
	s_barrier_wait -1
	s_and_saveexec_b32 s51, s96
	s_cbranch_execz .LBB32_585
; %bb.584:                              ;   in Loop: Header=BB32_3 Depth=1
	ds_load_b64 v[44:45], v63 offset:18720
	ds_load_b64 v[46:47], v66
	s_wait_dscnt 0x0
	v_fmac_f64_e32 v[0:1], v[44:45], v[46:47]
.LBB32_585:                             ;   in Loop: Header=BB32_3 Depth=1
	s_or_b32 exec_lo, exec_lo, s51
	s_barrier_signal -1
	s_barrier_wait -1
	s_and_saveexec_b32 s51, s97
; %bb.586:                              ;   in Loop: Header=BB32_3 Depth=1
	ds_store_b64 v66, v[0:1]
; %bb.587:                              ;   in Loop: Header=BB32_3 Depth=1
	s_or_b32 exec_lo, exec_lo, s51
	s_wait_dscnt 0x0
	s_barrier_signal -1
	s_barrier_wait -1
	s_and_saveexec_b32 s51, s98
	s_cbranch_execz .LBB32_589
; %bb.588:                              ;   in Loop: Header=BB32_3 Depth=1
	ds_load_b64 v[44:45], v63 offset:19232
	ds_load_b64 v[46:47], v66
	s_wait_dscnt 0x0
	v_fmac_f64_e32 v[0:1], v[44:45], v[46:47]
.LBB32_589:                             ;   in Loop: Header=BB32_3 Depth=1
	s_or_b32 exec_lo, exec_lo, s51
	s_barrier_signal -1
	s_barrier_wait -1
	s_and_saveexec_b32 s51, s99
; %bb.590:                              ;   in Loop: Header=BB32_3 Depth=1
	ds_store_b64 v66, v[0:1]
; %bb.591:                              ;   in Loop: Header=BB32_3 Depth=1
	s_or_b32 exec_lo, exec_lo, s51
	s_wait_dscnt 0x0
	s_barrier_signal -1
	s_barrier_wait -1
	s_and_saveexec_b32 s51, s100
	s_cbranch_execz .LBB32_593
; %bb.592:                              ;   in Loop: Header=BB32_3 Depth=1
	ds_load_b64 v[44:45], v9 offset:19768
	ds_load_b64 v[46:47], v66
	s_wait_dscnt 0x0
	v_fmac_f64_e32 v[0:1], v[44:45], v[46:47]
.LBB32_593:                             ;   in Loop: Header=BB32_3 Depth=1
	s_or_b32 exec_lo, exec_lo, s51
	s_barrier_signal -1
	s_barrier_wait -1
	s_and_saveexec_b32 s51, s100
; %bb.594:                              ;   in Loop: Header=BB32_3 Depth=1
	ds_store_b64 v66, v[0:1]
; %bb.595:                              ;   in Loop: Header=BB32_3 Depth=1
	s_or_b32 exec_lo, exec_lo, s51
	s_wait_dscnt 0x0
	s_barrier_signal -1
	s_barrier_wait -1
	s_barrier_signal -1
	s_barrier_wait -1
	s_and_saveexec_b32 s51, s2
; %bb.596:                              ;   in Loop: Header=BB32_3 Depth=1
	v_xor_b32_e32 v1, 0x80000000, v1
	ds_store_b64 v68, v[0:1] offset:16672
; %bb.597:                              ;   in Loop: Header=BB32_3 Depth=1
	s_or_b32 exec_lo, exec_lo, s51
	s_wait_dscnt 0x0
	s_barrier_signal -1
	s_barrier_wait -1
	s_barrier_signal -1
	s_barrier_wait -1
	s_and_saveexec_b32 s51, s101
	s_cbranch_execz .LBB32_599
; %bb.598:                              ;   in Loop: Header=BB32_3 Depth=1
	ds_load_b64 v[0:1], v49 offset:16672
	s_wait_dscnt 0x0
	ds_store_b64 v50, v[0:1] offset:18688
	ds_load_b64 v[0:1], v49 offset:16680
	s_wait_dscnt 0x0
	ds_store_b64 v50, v[0:1] offset:19200
	;; [unrolled: 3-line block ×4, first 2 shown]
.LBB32_599:                             ;   in Loop: Header=BB32_3 Depth=1
	s_or_b32 exec_lo, exec_lo, s51
	s_wait_dscnt 0x0
	s_barrier_signal -1
	s_barrier_wait -1
	s_and_saveexec_b32 s51, s10
	s_cbranch_execz .LBB32_601
; %bb.600:                              ;   in Loop: Header=BB32_3 Depth=1
	ds_load_b64 v[0:1], v9 offset:18728
	v_mov_b32_e32 v2, v9
	ds_store_b64 v9, v[30:31] offset:18720
	s_wait_dscnt 0x1
	ds_store_b128 v9, v[0:3] offset:19232
.LBB32_601:                             ;   in Loop: Header=BB32_3 Depth=1
	s_or_b32 exec_lo, exec_lo, s51
	v_mov_b64_e32 v[0:1], 0
	s_wait_dscnt 0x0
	s_barrier_signal -1
	s_barrier_wait -1
	s_and_saveexec_b32 s51, s0
	s_cbranch_execz .LBB32_605
; %bb.602:                              ;   in Loop: Header=BB32_3 Depth=1
	ds_load_b64 v[0:1], v64 offset:18736
	ds_load_b64 v[44:45], v65 offset:18720
	s_wait_dscnt 0x0
	v_fma_f64 v[0:1], v[0:1], v[44:45], 0
	s_and_saveexec_b32 s52, s11
	s_cbranch_execz .LBB32_604
; %bb.603:                              ;   in Loop: Header=BB32_3 Depth=1
	ds_load_b64 v[44:45], v50 offset:19248
	ds_load_b64 v[46:47], v9 offset:18728
	s_wait_dscnt 0x0
	v_fmac_f64_e32 v[0:1], v[44:45], v[46:47]
.LBB32_604:                             ;   in Loop: Header=BB32_3 Depth=1
	s_or_b32 exec_lo, exec_lo, s52
	s_delay_alu instid0(VALU_DEP_1)
	v_xor_b32_e32 v1, 0x80000000, v1
.LBB32_605:                             ;   in Loop: Header=BB32_3 Depth=1
	s_or_b32 exec_lo, exec_lo, s51
	s_and_saveexec_b32 s51, s92
; %bb.606:                              ;   in Loop: Header=BB32_3 Depth=1
	ds_store_b64 v56, v[0:1]
; %bb.607:                              ;   in Loop: Header=BB32_3 Depth=1
	s_or_b32 exec_lo, exec_lo, s51
	s_wait_dscnt 0x0
	s_barrier_signal -1
	s_barrier_wait -1
	s_and_saveexec_b32 s51, s93
	s_cbranch_execz .LBB32_609
; %bb.608:                              ;   in Loop: Header=BB32_3 Depth=1
	ds_load_b64 v[44:45], v9 offset:19768
	ds_load_b64 v[46:47], v56
	s_wait_dscnt 0x0
	v_fmac_f64_e32 v[0:1], v[44:45], v[46:47]
.LBB32_609:                             ;   in Loop: Header=BB32_3 Depth=1
	s_or_b32 exec_lo, exec_lo, s51
	s_barrier_signal -1
	s_barrier_wait -1
	s_and_saveexec_b32 s51, s93
; %bb.610:                              ;   in Loop: Header=BB32_3 Depth=1
	ds_store_b64 v56, v[0:1]
; %bb.611:                              ;   in Loop: Header=BB32_3 Depth=1
	s_or_b32 exec_lo, exec_lo, s51
	s_wait_dscnt 0x0
	s_barrier_signal -1
	s_barrier_wait -1
	s_barrier_signal -1
	s_barrier_wait -1
	s_and_saveexec_b32 s51, s0
; %bb.612:                              ;   in Loop: Header=BB32_3 Depth=1
	v_xor_b32_e32 v1, 0x80000000, v1
	ds_store_b64 v64, v[0:1] offset:18736
; %bb.613:                              ;   in Loop: Header=BB32_3 Depth=1
	s_or_b32 exec_lo, exec_lo, s51
	s_wait_dscnt 0x0
	s_barrier_signal -1
	s_barrier_wait -1
	s_barrier_signal -1
	s_barrier_wait -1
	s_and_saveexec_b32 s51, s94
	s_cbranch_execz .LBB32_615
; %bb.614:                              ;   in Loop: Header=BB32_3 Depth=1
	ds_load_b64 v[0:1], v51 offset:18736
	s_wait_dscnt 0x0
	ds_store_b64 v50, v[0:1] offset:19744
	ds_load_b64 v[0:1], v51 offset:18744
	s_wait_dscnt 0x0
	ds_store_b64 v50, v[0:1] offset:20256
.LBB32_615:                             ;   in Loop: Header=BB32_3 Depth=1
	s_or_b32 exec_lo, exec_lo, s51
	s_wait_dscnt 0x0
	s_barrier_signal -1
	s_barrier_wait -1
	s_and_saveexec_b32 s51, s10
	s_cbranch_execz .LBB32_617
; %bb.616:                              ;   in Loop: Header=BB32_3 Depth=1
	ds_load_b64 v[0:1], v9 offset:19768
	v_mov_b32_e32 v2, v9
	ds_store_b64 v9, v[30:31] offset:19760
	s_wait_dscnt 0x1
	ds_store_b128 v9, v[0:3] offset:20272
.LBB32_617:                             ;   in Loop: Header=BB32_3 Depth=1
	s_or_b32 exec_lo, exec_lo, s51
	v_mov_b64_e32 v[0:1], 0
	s_wait_dscnt 0x0
	s_barrier_signal -1
	s_barrier_wait -1
	s_and_saveexec_b32 s61, s3
	s_cbranch_execz .LBB32_627
; %bb.618:                              ;   in Loop: Header=BB32_3 Depth=1
	ds_load_b64 v[0:1], v72 offset:16704
	ds_load_b64 v[44:45], v58 offset:16640
	s_wait_dscnt 0x0
	v_fma_f64 v[0:1], v[0:1], v[44:45], 0
	s_and_saveexec_b32 s51, s14
	s_cbranch_execnz .LBB32_1095
; %bb.619:                              ;   in Loop: Header=BB32_3 Depth=1
	s_or_b32 exec_lo, exec_lo, s51
	s_and_saveexec_b32 s51, s15
	s_cbranch_execnz .LBB32_1096
.LBB32_620:                             ;   in Loop: Header=BB32_3 Depth=1
	s_or_b32 exec_lo, exec_lo, s51
	s_and_saveexec_b32 s51, s16
	s_cbranch_execnz .LBB32_1097
.LBB32_621:                             ;   in Loop: Header=BB32_3 Depth=1
	s_or_b32 exec_lo, exec_lo, s51
	s_and_saveexec_b32 s51, s17
	s_cbranch_execnz .LBB32_1098
.LBB32_622:                             ;   in Loop: Header=BB32_3 Depth=1
	s_or_b32 exec_lo, exec_lo, s51
	s_and_saveexec_b32 s51, s18
	s_cbranch_execnz .LBB32_1099
.LBB32_623:                             ;   in Loop: Header=BB32_3 Depth=1
	s_or_b32 exec_lo, exec_lo, s51
	s_and_saveexec_b32 s51, s2
	s_cbranch_execnz .LBB32_1100
.LBB32_624:                             ;   in Loop: Header=BB32_3 Depth=1
	s_or_b32 exec_lo, exec_lo, s51
	s_and_saveexec_b32 s51, s13
	s_cbranch_execz .LBB32_626
.LBB32_625:                             ;   in Loop: Header=BB32_3 Depth=1
	ds_load_b64 v[44:45], v52 offset:20288
	ds_load_b64 v[46:47], v9 offset:16696
	s_wait_dscnt 0x0
	v_fmac_f64_e32 v[0:1], v[44:45], v[46:47]
.LBB32_626:                             ;   in Loop: Header=BB32_3 Depth=1
	s_or_b32 exec_lo, exec_lo, s51
	s_delay_alu instid0(VALU_DEP_1)
	v_xor_b32_e32 v1, 0x80000000, v1
.LBB32_627:                             ;   in Loop: Header=BB32_3 Depth=1
	s_or_b32 exec_lo, exec_lo, s61
	s_and_saveexec_b32 s51, s102
; %bb.628:                              ;   in Loop: Header=BB32_3 Depth=1
	ds_store_b64 v71, v[0:1]
; %bb.629:                              ;   in Loop: Header=BB32_3 Depth=1
	s_or_b32 exec_lo, exec_lo, s51
	s_wait_dscnt 0x0
	s_barrier_signal -1
	s_barrier_wait -1
	s_and_saveexec_b32 s51, s103
	s_cbranch_execz .LBB32_631
; %bb.630:                              ;   in Loop: Header=BB32_3 Depth=1
	ds_load_b64 v[44:45], v67 offset:20800
	ds_load_b64 v[46:47], v71
	s_wait_dscnt 0x0
	v_fmac_f64_e32 v[0:1], v[44:45], v[46:47]
.LBB32_631:                             ;   in Loop: Header=BB32_3 Depth=1
	s_or_b32 exec_lo, exec_lo, s51
	s_barrier_signal -1
	s_barrier_wait -1
	s_and_saveexec_b32 s51, s104
; %bb.632:                              ;   in Loop: Header=BB32_3 Depth=1
	ds_store_b64 v71, v[0:1]
; %bb.633:                              ;   in Loop: Header=BB32_3 Depth=1
	s_or_b32 exec_lo, exec_lo, s51
	s_wait_dscnt 0x0
	s_barrier_signal -1
	s_barrier_wait -1
	s_and_saveexec_b32 s51, vcc_hi
	s_cbranch_execz .LBB32_635
; %bb.634:                              ;   in Loop: Header=BB32_3 Depth=1
	ds_load_b64 v[44:45], v67 offset:21312
	ds_load_b64 v[46:47], v71
	s_wait_dscnt 0x0
	v_fmac_f64_e32 v[0:1], v[44:45], v[46:47]
.LBB32_635:                             ;   in Loop: Header=BB32_3 Depth=1
	s_or_b32 exec_lo, exec_lo, s51
	s_barrier_signal -1
	s_barrier_wait -1
	s_and_saveexec_b32 s51, s31
; %bb.636:                              ;   in Loop: Header=BB32_3 Depth=1
	ds_store_b64 v71, v[0:1]
; %bb.637:                              ;   in Loop: Header=BB32_3 Depth=1
	s_or_b32 exec_lo, exec_lo, s51
	s_wait_dscnt 0x0
	s_barrier_signal -1
	s_barrier_wait -1
	s_and_saveexec_b32 s51, s33
	s_cbranch_execz .LBB32_639
; %bb.638:                              ;   in Loop: Header=BB32_3 Depth=1
	ds_load_b64 v[44:45], v67 offset:21824
	ds_load_b64 v[46:47], v71
	s_wait_dscnt 0x0
	v_fmac_f64_e32 v[0:1], v[44:45], v[46:47]
.LBB32_639:                             ;   in Loop: Header=BB32_3 Depth=1
	s_or_b32 exec_lo, exec_lo, s51
	s_barrier_signal -1
	s_barrier_wait -1
	s_and_saveexec_b32 s51, s34
; %bb.640:                              ;   in Loop: Header=BB32_3 Depth=1
	ds_store_b64 v71, v[0:1]
; %bb.641:                              ;   in Loop: Header=BB32_3 Depth=1
	s_or_b32 exec_lo, exec_lo, s51
	s_wait_dscnt 0x0
	s_barrier_signal -1
	s_barrier_wait -1
	s_and_saveexec_b32 s51, s35
	;; [unrolled: 19-line block ×5, first 2 shown]
	s_cbranch_execz .LBB32_655
; %bb.654:                              ;   in Loop: Header=BB32_3 Depth=1
	ds_load_b64 v[44:45], v9 offset:23928
	ds_load_b64 v[46:47], v71
	s_wait_dscnt 0x0
	v_fmac_f64_e32 v[0:1], v[44:45], v[46:47]
.LBB32_655:                             ;   in Loop: Header=BB32_3 Depth=1
	s_or_b32 exec_lo, exec_lo, s51
	s_barrier_signal -1
	s_barrier_wait -1
	s_and_saveexec_b32 s51, s41
; %bb.656:                              ;   in Loop: Header=BB32_3 Depth=1
	ds_store_b64 v71, v[0:1]
; %bb.657:                              ;   in Loop: Header=BB32_3 Depth=1
	s_or_b32 exec_lo, exec_lo, s51
	s_wait_dscnt 0x0
	s_barrier_signal -1
	s_barrier_wait -1
	s_barrier_signal -1
	s_barrier_wait -1
	s_and_saveexec_b32 s51, s3
; %bb.658:                              ;   in Loop: Header=BB32_3 Depth=1
	v_xor_b32_e32 v1, 0x80000000, v1
	ds_store_b64 v72, v[0:1] offset:16704
; %bb.659:                              ;   in Loop: Header=BB32_3 Depth=1
	s_or_b32 exec_lo, exec_lo, s51
	s_wait_dscnt 0x0
	s_barrier_signal -1
	s_barrier_wait -1
	s_barrier_signal -1
	s_barrier_wait -1
	s_and_saveexec_b32 s51, s42
	s_cbranch_execz .LBB32_661
; %bb.660:                              ;   in Loop: Header=BB32_3 Depth=1
	ds_load_b64 v[0:1], v53 offset:16704
	s_wait_dscnt 0x0
	ds_store_b64 v54, v[0:1] offset:20736
	ds_load_b64 v[0:1], v53 offset:16712
	s_wait_dscnt 0x0
	ds_store_b64 v54, v[0:1] offset:21248
	;; [unrolled: 3-line block ×8, first 2 shown]
.LBB32_661:                             ;   in Loop: Header=BB32_3 Depth=1
	s_or_b32 exec_lo, exec_lo, s51
	s_wait_dscnt 0x0
	s_barrier_signal -1
	s_barrier_wait -1
	s_and_saveexec_b32 s51, s10
	s_cbranch_execz .LBB32_663
; %bb.662:                              ;   in Loop: Header=BB32_3 Depth=1
	ds_load_b64 v[0:1], v9 offset:20808
	v_mov_b32_e32 v2, v9
	ds_store_b64 v9, v[30:31] offset:20800
	s_wait_dscnt 0x1
	ds_store_b128 v9, v[0:3] offset:21312
.LBB32_663:                             ;   in Loop: Header=BB32_3 Depth=1
	s_or_b32 exec_lo, exec_lo, s51
	v_mov_b64_e32 v[0:1], 0
	s_wait_dscnt 0x0
	s_barrier_signal -1
	s_barrier_wait -1
	s_and_saveexec_b32 s51, s0
	s_cbranch_execz .LBB32_667
; %bb.664:                              ;   in Loop: Header=BB32_3 Depth=1
	ds_load_b64 v[0:1], v64 offset:20816
	ds_load_b64 v[44:45], v65 offset:20800
	s_wait_dscnt 0x0
	v_fma_f64 v[0:1], v[0:1], v[44:45], 0
	s_and_saveexec_b32 s52, s11
	s_cbranch_execz .LBB32_666
; %bb.665:                              ;   in Loop: Header=BB32_3 Depth=1
	ds_load_b64 v[44:45], v54 offset:21328
	ds_load_b64 v[46:47], v9 offset:20808
	s_wait_dscnt 0x0
	v_fmac_f64_e32 v[0:1], v[44:45], v[46:47]
.LBB32_666:                             ;   in Loop: Header=BB32_3 Depth=1
	s_or_b32 exec_lo, exec_lo, s52
	s_delay_alu instid0(VALU_DEP_1)
	v_xor_b32_e32 v1, 0x80000000, v1
.LBB32_667:                             ;   in Loop: Header=BB32_3 Depth=1
	s_or_b32 exec_lo, exec_lo, s51
	s_and_saveexec_b32 s51, s92
; %bb.668:                              ;   in Loop: Header=BB32_3 Depth=1
	ds_store_b64 v56, v[0:1]
; %bb.669:                              ;   in Loop: Header=BB32_3 Depth=1
	s_or_b32 exec_lo, exec_lo, s51
	s_wait_dscnt 0x0
	s_barrier_signal -1
	s_barrier_wait -1
	s_and_saveexec_b32 s51, s93
	s_cbranch_execz .LBB32_671
; %bb.670:                              ;   in Loop: Header=BB32_3 Depth=1
	ds_load_b64 v[44:45], v9 offset:21848
	ds_load_b64 v[46:47], v56
	s_wait_dscnt 0x0
	v_fmac_f64_e32 v[0:1], v[44:45], v[46:47]
.LBB32_671:                             ;   in Loop: Header=BB32_3 Depth=1
	s_or_b32 exec_lo, exec_lo, s51
	s_barrier_signal -1
	s_barrier_wait -1
	s_and_saveexec_b32 s51, s93
; %bb.672:                              ;   in Loop: Header=BB32_3 Depth=1
	ds_store_b64 v56, v[0:1]
; %bb.673:                              ;   in Loop: Header=BB32_3 Depth=1
	s_or_b32 exec_lo, exec_lo, s51
	s_wait_dscnt 0x0
	s_barrier_signal -1
	s_barrier_wait -1
	s_barrier_signal -1
	s_barrier_wait -1
	s_and_saveexec_b32 s51, s0
; %bb.674:                              ;   in Loop: Header=BB32_3 Depth=1
	v_xor_b32_e32 v1, 0x80000000, v1
	ds_store_b64 v64, v[0:1] offset:20816
; %bb.675:                              ;   in Loop: Header=BB32_3 Depth=1
	s_or_b32 exec_lo, exec_lo, s51
	s_wait_dscnt 0x0
	s_barrier_signal -1
	s_barrier_wait -1
	s_barrier_signal -1
	s_barrier_wait -1
	s_and_saveexec_b32 s51, s94
	s_cbranch_execz .LBB32_677
; %bb.676:                              ;   in Loop: Header=BB32_3 Depth=1
	ds_load_b64 v[0:1], v57 offset:20816
	s_wait_dscnt 0x0
	ds_store_b64 v54, v[0:1] offset:21824
	ds_load_b64 v[0:1], v57 offset:20824
	s_wait_dscnt 0x0
	ds_store_b64 v54, v[0:1] offset:22336
.LBB32_677:                             ;   in Loop: Header=BB32_3 Depth=1
	s_or_b32 exec_lo, exec_lo, s51
	s_wait_dscnt 0x0
	s_barrier_signal -1
	s_barrier_wait -1
	s_and_saveexec_b32 s51, s10
	s_cbranch_execz .LBB32_679
; %bb.678:                              ;   in Loop: Header=BB32_3 Depth=1
	ds_load_b64 v[0:1], v9 offset:21848
	v_mov_b32_e32 v2, v9
	ds_store_b64 v9, v[30:31] offset:21840
	s_wait_dscnt 0x1
	ds_store_b128 v9, v[0:3] offset:22352
.LBB32_679:                             ;   in Loop: Header=BB32_3 Depth=1
	s_or_b32 exec_lo, exec_lo, s51
	v_mov_b64_e32 v[0:1], 0
	s_wait_dscnt 0x0
	s_barrier_signal -1
	s_barrier_wait -1
	s_and_saveexec_b32 s61, s2
	s_cbranch_execz .LBB32_685
; %bb.680:                              ;   in Loop: Header=BB32_3 Depth=1
	ds_load_b64 v[0:1], v68 offset:20832
	ds_load_b64 v[44:45], v55 offset:20800
	s_wait_dscnt 0x0
	v_fma_f64 v[0:1], v[0:1], v[44:45], 0
	s_and_saveexec_b32 s51, s12
	s_cbranch_execnz .LBB32_1101
; %bb.681:                              ;   in Loop: Header=BB32_3 Depth=1
	s_or_b32 exec_lo, exec_lo, s51
	s_and_saveexec_b32 s51, s13
	s_cbranch_execnz .LBB32_1102
.LBB32_682:                             ;   in Loop: Header=BB32_3 Depth=1
	s_or_b32 exec_lo, exec_lo, s51
	s_and_saveexec_b32 s51, s0
	s_cbranch_execz .LBB32_684
.LBB32_683:                             ;   in Loop: Header=BB32_3 Depth=1
	ds_load_b64 v[44:45], v59 offset:22368
	ds_load_b64 v[46:47], v9 offset:20824
	s_wait_dscnt 0x0
	v_fmac_f64_e32 v[0:1], v[44:45], v[46:47]
.LBB32_684:                             ;   in Loop: Header=BB32_3 Depth=1
	s_or_b32 exec_lo, exec_lo, s51
	s_delay_alu instid0(VALU_DEP_1)
	v_xor_b32_e32 v1, 0x80000000, v1
.LBB32_685:                             ;   in Loop: Header=BB32_3 Depth=1
	s_or_b32 exec_lo, exec_lo, s61
	s_and_saveexec_b32 s51, s95
; %bb.686:                              ;   in Loop: Header=BB32_3 Depth=1
	ds_store_b64 v66, v[0:1]
; %bb.687:                              ;   in Loop: Header=BB32_3 Depth=1
	s_or_b32 exec_lo, exec_lo, s51
	s_wait_dscnt 0x0
	s_barrier_signal -1
	s_barrier_wait -1
	s_and_saveexec_b32 s51, s96
	s_cbranch_execz .LBB32_689
; %bb.688:                              ;   in Loop: Header=BB32_3 Depth=1
	ds_load_b64 v[44:45], v63 offset:22880
	ds_load_b64 v[46:47], v66
	s_wait_dscnt 0x0
	v_fmac_f64_e32 v[0:1], v[44:45], v[46:47]
.LBB32_689:                             ;   in Loop: Header=BB32_3 Depth=1
	s_or_b32 exec_lo, exec_lo, s51
	s_barrier_signal -1
	s_barrier_wait -1
	s_and_saveexec_b32 s51, s97
; %bb.690:                              ;   in Loop: Header=BB32_3 Depth=1
	ds_store_b64 v66, v[0:1]
; %bb.691:                              ;   in Loop: Header=BB32_3 Depth=1
	s_or_b32 exec_lo, exec_lo, s51
	s_wait_dscnt 0x0
	s_barrier_signal -1
	s_barrier_wait -1
	s_and_saveexec_b32 s51, s98
	s_cbranch_execz .LBB32_693
; %bb.692:                              ;   in Loop: Header=BB32_3 Depth=1
	ds_load_b64 v[44:45], v63 offset:23392
	ds_load_b64 v[46:47], v66
	s_wait_dscnt 0x0
	v_fmac_f64_e32 v[0:1], v[44:45], v[46:47]
.LBB32_693:                             ;   in Loop: Header=BB32_3 Depth=1
	s_or_b32 exec_lo, exec_lo, s51
	s_barrier_signal -1
	s_barrier_wait -1
	;; [unrolled: 19-line block ×3, first 2 shown]
	s_and_saveexec_b32 s51, s100
; %bb.698:                              ;   in Loop: Header=BB32_3 Depth=1
	ds_store_b64 v66, v[0:1]
; %bb.699:                              ;   in Loop: Header=BB32_3 Depth=1
	s_or_b32 exec_lo, exec_lo, s51
	s_wait_dscnt 0x0
	s_barrier_signal -1
	s_barrier_wait -1
	s_barrier_signal -1
	s_barrier_wait -1
	s_and_saveexec_b32 s51, s2
; %bb.700:                              ;   in Loop: Header=BB32_3 Depth=1
	v_xor_b32_e32 v1, 0x80000000, v1
	ds_store_b64 v68, v[0:1] offset:20832
; %bb.701:                              ;   in Loop: Header=BB32_3 Depth=1
	s_or_b32 exec_lo, exec_lo, s51
	s_wait_dscnt 0x0
	s_barrier_signal -1
	s_barrier_wait -1
	s_barrier_signal -1
	s_barrier_wait -1
	s_and_saveexec_b32 s51, s101
	s_cbranch_execz .LBB32_703
; %bb.702:                              ;   in Loop: Header=BB32_3 Depth=1
	ds_load_b64 v[0:1], v61 offset:20832
	s_wait_dscnt 0x0
	ds_store_b64 v79, v[0:1] offset:22848
	ds_load_b64 v[0:1], v61 offset:20840
	s_wait_dscnt 0x0
	ds_store_b64 v79, v[0:1] offset:23360
	;; [unrolled: 3-line block ×4, first 2 shown]
.LBB32_703:                             ;   in Loop: Header=BB32_3 Depth=1
	s_or_b32 exec_lo, exec_lo, s51
	s_wait_dscnt 0x0
	s_barrier_signal -1
	s_barrier_wait -1
	s_and_saveexec_b32 s51, s10
	s_cbranch_execz .LBB32_705
; %bb.704:                              ;   in Loop: Header=BB32_3 Depth=1
	ds_load_b64 v[0:1], v9 offset:22888
	v_mov_b32_e32 v2, v9
	ds_store_b64 v9, v[30:31] offset:22880
	s_wait_dscnt 0x1
	ds_store_b128 v9, v[0:3] offset:23392
.LBB32_705:                             ;   in Loop: Header=BB32_3 Depth=1
	s_or_b32 exec_lo, exec_lo, s51
	v_mov_b64_e32 v[0:1], 0
	s_wait_dscnt 0x0
	s_barrier_signal -1
	s_barrier_wait -1
	s_and_saveexec_b32 s51, s0
	s_cbranch_execz .LBB32_709
; %bb.706:                              ;   in Loop: Header=BB32_3 Depth=1
	ds_load_b64 v[0:1], v64 offset:22896
	ds_load_b64 v[44:45], v65 offset:22880
	s_wait_dscnt 0x0
	v_fma_f64 v[0:1], v[0:1], v[44:45], 0
	s_and_saveexec_b32 s52, s11
	s_cbranch_execz .LBB32_708
; %bb.707:                              ;   in Loop: Header=BB32_3 Depth=1
	ds_load_b64 v[44:45], v79 offset:23408
	ds_load_b64 v[46:47], v9 offset:22888
	s_wait_dscnt 0x0
	v_fmac_f64_e32 v[0:1], v[44:45], v[46:47]
.LBB32_708:                             ;   in Loop: Header=BB32_3 Depth=1
	s_or_b32 exec_lo, exec_lo, s52
	s_delay_alu instid0(VALU_DEP_1)
	v_xor_b32_e32 v1, 0x80000000, v1
.LBB32_709:                             ;   in Loop: Header=BB32_3 Depth=1
	s_or_b32 exec_lo, exec_lo, s51
	s_and_saveexec_b32 s51, s92
; %bb.710:                              ;   in Loop: Header=BB32_3 Depth=1
	ds_store_b64 v56, v[0:1]
; %bb.711:                              ;   in Loop: Header=BB32_3 Depth=1
	s_or_b32 exec_lo, exec_lo, s51
	s_wait_dscnt 0x0
	s_barrier_signal -1
	s_barrier_wait -1
	s_and_saveexec_b32 s51, s93
	s_cbranch_execz .LBB32_713
; %bb.712:                              ;   in Loop: Header=BB32_3 Depth=1
	ds_load_b64 v[44:45], v9 offset:23928
	ds_load_b64 v[46:47], v56
	s_wait_dscnt 0x0
	v_fmac_f64_e32 v[0:1], v[44:45], v[46:47]
.LBB32_713:                             ;   in Loop: Header=BB32_3 Depth=1
	s_or_b32 exec_lo, exec_lo, s51
	s_barrier_signal -1
	s_barrier_wait -1
	s_and_saveexec_b32 s51, s93
; %bb.714:                              ;   in Loop: Header=BB32_3 Depth=1
	ds_store_b64 v56, v[0:1]
; %bb.715:                              ;   in Loop: Header=BB32_3 Depth=1
	s_or_b32 exec_lo, exec_lo, s51
	s_wait_dscnt 0x0
	s_barrier_signal -1
	s_barrier_wait -1
	s_barrier_signal -1
	s_barrier_wait -1
	s_and_saveexec_b32 s51, s0
; %bb.716:                              ;   in Loop: Header=BB32_3 Depth=1
	v_xor_b32_e32 v1, 0x80000000, v1
	ds_store_b64 v64, v[0:1] offset:22896
; %bb.717:                              ;   in Loop: Header=BB32_3 Depth=1
	s_or_b32 exec_lo, exec_lo, s51
	s_wait_dscnt 0x0
	s_barrier_signal -1
	s_barrier_wait -1
	s_barrier_signal -1
	s_barrier_wait -1
	s_and_saveexec_b32 s51, s94
	s_cbranch_execz .LBB32_719
; %bb.718:                              ;   in Loop: Header=BB32_3 Depth=1
	ds_load_b64 v[0:1], v80 offset:22896
	s_wait_dscnt 0x0
	ds_store_b64 v79, v[0:1] offset:23904
	ds_load_b64 v[0:1], v80 offset:22904
	s_wait_dscnt 0x0
	ds_store_b64 v79, v[0:1] offset:24416
.LBB32_719:                             ;   in Loop: Header=BB32_3 Depth=1
	s_or_b32 exec_lo, exec_lo, s51
	s_wait_dscnt 0x0
	s_barrier_signal -1
	s_barrier_wait -1
	s_and_saveexec_b32 s51, s10
	s_cbranch_execz .LBB32_721
; %bb.720:                              ;   in Loop: Header=BB32_3 Depth=1
	ds_load_b64 v[0:1], v9 offset:23928
	v_mov_b32_e32 v2, v9
	ds_store_b64 v9, v[30:31] offset:23920
	s_wait_dscnt 0x1
	ds_store_b128 v9, v[0:3] offset:24432
.LBB32_721:                             ;   in Loop: Header=BB32_3 Depth=1
	s_or_b32 exec_lo, exec_lo, s51
	v_mov_b64_e32 v[0:1], 0
	s_wait_dscnt 0x0
	s_barrier_signal -1
	s_barrier_wait -1
	s_and_saveexec_b32 s82, s4
	s_cbranch_execz .LBB32_749
; %bb.722:                              ;   in Loop: Header=BB32_3 Depth=1
	ds_load_b64 v[0:1], v75 offset:16768
	ds_load_b64 v[44:45], v60 offset:16640
	s_wait_dscnt 0x0
	v_fma_f64 v[0:1], v[0:1], v[44:45], 0
	s_mov_b32 s51, exec_lo
	v_readlane_b32 s52, v102, 23
	s_and_b32 s52, s51, s52
	s_delay_alu instid0(SALU_CYCLE_1)
	s_mov_b32 exec_lo, s52
	s_cbranch_execz .LBB32_724
; %bb.723:                              ;   in Loop: Header=BB32_3 Depth=1
	ds_load_b64 v[44:45], v76 offset:17280
	ds_load_b64 v[46:47], v60 offset:16648
	s_wait_dscnt 0x0
	v_fmac_f64_e32 v[0:1], v[44:45], v[46:47]
.LBB32_724:                             ;   in Loop: Header=BB32_3 Depth=1
	s_or_b32 exec_lo, exec_lo, s51
	s_delay_alu instid0(SALU_CYCLE_1) | instskip(SKIP_2) | instid1(SALU_CYCLE_1)
	s_mov_b32 s51, exec_lo
	v_readlane_b32 s52, v102, 24
	s_and_b32 s52, s51, s52
	s_mov_b32 exec_lo, s52
	s_cbranch_execz .LBB32_726
; %bb.725:                              ;   in Loop: Header=BB32_3 Depth=1
	ds_load_b64 v[44:45], v76 offset:17792
	ds_load_b64 v[46:47], v60 offset:16656
	s_wait_dscnt 0x0
	v_fmac_f64_e32 v[0:1], v[44:45], v[46:47]
.LBB32_726:                             ;   in Loop: Header=BB32_3 Depth=1
	s_or_b32 exec_lo, exec_lo, s51
	s_delay_alu instid0(SALU_CYCLE_1) | instskip(SKIP_2) | instid1(SALU_CYCLE_1)
	s_mov_b32 s51, exec_lo
	v_readlane_b32 s52, v102, 25
	s_and_b32 s52, s51, s52
	;; [unrolled: 13-line block ×10, first 2 shown]
	s_mov_b32 exec_lo, s52
	s_cbranch_execnz .LBB32_1103
; %bb.743:                              ;   in Loop: Header=BB32_3 Depth=1
	s_or_b32 exec_lo, exec_lo, s51
	s_and_saveexec_b32 s51, s3
	s_cbranch_execnz .LBB32_1104
.LBB32_744:                             ;   in Loop: Header=BB32_3 Depth=1
	s_or_b32 exec_lo, exec_lo, s51
	s_and_saveexec_b32 s51, s15
	s_cbranch_execnz .LBB32_1105
.LBB32_745:                             ;   in Loop: Header=BB32_3 Depth=1
	s_or_b32 exec_lo, exec_lo, s51
	s_and_saveexec_b32 s51, s17
	s_cbranch_execnz .LBB32_1106
.LBB32_746:                             ;   in Loop: Header=BB32_3 Depth=1
	s_or_b32 exec_lo, exec_lo, s51
	s_and_saveexec_b32 s51, s2
	s_cbranch_execz .LBB32_748
.LBB32_747:                             ;   in Loop: Header=BB32_3 Depth=1
	ds_load_b64 v[44:45], v7 offset:24448
	ds_load_b64 v[46:47], v9 offset:16760
	s_wait_dscnt 0x0
	v_fmac_f64_e32 v[0:1], v[44:45], v[46:47]
.LBB32_748:                             ;   in Loop: Header=BB32_3 Depth=1
	s_or_b32 exec_lo, exec_lo, s51
	s_delay_alu instid0(VALU_DEP_1)
	v_xor_b32_e32 v1, 0x80000000, v1
.LBB32_749:                             ;   in Loop: Header=BB32_3 Depth=1
	s_or_b32 exec_lo, exec_lo, s82
	s_delay_alu instid0(SALU_CYCLE_1) | instskip(SKIP_2) | instid1(SALU_CYCLE_1)
	s_mov_b32 s51, exec_lo
	v_readlane_b32 s52, v102, 2
	s_and_b32 s52, s51, s52
	s_mov_b32 exec_lo, s52
; %bb.750:                              ;   in Loop: Header=BB32_3 Depth=1
	ds_store_b64 v74, v[0:1]
; %bb.751:                              ;   in Loop: Header=BB32_3 Depth=1
	s_or_b32 exec_lo, exec_lo, s51
	s_wait_dscnt 0x0
	s_barrier_signal -1
	s_barrier_wait -1
	s_mov_b32 s51, exec_lo
	v_readlane_b32 s52, v102, 3
	s_and_b32 s52, s51, s52
	s_delay_alu instid0(SALU_CYCLE_1)
	s_mov_b32 exec_lo, s52
	s_cbranch_execz .LBB32_753
; %bb.752:                              ;   in Loop: Header=BB32_3 Depth=1
	ds_load_b64 v[44:45], v70 offset:24960
	ds_load_b64 v[46:47], v74
	s_wait_dscnt 0x0
	v_fmac_f64_e32 v[0:1], v[44:45], v[46:47]
.LBB32_753:                             ;   in Loop: Header=BB32_3 Depth=1
	s_or_b32 exec_lo, exec_lo, s51
	s_barrier_signal -1
	s_barrier_wait -1
	s_mov_b32 s51, exec_lo
	v_readlane_b32 s52, v102, 4
	s_and_b32 s52, s51, s52
	s_delay_alu instid0(SALU_CYCLE_1)
	s_mov_b32 exec_lo, s52
; %bb.754:                              ;   in Loop: Header=BB32_3 Depth=1
	ds_store_b64 v74, v[0:1]
; %bb.755:                              ;   in Loop: Header=BB32_3 Depth=1
	s_or_b32 exec_lo, exec_lo, s51
	s_wait_dscnt 0x0
	s_barrier_signal -1
	s_barrier_wait -1
	s_mov_b32 s51, exec_lo
	v_readlane_b32 s52, v102, 5
	s_and_b32 s52, s51, s52
	s_delay_alu instid0(SALU_CYCLE_1)
	s_mov_b32 exec_lo, s52
	s_cbranch_execz .LBB32_757
; %bb.756:                              ;   in Loop: Header=BB32_3 Depth=1
	ds_load_b64 v[44:45], v70 offset:25472
	ds_load_b64 v[46:47], v74
	s_wait_dscnt 0x0
	v_fmac_f64_e32 v[0:1], v[44:45], v[46:47]
.LBB32_757:                             ;   in Loop: Header=BB32_3 Depth=1
	s_or_b32 exec_lo, exec_lo, s51
	s_barrier_signal -1
	s_barrier_wait -1
	s_mov_b32 s51, exec_lo
	v_readlane_b32 s52, v102, 6
	s_and_b32 s52, s51, s52
	s_delay_alu instid0(SALU_CYCLE_1)
	;; [unrolled: 27-line block ×5, first 2 shown]
	s_mov_b32 exec_lo, s52
; %bb.770:                              ;   in Loop: Header=BB32_3 Depth=1
	ds_store_b64 v74, v[0:1]
; %bb.771:                              ;   in Loop: Header=BB32_3 Depth=1
	s_or_b32 exec_lo, exec_lo, s51
	s_wait_dscnt 0x0
	s_barrier_signal -1
	s_barrier_wait -1
	s_and_saveexec_b32 s51, s54
	s_cbranch_execz .LBB32_773
; %bb.772:                              ;   in Loop: Header=BB32_3 Depth=1
	ds_load_b64 v[44:45], v70 offset:27520
	ds_load_b64 v[46:47], v74
	s_wait_dscnt 0x0
	v_fmac_f64_e32 v[0:1], v[44:45], v[46:47]
.LBB32_773:                             ;   in Loop: Header=BB32_3 Depth=1
	s_or_b32 exec_lo, exec_lo, s51
	s_barrier_signal -1
	s_barrier_wait -1
	s_and_saveexec_b32 s51, s19
; %bb.774:                              ;   in Loop: Header=BB32_3 Depth=1
	ds_store_b64 v74, v[0:1]
; %bb.775:                              ;   in Loop: Header=BB32_3 Depth=1
	s_or_b32 exec_lo, exec_lo, s51
	s_wait_dscnt 0x0
	s_barrier_signal -1
	s_barrier_wait -1
	s_and_saveexec_b32 s51, s21
	s_cbranch_execz .LBB32_777
; %bb.776:                              ;   in Loop: Header=BB32_3 Depth=1
	ds_load_b64 v[44:45], v70 offset:28032
	ds_load_b64 v[46:47], v74
	s_wait_dscnt 0x0
	v_fmac_f64_e32 v[0:1], v[44:45], v[46:47]
.LBB32_777:                             ;   in Loop: Header=BB32_3 Depth=1
	s_or_b32 exec_lo, exec_lo, s51
	s_barrier_signal -1
	s_barrier_wait -1
	s_and_saveexec_b32 s51, s23
; %bb.778:                              ;   in Loop: Header=BB32_3 Depth=1
	ds_store_b64 v74, v[0:1]
; %bb.779:                              ;   in Loop: Header=BB32_3 Depth=1
	s_or_b32 exec_lo, exec_lo, s51
	s_wait_dscnt 0x0
	s_barrier_signal -1
	s_barrier_wait -1
	s_and_saveexec_b32 s51, s25
	s_cbranch_execz .LBB32_781
; %bb.780:                              ;   in Loop: Header=BB32_3 Depth=1
	ds_load_b64 v[44:45], v70 offset:28544
	ds_load_b64 v[46:47], v74
	s_wait_dscnt 0x0
	v_fmac_f64_e32 v[0:1], v[44:45], v[46:47]
.LBB32_781:                             ;   in Loop: Header=BB32_3 Depth=1
	s_or_b32 exec_lo, exec_lo, s51
	s_barrier_signal -1
	s_barrier_wait -1
	s_and_saveexec_b32 s51, s27
; %bb.782:                              ;   in Loop: Header=BB32_3 Depth=1
	ds_store_b64 v74, v[0:1]
; %bb.783:                              ;   in Loop: Header=BB32_3 Depth=1
	s_or_b32 exec_lo, exec_lo, s51
	s_wait_dscnt 0x0
	s_barrier_signal -1
	s_barrier_wait -1
	s_and_saveexec_b32 s51, s29
	s_cbranch_execz .LBB32_785
; %bb.784:                              ;   in Loop: Header=BB32_3 Depth=1
	ds_load_b64 v[44:45], v70 offset:29056
	ds_load_b64 v[46:47], v74
	s_wait_dscnt 0x0
	v_fmac_f64_e32 v[0:1], v[44:45], v[46:47]
.LBB32_785:                             ;   in Loop: Header=BB32_3 Depth=1
	s_or_b32 exec_lo, exec_lo, s51
	s_barrier_signal -1
	s_barrier_wait -1
	s_and_saveexec_b32 s51, s58
; %bb.786:                              ;   in Loop: Header=BB32_3 Depth=1
	ds_store_b64 v74, v[0:1]
; %bb.787:                              ;   in Loop: Header=BB32_3 Depth=1
	s_or_b32 exec_lo, exec_lo, s51
	s_wait_dscnt 0x0
	s_barrier_signal -1
	s_barrier_wait -1
	s_and_saveexec_b32 s51, s59
	s_cbranch_execz .LBB32_789
; %bb.788:                              ;   in Loop: Header=BB32_3 Depth=1
	ds_load_b64 v[44:45], v70 offset:29568
	ds_load_b64 v[46:47], v74
	s_wait_dscnt 0x0
	v_fmac_f64_e32 v[0:1], v[44:45], v[46:47]
.LBB32_789:                             ;   in Loop: Header=BB32_3 Depth=1
	s_or_b32 exec_lo, exec_lo, s51
	s_barrier_signal -1
	s_barrier_wait -1
	s_and_saveexec_b32 s51, s20
; %bb.790:                              ;   in Loop: Header=BB32_3 Depth=1
	ds_store_b64 v74, v[0:1]
; %bb.791:                              ;   in Loop: Header=BB32_3 Depth=1
	s_or_b32 exec_lo, exec_lo, s51
	s_wait_dscnt 0x0
	s_barrier_signal -1
	s_barrier_wait -1
	s_and_saveexec_b32 s51, s22
	s_cbranch_execz .LBB32_793
; %bb.792:                              ;   in Loop: Header=BB32_3 Depth=1
	ds_load_b64 v[44:45], v70 offset:30080
	ds_load_b64 v[46:47], v74
	s_wait_dscnt 0x0
	v_fmac_f64_e32 v[0:1], v[44:45], v[46:47]
.LBB32_793:                             ;   in Loop: Header=BB32_3 Depth=1
	s_or_b32 exec_lo, exec_lo, s51
	s_barrier_signal -1
	s_barrier_wait -1
	s_and_saveexec_b32 s51, s24
; %bb.794:                              ;   in Loop: Header=BB32_3 Depth=1
	ds_store_b64 v74, v[0:1]
; %bb.795:                              ;   in Loop: Header=BB32_3 Depth=1
	s_or_b32 exec_lo, exec_lo, s51
	s_wait_dscnt 0x0
	s_barrier_signal -1
	s_barrier_wait -1
	s_and_saveexec_b32 s51, s26
	s_cbranch_execz .LBB32_797
; %bb.796:                              ;   in Loop: Header=BB32_3 Depth=1
	ds_load_b64 v[44:45], v70 offset:30592
	ds_load_b64 v[46:47], v74
	s_wait_dscnt 0x0
	v_fmac_f64_e32 v[0:1], v[44:45], v[46:47]
.LBB32_797:                             ;   in Loop: Header=BB32_3 Depth=1
	s_or_b32 exec_lo, exec_lo, s51
	s_barrier_signal -1
	s_barrier_wait -1
	s_and_saveexec_b32 s51, s28
; %bb.798:                              ;   in Loop: Header=BB32_3 Depth=1
	ds_store_b64 v74, v[0:1]
; %bb.799:                              ;   in Loop: Header=BB32_3 Depth=1
	s_or_b32 exec_lo, exec_lo, s51
	s_wait_dscnt 0x0
	s_barrier_signal -1
	s_barrier_wait -1
	s_and_saveexec_b32 s51, s90
	s_cbranch_execz .LBB32_801
; %bb.800:                              ;   in Loop: Header=BB32_3 Depth=1
	ds_load_b64 v[44:45], v70 offset:31104
	ds_load_b64 v[46:47], v74
	s_wait_dscnt 0x0
	v_fmac_f64_e32 v[0:1], v[44:45], v[46:47]
.LBB32_801:                             ;   in Loop: Header=BB32_3 Depth=1
	s_or_b32 exec_lo, exec_lo, s51
	s_barrier_signal -1
	s_barrier_wait -1
	s_and_saveexec_b32 s51, s43
; %bb.802:                              ;   in Loop: Header=BB32_3 Depth=1
	ds_store_b64 v74, v[0:1]
; %bb.803:                              ;   in Loop: Header=BB32_3 Depth=1
	s_or_b32 exec_lo, exec_lo, s51
	s_wait_dscnt 0x0
	s_barrier_signal -1
	s_barrier_wait -1
	s_and_saveexec_b32 s51, s44
	s_cbranch_execz .LBB32_805
; %bb.804:                              ;   in Loop: Header=BB32_3 Depth=1
	ds_load_b64 v[44:45], v70 offset:31616
	ds_load_b64 v[46:47], v74
	s_wait_dscnt 0x0
	v_fmac_f64_e32 v[0:1], v[44:45], v[46:47]
.LBB32_805:                             ;   in Loop: Header=BB32_3 Depth=1
	s_or_b32 exec_lo, exec_lo, s51
	s_barrier_signal -1
	s_barrier_wait -1
	s_and_saveexec_b32 s51, s45
; %bb.806:                              ;   in Loop: Header=BB32_3 Depth=1
	ds_store_b64 v74, v[0:1]
; %bb.807:                              ;   in Loop: Header=BB32_3 Depth=1
	s_or_b32 exec_lo, exec_lo, s51
	s_wait_dscnt 0x0
	s_barrier_signal -1
	s_barrier_wait -1
	s_and_saveexec_b32 s51, s46
	s_cbranch_execz .LBB32_809
; %bb.808:                              ;   in Loop: Header=BB32_3 Depth=1
	ds_load_b64 v[44:45], v9 offset:32248
	ds_load_b64 v[46:47], v74
	s_wait_dscnt 0x0
	v_fmac_f64_e32 v[0:1], v[44:45], v[46:47]
.LBB32_809:                             ;   in Loop: Header=BB32_3 Depth=1
	s_or_b32 exec_lo, exec_lo, s51
	s_barrier_signal -1
	s_barrier_wait -1
	s_and_saveexec_b32 s51, s46
; %bb.810:                              ;   in Loop: Header=BB32_3 Depth=1
	ds_store_b64 v74, v[0:1]
; %bb.811:                              ;   in Loop: Header=BB32_3 Depth=1
	s_or_b32 exec_lo, exec_lo, s51
	s_wait_dscnt 0x0
	s_barrier_signal -1
	s_barrier_wait -1
	s_barrier_signal -1
	s_barrier_wait -1
	s_and_saveexec_b32 s51, s4
; %bb.812:                              ;   in Loop: Header=BB32_3 Depth=1
	v_xor_b32_e32 v1, 0x80000000, v1
	ds_store_b64 v75, v[0:1] offset:16768
; %bb.813:                              ;   in Loop: Header=BB32_3 Depth=1
	s_or_b32 exec_lo, exec_lo, s51
	s_wait_dscnt 0x0
	s_barrier_signal -1
	s_barrier_wait -1
	s_barrier_signal -1
	s_barrier_wait -1
	s_and_saveexec_b32 s51, s48
	s_cbranch_execz .LBB32_815
; %bb.814:                              ;   in Loop: Header=BB32_3 Depth=1
	ds_load_b64 v[0:1], v11 offset:16768
	s_wait_dscnt 0x0
	ds_store_b64 v48, v[0:1] offset:24832
	ds_load_b64 v[0:1], v11 offset:16776
	s_wait_dscnt 0x0
	ds_store_b64 v48, v[0:1] offset:25344
	;; [unrolled: 3-line block ×16, first 2 shown]
.LBB32_815:                             ;   in Loop: Header=BB32_3 Depth=1
	s_or_b32 exec_lo, exec_lo, s51
	s_wait_dscnt 0x0
	s_barrier_signal -1
	s_barrier_wait -1
	s_and_saveexec_b32 s51, s10
	s_cbranch_execz .LBB32_817
; %bb.816:                              ;   in Loop: Header=BB32_3 Depth=1
	ds_load_b64 v[0:1], v9 offset:24968
	v_mov_b32_e32 v2, v9
	ds_store_b64 v9, v[30:31] offset:24960
	s_wait_dscnt 0x1
	ds_store_b128 v9, v[0:3] offset:25472
.LBB32_817:                             ;   in Loop: Header=BB32_3 Depth=1
	s_or_b32 exec_lo, exec_lo, s51
	v_mov_b64_e32 v[0:1], 0
	s_wait_dscnt 0x0
	s_barrier_signal -1
	s_barrier_wait -1
	s_and_saveexec_b32 s51, s0
	s_cbranch_execz .LBB32_821
; %bb.818:                              ;   in Loop: Header=BB32_3 Depth=1
	ds_load_b64 v[0:1], v64 offset:24976
	ds_load_b64 v[44:45], v65 offset:24960
	s_wait_dscnt 0x0
	v_fma_f64 v[0:1], v[0:1], v[44:45], 0
	s_and_saveexec_b32 s52, s11
	s_cbranch_execz .LBB32_820
; %bb.819:                              ;   in Loop: Header=BB32_3 Depth=1
	ds_load_b64 v[44:45], v7 offset:25488
	ds_load_b64 v[46:47], v9 offset:24968
	s_wait_dscnt 0x0
	v_fmac_f64_e32 v[0:1], v[44:45], v[46:47]
.LBB32_820:                             ;   in Loop: Header=BB32_3 Depth=1
	s_or_b32 exec_lo, exec_lo, s52
	s_delay_alu instid0(VALU_DEP_1)
	v_xor_b32_e32 v1, 0x80000000, v1
.LBB32_821:                             ;   in Loop: Header=BB32_3 Depth=1
	s_or_b32 exec_lo, exec_lo, s51
	s_and_saveexec_b32 s51, s92
; %bb.822:                              ;   in Loop: Header=BB32_3 Depth=1
	ds_store_b64 v56, v[0:1]
; %bb.823:                              ;   in Loop: Header=BB32_3 Depth=1
	s_or_b32 exec_lo, exec_lo, s51
	s_wait_dscnt 0x0
	s_barrier_signal -1
	s_barrier_wait -1
	s_and_saveexec_b32 s51, s93
	s_cbranch_execz .LBB32_825
; %bb.824:                              ;   in Loop: Header=BB32_3 Depth=1
	ds_load_b64 v[44:45], v9 offset:26008
	ds_load_b64 v[46:47], v56
	s_wait_dscnt 0x0
	v_fmac_f64_e32 v[0:1], v[44:45], v[46:47]
.LBB32_825:                             ;   in Loop: Header=BB32_3 Depth=1
	s_or_b32 exec_lo, exec_lo, s51
	s_barrier_signal -1
	s_barrier_wait -1
	s_and_saveexec_b32 s51, s93
; %bb.826:                              ;   in Loop: Header=BB32_3 Depth=1
	ds_store_b64 v56, v[0:1]
; %bb.827:                              ;   in Loop: Header=BB32_3 Depth=1
	s_or_b32 exec_lo, exec_lo, s51
	s_wait_dscnt 0x0
	s_barrier_signal -1
	s_barrier_wait -1
	s_barrier_signal -1
	s_barrier_wait -1
	s_and_saveexec_b32 s51, s0
; %bb.828:                              ;   in Loop: Header=BB32_3 Depth=1
	v_xor_b32_e32 v1, 0x80000000, v1
	ds_store_b64 v64, v[0:1] offset:24976
; %bb.829:                              ;   in Loop: Header=BB32_3 Depth=1
	s_or_b32 exec_lo, exec_lo, s51
	s_wait_dscnt 0x0
	s_barrier_signal -1
	s_barrier_wait -1
	s_barrier_signal -1
	s_barrier_wait -1
	s_and_saveexec_b32 s51, s94
	s_cbranch_execz .LBB32_831
; %bb.830:                              ;   in Loop: Header=BB32_3 Depth=1
	ds_load_b64 v[0:1], v11 offset:24976
	s_wait_dscnt 0x0
	ds_store_b64 v7, v[0:1] offset:25984
	ds_load_b64 v[0:1], v11 offset:24984
	s_wait_dscnt 0x0
	ds_store_b64 v7, v[0:1] offset:26496
.LBB32_831:                             ;   in Loop: Header=BB32_3 Depth=1
	s_or_b32 exec_lo, exec_lo, s51
	s_wait_dscnt 0x0
	s_barrier_signal -1
	s_barrier_wait -1
	s_and_saveexec_b32 s51, s10
	s_cbranch_execz .LBB32_833
; %bb.832:                              ;   in Loop: Header=BB32_3 Depth=1
	ds_load_b64 v[0:1], v9 offset:26008
	v_mov_b32_e32 v2, v9
	ds_store_b64 v9, v[30:31] offset:26000
	s_wait_dscnt 0x1
	ds_store_b128 v9, v[0:3] offset:26512
.LBB32_833:                             ;   in Loop: Header=BB32_3 Depth=1
	s_or_b32 exec_lo, exec_lo, s51
	v_mov_b64_e32 v[0:1], 0
	s_wait_dscnt 0x0
	s_barrier_signal -1
	s_barrier_wait -1
	s_and_saveexec_b32 s61, s2
	s_cbranch_execz .LBB32_839
; %bb.834:                              ;   in Loop: Header=BB32_3 Depth=1
	ds_load_b64 v[0:1], v68 offset:24992
	ds_load_b64 v[44:45], v55 offset:24960
	s_wait_dscnt 0x0
	v_fma_f64 v[0:1], v[0:1], v[44:45], 0
	s_and_saveexec_b32 s51, s12
	s_cbranch_execnz .LBB32_1107
; %bb.835:                              ;   in Loop: Header=BB32_3 Depth=1
	s_or_b32 exec_lo, exec_lo, s51
	s_and_saveexec_b32 s51, s13
	s_cbranch_execnz .LBB32_1108
.LBB32_836:                             ;   in Loop: Header=BB32_3 Depth=1
	s_or_b32 exec_lo, exec_lo, s51
	s_and_saveexec_b32 s51, s0
	s_cbranch_execz .LBB32_838
.LBB32_837:                             ;   in Loop: Header=BB32_3 Depth=1
	ds_load_b64 v[44:45], v48 offset:26528
	ds_load_b64 v[46:47], v9 offset:24984
	s_wait_dscnt 0x0
	v_fmac_f64_e32 v[0:1], v[44:45], v[46:47]
.LBB32_838:                             ;   in Loop: Header=BB32_3 Depth=1
	s_or_b32 exec_lo, exec_lo, s51
	s_delay_alu instid0(VALU_DEP_1)
	v_xor_b32_e32 v1, 0x80000000, v1
.LBB32_839:                             ;   in Loop: Header=BB32_3 Depth=1
	s_or_b32 exec_lo, exec_lo, s61
	s_and_saveexec_b32 s51, s95
; %bb.840:                              ;   in Loop: Header=BB32_3 Depth=1
	ds_store_b64 v66, v[0:1]
; %bb.841:                              ;   in Loop: Header=BB32_3 Depth=1
	s_or_b32 exec_lo, exec_lo, s51
	s_wait_dscnt 0x0
	s_barrier_signal -1
	s_barrier_wait -1
	s_and_saveexec_b32 s51, s96
	s_cbranch_execz .LBB32_843
; %bb.842:                              ;   in Loop: Header=BB32_3 Depth=1
	ds_load_b64 v[44:45], v63 offset:27040
	ds_load_b64 v[46:47], v66
	s_wait_dscnt 0x0
	v_fmac_f64_e32 v[0:1], v[44:45], v[46:47]
.LBB32_843:                             ;   in Loop: Header=BB32_3 Depth=1
	s_or_b32 exec_lo, exec_lo, s51
	s_barrier_signal -1
	s_barrier_wait -1
	s_and_saveexec_b32 s51, s97
; %bb.844:                              ;   in Loop: Header=BB32_3 Depth=1
	ds_store_b64 v66, v[0:1]
; %bb.845:                              ;   in Loop: Header=BB32_3 Depth=1
	s_or_b32 exec_lo, exec_lo, s51
	s_wait_dscnt 0x0
	s_barrier_signal -1
	s_barrier_wait -1
	s_and_saveexec_b32 s51, s98
	s_cbranch_execz .LBB32_847
; %bb.846:                              ;   in Loop: Header=BB32_3 Depth=1
	ds_load_b64 v[44:45], v63 offset:27552
	ds_load_b64 v[46:47], v66
	s_wait_dscnt 0x0
	v_fmac_f64_e32 v[0:1], v[44:45], v[46:47]
.LBB32_847:                             ;   in Loop: Header=BB32_3 Depth=1
	s_or_b32 exec_lo, exec_lo, s51
	s_barrier_signal -1
	s_barrier_wait -1
	;; [unrolled: 19-line block ×3, first 2 shown]
	s_and_saveexec_b32 s51, s100
; %bb.852:                              ;   in Loop: Header=BB32_3 Depth=1
	ds_store_b64 v66, v[0:1]
; %bb.853:                              ;   in Loop: Header=BB32_3 Depth=1
	s_or_b32 exec_lo, exec_lo, s51
	s_wait_dscnt 0x0
	s_barrier_signal -1
	s_barrier_wait -1
	s_barrier_signal -1
	s_barrier_wait -1
	s_and_saveexec_b32 s51, s2
; %bb.854:                              ;   in Loop: Header=BB32_3 Depth=1
	v_xor_b32_e32 v1, 0x80000000, v1
	ds_store_b64 v68, v[0:1] offset:24992
; %bb.855:                              ;   in Loop: Header=BB32_3 Depth=1
	s_or_b32 exec_lo, exec_lo, s51
	s_wait_dscnt 0x0
	s_barrier_signal -1
	s_barrier_wait -1
	s_barrier_signal -1
	s_barrier_wait -1
	s_and_saveexec_b32 s51, s101
	s_cbranch_execz .LBB32_857
; %bb.856:                              ;   in Loop: Header=BB32_3 Depth=1
	ds_load_b64 v[0:1], v49 offset:24992
	s_wait_dscnt 0x0
	ds_store_b64 v50, v[0:1] offset:27008
	ds_load_b64 v[0:1], v49 offset:25000
	s_wait_dscnt 0x0
	ds_store_b64 v50, v[0:1] offset:27520
	;; [unrolled: 3-line block ×4, first 2 shown]
.LBB32_857:                             ;   in Loop: Header=BB32_3 Depth=1
	s_or_b32 exec_lo, exec_lo, s51
	s_wait_dscnt 0x0
	s_barrier_signal -1
	s_barrier_wait -1
	s_and_saveexec_b32 s51, s10
	s_cbranch_execz .LBB32_859
; %bb.858:                              ;   in Loop: Header=BB32_3 Depth=1
	ds_load_b64 v[0:1], v9 offset:27048
	v_mov_b32_e32 v2, v9
	ds_store_b64 v9, v[30:31] offset:27040
	s_wait_dscnt 0x1
	ds_store_b128 v9, v[0:3] offset:27552
.LBB32_859:                             ;   in Loop: Header=BB32_3 Depth=1
	s_or_b32 exec_lo, exec_lo, s51
	v_mov_b64_e32 v[0:1], 0
	s_wait_dscnt 0x0
	s_barrier_signal -1
	s_barrier_wait -1
	s_and_saveexec_b32 s51, s0
	s_cbranch_execz .LBB32_863
; %bb.860:                              ;   in Loop: Header=BB32_3 Depth=1
	ds_load_b64 v[0:1], v64 offset:27056
	ds_load_b64 v[44:45], v65 offset:27040
	s_wait_dscnt 0x0
	v_fma_f64 v[0:1], v[0:1], v[44:45], 0
	s_and_saveexec_b32 s52, s11
	s_cbranch_execz .LBB32_862
; %bb.861:                              ;   in Loop: Header=BB32_3 Depth=1
	ds_load_b64 v[44:45], v50 offset:27568
	ds_load_b64 v[46:47], v9 offset:27048
	s_wait_dscnt 0x0
	v_fmac_f64_e32 v[0:1], v[44:45], v[46:47]
.LBB32_862:                             ;   in Loop: Header=BB32_3 Depth=1
	s_or_b32 exec_lo, exec_lo, s52
	s_delay_alu instid0(VALU_DEP_1)
	v_xor_b32_e32 v1, 0x80000000, v1
.LBB32_863:                             ;   in Loop: Header=BB32_3 Depth=1
	s_or_b32 exec_lo, exec_lo, s51
	s_and_saveexec_b32 s51, s92
; %bb.864:                              ;   in Loop: Header=BB32_3 Depth=1
	ds_store_b64 v56, v[0:1]
; %bb.865:                              ;   in Loop: Header=BB32_3 Depth=1
	s_or_b32 exec_lo, exec_lo, s51
	s_wait_dscnt 0x0
	s_barrier_signal -1
	s_barrier_wait -1
	s_and_saveexec_b32 s51, s93
	s_cbranch_execz .LBB32_867
; %bb.866:                              ;   in Loop: Header=BB32_3 Depth=1
	ds_load_b64 v[44:45], v9 offset:28088
	ds_load_b64 v[46:47], v56
	s_wait_dscnt 0x0
	v_fmac_f64_e32 v[0:1], v[44:45], v[46:47]
.LBB32_867:                             ;   in Loop: Header=BB32_3 Depth=1
	s_or_b32 exec_lo, exec_lo, s51
	s_barrier_signal -1
	s_barrier_wait -1
	s_and_saveexec_b32 s51, s93
; %bb.868:                              ;   in Loop: Header=BB32_3 Depth=1
	ds_store_b64 v56, v[0:1]
; %bb.869:                              ;   in Loop: Header=BB32_3 Depth=1
	s_or_b32 exec_lo, exec_lo, s51
	s_wait_dscnt 0x0
	s_barrier_signal -1
	s_barrier_wait -1
	s_barrier_signal -1
	s_barrier_wait -1
	s_and_saveexec_b32 s51, s0
; %bb.870:                              ;   in Loop: Header=BB32_3 Depth=1
	v_xor_b32_e32 v1, 0x80000000, v1
	ds_store_b64 v64, v[0:1] offset:27056
; %bb.871:                              ;   in Loop: Header=BB32_3 Depth=1
	s_or_b32 exec_lo, exec_lo, s51
	s_wait_dscnt 0x0
	s_barrier_signal -1
	s_barrier_wait -1
	s_barrier_signal -1
	s_barrier_wait -1
	s_and_saveexec_b32 s51, s94
	s_cbranch_execz .LBB32_873
; %bb.872:                              ;   in Loop: Header=BB32_3 Depth=1
	ds_load_b64 v[0:1], v51 offset:27056
	s_wait_dscnt 0x0
	ds_store_b64 v50, v[0:1] offset:28064
	ds_load_b64 v[0:1], v51 offset:27064
	s_wait_dscnt 0x0
	ds_store_b64 v50, v[0:1] offset:28576
.LBB32_873:                             ;   in Loop: Header=BB32_3 Depth=1
	s_or_b32 exec_lo, exec_lo, s51
	s_wait_dscnt 0x0
	s_barrier_signal -1
	s_barrier_wait -1
	s_and_saveexec_b32 s51, s10
	s_cbranch_execz .LBB32_875
; %bb.874:                              ;   in Loop: Header=BB32_3 Depth=1
	ds_load_b64 v[0:1], v9 offset:28088
	v_mov_b32_e32 v2, v9
	ds_store_b64 v9, v[30:31] offset:28080
	s_wait_dscnt 0x1
	ds_store_b128 v9, v[0:3] offset:28592
.LBB32_875:                             ;   in Loop: Header=BB32_3 Depth=1
	s_or_b32 exec_lo, exec_lo, s51
	v_mov_b64_e32 v[0:1], 0
	s_wait_dscnt 0x0
	s_barrier_signal -1
	s_barrier_wait -1
	s_and_saveexec_b32 s61, s3
	s_cbranch_execz .LBB32_885
; %bb.876:                              ;   in Loop: Header=BB32_3 Depth=1
	ds_load_b64 v[0:1], v72 offset:25024
	ds_load_b64 v[44:45], v58 offset:24960
	s_wait_dscnt 0x0
	v_fma_f64 v[0:1], v[0:1], v[44:45], 0
	s_and_saveexec_b32 s51, s14
	s_cbranch_execnz .LBB32_1109
; %bb.877:                              ;   in Loop: Header=BB32_3 Depth=1
	s_or_b32 exec_lo, exec_lo, s51
	s_and_saveexec_b32 s51, s15
	s_cbranch_execnz .LBB32_1110
.LBB32_878:                             ;   in Loop: Header=BB32_3 Depth=1
	s_or_b32 exec_lo, exec_lo, s51
	s_and_saveexec_b32 s51, s16
	s_cbranch_execnz .LBB32_1111
.LBB32_879:                             ;   in Loop: Header=BB32_3 Depth=1
	s_or_b32 exec_lo, exec_lo, s51
	s_and_saveexec_b32 s51, s17
	s_cbranch_execnz .LBB32_1112
.LBB32_880:                             ;   in Loop: Header=BB32_3 Depth=1
	s_or_b32 exec_lo, exec_lo, s51
	s_and_saveexec_b32 s51, s18
	s_cbranch_execnz .LBB32_1113
.LBB32_881:                             ;   in Loop: Header=BB32_3 Depth=1
	s_or_b32 exec_lo, exec_lo, s51
	s_and_saveexec_b32 s51, s2
	s_cbranch_execnz .LBB32_1114
.LBB32_882:                             ;   in Loop: Header=BB32_3 Depth=1
	s_or_b32 exec_lo, exec_lo, s51
	s_and_saveexec_b32 s51, s13
	s_cbranch_execz .LBB32_884
.LBB32_883:                             ;   in Loop: Header=BB32_3 Depth=1
	ds_load_b64 v[44:45], v52 offset:28608
	ds_load_b64 v[46:47], v9 offset:25016
	s_wait_dscnt 0x0
	v_fmac_f64_e32 v[0:1], v[44:45], v[46:47]
.LBB32_884:                             ;   in Loop: Header=BB32_3 Depth=1
	s_or_b32 exec_lo, exec_lo, s51
	s_delay_alu instid0(VALU_DEP_1)
	v_xor_b32_e32 v1, 0x80000000, v1
.LBB32_885:                             ;   in Loop: Header=BB32_3 Depth=1
	s_or_b32 exec_lo, exec_lo, s61
	s_and_saveexec_b32 s51, s102
; %bb.886:                              ;   in Loop: Header=BB32_3 Depth=1
	ds_store_b64 v71, v[0:1]
; %bb.887:                              ;   in Loop: Header=BB32_3 Depth=1
	s_or_b32 exec_lo, exec_lo, s51
	s_wait_dscnt 0x0
	s_barrier_signal -1
	s_barrier_wait -1
	s_and_saveexec_b32 s51, s103
	s_cbranch_execz .LBB32_889
; %bb.888:                              ;   in Loop: Header=BB32_3 Depth=1
	ds_load_b64 v[44:45], v67 offset:29120
	ds_load_b64 v[46:47], v71
	s_wait_dscnt 0x0
	v_fmac_f64_e32 v[0:1], v[44:45], v[46:47]
.LBB32_889:                             ;   in Loop: Header=BB32_3 Depth=1
	s_or_b32 exec_lo, exec_lo, s51
	s_barrier_signal -1
	s_barrier_wait -1
	s_and_saveexec_b32 s51, s104
; %bb.890:                              ;   in Loop: Header=BB32_3 Depth=1
	ds_store_b64 v71, v[0:1]
; %bb.891:                              ;   in Loop: Header=BB32_3 Depth=1
	s_or_b32 exec_lo, exec_lo, s51
	s_wait_dscnt 0x0
	s_barrier_signal -1
	s_barrier_wait -1
	s_and_saveexec_b32 s51, vcc_hi
	s_cbranch_execz .LBB32_893
; %bb.892:                              ;   in Loop: Header=BB32_3 Depth=1
	ds_load_b64 v[44:45], v67 offset:29632
	ds_load_b64 v[46:47], v71
	s_wait_dscnt 0x0
	v_fmac_f64_e32 v[0:1], v[44:45], v[46:47]
.LBB32_893:                             ;   in Loop: Header=BB32_3 Depth=1
	s_or_b32 exec_lo, exec_lo, s51
	s_barrier_signal -1
	s_barrier_wait -1
	s_and_saveexec_b32 s51, s31
; %bb.894:                              ;   in Loop: Header=BB32_3 Depth=1
	ds_store_b64 v71, v[0:1]
; %bb.895:                              ;   in Loop: Header=BB32_3 Depth=1
	s_or_b32 exec_lo, exec_lo, s51
	s_wait_dscnt 0x0
	s_barrier_signal -1
	s_barrier_wait -1
	s_and_saveexec_b32 s51, s33
	s_cbranch_execz .LBB32_897
; %bb.896:                              ;   in Loop: Header=BB32_3 Depth=1
	ds_load_b64 v[44:45], v67 offset:30144
	ds_load_b64 v[46:47], v71
	s_wait_dscnt 0x0
	v_fmac_f64_e32 v[0:1], v[44:45], v[46:47]
.LBB32_897:                             ;   in Loop: Header=BB32_3 Depth=1
	s_or_b32 exec_lo, exec_lo, s51
	s_barrier_signal -1
	s_barrier_wait -1
	s_and_saveexec_b32 s51, s34
; %bb.898:                              ;   in Loop: Header=BB32_3 Depth=1
	ds_store_b64 v71, v[0:1]
; %bb.899:                              ;   in Loop: Header=BB32_3 Depth=1
	s_or_b32 exec_lo, exec_lo, s51
	s_wait_dscnt 0x0
	s_barrier_signal -1
	s_barrier_wait -1
	s_and_saveexec_b32 s51, s35
	;; [unrolled: 19-line block ×5, first 2 shown]
	s_cbranch_execz .LBB32_913
; %bb.912:                              ;   in Loop: Header=BB32_3 Depth=1
	ds_load_b64 v[44:45], v9 offset:32248
	ds_load_b64 v[46:47], v71
	s_wait_dscnt 0x0
	v_fmac_f64_e32 v[0:1], v[44:45], v[46:47]
.LBB32_913:                             ;   in Loop: Header=BB32_3 Depth=1
	s_or_b32 exec_lo, exec_lo, s51
	s_barrier_signal -1
	s_barrier_wait -1
	s_and_saveexec_b32 s51, s41
; %bb.914:                              ;   in Loop: Header=BB32_3 Depth=1
	ds_store_b64 v71, v[0:1]
; %bb.915:                              ;   in Loop: Header=BB32_3 Depth=1
	s_or_b32 exec_lo, exec_lo, s51
	s_wait_dscnt 0x0
	s_barrier_signal -1
	s_barrier_wait -1
	s_barrier_signal -1
	s_barrier_wait -1
	s_and_saveexec_b32 s51, s3
; %bb.916:                              ;   in Loop: Header=BB32_3 Depth=1
	v_xor_b32_e32 v1, 0x80000000, v1
	ds_store_b64 v72, v[0:1] offset:25024
; %bb.917:                              ;   in Loop: Header=BB32_3 Depth=1
	s_or_b32 exec_lo, exec_lo, s51
	s_wait_dscnt 0x0
	s_barrier_signal -1
	s_barrier_wait -1
	s_barrier_signal -1
	s_barrier_wait -1
	s_and_saveexec_b32 s51, s42
	s_cbranch_execz .LBB32_919
; %bb.918:                              ;   in Loop: Header=BB32_3 Depth=1
	ds_load_b64 v[0:1], v53 offset:25024
	s_wait_dscnt 0x0
	ds_store_b64 v54, v[0:1] offset:29056
	ds_load_b64 v[0:1], v53 offset:25032
	s_wait_dscnt 0x0
	ds_store_b64 v54, v[0:1] offset:29568
	;; [unrolled: 3-line block ×8, first 2 shown]
.LBB32_919:                             ;   in Loop: Header=BB32_3 Depth=1
	s_or_b32 exec_lo, exec_lo, s51
	s_wait_dscnt 0x0
	s_barrier_signal -1
	s_barrier_wait -1
	s_and_saveexec_b32 s51, s10
	s_cbranch_execz .LBB32_921
; %bb.920:                              ;   in Loop: Header=BB32_3 Depth=1
	ds_load_b64 v[0:1], v9 offset:29128
	v_mov_b32_e32 v2, v9
	ds_store_b64 v9, v[30:31] offset:29120
	s_wait_dscnt 0x1
	ds_store_b128 v9, v[0:3] offset:29632
.LBB32_921:                             ;   in Loop: Header=BB32_3 Depth=1
	s_or_b32 exec_lo, exec_lo, s51
	v_mov_b64_e32 v[0:1], 0
	s_wait_dscnt 0x0
	s_barrier_signal -1
	s_barrier_wait -1
	s_and_saveexec_b32 s51, s0
	s_cbranch_execz .LBB32_925
; %bb.922:                              ;   in Loop: Header=BB32_3 Depth=1
	ds_load_b64 v[0:1], v64 offset:29136
	ds_load_b64 v[44:45], v65 offset:29120
	s_wait_dscnt 0x0
	v_fma_f64 v[0:1], v[0:1], v[44:45], 0
	s_and_saveexec_b32 s52, s11
	s_cbranch_execz .LBB32_924
; %bb.923:                              ;   in Loop: Header=BB32_3 Depth=1
	ds_load_b64 v[44:45], v54 offset:29648
	ds_load_b64 v[46:47], v9 offset:29128
	s_wait_dscnt 0x0
	v_fmac_f64_e32 v[0:1], v[44:45], v[46:47]
.LBB32_924:                             ;   in Loop: Header=BB32_3 Depth=1
	s_or_b32 exec_lo, exec_lo, s52
	s_delay_alu instid0(VALU_DEP_1)
	v_xor_b32_e32 v1, 0x80000000, v1
.LBB32_925:                             ;   in Loop: Header=BB32_3 Depth=1
	s_or_b32 exec_lo, exec_lo, s51
	s_and_saveexec_b32 s51, s92
; %bb.926:                              ;   in Loop: Header=BB32_3 Depth=1
	ds_store_b64 v56, v[0:1]
; %bb.927:                              ;   in Loop: Header=BB32_3 Depth=1
	s_or_b32 exec_lo, exec_lo, s51
	s_wait_dscnt 0x0
	s_barrier_signal -1
	s_barrier_wait -1
	s_and_saveexec_b32 s51, s93
	s_cbranch_execz .LBB32_929
; %bb.928:                              ;   in Loop: Header=BB32_3 Depth=1
	ds_load_b64 v[44:45], v9 offset:30168
	ds_load_b64 v[46:47], v56
	s_wait_dscnt 0x0
	v_fmac_f64_e32 v[0:1], v[44:45], v[46:47]
.LBB32_929:                             ;   in Loop: Header=BB32_3 Depth=1
	s_or_b32 exec_lo, exec_lo, s51
	s_barrier_signal -1
	s_barrier_wait -1
	s_and_saveexec_b32 s51, s93
; %bb.930:                              ;   in Loop: Header=BB32_3 Depth=1
	ds_store_b64 v56, v[0:1]
; %bb.931:                              ;   in Loop: Header=BB32_3 Depth=1
	s_or_b32 exec_lo, exec_lo, s51
	s_wait_dscnt 0x0
	s_barrier_signal -1
	s_barrier_wait -1
	s_barrier_signal -1
	s_barrier_wait -1
	s_and_saveexec_b32 s51, s0
; %bb.932:                              ;   in Loop: Header=BB32_3 Depth=1
	v_xor_b32_e32 v1, 0x80000000, v1
	ds_store_b64 v64, v[0:1] offset:29136
; %bb.933:                              ;   in Loop: Header=BB32_3 Depth=1
	s_or_b32 exec_lo, exec_lo, s51
	s_wait_dscnt 0x0
	s_barrier_signal -1
	s_barrier_wait -1
	s_barrier_signal -1
	s_barrier_wait -1
	s_and_saveexec_b32 s51, s94
	s_cbranch_execz .LBB32_935
; %bb.934:                              ;   in Loop: Header=BB32_3 Depth=1
	ds_load_b64 v[0:1], v57 offset:29136
	s_wait_dscnt 0x0
	ds_store_b64 v54, v[0:1] offset:30144
	ds_load_b64 v[0:1], v57 offset:29144
	s_wait_dscnt 0x0
	ds_store_b64 v54, v[0:1] offset:30656
.LBB32_935:                             ;   in Loop: Header=BB32_3 Depth=1
	s_or_b32 exec_lo, exec_lo, s51
	s_wait_dscnt 0x0
	s_barrier_signal -1
	s_barrier_wait -1
	s_and_saveexec_b32 s51, s10
	s_cbranch_execz .LBB32_937
; %bb.936:                              ;   in Loop: Header=BB32_3 Depth=1
	ds_load_b64 v[0:1], v9 offset:30168
	v_mov_b32_e32 v2, v9
	ds_store_b64 v9, v[30:31] offset:30160
	s_wait_dscnt 0x1
	ds_store_b128 v9, v[0:3] offset:30672
.LBB32_937:                             ;   in Loop: Header=BB32_3 Depth=1
	s_or_b32 exec_lo, exec_lo, s51
	v_mov_b64_e32 v[0:1], 0
	s_wait_dscnt 0x0
	s_barrier_signal -1
	s_barrier_wait -1
	s_and_saveexec_b32 s61, s2
	s_cbranch_execz .LBB32_943
; %bb.938:                              ;   in Loop: Header=BB32_3 Depth=1
	ds_load_b64 v[0:1], v68 offset:29152
	ds_load_b64 v[44:45], v55 offset:29120
	s_wait_dscnt 0x0
	v_fma_f64 v[0:1], v[0:1], v[44:45], 0
	s_and_saveexec_b32 s51, s12
	s_cbranch_execnz .LBB32_1115
; %bb.939:                              ;   in Loop: Header=BB32_3 Depth=1
	s_or_b32 exec_lo, exec_lo, s51
	s_and_saveexec_b32 s51, s13
	s_cbranch_execnz .LBB32_1116
.LBB32_940:                             ;   in Loop: Header=BB32_3 Depth=1
	s_or_b32 exec_lo, exec_lo, s51
	s_and_saveexec_b32 s51, s0
	s_cbranch_execz .LBB32_942
.LBB32_941:                             ;   in Loop: Header=BB32_3 Depth=1
	ds_load_b64 v[44:45], v59 offset:30688
	ds_load_b64 v[46:47], v9 offset:29144
	s_wait_dscnt 0x0
	v_fmac_f64_e32 v[0:1], v[44:45], v[46:47]
.LBB32_942:                             ;   in Loop: Header=BB32_3 Depth=1
	s_or_b32 exec_lo, exec_lo, s51
	s_delay_alu instid0(VALU_DEP_1)
	v_xor_b32_e32 v1, 0x80000000, v1
.LBB32_943:                             ;   in Loop: Header=BB32_3 Depth=1
	s_or_b32 exec_lo, exec_lo, s61
	s_and_saveexec_b32 s51, s95
; %bb.944:                              ;   in Loop: Header=BB32_3 Depth=1
	ds_store_b64 v66, v[0:1]
; %bb.945:                              ;   in Loop: Header=BB32_3 Depth=1
	s_or_b32 exec_lo, exec_lo, s51
	s_wait_dscnt 0x0
	s_barrier_signal -1
	s_barrier_wait -1
	s_and_saveexec_b32 s51, s96
	s_cbranch_execz .LBB32_947
; %bb.946:                              ;   in Loop: Header=BB32_3 Depth=1
	ds_load_b64 v[44:45], v63 offset:31200
	ds_load_b64 v[46:47], v66
	s_wait_dscnt 0x0
	v_fmac_f64_e32 v[0:1], v[44:45], v[46:47]
.LBB32_947:                             ;   in Loop: Header=BB32_3 Depth=1
	s_or_b32 exec_lo, exec_lo, s51
	s_barrier_signal -1
	s_barrier_wait -1
	s_and_saveexec_b32 s51, s97
; %bb.948:                              ;   in Loop: Header=BB32_3 Depth=1
	ds_store_b64 v66, v[0:1]
; %bb.949:                              ;   in Loop: Header=BB32_3 Depth=1
	s_or_b32 exec_lo, exec_lo, s51
	s_wait_dscnt 0x0
	s_barrier_signal -1
	s_barrier_wait -1
	s_and_saveexec_b32 s51, s98
	s_cbranch_execz .LBB32_951
; %bb.950:                              ;   in Loop: Header=BB32_3 Depth=1
	ds_load_b64 v[44:45], v63 offset:31712
	ds_load_b64 v[46:47], v66
	s_wait_dscnt 0x0
	v_fmac_f64_e32 v[0:1], v[44:45], v[46:47]
.LBB32_951:                             ;   in Loop: Header=BB32_3 Depth=1
	s_or_b32 exec_lo, exec_lo, s51
	s_barrier_signal -1
	s_barrier_wait -1
	;; [unrolled: 19-line block ×3, first 2 shown]
	s_and_saveexec_b32 s51, s100
; %bb.956:                              ;   in Loop: Header=BB32_3 Depth=1
	ds_store_b64 v66, v[0:1]
; %bb.957:                              ;   in Loop: Header=BB32_3 Depth=1
	s_or_b32 exec_lo, exec_lo, s51
	s_wait_dscnt 0x0
	s_barrier_signal -1
	s_barrier_wait -1
	s_barrier_signal -1
	s_barrier_wait -1
	s_and_saveexec_b32 s51, s2
; %bb.958:                              ;   in Loop: Header=BB32_3 Depth=1
	v_xor_b32_e32 v1, 0x80000000, v1
	ds_store_b64 v68, v[0:1] offset:29152
; %bb.959:                              ;   in Loop: Header=BB32_3 Depth=1
	s_or_b32 exec_lo, exec_lo, s51
	s_wait_dscnt 0x0
	s_barrier_signal -1
	s_barrier_wait -1
	s_barrier_signal -1
	s_barrier_wait -1
	s_and_saveexec_b32 s51, s101
	s_cbranch_execz .LBB32_961
; %bb.960:                              ;   in Loop: Header=BB32_3 Depth=1
	ds_load_b64 v[0:1], v61 offset:29152
	s_wait_dscnt 0x0
	ds_store_b64 v79, v[0:1] offset:31168
	ds_load_b64 v[0:1], v61 offset:29160
	s_wait_dscnt 0x0
	ds_store_b64 v79, v[0:1] offset:31680
	;; [unrolled: 3-line block ×4, first 2 shown]
.LBB32_961:                             ;   in Loop: Header=BB32_3 Depth=1
	s_or_b32 exec_lo, exec_lo, s51
	s_wait_dscnt 0x0
	s_barrier_signal -1
	s_barrier_wait -1
	s_and_saveexec_b32 s51, s10
	s_cbranch_execz .LBB32_963
; %bb.962:                              ;   in Loop: Header=BB32_3 Depth=1
	ds_load_b64 v[0:1], v9 offset:31208
	v_mov_b32_e32 v2, v9
	ds_store_b64 v9, v[30:31] offset:31200
	s_wait_dscnt 0x1
	ds_store_b128 v9, v[0:3] offset:31712
.LBB32_963:                             ;   in Loop: Header=BB32_3 Depth=1
	s_or_b32 exec_lo, exec_lo, s51
	v_mov_b64_e32 v[0:1], 0
	s_wait_dscnt 0x0
	s_barrier_signal -1
	s_barrier_wait -1
	s_and_saveexec_b32 s51, s0
	s_cbranch_execz .LBB32_967
; %bb.964:                              ;   in Loop: Header=BB32_3 Depth=1
	ds_load_b64 v[0:1], v64 offset:31216
	ds_load_b64 v[44:45], v65 offset:31200
	s_wait_dscnt 0x0
	v_fma_f64 v[0:1], v[0:1], v[44:45], 0
	s_and_saveexec_b32 s52, s11
	s_cbranch_execz .LBB32_966
; %bb.965:                              ;   in Loop: Header=BB32_3 Depth=1
	ds_load_b64 v[44:45], v79 offset:31728
	ds_load_b64 v[46:47], v9 offset:31208
	s_wait_dscnt 0x0
	v_fmac_f64_e32 v[0:1], v[44:45], v[46:47]
.LBB32_966:                             ;   in Loop: Header=BB32_3 Depth=1
	s_or_b32 exec_lo, exec_lo, s52
	s_delay_alu instid0(VALU_DEP_1)
	v_xor_b32_e32 v1, 0x80000000, v1
.LBB32_967:                             ;   in Loop: Header=BB32_3 Depth=1
	s_or_b32 exec_lo, exec_lo, s51
	s_and_saveexec_b32 s51, s92
; %bb.968:                              ;   in Loop: Header=BB32_3 Depth=1
	ds_store_b64 v56, v[0:1]
; %bb.969:                              ;   in Loop: Header=BB32_3 Depth=1
	s_or_b32 exec_lo, exec_lo, s51
	s_wait_dscnt 0x0
	s_barrier_signal -1
	s_barrier_wait -1
	s_and_saveexec_b32 s51, s93
	s_cbranch_execz .LBB32_971
; %bb.970:                              ;   in Loop: Header=BB32_3 Depth=1
	ds_load_b64 v[44:45], v9 offset:32248
	ds_load_b64 v[46:47], v56
	s_wait_dscnt 0x0
	v_fmac_f64_e32 v[0:1], v[44:45], v[46:47]
.LBB32_971:                             ;   in Loop: Header=BB32_3 Depth=1
	s_or_b32 exec_lo, exec_lo, s51
	s_barrier_signal -1
	s_barrier_wait -1
	s_and_saveexec_b32 s51, s93
; %bb.972:                              ;   in Loop: Header=BB32_3 Depth=1
	ds_store_b64 v56, v[0:1]
; %bb.973:                              ;   in Loop: Header=BB32_3 Depth=1
	s_or_b32 exec_lo, exec_lo, s51
	s_wait_dscnt 0x0
	s_barrier_signal -1
	s_barrier_wait -1
	s_barrier_signal -1
	s_barrier_wait -1
	s_and_saveexec_b32 s51, s0
; %bb.974:                              ;   in Loop: Header=BB32_3 Depth=1
	v_xor_b32_e32 v1, 0x80000000, v1
	ds_store_b64 v64, v[0:1] offset:31216
; %bb.975:                              ;   in Loop: Header=BB32_3 Depth=1
	s_or_b32 exec_lo, exec_lo, s51
	s_wait_dscnt 0x0
	s_barrier_signal -1
	s_barrier_wait -1
	s_barrier_signal -1
	s_barrier_wait -1
	s_and_saveexec_b32 s51, s94
	s_cbranch_execz .LBB32_977
; %bb.976:                              ;   in Loop: Header=BB32_3 Depth=1
	ds_load_b64 v[0:1], v80 offset:31216
	s_wait_dscnt 0x0
	ds_store_b64 v79, v[0:1] offset:32224
	ds_load_b64 v[0:1], v80 offset:31224
	s_wait_dscnt 0x0
	ds_store_b64 v79, v[0:1] offset:32736
.LBB32_977:                             ;   in Loop: Header=BB32_3 Depth=1
	s_or_b32 exec_lo, exec_lo, s51
	s_wait_dscnt 0x0
	s_barrier_signal -1
	s_barrier_wait -1
	s_and_saveexec_b32 s51, s10
	s_cbranch_execz .LBB32_979
; %bb.978:                              ;   in Loop: Header=BB32_3 Depth=1
	ds_load_b64 v[0:1], v9 offset:32248
	v_mov_b32_e32 v2, v9
	ds_store_b64 v9, v[30:31] offset:32240
	s_wait_dscnt 0x1
	ds_store_b128 v9, v[0:3] offset:32752
.LBB32_979:                             ;   in Loop: Header=BB32_3 Depth=1
	s_or_b32 exec_lo, exec_lo, s51
.LBB32_980:                             ;   in Loop: Header=BB32_3 Depth=1
	v_mov_b64_e32 v[0:1], 0
	s_mul_u64 s[52:53], s[72:73], s[76:77]
	s_wait_dscnt 0x0
	s_lshl_b64 s[52:53], s[52:53], 3
	s_barrier_signal -1
	s_add_nc_u64 s[82:83], s[66:67], s[52:53]
	s_barrier_wait -1
	s_and_saveexec_b32 s51, s49
	s_cbranch_execz .LBB32_982
; %bb.981:                              ;   in Loop: Header=BB32_3 Depth=1
	v_lshl_add_u64 v[0:1], v[18:19], 3, s[82:83]
	global_load_b64 v[0:1], v[0:1], off
	s_wait_loadcnt 0x0
	v_mul_f64_e64 v[0:1], v[0:1], -v[42:43]
.LBB32_982:                             ;   in Loop: Header=BB32_3 Depth=1
	s_or_b32 exec_lo, exec_lo, s51
	s_delay_alu instid0(SALU_CYCLE_1)
	s_and_not1_b32 vcc_lo, exec_lo, s50
	s_cbranch_vccnz .LBB32_1008
; %bb.983:                              ;   in Loop: Header=BB32_3 Depth=1
	v_mov_b32_e32 v2, -1
	s_lshl_b64 s[52:53], s[76:77], 2
	s_mov_b32 s61, 0
	s_add_nc_u64 s[84:85], s[74:75], s[52:53]
	s_branch .LBB32_986
.LBB32_984:                             ;   in Loop: Header=BB32_986 Depth=2
	s_wait_xcnt 0x0
	ds_load_b64 v[42:43], v86 offset:384
	s_wait_loadcnt_dscnt 0x0
	v_fmac_f64_e32 v[0:1], v[44:45], v[42:43]
.LBB32_985:                             ;   in Loop: Header=BB32_986 Depth=2
	s_or_b32 exec_lo, exec_lo, s51
	s_add_co_i32 s61, s61, 1
	s_delay_alu instid0(SALU_CYCLE_1)
	s_cmp_eq_u32 s61, s87
	s_cbranch_scc1 .LBB32_1008
.LBB32_986:                             ;   Parent Loop BB32_3 Depth=1
                                        ; =>  This Loop Header: Depth=2
                                        ;       Child Loop BB32_988 Depth 3
	v_cmp_gt_i32_e32 vcc_lo, s61, v2
	s_and_b32 s52, s55, vcc_lo
	s_delay_alu instid0(SALU_CYCLE_1)
	s_and_saveexec_b32 s51, s52
	s_cbranch_execz .LBB32_989
; %bb.987:                              ;   in Loop: Header=BB32_986 Depth=2
	global_load_b32 v2, v9, s[84:85]
	s_wait_loadcnt 0x0
	v_cmp_le_i32_e32 vcc_lo, s61, v2
	s_cbranch_vccnz .LBB32_989
.LBB32_988:                             ;   Parent Loop BB32_3 Depth=1
                                        ;     Parent Loop BB32_986 Depth=2
                                        ; =>    This Inner Loop Header: Depth=3
	global_wb scope:SCOPE_DEV
	s_wait_storecnt 0x0
	global_inv scope:SCOPE_DEV
	global_load_b32 v2, v9, s[84:85]
	s_wait_loadcnt 0x0
	v_cmp_gt_i32_e32 vcc_lo, s61, v2
	s_cbranch_vccnz .LBB32_988
.LBB32_989:                             ;   in Loop: Header=BB32_986 Depth=2
	s_or_b32 exec_lo, exec_lo, s51
	s_sub_co_i32 s60, s88, s61
	global_wb scope:SCOPE_DEV
	s_wait_storecnt 0x0
	global_inv scope:SCOPE_DEV
	s_lshl_b32 s51, s60, 6
	s_wait_loadcnt 0x0
	s_barrier_signal -1
	s_barrier_wait -1
	s_and_saveexec_b32 s52, s56
	s_cbranch_execz .LBB32_993
; %bb.990:                              ;   in Loop: Header=BB32_986 Depth=2
	s_ashr_i32 s53, s51, 31
	v_mov_b64_e32 v[44:45], 0
	v_dual_mov_b32 v43, s53 :: v_dual_bitop2_b32 v42, s51, v10 bitop3:0x54
	s_mov_b32 s53, exec_lo
	s_delay_alu instid0(VALU_DEP_1)
	v_cmpx_gt_i64_e64 s[78:79], v[42:43]
	s_cbranch_execz .LBB32_992
; %bb.991:                              ;   in Loop: Header=BB32_986 Depth=2
	v_mul_u64_e32 v[42:43], s[70:71], v[42:43]
	s_delay_alu instid0(VALU_DEP_1)
	v_lshl_add_u64 v[42:43], v[42:43], 3, s[82:83]
	global_load_b64 v[44:45], v[42:43], off
.LBB32_992:                             ;   in Loop: Header=BB32_986 Depth=2
	s_wait_xcnt 0x0
	s_or_b32 exec_lo, exec_lo, s53
	s_wait_loadcnt 0x0
	ds_store_b64 v91, v[44:45]
.LBB32_993:                             ;   in Loop: Header=BB32_986 Depth=2
	s_or_b32 exec_lo, exec_lo, s52
	v_add_nc_u32_e32 v44, s51, v4
	s_cmp_lg_u32 s60, s57
	s_wait_dscnt 0x0
	s_cselect_b32 s52, -1, 0
	s_barrier_signal -1
	v_ashrrev_i32_e32 v45, 31, v44
	v_cmp_gt_i32_e32 vcc_lo, s78, v44
	v_cndmask_b32_e64 v5, 0, 1, s52
	s_barrier_wait -1
	s_delay_alu instid0(VALU_DEP_3) | instskip(SKIP_1) | instid1(SALU_CYCLE_1)
	v_lshl_add_u64 v[42:43], v[44:45], 3, v[40:41]
	s_and_b32 s53, vcc_lo, s5
	s_and_saveexec_b32 s51, s53
	s_cbranch_execz .LBB32_997
; %bb.994:                              ;   in Loop: Header=BB32_986 Depth=2
	v_mov_b64_e32 v[46:47], v[32:33]
	s_and_not1_b32 vcc_lo, exec_lo, s52
	s_cbranch_vccnz .LBB32_996
; %bb.995:                              ;   in Loop: Header=BB32_986 Depth=2
	global_load_b64 v[46:47], v[42:43], off
.LBB32_996:                             ;   in Loop: Header=BB32_986 Depth=2
	ds_load_b64 v[98:99], v86
	s_wait_loadcnt_dscnt 0x0
	v_fmac_f64_e32 v[0:1], v[46:47], v[98:99]
.LBB32_997:                             ;   in Loop: Header=BB32_986 Depth=2
	s_or_b32 exec_lo, exec_lo, s51
	v_add_nc_u32_e32 v45, 16, v44
	s_delay_alu instid0(VALU_DEP_1) | instskip(SKIP_1) | instid1(SALU_CYCLE_1)
	v_cmp_gt_i32_e32 vcc_lo, s78, v45
	s_and_b32 s52, vcc_lo, s5
	s_and_saveexec_b32 s51, s52
	s_cbranch_execz .LBB32_1001
; %bb.998:                              ;   in Loop: Header=BB32_986 Depth=2
	v_cmp_ne_u32_e32 vcc_lo, 1, v5
	v_mov_b64_e32 v[46:47], v[34:35]
	s_cbranch_vccnz .LBB32_1000
; %bb.999:                              ;   in Loop: Header=BB32_986 Depth=2
	global_load_b64 v[46:47], v[42:43], off offset:128
.LBB32_1000:                            ;   in Loop: Header=BB32_986 Depth=2
	ds_load_b64 v[98:99], v86 offset:128
	s_wait_loadcnt_dscnt 0x0
	v_fmac_f64_e32 v[0:1], v[46:47], v[98:99]
.LBB32_1001:                            ;   in Loop: Header=BB32_986 Depth=2
	s_or_b32 exec_lo, exec_lo, s51
	v_add_nc_u32_e32 v45, 32, v44
	s_delay_alu instid0(VALU_DEP_1) | instskip(SKIP_1) | instid1(SALU_CYCLE_1)
	v_cmp_gt_i32_e32 vcc_lo, s78, v45
	s_and_b32 s52, vcc_lo, s5
	s_and_saveexec_b32 s51, s52
	s_cbranch_execz .LBB32_1005
; %bb.1002:                             ;   in Loop: Header=BB32_986 Depth=2
	v_cmp_ne_u32_e32 vcc_lo, 1, v5
	v_mov_b64_e32 v[46:47], v[36:37]
	s_cbranch_vccnz .LBB32_1004
; %bb.1003:                             ;   in Loop: Header=BB32_986 Depth=2
	global_load_b64 v[46:47], v[42:43], off offset:256
.LBB32_1004:                            ;   in Loop: Header=BB32_986 Depth=2
	ds_load_b64 v[98:99], v86 offset:256
	s_wait_loadcnt_dscnt 0x0
	v_fmac_f64_e32 v[0:1], v[46:47], v[98:99]
.LBB32_1005:                            ;   in Loop: Header=BB32_986 Depth=2
	s_or_b32 exec_lo, exec_lo, s51
	v_add_nc_u32_e32 v44, 48, v44
	s_delay_alu instid0(VALU_DEP_1) | instskip(SKIP_1) | instid1(SALU_CYCLE_1)
	v_cmp_gt_i32_e32 vcc_lo, s78, v44
	s_and_b32 s52, vcc_lo, s5
	s_and_saveexec_b32 s51, s52
	s_cbranch_execz .LBB32_985
; %bb.1006:                             ;   in Loop: Header=BB32_986 Depth=2
	v_cmp_ne_u32_e32 vcc_lo, 1, v5
	v_mov_b64_e32 v[44:45], v[38:39]
	s_cbranch_vccnz .LBB32_984
; %bb.1007:                             ;   in Loop: Header=BB32_986 Depth=2
	global_load_b64 v[44:45], v[42:43], off offset:384
	s_branch .LBB32_984
.LBB32_1008:                            ;   in Loop: Header=BB32_3 Depth=1
	ds_store_b64 v92, v[0:1]
	s_wait_dscnt 0x0
	s_barrier_signal -1
	s_barrier_wait -1
	s_and_saveexec_b32 s61, s1
	s_cbranch_execz .LBB32_1010
; %bb.1009:                             ;   in Loop: Header=BB32_3 Depth=1
	ds_load_2addr_stride64_b64 v[40:43], v93 offset0:1 offset1:2
	ds_load_2addr_stride64_b64 v[44:47], v93 offset0:3 offset1:4
	s_wait_dscnt 0x1
	v_add_f64_e32 v[0:1], v[0:1], v[40:41]
	s_delay_alu instid0(VALU_DEP_1) | instskip(SKIP_1) | instid1(VALU_DEP_1)
	v_add_f64_e32 v[0:1], v[0:1], v[42:43]
	s_wait_dscnt 0x0
	v_add_f64_e32 v[0:1], v[0:1], v[44:45]
	s_delay_alu instid0(VALU_DEP_1) | instskip(SKIP_4) | instid1(VALU_DEP_1)
	v_add_f64_e32 v[0:1], v[0:1], v[46:47]
	ds_load_2addr_stride64_b64 v[40:43], v93 offset0:5 offset1:6
	ds_load_2addr_stride64_b64 v[44:47], v93 offset0:7 offset1:8
	s_wait_dscnt 0x1
	v_add_f64_e32 v[0:1], v[0:1], v[40:41]
	v_add_f64_e32 v[0:1], v[0:1], v[42:43]
	s_wait_dscnt 0x0
	s_delay_alu instid0(VALU_DEP_1) | instskip(NEXT) | instid1(VALU_DEP_1)
	v_add_f64_e32 v[0:1], v[0:1], v[44:45]
	v_add_f64_e32 v[0:1], v[0:1], v[46:47]
	ds_load_2addr_stride64_b64 v[40:43], v93 offset0:9 offset1:10
	ds_load_2addr_stride64_b64 v[44:47], v93 offset0:11 offset1:12
	s_wait_dscnt 0x1
	v_add_f64_e32 v[0:1], v[0:1], v[40:41]
	s_delay_alu instid0(VALU_DEP_1) | instskip(SKIP_1) | instid1(VALU_DEP_1)
	v_add_f64_e32 v[0:1], v[0:1], v[42:43]
	s_wait_dscnt 0x0
	v_add_f64_e32 v[0:1], v[0:1], v[44:45]
	ds_load_2addr_stride64_b64 v[40:43], v93 offset0:13 offset1:14
	ds_load_b64 v[44:45], v93 offset:7680
	v_add_f64_e32 v[0:1], v[0:1], v[46:47]
	s_wait_dscnt 0x1
	s_delay_alu instid0(VALU_DEP_1) | instskip(NEXT) | instid1(VALU_DEP_1)
	v_add_f64_e32 v[0:1], v[0:1], v[40:41]
	v_add_f64_e32 v[0:1], v[0:1], v[42:43]
	s_wait_dscnt 0x0
	s_delay_alu instid0(VALU_DEP_1) | instskip(NEXT) | instid1(VALU_DEP_1)
	v_add_f64_e32 v[0:1], v[0:1], v[44:45]
	v_xor_b32_e32 v1, 0x80000000, v1
	s_delay_alu instid0(VALU_DEP_2) | instskip(NEXT) | instid1(VALU_DEP_2)
	v_cndmask_b32_e64 v0, v0, 0, s47
	v_cndmask_b32_e64 v1, v1, 0, s47
.LBB32_1010:                            ;   in Loop: Header=BB32_3 Depth=1
	s_or_b32 exec_lo, exec_lo, s61
	s_delay_alu instid0(SALU_CYCLE_1)
	s_and_not1_b32 vcc_lo, exec_lo, s91
	s_cbranch_vccnz .LBB32_1020
; %bb.1011:                             ;   in Loop: Header=BB32_3 Depth=1
	s_and_saveexec_b32 s51, s1
; %bb.1012:                             ;   in Loop: Header=BB32_3 Depth=1
	ds_store_b64 v95, v[0:1]
; %bb.1013:                             ;   in Loop: Header=BB32_3 Depth=1
	s_or_b32 exec_lo, exec_lo, s51
	v_mov_b64_e32 v[40:41], 0
	s_wait_dscnt 0x0
	s_barrier_signal -1
	s_barrier_wait -1
	s_and_saveexec_b32 s51, s6
	s_cbranch_execnz .LBB32_1060
; %bb.1014:                             ;   in Loop: Header=BB32_3 Depth=1
	s_or_b32 exec_lo, exec_lo, s51
	s_and_saveexec_b32 s51, s7
	s_cbranch_execnz .LBB32_1061
.LBB32_1015:                            ;   in Loop: Header=BB32_3 Depth=1
	s_or_b32 exec_lo, exec_lo, s51
	s_and_saveexec_b32 s51, s8
	s_cbranch_execnz .LBB32_1062
.LBB32_1016:                            ;   in Loop: Header=BB32_3 Depth=1
	s_or_b32 exec_lo, exec_lo, s51
	s_and_saveexec_b32 s51, s9
	s_cbranch_execz .LBB32_1018
.LBB32_1017:                            ;   in Loop: Header=BB32_3 Depth=1
	ds_load_b64 v[42:43], v94 offset:24576
	ds_load_b64 v[44:45], v86 offset:384
	s_wait_dscnt 0x0
	v_fmac_f64_e32 v[40:41], v[42:43], v[44:45]
.LBB32_1018:                            ;   in Loop: Header=BB32_3 Depth=1
	s_or_b32 exec_lo, exec_lo, s51
	s_mov_b32 s61, 0
	s_mov_b32 s84, 0
	ds_store_b64 v92, v[40:41]
	s_wait_dscnt 0x0
	s_barrier_signal -1
	s_barrier_wait -1
                                        ; implicit-def: $vgpr42_vgpr43
	s_and_saveexec_b32 s85, s1
	s_cbranch_execz .LBB32_1063
; %bb.1019:                             ;   in Loop: Header=BB32_3 Depth=1
	ds_load_2addr_stride64_b64 v[42:45], v93 offset0:1 offset1:2
	ds_load_2addr_stride64_b64 v[98:101], v93 offset0:3 offset1:4
	s_mov_b32 s84, exec_lo
	s_wait_dscnt 0x1
	v_add_f64_e32 v[40:41], v[40:41], v[42:43]
	s_delay_alu instid0(VALU_DEP_1) | instskip(SKIP_1) | instid1(VALU_DEP_1)
	v_add_f64_e32 v[40:41], v[44:45], v[40:41]
	s_wait_dscnt 0x0
	v_add_f64_e32 v[40:41], v[98:99], v[40:41]
	s_delay_alu instid0(VALU_DEP_1) | instskip(SKIP_4) | instid1(VALU_DEP_1)
	v_add_f64_e32 v[98:99], v[100:101], v[40:41]
	ds_load_2addr_stride64_b64 v[40:43], v93 offset0:5 offset1:6
	ds_load_2addr_stride64_b64 v[44:47], v93 offset0:7 offset1:8
	s_wait_dscnt 0x1
	v_add_f64_e32 v[40:41], v[40:41], v[98:99]
	v_add_f64_e32 v[40:41], v[42:43], v[40:41]
	s_wait_dscnt 0x0
	s_delay_alu instid0(VALU_DEP_1) | instskip(NEXT) | instid1(VALU_DEP_1)
	v_add_f64_e32 v[40:41], v[44:45], v[40:41]
	v_add_f64_e32 v[98:99], v[46:47], v[40:41]
	ds_load_2addr_stride64_b64 v[40:43], v93 offset0:9 offset1:10
	ds_load_2addr_stride64_b64 v[44:47], v93 offset0:11 offset1:12
	s_wait_dscnt 0x1
	v_add_f64_e32 v[40:41], v[40:41], v[98:99]
	s_delay_alu instid0(VALU_DEP_1) | instskip(SKIP_1) | instid1(VALU_DEP_1)
	v_add_f64_e32 v[40:41], v[42:43], v[40:41]
	s_wait_dscnt 0x0
	v_add_f64_e32 v[40:41], v[44:45], v[40:41]
	s_delay_alu instid0(VALU_DEP_1) | instskip(SKIP_4) | instid1(VALU_DEP_1)
	v_add_f64_e32 v[44:45], v[46:47], v[40:41]
	ds_load_2addr_stride64_b64 v[40:43], v93 offset0:13 offset1:14
	ds_load_b64 v[46:47], v93 offset:7680
	s_wait_dscnt 0x1
	v_add_f64_e32 v[40:41], v[40:41], v[44:45]
	v_add_f64_e32 v[40:41], v[42:43], v[40:41]
	s_wait_dscnt 0x0
	s_delay_alu instid0(VALU_DEP_1) | instskip(SKIP_1) | instid1(SALU_CYCLE_1)
	v_add_f64_e32 v[42:43], v[46:47], v[40:41]
	s_or_b32 exec_lo, exec_lo, s85
	s_and_b32 vcc_lo, exec_lo, s61
	s_cbranch_vccnz .LBB32_1021
	s_branch .LBB32_1064
.LBB32_1020:                            ;   in Loop: Header=BB32_3 Depth=1
	s_mov_b32 s84, 0
                                        ; implicit-def: $vgpr42_vgpr43
	s_cbranch_execz .LBB32_1064
.LBB32_1021:                            ;   in Loop: Header=BB32_3 Depth=1
	v_dual_mov_b32 v2, v96 :: v_dual_mov_b32 v5, v89
	s_mov_b32 s61, 63
	s_branch .LBB32_1023
.LBB32_1022:                            ;   in Loop: Header=BB32_1023 Depth=2
	s_or_b32 exec_lo, exec_lo, s51
	v_add_nc_u32_e32 v5, 0xfffff800, v5
	v_add_nc_u32_e32 v2, 4, v2
	s_add_co_i32 s61, s61, -4
	s_cmp_lg_u32 s60, 0
	s_barrier_signal -1
	s_barrier_wait -1
	s_cbranch_scc0 .LBB32_1039
.LBB32_1023:                            ;   Parent Loop BB32_3 Depth=1
                                        ; =>  This Inner Loop Header: Depth=2
	s_delay_alu instid0(VALU_DEP_1) | instskip(SKIP_1) | instid1(SALU_CYCLE_1)
	v_cmp_eq_u32_e32 vcc_lo, 0, v2
	s_and_b32 s52, s1, vcc_lo
	s_and_saveexec_b32 s51, s52
; %bb.1024:                             ;   in Loop: Header=BB32_1023 Depth=2
	ds_store_b64 v9, v[0:1] offset:41472
; %bb.1025:                             ;   in Loop: Header=BB32_1023 Depth=2
	s_or_b32 exec_lo, exec_lo, s51
	v_cmp_gt_u32_e32 vcc_lo, s61, v6
	s_wait_dscnt 0x0
	s_barrier_signal -1
	s_barrier_wait -1
	s_and_b32 s52, s1, vcc_lo
	s_delay_alu instid0(SALU_CYCLE_1)
	s_and_saveexec_b32 s51, s52
	s_cbranch_execz .LBB32_1027
; %bb.1026:                             ;   in Loop: Header=BB32_1023 Depth=2
	ds_load_b64 v[40:41], v5 offset:1536
	ds_load_b64 v[42:43], v9 offset:41472
	s_wait_dscnt 0x0
	v_fmac_f64_e32 v[0:1], v[40:41], v[42:43]
.LBB32_1027:                            ;   in Loop: Header=BB32_1023 Depth=2
	s_or_b32 exec_lo, exec_lo, s51
	s_add_co_i32 s51, s61, -1
	s_delay_alu instid0(SALU_CYCLE_1) | instskip(SKIP_3) | instid1(SALU_CYCLE_1)
	v_cmp_eq_u32_e32 vcc_lo, s51, v6
	s_barrier_signal -1
	s_barrier_wait -1
	s_and_b32 s53, s1, vcc_lo
	s_and_saveexec_b32 s52, s53
; %bb.1028:                             ;   in Loop: Header=BB32_1023 Depth=2
	ds_store_b64 v9, v[0:1] offset:41472
; %bb.1029:                             ;   in Loop: Header=BB32_1023 Depth=2
	s_or_b32 exec_lo, exec_lo, s52
	v_cmp_gt_u32_e32 vcc_lo, s51, v6
	s_wait_dscnt 0x0
	s_barrier_signal -1
	s_barrier_wait -1
	s_and_b32 s52, s1, vcc_lo
	s_delay_alu instid0(SALU_CYCLE_1)
	s_and_saveexec_b32 s51, s52
	s_cbranch_execz .LBB32_1031
; %bb.1030:                             ;   in Loop: Header=BB32_1023 Depth=2
	ds_load_b64 v[40:41], v5 offset:1024
	ds_load_b64 v[42:43], v9 offset:41472
	s_wait_dscnt 0x0
	v_fmac_f64_e32 v[0:1], v[40:41], v[42:43]
.LBB32_1031:                            ;   in Loop: Header=BB32_1023 Depth=2
	s_or_b32 exec_lo, exec_lo, s51
	s_add_co_i32 s51, s61, -2
	s_delay_alu instid0(SALU_CYCLE_1) | instskip(SKIP_3) | instid1(SALU_CYCLE_1)
	v_cmp_eq_u32_e32 vcc_lo, s51, v6
	s_barrier_signal -1
	s_barrier_wait -1
	;; [unrolled: 26-line block ×3, first 2 shown]
	s_and_b32 s52, s1, vcc_lo
	s_and_saveexec_b32 s51, s52
; %bb.1036:                             ;   in Loop: Header=BB32_1023 Depth=2
	ds_store_b64 v9, v[0:1] offset:41472
; %bb.1037:                             ;   in Loop: Header=BB32_1023 Depth=2
	s_or_b32 exec_lo, exec_lo, s51
	v_cmp_gt_u32_e32 vcc_lo, s60, v6
	s_wait_dscnt 0x0
	s_barrier_signal -1
	s_barrier_wait -1
	s_and_b32 s52, s1, vcc_lo
	s_delay_alu instid0(SALU_CYCLE_1)
	s_and_saveexec_b32 s51, s52
	s_cbranch_execz .LBB32_1022
; %bb.1038:                             ;   in Loop: Header=BB32_1023 Depth=2
	ds_load_b64 v[40:41], v5
	ds_load_b64 v[42:43], v9 offset:41472
	s_wait_dscnt 0x0
	v_fmac_f64_e32 v[0:1], v[40:41], v[42:43]
	s_branch .LBB32_1022
.LBB32_1039:                            ;   in Loop: Header=BB32_3 Depth=1
	s_and_b32 vcc_lo, exec_lo, s89
	s_mov_b32 s51, -1
	s_cbranch_vccnz .LBB32_1065
; %bb.1040:                             ;   in Loop: Header=BB32_3 Depth=1
	s_and_not1_b32 vcc_lo, exec_lo, s51
	s_cbranch_vccz .LBB32_1066
.LBB32_1041:                            ;   in Loop: Header=BB32_3 Depth=1
	s_and_saveexec_b32 s51, s84
	s_cbranch_execz .LBB32_1043
.LBB32_1042:                            ;   in Loop: Header=BB32_3 Depth=1
	v_lshl_add_u64 v[40:41], v[14:15], 3, s[82:83]
	global_store_b64 v[40:41], v[0:1], off
.LBB32_1043:                            ;   in Loop: Header=BB32_3 Depth=1
	s_wait_xcnt 0x0
	s_or_b32 exec_lo, exec_lo, s51
	global_wb scope:SCOPE_DEV
	s_wait_storecnt 0x0
	global_inv scope:SCOPE_DEV
	s_wait_loadcnt 0x0
	s_barrier_signal -1
	s_barrier_wait -1
	s_and_saveexec_b32 s51, s55
	s_cbranch_execz .LBB32_2
; %bb.1044:                             ;   in Loop: Header=BB32_3 Depth=1
	s_lshl_b64 s[52:53], s[76:77], 2
	s_delay_alu instid0(SALU_CYCLE_1)
	s_add_nc_u64 s[52:53], s[74:75], s[52:53]
	global_load_b32 v0, v9, s[52:53]
	s_wait_loadcnt 0x0
	v_add_nc_u32_e32 v0, 1, v0
	global_store_b32 v9, v0, s[52:53]
	s_branch .LBB32_2
.LBB32_1045:                            ;   in Loop: Header=BB32_3 Depth=1
	s_mov_b32 s52, exec_lo
	v_readlane_b32 s53, v97, 25
	s_and_b32 s53, s52, s53
	s_delay_alu instid0(SALU_CYCLE_1)
	s_mov_b32 exec_lo, s53
; %bb.1046:                             ;   in Loop: Header=BB32_3 Depth=1
	ds_store_b64 v82, v[28:29]
; %bb.1047:                             ;   in Loop: Header=BB32_3 Depth=1
	s_or_b32 exec_lo, exec_lo, s52
	s_and_not1_saveexec_b32 s51, s51
	s_cbranch_execz .LBB32_16
.LBB32_1048:                            ;   in Loop: Header=BB32_3 Depth=1
	v_lshl_add_u64 v[44:45], v[26:27], 3, v[0:1]
	global_load_b64 v[44:45], v[44:45], off
	s_wait_loadcnt 0x0
	v_xor_b32_e32 v45, 0x80000000, v45
	ds_store_b64 v82, v[44:45]
	s_or_b32 exec_lo, exec_lo, s51
	s_and_saveexec_b32 s51, s7
	s_delay_alu instid0(SALU_CYCLE_1)
	s_xor_b32 s51, exec_lo, s51
	s_cbranch_execz .LBB32_17
.LBB32_1049:                            ;   in Loop: Header=BB32_3 Depth=1
	s_mov_b32 s52, exec_lo
	v_readlane_b32 s53, v97, 26
	s_and_b32 s53, s52, s53
	s_delay_alu instid0(SALU_CYCLE_1)
	s_mov_b32 exec_lo, s53
; %bb.1050:                             ;   in Loop: Header=BB32_3 Depth=1
	ds_store_b64 v83, v[28:29]
; %bb.1051:                             ;   in Loop: Header=BB32_3 Depth=1
	s_or_b32 exec_lo, exec_lo, s52
	s_and_not1_saveexec_b32 s51, s51
	s_cbranch_execz .LBB32_18
.LBB32_1052:                            ;   in Loop: Header=BB32_3 Depth=1
	v_lshl_add_u64 v[44:45], v[24:25], 3, v[0:1]
	global_load_b64 v[44:45], v[44:45], off
	s_wait_loadcnt 0x0
	v_xor_b32_e32 v45, 0x80000000, v45
	ds_store_b64 v83, v[44:45]
	s_or_b32 exec_lo, exec_lo, s51
	s_and_saveexec_b32 s51, s8
	s_delay_alu instid0(SALU_CYCLE_1)
	s_xor_b32 s51, exec_lo, s51
	s_cbranch_execz .LBB32_19
.LBB32_1053:                            ;   in Loop: Header=BB32_3 Depth=1
	s_mov_b32 s52, exec_lo
	v_readlane_b32 s53, v97, 27
	s_and_b32 s53, s52, s53
	s_delay_alu instid0(SALU_CYCLE_1)
	s_mov_b32 exec_lo, s53
; %bb.1054:                             ;   in Loop: Header=BB32_3 Depth=1
	ds_store_b64 v84, v[28:29]
; %bb.1055:                             ;   in Loop: Header=BB32_3 Depth=1
	s_or_b32 exec_lo, exec_lo, s52
	s_and_not1_saveexec_b32 s51, s51
	s_cbranch_execz .LBB32_20
.LBB32_1056:                            ;   in Loop: Header=BB32_3 Depth=1
	v_lshl_add_u64 v[44:45], v[20:21], 3, v[0:1]
	global_load_b64 v[44:45], v[44:45], off
	s_wait_loadcnt 0x0
	v_xor_b32_e32 v45, 0x80000000, v45
	ds_store_b64 v84, v[44:45]
	s_or_b32 exec_lo, exec_lo, s51
	s_and_saveexec_b32 s51, s9
	s_delay_alu instid0(SALU_CYCLE_1)
	s_xor_b32 s51, exec_lo, s51
	s_cbranch_execz .LBB32_21
.LBB32_1057:                            ;   in Loop: Header=BB32_3 Depth=1
	s_mov_b32 s52, exec_lo
	v_readlane_b32 s53, v97, 28
	s_and_b32 s53, s52, s53
	s_delay_alu instid0(SALU_CYCLE_1)
	s_mov_b32 exec_lo, s53
; %bb.1058:                             ;   in Loop: Header=BB32_3 Depth=1
	ds_store_b64 v85, v[28:29]
; %bb.1059:                             ;   in Loop: Header=BB32_3 Depth=1
	s_or_b32 exec_lo, exec_lo, s52
	s_and_not1_saveexec_b32 s51, s51
	s_cbranch_execnz .LBB32_22
	s_branch .LBB32_23
.LBB32_1060:                            ;   in Loop: Header=BB32_3 Depth=1
	ds_load_b64 v[40:41], v94
	ds_load_b64 v[42:43], v86
	s_wait_dscnt 0x0
	v_fma_f64 v[40:41], v[40:41], v[42:43], 0
	s_or_b32 exec_lo, exec_lo, s51
	s_and_saveexec_b32 s51, s7
	s_cbranch_execz .LBB32_1015
.LBB32_1061:                            ;   in Loop: Header=BB32_3 Depth=1
	ds_load_b64 v[42:43], v94 offset:8192
	ds_load_b64 v[44:45], v86 offset:128
	s_wait_dscnt 0x0
	v_fmac_f64_e32 v[40:41], v[42:43], v[44:45]
	s_or_b32 exec_lo, exec_lo, s51
	s_and_saveexec_b32 s51, s8
	s_cbranch_execz .LBB32_1016
.LBB32_1062:                            ;   in Loop: Header=BB32_3 Depth=1
	ds_load_b64 v[42:43], v94 offset:16384
	ds_load_b64 v[44:45], v86 offset:256
	s_wait_dscnt 0x0
	v_fmac_f64_e32 v[40:41], v[42:43], v[44:45]
	s_or_b32 exec_lo, exec_lo, s51
	s_and_saveexec_b32 s51, s9
	s_cbranch_execnz .LBB32_1017
	s_branch .LBB32_1018
.LBB32_1063:                            ;   in Loop: Header=BB32_3 Depth=1
	s_or_b32 exec_lo, exec_lo, s85
	s_delay_alu instid0(SALU_CYCLE_1)
	s_and_b32 vcc_lo, exec_lo, s61
	s_cbranch_vccnz .LBB32_1021
.LBB32_1064:                            ;   in Loop: Header=BB32_3 Depth=1
	s_delay_alu instid0(VALU_DEP_1)
	v_mov_b64_e32 v[0:1], v[42:43]
	s_and_saveexec_b32 s51, s84
	s_cbranch_execnz .LBB32_1042
	s_branch .LBB32_1043
.LBB32_1065:                            ;   in Loop: Header=BB32_3 Depth=1
	s_and_not1_b32 s52, s84, exec_lo
	s_and_b32 s53, s1, exec_lo
	s_delay_alu instid0(SALU_CYCLE_1)
	s_or_b32 s84, s52, s53
	s_cbranch_execnz .LBB32_1041
.LBB32_1066:                            ;   in Loop: Header=BB32_3 Depth=1
	v_readlane_b32 s52, v102, 14
	s_and_not1_b32 s51, s84, exec_lo
	s_and_b32 s52, s52, exec_lo
	s_delay_alu instid0(SALU_CYCLE_1) | instskip(NEXT) | instid1(SALU_CYCLE_1)
	s_or_b32 s84, s51, s52
	s_and_saveexec_b32 s51, s84
	s_cbranch_execnz .LBB32_1042
	s_branch .LBB32_1043
.LBB32_1067:                            ;   in Loop: Header=BB32_3 Depth=1
	ds_load_b64 v[44:45], v69 offset:544
	ds_load_b64 v[46:47], v55 offset:8
	s_wait_dscnt 0x0
	v_fmac_f64_e32 v[0:1], v[44:45], v[46:47]
	s_or_b32 exec_lo, exec_lo, s51
	s_and_saveexec_b32 s51, s13
	s_cbranch_execz .LBB32_72
.LBB32_1068:                            ;   in Loop: Header=BB32_3 Depth=1
	ds_load_b64 v[44:45], v68 offset:1056
	ds_load_b64 v[46:47], v55 offset:16
	s_wait_dscnt 0x0
	v_fmac_f64_e32 v[0:1], v[44:45], v[46:47]
	s_or_b32 exec_lo, exec_lo, s51
	s_and_saveexec_b32 s51, s0
	s_cbranch_execnz .LBB32_73
	s_branch .LBB32_74
.LBB32_1069:                            ;   in Loop: Header=BB32_3 Depth=1
	ds_load_b64 v[44:45], v73 offset:576
	ds_load_b64 v[46:47], v58 offset:8
	s_wait_dscnt 0x0
	v_fmac_f64_e32 v[0:1], v[44:45], v[46:47]
	s_or_b32 exec_lo, exec_lo, s51
	s_and_saveexec_b32 s51, s15
	s_cbranch_execz .LBB32_114
.LBB32_1070:                            ;   in Loop: Header=BB32_3 Depth=1
	ds_load_b64 v[44:45], v73 offset:1088
	ds_load_b64 v[46:47], v58 offset:16
	s_wait_dscnt 0x0
	v_fmac_f64_e32 v[0:1], v[44:45], v[46:47]
	s_or_b32 exec_lo, exec_lo, s51
	s_and_saveexec_b32 s51, s16
	s_cbranch_execz .LBB32_115
.LBB32_1071:                            ;   in Loop: Header=BB32_3 Depth=1
	ds_load_b64 v[44:45], v73 offset:1600
	ds_load_b64 v[46:47], v58 offset:24
	s_wait_dscnt 0x0
	v_fmac_f64_e32 v[0:1], v[44:45], v[46:47]
	s_or_b32 exec_lo, exec_lo, s51
	s_and_saveexec_b32 s51, s17
	s_cbranch_execz .LBB32_116
.LBB32_1072:                            ;   in Loop: Header=BB32_3 Depth=1
	ds_load_b64 v[44:45], v72 offset:2112
	ds_load_b64 v[46:47], v58 offset:32
	s_wait_dscnt 0x0
	v_fmac_f64_e32 v[0:1], v[44:45], v[46:47]
	s_or_b32 exec_lo, exec_lo, s51
	s_and_saveexec_b32 s51, s18
	s_cbranch_execz .LBB32_117
.LBB32_1073:                            ;   in Loop: Header=BB32_3 Depth=1
	ds_load_b64 v[44:45], v73 offset:2624
	ds_load_b64 v[46:47], v58 offset:40
	s_wait_dscnt 0x0
	v_fmac_f64_e32 v[0:1], v[44:45], v[46:47]
	s_or_b32 exec_lo, exec_lo, s51
	s_and_saveexec_b32 s51, s2
	s_cbranch_execz .LBB32_118
.LBB32_1074:                            ;   in Loop: Header=BB32_3 Depth=1
	ds_load_b64 v[44:45], v72 offset:3136
	ds_load_b64 v[46:47], v58 offset:48
	s_wait_dscnt 0x0
	v_fmac_f64_e32 v[0:1], v[44:45], v[46:47]
	s_or_b32 exec_lo, exec_lo, s51
	s_and_saveexec_b32 s51, s13
	s_cbranch_execnz .LBB32_119
	s_branch .LBB32_120
.LBB32_1075:                            ;   in Loop: Header=BB32_3 Depth=1
	ds_load_b64 v[44:45], v69 offset:4704
	ds_load_b64 v[46:47], v55 offset:4168
	s_wait_dscnt 0x0
	v_fmac_f64_e32 v[0:1], v[44:45], v[46:47]
	s_or_b32 exec_lo, exec_lo, s51
	s_and_saveexec_b32 s51, s13
	s_cbranch_execz .LBB32_176
.LBB32_1076:                            ;   in Loop: Header=BB32_3 Depth=1
	ds_load_b64 v[44:45], v68 offset:5216
	ds_load_b64 v[46:47], v55 offset:4176
	s_wait_dscnt 0x0
	v_fmac_f64_e32 v[0:1], v[44:45], v[46:47]
	s_or_b32 exec_lo, exec_lo, s51
	s_and_saveexec_b32 s51, s0
	s_cbranch_execnz .LBB32_177
	s_branch .LBB32_178
.LBB32_1077:                            ;   in Loop: Header=BB32_3 Depth=1
	ds_load_b64 v[44:45], v76 offset:5760
	ds_load_b64 v[46:47], v60 offset:88
	s_wait_dscnt 0x0
	v_fmac_f64_e32 v[0:1], v[44:45], v[46:47]
	s_or_b32 exec_lo, exec_lo, s51
	s_and_saveexec_b32 s51, s3
	s_cbranch_execz .LBB32_238
.LBB32_1078:                            ;   in Loop: Header=BB32_3 Depth=1
	ds_load_b64 v[44:45], v75 offset:6272
	ds_load_b64 v[46:47], v60 offset:96
	s_wait_dscnt 0x0
	v_fmac_f64_e32 v[0:1], v[44:45], v[46:47]
	s_or_b32 exec_lo, exec_lo, s51
	s_and_saveexec_b32 s51, s15
	s_cbranch_execz .LBB32_239
.LBB32_1079:                            ;   in Loop: Header=BB32_3 Depth=1
	ds_load_b64 v[44:45], v76 offset:6784
	ds_load_b64 v[46:47], v60 offset:104
	s_wait_dscnt 0x0
	v_fmac_f64_e32 v[0:1], v[44:45], v[46:47]
	s_or_b32 exec_lo, exec_lo, s51
	s_and_saveexec_b32 s51, s17
	s_cbranch_execz .LBB32_240
.LBB32_1080:                            ;   in Loop: Header=BB32_3 Depth=1
	ds_load_b64 v[44:45], v75 offset:7296
	ds_load_b64 v[46:47], v60 offset:112
	s_wait_dscnt 0x0
	v_fmac_f64_e32 v[0:1], v[44:45], v[46:47]
	s_or_b32 exec_lo, exec_lo, s51
	s_and_saveexec_b32 s51, s2
	s_cbranch_execnz .LBB32_241
	s_branch .LBB32_242
.LBB32_1081:                            ;   in Loop: Header=BB32_3 Depth=1
	ds_load_b64 v[44:45], v69 offset:8864
	ds_load_b64 v[46:47], v55 offset:8328
	s_wait_dscnt 0x0
	v_fmac_f64_e32 v[0:1], v[44:45], v[46:47]
	s_or_b32 exec_lo, exec_lo, s51
	s_and_saveexec_b32 s51, s13
	s_cbranch_execz .LBB32_330
.LBB32_1082:                            ;   in Loop: Header=BB32_3 Depth=1
	ds_load_b64 v[44:45], v68 offset:9376
	ds_load_b64 v[46:47], v55 offset:8336
	s_wait_dscnt 0x0
	v_fmac_f64_e32 v[0:1], v[44:45], v[46:47]
	s_or_b32 exec_lo, exec_lo, s51
	s_and_saveexec_b32 s51, s0
	s_cbranch_execnz .LBB32_331
	s_branch .LBB32_332
.LBB32_1083:                            ;   in Loop: Header=BB32_3 Depth=1
	ds_load_b64 v[44:45], v73 offset:8896
	ds_load_b64 v[46:47], v58 offset:8328
	s_wait_dscnt 0x0
	v_fmac_f64_e32 v[0:1], v[44:45], v[46:47]
	s_or_b32 exec_lo, exec_lo, s51
	s_and_saveexec_b32 s51, s15
	s_cbranch_execz .LBB32_372
.LBB32_1084:                            ;   in Loop: Header=BB32_3 Depth=1
	ds_load_b64 v[44:45], v73 offset:9408
	ds_load_b64 v[46:47], v58 offset:8336
	s_wait_dscnt 0x0
	v_fmac_f64_e32 v[0:1], v[44:45], v[46:47]
	s_or_b32 exec_lo, exec_lo, s51
	s_and_saveexec_b32 s51, s16
	s_cbranch_execz .LBB32_373
.LBB32_1085:                            ;   in Loop: Header=BB32_3 Depth=1
	ds_load_b64 v[44:45], v73 offset:9920
	ds_load_b64 v[46:47], v58 offset:8344
	s_wait_dscnt 0x0
	v_fmac_f64_e32 v[0:1], v[44:45], v[46:47]
	s_or_b32 exec_lo, exec_lo, s51
	s_and_saveexec_b32 s51, s17
	s_cbranch_execz .LBB32_374
.LBB32_1086:                            ;   in Loop: Header=BB32_3 Depth=1
	ds_load_b64 v[44:45], v72 offset:10432
	ds_load_b64 v[46:47], v58 offset:8352
	s_wait_dscnt 0x0
	v_fmac_f64_e32 v[0:1], v[44:45], v[46:47]
	s_or_b32 exec_lo, exec_lo, s51
	s_and_saveexec_b32 s51, s18
	s_cbranch_execz .LBB32_375
.LBB32_1087:                            ;   in Loop: Header=BB32_3 Depth=1
	ds_load_b64 v[44:45], v73 offset:10944
	ds_load_b64 v[46:47], v58 offset:8360
	s_wait_dscnt 0x0
	v_fmac_f64_e32 v[0:1], v[44:45], v[46:47]
	s_or_b32 exec_lo, exec_lo, s51
	s_and_saveexec_b32 s51, s2
	s_cbranch_execz .LBB32_376
.LBB32_1088:                            ;   in Loop: Header=BB32_3 Depth=1
	ds_load_b64 v[44:45], v72 offset:11456
	ds_load_b64 v[46:47], v58 offset:8368
	s_wait_dscnt 0x0
	v_fmac_f64_e32 v[0:1], v[44:45], v[46:47]
	s_or_b32 exec_lo, exec_lo, s51
	s_and_saveexec_b32 s51, s13
	s_cbranch_execnz .LBB32_377
	s_branch .LBB32_378
.LBB32_1089:                            ;   in Loop: Header=BB32_3 Depth=1
	ds_load_b64 v[44:45], v69 offset:13024
	ds_load_b64 v[46:47], v55 offset:12488
	s_wait_dscnt 0x0
	v_fmac_f64_e32 v[0:1], v[44:45], v[46:47]
	s_or_b32 exec_lo, exec_lo, s51
	s_and_saveexec_b32 s51, s13
	s_cbranch_execz .LBB32_434
.LBB32_1090:                            ;   in Loop: Header=BB32_3 Depth=1
	ds_load_b64 v[44:45], v68 offset:13536
	ds_load_b64 v[46:47], v55 offset:12496
	s_wait_dscnt 0x0
	v_fmac_f64_e32 v[0:1], v[44:45], v[46:47]
	s_or_b32 exec_lo, exec_lo, s51
	s_and_saveexec_b32 s51, s0
	s_cbranch_execnz .LBB32_435
	s_branch .LBB32_436
.LBB32_1091:                            ;   in Loop: Header=BB32_3 Depth=1
	ds_load_b64 v[44:45], v81 offset:15104
	ds_load_b64 v[46:47], v2 offset:232
	s_wait_dscnt 0x0
	v_fmac_f64_e32 v[0:1], v[44:45], v[46:47]
	s_or_b32 exec_lo, exec_lo, s51
	s_and_saveexec_b32 s51, s3
	s_cbranch_execz .LBB32_532
.LBB32_1092:                            ;   in Loop: Header=BB32_3 Depth=1
	ds_load_b64 v[44:45], v81 offset:15616
	ds_load_b64 v[46:47], v2 offset:240
	s_wait_dscnt 0x0
	v_fmac_f64_e32 v[0:1], v[44:45], v[46:47]
	s_or_b32 exec_lo, exec_lo, s51
	s_and_saveexec_b32 s51, s17
	s_cbranch_execnz .LBB32_533
	s_branch .LBB32_534
.LBB32_1093:                            ;   in Loop: Header=BB32_3 Depth=1
	ds_load_b64 v[44:45], v69 offset:17184
	ds_load_b64 v[46:47], v55 offset:16648
	s_wait_dscnt 0x0
	v_fmac_f64_e32 v[0:1], v[44:45], v[46:47]
	s_or_b32 exec_lo, exec_lo, s51
	s_and_saveexec_b32 s51, s13
	s_cbranch_execz .LBB32_578
.LBB32_1094:                            ;   in Loop: Header=BB32_3 Depth=1
	ds_load_b64 v[44:45], v68 offset:17696
	ds_load_b64 v[46:47], v55 offset:16656
	s_wait_dscnt 0x0
	v_fmac_f64_e32 v[0:1], v[44:45], v[46:47]
	s_or_b32 exec_lo, exec_lo, s51
	s_and_saveexec_b32 s51, s0
	s_cbranch_execnz .LBB32_579
	s_branch .LBB32_580
.LBB32_1095:                            ;   in Loop: Header=BB32_3 Depth=1
	ds_load_b64 v[44:45], v73 offset:17216
	ds_load_b64 v[46:47], v58 offset:16648
	s_wait_dscnt 0x0
	v_fmac_f64_e32 v[0:1], v[44:45], v[46:47]
	s_or_b32 exec_lo, exec_lo, s51
	s_and_saveexec_b32 s51, s15
	s_cbranch_execz .LBB32_620
.LBB32_1096:                            ;   in Loop: Header=BB32_3 Depth=1
	ds_load_b64 v[44:45], v73 offset:17728
	ds_load_b64 v[46:47], v58 offset:16656
	s_wait_dscnt 0x0
	v_fmac_f64_e32 v[0:1], v[44:45], v[46:47]
	s_or_b32 exec_lo, exec_lo, s51
	s_and_saveexec_b32 s51, s16
	s_cbranch_execz .LBB32_621
.LBB32_1097:                            ;   in Loop: Header=BB32_3 Depth=1
	ds_load_b64 v[44:45], v73 offset:18240
	ds_load_b64 v[46:47], v58 offset:16664
	s_wait_dscnt 0x0
	v_fmac_f64_e32 v[0:1], v[44:45], v[46:47]
	s_or_b32 exec_lo, exec_lo, s51
	s_and_saveexec_b32 s51, s17
	s_cbranch_execz .LBB32_622
.LBB32_1098:                            ;   in Loop: Header=BB32_3 Depth=1
	ds_load_b64 v[44:45], v72 offset:18752
	ds_load_b64 v[46:47], v58 offset:16672
	s_wait_dscnt 0x0
	v_fmac_f64_e32 v[0:1], v[44:45], v[46:47]
	s_or_b32 exec_lo, exec_lo, s51
	s_and_saveexec_b32 s51, s18
	s_cbranch_execz .LBB32_623
.LBB32_1099:                            ;   in Loop: Header=BB32_3 Depth=1
	ds_load_b64 v[44:45], v73 offset:19264
	ds_load_b64 v[46:47], v58 offset:16680
	s_wait_dscnt 0x0
	v_fmac_f64_e32 v[0:1], v[44:45], v[46:47]
	s_or_b32 exec_lo, exec_lo, s51
	s_and_saveexec_b32 s51, s2
	s_cbranch_execz .LBB32_624
.LBB32_1100:                            ;   in Loop: Header=BB32_3 Depth=1
	ds_load_b64 v[44:45], v72 offset:19776
	ds_load_b64 v[46:47], v58 offset:16688
	s_wait_dscnt 0x0
	v_fmac_f64_e32 v[0:1], v[44:45], v[46:47]
	s_or_b32 exec_lo, exec_lo, s51
	s_and_saveexec_b32 s51, s13
	s_cbranch_execnz .LBB32_625
	s_branch .LBB32_626
.LBB32_1101:                            ;   in Loop: Header=BB32_3 Depth=1
	ds_load_b64 v[44:45], v69 offset:21344
	ds_load_b64 v[46:47], v55 offset:20808
	s_wait_dscnt 0x0
	v_fmac_f64_e32 v[0:1], v[44:45], v[46:47]
	s_or_b32 exec_lo, exec_lo, s51
	s_and_saveexec_b32 s51, s13
	s_cbranch_execz .LBB32_682
.LBB32_1102:                            ;   in Loop: Header=BB32_3 Depth=1
	ds_load_b64 v[44:45], v68 offset:21856
	ds_load_b64 v[46:47], v55 offset:20816
	s_wait_dscnt 0x0
	v_fmac_f64_e32 v[0:1], v[44:45], v[46:47]
	s_or_b32 exec_lo, exec_lo, s51
	s_and_saveexec_b32 s51, s0
	s_cbranch_execnz .LBB32_683
	s_branch .LBB32_684
.LBB32_1103:                            ;   in Loop: Header=BB32_3 Depth=1
	ds_load_b64 v[44:45], v76 offset:22400
	ds_load_b64 v[46:47], v60 offset:16728
	s_wait_dscnt 0x0
	v_fmac_f64_e32 v[0:1], v[44:45], v[46:47]
	s_or_b32 exec_lo, exec_lo, s51
	s_and_saveexec_b32 s51, s3
	s_cbranch_execz .LBB32_744
.LBB32_1104:                            ;   in Loop: Header=BB32_3 Depth=1
	ds_load_b64 v[44:45], v75 offset:22912
	ds_load_b64 v[46:47], v60 offset:16736
	s_wait_dscnt 0x0
	v_fmac_f64_e32 v[0:1], v[44:45], v[46:47]
	s_or_b32 exec_lo, exec_lo, s51
	s_and_saveexec_b32 s51, s15
	s_cbranch_execz .LBB32_745
.LBB32_1105:                            ;   in Loop: Header=BB32_3 Depth=1
	ds_load_b64 v[44:45], v76 offset:23424
	ds_load_b64 v[46:47], v60 offset:16744
	s_wait_dscnt 0x0
	v_fmac_f64_e32 v[0:1], v[44:45], v[46:47]
	s_or_b32 exec_lo, exec_lo, s51
	s_and_saveexec_b32 s51, s17
	s_cbranch_execz .LBB32_746
.LBB32_1106:                            ;   in Loop: Header=BB32_3 Depth=1
	ds_load_b64 v[44:45], v75 offset:23936
	ds_load_b64 v[46:47], v60 offset:16752
	s_wait_dscnt 0x0
	v_fmac_f64_e32 v[0:1], v[44:45], v[46:47]
	s_or_b32 exec_lo, exec_lo, s51
	s_and_saveexec_b32 s51, s2
	s_cbranch_execnz .LBB32_747
	s_branch .LBB32_748
.LBB32_1107:                            ;   in Loop: Header=BB32_3 Depth=1
	ds_load_b64 v[44:45], v69 offset:25504
	ds_load_b64 v[46:47], v55 offset:24968
	s_wait_dscnt 0x0
	v_fmac_f64_e32 v[0:1], v[44:45], v[46:47]
	s_or_b32 exec_lo, exec_lo, s51
	s_and_saveexec_b32 s51, s13
	s_cbranch_execz .LBB32_836
.LBB32_1108:                            ;   in Loop: Header=BB32_3 Depth=1
	ds_load_b64 v[44:45], v68 offset:26016
	ds_load_b64 v[46:47], v55 offset:24976
	s_wait_dscnt 0x0
	v_fmac_f64_e32 v[0:1], v[44:45], v[46:47]
	s_or_b32 exec_lo, exec_lo, s51
	s_and_saveexec_b32 s51, s0
	s_cbranch_execnz .LBB32_837
	s_branch .LBB32_838
.LBB32_1109:                            ;   in Loop: Header=BB32_3 Depth=1
	ds_load_b64 v[44:45], v73 offset:25536
	ds_load_b64 v[46:47], v58 offset:24968
	s_wait_dscnt 0x0
	v_fmac_f64_e32 v[0:1], v[44:45], v[46:47]
	s_or_b32 exec_lo, exec_lo, s51
	s_and_saveexec_b32 s51, s15
	s_cbranch_execz .LBB32_878
.LBB32_1110:                            ;   in Loop: Header=BB32_3 Depth=1
	ds_load_b64 v[44:45], v73 offset:26048
	ds_load_b64 v[46:47], v58 offset:24976
	s_wait_dscnt 0x0
	v_fmac_f64_e32 v[0:1], v[44:45], v[46:47]
	s_or_b32 exec_lo, exec_lo, s51
	s_and_saveexec_b32 s51, s16
	s_cbranch_execz .LBB32_879
.LBB32_1111:                            ;   in Loop: Header=BB32_3 Depth=1
	ds_load_b64 v[44:45], v73 offset:26560
	ds_load_b64 v[46:47], v58 offset:24984
	s_wait_dscnt 0x0
	v_fmac_f64_e32 v[0:1], v[44:45], v[46:47]
	s_or_b32 exec_lo, exec_lo, s51
	s_and_saveexec_b32 s51, s17
	s_cbranch_execz .LBB32_880
.LBB32_1112:                            ;   in Loop: Header=BB32_3 Depth=1
	ds_load_b64 v[44:45], v72 offset:27072
	ds_load_b64 v[46:47], v58 offset:24992
	s_wait_dscnt 0x0
	v_fmac_f64_e32 v[0:1], v[44:45], v[46:47]
	s_or_b32 exec_lo, exec_lo, s51
	s_and_saveexec_b32 s51, s18
	s_cbranch_execz .LBB32_881
.LBB32_1113:                            ;   in Loop: Header=BB32_3 Depth=1
	ds_load_b64 v[44:45], v73 offset:27584
	ds_load_b64 v[46:47], v58 offset:25000
	s_wait_dscnt 0x0
	v_fmac_f64_e32 v[0:1], v[44:45], v[46:47]
	s_or_b32 exec_lo, exec_lo, s51
	s_and_saveexec_b32 s51, s2
	s_cbranch_execz .LBB32_882
.LBB32_1114:                            ;   in Loop: Header=BB32_3 Depth=1
	ds_load_b64 v[44:45], v72 offset:28096
	ds_load_b64 v[46:47], v58 offset:25008
	s_wait_dscnt 0x0
	v_fmac_f64_e32 v[0:1], v[44:45], v[46:47]
	s_or_b32 exec_lo, exec_lo, s51
	s_and_saveexec_b32 s51, s13
	s_cbranch_execnz .LBB32_883
	s_branch .LBB32_884
.LBB32_1115:                            ;   in Loop: Header=BB32_3 Depth=1
	ds_load_b64 v[44:45], v69 offset:29664
	ds_load_b64 v[46:47], v55 offset:29128
	s_wait_dscnt 0x0
	v_fmac_f64_e32 v[0:1], v[44:45], v[46:47]
	s_or_b32 exec_lo, exec_lo, s51
	s_and_saveexec_b32 s51, s13
	s_cbranch_execz .LBB32_940
.LBB32_1116:                            ;   in Loop: Header=BB32_3 Depth=1
	ds_load_b64 v[44:45], v68 offset:30176
	ds_load_b64 v[46:47], v55 offset:29136
	s_wait_dscnt 0x0
	v_fmac_f64_e32 v[0:1], v[44:45], v[46:47]
	s_or_b32 exec_lo, exec_lo, s51
	s_and_saveexec_b32 s51, s0
	s_cbranch_execnz .LBB32_941
	s_branch .LBB32_942
.LBB32_1117:
	s_endpgm
	.section	.rodata,"a",@progbits
	.p2align	6, 0x0
	.amdhsa_kernel _ZL19rocblas_trsv_deviceILi64ELi16ELb1ELb1ELb0ELb1EdPKdS1_PdEviT7_lllT6_T8_lllPii
		.amdhsa_group_segment_fixed_size 41480
		.amdhsa_private_segment_fixed_size 0
		.amdhsa_kernarg_size 352
		.amdhsa_user_sgpr_count 2
		.amdhsa_user_sgpr_dispatch_ptr 0
		.amdhsa_user_sgpr_queue_ptr 0
		.amdhsa_user_sgpr_kernarg_segment_ptr 1
		.amdhsa_user_sgpr_dispatch_id 0
		.amdhsa_user_sgpr_kernarg_preload_length 0
		.amdhsa_user_sgpr_kernarg_preload_offset 0
		.amdhsa_user_sgpr_private_segment_size 0
		.amdhsa_wavefront_size32 1
		.amdhsa_uses_dynamic_stack 0
		.amdhsa_enable_private_segment 0
		.amdhsa_system_sgpr_workgroup_id_x 1
		.amdhsa_system_sgpr_workgroup_id_y 0
		.amdhsa_system_sgpr_workgroup_id_z 1
		.amdhsa_system_sgpr_workgroup_info 0
		.amdhsa_system_vgpr_workitem_id 1
		.amdhsa_next_free_vgpr 103
		.amdhsa_next_free_sgpr 105
		.amdhsa_named_barrier_count 0
		.amdhsa_reserve_vcc 1
		.amdhsa_float_round_mode_32 0
		.amdhsa_float_round_mode_16_64 0
		.amdhsa_float_denorm_mode_32 3
		.amdhsa_float_denorm_mode_16_64 3
		.amdhsa_fp16_overflow 0
		.amdhsa_memory_ordered 1
		.amdhsa_forward_progress 1
		.amdhsa_inst_pref_size 241
		.amdhsa_round_robin_scheduling 0
		.amdhsa_exception_fp_ieee_invalid_op 0
		.amdhsa_exception_fp_denorm_src 0
		.amdhsa_exception_fp_ieee_div_zero 0
		.amdhsa_exception_fp_ieee_overflow 0
		.amdhsa_exception_fp_ieee_underflow 0
		.amdhsa_exception_fp_ieee_inexact 0
		.amdhsa_exception_int_div_zero 0
	.end_amdhsa_kernel
	.section	.text._ZL19rocblas_trsv_deviceILi64ELi16ELb1ELb1ELb0ELb1EdPKdS1_PdEviT7_lllT6_T8_lllPii,"axG",@progbits,_ZL19rocblas_trsv_deviceILi64ELi16ELb1ELb1ELb0ELb1EdPKdS1_PdEviT7_lllT6_T8_lllPii,comdat
.Lfunc_end32:
	.size	_ZL19rocblas_trsv_deviceILi64ELi16ELb1ELb1ELb0ELb1EdPKdS1_PdEviT7_lllT6_T8_lllPii, .Lfunc_end32-_ZL19rocblas_trsv_deviceILi64ELi16ELb1ELb1ELb0ELb1EdPKdS1_PdEviT7_lllT6_T8_lllPii
                                        ; -- End function
	.set _ZL19rocblas_trsv_deviceILi64ELi16ELb1ELb1ELb0ELb1EdPKdS1_PdEviT7_lllT6_T8_lllPii.num_vgpr, 103
	.set _ZL19rocblas_trsv_deviceILi64ELi16ELb1ELb1ELb0ELb1EdPKdS1_PdEviT7_lllT6_T8_lllPii.num_agpr, 0
	.set _ZL19rocblas_trsv_deviceILi64ELi16ELb1ELb1ELb0ELb1EdPKdS1_PdEviT7_lllT6_T8_lllPii.numbered_sgpr, 105
	.set _ZL19rocblas_trsv_deviceILi64ELi16ELb1ELb1ELb0ELb1EdPKdS1_PdEviT7_lllT6_T8_lllPii.num_named_barrier, 0
	.set _ZL19rocblas_trsv_deviceILi64ELi16ELb1ELb1ELb0ELb1EdPKdS1_PdEviT7_lllT6_T8_lllPii.private_seg_size, 0
	.set _ZL19rocblas_trsv_deviceILi64ELi16ELb1ELb1ELb0ELb1EdPKdS1_PdEviT7_lllT6_T8_lllPii.uses_vcc, 1
	.set _ZL19rocblas_trsv_deviceILi64ELi16ELb1ELb1ELb0ELb1EdPKdS1_PdEviT7_lllT6_T8_lllPii.uses_flat_scratch, 0
	.set _ZL19rocblas_trsv_deviceILi64ELi16ELb1ELb1ELb0ELb1EdPKdS1_PdEviT7_lllT6_T8_lllPii.has_dyn_sized_stack, 0
	.set _ZL19rocblas_trsv_deviceILi64ELi16ELb1ELb1ELb0ELb1EdPKdS1_PdEviT7_lllT6_T8_lllPii.has_recursion, 0
	.set _ZL19rocblas_trsv_deviceILi64ELi16ELb1ELb1ELb0ELb1EdPKdS1_PdEviT7_lllT6_T8_lllPii.has_indirect_call, 0
	.section	.AMDGPU.csdata,"",@progbits
; Kernel info:
; codeLenInByte = 30824
; TotalNumSgprs: 107
; NumVgprs: 103
; ScratchSize: 0
; MemoryBound: 0
; FloatMode: 240
; IeeeMode: 1
; LDSByteSize: 41480 bytes/workgroup (compile time only)
; SGPRBlocks: 0
; VGPRBlocks: 6
; NumSGPRsForWavesPerEU: 107
; NumVGPRsForWavesPerEU: 103
; NamedBarCnt: 0
; Occupancy: 9
; WaveLimiterHint : 0
; COMPUTE_PGM_RSRC2:SCRATCH_EN: 0
; COMPUTE_PGM_RSRC2:USER_SGPR: 2
; COMPUTE_PGM_RSRC2:TRAP_HANDLER: 0
; COMPUTE_PGM_RSRC2:TGID_X_EN: 1
; COMPUTE_PGM_RSRC2:TGID_Y_EN: 0
; COMPUTE_PGM_RSRC2:TGID_Z_EN: 1
; COMPUTE_PGM_RSRC2:TIDIG_COMP_CNT: 1
	.section	.text._ZL19rocblas_trsv_deviceILi64ELi16ELb1ELb1ELb1ELb1EdPKdS1_PdEviT7_lllT6_T8_lllPii,"axG",@progbits,_ZL19rocblas_trsv_deviceILi64ELi16ELb1ELb1ELb1ELb1EdPKdS1_PdEviT7_lllT6_T8_lllPii,comdat
	.globl	_ZL19rocblas_trsv_deviceILi64ELi16ELb1ELb1ELb1ELb1EdPKdS1_PdEviT7_lllT6_T8_lllPii ; -- Begin function _ZL19rocblas_trsv_deviceILi64ELi16ELb1ELb1ELb1ELb1EdPKdS1_PdEviT7_lllT6_T8_lllPii
	.p2align	8
	.type	_ZL19rocblas_trsv_deviceILi64ELi16ELb1ELb1ELb1ELb1EdPKdS1_PdEviT7_lllT6_T8_lllPii,@function
_ZL19rocblas_trsv_deviceILi64ELi16ELb1ELb1ELb1ELb1EdPKdS1_PdEviT7_lllT6_T8_lllPii: ; @_ZL19rocblas_trsv_deviceILi64ELi16ELb1ELb1ELb1ELb1EdPKdS1_PdEviT7_lllT6_T8_lllPii
; %bb.0:
	s_load_b32 s6, s[0:1], 0x58
	s_bfe_u32 s2, ttmp6, 0x40014
	s_lshr_b32 s3, ttmp7, 16
	s_add_co_i32 s2, s2, 1
	s_bfe_u32 s5, ttmp6, 0x40008
	s_mul_i32 s4, s3, s2
	s_getreg_b32 s2, hwreg(HW_REG_IB_STS2, 6, 4)
	s_add_co_i32 s5, s5, s4
	s_cmp_eq_u32 s2, 0
	s_mov_b32 s77, 0
	s_cselect_b32 s76, s3, s5
                                        ; implicit-def: $vgpr102 : SGPR spill to VGPR lane
	s_wait_kmcnt 0x0
	s_cmp_ge_u32 s76, s6
	v_writelane_b32 v102, s6, 0
	s_cbranch_scc1 .LBB33_1117
; %bb.1:
	s_clause 0x3
	s_load_b512 s[56:71], s[0:1], 0x8
	s_load_b32 s3, s[0:1], 0x6c
	s_load_b32 s88, s[0:1], 0x60
	;; [unrolled: 1-line block ×3, first 2 shown]
	s_bfe_u32 s5, ttmp6, 0x4000c
	s_and_b32 s4, ttmp6, 15
	s_add_co_i32 s5, s5, 1
	s_load_b128 s[72:75], s[0:1], 0x48
	s_mul_i32 s5, ttmp9, s5
	v_and_b32_e32 v6, 0x3ff, v0
	s_add_co_i32 s4, s4, s5
	v_bfe_u32 v4, v0, 10, 10
	v_mov_b32_e32 v9, 0
                                        ; implicit-def: $vgpr97 : SGPR spill to VGPR lane
	s_delay_alu instid0(VALU_DEP_3) | instskip(SKIP_1) | instid1(VALU_DEP_3)
	v_dual_lshlrev_b32 v3, 6, v6 :: v_dual_bitop2_b32 v17, 3, v0 bitop3:0x40
	v_and_b32_e32 v77, 31, v0
	v_dual_mov_b32 v11, v9 :: v_dual_add_nc_u32 v8, 16, v4
	v_lshl_add_u32 v1, v4, 6, v6
	v_dual_add_nc_u32 v22, 32, v4 :: v_dual_add_nc_u32 v24, 48, v4
	s_wait_kmcnt 0x0
	s_lshl_b64 s[12:13], s[58:59], 3
	s_lshl_b64 s[14:15], s[68:69], 3
	s_cmp_eq_u32 s2, 0
	v_add_nc_u32_e32 v7, v8, v3
	s_cselect_b32 s87, ttmp9, s4
	s_add_co_i32 s1, s78, -1
	s_ashr_i32 s79, s78, 31
	s_ashr_i32 s2, s1, 31
	s_and_b32 s0, s3, 0xffff
	s_lshr_b32 s3, s79, 26
	s_lshr_b32 s2, s2, 26
	s_add_co_i32 s3, s78, s3
	s_add_co_i32 s88, s88, -1
	s_add_co_i32 s1, s1, s2
	s_and_not1_b32 s3, s3, 63
	s_sub_co_i32 s9, s88, s87
	s_ashr_i32 s1, s1, 6
	s_sub_co_i32 s18, s78, s3
	s_cmp_eq_u32 s1, s9
	v_mad_u32_u24 v10, v4, s0, v6
	s_cselect_b32 s1, -1, 0
	s_cmp_lg_u32 s18, 0
	v_lshl_add_u32 v12, v8, 6, v6
	s_cselect_b32 s2, -1, 0
	v_cmp_gt_u32_e64 s3, 2, v6
	s_and_b32 s30, s2, s1
	v_and_b32_e32 v18, 7, v0
	s_xor_b32 s89, s30, -1
	s_cmp_lg_u32 s87, 0
	v_and_b32_e32 v19, 15, v0
	s_cselect_b32 s0, -1, 0
	s_lshl_b32 s16, s9, 6
	s_cmp_lt_i32 s87, 5
	v_dual_add_nc_u32 v5, v4, v3 :: v_dual_add_nc_u32 v2, s16, v6
	s_cselect_b32 vcc_lo, -1, 0
	v_and_b32_e32 v16, 1, v0
	v_add_nc_u32_e32 v20, s16, v4
	v_writelane_b32 v102, s0, 1
	s_add_nc_u64 s[0:1], s[60:61], 1
	s_ashr_i32 s17, s16, 31
	v_cndmask_b32_e32 v5, v1, v5, vcc_lo
	v_cmp_eq_u32_e64 s2, 1, v16
	s_or_b32 vcc_lo, vcc_lo, s30
	s_mul_u64 s[10:11], s[0:1], s[16:17]
	v_cndmask_b32_e32 v21, v12, v7, vcc_lo
	v_cmp_gt_u32_e64 s0, 4, v1
	s_xor_b32 s4, s2, -1
	v_cmp_eq_u32_e64 s1, 0, v4
	v_cmp_eq_u32_e64 s5, 1, v17
	v_cmp_lt_u32_e64 s6, 1, v17
	s_and_b32 s92, s4, s0
	s_and_b32 s93, s2, s0
	v_cmp_gt_u32_e64 s2, 16, v1
	v_cmp_eq_u32_e64 s4, 0, v17
	s_and_b32 s94, s1, s3
	v_cmp_ne_u32_e64 s3, 0, v17
	v_add_nc_u32_e32 v7, v22, v3
	s_and_b32 s97, s5, s2
	s_and_b32 s95, s4, s2
	v_cmp_eq_u32_e64 s4, 2, v17
	s_and_b32 s96, s3, s2
	v_cmp_gt_u32_e64 s3, 64, v1
	s_and_b32 s98, s6, s2
	v_cmp_gt_u32_e64 s5, 4, v6
	s_and_b32 s99, s4, s2
	v_cmp_eq_u32_e64 s4, 3, v17
	v_cmp_eq_u32_e64 s6, 0, v18
	v_cmp_ne_u32_e64 s7, 0, v18
	s_and_b32 s101, s1, s5
	v_cmp_lt_u32_e64 s5, 1, v18
	s_and_b32 s100, s4, s2
	v_cmp_eq_u32_e64 s4, 1, v18
	s_and_b32 s102, s6, s3
	s_and_b32 s103, s7, s3
	v_cmp_lt_u32_e64 s6, 2, v18
	v_cmp_eq_u32_e64 s7, 3, v18
	s_and_b32 s104, s4, s3
	v_cmp_eq_u32_e64 s4, 2, v18
	s_and_b32 vcc_hi, s5, s3
	v_cmp_lt_u32_e64 s5, 3, v18
	s_and_b32 s33, s6, s3
	s_and_b32 s34, s7, s3
	;; [unrolled: 1-line block ×3, first 2 shown]
	v_cmp_eq_u32_e64 s4, 4, v18
	v_cmp_eq_u32_e64 s6, 5, v18
	v_cmp_lt_u32_e64 s7, 5, v18
	s_and_b32 s35, s5, s3
	v_cmp_lt_u32_e64 s5, 4, v18
	s_and_b32 s36, s4, s3
	v_cmp_eq_u32_e64 s4, 6, v18
	s_and_b32 s38, s6, s3
	s_and_b32 s39, s7, s3
	v_cmp_gt_u32_e64 s6, 8, v6
	v_add_nc_u32_e32 v3, v24, v3
	s_and_b32 s40, s4, s3
	v_cmp_gt_u32_e64 s4, 0x100, v1
	v_cmp_eq_u32_e64 s7, 0, v19
	s_and_b32 s37, s5, s3
	v_cmp_eq_u32_e64 s5, 7, v18
	v_cmp_ne_u32_e64 s8, 0, v19
	s_and_b32 s42, s1, s6
	s_and_b32 s6, s7, s4
	v_cmp_lt_u32_e64 s7, 2, v19
	v_writelane_b32 v102, s6, 2
	s_and_b32 s41, s5, s3
	v_cmp_eq_u32_e64 s5, 1, v19
	s_and_b32 s6, s8, s4
	v_cmp_eq_u32_e64 s8, 3, v19
	v_writelane_b32 v102, s6, 3
	v_cmp_lt_u32_e64 s6, 1, v19
	s_and_b32 s5, s5, s4
	v_add_nc_u64_e32 v[14:15], s[16:17], v[10:11]
	v_lshl_add_u32 v11, v22, 6, v6
	v_writelane_b32 v102, s5, 4
	v_cmp_eq_u32_e64 s5, 2, v19
	s_and_b32 s6, s6, s4
	v_lshl_add_u32 v12, v24, 6, v6
	v_dual_cndmask_b32 v23, v11, v7, vcc_lo :: v_dual_lshlrev_b32 v7, 3, v6
	v_writelane_b32 v102, s6, 5
	s_and_b32 s5, s5, s4
	v_cmp_lt_u32_e64 s6, 3, v19
	s_xor_b32 s91, vcc_lo, -1
	v_mad_u32_u24 v11, 0x1f8, v6, v7
	v_writelane_b32 v102, s5, 6
	s_and_b32 s5, s7, s4
	s_and_b32 s6, s6, s4
	v_cmp_eq_u32_e64 s7, 5, v19
	v_mad_i32_i24 v48, 0xfffffe08, v6, v11
	v_writelane_b32 v102, s5, 7
	s_and_b32 s5, s8, s4
	v_cmp_lt_u32_e64 s8, 5, v19
	v_dual_cndmask_b32 v25, v12, v3 :: v_dual_lshrrev_b32 v26, 2, v1
	v_writelane_b32 v102, s5, 8
	v_cmp_eq_u32_e64 s5, 4, v19
	s_and_b32 s54, s8, s4
	v_cmp_eq_u32_e64 s8, 8, v19
	v_mad_u32_u24 v49, 0x1f8, v6, v48
	v_writelane_b32 v102, s6, 9
	v_cmp_lt_u32_e64 s6, 4, v19
	s_and_b32 s5, s5, s4
	v_cmp_eq_u32_e32 vcc_lo, 14, v19
	s_and_b32 s27, s8, s4
	v_writelane_b32 v102, s5, 10
	s_and_b32 s6, s6, s4
	v_cmp_eq_u32_e64 s5, 6, v19
	v_cmp_lt_u32_e64 s8, 10, v19
	v_mad_i32_i24 v50, 0xfffffe08, v6, v49
	v_writelane_b32 v102, s6, 11
	s_and_b32 s6, s7, s4
	s_and_b32 s19, s5, s4
	v_cmp_eq_u32_e64 s5, 7, v19
	v_cmp_lt_u32_e64 s7, 7, v19
	v_writelane_b32 v102, s6, 12
	v_cmp_lt_u32_e64 s6, 6, v19
	s_and_b32 s45, vcc_lo, s4
	s_and_b32 s23, s5, s4
	v_cmp_eq_u32_e64 s5, 9, v19
	s_and_b32 s25, s7, s4
	s_and_b32 s21, s6, s4
	v_cmp_lt_u32_e64 s6, 8, v19
	v_cmp_eq_u32_e64 s7, 10, v19
	s_and_b32 s58, s5, s4
	v_cmp_eq_u32_e64 s5, 11, v19
	v_cmp_gt_u32_e32 vcc_lo, 32, v6
	s_and_b32 s29, s6, s4
	v_cmp_lt_u32_e64 s6, 9, v19
	s_and_b32 s20, s7, s4
	s_and_b32 s24, s5, s4
	v_cmp_eq_u32_e64 s5, 12, v19
	v_cmp_lt_u32_e64 s7, 12, v19
	s_and_b32 s59, s6, s4
	v_cmp_lt_u32_e64 s6, 11, v19
	s_and_b32 s22, s8, s4
	s_and_b32 s28, s5, s4
	s_and_b32 s90, s7, s4
	v_cmp_eq_u32_e64 s5, 15, v19
	s_and_b32 s26, s6, s4
	v_cmp_lt_u32_e64 s6, 13, v19
	v_cmp_gt_u32_e64 s7, 16, v6
	v_cmp_eq_u32_e64 s8, 13, v19
	v_mad_u32_u24 v51, 0x1f8, v6, v50
	s_and_b32 s46, s5, s4
	s_and_b32 s44, s6, s4
	v_cmp_le_i32_e64 s6, s18, v6
	s_and_b32 s48, s1, s7
	s_and_b32 s7, s1, vcc_lo
	v_cmp_le_i32_e32 vcc_lo, s18, v4
	s_and_b32 s43, s8, s4
	s_and_b32 s47, s6, s30
	v_mad_i32_i24 v52, 0xfffffe08, v6, v51
	s_xor_b32 s5, s47, -1
	v_writelane_b32 v102, s7, 13
	s_and_b32 s49, s1, s5
	s_cmp_gt_i32 s87, 0
	v_mad_u32_u24 v53, 0x1f8, v6, v52
	s_cselect_b32 s50, -1, 0
	s_or_b32 s7, vcc_lo, s6
	v_cmp_le_i32_e32 vcc_lo, s18, v8
	v_dual_add_nc_u32 v12, 64, v20 :: v_dual_lshrrev_b32 v27, 1, v1
	v_mad_i32_i24 v54, 0xfffffe08, v6, v53
	v_dual_lshrrev_b32 v28, 10, v0 :: v_dual_lshlrev_b32 v29, 3, v26
	s_or_b32 s8, vcc_lo, s6
	v_cmp_le_i32_e32 vcc_lo, s18, v22
	s_delay_alu instid0(VALU_DEP_3)
	v_mad_u32_u24 v57, 0x1f8, v6, v54
	v_add_nc_u32_e32 v39, 0x50, v20
	v_dual_lshlrev_b32 v16, 3, v16 :: v_dual_ashrrev_i32 v3, 31, v2
	s_or_b32 s16, vcc_lo, s6
	v_cmp_le_i32_e32 vcc_lo, s18, v24
	v_mad_i32_i24 v59, 0xfffffe08, v6, v57
	v_bitop3_b32 v40, v0, v28, 0x3ff bitop3:0xa8
	v_lshlrev_b32_e32 v70, 3, v19
	v_add_nc_u32_e32 v0, 0x60, v20
	s_or_b32 s17, vcc_lo, s6
	v_cmp_gt_i32_e32 vcc_lo, s18, v6
	v_mad_u32_u24 v61, 0x1f8, v6, v59
	v_dual_lshlrev_b32 v63, 3, v17 :: v_dual_lshlrev_b32 v67, 3, v18
	v_lshl_or_b32 v64, v27, 9, v16
	s_and_b32 s5, s1, vcc_lo
	v_cmp_gt_i32_e32 vcc_lo, s78, v12
	v_writelane_b32 v102, s5, 14
	v_cmp_gt_i32_e64 s5, s78, v2
	v_mad_i32_i24 v79, 0xfffffe08, v6, v61
	v_mul_u64_e32 v[16:17], s[60:61], v[2:3]
	v_mul_u64_e32 v[18:19], s[70:71], v[2:3]
	v_add_nc_u32_e32 v2, 0x70, v20
	s_and_b32 s6, vcc_lo, s5
	v_cmp_gt_i32_e32 vcc_lo, s78, v39
	v_writelane_b32 v102, s6, 15
	v_mad_u32_u24 v80, 0x1f8, v6, v79
	v_dual_lshlrev_b32 v85, 3, v25 :: v_dual_mov_b32 v25, v9
	s_and_b32 s6, vcc_lo, s5
	v_cmp_gt_i32_e32 vcc_lo, s78, v0
	v_writelane_b32 v102, s6, 16
	s_add_nc_u64 s[68:69], s[56:57], s[12:13]
	s_add_co_i32 s57, s9, 1
	v_cmp_gt_u32_e64 s30, 0xf0, v1
	s_and_b32 s6, vcc_lo, s5
	v_cmp_gt_i32_e32 vcc_lo, s78, v2
	v_writelane_b32 v102, s6, 17
	v_cmp_gt_u32_e64 s51, 0x3e0, v1
	v_dual_lshrrev_b32 v30, 3, v1 :: v_dual_lshrrev_b32 v31, 4, v1
	s_and_b32 s6, vcc_lo, s5
	v_mul_u32_u24_e32 v55, 0x208, v26
	v_writelane_b32 v102, s6, 18
	v_cmp_le_u32_e64 s6, v6, v4
	v_dual_lshrrev_b32 v35, 5, v1 :: v_dual_bitop2_b32 v33, -8, v1 bitop3:0x40
	v_mul_u32_u24_e32 v58, 0x208, v30
	v_dual_sub_nc_u32 v32, v55, v29 :: v_dual_lshlrev_b32 v34, 3, v31
	s_or_b32 s7, s7, s6
	v_mul_u32_u24_e32 v60, 0x208, v31
	v_writelane_b32 v102, s7, 19
	v_cmp_le_u32_e64 s7, v6, v8
	v_dual_sub_nc_u32 v37, v58, v33 :: v_dual_lshlrev_b32 v78, 9, v35
	s_delay_alu instid0(VALU_DEP_4) | instskip(SKIP_1) | instid1(VALU_DEP_2)
	v_dual_lshlrev_b32 v0, 3, v4 :: v_dual_sub_nc_u32 v38, v60, v34
	s_or_b32 s8, s8, s7
	v_dual_add_nc_u32 v73, v37, v67 :: v_dual_lshlrev_b32 v3, 3, v77
	v_writelane_b32 v102, s8, 20
	v_cmp_le_u32_e64 s8, v6, v22
	v_add_nc_u32_e32 v66, 0x8000, v29
	v_add_nc_u32_e32 v74, 0x8000, v34
	v_dual_lshlrev_b32 v82, 3, v5 :: v_dual_bitop2_b32 v81, v78, v3 bitop3:0x54
	s_or_b32 s9, s16, s8
	v_mov_b32_e32 v5, v9
	v_writelane_b32 v102, s9, 21
	v_cmp_le_u32_e64 s9, v6, v24
	v_dual_lshlrev_b32 v83, 3, v21 :: v_dual_lshlrev_b32 v84, 3, v23
	v_mov_b32_e32 v23, v9
	v_lshl_add_u32 v56, v27, 3, 0x8000
	s_or_b32 s12, s17, s9
	v_mul_u32_u24_e32 v65, 0x208, v27
	v_writelane_b32 v102, s12, 22
	v_lshl_or_b32 v68, v26, 9, v63
	v_mul_u64_e32 v[14:15], s[70:71], v[14:15]
	v_or_b32_e32 v86, 0xa000, v0
	v_or_b32_e32 v41, v22, v6
	v_writelane_b32 v102, s30, 23
	v_cmp_gt_u32_e64 s30, 0xe0, v1
	v_mul_u64_e32 v[20:21], s[60:61], v[22:23]
	v_dual_add_nc_u32 v95, v86, v7 :: v_dual_bitop2_b32 v42, v24, v6 bitop3:0x54
	v_mul_u64_e32 v[22:23], s[60:61], v[24:25]
	s_delay_alu instid0(VALU_DEP_4)
	v_writelane_b32 v102, s30, 24
	v_cmp_gt_u32_e64 s30, 0xd0, v1
	v_mul_u64_e32 v[24:25], s[60:61], v[8:9]
	v_mul_u64_e32 v[26:27], s[60:61], v[4:5]
	v_mul_i32_i24_e32 v36, 0xfffffe08, v6
	v_add_nc_u32_e32 v87, v80, v0
	v_writelane_b32 v102, s30, 25
	v_cmp_gt_u32_e64 s30, 0xc0, v1
	v_dual_lshlrev_b32 v8, 3, v6 :: v_dual_bitop2_b32 v2, v8, v6 bitop3:0x54
	v_mad_u32_u24 v0, 0x1f8, v6, v36
	v_dual_lshlrev_b32 v62, 3, v35 :: v_dual_ashrrev_i32 v13, 31, v12
	s_delay_alu instid0(VALU_DEP_4) | instskip(SKIP_1) | instid1(VALU_DEP_4)
	v_writelane_b32 v102, s30, 26
	v_cmp_gt_u32_e64 s30, 0xb0, v1
	v_mul_lo_u32 v0, v0, 7
	v_lshl_or_b32 v72, v30, 9, v67
	v_lshl_or_b32 v75, v31, 9, v70
	v_cmp_lt_u32_e32 vcc_lo, 0x3ff, v1
	v_writelane_b32 v102, s30, 27
	v_cmp_gt_u32_e64 s30, 0xa0, v1
	v_mov_b64_e32 v[28:29], 0
	v_mov_b64_e32 v[30:31], 1.0
	s_add_nc_u64 s[66:67], s[66:67], s[14:15]
	v_dual_add_nc_u32 v69, v32, v63 :: v_dual_add_nc_u32 v76, v38, v70
	v_writelane_b32 v102, s30, 28
	v_cmp_gt_u32_e64 s30, 0x90, v1
	v_add_nc_u32_e32 v71, 0x8000, v33
	v_or_b32_e32 v88, 0x4100, v3
	v_add3_u32 v89, v7, v0, 0x7800
	s_lshl_b64 s[80:81], s[10:11], 3
	v_writelane_b32 v102, s30, 29
	v_cmp_gt_u32_e64 s30, 0x80, v1
	v_add_nc_u32_e32 v90, 0x8000, v62
	v_lshl_add_u32 v91, v10, 3, 0xa000
	v_lshl_add_u32 v92, v1, 3, 0x8000
	v_add_nc_u32_e32 v93, 0x8000, v7
	v_writelane_b32 v102, s30, 30
	v_cmp_gt_u32_e64 s30, 0x70, v1
	v_lshl_add_u32 v94, v4, 9, v59
	v_subrev_nc_u32_e32 v96, 63, v6
	v_mov_b32_e32 v3, 0x3ff00000
	v_cmp_eq_u32_e64 s10, 0, v40
	v_writelane_b32 v102, s30, 31
	v_cmp_gt_u32_e64 s30, 0x60, v1
	v_cmp_gt_u32_e64 s11, 2, v1
	;; [unrolled: 1-line block ×5, first 2 shown]
	v_writelane_b32 v97, s30, 0
	v_cmp_gt_u32_e64 s30, 0x50, v1
	v_cmp_gt_u32_e64 s15, 48, v1
	;; [unrolled: 1-line block ×5, first 2 shown]
	v_writelane_b32 v97, s30, 1
	v_cmp_gt_u32_e64 s30, 0x400, v1
	v_cmp_eq_u32_e64 s55, 0, v10
	v_cmp_gt_u32_e64 s56, 64, v10
	s_xor_b32 s86, vcc_lo, -1
	v_writelane_b32 v97, s51, 2
	v_cmp_gt_u32_e64 s51, 0x3c0, v1
                                        ; implicit-def: $vgpr32_vgpr33
                                        ; implicit-def: $vgpr34_vgpr35
                                        ; implicit-def: $vgpr36_vgpr37
                                        ; implicit-def: $vgpr38_vgpr39
	s_delay_alu instid0(VALU_DEP_1) | instskip(SKIP_1) | instid1(VALU_DEP_1)
	v_writelane_b32 v97, s51, 3
	v_cmp_gt_u32_e64 s51, 0x3a0, v1
	v_writelane_b32 v97, s51, 4
	v_cmp_gt_u32_e64 s51, 0x380, v1
	s_delay_alu instid0(VALU_DEP_1) | instskip(SKIP_1) | instid1(VALU_DEP_1)
	v_writelane_b32 v97, s51, 5
	v_cmp_gt_u32_e64 s51, 0x360, v1
	v_writelane_b32 v97, s51, 6
	v_cmp_gt_u32_e64 s51, 0x340, v1
	;; [unrolled: 5-line block ×12, first 2 shown]
	s_delay_alu instid0(VALU_DEP_1) | instskip(SKIP_1) | instid1(VALU_DEP_1)
	v_writelane_b32 v97, s51, 27
	v_cmp_gt_u32_e64 s51, 64, v42
	v_writelane_b32 v97, s51, 28
	s_branch .LBB33_3
.LBB33_2:                               ;   in Loop: Header=BB33_3 Depth=1
	s_wait_xcnt 0x0
	s_or_b32 exec_lo, exec_lo, s51
	v_readlane_b32 s51, v102, 0
	s_add_co_i32 s76, s76, 0x10000
	global_wb scope:SCOPE_DEV
	s_wait_storecnt 0x0
	global_inv scope:SCOPE_DEV
	s_cmp_lt_u32 s76, s51
	s_cbranch_scc0 .LBB33_1117
.LBB33_3:                               ; =>This Loop Header: Depth=1
                                        ;     Child Loop BB33_537 Depth 2
                                        ;     Child Loop BB33_986 Depth 2
                                        ;       Child Loop BB33_988 Depth 3
                                        ;     Child Loop BB33_1023 Depth 2
	global_load_b64 v[42:43], v9, s[64:65]
	s_mul_u64 s[52:53], s[62:63], s[76:77]
	v_readlane_b32 s51, v102, 1
	s_lshl_b64 s[52:53], s[52:53], 3
	s_delay_alu instid0(SALU_CYCLE_1) | instskip(NEXT) | instid1(SALU_CYCLE_1)
	s_add_nc_u64 s[82:83], s[68:69], s[52:53]
	v_lshl_add_u64 v[40:41], v[16:17], 3, s[82:83]
	s_and_not1_b32 vcc_lo, exec_lo, s51
	s_cbranch_vccnz .LBB33_13
; %bb.4:                                ;   in Loop: Header=BB33_3 Depth=1
	v_mov_b64_e32 v[34:35], 0
	v_mov_b64_e32 v[32:33], 0
	v_lshl_add_u64 v[0:1], v[12:13], 3, v[40:41]
	s_wait_loadcnt 0x0
	s_barrier_signal -1
	s_barrier_wait -1
	s_wait_xcnt 0x0
	s_mov_b32 s51, exec_lo
	v_readlane_b32 s52, v102, 15
	s_and_b32 s52, s51, s52
	s_delay_alu instid0(SALU_CYCLE_1)
	s_mov_b32 exec_lo, s52
	s_cbranch_execz .LBB33_6
; %bb.5:                                ;   in Loop: Header=BB33_3 Depth=1
	global_load_b64 v[32:33], v[0:1], off
.LBB33_6:                               ;   in Loop: Header=BB33_3 Depth=1
	s_wait_xcnt 0x0
	s_or_b32 exec_lo, exec_lo, s51
	s_wait_loadcnt 0x0
	s_barrier_signal -1
	s_barrier_wait -1
	s_mov_b32 s51, exec_lo
	v_readlane_b32 s52, v102, 16
	s_and_b32 s52, s51, s52
	s_delay_alu instid0(SALU_CYCLE_1)
	s_mov_b32 exec_lo, s52
	s_cbranch_execz .LBB33_8
; %bb.7:                                ;   in Loop: Header=BB33_3 Depth=1
	global_load_b64 v[34:35], v[0:1], off offset:128
.LBB33_8:                               ;   in Loop: Header=BB33_3 Depth=1
	s_wait_xcnt 0x0
	s_or_b32 exec_lo, exec_lo, s51
	v_mov_b64_e32 v[38:39], 0
	v_mov_b64_e32 v[36:37], 0
	s_wait_loadcnt 0x0
	s_barrier_signal -1
	s_barrier_wait -1
	s_mov_b32 s51, exec_lo
	v_readlane_b32 s52, v102, 17
	s_and_b32 s52, s51, s52
	s_delay_alu instid0(SALU_CYCLE_1)
	s_mov_b32 exec_lo, s52
	s_cbranch_execz .LBB33_10
; %bb.9:                                ;   in Loop: Header=BB33_3 Depth=1
	global_load_b64 v[36:37], v[0:1], off offset:256
.LBB33_10:                              ;   in Loop: Header=BB33_3 Depth=1
	s_wait_xcnt 0x0
	s_or_b32 exec_lo, exec_lo, s51
	s_wait_loadcnt 0x0
	s_barrier_signal -1
	s_barrier_wait -1
	s_mov_b32 s51, exec_lo
	v_readlane_b32 s52, v102, 18
	s_and_b32 s52, s51, s52
	s_delay_alu instid0(SALU_CYCLE_1)
	s_mov_b32 exec_lo, s52
	s_cbranch_execz .LBB33_12
; %bb.11:                               ;   in Loop: Header=BB33_3 Depth=1
	global_load_b64 v[38:39], v[0:1], off offset:384
.LBB33_12:                              ;   in Loop: Header=BB33_3 Depth=1
	s_wait_xcnt 0x0
	s_or_b32 exec_lo, exec_lo, s51
.LBB33_13:                              ;   in Loop: Header=BB33_3 Depth=1
	s_add_nc_u64 s[52:53], s[82:83], s[80:81]
	s_and_not1_b32 vcc_lo, exec_lo, s89
	v_add_nc_u64_e32 v[0:1], s[52:53], v[8:9]
	s_mov_b32 s51, -1
	s_cbranch_vccnz .LBB33_24
; %bb.14:                               ;   in Loop: Header=BB33_3 Depth=1
	s_wait_xcnt 0x0
	s_and_saveexec_b32 s51, s6
	s_delay_alu instid0(SALU_CYCLE_1)
	s_xor_b32 s51, exec_lo, s51
	s_cbranch_execnz .LBB33_1045
; %bb.15:                               ;   in Loop: Header=BB33_3 Depth=1
	s_and_not1_saveexec_b32 s51, s51
	s_cbranch_execnz .LBB33_1048
.LBB33_16:                              ;   in Loop: Header=BB33_3 Depth=1
	s_or_b32 exec_lo, exec_lo, s51
	s_and_saveexec_b32 s51, s7
	s_delay_alu instid0(SALU_CYCLE_1)
	s_xor_b32 s51, exec_lo, s51
	s_cbranch_execnz .LBB33_1049
.LBB33_17:                              ;   in Loop: Header=BB33_3 Depth=1
	s_and_not1_saveexec_b32 s51, s51
	s_cbranch_execnz .LBB33_1052
.LBB33_18:                              ;   in Loop: Header=BB33_3 Depth=1
	s_or_b32 exec_lo, exec_lo, s51
	s_and_saveexec_b32 s51, s8
	s_delay_alu instid0(SALU_CYCLE_1)
	s_xor_b32 s51, exec_lo, s51
	s_cbranch_execnz .LBB33_1053
.LBB33_19:                              ;   in Loop: Header=BB33_3 Depth=1
	s_and_not1_saveexec_b32 s51, s51
	s_cbranch_execnz .LBB33_1056
.LBB33_20:                              ;   in Loop: Header=BB33_3 Depth=1
	s_or_b32 exec_lo, exec_lo, s51
	s_and_saveexec_b32 s51, s9
	s_delay_alu instid0(SALU_CYCLE_1)
	s_xor_b32 s51, exec_lo, s51
	s_cbranch_execnz .LBB33_1057
.LBB33_21:                              ;   in Loop: Header=BB33_3 Depth=1
	s_and_not1_saveexec_b32 s51, s51
	s_cbranch_execz .LBB33_23
.LBB33_22:                              ;   in Loop: Header=BB33_3 Depth=1
	v_lshl_add_u64 v[44:45], v[22:23], 3, v[0:1]
	global_load_b64 v[44:45], v[44:45], off
	s_wait_loadcnt 0x0
	v_xor_b32_e32 v45, 0x80000000, v45
	ds_store_b64 v85, v[44:45]
.LBB33_23:                              ;   in Loop: Header=BB33_3 Depth=1
	s_or_b32 exec_lo, exec_lo, s51
	s_mov_b32 s51, 0
.LBB33_24:                              ;   in Loop: Header=BB33_3 Depth=1
	s_delay_alu instid0(SALU_CYCLE_1)
	s_and_b32 vcc_lo, exec_lo, s51
	s_cbranch_vccz .LBB33_50
; %bb.25:                               ;   in Loop: Header=BB33_3 Depth=1
	s_wait_xcnt 0x0
	s_mov_b32 s51, exec_lo
	v_readlane_b32 s52, v102, 19
	s_and_b32 s52, s51, s52
	s_delay_alu instid0(SALU_CYCLE_1)
	s_xor_b32 s51, s52, s51
	s_mov_b32 exec_lo, s52
	s_cbranch_execz .LBB33_29
; %bb.26:                               ;   in Loop: Header=BB33_3 Depth=1
	s_mov_b32 s52, exec_lo
	v_readlane_b32 s53, v97, 25
	s_and_b32 s53, s52, s53
	s_delay_alu instid0(SALU_CYCLE_1)
	s_mov_b32 exec_lo, s53
; %bb.27:                               ;   in Loop: Header=BB33_3 Depth=1
	ds_store_b64 v87, v[28:29]
; %bb.28:                               ;   in Loop: Header=BB33_3 Depth=1
	s_or_b32 exec_lo, exec_lo, s52
.LBB33_29:                              ;   in Loop: Header=BB33_3 Depth=1
	s_and_not1_saveexec_b32 s51, s51
	s_cbranch_execz .LBB33_31
; %bb.30:                               ;   in Loop: Header=BB33_3 Depth=1
	v_lshl_add_u64 v[44:45], v[26:27], 3, v[0:1]
	global_load_b64 v[44:45], v[44:45], off
	s_wait_loadcnt 0x0
	v_xor_b32_e32 v45, 0x80000000, v45
	ds_store_b64 v87, v[44:45]
.LBB33_31:                              ;   in Loop: Header=BB33_3 Depth=1
	s_or_b32 exec_lo, exec_lo, s51
	s_delay_alu instid0(SALU_CYCLE_1) | instskip(SKIP_2) | instid1(SALU_CYCLE_1)
	s_mov_b32 s51, exec_lo
	v_readlane_b32 s52, v102, 20
	s_and_b32 s52, s51, s52
	s_xor_b32 s51, s52, s51
	s_mov_b32 exec_lo, s52
	s_cbranch_execz .LBB33_35
; %bb.32:                               ;   in Loop: Header=BB33_3 Depth=1
	s_mov_b32 s52, exec_lo
	v_readlane_b32 s53, v97, 26
	s_and_b32 s53, s52, s53
	s_delay_alu instid0(SALU_CYCLE_1)
	s_mov_b32 exec_lo, s53
; %bb.33:                               ;   in Loop: Header=BB33_3 Depth=1
	ds_store_b64 v83, v[28:29]
; %bb.34:                               ;   in Loop: Header=BB33_3 Depth=1
	s_or_b32 exec_lo, exec_lo, s52
.LBB33_35:                              ;   in Loop: Header=BB33_3 Depth=1
	s_and_not1_saveexec_b32 s51, s51
	s_cbranch_execz .LBB33_37
; %bb.36:                               ;   in Loop: Header=BB33_3 Depth=1
	v_lshl_add_u64 v[44:45], v[24:25], 3, v[0:1]
	global_load_b64 v[44:45], v[44:45], off
	s_wait_loadcnt 0x0
	v_xor_b32_e32 v45, 0x80000000, v45
	ds_store_b64 v83, v[44:45]
.LBB33_37:                              ;   in Loop: Header=BB33_3 Depth=1
	s_or_b32 exec_lo, exec_lo, s51
	s_delay_alu instid0(SALU_CYCLE_1) | instskip(SKIP_2) | instid1(SALU_CYCLE_1)
	s_mov_b32 s51, exec_lo
	v_readlane_b32 s52, v102, 21
	s_and_b32 s52, s51, s52
	;; [unrolled: 28-line block ×3, first 2 shown]
	s_xor_b32 s51, s52, s51
	s_mov_b32 exec_lo, s52
	s_cbranch_execz .LBB33_47
; %bb.44:                               ;   in Loop: Header=BB33_3 Depth=1
	s_mov_b32 s52, exec_lo
	v_readlane_b32 s53, v97, 28
	s_and_b32 s53, s52, s53
	s_delay_alu instid0(SALU_CYCLE_1)
	s_mov_b32 exec_lo, s53
; %bb.45:                               ;   in Loop: Header=BB33_3 Depth=1
	ds_store_b64 v85, v[28:29]
; %bb.46:                               ;   in Loop: Header=BB33_3 Depth=1
	s_or_b32 exec_lo, exec_lo, s52
                                        ; implicit-def: $vgpr0_vgpr1
.LBB33_47:                              ;   in Loop: Header=BB33_3 Depth=1
	s_and_not1_saveexec_b32 s51, s51
	s_cbranch_execz .LBB33_49
; %bb.48:                               ;   in Loop: Header=BB33_3 Depth=1
	v_lshl_add_u64 v[0:1], v[22:23], 3, v[0:1]
	global_load_b64 v[0:1], v[0:1], off
	s_wait_loadcnt 0x0
	v_xor_b32_e32 v1, 0x80000000, v1
	ds_store_b64 v85, v[0:1]
.LBB33_49:                              ;   in Loop: Header=BB33_3 Depth=1
	s_or_b32 exec_lo, exec_lo, s51
.LBB33_50:                              ;   in Loop: Header=BB33_3 Depth=1
	s_delay_alu instid0(SALU_CYCLE_1)
	s_and_not1_b32 vcc_lo, exec_lo, s91
	s_wait_loadcnt_dscnt 0x0
	s_barrier_signal -1
	s_barrier_wait -1
	s_cbranch_vccnz .LBB33_980
; %bb.51:                               ;   in Loop: Header=BB33_3 Depth=1
	s_and_saveexec_b32 s51, s10
	s_cbranch_execz .LBB33_53
; %bb.52:                               ;   in Loop: Header=BB33_3 Depth=1
	ds_load_b64 v[0:1], v9 offset:8
	v_mov_b32_e32 v2, v9
	ds_store_b64 v9, v[30:31]
	s_wait_dscnt 0x1
	ds_store_b128 v9, v[0:3] offset:512
.LBB33_53:                              ;   in Loop: Header=BB33_3 Depth=1
	s_or_b32 exec_lo, exec_lo, s51
	v_mov_b64_e32 v[0:1], 0
	s_wait_dscnt 0x0
	s_barrier_signal -1
	s_barrier_wait -1
	s_and_saveexec_b32 s51, s0
	s_cbranch_execz .LBB33_57
; %bb.54:                               ;   in Loop: Header=BB33_3 Depth=1
	ds_load_b64 v[0:1], v64 offset:16
	ds_load_b64 v[44:45], v65
	s_wait_dscnt 0x0
	v_fma_f64 v[0:1], v[0:1], v[44:45], 0
	s_and_saveexec_b32 s52, s11
	s_cbranch_execz .LBB33_56
; %bb.55:                               ;   in Loop: Header=BB33_3 Depth=1
	ds_load_b64 v[44:45], v7 offset:528
	ds_load_b64 v[46:47], v9 offset:8
	s_wait_dscnt 0x0
	v_fmac_f64_e32 v[0:1], v[44:45], v[46:47]
.LBB33_56:                              ;   in Loop: Header=BB33_3 Depth=1
	s_or_b32 exec_lo, exec_lo, s52
	s_delay_alu instid0(VALU_DEP_1)
	v_xor_b32_e32 v1, 0x80000000, v1
.LBB33_57:                              ;   in Loop: Header=BB33_3 Depth=1
	s_or_b32 exec_lo, exec_lo, s51
	s_and_saveexec_b32 s51, s92
; %bb.58:                               ;   in Loop: Header=BB33_3 Depth=1
	ds_store_b64 v56, v[0:1]
; %bb.59:                               ;   in Loop: Header=BB33_3 Depth=1
	s_or_b32 exec_lo, exec_lo, s51
	s_wait_dscnt 0x0
	s_barrier_signal -1
	s_barrier_wait -1
	s_and_saveexec_b32 s51, s93
	s_cbranch_execz .LBB33_61
; %bb.60:                               ;   in Loop: Header=BB33_3 Depth=1
	ds_load_b64 v[44:45], v9 offset:1048
	ds_load_b64 v[46:47], v56
	s_wait_dscnt 0x0
	v_fmac_f64_e32 v[0:1], v[44:45], v[46:47]
.LBB33_61:                              ;   in Loop: Header=BB33_3 Depth=1
	s_or_b32 exec_lo, exec_lo, s51
	s_barrier_signal -1
	s_barrier_wait -1
	s_and_saveexec_b32 s51, s93
; %bb.62:                               ;   in Loop: Header=BB33_3 Depth=1
	ds_store_b64 v56, v[0:1]
; %bb.63:                               ;   in Loop: Header=BB33_3 Depth=1
	s_or_b32 exec_lo, exec_lo, s51
	s_wait_dscnt 0x0
	s_barrier_signal -1
	s_barrier_wait -1
	s_barrier_signal -1
	s_barrier_wait -1
	s_and_saveexec_b32 s51, s0
; %bb.64:                               ;   in Loop: Header=BB33_3 Depth=1
	v_xor_b32_e32 v1, 0x80000000, v1
	ds_store_b64 v64, v[0:1] offset:16
; %bb.65:                               ;   in Loop: Header=BB33_3 Depth=1
	s_or_b32 exec_lo, exec_lo, s51
	s_wait_dscnt 0x0
	s_barrier_signal -1
	s_barrier_wait -1
	s_barrier_signal -1
	s_barrier_wait -1
	s_and_saveexec_b32 s51, s94
	s_cbranch_execz .LBB33_67
; %bb.66:                               ;   in Loop: Header=BB33_3 Depth=1
	ds_load_b64 v[0:1], v11 offset:16
	s_wait_dscnt 0x0
	ds_store_b64 v7, v[0:1] offset:1024
	ds_load_b64 v[0:1], v11 offset:24
	s_wait_dscnt 0x0
	ds_store_b64 v7, v[0:1] offset:1536
.LBB33_67:                              ;   in Loop: Header=BB33_3 Depth=1
	s_or_b32 exec_lo, exec_lo, s51
	s_wait_dscnt 0x0
	s_barrier_signal -1
	s_barrier_wait -1
	s_and_saveexec_b32 s51, s10
	s_cbranch_execz .LBB33_69
; %bb.68:                               ;   in Loop: Header=BB33_3 Depth=1
	ds_load_b64 v[0:1], v9 offset:1048
	v_mov_b32_e32 v2, v9
	ds_store_b64 v9, v[30:31] offset:1040
	s_wait_dscnt 0x1
	ds_store_b128 v9, v[0:3] offset:1552
.LBB33_69:                              ;   in Loop: Header=BB33_3 Depth=1
	s_or_b32 exec_lo, exec_lo, s51
	v_mov_b64_e32 v[0:1], 0
	s_wait_dscnt 0x0
	s_barrier_signal -1
	s_barrier_wait -1
	s_and_saveexec_b32 s61, s2
	s_cbranch_execz .LBB33_75
; %bb.70:                               ;   in Loop: Header=BB33_3 Depth=1
	ds_load_b64 v[0:1], v68 offset:32
	ds_load_b64 v[44:45], v55
	s_wait_dscnt 0x0
	v_fma_f64 v[0:1], v[0:1], v[44:45], 0
	s_and_saveexec_b32 s51, s12
	s_cbranch_execnz .LBB33_1067
; %bb.71:                               ;   in Loop: Header=BB33_3 Depth=1
	s_or_b32 exec_lo, exec_lo, s51
	s_and_saveexec_b32 s51, s13
	s_cbranch_execnz .LBB33_1068
.LBB33_72:                              ;   in Loop: Header=BB33_3 Depth=1
	s_or_b32 exec_lo, exec_lo, s51
	s_and_saveexec_b32 s51, s0
	s_cbranch_execz .LBB33_74
.LBB33_73:                              ;   in Loop: Header=BB33_3 Depth=1
	ds_load_b64 v[44:45], v48 offset:1568
	ds_load_b64 v[46:47], v9 offset:24
	s_wait_dscnt 0x0
	v_fmac_f64_e32 v[0:1], v[44:45], v[46:47]
.LBB33_74:                              ;   in Loop: Header=BB33_3 Depth=1
	s_or_b32 exec_lo, exec_lo, s51
	s_delay_alu instid0(VALU_DEP_1)
	v_xor_b32_e32 v1, 0x80000000, v1
.LBB33_75:                              ;   in Loop: Header=BB33_3 Depth=1
	s_or_b32 exec_lo, exec_lo, s61
	s_and_saveexec_b32 s51, s95
; %bb.76:                               ;   in Loop: Header=BB33_3 Depth=1
	ds_store_b64 v66, v[0:1]
; %bb.77:                               ;   in Loop: Header=BB33_3 Depth=1
	s_or_b32 exec_lo, exec_lo, s51
	s_wait_dscnt 0x0
	s_barrier_signal -1
	s_barrier_wait -1
	s_and_saveexec_b32 s51, s96
	s_cbranch_execz .LBB33_79
; %bb.78:                               ;   in Loop: Header=BB33_3 Depth=1
	ds_load_b64 v[44:45], v63 offset:2080
	ds_load_b64 v[46:47], v66
	s_wait_dscnt 0x0
	v_fmac_f64_e32 v[0:1], v[44:45], v[46:47]
.LBB33_79:                              ;   in Loop: Header=BB33_3 Depth=1
	s_or_b32 exec_lo, exec_lo, s51
	s_barrier_signal -1
	s_barrier_wait -1
	s_and_saveexec_b32 s51, s97
; %bb.80:                               ;   in Loop: Header=BB33_3 Depth=1
	ds_store_b64 v66, v[0:1]
; %bb.81:                               ;   in Loop: Header=BB33_3 Depth=1
	s_or_b32 exec_lo, exec_lo, s51
	s_wait_dscnt 0x0
	s_barrier_signal -1
	s_barrier_wait -1
	s_and_saveexec_b32 s51, s98
	s_cbranch_execz .LBB33_83
; %bb.82:                               ;   in Loop: Header=BB33_3 Depth=1
	ds_load_b64 v[44:45], v63 offset:2592
	ds_load_b64 v[46:47], v66
	s_wait_dscnt 0x0
	v_fmac_f64_e32 v[0:1], v[44:45], v[46:47]
.LBB33_83:                              ;   in Loop: Header=BB33_3 Depth=1
	s_or_b32 exec_lo, exec_lo, s51
	s_barrier_signal -1
	s_barrier_wait -1
	;; [unrolled: 19-line block ×3, first 2 shown]
	s_and_saveexec_b32 s51, s100
; %bb.88:                               ;   in Loop: Header=BB33_3 Depth=1
	ds_store_b64 v66, v[0:1]
; %bb.89:                               ;   in Loop: Header=BB33_3 Depth=1
	s_or_b32 exec_lo, exec_lo, s51
	s_wait_dscnt 0x0
	s_barrier_signal -1
	s_barrier_wait -1
	s_barrier_signal -1
	s_barrier_wait -1
	s_and_saveexec_b32 s51, s2
; %bb.90:                               ;   in Loop: Header=BB33_3 Depth=1
	v_xor_b32_e32 v1, 0x80000000, v1
	ds_store_b64 v68, v[0:1] offset:32
; %bb.91:                               ;   in Loop: Header=BB33_3 Depth=1
	s_or_b32 exec_lo, exec_lo, s51
	s_wait_dscnt 0x0
	s_barrier_signal -1
	s_barrier_wait -1
	s_barrier_signal -1
	s_barrier_wait -1
	s_and_saveexec_b32 s51, s101
	s_cbranch_execz .LBB33_93
; %bb.92:                               ;   in Loop: Header=BB33_3 Depth=1
	ds_load_b64 v[0:1], v49 offset:32
	s_wait_dscnt 0x0
	ds_store_b64 v50, v[0:1] offset:2048
	ds_load_b64 v[0:1], v49 offset:40
	s_wait_dscnt 0x0
	ds_store_b64 v50, v[0:1] offset:2560
	;; [unrolled: 3-line block ×4, first 2 shown]
.LBB33_93:                              ;   in Loop: Header=BB33_3 Depth=1
	s_or_b32 exec_lo, exec_lo, s51
	s_wait_dscnt 0x0
	s_barrier_signal -1
	s_barrier_wait -1
	s_and_saveexec_b32 s51, s10
	s_cbranch_execz .LBB33_95
; %bb.94:                               ;   in Loop: Header=BB33_3 Depth=1
	ds_load_b64 v[0:1], v9 offset:2088
	v_mov_b32_e32 v2, v9
	ds_store_b64 v9, v[30:31] offset:2080
	s_wait_dscnt 0x1
	ds_store_b128 v9, v[0:3] offset:2592
.LBB33_95:                              ;   in Loop: Header=BB33_3 Depth=1
	s_or_b32 exec_lo, exec_lo, s51
	v_mov_b64_e32 v[0:1], 0
	s_wait_dscnt 0x0
	s_barrier_signal -1
	s_barrier_wait -1
	s_and_saveexec_b32 s51, s0
	s_cbranch_execz .LBB33_99
; %bb.96:                               ;   in Loop: Header=BB33_3 Depth=1
	ds_load_b64 v[0:1], v64 offset:2096
	ds_load_b64 v[44:45], v65 offset:2080
	s_wait_dscnt 0x0
	v_fma_f64 v[0:1], v[0:1], v[44:45], 0
	s_and_saveexec_b32 s52, s11
	s_cbranch_execz .LBB33_98
; %bb.97:                               ;   in Loop: Header=BB33_3 Depth=1
	ds_load_b64 v[44:45], v50 offset:2608
	ds_load_b64 v[46:47], v9 offset:2088
	s_wait_dscnt 0x0
	v_fmac_f64_e32 v[0:1], v[44:45], v[46:47]
.LBB33_98:                              ;   in Loop: Header=BB33_3 Depth=1
	s_or_b32 exec_lo, exec_lo, s52
	s_delay_alu instid0(VALU_DEP_1)
	v_xor_b32_e32 v1, 0x80000000, v1
.LBB33_99:                              ;   in Loop: Header=BB33_3 Depth=1
	s_or_b32 exec_lo, exec_lo, s51
	s_and_saveexec_b32 s51, s92
; %bb.100:                              ;   in Loop: Header=BB33_3 Depth=1
	ds_store_b64 v56, v[0:1]
; %bb.101:                              ;   in Loop: Header=BB33_3 Depth=1
	s_or_b32 exec_lo, exec_lo, s51
	s_wait_dscnt 0x0
	s_barrier_signal -1
	s_barrier_wait -1
	s_and_saveexec_b32 s51, s93
	s_cbranch_execz .LBB33_103
; %bb.102:                              ;   in Loop: Header=BB33_3 Depth=1
	ds_load_b64 v[44:45], v9 offset:3128
	ds_load_b64 v[46:47], v56
	s_wait_dscnt 0x0
	v_fmac_f64_e32 v[0:1], v[44:45], v[46:47]
.LBB33_103:                             ;   in Loop: Header=BB33_3 Depth=1
	s_or_b32 exec_lo, exec_lo, s51
	s_barrier_signal -1
	s_barrier_wait -1
	s_and_saveexec_b32 s51, s93
; %bb.104:                              ;   in Loop: Header=BB33_3 Depth=1
	ds_store_b64 v56, v[0:1]
; %bb.105:                              ;   in Loop: Header=BB33_3 Depth=1
	s_or_b32 exec_lo, exec_lo, s51
	s_wait_dscnt 0x0
	s_barrier_signal -1
	s_barrier_wait -1
	s_barrier_signal -1
	s_barrier_wait -1
	s_and_saveexec_b32 s51, s0
; %bb.106:                              ;   in Loop: Header=BB33_3 Depth=1
	v_xor_b32_e32 v1, 0x80000000, v1
	ds_store_b64 v64, v[0:1] offset:2096
; %bb.107:                              ;   in Loop: Header=BB33_3 Depth=1
	s_or_b32 exec_lo, exec_lo, s51
	s_wait_dscnt 0x0
	s_barrier_signal -1
	s_barrier_wait -1
	s_barrier_signal -1
	s_barrier_wait -1
	s_and_saveexec_b32 s51, s94
	s_cbranch_execz .LBB33_109
; %bb.108:                              ;   in Loop: Header=BB33_3 Depth=1
	ds_load_b64 v[0:1], v51 offset:2096
	s_wait_dscnt 0x0
	ds_store_b64 v50, v[0:1] offset:3104
	ds_load_b64 v[0:1], v51 offset:2104
	s_wait_dscnt 0x0
	ds_store_b64 v50, v[0:1] offset:3616
.LBB33_109:                             ;   in Loop: Header=BB33_3 Depth=1
	s_or_b32 exec_lo, exec_lo, s51
	s_wait_dscnt 0x0
	s_barrier_signal -1
	s_barrier_wait -1
	s_and_saveexec_b32 s51, s10
	s_cbranch_execz .LBB33_111
; %bb.110:                              ;   in Loop: Header=BB33_3 Depth=1
	ds_load_b64 v[0:1], v9 offset:3128
	v_mov_b32_e32 v2, v9
	ds_store_b64 v9, v[30:31] offset:3120
	s_wait_dscnt 0x1
	ds_store_b128 v9, v[0:3] offset:3632
.LBB33_111:                             ;   in Loop: Header=BB33_3 Depth=1
	s_or_b32 exec_lo, exec_lo, s51
	v_mov_b64_e32 v[0:1], 0
	s_wait_dscnt 0x0
	s_barrier_signal -1
	s_barrier_wait -1
	s_and_saveexec_b32 s61, s3
	s_cbranch_execz .LBB33_121
; %bb.112:                              ;   in Loop: Header=BB33_3 Depth=1
	ds_load_b64 v[0:1], v72 offset:64
	ds_load_b64 v[44:45], v58
	s_wait_dscnt 0x0
	v_fma_f64 v[0:1], v[0:1], v[44:45], 0
	s_and_saveexec_b32 s51, s14
	s_cbranch_execnz .LBB33_1069
; %bb.113:                              ;   in Loop: Header=BB33_3 Depth=1
	s_or_b32 exec_lo, exec_lo, s51
	s_and_saveexec_b32 s51, s15
	s_cbranch_execnz .LBB33_1070
.LBB33_114:                             ;   in Loop: Header=BB33_3 Depth=1
	s_or_b32 exec_lo, exec_lo, s51
	s_and_saveexec_b32 s51, s16
	s_cbranch_execnz .LBB33_1071
.LBB33_115:                             ;   in Loop: Header=BB33_3 Depth=1
	s_or_b32 exec_lo, exec_lo, s51
	s_and_saveexec_b32 s51, s17
	s_cbranch_execnz .LBB33_1072
.LBB33_116:                             ;   in Loop: Header=BB33_3 Depth=1
	s_or_b32 exec_lo, exec_lo, s51
	s_and_saveexec_b32 s51, s18
	s_cbranch_execnz .LBB33_1073
.LBB33_117:                             ;   in Loop: Header=BB33_3 Depth=1
	s_or_b32 exec_lo, exec_lo, s51
	s_and_saveexec_b32 s51, s2
	s_cbranch_execnz .LBB33_1074
.LBB33_118:                             ;   in Loop: Header=BB33_3 Depth=1
	s_or_b32 exec_lo, exec_lo, s51
	s_and_saveexec_b32 s51, s13
	s_cbranch_execz .LBB33_120
.LBB33_119:                             ;   in Loop: Header=BB33_3 Depth=1
	ds_load_b64 v[44:45], v52 offset:3648
	ds_load_b64 v[46:47], v9 offset:56
	s_wait_dscnt 0x0
	v_fmac_f64_e32 v[0:1], v[44:45], v[46:47]
.LBB33_120:                             ;   in Loop: Header=BB33_3 Depth=1
	s_or_b32 exec_lo, exec_lo, s51
	s_delay_alu instid0(VALU_DEP_1)
	v_xor_b32_e32 v1, 0x80000000, v1
.LBB33_121:                             ;   in Loop: Header=BB33_3 Depth=1
	s_or_b32 exec_lo, exec_lo, s61
	s_and_saveexec_b32 s51, s102
; %bb.122:                              ;   in Loop: Header=BB33_3 Depth=1
	ds_store_b64 v71, v[0:1]
; %bb.123:                              ;   in Loop: Header=BB33_3 Depth=1
	s_or_b32 exec_lo, exec_lo, s51
	s_wait_dscnt 0x0
	s_barrier_signal -1
	s_barrier_wait -1
	s_and_saveexec_b32 s51, s103
	s_cbranch_execz .LBB33_125
; %bb.124:                              ;   in Loop: Header=BB33_3 Depth=1
	ds_load_b64 v[44:45], v67 offset:4160
	ds_load_b64 v[46:47], v71
	s_wait_dscnt 0x0
	v_fmac_f64_e32 v[0:1], v[44:45], v[46:47]
.LBB33_125:                             ;   in Loop: Header=BB33_3 Depth=1
	s_or_b32 exec_lo, exec_lo, s51
	s_barrier_signal -1
	s_barrier_wait -1
	s_and_saveexec_b32 s51, s104
; %bb.126:                              ;   in Loop: Header=BB33_3 Depth=1
	ds_store_b64 v71, v[0:1]
; %bb.127:                              ;   in Loop: Header=BB33_3 Depth=1
	s_or_b32 exec_lo, exec_lo, s51
	s_wait_dscnt 0x0
	s_barrier_signal -1
	s_barrier_wait -1
	s_and_saveexec_b32 s51, vcc_hi
	s_cbranch_execz .LBB33_129
; %bb.128:                              ;   in Loop: Header=BB33_3 Depth=1
	ds_load_b64 v[44:45], v67 offset:4672
	ds_load_b64 v[46:47], v71
	s_wait_dscnt 0x0
	v_fmac_f64_e32 v[0:1], v[44:45], v[46:47]
.LBB33_129:                             ;   in Loop: Header=BB33_3 Depth=1
	s_or_b32 exec_lo, exec_lo, s51
	s_barrier_signal -1
	s_barrier_wait -1
	s_and_saveexec_b32 s51, s31
; %bb.130:                              ;   in Loop: Header=BB33_3 Depth=1
	ds_store_b64 v71, v[0:1]
; %bb.131:                              ;   in Loop: Header=BB33_3 Depth=1
	s_or_b32 exec_lo, exec_lo, s51
	s_wait_dscnt 0x0
	s_barrier_signal -1
	s_barrier_wait -1
	s_and_saveexec_b32 s51, s33
	s_cbranch_execz .LBB33_133
; %bb.132:                              ;   in Loop: Header=BB33_3 Depth=1
	ds_load_b64 v[44:45], v67 offset:5184
	ds_load_b64 v[46:47], v71
	s_wait_dscnt 0x0
	v_fmac_f64_e32 v[0:1], v[44:45], v[46:47]
.LBB33_133:                             ;   in Loop: Header=BB33_3 Depth=1
	s_or_b32 exec_lo, exec_lo, s51
	s_barrier_signal -1
	s_barrier_wait -1
	s_and_saveexec_b32 s51, s34
; %bb.134:                              ;   in Loop: Header=BB33_3 Depth=1
	ds_store_b64 v71, v[0:1]
; %bb.135:                              ;   in Loop: Header=BB33_3 Depth=1
	s_or_b32 exec_lo, exec_lo, s51
	s_wait_dscnt 0x0
	s_barrier_signal -1
	s_barrier_wait -1
	s_and_saveexec_b32 s51, s35
	;; [unrolled: 19-line block ×5, first 2 shown]
	s_cbranch_execz .LBB33_149
; %bb.148:                              ;   in Loop: Header=BB33_3 Depth=1
	ds_load_b64 v[44:45], v9 offset:7288
	ds_load_b64 v[46:47], v71
	s_wait_dscnt 0x0
	v_fmac_f64_e32 v[0:1], v[44:45], v[46:47]
.LBB33_149:                             ;   in Loop: Header=BB33_3 Depth=1
	s_or_b32 exec_lo, exec_lo, s51
	s_barrier_signal -1
	s_barrier_wait -1
	s_and_saveexec_b32 s51, s41
; %bb.150:                              ;   in Loop: Header=BB33_3 Depth=1
	ds_store_b64 v71, v[0:1]
; %bb.151:                              ;   in Loop: Header=BB33_3 Depth=1
	s_or_b32 exec_lo, exec_lo, s51
	s_wait_dscnt 0x0
	s_barrier_signal -1
	s_barrier_wait -1
	s_barrier_signal -1
	s_barrier_wait -1
	s_and_saveexec_b32 s51, s3
; %bb.152:                              ;   in Loop: Header=BB33_3 Depth=1
	v_xor_b32_e32 v1, 0x80000000, v1
	ds_store_b64 v72, v[0:1] offset:64
; %bb.153:                              ;   in Loop: Header=BB33_3 Depth=1
	s_or_b32 exec_lo, exec_lo, s51
	s_wait_dscnt 0x0
	s_barrier_signal -1
	s_barrier_wait -1
	s_barrier_signal -1
	s_barrier_wait -1
	s_and_saveexec_b32 s51, s42
	s_cbranch_execz .LBB33_155
; %bb.154:                              ;   in Loop: Header=BB33_3 Depth=1
	ds_load_b64 v[0:1], v53 offset:64
	s_wait_dscnt 0x0
	ds_store_b64 v54, v[0:1] offset:4096
	ds_load_b64 v[0:1], v53 offset:72
	s_wait_dscnt 0x0
	ds_store_b64 v54, v[0:1] offset:4608
	;; [unrolled: 3-line block ×8, first 2 shown]
.LBB33_155:                             ;   in Loop: Header=BB33_3 Depth=1
	s_or_b32 exec_lo, exec_lo, s51
	s_wait_dscnt 0x0
	s_barrier_signal -1
	s_barrier_wait -1
	s_and_saveexec_b32 s51, s10
	s_cbranch_execz .LBB33_157
; %bb.156:                              ;   in Loop: Header=BB33_3 Depth=1
	ds_load_b64 v[0:1], v9 offset:4168
	v_mov_b32_e32 v2, v9
	ds_store_b64 v9, v[30:31] offset:4160
	s_wait_dscnt 0x1
	ds_store_b128 v9, v[0:3] offset:4672
.LBB33_157:                             ;   in Loop: Header=BB33_3 Depth=1
	s_or_b32 exec_lo, exec_lo, s51
	v_mov_b64_e32 v[0:1], 0
	s_wait_dscnt 0x0
	s_barrier_signal -1
	s_barrier_wait -1
	s_and_saveexec_b32 s51, s0
	s_cbranch_execz .LBB33_161
; %bb.158:                              ;   in Loop: Header=BB33_3 Depth=1
	ds_load_b64 v[0:1], v64 offset:4176
	ds_load_b64 v[44:45], v65 offset:4160
	s_wait_dscnt 0x0
	v_fma_f64 v[0:1], v[0:1], v[44:45], 0
	s_and_saveexec_b32 s52, s11
	s_cbranch_execz .LBB33_160
; %bb.159:                              ;   in Loop: Header=BB33_3 Depth=1
	ds_load_b64 v[44:45], v54 offset:4688
	ds_load_b64 v[46:47], v9 offset:4168
	s_wait_dscnt 0x0
	v_fmac_f64_e32 v[0:1], v[44:45], v[46:47]
.LBB33_160:                             ;   in Loop: Header=BB33_3 Depth=1
	s_or_b32 exec_lo, exec_lo, s52
	s_delay_alu instid0(VALU_DEP_1)
	v_xor_b32_e32 v1, 0x80000000, v1
.LBB33_161:                             ;   in Loop: Header=BB33_3 Depth=1
	s_or_b32 exec_lo, exec_lo, s51
	s_and_saveexec_b32 s51, s92
; %bb.162:                              ;   in Loop: Header=BB33_3 Depth=1
	ds_store_b64 v56, v[0:1]
; %bb.163:                              ;   in Loop: Header=BB33_3 Depth=1
	s_or_b32 exec_lo, exec_lo, s51
	s_wait_dscnt 0x0
	s_barrier_signal -1
	s_barrier_wait -1
	s_and_saveexec_b32 s51, s93
	s_cbranch_execz .LBB33_165
; %bb.164:                              ;   in Loop: Header=BB33_3 Depth=1
	ds_load_b64 v[44:45], v9 offset:5208
	ds_load_b64 v[46:47], v56
	s_wait_dscnt 0x0
	v_fmac_f64_e32 v[0:1], v[44:45], v[46:47]
.LBB33_165:                             ;   in Loop: Header=BB33_3 Depth=1
	s_or_b32 exec_lo, exec_lo, s51
	s_barrier_signal -1
	s_barrier_wait -1
	s_and_saveexec_b32 s51, s93
; %bb.166:                              ;   in Loop: Header=BB33_3 Depth=1
	ds_store_b64 v56, v[0:1]
; %bb.167:                              ;   in Loop: Header=BB33_3 Depth=1
	s_or_b32 exec_lo, exec_lo, s51
	s_wait_dscnt 0x0
	s_barrier_signal -1
	s_barrier_wait -1
	s_barrier_signal -1
	s_barrier_wait -1
	s_and_saveexec_b32 s51, s0
; %bb.168:                              ;   in Loop: Header=BB33_3 Depth=1
	v_xor_b32_e32 v1, 0x80000000, v1
	ds_store_b64 v64, v[0:1] offset:4176
; %bb.169:                              ;   in Loop: Header=BB33_3 Depth=1
	s_or_b32 exec_lo, exec_lo, s51
	s_wait_dscnt 0x0
	s_barrier_signal -1
	s_barrier_wait -1
	s_barrier_signal -1
	s_barrier_wait -1
	s_and_saveexec_b32 s51, s94
	s_cbranch_execz .LBB33_171
; %bb.170:                              ;   in Loop: Header=BB33_3 Depth=1
	ds_load_b64 v[0:1], v57 offset:4176
	s_wait_dscnt 0x0
	ds_store_b64 v54, v[0:1] offset:5184
	ds_load_b64 v[0:1], v57 offset:4184
	s_wait_dscnt 0x0
	ds_store_b64 v54, v[0:1] offset:5696
.LBB33_171:                             ;   in Loop: Header=BB33_3 Depth=1
	s_or_b32 exec_lo, exec_lo, s51
	s_wait_dscnt 0x0
	s_barrier_signal -1
	s_barrier_wait -1
	s_and_saveexec_b32 s51, s10
	s_cbranch_execz .LBB33_173
; %bb.172:                              ;   in Loop: Header=BB33_3 Depth=1
	ds_load_b64 v[0:1], v9 offset:5208
	v_mov_b32_e32 v2, v9
	ds_store_b64 v9, v[30:31] offset:5200
	s_wait_dscnt 0x1
	ds_store_b128 v9, v[0:3] offset:5712
.LBB33_173:                             ;   in Loop: Header=BB33_3 Depth=1
	s_or_b32 exec_lo, exec_lo, s51
	v_mov_b64_e32 v[0:1], 0
	s_wait_dscnt 0x0
	s_barrier_signal -1
	s_barrier_wait -1
	s_and_saveexec_b32 s61, s2
	s_cbranch_execz .LBB33_179
; %bb.174:                              ;   in Loop: Header=BB33_3 Depth=1
	ds_load_b64 v[0:1], v68 offset:4192
	ds_load_b64 v[44:45], v55 offset:4160
	s_wait_dscnt 0x0
	v_fma_f64 v[0:1], v[0:1], v[44:45], 0
	s_and_saveexec_b32 s51, s12
	s_cbranch_execnz .LBB33_1075
; %bb.175:                              ;   in Loop: Header=BB33_3 Depth=1
	s_or_b32 exec_lo, exec_lo, s51
	s_and_saveexec_b32 s51, s13
	s_cbranch_execnz .LBB33_1076
.LBB33_176:                             ;   in Loop: Header=BB33_3 Depth=1
	s_or_b32 exec_lo, exec_lo, s51
	s_and_saveexec_b32 s51, s0
	s_cbranch_execz .LBB33_178
.LBB33_177:                             ;   in Loop: Header=BB33_3 Depth=1
	ds_load_b64 v[44:45], v59 offset:5728
	ds_load_b64 v[46:47], v9 offset:4184
	s_wait_dscnt 0x0
	v_fmac_f64_e32 v[0:1], v[44:45], v[46:47]
.LBB33_178:                             ;   in Loop: Header=BB33_3 Depth=1
	s_or_b32 exec_lo, exec_lo, s51
	s_delay_alu instid0(VALU_DEP_1)
	v_xor_b32_e32 v1, 0x80000000, v1
.LBB33_179:                             ;   in Loop: Header=BB33_3 Depth=1
	s_or_b32 exec_lo, exec_lo, s61
	s_and_saveexec_b32 s51, s95
; %bb.180:                              ;   in Loop: Header=BB33_3 Depth=1
	ds_store_b64 v66, v[0:1]
; %bb.181:                              ;   in Loop: Header=BB33_3 Depth=1
	s_or_b32 exec_lo, exec_lo, s51
	s_wait_dscnt 0x0
	s_barrier_signal -1
	s_barrier_wait -1
	s_and_saveexec_b32 s51, s96
	s_cbranch_execz .LBB33_183
; %bb.182:                              ;   in Loop: Header=BB33_3 Depth=1
	ds_load_b64 v[44:45], v63 offset:6240
	ds_load_b64 v[46:47], v66
	s_wait_dscnt 0x0
	v_fmac_f64_e32 v[0:1], v[44:45], v[46:47]
.LBB33_183:                             ;   in Loop: Header=BB33_3 Depth=1
	s_or_b32 exec_lo, exec_lo, s51
	s_barrier_signal -1
	s_barrier_wait -1
	s_and_saveexec_b32 s51, s97
; %bb.184:                              ;   in Loop: Header=BB33_3 Depth=1
	ds_store_b64 v66, v[0:1]
; %bb.185:                              ;   in Loop: Header=BB33_3 Depth=1
	s_or_b32 exec_lo, exec_lo, s51
	s_wait_dscnt 0x0
	s_barrier_signal -1
	s_barrier_wait -1
	s_and_saveexec_b32 s51, s98
	s_cbranch_execz .LBB33_187
; %bb.186:                              ;   in Loop: Header=BB33_3 Depth=1
	ds_load_b64 v[44:45], v63 offset:6752
	ds_load_b64 v[46:47], v66
	s_wait_dscnt 0x0
	v_fmac_f64_e32 v[0:1], v[44:45], v[46:47]
.LBB33_187:                             ;   in Loop: Header=BB33_3 Depth=1
	s_or_b32 exec_lo, exec_lo, s51
	s_barrier_signal -1
	s_barrier_wait -1
	;; [unrolled: 19-line block ×3, first 2 shown]
	s_and_saveexec_b32 s51, s100
; %bb.192:                              ;   in Loop: Header=BB33_3 Depth=1
	ds_store_b64 v66, v[0:1]
; %bb.193:                              ;   in Loop: Header=BB33_3 Depth=1
	s_or_b32 exec_lo, exec_lo, s51
	s_wait_dscnt 0x0
	s_barrier_signal -1
	s_barrier_wait -1
	s_barrier_signal -1
	s_barrier_wait -1
	s_and_saveexec_b32 s51, s2
; %bb.194:                              ;   in Loop: Header=BB33_3 Depth=1
	v_xor_b32_e32 v1, 0x80000000, v1
	ds_store_b64 v68, v[0:1] offset:4192
; %bb.195:                              ;   in Loop: Header=BB33_3 Depth=1
	s_or_b32 exec_lo, exec_lo, s51
	s_wait_dscnt 0x0
	s_barrier_signal -1
	s_barrier_wait -1
	s_barrier_signal -1
	s_barrier_wait -1
	s_and_saveexec_b32 s51, s101
	s_cbranch_execz .LBB33_197
; %bb.196:                              ;   in Loop: Header=BB33_3 Depth=1
	ds_load_b64 v[0:1], v61 offset:4192
	s_wait_dscnt 0x0
	ds_store_b64 v79, v[0:1] offset:6208
	ds_load_b64 v[0:1], v61 offset:4200
	s_wait_dscnt 0x0
	ds_store_b64 v79, v[0:1] offset:6720
	ds_load_b64 v[0:1], v61 offset:4208
	s_wait_dscnt 0x0
	ds_store_b64 v79, v[0:1] offset:7232
	ds_load_b64 v[0:1], v61 offset:4216
	s_wait_dscnt 0x0
	ds_store_b64 v79, v[0:1] offset:7744
.LBB33_197:                             ;   in Loop: Header=BB33_3 Depth=1
	s_or_b32 exec_lo, exec_lo, s51
	s_wait_dscnt 0x0
	s_barrier_signal -1
	s_barrier_wait -1
	s_and_saveexec_b32 s51, s10
	s_cbranch_execz .LBB33_199
; %bb.198:                              ;   in Loop: Header=BB33_3 Depth=1
	ds_load_b64 v[0:1], v9 offset:6248
	v_mov_b32_e32 v2, v9
	ds_store_b64 v9, v[30:31] offset:6240
	s_wait_dscnt 0x1
	ds_store_b128 v9, v[0:3] offset:6752
.LBB33_199:                             ;   in Loop: Header=BB33_3 Depth=1
	s_or_b32 exec_lo, exec_lo, s51
	v_mov_b64_e32 v[0:1], 0
	s_wait_dscnt 0x0
	s_barrier_signal -1
	s_barrier_wait -1
	s_and_saveexec_b32 s51, s0
	s_cbranch_execz .LBB33_203
; %bb.200:                              ;   in Loop: Header=BB33_3 Depth=1
	ds_load_b64 v[0:1], v64 offset:6256
	ds_load_b64 v[44:45], v65 offset:6240
	s_wait_dscnt 0x0
	v_fma_f64 v[0:1], v[0:1], v[44:45], 0
	s_and_saveexec_b32 s52, s11
	s_cbranch_execz .LBB33_202
; %bb.201:                              ;   in Loop: Header=BB33_3 Depth=1
	ds_load_b64 v[44:45], v79 offset:6768
	ds_load_b64 v[46:47], v9 offset:6248
	s_wait_dscnt 0x0
	v_fmac_f64_e32 v[0:1], v[44:45], v[46:47]
.LBB33_202:                             ;   in Loop: Header=BB33_3 Depth=1
	s_or_b32 exec_lo, exec_lo, s52
	s_delay_alu instid0(VALU_DEP_1)
	v_xor_b32_e32 v1, 0x80000000, v1
.LBB33_203:                             ;   in Loop: Header=BB33_3 Depth=1
	s_or_b32 exec_lo, exec_lo, s51
	s_and_saveexec_b32 s51, s92
; %bb.204:                              ;   in Loop: Header=BB33_3 Depth=1
	ds_store_b64 v56, v[0:1]
; %bb.205:                              ;   in Loop: Header=BB33_3 Depth=1
	s_or_b32 exec_lo, exec_lo, s51
	s_wait_dscnt 0x0
	s_barrier_signal -1
	s_barrier_wait -1
	s_and_saveexec_b32 s51, s93
	s_cbranch_execz .LBB33_207
; %bb.206:                              ;   in Loop: Header=BB33_3 Depth=1
	ds_load_b64 v[44:45], v9 offset:7288
	ds_load_b64 v[46:47], v56
	s_wait_dscnt 0x0
	v_fmac_f64_e32 v[0:1], v[44:45], v[46:47]
.LBB33_207:                             ;   in Loop: Header=BB33_3 Depth=1
	s_or_b32 exec_lo, exec_lo, s51
	s_barrier_signal -1
	s_barrier_wait -1
	s_and_saveexec_b32 s51, s93
; %bb.208:                              ;   in Loop: Header=BB33_3 Depth=1
	ds_store_b64 v56, v[0:1]
; %bb.209:                              ;   in Loop: Header=BB33_3 Depth=1
	s_or_b32 exec_lo, exec_lo, s51
	s_wait_dscnt 0x0
	s_barrier_signal -1
	s_barrier_wait -1
	s_barrier_signal -1
	s_barrier_wait -1
	s_and_saveexec_b32 s51, s0
; %bb.210:                              ;   in Loop: Header=BB33_3 Depth=1
	v_xor_b32_e32 v1, 0x80000000, v1
	ds_store_b64 v64, v[0:1] offset:6256
; %bb.211:                              ;   in Loop: Header=BB33_3 Depth=1
	s_or_b32 exec_lo, exec_lo, s51
	s_wait_dscnt 0x0
	s_barrier_signal -1
	s_barrier_wait -1
	s_barrier_signal -1
	s_barrier_wait -1
	s_and_saveexec_b32 s51, s94
	s_cbranch_execz .LBB33_213
; %bb.212:                              ;   in Loop: Header=BB33_3 Depth=1
	ds_load_b64 v[0:1], v80 offset:6256
	s_wait_dscnt 0x0
	ds_store_b64 v79, v[0:1] offset:7264
	ds_load_b64 v[0:1], v80 offset:6264
	s_wait_dscnt 0x0
	ds_store_b64 v79, v[0:1] offset:7776
.LBB33_213:                             ;   in Loop: Header=BB33_3 Depth=1
	s_or_b32 exec_lo, exec_lo, s51
	s_wait_dscnt 0x0
	s_barrier_signal -1
	s_barrier_wait -1
	s_and_saveexec_b32 s51, s10
	s_cbranch_execz .LBB33_215
; %bb.214:                              ;   in Loop: Header=BB33_3 Depth=1
	ds_load_b64 v[0:1], v9 offset:7288
	v_mov_b32_e32 v2, v9
	ds_store_b64 v9, v[30:31] offset:7280
	s_wait_dscnt 0x1
	ds_store_b128 v9, v[0:3] offset:7792
.LBB33_215:                             ;   in Loop: Header=BB33_3 Depth=1
	s_or_b32 exec_lo, exec_lo, s51
	v_mov_b64_e32 v[0:1], 0
	s_wait_dscnt 0x0
	s_barrier_signal -1
	s_barrier_wait -1
	s_and_saveexec_b32 s82, s4
	s_cbranch_execz .LBB33_243
; %bb.216:                              ;   in Loop: Header=BB33_3 Depth=1
	ds_load_b64 v[0:1], v75 offset:128
	ds_load_b64 v[44:45], v60
	s_wait_dscnt 0x0
	v_fma_f64 v[0:1], v[0:1], v[44:45], 0
	s_mov_b32 s51, exec_lo
	v_readlane_b32 s52, v102, 23
	s_and_b32 s52, s51, s52
	s_delay_alu instid0(SALU_CYCLE_1)
	s_mov_b32 exec_lo, s52
	s_cbranch_execz .LBB33_218
; %bb.217:                              ;   in Loop: Header=BB33_3 Depth=1
	ds_load_b64 v[44:45], v76 offset:640
	ds_load_b64 v[46:47], v60 offset:8
	s_wait_dscnt 0x0
	v_fmac_f64_e32 v[0:1], v[44:45], v[46:47]
.LBB33_218:                             ;   in Loop: Header=BB33_3 Depth=1
	s_or_b32 exec_lo, exec_lo, s51
	s_delay_alu instid0(SALU_CYCLE_1) | instskip(SKIP_2) | instid1(SALU_CYCLE_1)
	s_mov_b32 s51, exec_lo
	v_readlane_b32 s52, v102, 24
	s_and_b32 s52, s51, s52
	s_mov_b32 exec_lo, s52
	s_cbranch_execz .LBB33_220
; %bb.219:                              ;   in Loop: Header=BB33_3 Depth=1
	ds_load_b64 v[44:45], v76 offset:1152
	ds_load_b64 v[46:47], v60 offset:16
	s_wait_dscnt 0x0
	v_fmac_f64_e32 v[0:1], v[44:45], v[46:47]
.LBB33_220:                             ;   in Loop: Header=BB33_3 Depth=1
	s_or_b32 exec_lo, exec_lo, s51
	s_delay_alu instid0(SALU_CYCLE_1) | instskip(SKIP_2) | instid1(SALU_CYCLE_1)
	s_mov_b32 s51, exec_lo
	v_readlane_b32 s52, v102, 25
	s_and_b32 s52, s51, s52
	s_mov_b32 exec_lo, s52
	s_cbranch_execz .LBB33_222
; %bb.221:                              ;   in Loop: Header=BB33_3 Depth=1
	ds_load_b64 v[44:45], v76 offset:1664
	ds_load_b64 v[46:47], v60 offset:24
	s_wait_dscnt 0x0
	v_fmac_f64_e32 v[0:1], v[44:45], v[46:47]
.LBB33_222:                             ;   in Loop: Header=BB33_3 Depth=1
	s_or_b32 exec_lo, exec_lo, s51
	s_delay_alu instid0(SALU_CYCLE_1) | instskip(SKIP_2) | instid1(SALU_CYCLE_1)
	s_mov_b32 s51, exec_lo
	v_readlane_b32 s52, v102, 26
	s_and_b32 s52, s51, s52
	s_mov_b32 exec_lo, s52
	s_cbranch_execz .LBB33_224
; %bb.223:                              ;   in Loop: Header=BB33_3 Depth=1
	ds_load_b64 v[44:45], v76 offset:2176
	ds_load_b64 v[46:47], v60 offset:32
	s_wait_dscnt 0x0
	v_fmac_f64_e32 v[0:1], v[44:45], v[46:47]
.LBB33_224:                             ;   in Loop: Header=BB33_3 Depth=1
	s_or_b32 exec_lo, exec_lo, s51
	s_delay_alu instid0(SALU_CYCLE_1) | instskip(SKIP_2) | instid1(SALU_CYCLE_1)
	s_mov_b32 s51, exec_lo
	v_readlane_b32 s52, v102, 27
	s_and_b32 s52, s51, s52
	s_mov_b32 exec_lo, s52
	s_cbranch_execz .LBB33_226
; %bb.225:                              ;   in Loop: Header=BB33_3 Depth=1
	ds_load_b64 v[44:45], v76 offset:2688
	ds_load_b64 v[46:47], v60 offset:40
	s_wait_dscnt 0x0
	v_fmac_f64_e32 v[0:1], v[44:45], v[46:47]
.LBB33_226:                             ;   in Loop: Header=BB33_3 Depth=1
	s_or_b32 exec_lo, exec_lo, s51
	s_delay_alu instid0(SALU_CYCLE_1) | instskip(SKIP_2) | instid1(SALU_CYCLE_1)
	s_mov_b32 s51, exec_lo
	v_readlane_b32 s52, v102, 28
	s_and_b32 s52, s51, s52
	s_mov_b32 exec_lo, s52
	s_cbranch_execz .LBB33_228
; %bb.227:                              ;   in Loop: Header=BB33_3 Depth=1
	ds_load_b64 v[44:45], v76 offset:3200
	ds_load_b64 v[46:47], v60 offset:48
	s_wait_dscnt 0x0
	v_fmac_f64_e32 v[0:1], v[44:45], v[46:47]
.LBB33_228:                             ;   in Loop: Header=BB33_3 Depth=1
	s_or_b32 exec_lo, exec_lo, s51
	s_delay_alu instid0(SALU_CYCLE_1) | instskip(SKIP_2) | instid1(SALU_CYCLE_1)
	s_mov_b32 s51, exec_lo
	v_readlane_b32 s52, v102, 29
	s_and_b32 s52, s51, s52
	s_mov_b32 exec_lo, s52
	s_cbranch_execz .LBB33_230
; %bb.229:                              ;   in Loop: Header=BB33_3 Depth=1
	ds_load_b64 v[44:45], v76 offset:3712
	ds_load_b64 v[46:47], v60 offset:56
	s_wait_dscnt 0x0
	v_fmac_f64_e32 v[0:1], v[44:45], v[46:47]
.LBB33_230:                             ;   in Loop: Header=BB33_3 Depth=1
	s_or_b32 exec_lo, exec_lo, s51
	s_delay_alu instid0(SALU_CYCLE_1) | instskip(SKIP_2) | instid1(SALU_CYCLE_1)
	s_mov_b32 s51, exec_lo
	v_readlane_b32 s52, v102, 30
	s_and_b32 s52, s51, s52
	s_mov_b32 exec_lo, s52
	s_cbranch_execz .LBB33_232
; %bb.231:                              ;   in Loop: Header=BB33_3 Depth=1
	ds_load_b64 v[44:45], v75 offset:4224
	ds_load_b64 v[46:47], v60 offset:64
	s_wait_dscnt 0x0
	v_fmac_f64_e32 v[0:1], v[44:45], v[46:47]
.LBB33_232:                             ;   in Loop: Header=BB33_3 Depth=1
	s_or_b32 exec_lo, exec_lo, s51
	s_delay_alu instid0(SALU_CYCLE_1) | instskip(SKIP_2) | instid1(SALU_CYCLE_1)
	s_mov_b32 s51, exec_lo
	v_readlane_b32 s52, v102, 31
	s_and_b32 s52, s51, s52
	s_mov_b32 exec_lo, s52
	s_cbranch_execz .LBB33_234
; %bb.233:                              ;   in Loop: Header=BB33_3 Depth=1
	ds_load_b64 v[44:45], v76 offset:4736
	ds_load_b64 v[46:47], v60 offset:72
	s_wait_dscnt 0x0
	v_fmac_f64_e32 v[0:1], v[44:45], v[46:47]
.LBB33_234:                             ;   in Loop: Header=BB33_3 Depth=1
	s_or_b32 exec_lo, exec_lo, s51
	s_delay_alu instid0(SALU_CYCLE_1) | instskip(SKIP_2) | instid1(SALU_CYCLE_1)
	s_mov_b32 s51, exec_lo
	v_readlane_b32 s52, v97, 0
	s_and_b32 s52, s51, s52
	s_mov_b32 exec_lo, s52
	s_cbranch_execz .LBB33_236
; %bb.235:                              ;   in Loop: Header=BB33_3 Depth=1
	ds_load_b64 v[44:45], v76 offset:5248
	ds_load_b64 v[46:47], v60 offset:80
	s_wait_dscnt 0x0
	v_fmac_f64_e32 v[0:1], v[44:45], v[46:47]
.LBB33_236:                             ;   in Loop: Header=BB33_3 Depth=1
	s_or_b32 exec_lo, exec_lo, s51
	s_delay_alu instid0(SALU_CYCLE_1) | instskip(SKIP_2) | instid1(SALU_CYCLE_1)
	s_mov_b32 s51, exec_lo
	v_readlane_b32 s52, v97, 1
	s_and_b32 s52, s51, s52
	s_mov_b32 exec_lo, s52
	s_cbranch_execnz .LBB33_1077
; %bb.237:                              ;   in Loop: Header=BB33_3 Depth=1
	s_or_b32 exec_lo, exec_lo, s51
	s_and_saveexec_b32 s51, s3
	s_cbranch_execnz .LBB33_1078
.LBB33_238:                             ;   in Loop: Header=BB33_3 Depth=1
	s_or_b32 exec_lo, exec_lo, s51
	s_and_saveexec_b32 s51, s15
	s_cbranch_execnz .LBB33_1079
.LBB33_239:                             ;   in Loop: Header=BB33_3 Depth=1
	s_or_b32 exec_lo, exec_lo, s51
	s_and_saveexec_b32 s51, s17
	s_cbranch_execnz .LBB33_1080
.LBB33_240:                             ;   in Loop: Header=BB33_3 Depth=1
	s_or_b32 exec_lo, exec_lo, s51
	s_and_saveexec_b32 s51, s2
	s_cbranch_execz .LBB33_242
.LBB33_241:                             ;   in Loop: Header=BB33_3 Depth=1
	ds_load_b64 v[44:45], v7 offset:7808
	ds_load_b64 v[46:47], v9 offset:120
	s_wait_dscnt 0x0
	v_fmac_f64_e32 v[0:1], v[44:45], v[46:47]
.LBB33_242:                             ;   in Loop: Header=BB33_3 Depth=1
	s_or_b32 exec_lo, exec_lo, s51
	s_delay_alu instid0(VALU_DEP_1)
	v_xor_b32_e32 v1, 0x80000000, v1
.LBB33_243:                             ;   in Loop: Header=BB33_3 Depth=1
	s_or_b32 exec_lo, exec_lo, s82
	s_delay_alu instid0(SALU_CYCLE_1) | instskip(SKIP_2) | instid1(SALU_CYCLE_1)
	s_mov_b32 s51, exec_lo
	v_readlane_b32 s52, v102, 2
	s_and_b32 s52, s51, s52
	s_mov_b32 exec_lo, s52
; %bb.244:                              ;   in Loop: Header=BB33_3 Depth=1
	ds_store_b64 v74, v[0:1]
; %bb.245:                              ;   in Loop: Header=BB33_3 Depth=1
	s_or_b32 exec_lo, exec_lo, s51
	s_wait_dscnt 0x0
	s_barrier_signal -1
	s_barrier_wait -1
	s_mov_b32 s51, exec_lo
	v_readlane_b32 s52, v102, 3
	s_and_b32 s52, s51, s52
	s_delay_alu instid0(SALU_CYCLE_1)
	s_mov_b32 exec_lo, s52
	s_cbranch_execz .LBB33_247
; %bb.246:                              ;   in Loop: Header=BB33_3 Depth=1
	ds_load_b64 v[44:45], v70 offset:8320
	ds_load_b64 v[46:47], v74
	s_wait_dscnt 0x0
	v_fmac_f64_e32 v[0:1], v[44:45], v[46:47]
.LBB33_247:                             ;   in Loop: Header=BB33_3 Depth=1
	s_or_b32 exec_lo, exec_lo, s51
	s_barrier_signal -1
	s_barrier_wait -1
	s_mov_b32 s51, exec_lo
	v_readlane_b32 s52, v102, 4
	s_and_b32 s52, s51, s52
	s_delay_alu instid0(SALU_CYCLE_1)
	s_mov_b32 exec_lo, s52
; %bb.248:                              ;   in Loop: Header=BB33_3 Depth=1
	ds_store_b64 v74, v[0:1]
; %bb.249:                              ;   in Loop: Header=BB33_3 Depth=1
	s_or_b32 exec_lo, exec_lo, s51
	s_wait_dscnt 0x0
	s_barrier_signal -1
	s_barrier_wait -1
	s_mov_b32 s51, exec_lo
	v_readlane_b32 s52, v102, 5
	s_and_b32 s52, s51, s52
	s_delay_alu instid0(SALU_CYCLE_1)
	s_mov_b32 exec_lo, s52
	s_cbranch_execz .LBB33_251
; %bb.250:                              ;   in Loop: Header=BB33_3 Depth=1
	ds_load_b64 v[44:45], v70 offset:8832
	ds_load_b64 v[46:47], v74
	s_wait_dscnt 0x0
	v_fmac_f64_e32 v[0:1], v[44:45], v[46:47]
.LBB33_251:                             ;   in Loop: Header=BB33_3 Depth=1
	s_or_b32 exec_lo, exec_lo, s51
	s_barrier_signal -1
	s_barrier_wait -1
	s_mov_b32 s51, exec_lo
	v_readlane_b32 s52, v102, 6
	s_and_b32 s52, s51, s52
	s_delay_alu instid0(SALU_CYCLE_1)
	;; [unrolled: 27-line block ×5, first 2 shown]
	s_mov_b32 exec_lo, s52
; %bb.264:                              ;   in Loop: Header=BB33_3 Depth=1
	ds_store_b64 v74, v[0:1]
; %bb.265:                              ;   in Loop: Header=BB33_3 Depth=1
	s_or_b32 exec_lo, exec_lo, s51
	s_wait_dscnt 0x0
	s_barrier_signal -1
	s_barrier_wait -1
	s_and_saveexec_b32 s51, s54
	s_cbranch_execz .LBB33_267
; %bb.266:                              ;   in Loop: Header=BB33_3 Depth=1
	ds_load_b64 v[44:45], v70 offset:10880
	ds_load_b64 v[46:47], v74
	s_wait_dscnt 0x0
	v_fmac_f64_e32 v[0:1], v[44:45], v[46:47]
.LBB33_267:                             ;   in Loop: Header=BB33_3 Depth=1
	s_or_b32 exec_lo, exec_lo, s51
	s_barrier_signal -1
	s_barrier_wait -1
	s_and_saveexec_b32 s51, s19
; %bb.268:                              ;   in Loop: Header=BB33_3 Depth=1
	ds_store_b64 v74, v[0:1]
; %bb.269:                              ;   in Loop: Header=BB33_3 Depth=1
	s_or_b32 exec_lo, exec_lo, s51
	s_wait_dscnt 0x0
	s_barrier_signal -1
	s_barrier_wait -1
	s_and_saveexec_b32 s51, s21
	s_cbranch_execz .LBB33_271
; %bb.270:                              ;   in Loop: Header=BB33_3 Depth=1
	ds_load_b64 v[44:45], v70 offset:11392
	ds_load_b64 v[46:47], v74
	s_wait_dscnt 0x0
	v_fmac_f64_e32 v[0:1], v[44:45], v[46:47]
.LBB33_271:                             ;   in Loop: Header=BB33_3 Depth=1
	s_or_b32 exec_lo, exec_lo, s51
	s_barrier_signal -1
	s_barrier_wait -1
	s_and_saveexec_b32 s51, s23
	;; [unrolled: 19-line block ×10, first 2 shown]
; %bb.304:                              ;   in Loop: Header=BB33_3 Depth=1
	ds_store_b64 v74, v[0:1]
; %bb.305:                              ;   in Loop: Header=BB33_3 Depth=1
	s_or_b32 exec_lo, exec_lo, s51
	s_wait_dscnt 0x0
	s_barrier_signal -1
	s_barrier_wait -1
	s_barrier_signal -1
	s_barrier_wait -1
	s_and_saveexec_b32 s51, s4
; %bb.306:                              ;   in Loop: Header=BB33_3 Depth=1
	v_xor_b32_e32 v1, 0x80000000, v1
	ds_store_b64 v75, v[0:1] offset:128
; %bb.307:                              ;   in Loop: Header=BB33_3 Depth=1
	s_or_b32 exec_lo, exec_lo, s51
	s_wait_dscnt 0x0
	s_barrier_signal -1
	s_barrier_wait -1
	s_barrier_signal -1
	s_barrier_wait -1
	s_and_saveexec_b32 s51, s48
	s_cbranch_execz .LBB33_309
; %bb.308:                              ;   in Loop: Header=BB33_3 Depth=1
	ds_load_b64 v[0:1], v11 offset:128
	s_wait_dscnt 0x0
	ds_store_b64 v48, v[0:1] offset:8192
	ds_load_b64 v[0:1], v11 offset:136
	s_wait_dscnt 0x0
	ds_store_b64 v48, v[0:1] offset:8704
	;; [unrolled: 3-line block ×16, first 2 shown]
.LBB33_309:                             ;   in Loop: Header=BB33_3 Depth=1
	s_or_b32 exec_lo, exec_lo, s51
	s_wait_dscnt 0x0
	s_barrier_signal -1
	s_barrier_wait -1
	s_and_saveexec_b32 s51, s10
	s_cbranch_execz .LBB33_311
; %bb.310:                              ;   in Loop: Header=BB33_3 Depth=1
	ds_load_b64 v[0:1], v9 offset:8328
	v_mov_b32_e32 v2, v9
	ds_store_b64 v9, v[30:31] offset:8320
	s_wait_dscnt 0x1
	ds_store_b128 v9, v[0:3] offset:8832
.LBB33_311:                             ;   in Loop: Header=BB33_3 Depth=1
	s_or_b32 exec_lo, exec_lo, s51
	v_mov_b64_e32 v[0:1], 0
	s_wait_dscnt 0x0
	s_barrier_signal -1
	s_barrier_wait -1
	s_and_saveexec_b32 s51, s0
	s_cbranch_execz .LBB33_315
; %bb.312:                              ;   in Loop: Header=BB33_3 Depth=1
	ds_load_b64 v[0:1], v64 offset:8336
	ds_load_b64 v[44:45], v65 offset:8320
	s_wait_dscnt 0x0
	v_fma_f64 v[0:1], v[0:1], v[44:45], 0
	s_and_saveexec_b32 s52, s11
	s_cbranch_execz .LBB33_314
; %bb.313:                              ;   in Loop: Header=BB33_3 Depth=1
	ds_load_b64 v[44:45], v7 offset:8848
	ds_load_b64 v[46:47], v9 offset:8328
	s_wait_dscnt 0x0
	v_fmac_f64_e32 v[0:1], v[44:45], v[46:47]
.LBB33_314:                             ;   in Loop: Header=BB33_3 Depth=1
	s_or_b32 exec_lo, exec_lo, s52
	s_delay_alu instid0(VALU_DEP_1)
	v_xor_b32_e32 v1, 0x80000000, v1
.LBB33_315:                             ;   in Loop: Header=BB33_3 Depth=1
	s_or_b32 exec_lo, exec_lo, s51
	s_and_saveexec_b32 s51, s92
; %bb.316:                              ;   in Loop: Header=BB33_3 Depth=1
	ds_store_b64 v56, v[0:1]
; %bb.317:                              ;   in Loop: Header=BB33_3 Depth=1
	s_or_b32 exec_lo, exec_lo, s51
	s_wait_dscnt 0x0
	s_barrier_signal -1
	s_barrier_wait -1
	s_and_saveexec_b32 s51, s93
	s_cbranch_execz .LBB33_319
; %bb.318:                              ;   in Loop: Header=BB33_3 Depth=1
	ds_load_b64 v[44:45], v9 offset:9368
	ds_load_b64 v[46:47], v56
	s_wait_dscnt 0x0
	v_fmac_f64_e32 v[0:1], v[44:45], v[46:47]
.LBB33_319:                             ;   in Loop: Header=BB33_3 Depth=1
	s_or_b32 exec_lo, exec_lo, s51
	s_barrier_signal -1
	s_barrier_wait -1
	s_and_saveexec_b32 s51, s93
; %bb.320:                              ;   in Loop: Header=BB33_3 Depth=1
	ds_store_b64 v56, v[0:1]
; %bb.321:                              ;   in Loop: Header=BB33_3 Depth=1
	s_or_b32 exec_lo, exec_lo, s51
	s_wait_dscnt 0x0
	s_barrier_signal -1
	s_barrier_wait -1
	s_barrier_signal -1
	s_barrier_wait -1
	s_and_saveexec_b32 s51, s0
; %bb.322:                              ;   in Loop: Header=BB33_3 Depth=1
	v_xor_b32_e32 v1, 0x80000000, v1
	ds_store_b64 v64, v[0:1] offset:8336
; %bb.323:                              ;   in Loop: Header=BB33_3 Depth=1
	s_or_b32 exec_lo, exec_lo, s51
	s_wait_dscnt 0x0
	s_barrier_signal -1
	s_barrier_wait -1
	s_barrier_signal -1
	s_barrier_wait -1
	s_and_saveexec_b32 s51, s94
	s_cbranch_execz .LBB33_325
; %bb.324:                              ;   in Loop: Header=BB33_3 Depth=1
	ds_load_b64 v[0:1], v11 offset:8336
	s_wait_dscnt 0x0
	ds_store_b64 v7, v[0:1] offset:9344
	ds_load_b64 v[0:1], v11 offset:8344
	s_wait_dscnt 0x0
	ds_store_b64 v7, v[0:1] offset:9856
.LBB33_325:                             ;   in Loop: Header=BB33_3 Depth=1
	s_or_b32 exec_lo, exec_lo, s51
	s_wait_dscnt 0x0
	s_barrier_signal -1
	s_barrier_wait -1
	s_and_saveexec_b32 s51, s10
	s_cbranch_execz .LBB33_327
; %bb.326:                              ;   in Loop: Header=BB33_3 Depth=1
	ds_load_b64 v[0:1], v9 offset:9368
	v_mov_b32_e32 v2, v9
	ds_store_b64 v9, v[30:31] offset:9360
	s_wait_dscnt 0x1
	ds_store_b128 v9, v[0:3] offset:9872
.LBB33_327:                             ;   in Loop: Header=BB33_3 Depth=1
	s_or_b32 exec_lo, exec_lo, s51
	v_mov_b64_e32 v[0:1], 0
	s_wait_dscnt 0x0
	s_barrier_signal -1
	s_barrier_wait -1
	s_and_saveexec_b32 s61, s2
	s_cbranch_execz .LBB33_333
; %bb.328:                              ;   in Loop: Header=BB33_3 Depth=1
	ds_load_b64 v[0:1], v68 offset:8352
	ds_load_b64 v[44:45], v55 offset:8320
	s_wait_dscnt 0x0
	v_fma_f64 v[0:1], v[0:1], v[44:45], 0
	s_and_saveexec_b32 s51, s12
	s_cbranch_execnz .LBB33_1081
; %bb.329:                              ;   in Loop: Header=BB33_3 Depth=1
	s_or_b32 exec_lo, exec_lo, s51
	s_and_saveexec_b32 s51, s13
	s_cbranch_execnz .LBB33_1082
.LBB33_330:                             ;   in Loop: Header=BB33_3 Depth=1
	s_or_b32 exec_lo, exec_lo, s51
	s_and_saveexec_b32 s51, s0
	s_cbranch_execz .LBB33_332
.LBB33_331:                             ;   in Loop: Header=BB33_3 Depth=1
	ds_load_b64 v[44:45], v48 offset:9888
	ds_load_b64 v[46:47], v9 offset:8344
	s_wait_dscnt 0x0
	v_fmac_f64_e32 v[0:1], v[44:45], v[46:47]
.LBB33_332:                             ;   in Loop: Header=BB33_3 Depth=1
	s_or_b32 exec_lo, exec_lo, s51
	s_delay_alu instid0(VALU_DEP_1)
	v_xor_b32_e32 v1, 0x80000000, v1
.LBB33_333:                             ;   in Loop: Header=BB33_3 Depth=1
	s_or_b32 exec_lo, exec_lo, s61
	s_and_saveexec_b32 s51, s95
; %bb.334:                              ;   in Loop: Header=BB33_3 Depth=1
	ds_store_b64 v66, v[0:1]
; %bb.335:                              ;   in Loop: Header=BB33_3 Depth=1
	s_or_b32 exec_lo, exec_lo, s51
	s_wait_dscnt 0x0
	s_barrier_signal -1
	s_barrier_wait -1
	s_and_saveexec_b32 s51, s96
	s_cbranch_execz .LBB33_337
; %bb.336:                              ;   in Loop: Header=BB33_3 Depth=1
	ds_load_b64 v[44:45], v63 offset:10400
	ds_load_b64 v[46:47], v66
	s_wait_dscnt 0x0
	v_fmac_f64_e32 v[0:1], v[44:45], v[46:47]
.LBB33_337:                             ;   in Loop: Header=BB33_3 Depth=1
	s_or_b32 exec_lo, exec_lo, s51
	s_barrier_signal -1
	s_barrier_wait -1
	s_and_saveexec_b32 s51, s97
; %bb.338:                              ;   in Loop: Header=BB33_3 Depth=1
	ds_store_b64 v66, v[0:1]
; %bb.339:                              ;   in Loop: Header=BB33_3 Depth=1
	s_or_b32 exec_lo, exec_lo, s51
	s_wait_dscnt 0x0
	s_barrier_signal -1
	s_barrier_wait -1
	s_and_saveexec_b32 s51, s98
	s_cbranch_execz .LBB33_341
; %bb.340:                              ;   in Loop: Header=BB33_3 Depth=1
	ds_load_b64 v[44:45], v63 offset:10912
	ds_load_b64 v[46:47], v66
	s_wait_dscnt 0x0
	v_fmac_f64_e32 v[0:1], v[44:45], v[46:47]
.LBB33_341:                             ;   in Loop: Header=BB33_3 Depth=1
	s_or_b32 exec_lo, exec_lo, s51
	s_barrier_signal -1
	s_barrier_wait -1
	;; [unrolled: 19-line block ×3, first 2 shown]
	s_and_saveexec_b32 s51, s100
; %bb.346:                              ;   in Loop: Header=BB33_3 Depth=1
	ds_store_b64 v66, v[0:1]
; %bb.347:                              ;   in Loop: Header=BB33_3 Depth=1
	s_or_b32 exec_lo, exec_lo, s51
	s_wait_dscnt 0x0
	s_barrier_signal -1
	s_barrier_wait -1
	s_barrier_signal -1
	s_barrier_wait -1
	s_and_saveexec_b32 s51, s2
; %bb.348:                              ;   in Loop: Header=BB33_3 Depth=1
	v_xor_b32_e32 v1, 0x80000000, v1
	ds_store_b64 v68, v[0:1] offset:8352
; %bb.349:                              ;   in Loop: Header=BB33_3 Depth=1
	s_or_b32 exec_lo, exec_lo, s51
	s_wait_dscnt 0x0
	s_barrier_signal -1
	s_barrier_wait -1
	s_barrier_signal -1
	s_barrier_wait -1
	s_and_saveexec_b32 s51, s101
	s_cbranch_execz .LBB33_351
; %bb.350:                              ;   in Loop: Header=BB33_3 Depth=1
	ds_load_b64 v[0:1], v49 offset:8352
	s_wait_dscnt 0x0
	ds_store_b64 v50, v[0:1] offset:10368
	ds_load_b64 v[0:1], v49 offset:8360
	s_wait_dscnt 0x0
	ds_store_b64 v50, v[0:1] offset:10880
	ds_load_b64 v[0:1], v49 offset:8368
	s_wait_dscnt 0x0
	ds_store_b64 v50, v[0:1] offset:11392
	ds_load_b64 v[0:1], v49 offset:8376
	s_wait_dscnt 0x0
	ds_store_b64 v50, v[0:1] offset:11904
.LBB33_351:                             ;   in Loop: Header=BB33_3 Depth=1
	s_or_b32 exec_lo, exec_lo, s51
	s_wait_dscnt 0x0
	s_barrier_signal -1
	s_barrier_wait -1
	s_and_saveexec_b32 s51, s10
	s_cbranch_execz .LBB33_353
; %bb.352:                              ;   in Loop: Header=BB33_3 Depth=1
	ds_load_b64 v[0:1], v9 offset:10408
	v_mov_b32_e32 v2, v9
	ds_store_b64 v9, v[30:31] offset:10400
	s_wait_dscnt 0x1
	ds_store_b128 v9, v[0:3] offset:10912
.LBB33_353:                             ;   in Loop: Header=BB33_3 Depth=1
	s_or_b32 exec_lo, exec_lo, s51
	v_mov_b64_e32 v[0:1], 0
	s_wait_dscnt 0x0
	s_barrier_signal -1
	s_barrier_wait -1
	s_and_saveexec_b32 s51, s0
	s_cbranch_execz .LBB33_357
; %bb.354:                              ;   in Loop: Header=BB33_3 Depth=1
	ds_load_b64 v[0:1], v64 offset:10416
	ds_load_b64 v[44:45], v65 offset:10400
	s_wait_dscnt 0x0
	v_fma_f64 v[0:1], v[0:1], v[44:45], 0
	s_and_saveexec_b32 s52, s11
	s_cbranch_execz .LBB33_356
; %bb.355:                              ;   in Loop: Header=BB33_3 Depth=1
	ds_load_b64 v[44:45], v50 offset:10928
	ds_load_b64 v[46:47], v9 offset:10408
	s_wait_dscnt 0x0
	v_fmac_f64_e32 v[0:1], v[44:45], v[46:47]
.LBB33_356:                             ;   in Loop: Header=BB33_3 Depth=1
	s_or_b32 exec_lo, exec_lo, s52
	s_delay_alu instid0(VALU_DEP_1)
	v_xor_b32_e32 v1, 0x80000000, v1
.LBB33_357:                             ;   in Loop: Header=BB33_3 Depth=1
	s_or_b32 exec_lo, exec_lo, s51
	s_and_saveexec_b32 s51, s92
; %bb.358:                              ;   in Loop: Header=BB33_3 Depth=1
	ds_store_b64 v56, v[0:1]
; %bb.359:                              ;   in Loop: Header=BB33_3 Depth=1
	s_or_b32 exec_lo, exec_lo, s51
	s_wait_dscnt 0x0
	s_barrier_signal -1
	s_barrier_wait -1
	s_and_saveexec_b32 s51, s93
	s_cbranch_execz .LBB33_361
; %bb.360:                              ;   in Loop: Header=BB33_3 Depth=1
	ds_load_b64 v[44:45], v9 offset:11448
	ds_load_b64 v[46:47], v56
	s_wait_dscnt 0x0
	v_fmac_f64_e32 v[0:1], v[44:45], v[46:47]
.LBB33_361:                             ;   in Loop: Header=BB33_3 Depth=1
	s_or_b32 exec_lo, exec_lo, s51
	s_barrier_signal -1
	s_barrier_wait -1
	s_and_saveexec_b32 s51, s93
; %bb.362:                              ;   in Loop: Header=BB33_3 Depth=1
	ds_store_b64 v56, v[0:1]
; %bb.363:                              ;   in Loop: Header=BB33_3 Depth=1
	s_or_b32 exec_lo, exec_lo, s51
	s_wait_dscnt 0x0
	s_barrier_signal -1
	s_barrier_wait -1
	s_barrier_signal -1
	s_barrier_wait -1
	s_and_saveexec_b32 s51, s0
; %bb.364:                              ;   in Loop: Header=BB33_3 Depth=1
	v_xor_b32_e32 v1, 0x80000000, v1
	ds_store_b64 v64, v[0:1] offset:10416
; %bb.365:                              ;   in Loop: Header=BB33_3 Depth=1
	s_or_b32 exec_lo, exec_lo, s51
	s_wait_dscnt 0x0
	s_barrier_signal -1
	s_barrier_wait -1
	s_barrier_signal -1
	s_barrier_wait -1
	s_and_saveexec_b32 s51, s94
	s_cbranch_execz .LBB33_367
; %bb.366:                              ;   in Loop: Header=BB33_3 Depth=1
	ds_load_b64 v[0:1], v51 offset:10416
	s_wait_dscnt 0x0
	ds_store_b64 v50, v[0:1] offset:11424
	ds_load_b64 v[0:1], v51 offset:10424
	s_wait_dscnt 0x0
	ds_store_b64 v50, v[0:1] offset:11936
.LBB33_367:                             ;   in Loop: Header=BB33_3 Depth=1
	s_or_b32 exec_lo, exec_lo, s51
	s_wait_dscnt 0x0
	s_barrier_signal -1
	s_barrier_wait -1
	s_and_saveexec_b32 s51, s10
	s_cbranch_execz .LBB33_369
; %bb.368:                              ;   in Loop: Header=BB33_3 Depth=1
	ds_load_b64 v[0:1], v9 offset:11448
	v_mov_b32_e32 v2, v9
	ds_store_b64 v9, v[30:31] offset:11440
	s_wait_dscnt 0x1
	ds_store_b128 v9, v[0:3] offset:11952
.LBB33_369:                             ;   in Loop: Header=BB33_3 Depth=1
	s_or_b32 exec_lo, exec_lo, s51
	v_mov_b64_e32 v[0:1], 0
	s_wait_dscnt 0x0
	s_barrier_signal -1
	s_barrier_wait -1
	s_and_saveexec_b32 s61, s3
	s_cbranch_execz .LBB33_379
; %bb.370:                              ;   in Loop: Header=BB33_3 Depth=1
	ds_load_b64 v[0:1], v72 offset:8384
	ds_load_b64 v[44:45], v58 offset:8320
	s_wait_dscnt 0x0
	v_fma_f64 v[0:1], v[0:1], v[44:45], 0
	s_and_saveexec_b32 s51, s14
	s_cbranch_execnz .LBB33_1083
; %bb.371:                              ;   in Loop: Header=BB33_3 Depth=1
	s_or_b32 exec_lo, exec_lo, s51
	s_and_saveexec_b32 s51, s15
	s_cbranch_execnz .LBB33_1084
.LBB33_372:                             ;   in Loop: Header=BB33_3 Depth=1
	s_or_b32 exec_lo, exec_lo, s51
	s_and_saveexec_b32 s51, s16
	s_cbranch_execnz .LBB33_1085
.LBB33_373:                             ;   in Loop: Header=BB33_3 Depth=1
	s_or_b32 exec_lo, exec_lo, s51
	s_and_saveexec_b32 s51, s17
	s_cbranch_execnz .LBB33_1086
.LBB33_374:                             ;   in Loop: Header=BB33_3 Depth=1
	s_or_b32 exec_lo, exec_lo, s51
	s_and_saveexec_b32 s51, s18
	s_cbranch_execnz .LBB33_1087
.LBB33_375:                             ;   in Loop: Header=BB33_3 Depth=1
	s_or_b32 exec_lo, exec_lo, s51
	s_and_saveexec_b32 s51, s2
	s_cbranch_execnz .LBB33_1088
.LBB33_376:                             ;   in Loop: Header=BB33_3 Depth=1
	s_or_b32 exec_lo, exec_lo, s51
	s_and_saveexec_b32 s51, s13
	s_cbranch_execz .LBB33_378
.LBB33_377:                             ;   in Loop: Header=BB33_3 Depth=1
	ds_load_b64 v[44:45], v52 offset:11968
	ds_load_b64 v[46:47], v9 offset:8376
	s_wait_dscnt 0x0
	v_fmac_f64_e32 v[0:1], v[44:45], v[46:47]
.LBB33_378:                             ;   in Loop: Header=BB33_3 Depth=1
	s_or_b32 exec_lo, exec_lo, s51
	s_delay_alu instid0(VALU_DEP_1)
	v_xor_b32_e32 v1, 0x80000000, v1
.LBB33_379:                             ;   in Loop: Header=BB33_3 Depth=1
	s_or_b32 exec_lo, exec_lo, s61
	s_and_saveexec_b32 s51, s102
; %bb.380:                              ;   in Loop: Header=BB33_3 Depth=1
	ds_store_b64 v71, v[0:1]
; %bb.381:                              ;   in Loop: Header=BB33_3 Depth=1
	s_or_b32 exec_lo, exec_lo, s51
	s_wait_dscnt 0x0
	s_barrier_signal -1
	s_barrier_wait -1
	s_and_saveexec_b32 s51, s103
	s_cbranch_execz .LBB33_383
; %bb.382:                              ;   in Loop: Header=BB33_3 Depth=1
	ds_load_b64 v[44:45], v67 offset:12480
	ds_load_b64 v[46:47], v71
	s_wait_dscnt 0x0
	v_fmac_f64_e32 v[0:1], v[44:45], v[46:47]
.LBB33_383:                             ;   in Loop: Header=BB33_3 Depth=1
	s_or_b32 exec_lo, exec_lo, s51
	s_barrier_signal -1
	s_barrier_wait -1
	s_and_saveexec_b32 s51, s104
; %bb.384:                              ;   in Loop: Header=BB33_3 Depth=1
	ds_store_b64 v71, v[0:1]
; %bb.385:                              ;   in Loop: Header=BB33_3 Depth=1
	s_or_b32 exec_lo, exec_lo, s51
	s_wait_dscnt 0x0
	s_barrier_signal -1
	s_barrier_wait -1
	s_and_saveexec_b32 s51, vcc_hi
	s_cbranch_execz .LBB33_387
; %bb.386:                              ;   in Loop: Header=BB33_3 Depth=1
	ds_load_b64 v[44:45], v67 offset:12992
	ds_load_b64 v[46:47], v71
	s_wait_dscnt 0x0
	v_fmac_f64_e32 v[0:1], v[44:45], v[46:47]
.LBB33_387:                             ;   in Loop: Header=BB33_3 Depth=1
	s_or_b32 exec_lo, exec_lo, s51
	s_barrier_signal -1
	s_barrier_wait -1
	s_and_saveexec_b32 s51, s31
; %bb.388:                              ;   in Loop: Header=BB33_3 Depth=1
	ds_store_b64 v71, v[0:1]
; %bb.389:                              ;   in Loop: Header=BB33_3 Depth=1
	s_or_b32 exec_lo, exec_lo, s51
	s_wait_dscnt 0x0
	s_barrier_signal -1
	s_barrier_wait -1
	s_and_saveexec_b32 s51, s33
	s_cbranch_execz .LBB33_391
; %bb.390:                              ;   in Loop: Header=BB33_3 Depth=1
	ds_load_b64 v[44:45], v67 offset:13504
	ds_load_b64 v[46:47], v71
	s_wait_dscnt 0x0
	v_fmac_f64_e32 v[0:1], v[44:45], v[46:47]
.LBB33_391:                             ;   in Loop: Header=BB33_3 Depth=1
	s_or_b32 exec_lo, exec_lo, s51
	s_barrier_signal -1
	s_barrier_wait -1
	s_and_saveexec_b32 s51, s34
; %bb.392:                              ;   in Loop: Header=BB33_3 Depth=1
	ds_store_b64 v71, v[0:1]
; %bb.393:                              ;   in Loop: Header=BB33_3 Depth=1
	s_or_b32 exec_lo, exec_lo, s51
	s_wait_dscnt 0x0
	s_barrier_signal -1
	s_barrier_wait -1
	s_and_saveexec_b32 s51, s35
	;; [unrolled: 19-line block ×5, first 2 shown]
	s_cbranch_execz .LBB33_407
; %bb.406:                              ;   in Loop: Header=BB33_3 Depth=1
	ds_load_b64 v[44:45], v9 offset:15608
	ds_load_b64 v[46:47], v71
	s_wait_dscnt 0x0
	v_fmac_f64_e32 v[0:1], v[44:45], v[46:47]
.LBB33_407:                             ;   in Loop: Header=BB33_3 Depth=1
	s_or_b32 exec_lo, exec_lo, s51
	s_barrier_signal -1
	s_barrier_wait -1
	s_and_saveexec_b32 s51, s41
; %bb.408:                              ;   in Loop: Header=BB33_3 Depth=1
	ds_store_b64 v71, v[0:1]
; %bb.409:                              ;   in Loop: Header=BB33_3 Depth=1
	s_or_b32 exec_lo, exec_lo, s51
	s_wait_dscnt 0x0
	s_barrier_signal -1
	s_barrier_wait -1
	s_barrier_signal -1
	s_barrier_wait -1
	s_and_saveexec_b32 s51, s3
; %bb.410:                              ;   in Loop: Header=BB33_3 Depth=1
	v_xor_b32_e32 v1, 0x80000000, v1
	ds_store_b64 v72, v[0:1] offset:8384
; %bb.411:                              ;   in Loop: Header=BB33_3 Depth=1
	s_or_b32 exec_lo, exec_lo, s51
	s_wait_dscnt 0x0
	s_barrier_signal -1
	s_barrier_wait -1
	s_barrier_signal -1
	s_barrier_wait -1
	s_and_saveexec_b32 s51, s42
	s_cbranch_execz .LBB33_413
; %bb.412:                              ;   in Loop: Header=BB33_3 Depth=1
	ds_load_b64 v[0:1], v53 offset:8384
	s_wait_dscnt 0x0
	ds_store_b64 v54, v[0:1] offset:12416
	ds_load_b64 v[0:1], v53 offset:8392
	s_wait_dscnt 0x0
	ds_store_b64 v54, v[0:1] offset:12928
	;; [unrolled: 3-line block ×8, first 2 shown]
.LBB33_413:                             ;   in Loop: Header=BB33_3 Depth=1
	s_or_b32 exec_lo, exec_lo, s51
	s_wait_dscnt 0x0
	s_barrier_signal -1
	s_barrier_wait -1
	s_and_saveexec_b32 s51, s10
	s_cbranch_execz .LBB33_415
; %bb.414:                              ;   in Loop: Header=BB33_3 Depth=1
	ds_load_b64 v[0:1], v9 offset:12488
	v_mov_b32_e32 v2, v9
	ds_store_b64 v9, v[30:31] offset:12480
	s_wait_dscnt 0x1
	ds_store_b128 v9, v[0:3] offset:12992
.LBB33_415:                             ;   in Loop: Header=BB33_3 Depth=1
	s_or_b32 exec_lo, exec_lo, s51
	v_mov_b64_e32 v[0:1], 0
	s_wait_dscnt 0x0
	s_barrier_signal -1
	s_barrier_wait -1
	s_and_saveexec_b32 s51, s0
	s_cbranch_execz .LBB33_419
; %bb.416:                              ;   in Loop: Header=BB33_3 Depth=1
	ds_load_b64 v[0:1], v64 offset:12496
	ds_load_b64 v[44:45], v65 offset:12480
	s_wait_dscnt 0x0
	v_fma_f64 v[0:1], v[0:1], v[44:45], 0
	s_and_saveexec_b32 s52, s11
	s_cbranch_execz .LBB33_418
; %bb.417:                              ;   in Loop: Header=BB33_3 Depth=1
	ds_load_b64 v[44:45], v54 offset:13008
	ds_load_b64 v[46:47], v9 offset:12488
	s_wait_dscnt 0x0
	v_fmac_f64_e32 v[0:1], v[44:45], v[46:47]
.LBB33_418:                             ;   in Loop: Header=BB33_3 Depth=1
	s_or_b32 exec_lo, exec_lo, s52
	s_delay_alu instid0(VALU_DEP_1)
	v_xor_b32_e32 v1, 0x80000000, v1
.LBB33_419:                             ;   in Loop: Header=BB33_3 Depth=1
	s_or_b32 exec_lo, exec_lo, s51
	s_and_saveexec_b32 s51, s92
; %bb.420:                              ;   in Loop: Header=BB33_3 Depth=1
	ds_store_b64 v56, v[0:1]
; %bb.421:                              ;   in Loop: Header=BB33_3 Depth=1
	s_or_b32 exec_lo, exec_lo, s51
	s_wait_dscnt 0x0
	s_barrier_signal -1
	s_barrier_wait -1
	s_and_saveexec_b32 s51, s93
	s_cbranch_execz .LBB33_423
; %bb.422:                              ;   in Loop: Header=BB33_3 Depth=1
	ds_load_b64 v[44:45], v9 offset:13528
	ds_load_b64 v[46:47], v56
	s_wait_dscnt 0x0
	v_fmac_f64_e32 v[0:1], v[44:45], v[46:47]
.LBB33_423:                             ;   in Loop: Header=BB33_3 Depth=1
	s_or_b32 exec_lo, exec_lo, s51
	s_barrier_signal -1
	s_barrier_wait -1
	s_and_saveexec_b32 s51, s93
; %bb.424:                              ;   in Loop: Header=BB33_3 Depth=1
	ds_store_b64 v56, v[0:1]
; %bb.425:                              ;   in Loop: Header=BB33_3 Depth=1
	s_or_b32 exec_lo, exec_lo, s51
	s_wait_dscnt 0x0
	s_barrier_signal -1
	s_barrier_wait -1
	s_barrier_signal -1
	s_barrier_wait -1
	s_and_saveexec_b32 s51, s0
; %bb.426:                              ;   in Loop: Header=BB33_3 Depth=1
	v_xor_b32_e32 v1, 0x80000000, v1
	ds_store_b64 v64, v[0:1] offset:12496
; %bb.427:                              ;   in Loop: Header=BB33_3 Depth=1
	s_or_b32 exec_lo, exec_lo, s51
	s_wait_dscnt 0x0
	s_barrier_signal -1
	s_barrier_wait -1
	s_barrier_signal -1
	s_barrier_wait -1
	s_and_saveexec_b32 s51, s94
	s_cbranch_execz .LBB33_429
; %bb.428:                              ;   in Loop: Header=BB33_3 Depth=1
	ds_load_b64 v[0:1], v57 offset:12496
	s_wait_dscnt 0x0
	ds_store_b64 v54, v[0:1] offset:13504
	ds_load_b64 v[0:1], v57 offset:12504
	s_wait_dscnt 0x0
	ds_store_b64 v54, v[0:1] offset:14016
.LBB33_429:                             ;   in Loop: Header=BB33_3 Depth=1
	s_or_b32 exec_lo, exec_lo, s51
	s_wait_dscnt 0x0
	s_barrier_signal -1
	s_barrier_wait -1
	s_and_saveexec_b32 s51, s10
	s_cbranch_execz .LBB33_431
; %bb.430:                              ;   in Loop: Header=BB33_3 Depth=1
	ds_load_b64 v[0:1], v9 offset:13528
	v_mov_b32_e32 v2, v9
	ds_store_b64 v9, v[30:31] offset:13520
	s_wait_dscnt 0x1
	ds_store_b128 v9, v[0:3] offset:14032
.LBB33_431:                             ;   in Loop: Header=BB33_3 Depth=1
	s_or_b32 exec_lo, exec_lo, s51
	v_mov_b64_e32 v[0:1], 0
	s_wait_dscnt 0x0
	s_barrier_signal -1
	s_barrier_wait -1
	s_and_saveexec_b32 s61, s2
	s_cbranch_execz .LBB33_437
; %bb.432:                              ;   in Loop: Header=BB33_3 Depth=1
	ds_load_b64 v[0:1], v68 offset:12512
	ds_load_b64 v[44:45], v55 offset:12480
	s_wait_dscnt 0x0
	v_fma_f64 v[0:1], v[0:1], v[44:45], 0
	s_and_saveexec_b32 s51, s12
	s_cbranch_execnz .LBB33_1089
; %bb.433:                              ;   in Loop: Header=BB33_3 Depth=1
	s_or_b32 exec_lo, exec_lo, s51
	s_and_saveexec_b32 s51, s13
	s_cbranch_execnz .LBB33_1090
.LBB33_434:                             ;   in Loop: Header=BB33_3 Depth=1
	s_or_b32 exec_lo, exec_lo, s51
	s_and_saveexec_b32 s51, s0
	s_cbranch_execz .LBB33_436
.LBB33_435:                             ;   in Loop: Header=BB33_3 Depth=1
	ds_load_b64 v[44:45], v59 offset:14048
	ds_load_b64 v[46:47], v9 offset:12504
	s_wait_dscnt 0x0
	v_fmac_f64_e32 v[0:1], v[44:45], v[46:47]
.LBB33_436:                             ;   in Loop: Header=BB33_3 Depth=1
	s_or_b32 exec_lo, exec_lo, s51
	s_delay_alu instid0(VALU_DEP_1)
	v_xor_b32_e32 v1, 0x80000000, v1
.LBB33_437:                             ;   in Loop: Header=BB33_3 Depth=1
	s_or_b32 exec_lo, exec_lo, s61
	s_and_saveexec_b32 s51, s95
; %bb.438:                              ;   in Loop: Header=BB33_3 Depth=1
	ds_store_b64 v66, v[0:1]
; %bb.439:                              ;   in Loop: Header=BB33_3 Depth=1
	s_or_b32 exec_lo, exec_lo, s51
	s_wait_dscnt 0x0
	s_barrier_signal -1
	s_barrier_wait -1
	s_and_saveexec_b32 s51, s96
	s_cbranch_execz .LBB33_441
; %bb.440:                              ;   in Loop: Header=BB33_3 Depth=1
	ds_load_b64 v[44:45], v63 offset:14560
	ds_load_b64 v[46:47], v66
	s_wait_dscnt 0x0
	v_fmac_f64_e32 v[0:1], v[44:45], v[46:47]
.LBB33_441:                             ;   in Loop: Header=BB33_3 Depth=1
	s_or_b32 exec_lo, exec_lo, s51
	s_barrier_signal -1
	s_barrier_wait -1
	s_and_saveexec_b32 s51, s97
; %bb.442:                              ;   in Loop: Header=BB33_3 Depth=1
	ds_store_b64 v66, v[0:1]
; %bb.443:                              ;   in Loop: Header=BB33_3 Depth=1
	s_or_b32 exec_lo, exec_lo, s51
	s_wait_dscnt 0x0
	s_barrier_signal -1
	s_barrier_wait -1
	s_and_saveexec_b32 s51, s98
	s_cbranch_execz .LBB33_445
; %bb.444:                              ;   in Loop: Header=BB33_3 Depth=1
	ds_load_b64 v[44:45], v63 offset:15072
	ds_load_b64 v[46:47], v66
	s_wait_dscnt 0x0
	v_fmac_f64_e32 v[0:1], v[44:45], v[46:47]
.LBB33_445:                             ;   in Loop: Header=BB33_3 Depth=1
	s_or_b32 exec_lo, exec_lo, s51
	s_barrier_signal -1
	s_barrier_wait -1
	;; [unrolled: 19-line block ×3, first 2 shown]
	s_and_saveexec_b32 s51, s100
; %bb.450:                              ;   in Loop: Header=BB33_3 Depth=1
	ds_store_b64 v66, v[0:1]
; %bb.451:                              ;   in Loop: Header=BB33_3 Depth=1
	s_or_b32 exec_lo, exec_lo, s51
	s_wait_dscnt 0x0
	s_barrier_signal -1
	s_barrier_wait -1
	s_barrier_signal -1
	s_barrier_wait -1
	s_and_saveexec_b32 s51, s2
; %bb.452:                              ;   in Loop: Header=BB33_3 Depth=1
	v_xor_b32_e32 v1, 0x80000000, v1
	ds_store_b64 v68, v[0:1] offset:12512
; %bb.453:                              ;   in Loop: Header=BB33_3 Depth=1
	s_or_b32 exec_lo, exec_lo, s51
	s_wait_dscnt 0x0
	s_barrier_signal -1
	s_barrier_wait -1
	s_barrier_signal -1
	s_barrier_wait -1
	s_and_saveexec_b32 s51, s101
	s_cbranch_execz .LBB33_455
; %bb.454:                              ;   in Loop: Header=BB33_3 Depth=1
	ds_load_b64 v[0:1], v61 offset:12512
	s_wait_dscnt 0x0
	ds_store_b64 v79, v[0:1] offset:14528
	ds_load_b64 v[0:1], v61 offset:12520
	s_wait_dscnt 0x0
	ds_store_b64 v79, v[0:1] offset:15040
	;; [unrolled: 3-line block ×4, first 2 shown]
.LBB33_455:                             ;   in Loop: Header=BB33_3 Depth=1
	s_or_b32 exec_lo, exec_lo, s51
	s_wait_dscnt 0x0
	s_barrier_signal -1
	s_barrier_wait -1
	s_and_saveexec_b32 s51, s10
	s_cbranch_execz .LBB33_457
; %bb.456:                              ;   in Loop: Header=BB33_3 Depth=1
	ds_load_b64 v[0:1], v9 offset:14568
	v_mov_b32_e32 v2, v9
	ds_store_b64 v9, v[30:31] offset:14560
	s_wait_dscnt 0x1
	ds_store_b128 v9, v[0:3] offset:15072
.LBB33_457:                             ;   in Loop: Header=BB33_3 Depth=1
	s_or_b32 exec_lo, exec_lo, s51
	v_mov_b64_e32 v[0:1], 0
	s_wait_dscnt 0x0
	s_barrier_signal -1
	s_barrier_wait -1
	s_and_saveexec_b32 s51, s0
	s_cbranch_execz .LBB33_461
; %bb.458:                              ;   in Loop: Header=BB33_3 Depth=1
	ds_load_b64 v[0:1], v64 offset:14576
	ds_load_b64 v[44:45], v65 offset:14560
	s_wait_dscnt 0x0
	v_fma_f64 v[0:1], v[0:1], v[44:45], 0
	s_and_saveexec_b32 s52, s11
	s_cbranch_execz .LBB33_460
; %bb.459:                              ;   in Loop: Header=BB33_3 Depth=1
	ds_load_b64 v[44:45], v79 offset:15088
	ds_load_b64 v[46:47], v9 offset:14568
	s_wait_dscnt 0x0
	v_fmac_f64_e32 v[0:1], v[44:45], v[46:47]
.LBB33_460:                             ;   in Loop: Header=BB33_3 Depth=1
	s_or_b32 exec_lo, exec_lo, s52
	s_delay_alu instid0(VALU_DEP_1)
	v_xor_b32_e32 v1, 0x80000000, v1
.LBB33_461:                             ;   in Loop: Header=BB33_3 Depth=1
	s_or_b32 exec_lo, exec_lo, s51
	s_and_saveexec_b32 s51, s92
; %bb.462:                              ;   in Loop: Header=BB33_3 Depth=1
	ds_store_b64 v56, v[0:1]
; %bb.463:                              ;   in Loop: Header=BB33_3 Depth=1
	s_or_b32 exec_lo, exec_lo, s51
	s_wait_dscnt 0x0
	s_barrier_signal -1
	s_barrier_wait -1
	s_and_saveexec_b32 s51, s93
	s_cbranch_execz .LBB33_465
; %bb.464:                              ;   in Loop: Header=BB33_3 Depth=1
	ds_load_b64 v[44:45], v9 offset:15608
	ds_load_b64 v[46:47], v56
	s_wait_dscnt 0x0
	v_fmac_f64_e32 v[0:1], v[44:45], v[46:47]
.LBB33_465:                             ;   in Loop: Header=BB33_3 Depth=1
	s_or_b32 exec_lo, exec_lo, s51
	s_barrier_signal -1
	s_barrier_wait -1
	s_and_saveexec_b32 s51, s93
; %bb.466:                              ;   in Loop: Header=BB33_3 Depth=1
	ds_store_b64 v56, v[0:1]
; %bb.467:                              ;   in Loop: Header=BB33_3 Depth=1
	s_or_b32 exec_lo, exec_lo, s51
	s_wait_dscnt 0x0
	s_barrier_signal -1
	s_barrier_wait -1
	s_barrier_signal -1
	s_barrier_wait -1
	s_and_saveexec_b32 s51, s0
; %bb.468:                              ;   in Loop: Header=BB33_3 Depth=1
	v_xor_b32_e32 v1, 0x80000000, v1
	ds_store_b64 v64, v[0:1] offset:14576
; %bb.469:                              ;   in Loop: Header=BB33_3 Depth=1
	s_or_b32 exec_lo, exec_lo, s51
	s_wait_dscnt 0x0
	s_barrier_signal -1
	s_barrier_wait -1
	s_barrier_signal -1
	s_barrier_wait -1
	s_and_saveexec_b32 s51, s94
	s_cbranch_execz .LBB33_471
; %bb.470:                              ;   in Loop: Header=BB33_3 Depth=1
	ds_load_b64 v[0:1], v80 offset:14576
	s_wait_dscnt 0x0
	ds_store_b64 v79, v[0:1] offset:15584
	ds_load_b64 v[0:1], v80 offset:14584
	s_wait_dscnt 0x0
	ds_store_b64 v79, v[0:1] offset:16096
.LBB33_471:                             ;   in Loop: Header=BB33_3 Depth=1
	s_or_b32 exec_lo, exec_lo, s51
	s_wait_dscnt 0x0
	s_barrier_signal -1
	s_barrier_wait -1
	s_and_saveexec_b32 s51, s10
	s_cbranch_execz .LBB33_473
; %bb.472:                              ;   in Loop: Header=BB33_3 Depth=1
	ds_load_b64 v[0:1], v9 offset:15608
	v_mov_b32_e32 v2, v9
	ds_store_b64 v9, v[30:31] offset:15600
	s_wait_dscnt 0x1
	ds_store_b128 v9, v[0:3] offset:16112
.LBB33_473:                             ;   in Loop: Header=BB33_3 Depth=1
	s_or_b32 exec_lo, exec_lo, s51
	v_mov_b64_e32 v[0:1], 0
	s_wait_dscnt 0x0
	s_barrier_signal -1
	s_barrier_wait -1
	s_and_saveexec_b32 s82, s30
	s_cbranch_execz .LBB33_535
; %bb.474:                              ;   in Loop: Header=BB33_3 Depth=1
	v_add_nc_u32_e32 v2, v78, v62
	ds_load_b64 v[0:1], v81 offset:256
	ds_load_b64 v[44:45], v2
	s_wait_dscnt 0x0
	v_fma_f64 v[0:1], v[0:1], v[44:45], 0
	s_mov_b32 s51, exec_lo
	v_readlane_b32 s52, v97, 2
	s_and_b32 s52, s51, s52
	s_delay_alu instid0(SALU_CYCLE_1)
	s_mov_b32 exec_lo, s52
	s_cbranch_execz .LBB33_476
; %bb.475:                              ;   in Loop: Header=BB33_3 Depth=1
	ds_load_b64 v[44:45], v81 offset:768
	ds_load_b64 v[46:47], v2 offset:8
	s_wait_dscnt 0x0
	v_fmac_f64_e32 v[0:1], v[44:45], v[46:47]
.LBB33_476:                             ;   in Loop: Header=BB33_3 Depth=1
	s_or_b32 exec_lo, exec_lo, s51
	s_delay_alu instid0(SALU_CYCLE_1) | instskip(SKIP_2) | instid1(SALU_CYCLE_1)
	s_mov_b32 s51, exec_lo
	v_readlane_b32 s52, v97, 3
	s_and_b32 s52, s51, s52
	s_mov_b32 exec_lo, s52
	s_cbranch_execz .LBB33_478
; %bb.477:                              ;   in Loop: Header=BB33_3 Depth=1
	ds_load_b64 v[44:45], v81 offset:1280
	ds_load_b64 v[46:47], v2 offset:16
	s_wait_dscnt 0x0
	v_fmac_f64_e32 v[0:1], v[44:45], v[46:47]
.LBB33_478:                             ;   in Loop: Header=BB33_3 Depth=1
	s_or_b32 exec_lo, exec_lo, s51
	s_delay_alu instid0(SALU_CYCLE_1) | instskip(SKIP_2) | instid1(SALU_CYCLE_1)
	s_mov_b32 s51, exec_lo
	v_readlane_b32 s52, v97, 4
	s_and_b32 s52, s51, s52
	;; [unrolled: 13-line block ×22, first 2 shown]
	s_mov_b32 exec_lo, s52
	s_cbranch_execz .LBB33_520
; %bb.519:                              ;   in Loop: Header=BB33_3 Depth=1
	ds_load_b64 v[44:45], v81 offset:12032
	ds_load_b64 v[46:47], v2 offset:184
	s_wait_dscnt 0x0
	v_fmac_f64_e32 v[0:1], v[44:45], v[46:47]
.LBB33_520:                             ;   in Loop: Header=BB33_3 Depth=1
	s_or_b32 exec_lo, exec_lo, s51
	s_and_saveexec_b32 s51, s4
	s_cbranch_execz .LBB33_522
; %bb.521:                              ;   in Loop: Header=BB33_3 Depth=1
	ds_load_b64 v[44:45], v81 offset:12544
	ds_load_b64 v[46:47], v2 offset:192
	s_wait_dscnt 0x0
	v_fmac_f64_e32 v[0:1], v[44:45], v[46:47]
.LBB33_522:                             ;   in Loop: Header=BB33_3 Depth=1
	s_or_b32 exec_lo, exec_lo, s51
	s_delay_alu instid0(SALU_CYCLE_1) | instskip(SKIP_2) | instid1(SALU_CYCLE_1)
	s_mov_b32 s51, exec_lo
	v_readlane_b32 s52, v102, 24
	s_and_b32 s52, s51, s52
	s_mov_b32 exec_lo, s52
	s_cbranch_execz .LBB33_524
; %bb.523:                              ;   in Loop: Header=BB33_3 Depth=1
	ds_load_b64 v[44:45], v81 offset:13056
	ds_load_b64 v[46:47], v2 offset:200
	s_wait_dscnt 0x0
	v_fmac_f64_e32 v[0:1], v[44:45], v[46:47]
.LBB33_524:                             ;   in Loop: Header=BB33_3 Depth=1
	s_or_b32 exec_lo, exec_lo, s51
	s_delay_alu instid0(SALU_CYCLE_1) | instskip(SKIP_2) | instid1(SALU_CYCLE_1)
	s_mov_b32 s51, exec_lo
	v_readlane_b32 s52, v102, 26
	s_and_b32 s52, s51, s52
	s_mov_b32 exec_lo, s52
	;; [unrolled: 13-line block ×5, first 2 shown]
	s_cbranch_execnz .LBB33_1091
; %bb.531:                              ;   in Loop: Header=BB33_3 Depth=1
	s_or_b32 exec_lo, exec_lo, s51
	s_and_saveexec_b32 s51, s3
	s_cbranch_execnz .LBB33_1092
.LBB33_532:                             ;   in Loop: Header=BB33_3 Depth=1
	s_or_b32 exec_lo, exec_lo, s51
	s_and_saveexec_b32 s51, s17
	s_cbranch_execz .LBB33_534
.LBB33_533:                             ;   in Loop: Header=BB33_3 Depth=1
	ds_load_b64 v[44:45], v7 offset:16128
	ds_load_b64 v[46:47], v9 offset:248
	s_wait_dscnt 0x0
	v_fmac_f64_e32 v[0:1], v[44:45], v[46:47]
.LBB33_534:                             ;   in Loop: Header=BB33_3 Depth=1
	s_or_b32 exec_lo, exec_lo, s51
	s_delay_alu instid0(VALU_DEP_1)
	v_xor_b32_e32 v1, 0x80000000, v1
.LBB33_535:                             ;   in Loop: Header=BB33_3 Depth=1
	s_or_b32 exec_lo, exec_lo, s82
	v_dual_mov_b32 v2, v77 :: v_dual_mov_b32 v5, v88
	s_mov_b32 s61, 0
	s_branch .LBB33_537
.LBB33_536:                             ;   in Loop: Header=BB33_537 Depth=2
	s_or_b32 exec_lo, exec_lo, s51
	v_add_nc_u32_e32 v5, 0x800, v5
	v_add_nc_u32_e32 v2, -4, v2
	s_add_co_i32 s61, s61, 4
	s_delay_alu instid0(SALU_CYCLE_1)
	s_cmp_eq_u32 s61, 32
	s_barrier_signal -1
	s_barrier_wait -1
	s_cbranch_scc1 .LBB33_553
.LBB33_537:                             ;   Parent Loop BB33_3 Depth=1
                                        ; =>  This Inner Loop Header: Depth=2
	s_delay_alu instid0(VALU_DEP_1) | instskip(SKIP_1) | instid1(SALU_CYCLE_1)
	v_cmp_eq_u32_e32 vcc_lo, 0, v2
	s_and_b32 s52, s86, vcc_lo
	s_and_saveexec_b32 s51, s52
; %bb.538:                              ;   in Loop: Header=BB33_537 Depth=2
	ds_store_b64 v90, v[0:1]
; %bb.539:                              ;   in Loop: Header=BB33_537 Depth=2
	s_or_b32 exec_lo, exec_lo, s51
	v_cmp_lt_u32_e32 vcc_lo, s61, v77
	s_wait_dscnt 0x0
	s_barrier_signal -1
	s_barrier_wait -1
	s_and_b32 s52, s86, vcc_lo
	s_delay_alu instid0(SALU_CYCLE_1)
	s_and_saveexec_b32 s51, s52
	s_cbranch_execz .LBB33_541
; %bb.540:                              ;   in Loop: Header=BB33_537 Depth=2
	ds_load_b64 v[44:45], v5
	ds_load_b64 v[46:47], v90
	s_wait_dscnt 0x0
	v_fmac_f64_e32 v[0:1], v[44:45], v[46:47]
.LBB33_541:                             ;   in Loop: Header=BB33_537 Depth=2
	s_or_b32 exec_lo, exec_lo, s51
	s_or_b32 s51, s61, 1
	s_delay_alu instid0(SALU_CYCLE_1) | instskip(SKIP_3) | instid1(SALU_CYCLE_1)
	v_cmp_eq_u32_e32 vcc_lo, s51, v77
	s_barrier_signal -1
	s_barrier_wait -1
	s_and_b32 s53, s86, vcc_lo
	s_and_saveexec_b32 s52, s53
; %bb.542:                              ;   in Loop: Header=BB33_537 Depth=2
	ds_store_b64 v90, v[0:1]
; %bb.543:                              ;   in Loop: Header=BB33_537 Depth=2
	s_or_b32 exec_lo, exec_lo, s52
	v_cmp_lt_u32_e32 vcc_lo, s51, v77
	s_wait_dscnt 0x0
	s_barrier_signal -1
	s_barrier_wait -1
	s_and_b32 s52, s86, vcc_lo
	s_delay_alu instid0(SALU_CYCLE_1)
	s_and_saveexec_b32 s51, s52
	s_cbranch_execz .LBB33_545
; %bb.544:                              ;   in Loop: Header=BB33_537 Depth=2
	ds_load_b64 v[44:45], v5 offset:512
	ds_load_b64 v[46:47], v90
	s_wait_dscnt 0x0
	v_fmac_f64_e32 v[0:1], v[44:45], v[46:47]
.LBB33_545:                             ;   in Loop: Header=BB33_537 Depth=2
	s_or_b32 exec_lo, exec_lo, s51
	s_or_b32 s51, s61, 2
	s_delay_alu instid0(SALU_CYCLE_1) | instskip(SKIP_3) | instid1(SALU_CYCLE_1)
	v_cmp_eq_u32_e32 vcc_lo, s51, v77
	s_barrier_signal -1
	s_barrier_wait -1
	s_and_b32 s53, s86, vcc_lo
	s_and_saveexec_b32 s52, s53
; %bb.546:                              ;   in Loop: Header=BB33_537 Depth=2
	ds_store_b64 v90, v[0:1]
; %bb.547:                              ;   in Loop: Header=BB33_537 Depth=2
	s_or_b32 exec_lo, exec_lo, s52
	v_cmp_lt_u32_e32 vcc_lo, s51, v77
	s_wait_dscnt 0x0
	s_barrier_signal -1
	s_barrier_wait -1
	s_and_b32 s52, s86, vcc_lo
	s_delay_alu instid0(SALU_CYCLE_1)
	s_and_saveexec_b32 s51, s52
	s_cbranch_execz .LBB33_549
; %bb.548:                              ;   in Loop: Header=BB33_537 Depth=2
	ds_load_b64 v[44:45], v5 offset:1024
	ds_load_b64 v[46:47], v90
	s_wait_dscnt 0x0
	v_fmac_f64_e32 v[0:1], v[44:45], v[46:47]
.LBB33_549:                             ;   in Loop: Header=BB33_537 Depth=2
	s_or_b32 exec_lo, exec_lo, s51
	s_or_b32 s51, s61, 3
	s_delay_alu instid0(SALU_CYCLE_1) | instskip(SKIP_3) | instid1(SALU_CYCLE_1)
	v_cmp_eq_u32_e32 vcc_lo, s51, v77
	s_barrier_signal -1
	s_barrier_wait -1
	s_and_b32 s53, s86, vcc_lo
	s_and_saveexec_b32 s52, s53
; %bb.550:                              ;   in Loop: Header=BB33_537 Depth=2
	ds_store_b64 v90, v[0:1]
; %bb.551:                              ;   in Loop: Header=BB33_537 Depth=2
	s_or_b32 exec_lo, exec_lo, s52
	v_cmp_lt_u32_e32 vcc_lo, s51, v77
	s_wait_dscnt 0x0
	s_barrier_signal -1
	s_barrier_wait -1
	s_and_b32 s52, s86, vcc_lo
	s_delay_alu instid0(SALU_CYCLE_1)
	s_and_saveexec_b32 s51, s52
	s_cbranch_execz .LBB33_536
; %bb.552:                              ;   in Loop: Header=BB33_537 Depth=2
	ds_load_b64 v[44:45], v5 offset:1536
	ds_load_b64 v[46:47], v90
	s_wait_dscnt 0x0
	v_fmac_f64_e32 v[0:1], v[44:45], v[46:47]
	s_branch .LBB33_536
.LBB33_553:                             ;   in Loop: Header=BB33_3 Depth=1
	s_and_saveexec_b32 s51, s30
; %bb.554:                              ;   in Loop: Header=BB33_3 Depth=1
	s_delay_alu instid0(VALU_DEP_3)
	v_xor_b32_e32 v1, 0x80000000, v1
	ds_store_b64 v81, v[0:1] offset:256
; %bb.555:                              ;   in Loop: Header=BB33_3 Depth=1
	s_or_b32 exec_lo, exec_lo, s51
	s_wait_dscnt 0x0
	s_barrier_signal -1
	s_barrier_wait -1
	s_barrier_signal -1
	s_barrier_wait -1
	s_mov_b32 s61, exec_lo
	v_readlane_b32 s51, v102, 13
	s_and_b32 s51, s61, s51
	s_delay_alu instid0(SALU_CYCLE_1)
	s_mov_b32 exec_lo, s51
	s_cbranch_execz .LBB33_557
; %bb.556:                              ;   in Loop: Header=BB33_3 Depth=1
	ds_load_b64 v[0:1], v11 offset:256
	s_wait_dscnt 0x0
	ds_store_b64 v48, v[0:1] offset:16384
	ds_load_b64 v[0:1], v11 offset:264
	s_wait_dscnt 0x0
	ds_store_b64 v48, v[0:1] offset:16896
	;; [unrolled: 3-line block ×32, first 2 shown]
.LBB33_557:                             ;   in Loop: Header=BB33_3 Depth=1
	s_or_b32 exec_lo, exec_lo, s61
	s_wait_dscnt 0x0
	s_barrier_signal -1
	s_barrier_wait -1
	s_and_saveexec_b32 s51, s10
	s_cbranch_execz .LBB33_559
; %bb.558:                              ;   in Loop: Header=BB33_3 Depth=1
	ds_load_b64 v[0:1], v9 offset:16648
	v_mov_b32_e32 v2, v9
	ds_store_b64 v9, v[30:31] offset:16640
	s_wait_dscnt 0x1
	ds_store_b128 v9, v[0:3] offset:17152
.LBB33_559:                             ;   in Loop: Header=BB33_3 Depth=1
	s_or_b32 exec_lo, exec_lo, s51
	v_mov_b64_e32 v[0:1], 0
	s_wait_dscnt 0x0
	s_barrier_signal -1
	s_barrier_wait -1
	s_and_saveexec_b32 s51, s0
	s_cbranch_execz .LBB33_563
; %bb.560:                              ;   in Loop: Header=BB33_3 Depth=1
	ds_load_b64 v[0:1], v64 offset:16656
	ds_load_b64 v[44:45], v65 offset:16640
	s_wait_dscnt 0x0
	v_fma_f64 v[0:1], v[0:1], v[44:45], 0
	s_and_saveexec_b32 s52, s11
	s_cbranch_execz .LBB33_562
; %bb.561:                              ;   in Loop: Header=BB33_3 Depth=1
	ds_load_b64 v[44:45], v7 offset:17168
	ds_load_b64 v[46:47], v9 offset:16648
	s_wait_dscnt 0x0
	v_fmac_f64_e32 v[0:1], v[44:45], v[46:47]
.LBB33_562:                             ;   in Loop: Header=BB33_3 Depth=1
	s_or_b32 exec_lo, exec_lo, s52
	s_delay_alu instid0(VALU_DEP_1)
	v_xor_b32_e32 v1, 0x80000000, v1
.LBB33_563:                             ;   in Loop: Header=BB33_3 Depth=1
	s_or_b32 exec_lo, exec_lo, s51
	s_and_saveexec_b32 s51, s92
; %bb.564:                              ;   in Loop: Header=BB33_3 Depth=1
	ds_store_b64 v56, v[0:1]
; %bb.565:                              ;   in Loop: Header=BB33_3 Depth=1
	s_or_b32 exec_lo, exec_lo, s51
	s_wait_dscnt 0x0
	s_barrier_signal -1
	s_barrier_wait -1
	s_and_saveexec_b32 s51, s93
	s_cbranch_execz .LBB33_567
; %bb.566:                              ;   in Loop: Header=BB33_3 Depth=1
	ds_load_b64 v[44:45], v9 offset:17688
	ds_load_b64 v[46:47], v56
	s_wait_dscnt 0x0
	v_fmac_f64_e32 v[0:1], v[44:45], v[46:47]
.LBB33_567:                             ;   in Loop: Header=BB33_3 Depth=1
	s_or_b32 exec_lo, exec_lo, s51
	s_barrier_signal -1
	s_barrier_wait -1
	s_and_saveexec_b32 s51, s93
; %bb.568:                              ;   in Loop: Header=BB33_3 Depth=1
	ds_store_b64 v56, v[0:1]
; %bb.569:                              ;   in Loop: Header=BB33_3 Depth=1
	s_or_b32 exec_lo, exec_lo, s51
	s_wait_dscnt 0x0
	s_barrier_signal -1
	s_barrier_wait -1
	s_barrier_signal -1
	s_barrier_wait -1
	s_and_saveexec_b32 s51, s0
; %bb.570:                              ;   in Loop: Header=BB33_3 Depth=1
	v_xor_b32_e32 v1, 0x80000000, v1
	ds_store_b64 v64, v[0:1] offset:16656
; %bb.571:                              ;   in Loop: Header=BB33_3 Depth=1
	s_or_b32 exec_lo, exec_lo, s51
	s_wait_dscnt 0x0
	s_barrier_signal -1
	s_barrier_wait -1
	s_barrier_signal -1
	s_barrier_wait -1
	s_and_saveexec_b32 s51, s94
	s_cbranch_execz .LBB33_573
; %bb.572:                              ;   in Loop: Header=BB33_3 Depth=1
	ds_load_b64 v[0:1], v11 offset:16656
	s_wait_dscnt 0x0
	ds_store_b64 v7, v[0:1] offset:17664
	ds_load_b64 v[0:1], v11 offset:16664
	s_wait_dscnt 0x0
	ds_store_b64 v7, v[0:1] offset:18176
.LBB33_573:                             ;   in Loop: Header=BB33_3 Depth=1
	s_or_b32 exec_lo, exec_lo, s51
	s_wait_dscnt 0x0
	s_barrier_signal -1
	s_barrier_wait -1
	s_and_saveexec_b32 s51, s10
	s_cbranch_execz .LBB33_575
; %bb.574:                              ;   in Loop: Header=BB33_3 Depth=1
	ds_load_b64 v[0:1], v9 offset:17688
	v_mov_b32_e32 v2, v9
	ds_store_b64 v9, v[30:31] offset:17680
	s_wait_dscnt 0x1
	ds_store_b128 v9, v[0:3] offset:18192
.LBB33_575:                             ;   in Loop: Header=BB33_3 Depth=1
	s_or_b32 exec_lo, exec_lo, s51
	v_mov_b64_e32 v[0:1], 0
	s_wait_dscnt 0x0
	s_barrier_signal -1
	s_barrier_wait -1
	s_and_saveexec_b32 s61, s2
	s_cbranch_execz .LBB33_581
; %bb.576:                              ;   in Loop: Header=BB33_3 Depth=1
	ds_load_b64 v[0:1], v68 offset:16672
	ds_load_b64 v[44:45], v55 offset:16640
	s_wait_dscnt 0x0
	v_fma_f64 v[0:1], v[0:1], v[44:45], 0
	s_and_saveexec_b32 s51, s12
	s_cbranch_execnz .LBB33_1093
; %bb.577:                              ;   in Loop: Header=BB33_3 Depth=1
	s_or_b32 exec_lo, exec_lo, s51
	s_and_saveexec_b32 s51, s13
	s_cbranch_execnz .LBB33_1094
.LBB33_578:                             ;   in Loop: Header=BB33_3 Depth=1
	s_or_b32 exec_lo, exec_lo, s51
	s_and_saveexec_b32 s51, s0
	s_cbranch_execz .LBB33_580
.LBB33_579:                             ;   in Loop: Header=BB33_3 Depth=1
	ds_load_b64 v[44:45], v48 offset:18208
	ds_load_b64 v[46:47], v9 offset:16664
	s_wait_dscnt 0x0
	v_fmac_f64_e32 v[0:1], v[44:45], v[46:47]
.LBB33_580:                             ;   in Loop: Header=BB33_3 Depth=1
	s_or_b32 exec_lo, exec_lo, s51
	s_delay_alu instid0(VALU_DEP_1)
	v_xor_b32_e32 v1, 0x80000000, v1
.LBB33_581:                             ;   in Loop: Header=BB33_3 Depth=1
	s_or_b32 exec_lo, exec_lo, s61
	s_and_saveexec_b32 s51, s95
; %bb.582:                              ;   in Loop: Header=BB33_3 Depth=1
	ds_store_b64 v66, v[0:1]
; %bb.583:                              ;   in Loop: Header=BB33_3 Depth=1
	s_or_b32 exec_lo, exec_lo, s51
	s_wait_dscnt 0x0
	s_barrier_signal -1
	s_barrier_wait -1
	s_and_saveexec_b32 s51, s96
	s_cbranch_execz .LBB33_585
; %bb.584:                              ;   in Loop: Header=BB33_3 Depth=1
	ds_load_b64 v[44:45], v63 offset:18720
	ds_load_b64 v[46:47], v66
	s_wait_dscnt 0x0
	v_fmac_f64_e32 v[0:1], v[44:45], v[46:47]
.LBB33_585:                             ;   in Loop: Header=BB33_3 Depth=1
	s_or_b32 exec_lo, exec_lo, s51
	s_barrier_signal -1
	s_barrier_wait -1
	s_and_saveexec_b32 s51, s97
; %bb.586:                              ;   in Loop: Header=BB33_3 Depth=1
	ds_store_b64 v66, v[0:1]
; %bb.587:                              ;   in Loop: Header=BB33_3 Depth=1
	s_or_b32 exec_lo, exec_lo, s51
	s_wait_dscnt 0x0
	s_barrier_signal -1
	s_barrier_wait -1
	s_and_saveexec_b32 s51, s98
	s_cbranch_execz .LBB33_589
; %bb.588:                              ;   in Loop: Header=BB33_3 Depth=1
	ds_load_b64 v[44:45], v63 offset:19232
	ds_load_b64 v[46:47], v66
	s_wait_dscnt 0x0
	v_fmac_f64_e32 v[0:1], v[44:45], v[46:47]
.LBB33_589:                             ;   in Loop: Header=BB33_3 Depth=1
	s_or_b32 exec_lo, exec_lo, s51
	s_barrier_signal -1
	s_barrier_wait -1
	;; [unrolled: 19-line block ×3, first 2 shown]
	s_and_saveexec_b32 s51, s100
; %bb.594:                              ;   in Loop: Header=BB33_3 Depth=1
	ds_store_b64 v66, v[0:1]
; %bb.595:                              ;   in Loop: Header=BB33_3 Depth=1
	s_or_b32 exec_lo, exec_lo, s51
	s_wait_dscnt 0x0
	s_barrier_signal -1
	s_barrier_wait -1
	s_barrier_signal -1
	s_barrier_wait -1
	s_and_saveexec_b32 s51, s2
; %bb.596:                              ;   in Loop: Header=BB33_3 Depth=1
	v_xor_b32_e32 v1, 0x80000000, v1
	ds_store_b64 v68, v[0:1] offset:16672
; %bb.597:                              ;   in Loop: Header=BB33_3 Depth=1
	s_or_b32 exec_lo, exec_lo, s51
	s_wait_dscnt 0x0
	s_barrier_signal -1
	s_barrier_wait -1
	s_barrier_signal -1
	s_barrier_wait -1
	s_and_saveexec_b32 s51, s101
	s_cbranch_execz .LBB33_599
; %bb.598:                              ;   in Loop: Header=BB33_3 Depth=1
	ds_load_b64 v[0:1], v49 offset:16672
	s_wait_dscnt 0x0
	ds_store_b64 v50, v[0:1] offset:18688
	ds_load_b64 v[0:1], v49 offset:16680
	s_wait_dscnt 0x0
	ds_store_b64 v50, v[0:1] offset:19200
	;; [unrolled: 3-line block ×4, first 2 shown]
.LBB33_599:                             ;   in Loop: Header=BB33_3 Depth=1
	s_or_b32 exec_lo, exec_lo, s51
	s_wait_dscnt 0x0
	s_barrier_signal -1
	s_barrier_wait -1
	s_and_saveexec_b32 s51, s10
	s_cbranch_execz .LBB33_601
; %bb.600:                              ;   in Loop: Header=BB33_3 Depth=1
	ds_load_b64 v[0:1], v9 offset:18728
	v_mov_b32_e32 v2, v9
	ds_store_b64 v9, v[30:31] offset:18720
	s_wait_dscnt 0x1
	ds_store_b128 v9, v[0:3] offset:19232
.LBB33_601:                             ;   in Loop: Header=BB33_3 Depth=1
	s_or_b32 exec_lo, exec_lo, s51
	v_mov_b64_e32 v[0:1], 0
	s_wait_dscnt 0x0
	s_barrier_signal -1
	s_barrier_wait -1
	s_and_saveexec_b32 s51, s0
	s_cbranch_execz .LBB33_605
; %bb.602:                              ;   in Loop: Header=BB33_3 Depth=1
	ds_load_b64 v[0:1], v64 offset:18736
	ds_load_b64 v[44:45], v65 offset:18720
	s_wait_dscnt 0x0
	v_fma_f64 v[0:1], v[0:1], v[44:45], 0
	s_and_saveexec_b32 s52, s11
	s_cbranch_execz .LBB33_604
; %bb.603:                              ;   in Loop: Header=BB33_3 Depth=1
	ds_load_b64 v[44:45], v50 offset:19248
	ds_load_b64 v[46:47], v9 offset:18728
	s_wait_dscnt 0x0
	v_fmac_f64_e32 v[0:1], v[44:45], v[46:47]
.LBB33_604:                             ;   in Loop: Header=BB33_3 Depth=1
	s_or_b32 exec_lo, exec_lo, s52
	s_delay_alu instid0(VALU_DEP_1)
	v_xor_b32_e32 v1, 0x80000000, v1
.LBB33_605:                             ;   in Loop: Header=BB33_3 Depth=1
	s_or_b32 exec_lo, exec_lo, s51
	s_and_saveexec_b32 s51, s92
; %bb.606:                              ;   in Loop: Header=BB33_3 Depth=1
	ds_store_b64 v56, v[0:1]
; %bb.607:                              ;   in Loop: Header=BB33_3 Depth=1
	s_or_b32 exec_lo, exec_lo, s51
	s_wait_dscnt 0x0
	s_barrier_signal -1
	s_barrier_wait -1
	s_and_saveexec_b32 s51, s93
	s_cbranch_execz .LBB33_609
; %bb.608:                              ;   in Loop: Header=BB33_3 Depth=1
	ds_load_b64 v[44:45], v9 offset:19768
	ds_load_b64 v[46:47], v56
	s_wait_dscnt 0x0
	v_fmac_f64_e32 v[0:1], v[44:45], v[46:47]
.LBB33_609:                             ;   in Loop: Header=BB33_3 Depth=1
	s_or_b32 exec_lo, exec_lo, s51
	s_barrier_signal -1
	s_barrier_wait -1
	s_and_saveexec_b32 s51, s93
; %bb.610:                              ;   in Loop: Header=BB33_3 Depth=1
	ds_store_b64 v56, v[0:1]
; %bb.611:                              ;   in Loop: Header=BB33_3 Depth=1
	s_or_b32 exec_lo, exec_lo, s51
	s_wait_dscnt 0x0
	s_barrier_signal -1
	s_barrier_wait -1
	s_barrier_signal -1
	s_barrier_wait -1
	s_and_saveexec_b32 s51, s0
; %bb.612:                              ;   in Loop: Header=BB33_3 Depth=1
	v_xor_b32_e32 v1, 0x80000000, v1
	ds_store_b64 v64, v[0:1] offset:18736
; %bb.613:                              ;   in Loop: Header=BB33_3 Depth=1
	s_or_b32 exec_lo, exec_lo, s51
	s_wait_dscnt 0x0
	s_barrier_signal -1
	s_barrier_wait -1
	s_barrier_signal -1
	s_barrier_wait -1
	s_and_saveexec_b32 s51, s94
	s_cbranch_execz .LBB33_615
; %bb.614:                              ;   in Loop: Header=BB33_3 Depth=1
	ds_load_b64 v[0:1], v51 offset:18736
	s_wait_dscnt 0x0
	ds_store_b64 v50, v[0:1] offset:19744
	ds_load_b64 v[0:1], v51 offset:18744
	s_wait_dscnt 0x0
	ds_store_b64 v50, v[0:1] offset:20256
.LBB33_615:                             ;   in Loop: Header=BB33_3 Depth=1
	s_or_b32 exec_lo, exec_lo, s51
	s_wait_dscnt 0x0
	s_barrier_signal -1
	s_barrier_wait -1
	s_and_saveexec_b32 s51, s10
	s_cbranch_execz .LBB33_617
; %bb.616:                              ;   in Loop: Header=BB33_3 Depth=1
	ds_load_b64 v[0:1], v9 offset:19768
	v_mov_b32_e32 v2, v9
	ds_store_b64 v9, v[30:31] offset:19760
	s_wait_dscnt 0x1
	ds_store_b128 v9, v[0:3] offset:20272
.LBB33_617:                             ;   in Loop: Header=BB33_3 Depth=1
	s_or_b32 exec_lo, exec_lo, s51
	v_mov_b64_e32 v[0:1], 0
	s_wait_dscnt 0x0
	s_barrier_signal -1
	s_barrier_wait -1
	s_and_saveexec_b32 s61, s3
	s_cbranch_execz .LBB33_627
; %bb.618:                              ;   in Loop: Header=BB33_3 Depth=1
	ds_load_b64 v[0:1], v72 offset:16704
	ds_load_b64 v[44:45], v58 offset:16640
	s_wait_dscnt 0x0
	v_fma_f64 v[0:1], v[0:1], v[44:45], 0
	s_and_saveexec_b32 s51, s14
	s_cbranch_execnz .LBB33_1095
; %bb.619:                              ;   in Loop: Header=BB33_3 Depth=1
	s_or_b32 exec_lo, exec_lo, s51
	s_and_saveexec_b32 s51, s15
	s_cbranch_execnz .LBB33_1096
.LBB33_620:                             ;   in Loop: Header=BB33_3 Depth=1
	s_or_b32 exec_lo, exec_lo, s51
	s_and_saveexec_b32 s51, s16
	s_cbranch_execnz .LBB33_1097
.LBB33_621:                             ;   in Loop: Header=BB33_3 Depth=1
	s_or_b32 exec_lo, exec_lo, s51
	s_and_saveexec_b32 s51, s17
	s_cbranch_execnz .LBB33_1098
.LBB33_622:                             ;   in Loop: Header=BB33_3 Depth=1
	s_or_b32 exec_lo, exec_lo, s51
	s_and_saveexec_b32 s51, s18
	s_cbranch_execnz .LBB33_1099
.LBB33_623:                             ;   in Loop: Header=BB33_3 Depth=1
	s_or_b32 exec_lo, exec_lo, s51
	s_and_saveexec_b32 s51, s2
	s_cbranch_execnz .LBB33_1100
.LBB33_624:                             ;   in Loop: Header=BB33_3 Depth=1
	s_or_b32 exec_lo, exec_lo, s51
	s_and_saveexec_b32 s51, s13
	s_cbranch_execz .LBB33_626
.LBB33_625:                             ;   in Loop: Header=BB33_3 Depth=1
	ds_load_b64 v[44:45], v52 offset:20288
	ds_load_b64 v[46:47], v9 offset:16696
	s_wait_dscnt 0x0
	v_fmac_f64_e32 v[0:1], v[44:45], v[46:47]
.LBB33_626:                             ;   in Loop: Header=BB33_3 Depth=1
	s_or_b32 exec_lo, exec_lo, s51
	s_delay_alu instid0(VALU_DEP_1)
	v_xor_b32_e32 v1, 0x80000000, v1
.LBB33_627:                             ;   in Loop: Header=BB33_3 Depth=1
	s_or_b32 exec_lo, exec_lo, s61
	s_and_saveexec_b32 s51, s102
; %bb.628:                              ;   in Loop: Header=BB33_3 Depth=1
	ds_store_b64 v71, v[0:1]
; %bb.629:                              ;   in Loop: Header=BB33_3 Depth=1
	s_or_b32 exec_lo, exec_lo, s51
	s_wait_dscnt 0x0
	s_barrier_signal -1
	s_barrier_wait -1
	s_and_saveexec_b32 s51, s103
	s_cbranch_execz .LBB33_631
; %bb.630:                              ;   in Loop: Header=BB33_3 Depth=1
	ds_load_b64 v[44:45], v67 offset:20800
	ds_load_b64 v[46:47], v71
	s_wait_dscnt 0x0
	v_fmac_f64_e32 v[0:1], v[44:45], v[46:47]
.LBB33_631:                             ;   in Loop: Header=BB33_3 Depth=1
	s_or_b32 exec_lo, exec_lo, s51
	s_barrier_signal -1
	s_barrier_wait -1
	s_and_saveexec_b32 s51, s104
; %bb.632:                              ;   in Loop: Header=BB33_3 Depth=1
	ds_store_b64 v71, v[0:1]
; %bb.633:                              ;   in Loop: Header=BB33_3 Depth=1
	s_or_b32 exec_lo, exec_lo, s51
	s_wait_dscnt 0x0
	s_barrier_signal -1
	s_barrier_wait -1
	s_and_saveexec_b32 s51, vcc_hi
	s_cbranch_execz .LBB33_635
; %bb.634:                              ;   in Loop: Header=BB33_3 Depth=1
	ds_load_b64 v[44:45], v67 offset:21312
	ds_load_b64 v[46:47], v71
	s_wait_dscnt 0x0
	v_fmac_f64_e32 v[0:1], v[44:45], v[46:47]
.LBB33_635:                             ;   in Loop: Header=BB33_3 Depth=1
	s_or_b32 exec_lo, exec_lo, s51
	s_barrier_signal -1
	s_barrier_wait -1
	s_and_saveexec_b32 s51, s31
; %bb.636:                              ;   in Loop: Header=BB33_3 Depth=1
	ds_store_b64 v71, v[0:1]
; %bb.637:                              ;   in Loop: Header=BB33_3 Depth=1
	s_or_b32 exec_lo, exec_lo, s51
	s_wait_dscnt 0x0
	s_barrier_signal -1
	s_barrier_wait -1
	s_and_saveexec_b32 s51, s33
	s_cbranch_execz .LBB33_639
; %bb.638:                              ;   in Loop: Header=BB33_3 Depth=1
	ds_load_b64 v[44:45], v67 offset:21824
	ds_load_b64 v[46:47], v71
	s_wait_dscnt 0x0
	v_fmac_f64_e32 v[0:1], v[44:45], v[46:47]
.LBB33_639:                             ;   in Loop: Header=BB33_3 Depth=1
	s_or_b32 exec_lo, exec_lo, s51
	s_barrier_signal -1
	s_barrier_wait -1
	s_and_saveexec_b32 s51, s34
; %bb.640:                              ;   in Loop: Header=BB33_3 Depth=1
	ds_store_b64 v71, v[0:1]
; %bb.641:                              ;   in Loop: Header=BB33_3 Depth=1
	s_or_b32 exec_lo, exec_lo, s51
	s_wait_dscnt 0x0
	s_barrier_signal -1
	s_barrier_wait -1
	s_and_saveexec_b32 s51, s35
	s_cbranch_execz .LBB33_643
; %bb.642:                              ;   in Loop: Header=BB33_3 Depth=1
	ds_load_b64 v[44:45], v67 offset:22336
	ds_load_b64 v[46:47], v71
	s_wait_dscnt 0x0
	v_fmac_f64_e32 v[0:1], v[44:45], v[46:47]
.LBB33_643:                             ;   in Loop: Header=BB33_3 Depth=1
	s_or_b32 exec_lo, exec_lo, s51
	s_barrier_signal -1
	s_barrier_wait -1
	s_and_saveexec_b32 s51, s36
; %bb.644:                              ;   in Loop: Header=BB33_3 Depth=1
	ds_store_b64 v71, v[0:1]
; %bb.645:                              ;   in Loop: Header=BB33_3 Depth=1
	s_or_b32 exec_lo, exec_lo, s51
	s_wait_dscnt 0x0
	s_barrier_signal -1
	s_barrier_wait -1
	s_and_saveexec_b32 s51, s37
	s_cbranch_execz .LBB33_647
; %bb.646:                              ;   in Loop: Header=BB33_3 Depth=1
	ds_load_b64 v[44:45], v67 offset:22848
	ds_load_b64 v[46:47], v71
	s_wait_dscnt 0x0
	v_fmac_f64_e32 v[0:1], v[44:45], v[46:47]
.LBB33_647:                             ;   in Loop: Header=BB33_3 Depth=1
	s_or_b32 exec_lo, exec_lo, s51
	s_barrier_signal -1
	s_barrier_wait -1
	s_and_saveexec_b32 s51, s38
; %bb.648:                              ;   in Loop: Header=BB33_3 Depth=1
	ds_store_b64 v71, v[0:1]
; %bb.649:                              ;   in Loop: Header=BB33_3 Depth=1
	s_or_b32 exec_lo, exec_lo, s51
	s_wait_dscnt 0x0
	s_barrier_signal -1
	s_barrier_wait -1
	s_and_saveexec_b32 s51, s39
	s_cbranch_execz .LBB33_651
; %bb.650:                              ;   in Loop: Header=BB33_3 Depth=1
	ds_load_b64 v[44:45], v67 offset:23360
	ds_load_b64 v[46:47], v71
	s_wait_dscnt 0x0
	v_fmac_f64_e32 v[0:1], v[44:45], v[46:47]
.LBB33_651:                             ;   in Loop: Header=BB33_3 Depth=1
	s_or_b32 exec_lo, exec_lo, s51
	s_barrier_signal -1
	s_barrier_wait -1
	s_and_saveexec_b32 s51, s40
; %bb.652:                              ;   in Loop: Header=BB33_3 Depth=1
	ds_store_b64 v71, v[0:1]
; %bb.653:                              ;   in Loop: Header=BB33_3 Depth=1
	s_or_b32 exec_lo, exec_lo, s51
	s_wait_dscnt 0x0
	s_barrier_signal -1
	s_barrier_wait -1
	s_and_saveexec_b32 s51, s41
	s_cbranch_execz .LBB33_655
; %bb.654:                              ;   in Loop: Header=BB33_3 Depth=1
	ds_load_b64 v[44:45], v9 offset:23928
	ds_load_b64 v[46:47], v71
	s_wait_dscnt 0x0
	v_fmac_f64_e32 v[0:1], v[44:45], v[46:47]
.LBB33_655:                             ;   in Loop: Header=BB33_3 Depth=1
	s_or_b32 exec_lo, exec_lo, s51
	s_barrier_signal -1
	s_barrier_wait -1
	s_and_saveexec_b32 s51, s41
; %bb.656:                              ;   in Loop: Header=BB33_3 Depth=1
	ds_store_b64 v71, v[0:1]
; %bb.657:                              ;   in Loop: Header=BB33_3 Depth=1
	s_or_b32 exec_lo, exec_lo, s51
	s_wait_dscnt 0x0
	s_barrier_signal -1
	s_barrier_wait -1
	s_barrier_signal -1
	s_barrier_wait -1
	s_and_saveexec_b32 s51, s3
; %bb.658:                              ;   in Loop: Header=BB33_3 Depth=1
	v_xor_b32_e32 v1, 0x80000000, v1
	ds_store_b64 v72, v[0:1] offset:16704
; %bb.659:                              ;   in Loop: Header=BB33_3 Depth=1
	s_or_b32 exec_lo, exec_lo, s51
	s_wait_dscnt 0x0
	s_barrier_signal -1
	s_barrier_wait -1
	s_barrier_signal -1
	s_barrier_wait -1
	s_and_saveexec_b32 s51, s42
	s_cbranch_execz .LBB33_661
; %bb.660:                              ;   in Loop: Header=BB33_3 Depth=1
	ds_load_b64 v[0:1], v53 offset:16704
	s_wait_dscnt 0x0
	ds_store_b64 v54, v[0:1] offset:20736
	ds_load_b64 v[0:1], v53 offset:16712
	s_wait_dscnt 0x0
	ds_store_b64 v54, v[0:1] offset:21248
	ds_load_b64 v[0:1], v53 offset:16720
	s_wait_dscnt 0x0
	ds_store_b64 v54, v[0:1] offset:21760
	ds_load_b64 v[0:1], v53 offset:16728
	s_wait_dscnt 0x0
	ds_store_b64 v54, v[0:1] offset:22272
	ds_load_b64 v[0:1], v53 offset:16736
	s_wait_dscnt 0x0
	ds_store_b64 v54, v[0:1] offset:22784
	ds_load_b64 v[0:1], v53 offset:16744
	s_wait_dscnt 0x0
	ds_store_b64 v54, v[0:1] offset:23296
	ds_load_b64 v[0:1], v53 offset:16752
	s_wait_dscnt 0x0
	ds_store_b64 v54, v[0:1] offset:23808
	ds_load_b64 v[0:1], v53 offset:16760
	s_wait_dscnt 0x0
	ds_store_b64 v54, v[0:1] offset:24320
.LBB33_661:                             ;   in Loop: Header=BB33_3 Depth=1
	s_or_b32 exec_lo, exec_lo, s51
	s_wait_dscnt 0x0
	s_barrier_signal -1
	s_barrier_wait -1
	s_and_saveexec_b32 s51, s10
	s_cbranch_execz .LBB33_663
; %bb.662:                              ;   in Loop: Header=BB33_3 Depth=1
	ds_load_b64 v[0:1], v9 offset:20808
	v_mov_b32_e32 v2, v9
	ds_store_b64 v9, v[30:31] offset:20800
	s_wait_dscnt 0x1
	ds_store_b128 v9, v[0:3] offset:21312
.LBB33_663:                             ;   in Loop: Header=BB33_3 Depth=1
	s_or_b32 exec_lo, exec_lo, s51
	v_mov_b64_e32 v[0:1], 0
	s_wait_dscnt 0x0
	s_barrier_signal -1
	s_barrier_wait -1
	s_and_saveexec_b32 s51, s0
	s_cbranch_execz .LBB33_667
; %bb.664:                              ;   in Loop: Header=BB33_3 Depth=1
	ds_load_b64 v[0:1], v64 offset:20816
	ds_load_b64 v[44:45], v65 offset:20800
	s_wait_dscnt 0x0
	v_fma_f64 v[0:1], v[0:1], v[44:45], 0
	s_and_saveexec_b32 s52, s11
	s_cbranch_execz .LBB33_666
; %bb.665:                              ;   in Loop: Header=BB33_3 Depth=1
	ds_load_b64 v[44:45], v54 offset:21328
	ds_load_b64 v[46:47], v9 offset:20808
	s_wait_dscnt 0x0
	v_fmac_f64_e32 v[0:1], v[44:45], v[46:47]
.LBB33_666:                             ;   in Loop: Header=BB33_3 Depth=1
	s_or_b32 exec_lo, exec_lo, s52
	s_delay_alu instid0(VALU_DEP_1)
	v_xor_b32_e32 v1, 0x80000000, v1
.LBB33_667:                             ;   in Loop: Header=BB33_3 Depth=1
	s_or_b32 exec_lo, exec_lo, s51
	s_and_saveexec_b32 s51, s92
; %bb.668:                              ;   in Loop: Header=BB33_3 Depth=1
	ds_store_b64 v56, v[0:1]
; %bb.669:                              ;   in Loop: Header=BB33_3 Depth=1
	s_or_b32 exec_lo, exec_lo, s51
	s_wait_dscnt 0x0
	s_barrier_signal -1
	s_barrier_wait -1
	s_and_saveexec_b32 s51, s93
	s_cbranch_execz .LBB33_671
; %bb.670:                              ;   in Loop: Header=BB33_3 Depth=1
	ds_load_b64 v[44:45], v9 offset:21848
	ds_load_b64 v[46:47], v56
	s_wait_dscnt 0x0
	v_fmac_f64_e32 v[0:1], v[44:45], v[46:47]
.LBB33_671:                             ;   in Loop: Header=BB33_3 Depth=1
	s_or_b32 exec_lo, exec_lo, s51
	s_barrier_signal -1
	s_barrier_wait -1
	s_and_saveexec_b32 s51, s93
; %bb.672:                              ;   in Loop: Header=BB33_3 Depth=1
	ds_store_b64 v56, v[0:1]
; %bb.673:                              ;   in Loop: Header=BB33_3 Depth=1
	s_or_b32 exec_lo, exec_lo, s51
	s_wait_dscnt 0x0
	s_barrier_signal -1
	s_barrier_wait -1
	s_barrier_signal -1
	s_barrier_wait -1
	s_and_saveexec_b32 s51, s0
; %bb.674:                              ;   in Loop: Header=BB33_3 Depth=1
	v_xor_b32_e32 v1, 0x80000000, v1
	ds_store_b64 v64, v[0:1] offset:20816
; %bb.675:                              ;   in Loop: Header=BB33_3 Depth=1
	s_or_b32 exec_lo, exec_lo, s51
	s_wait_dscnt 0x0
	s_barrier_signal -1
	s_barrier_wait -1
	s_barrier_signal -1
	s_barrier_wait -1
	s_and_saveexec_b32 s51, s94
	s_cbranch_execz .LBB33_677
; %bb.676:                              ;   in Loop: Header=BB33_3 Depth=1
	ds_load_b64 v[0:1], v57 offset:20816
	s_wait_dscnt 0x0
	ds_store_b64 v54, v[0:1] offset:21824
	ds_load_b64 v[0:1], v57 offset:20824
	s_wait_dscnt 0x0
	ds_store_b64 v54, v[0:1] offset:22336
.LBB33_677:                             ;   in Loop: Header=BB33_3 Depth=1
	s_or_b32 exec_lo, exec_lo, s51
	s_wait_dscnt 0x0
	s_barrier_signal -1
	s_barrier_wait -1
	s_and_saveexec_b32 s51, s10
	s_cbranch_execz .LBB33_679
; %bb.678:                              ;   in Loop: Header=BB33_3 Depth=1
	ds_load_b64 v[0:1], v9 offset:21848
	v_mov_b32_e32 v2, v9
	ds_store_b64 v9, v[30:31] offset:21840
	s_wait_dscnt 0x1
	ds_store_b128 v9, v[0:3] offset:22352
.LBB33_679:                             ;   in Loop: Header=BB33_3 Depth=1
	s_or_b32 exec_lo, exec_lo, s51
	v_mov_b64_e32 v[0:1], 0
	s_wait_dscnt 0x0
	s_barrier_signal -1
	s_barrier_wait -1
	s_and_saveexec_b32 s61, s2
	s_cbranch_execz .LBB33_685
; %bb.680:                              ;   in Loop: Header=BB33_3 Depth=1
	ds_load_b64 v[0:1], v68 offset:20832
	ds_load_b64 v[44:45], v55 offset:20800
	s_wait_dscnt 0x0
	v_fma_f64 v[0:1], v[0:1], v[44:45], 0
	s_and_saveexec_b32 s51, s12
	s_cbranch_execnz .LBB33_1101
; %bb.681:                              ;   in Loop: Header=BB33_3 Depth=1
	s_or_b32 exec_lo, exec_lo, s51
	s_and_saveexec_b32 s51, s13
	s_cbranch_execnz .LBB33_1102
.LBB33_682:                             ;   in Loop: Header=BB33_3 Depth=1
	s_or_b32 exec_lo, exec_lo, s51
	s_and_saveexec_b32 s51, s0
	s_cbranch_execz .LBB33_684
.LBB33_683:                             ;   in Loop: Header=BB33_3 Depth=1
	ds_load_b64 v[44:45], v59 offset:22368
	ds_load_b64 v[46:47], v9 offset:20824
	s_wait_dscnt 0x0
	v_fmac_f64_e32 v[0:1], v[44:45], v[46:47]
.LBB33_684:                             ;   in Loop: Header=BB33_3 Depth=1
	s_or_b32 exec_lo, exec_lo, s51
	s_delay_alu instid0(VALU_DEP_1)
	v_xor_b32_e32 v1, 0x80000000, v1
.LBB33_685:                             ;   in Loop: Header=BB33_3 Depth=1
	s_or_b32 exec_lo, exec_lo, s61
	s_and_saveexec_b32 s51, s95
; %bb.686:                              ;   in Loop: Header=BB33_3 Depth=1
	ds_store_b64 v66, v[0:1]
; %bb.687:                              ;   in Loop: Header=BB33_3 Depth=1
	s_or_b32 exec_lo, exec_lo, s51
	s_wait_dscnt 0x0
	s_barrier_signal -1
	s_barrier_wait -1
	s_and_saveexec_b32 s51, s96
	s_cbranch_execz .LBB33_689
; %bb.688:                              ;   in Loop: Header=BB33_3 Depth=1
	ds_load_b64 v[44:45], v63 offset:22880
	ds_load_b64 v[46:47], v66
	s_wait_dscnt 0x0
	v_fmac_f64_e32 v[0:1], v[44:45], v[46:47]
.LBB33_689:                             ;   in Loop: Header=BB33_3 Depth=1
	s_or_b32 exec_lo, exec_lo, s51
	s_barrier_signal -1
	s_barrier_wait -1
	s_and_saveexec_b32 s51, s97
; %bb.690:                              ;   in Loop: Header=BB33_3 Depth=1
	ds_store_b64 v66, v[0:1]
; %bb.691:                              ;   in Loop: Header=BB33_3 Depth=1
	s_or_b32 exec_lo, exec_lo, s51
	s_wait_dscnt 0x0
	s_barrier_signal -1
	s_barrier_wait -1
	s_and_saveexec_b32 s51, s98
	s_cbranch_execz .LBB33_693
; %bb.692:                              ;   in Loop: Header=BB33_3 Depth=1
	ds_load_b64 v[44:45], v63 offset:23392
	ds_load_b64 v[46:47], v66
	s_wait_dscnt 0x0
	v_fmac_f64_e32 v[0:1], v[44:45], v[46:47]
.LBB33_693:                             ;   in Loop: Header=BB33_3 Depth=1
	s_or_b32 exec_lo, exec_lo, s51
	s_barrier_signal -1
	s_barrier_wait -1
	;; [unrolled: 19-line block ×3, first 2 shown]
	s_and_saveexec_b32 s51, s100
; %bb.698:                              ;   in Loop: Header=BB33_3 Depth=1
	ds_store_b64 v66, v[0:1]
; %bb.699:                              ;   in Loop: Header=BB33_3 Depth=1
	s_or_b32 exec_lo, exec_lo, s51
	s_wait_dscnt 0x0
	s_barrier_signal -1
	s_barrier_wait -1
	s_barrier_signal -1
	s_barrier_wait -1
	s_and_saveexec_b32 s51, s2
; %bb.700:                              ;   in Loop: Header=BB33_3 Depth=1
	v_xor_b32_e32 v1, 0x80000000, v1
	ds_store_b64 v68, v[0:1] offset:20832
; %bb.701:                              ;   in Loop: Header=BB33_3 Depth=1
	s_or_b32 exec_lo, exec_lo, s51
	s_wait_dscnt 0x0
	s_barrier_signal -1
	s_barrier_wait -1
	s_barrier_signal -1
	s_barrier_wait -1
	s_and_saveexec_b32 s51, s101
	s_cbranch_execz .LBB33_703
; %bb.702:                              ;   in Loop: Header=BB33_3 Depth=1
	ds_load_b64 v[0:1], v61 offset:20832
	s_wait_dscnt 0x0
	ds_store_b64 v79, v[0:1] offset:22848
	ds_load_b64 v[0:1], v61 offset:20840
	s_wait_dscnt 0x0
	ds_store_b64 v79, v[0:1] offset:23360
	;; [unrolled: 3-line block ×4, first 2 shown]
.LBB33_703:                             ;   in Loop: Header=BB33_3 Depth=1
	s_or_b32 exec_lo, exec_lo, s51
	s_wait_dscnt 0x0
	s_barrier_signal -1
	s_barrier_wait -1
	s_and_saveexec_b32 s51, s10
	s_cbranch_execz .LBB33_705
; %bb.704:                              ;   in Loop: Header=BB33_3 Depth=1
	ds_load_b64 v[0:1], v9 offset:22888
	v_mov_b32_e32 v2, v9
	ds_store_b64 v9, v[30:31] offset:22880
	s_wait_dscnt 0x1
	ds_store_b128 v9, v[0:3] offset:23392
.LBB33_705:                             ;   in Loop: Header=BB33_3 Depth=1
	s_or_b32 exec_lo, exec_lo, s51
	v_mov_b64_e32 v[0:1], 0
	s_wait_dscnt 0x0
	s_barrier_signal -1
	s_barrier_wait -1
	s_and_saveexec_b32 s51, s0
	s_cbranch_execz .LBB33_709
; %bb.706:                              ;   in Loop: Header=BB33_3 Depth=1
	ds_load_b64 v[0:1], v64 offset:22896
	ds_load_b64 v[44:45], v65 offset:22880
	s_wait_dscnt 0x0
	v_fma_f64 v[0:1], v[0:1], v[44:45], 0
	s_and_saveexec_b32 s52, s11
	s_cbranch_execz .LBB33_708
; %bb.707:                              ;   in Loop: Header=BB33_3 Depth=1
	ds_load_b64 v[44:45], v79 offset:23408
	ds_load_b64 v[46:47], v9 offset:22888
	s_wait_dscnt 0x0
	v_fmac_f64_e32 v[0:1], v[44:45], v[46:47]
.LBB33_708:                             ;   in Loop: Header=BB33_3 Depth=1
	s_or_b32 exec_lo, exec_lo, s52
	s_delay_alu instid0(VALU_DEP_1)
	v_xor_b32_e32 v1, 0x80000000, v1
.LBB33_709:                             ;   in Loop: Header=BB33_3 Depth=1
	s_or_b32 exec_lo, exec_lo, s51
	s_and_saveexec_b32 s51, s92
; %bb.710:                              ;   in Loop: Header=BB33_3 Depth=1
	ds_store_b64 v56, v[0:1]
; %bb.711:                              ;   in Loop: Header=BB33_3 Depth=1
	s_or_b32 exec_lo, exec_lo, s51
	s_wait_dscnt 0x0
	s_barrier_signal -1
	s_barrier_wait -1
	s_and_saveexec_b32 s51, s93
	s_cbranch_execz .LBB33_713
; %bb.712:                              ;   in Loop: Header=BB33_3 Depth=1
	ds_load_b64 v[44:45], v9 offset:23928
	ds_load_b64 v[46:47], v56
	s_wait_dscnt 0x0
	v_fmac_f64_e32 v[0:1], v[44:45], v[46:47]
.LBB33_713:                             ;   in Loop: Header=BB33_3 Depth=1
	s_or_b32 exec_lo, exec_lo, s51
	s_barrier_signal -1
	s_barrier_wait -1
	s_and_saveexec_b32 s51, s93
; %bb.714:                              ;   in Loop: Header=BB33_3 Depth=1
	ds_store_b64 v56, v[0:1]
; %bb.715:                              ;   in Loop: Header=BB33_3 Depth=1
	s_or_b32 exec_lo, exec_lo, s51
	s_wait_dscnt 0x0
	s_barrier_signal -1
	s_barrier_wait -1
	s_barrier_signal -1
	s_barrier_wait -1
	s_and_saveexec_b32 s51, s0
; %bb.716:                              ;   in Loop: Header=BB33_3 Depth=1
	v_xor_b32_e32 v1, 0x80000000, v1
	ds_store_b64 v64, v[0:1] offset:22896
; %bb.717:                              ;   in Loop: Header=BB33_3 Depth=1
	s_or_b32 exec_lo, exec_lo, s51
	s_wait_dscnt 0x0
	s_barrier_signal -1
	s_barrier_wait -1
	s_barrier_signal -1
	s_barrier_wait -1
	s_and_saveexec_b32 s51, s94
	s_cbranch_execz .LBB33_719
; %bb.718:                              ;   in Loop: Header=BB33_3 Depth=1
	ds_load_b64 v[0:1], v80 offset:22896
	s_wait_dscnt 0x0
	ds_store_b64 v79, v[0:1] offset:23904
	ds_load_b64 v[0:1], v80 offset:22904
	s_wait_dscnt 0x0
	ds_store_b64 v79, v[0:1] offset:24416
.LBB33_719:                             ;   in Loop: Header=BB33_3 Depth=1
	s_or_b32 exec_lo, exec_lo, s51
	s_wait_dscnt 0x0
	s_barrier_signal -1
	s_barrier_wait -1
	s_and_saveexec_b32 s51, s10
	s_cbranch_execz .LBB33_721
; %bb.720:                              ;   in Loop: Header=BB33_3 Depth=1
	ds_load_b64 v[0:1], v9 offset:23928
	v_mov_b32_e32 v2, v9
	ds_store_b64 v9, v[30:31] offset:23920
	s_wait_dscnt 0x1
	ds_store_b128 v9, v[0:3] offset:24432
.LBB33_721:                             ;   in Loop: Header=BB33_3 Depth=1
	s_or_b32 exec_lo, exec_lo, s51
	v_mov_b64_e32 v[0:1], 0
	s_wait_dscnt 0x0
	s_barrier_signal -1
	s_barrier_wait -1
	s_and_saveexec_b32 s82, s4
	s_cbranch_execz .LBB33_749
; %bb.722:                              ;   in Loop: Header=BB33_3 Depth=1
	ds_load_b64 v[0:1], v75 offset:16768
	ds_load_b64 v[44:45], v60 offset:16640
	s_wait_dscnt 0x0
	v_fma_f64 v[0:1], v[0:1], v[44:45], 0
	s_mov_b32 s51, exec_lo
	v_readlane_b32 s52, v102, 23
	s_and_b32 s52, s51, s52
	s_delay_alu instid0(SALU_CYCLE_1)
	s_mov_b32 exec_lo, s52
	s_cbranch_execz .LBB33_724
; %bb.723:                              ;   in Loop: Header=BB33_3 Depth=1
	ds_load_b64 v[44:45], v76 offset:17280
	ds_load_b64 v[46:47], v60 offset:16648
	s_wait_dscnt 0x0
	v_fmac_f64_e32 v[0:1], v[44:45], v[46:47]
.LBB33_724:                             ;   in Loop: Header=BB33_3 Depth=1
	s_or_b32 exec_lo, exec_lo, s51
	s_delay_alu instid0(SALU_CYCLE_1) | instskip(SKIP_2) | instid1(SALU_CYCLE_1)
	s_mov_b32 s51, exec_lo
	v_readlane_b32 s52, v102, 24
	s_and_b32 s52, s51, s52
	s_mov_b32 exec_lo, s52
	s_cbranch_execz .LBB33_726
; %bb.725:                              ;   in Loop: Header=BB33_3 Depth=1
	ds_load_b64 v[44:45], v76 offset:17792
	ds_load_b64 v[46:47], v60 offset:16656
	s_wait_dscnt 0x0
	v_fmac_f64_e32 v[0:1], v[44:45], v[46:47]
.LBB33_726:                             ;   in Loop: Header=BB33_3 Depth=1
	s_or_b32 exec_lo, exec_lo, s51
	s_delay_alu instid0(SALU_CYCLE_1) | instskip(SKIP_2) | instid1(SALU_CYCLE_1)
	s_mov_b32 s51, exec_lo
	v_readlane_b32 s52, v102, 25
	s_and_b32 s52, s51, s52
	;; [unrolled: 13-line block ×10, first 2 shown]
	s_mov_b32 exec_lo, s52
	s_cbranch_execnz .LBB33_1103
; %bb.743:                              ;   in Loop: Header=BB33_3 Depth=1
	s_or_b32 exec_lo, exec_lo, s51
	s_and_saveexec_b32 s51, s3
	s_cbranch_execnz .LBB33_1104
.LBB33_744:                             ;   in Loop: Header=BB33_3 Depth=1
	s_or_b32 exec_lo, exec_lo, s51
	s_and_saveexec_b32 s51, s15
	s_cbranch_execnz .LBB33_1105
.LBB33_745:                             ;   in Loop: Header=BB33_3 Depth=1
	s_or_b32 exec_lo, exec_lo, s51
	s_and_saveexec_b32 s51, s17
	s_cbranch_execnz .LBB33_1106
.LBB33_746:                             ;   in Loop: Header=BB33_3 Depth=1
	s_or_b32 exec_lo, exec_lo, s51
	s_and_saveexec_b32 s51, s2
	s_cbranch_execz .LBB33_748
.LBB33_747:                             ;   in Loop: Header=BB33_3 Depth=1
	ds_load_b64 v[44:45], v7 offset:24448
	ds_load_b64 v[46:47], v9 offset:16760
	s_wait_dscnt 0x0
	v_fmac_f64_e32 v[0:1], v[44:45], v[46:47]
.LBB33_748:                             ;   in Loop: Header=BB33_3 Depth=1
	s_or_b32 exec_lo, exec_lo, s51
	s_delay_alu instid0(VALU_DEP_1)
	v_xor_b32_e32 v1, 0x80000000, v1
.LBB33_749:                             ;   in Loop: Header=BB33_3 Depth=1
	s_or_b32 exec_lo, exec_lo, s82
	s_delay_alu instid0(SALU_CYCLE_1) | instskip(SKIP_2) | instid1(SALU_CYCLE_1)
	s_mov_b32 s51, exec_lo
	v_readlane_b32 s52, v102, 2
	s_and_b32 s52, s51, s52
	s_mov_b32 exec_lo, s52
; %bb.750:                              ;   in Loop: Header=BB33_3 Depth=1
	ds_store_b64 v74, v[0:1]
; %bb.751:                              ;   in Loop: Header=BB33_3 Depth=1
	s_or_b32 exec_lo, exec_lo, s51
	s_wait_dscnt 0x0
	s_barrier_signal -1
	s_barrier_wait -1
	s_mov_b32 s51, exec_lo
	v_readlane_b32 s52, v102, 3
	s_and_b32 s52, s51, s52
	s_delay_alu instid0(SALU_CYCLE_1)
	s_mov_b32 exec_lo, s52
	s_cbranch_execz .LBB33_753
; %bb.752:                              ;   in Loop: Header=BB33_3 Depth=1
	ds_load_b64 v[44:45], v70 offset:24960
	ds_load_b64 v[46:47], v74
	s_wait_dscnt 0x0
	v_fmac_f64_e32 v[0:1], v[44:45], v[46:47]
.LBB33_753:                             ;   in Loop: Header=BB33_3 Depth=1
	s_or_b32 exec_lo, exec_lo, s51
	s_barrier_signal -1
	s_barrier_wait -1
	s_mov_b32 s51, exec_lo
	v_readlane_b32 s52, v102, 4
	s_and_b32 s52, s51, s52
	s_delay_alu instid0(SALU_CYCLE_1)
	s_mov_b32 exec_lo, s52
; %bb.754:                              ;   in Loop: Header=BB33_3 Depth=1
	ds_store_b64 v74, v[0:1]
; %bb.755:                              ;   in Loop: Header=BB33_3 Depth=1
	s_or_b32 exec_lo, exec_lo, s51
	s_wait_dscnt 0x0
	s_barrier_signal -1
	s_barrier_wait -1
	s_mov_b32 s51, exec_lo
	v_readlane_b32 s52, v102, 5
	s_and_b32 s52, s51, s52
	s_delay_alu instid0(SALU_CYCLE_1)
	s_mov_b32 exec_lo, s52
	s_cbranch_execz .LBB33_757
; %bb.756:                              ;   in Loop: Header=BB33_3 Depth=1
	ds_load_b64 v[44:45], v70 offset:25472
	ds_load_b64 v[46:47], v74
	s_wait_dscnt 0x0
	v_fmac_f64_e32 v[0:1], v[44:45], v[46:47]
.LBB33_757:                             ;   in Loop: Header=BB33_3 Depth=1
	s_or_b32 exec_lo, exec_lo, s51
	s_barrier_signal -1
	s_barrier_wait -1
	s_mov_b32 s51, exec_lo
	v_readlane_b32 s52, v102, 6
	s_and_b32 s52, s51, s52
	s_delay_alu instid0(SALU_CYCLE_1)
	;; [unrolled: 27-line block ×5, first 2 shown]
	s_mov_b32 exec_lo, s52
; %bb.770:                              ;   in Loop: Header=BB33_3 Depth=1
	ds_store_b64 v74, v[0:1]
; %bb.771:                              ;   in Loop: Header=BB33_3 Depth=1
	s_or_b32 exec_lo, exec_lo, s51
	s_wait_dscnt 0x0
	s_barrier_signal -1
	s_barrier_wait -1
	s_and_saveexec_b32 s51, s54
	s_cbranch_execz .LBB33_773
; %bb.772:                              ;   in Loop: Header=BB33_3 Depth=1
	ds_load_b64 v[44:45], v70 offset:27520
	ds_load_b64 v[46:47], v74
	s_wait_dscnt 0x0
	v_fmac_f64_e32 v[0:1], v[44:45], v[46:47]
.LBB33_773:                             ;   in Loop: Header=BB33_3 Depth=1
	s_or_b32 exec_lo, exec_lo, s51
	s_barrier_signal -1
	s_barrier_wait -1
	s_and_saveexec_b32 s51, s19
; %bb.774:                              ;   in Loop: Header=BB33_3 Depth=1
	ds_store_b64 v74, v[0:1]
; %bb.775:                              ;   in Loop: Header=BB33_3 Depth=1
	s_or_b32 exec_lo, exec_lo, s51
	s_wait_dscnt 0x0
	s_barrier_signal -1
	s_barrier_wait -1
	s_and_saveexec_b32 s51, s21
	s_cbranch_execz .LBB33_777
; %bb.776:                              ;   in Loop: Header=BB33_3 Depth=1
	ds_load_b64 v[44:45], v70 offset:28032
	ds_load_b64 v[46:47], v74
	s_wait_dscnt 0x0
	v_fmac_f64_e32 v[0:1], v[44:45], v[46:47]
.LBB33_777:                             ;   in Loop: Header=BB33_3 Depth=1
	s_or_b32 exec_lo, exec_lo, s51
	s_barrier_signal -1
	s_barrier_wait -1
	s_and_saveexec_b32 s51, s23
	;; [unrolled: 19-line block ×10, first 2 shown]
; %bb.810:                              ;   in Loop: Header=BB33_3 Depth=1
	ds_store_b64 v74, v[0:1]
; %bb.811:                              ;   in Loop: Header=BB33_3 Depth=1
	s_or_b32 exec_lo, exec_lo, s51
	s_wait_dscnt 0x0
	s_barrier_signal -1
	s_barrier_wait -1
	s_barrier_signal -1
	s_barrier_wait -1
	s_and_saveexec_b32 s51, s4
; %bb.812:                              ;   in Loop: Header=BB33_3 Depth=1
	v_xor_b32_e32 v1, 0x80000000, v1
	ds_store_b64 v75, v[0:1] offset:16768
; %bb.813:                              ;   in Loop: Header=BB33_3 Depth=1
	s_or_b32 exec_lo, exec_lo, s51
	s_wait_dscnt 0x0
	s_barrier_signal -1
	s_barrier_wait -1
	s_barrier_signal -1
	s_barrier_wait -1
	s_and_saveexec_b32 s51, s48
	s_cbranch_execz .LBB33_815
; %bb.814:                              ;   in Loop: Header=BB33_3 Depth=1
	ds_load_b64 v[0:1], v11 offset:16768
	s_wait_dscnt 0x0
	ds_store_b64 v48, v[0:1] offset:24832
	ds_load_b64 v[0:1], v11 offset:16776
	s_wait_dscnt 0x0
	ds_store_b64 v48, v[0:1] offset:25344
	;; [unrolled: 3-line block ×16, first 2 shown]
.LBB33_815:                             ;   in Loop: Header=BB33_3 Depth=1
	s_or_b32 exec_lo, exec_lo, s51
	s_wait_dscnt 0x0
	s_barrier_signal -1
	s_barrier_wait -1
	s_and_saveexec_b32 s51, s10
	s_cbranch_execz .LBB33_817
; %bb.816:                              ;   in Loop: Header=BB33_3 Depth=1
	ds_load_b64 v[0:1], v9 offset:24968
	v_mov_b32_e32 v2, v9
	ds_store_b64 v9, v[30:31] offset:24960
	s_wait_dscnt 0x1
	ds_store_b128 v9, v[0:3] offset:25472
.LBB33_817:                             ;   in Loop: Header=BB33_3 Depth=1
	s_or_b32 exec_lo, exec_lo, s51
	v_mov_b64_e32 v[0:1], 0
	s_wait_dscnt 0x0
	s_barrier_signal -1
	s_barrier_wait -1
	s_and_saveexec_b32 s51, s0
	s_cbranch_execz .LBB33_821
; %bb.818:                              ;   in Loop: Header=BB33_3 Depth=1
	ds_load_b64 v[0:1], v64 offset:24976
	ds_load_b64 v[44:45], v65 offset:24960
	s_wait_dscnt 0x0
	v_fma_f64 v[0:1], v[0:1], v[44:45], 0
	s_and_saveexec_b32 s52, s11
	s_cbranch_execz .LBB33_820
; %bb.819:                              ;   in Loop: Header=BB33_3 Depth=1
	ds_load_b64 v[44:45], v7 offset:25488
	ds_load_b64 v[46:47], v9 offset:24968
	s_wait_dscnt 0x0
	v_fmac_f64_e32 v[0:1], v[44:45], v[46:47]
.LBB33_820:                             ;   in Loop: Header=BB33_3 Depth=1
	s_or_b32 exec_lo, exec_lo, s52
	s_delay_alu instid0(VALU_DEP_1)
	v_xor_b32_e32 v1, 0x80000000, v1
.LBB33_821:                             ;   in Loop: Header=BB33_3 Depth=1
	s_or_b32 exec_lo, exec_lo, s51
	s_and_saveexec_b32 s51, s92
; %bb.822:                              ;   in Loop: Header=BB33_3 Depth=1
	ds_store_b64 v56, v[0:1]
; %bb.823:                              ;   in Loop: Header=BB33_3 Depth=1
	s_or_b32 exec_lo, exec_lo, s51
	s_wait_dscnt 0x0
	s_barrier_signal -1
	s_barrier_wait -1
	s_and_saveexec_b32 s51, s93
	s_cbranch_execz .LBB33_825
; %bb.824:                              ;   in Loop: Header=BB33_3 Depth=1
	ds_load_b64 v[44:45], v9 offset:26008
	ds_load_b64 v[46:47], v56
	s_wait_dscnt 0x0
	v_fmac_f64_e32 v[0:1], v[44:45], v[46:47]
.LBB33_825:                             ;   in Loop: Header=BB33_3 Depth=1
	s_or_b32 exec_lo, exec_lo, s51
	s_barrier_signal -1
	s_barrier_wait -1
	s_and_saveexec_b32 s51, s93
; %bb.826:                              ;   in Loop: Header=BB33_3 Depth=1
	ds_store_b64 v56, v[0:1]
; %bb.827:                              ;   in Loop: Header=BB33_3 Depth=1
	s_or_b32 exec_lo, exec_lo, s51
	s_wait_dscnt 0x0
	s_barrier_signal -1
	s_barrier_wait -1
	s_barrier_signal -1
	s_barrier_wait -1
	s_and_saveexec_b32 s51, s0
; %bb.828:                              ;   in Loop: Header=BB33_3 Depth=1
	v_xor_b32_e32 v1, 0x80000000, v1
	ds_store_b64 v64, v[0:1] offset:24976
; %bb.829:                              ;   in Loop: Header=BB33_3 Depth=1
	s_or_b32 exec_lo, exec_lo, s51
	s_wait_dscnt 0x0
	s_barrier_signal -1
	s_barrier_wait -1
	s_barrier_signal -1
	s_barrier_wait -1
	s_and_saveexec_b32 s51, s94
	s_cbranch_execz .LBB33_831
; %bb.830:                              ;   in Loop: Header=BB33_3 Depth=1
	ds_load_b64 v[0:1], v11 offset:24976
	s_wait_dscnt 0x0
	ds_store_b64 v7, v[0:1] offset:25984
	ds_load_b64 v[0:1], v11 offset:24984
	s_wait_dscnt 0x0
	ds_store_b64 v7, v[0:1] offset:26496
.LBB33_831:                             ;   in Loop: Header=BB33_3 Depth=1
	s_or_b32 exec_lo, exec_lo, s51
	s_wait_dscnt 0x0
	s_barrier_signal -1
	s_barrier_wait -1
	s_and_saveexec_b32 s51, s10
	s_cbranch_execz .LBB33_833
; %bb.832:                              ;   in Loop: Header=BB33_3 Depth=1
	ds_load_b64 v[0:1], v9 offset:26008
	v_mov_b32_e32 v2, v9
	ds_store_b64 v9, v[30:31] offset:26000
	s_wait_dscnt 0x1
	ds_store_b128 v9, v[0:3] offset:26512
.LBB33_833:                             ;   in Loop: Header=BB33_3 Depth=1
	s_or_b32 exec_lo, exec_lo, s51
	v_mov_b64_e32 v[0:1], 0
	s_wait_dscnt 0x0
	s_barrier_signal -1
	s_barrier_wait -1
	s_and_saveexec_b32 s61, s2
	s_cbranch_execz .LBB33_839
; %bb.834:                              ;   in Loop: Header=BB33_3 Depth=1
	ds_load_b64 v[0:1], v68 offset:24992
	ds_load_b64 v[44:45], v55 offset:24960
	s_wait_dscnt 0x0
	v_fma_f64 v[0:1], v[0:1], v[44:45], 0
	s_and_saveexec_b32 s51, s12
	s_cbranch_execnz .LBB33_1107
; %bb.835:                              ;   in Loop: Header=BB33_3 Depth=1
	s_or_b32 exec_lo, exec_lo, s51
	s_and_saveexec_b32 s51, s13
	s_cbranch_execnz .LBB33_1108
.LBB33_836:                             ;   in Loop: Header=BB33_3 Depth=1
	s_or_b32 exec_lo, exec_lo, s51
	s_and_saveexec_b32 s51, s0
	s_cbranch_execz .LBB33_838
.LBB33_837:                             ;   in Loop: Header=BB33_3 Depth=1
	ds_load_b64 v[44:45], v48 offset:26528
	ds_load_b64 v[46:47], v9 offset:24984
	s_wait_dscnt 0x0
	v_fmac_f64_e32 v[0:1], v[44:45], v[46:47]
.LBB33_838:                             ;   in Loop: Header=BB33_3 Depth=1
	s_or_b32 exec_lo, exec_lo, s51
	s_delay_alu instid0(VALU_DEP_1)
	v_xor_b32_e32 v1, 0x80000000, v1
.LBB33_839:                             ;   in Loop: Header=BB33_3 Depth=1
	s_or_b32 exec_lo, exec_lo, s61
	s_and_saveexec_b32 s51, s95
; %bb.840:                              ;   in Loop: Header=BB33_3 Depth=1
	ds_store_b64 v66, v[0:1]
; %bb.841:                              ;   in Loop: Header=BB33_3 Depth=1
	s_or_b32 exec_lo, exec_lo, s51
	s_wait_dscnt 0x0
	s_barrier_signal -1
	s_barrier_wait -1
	s_and_saveexec_b32 s51, s96
	s_cbranch_execz .LBB33_843
; %bb.842:                              ;   in Loop: Header=BB33_3 Depth=1
	ds_load_b64 v[44:45], v63 offset:27040
	ds_load_b64 v[46:47], v66
	s_wait_dscnt 0x0
	v_fmac_f64_e32 v[0:1], v[44:45], v[46:47]
.LBB33_843:                             ;   in Loop: Header=BB33_3 Depth=1
	s_or_b32 exec_lo, exec_lo, s51
	s_barrier_signal -1
	s_barrier_wait -1
	s_and_saveexec_b32 s51, s97
; %bb.844:                              ;   in Loop: Header=BB33_3 Depth=1
	ds_store_b64 v66, v[0:1]
; %bb.845:                              ;   in Loop: Header=BB33_3 Depth=1
	s_or_b32 exec_lo, exec_lo, s51
	s_wait_dscnt 0x0
	s_barrier_signal -1
	s_barrier_wait -1
	s_and_saveexec_b32 s51, s98
	s_cbranch_execz .LBB33_847
; %bb.846:                              ;   in Loop: Header=BB33_3 Depth=1
	ds_load_b64 v[44:45], v63 offset:27552
	ds_load_b64 v[46:47], v66
	s_wait_dscnt 0x0
	v_fmac_f64_e32 v[0:1], v[44:45], v[46:47]
.LBB33_847:                             ;   in Loop: Header=BB33_3 Depth=1
	s_or_b32 exec_lo, exec_lo, s51
	s_barrier_signal -1
	s_barrier_wait -1
	;; [unrolled: 19-line block ×3, first 2 shown]
	s_and_saveexec_b32 s51, s100
; %bb.852:                              ;   in Loop: Header=BB33_3 Depth=1
	ds_store_b64 v66, v[0:1]
; %bb.853:                              ;   in Loop: Header=BB33_3 Depth=1
	s_or_b32 exec_lo, exec_lo, s51
	s_wait_dscnt 0x0
	s_barrier_signal -1
	s_barrier_wait -1
	s_barrier_signal -1
	s_barrier_wait -1
	s_and_saveexec_b32 s51, s2
; %bb.854:                              ;   in Loop: Header=BB33_3 Depth=1
	v_xor_b32_e32 v1, 0x80000000, v1
	ds_store_b64 v68, v[0:1] offset:24992
; %bb.855:                              ;   in Loop: Header=BB33_3 Depth=1
	s_or_b32 exec_lo, exec_lo, s51
	s_wait_dscnt 0x0
	s_barrier_signal -1
	s_barrier_wait -1
	s_barrier_signal -1
	s_barrier_wait -1
	s_and_saveexec_b32 s51, s101
	s_cbranch_execz .LBB33_857
; %bb.856:                              ;   in Loop: Header=BB33_3 Depth=1
	ds_load_b64 v[0:1], v49 offset:24992
	s_wait_dscnt 0x0
	ds_store_b64 v50, v[0:1] offset:27008
	ds_load_b64 v[0:1], v49 offset:25000
	s_wait_dscnt 0x0
	ds_store_b64 v50, v[0:1] offset:27520
	;; [unrolled: 3-line block ×4, first 2 shown]
.LBB33_857:                             ;   in Loop: Header=BB33_3 Depth=1
	s_or_b32 exec_lo, exec_lo, s51
	s_wait_dscnt 0x0
	s_barrier_signal -1
	s_barrier_wait -1
	s_and_saveexec_b32 s51, s10
	s_cbranch_execz .LBB33_859
; %bb.858:                              ;   in Loop: Header=BB33_3 Depth=1
	ds_load_b64 v[0:1], v9 offset:27048
	v_mov_b32_e32 v2, v9
	ds_store_b64 v9, v[30:31] offset:27040
	s_wait_dscnt 0x1
	ds_store_b128 v9, v[0:3] offset:27552
.LBB33_859:                             ;   in Loop: Header=BB33_3 Depth=1
	s_or_b32 exec_lo, exec_lo, s51
	v_mov_b64_e32 v[0:1], 0
	s_wait_dscnt 0x0
	s_barrier_signal -1
	s_barrier_wait -1
	s_and_saveexec_b32 s51, s0
	s_cbranch_execz .LBB33_863
; %bb.860:                              ;   in Loop: Header=BB33_3 Depth=1
	ds_load_b64 v[0:1], v64 offset:27056
	ds_load_b64 v[44:45], v65 offset:27040
	s_wait_dscnt 0x0
	v_fma_f64 v[0:1], v[0:1], v[44:45], 0
	s_and_saveexec_b32 s52, s11
	s_cbranch_execz .LBB33_862
; %bb.861:                              ;   in Loop: Header=BB33_3 Depth=1
	ds_load_b64 v[44:45], v50 offset:27568
	ds_load_b64 v[46:47], v9 offset:27048
	s_wait_dscnt 0x0
	v_fmac_f64_e32 v[0:1], v[44:45], v[46:47]
.LBB33_862:                             ;   in Loop: Header=BB33_3 Depth=1
	s_or_b32 exec_lo, exec_lo, s52
	s_delay_alu instid0(VALU_DEP_1)
	v_xor_b32_e32 v1, 0x80000000, v1
.LBB33_863:                             ;   in Loop: Header=BB33_3 Depth=1
	s_or_b32 exec_lo, exec_lo, s51
	s_and_saveexec_b32 s51, s92
; %bb.864:                              ;   in Loop: Header=BB33_3 Depth=1
	ds_store_b64 v56, v[0:1]
; %bb.865:                              ;   in Loop: Header=BB33_3 Depth=1
	s_or_b32 exec_lo, exec_lo, s51
	s_wait_dscnt 0x0
	s_barrier_signal -1
	s_barrier_wait -1
	s_and_saveexec_b32 s51, s93
	s_cbranch_execz .LBB33_867
; %bb.866:                              ;   in Loop: Header=BB33_3 Depth=1
	ds_load_b64 v[44:45], v9 offset:28088
	ds_load_b64 v[46:47], v56
	s_wait_dscnt 0x0
	v_fmac_f64_e32 v[0:1], v[44:45], v[46:47]
.LBB33_867:                             ;   in Loop: Header=BB33_3 Depth=1
	s_or_b32 exec_lo, exec_lo, s51
	s_barrier_signal -1
	s_barrier_wait -1
	s_and_saveexec_b32 s51, s93
; %bb.868:                              ;   in Loop: Header=BB33_3 Depth=1
	ds_store_b64 v56, v[0:1]
; %bb.869:                              ;   in Loop: Header=BB33_3 Depth=1
	s_or_b32 exec_lo, exec_lo, s51
	s_wait_dscnt 0x0
	s_barrier_signal -1
	s_barrier_wait -1
	s_barrier_signal -1
	s_barrier_wait -1
	s_and_saveexec_b32 s51, s0
; %bb.870:                              ;   in Loop: Header=BB33_3 Depth=1
	v_xor_b32_e32 v1, 0x80000000, v1
	ds_store_b64 v64, v[0:1] offset:27056
; %bb.871:                              ;   in Loop: Header=BB33_3 Depth=1
	s_or_b32 exec_lo, exec_lo, s51
	s_wait_dscnt 0x0
	s_barrier_signal -1
	s_barrier_wait -1
	s_barrier_signal -1
	s_barrier_wait -1
	s_and_saveexec_b32 s51, s94
	s_cbranch_execz .LBB33_873
; %bb.872:                              ;   in Loop: Header=BB33_3 Depth=1
	ds_load_b64 v[0:1], v51 offset:27056
	s_wait_dscnt 0x0
	ds_store_b64 v50, v[0:1] offset:28064
	ds_load_b64 v[0:1], v51 offset:27064
	s_wait_dscnt 0x0
	ds_store_b64 v50, v[0:1] offset:28576
.LBB33_873:                             ;   in Loop: Header=BB33_3 Depth=1
	s_or_b32 exec_lo, exec_lo, s51
	s_wait_dscnt 0x0
	s_barrier_signal -1
	s_barrier_wait -1
	s_and_saveexec_b32 s51, s10
	s_cbranch_execz .LBB33_875
; %bb.874:                              ;   in Loop: Header=BB33_3 Depth=1
	ds_load_b64 v[0:1], v9 offset:28088
	v_mov_b32_e32 v2, v9
	ds_store_b64 v9, v[30:31] offset:28080
	s_wait_dscnt 0x1
	ds_store_b128 v9, v[0:3] offset:28592
.LBB33_875:                             ;   in Loop: Header=BB33_3 Depth=1
	s_or_b32 exec_lo, exec_lo, s51
	v_mov_b64_e32 v[0:1], 0
	s_wait_dscnt 0x0
	s_barrier_signal -1
	s_barrier_wait -1
	s_and_saveexec_b32 s61, s3
	s_cbranch_execz .LBB33_885
; %bb.876:                              ;   in Loop: Header=BB33_3 Depth=1
	ds_load_b64 v[0:1], v72 offset:25024
	ds_load_b64 v[44:45], v58 offset:24960
	s_wait_dscnt 0x0
	v_fma_f64 v[0:1], v[0:1], v[44:45], 0
	s_and_saveexec_b32 s51, s14
	s_cbranch_execnz .LBB33_1109
; %bb.877:                              ;   in Loop: Header=BB33_3 Depth=1
	s_or_b32 exec_lo, exec_lo, s51
	s_and_saveexec_b32 s51, s15
	s_cbranch_execnz .LBB33_1110
.LBB33_878:                             ;   in Loop: Header=BB33_3 Depth=1
	s_or_b32 exec_lo, exec_lo, s51
	s_and_saveexec_b32 s51, s16
	s_cbranch_execnz .LBB33_1111
.LBB33_879:                             ;   in Loop: Header=BB33_3 Depth=1
	s_or_b32 exec_lo, exec_lo, s51
	s_and_saveexec_b32 s51, s17
	s_cbranch_execnz .LBB33_1112
.LBB33_880:                             ;   in Loop: Header=BB33_3 Depth=1
	s_or_b32 exec_lo, exec_lo, s51
	s_and_saveexec_b32 s51, s18
	s_cbranch_execnz .LBB33_1113
.LBB33_881:                             ;   in Loop: Header=BB33_3 Depth=1
	s_or_b32 exec_lo, exec_lo, s51
	s_and_saveexec_b32 s51, s2
	s_cbranch_execnz .LBB33_1114
.LBB33_882:                             ;   in Loop: Header=BB33_3 Depth=1
	s_or_b32 exec_lo, exec_lo, s51
	s_and_saveexec_b32 s51, s13
	s_cbranch_execz .LBB33_884
.LBB33_883:                             ;   in Loop: Header=BB33_3 Depth=1
	ds_load_b64 v[44:45], v52 offset:28608
	ds_load_b64 v[46:47], v9 offset:25016
	s_wait_dscnt 0x0
	v_fmac_f64_e32 v[0:1], v[44:45], v[46:47]
.LBB33_884:                             ;   in Loop: Header=BB33_3 Depth=1
	s_or_b32 exec_lo, exec_lo, s51
	s_delay_alu instid0(VALU_DEP_1)
	v_xor_b32_e32 v1, 0x80000000, v1
.LBB33_885:                             ;   in Loop: Header=BB33_3 Depth=1
	s_or_b32 exec_lo, exec_lo, s61
	s_and_saveexec_b32 s51, s102
; %bb.886:                              ;   in Loop: Header=BB33_3 Depth=1
	ds_store_b64 v71, v[0:1]
; %bb.887:                              ;   in Loop: Header=BB33_3 Depth=1
	s_or_b32 exec_lo, exec_lo, s51
	s_wait_dscnt 0x0
	s_barrier_signal -1
	s_barrier_wait -1
	s_and_saveexec_b32 s51, s103
	s_cbranch_execz .LBB33_889
; %bb.888:                              ;   in Loop: Header=BB33_3 Depth=1
	ds_load_b64 v[44:45], v67 offset:29120
	ds_load_b64 v[46:47], v71
	s_wait_dscnt 0x0
	v_fmac_f64_e32 v[0:1], v[44:45], v[46:47]
.LBB33_889:                             ;   in Loop: Header=BB33_3 Depth=1
	s_or_b32 exec_lo, exec_lo, s51
	s_barrier_signal -1
	s_barrier_wait -1
	s_and_saveexec_b32 s51, s104
; %bb.890:                              ;   in Loop: Header=BB33_3 Depth=1
	ds_store_b64 v71, v[0:1]
; %bb.891:                              ;   in Loop: Header=BB33_3 Depth=1
	s_or_b32 exec_lo, exec_lo, s51
	s_wait_dscnt 0x0
	s_barrier_signal -1
	s_barrier_wait -1
	s_and_saveexec_b32 s51, vcc_hi
	s_cbranch_execz .LBB33_893
; %bb.892:                              ;   in Loop: Header=BB33_3 Depth=1
	ds_load_b64 v[44:45], v67 offset:29632
	ds_load_b64 v[46:47], v71
	s_wait_dscnt 0x0
	v_fmac_f64_e32 v[0:1], v[44:45], v[46:47]
.LBB33_893:                             ;   in Loop: Header=BB33_3 Depth=1
	s_or_b32 exec_lo, exec_lo, s51
	s_barrier_signal -1
	s_barrier_wait -1
	s_and_saveexec_b32 s51, s31
; %bb.894:                              ;   in Loop: Header=BB33_3 Depth=1
	ds_store_b64 v71, v[0:1]
; %bb.895:                              ;   in Loop: Header=BB33_3 Depth=1
	s_or_b32 exec_lo, exec_lo, s51
	s_wait_dscnt 0x0
	s_barrier_signal -1
	s_barrier_wait -1
	s_and_saveexec_b32 s51, s33
	s_cbranch_execz .LBB33_897
; %bb.896:                              ;   in Loop: Header=BB33_3 Depth=1
	ds_load_b64 v[44:45], v67 offset:30144
	ds_load_b64 v[46:47], v71
	s_wait_dscnt 0x0
	v_fmac_f64_e32 v[0:1], v[44:45], v[46:47]
.LBB33_897:                             ;   in Loop: Header=BB33_3 Depth=1
	s_or_b32 exec_lo, exec_lo, s51
	s_barrier_signal -1
	s_barrier_wait -1
	s_and_saveexec_b32 s51, s34
; %bb.898:                              ;   in Loop: Header=BB33_3 Depth=1
	ds_store_b64 v71, v[0:1]
; %bb.899:                              ;   in Loop: Header=BB33_3 Depth=1
	s_or_b32 exec_lo, exec_lo, s51
	s_wait_dscnt 0x0
	s_barrier_signal -1
	s_barrier_wait -1
	s_and_saveexec_b32 s51, s35
	;; [unrolled: 19-line block ×5, first 2 shown]
	s_cbranch_execz .LBB33_913
; %bb.912:                              ;   in Loop: Header=BB33_3 Depth=1
	ds_load_b64 v[44:45], v9 offset:32248
	ds_load_b64 v[46:47], v71
	s_wait_dscnt 0x0
	v_fmac_f64_e32 v[0:1], v[44:45], v[46:47]
.LBB33_913:                             ;   in Loop: Header=BB33_3 Depth=1
	s_or_b32 exec_lo, exec_lo, s51
	s_barrier_signal -1
	s_barrier_wait -1
	s_and_saveexec_b32 s51, s41
; %bb.914:                              ;   in Loop: Header=BB33_3 Depth=1
	ds_store_b64 v71, v[0:1]
; %bb.915:                              ;   in Loop: Header=BB33_3 Depth=1
	s_or_b32 exec_lo, exec_lo, s51
	s_wait_dscnt 0x0
	s_barrier_signal -1
	s_barrier_wait -1
	s_barrier_signal -1
	s_barrier_wait -1
	s_and_saveexec_b32 s51, s3
; %bb.916:                              ;   in Loop: Header=BB33_3 Depth=1
	v_xor_b32_e32 v1, 0x80000000, v1
	ds_store_b64 v72, v[0:1] offset:25024
; %bb.917:                              ;   in Loop: Header=BB33_3 Depth=1
	s_or_b32 exec_lo, exec_lo, s51
	s_wait_dscnt 0x0
	s_barrier_signal -1
	s_barrier_wait -1
	s_barrier_signal -1
	s_barrier_wait -1
	s_and_saveexec_b32 s51, s42
	s_cbranch_execz .LBB33_919
; %bb.918:                              ;   in Loop: Header=BB33_3 Depth=1
	ds_load_b64 v[0:1], v53 offset:25024
	s_wait_dscnt 0x0
	ds_store_b64 v54, v[0:1] offset:29056
	ds_load_b64 v[0:1], v53 offset:25032
	s_wait_dscnt 0x0
	ds_store_b64 v54, v[0:1] offset:29568
	;; [unrolled: 3-line block ×8, first 2 shown]
.LBB33_919:                             ;   in Loop: Header=BB33_3 Depth=1
	s_or_b32 exec_lo, exec_lo, s51
	s_wait_dscnt 0x0
	s_barrier_signal -1
	s_barrier_wait -1
	s_and_saveexec_b32 s51, s10
	s_cbranch_execz .LBB33_921
; %bb.920:                              ;   in Loop: Header=BB33_3 Depth=1
	ds_load_b64 v[0:1], v9 offset:29128
	v_mov_b32_e32 v2, v9
	ds_store_b64 v9, v[30:31] offset:29120
	s_wait_dscnt 0x1
	ds_store_b128 v9, v[0:3] offset:29632
.LBB33_921:                             ;   in Loop: Header=BB33_3 Depth=1
	s_or_b32 exec_lo, exec_lo, s51
	v_mov_b64_e32 v[0:1], 0
	s_wait_dscnt 0x0
	s_barrier_signal -1
	s_barrier_wait -1
	s_and_saveexec_b32 s51, s0
	s_cbranch_execz .LBB33_925
; %bb.922:                              ;   in Loop: Header=BB33_3 Depth=1
	ds_load_b64 v[0:1], v64 offset:29136
	ds_load_b64 v[44:45], v65 offset:29120
	s_wait_dscnt 0x0
	v_fma_f64 v[0:1], v[0:1], v[44:45], 0
	s_and_saveexec_b32 s52, s11
	s_cbranch_execz .LBB33_924
; %bb.923:                              ;   in Loop: Header=BB33_3 Depth=1
	ds_load_b64 v[44:45], v54 offset:29648
	ds_load_b64 v[46:47], v9 offset:29128
	s_wait_dscnt 0x0
	v_fmac_f64_e32 v[0:1], v[44:45], v[46:47]
.LBB33_924:                             ;   in Loop: Header=BB33_3 Depth=1
	s_or_b32 exec_lo, exec_lo, s52
	s_delay_alu instid0(VALU_DEP_1)
	v_xor_b32_e32 v1, 0x80000000, v1
.LBB33_925:                             ;   in Loop: Header=BB33_3 Depth=1
	s_or_b32 exec_lo, exec_lo, s51
	s_and_saveexec_b32 s51, s92
; %bb.926:                              ;   in Loop: Header=BB33_3 Depth=1
	ds_store_b64 v56, v[0:1]
; %bb.927:                              ;   in Loop: Header=BB33_3 Depth=1
	s_or_b32 exec_lo, exec_lo, s51
	s_wait_dscnt 0x0
	s_barrier_signal -1
	s_barrier_wait -1
	s_and_saveexec_b32 s51, s93
	s_cbranch_execz .LBB33_929
; %bb.928:                              ;   in Loop: Header=BB33_3 Depth=1
	ds_load_b64 v[44:45], v9 offset:30168
	ds_load_b64 v[46:47], v56
	s_wait_dscnt 0x0
	v_fmac_f64_e32 v[0:1], v[44:45], v[46:47]
.LBB33_929:                             ;   in Loop: Header=BB33_3 Depth=1
	s_or_b32 exec_lo, exec_lo, s51
	s_barrier_signal -1
	s_barrier_wait -1
	s_and_saveexec_b32 s51, s93
; %bb.930:                              ;   in Loop: Header=BB33_3 Depth=1
	ds_store_b64 v56, v[0:1]
; %bb.931:                              ;   in Loop: Header=BB33_3 Depth=1
	s_or_b32 exec_lo, exec_lo, s51
	s_wait_dscnt 0x0
	s_barrier_signal -1
	s_barrier_wait -1
	s_barrier_signal -1
	s_barrier_wait -1
	s_and_saveexec_b32 s51, s0
; %bb.932:                              ;   in Loop: Header=BB33_3 Depth=1
	v_xor_b32_e32 v1, 0x80000000, v1
	ds_store_b64 v64, v[0:1] offset:29136
; %bb.933:                              ;   in Loop: Header=BB33_3 Depth=1
	s_or_b32 exec_lo, exec_lo, s51
	s_wait_dscnt 0x0
	s_barrier_signal -1
	s_barrier_wait -1
	s_barrier_signal -1
	s_barrier_wait -1
	s_and_saveexec_b32 s51, s94
	s_cbranch_execz .LBB33_935
; %bb.934:                              ;   in Loop: Header=BB33_3 Depth=1
	ds_load_b64 v[0:1], v57 offset:29136
	s_wait_dscnt 0x0
	ds_store_b64 v54, v[0:1] offset:30144
	ds_load_b64 v[0:1], v57 offset:29144
	s_wait_dscnt 0x0
	ds_store_b64 v54, v[0:1] offset:30656
.LBB33_935:                             ;   in Loop: Header=BB33_3 Depth=1
	s_or_b32 exec_lo, exec_lo, s51
	s_wait_dscnt 0x0
	s_barrier_signal -1
	s_barrier_wait -1
	s_and_saveexec_b32 s51, s10
	s_cbranch_execz .LBB33_937
; %bb.936:                              ;   in Loop: Header=BB33_3 Depth=1
	ds_load_b64 v[0:1], v9 offset:30168
	v_mov_b32_e32 v2, v9
	ds_store_b64 v9, v[30:31] offset:30160
	s_wait_dscnt 0x1
	ds_store_b128 v9, v[0:3] offset:30672
.LBB33_937:                             ;   in Loop: Header=BB33_3 Depth=1
	s_or_b32 exec_lo, exec_lo, s51
	v_mov_b64_e32 v[0:1], 0
	s_wait_dscnt 0x0
	s_barrier_signal -1
	s_barrier_wait -1
	s_and_saveexec_b32 s61, s2
	s_cbranch_execz .LBB33_943
; %bb.938:                              ;   in Loop: Header=BB33_3 Depth=1
	ds_load_b64 v[0:1], v68 offset:29152
	ds_load_b64 v[44:45], v55 offset:29120
	s_wait_dscnt 0x0
	v_fma_f64 v[0:1], v[0:1], v[44:45], 0
	s_and_saveexec_b32 s51, s12
	s_cbranch_execnz .LBB33_1115
; %bb.939:                              ;   in Loop: Header=BB33_3 Depth=1
	s_or_b32 exec_lo, exec_lo, s51
	s_and_saveexec_b32 s51, s13
	s_cbranch_execnz .LBB33_1116
.LBB33_940:                             ;   in Loop: Header=BB33_3 Depth=1
	s_or_b32 exec_lo, exec_lo, s51
	s_and_saveexec_b32 s51, s0
	s_cbranch_execz .LBB33_942
.LBB33_941:                             ;   in Loop: Header=BB33_3 Depth=1
	ds_load_b64 v[44:45], v59 offset:30688
	ds_load_b64 v[46:47], v9 offset:29144
	s_wait_dscnt 0x0
	v_fmac_f64_e32 v[0:1], v[44:45], v[46:47]
.LBB33_942:                             ;   in Loop: Header=BB33_3 Depth=1
	s_or_b32 exec_lo, exec_lo, s51
	s_delay_alu instid0(VALU_DEP_1)
	v_xor_b32_e32 v1, 0x80000000, v1
.LBB33_943:                             ;   in Loop: Header=BB33_3 Depth=1
	s_or_b32 exec_lo, exec_lo, s61
	s_and_saveexec_b32 s51, s95
; %bb.944:                              ;   in Loop: Header=BB33_3 Depth=1
	ds_store_b64 v66, v[0:1]
; %bb.945:                              ;   in Loop: Header=BB33_3 Depth=1
	s_or_b32 exec_lo, exec_lo, s51
	s_wait_dscnt 0x0
	s_barrier_signal -1
	s_barrier_wait -1
	s_and_saveexec_b32 s51, s96
	s_cbranch_execz .LBB33_947
; %bb.946:                              ;   in Loop: Header=BB33_3 Depth=1
	ds_load_b64 v[44:45], v63 offset:31200
	ds_load_b64 v[46:47], v66
	s_wait_dscnt 0x0
	v_fmac_f64_e32 v[0:1], v[44:45], v[46:47]
.LBB33_947:                             ;   in Loop: Header=BB33_3 Depth=1
	s_or_b32 exec_lo, exec_lo, s51
	s_barrier_signal -1
	s_barrier_wait -1
	s_and_saveexec_b32 s51, s97
; %bb.948:                              ;   in Loop: Header=BB33_3 Depth=1
	ds_store_b64 v66, v[0:1]
; %bb.949:                              ;   in Loop: Header=BB33_3 Depth=1
	s_or_b32 exec_lo, exec_lo, s51
	s_wait_dscnt 0x0
	s_barrier_signal -1
	s_barrier_wait -1
	s_and_saveexec_b32 s51, s98
	s_cbranch_execz .LBB33_951
; %bb.950:                              ;   in Loop: Header=BB33_3 Depth=1
	ds_load_b64 v[44:45], v63 offset:31712
	ds_load_b64 v[46:47], v66
	s_wait_dscnt 0x0
	v_fmac_f64_e32 v[0:1], v[44:45], v[46:47]
.LBB33_951:                             ;   in Loop: Header=BB33_3 Depth=1
	s_or_b32 exec_lo, exec_lo, s51
	s_barrier_signal -1
	s_barrier_wait -1
	;; [unrolled: 19-line block ×3, first 2 shown]
	s_and_saveexec_b32 s51, s100
; %bb.956:                              ;   in Loop: Header=BB33_3 Depth=1
	ds_store_b64 v66, v[0:1]
; %bb.957:                              ;   in Loop: Header=BB33_3 Depth=1
	s_or_b32 exec_lo, exec_lo, s51
	s_wait_dscnt 0x0
	s_barrier_signal -1
	s_barrier_wait -1
	s_barrier_signal -1
	s_barrier_wait -1
	s_and_saveexec_b32 s51, s2
; %bb.958:                              ;   in Loop: Header=BB33_3 Depth=1
	v_xor_b32_e32 v1, 0x80000000, v1
	ds_store_b64 v68, v[0:1] offset:29152
; %bb.959:                              ;   in Loop: Header=BB33_3 Depth=1
	s_or_b32 exec_lo, exec_lo, s51
	s_wait_dscnt 0x0
	s_barrier_signal -1
	s_barrier_wait -1
	s_barrier_signal -1
	s_barrier_wait -1
	s_and_saveexec_b32 s51, s101
	s_cbranch_execz .LBB33_961
; %bb.960:                              ;   in Loop: Header=BB33_3 Depth=1
	ds_load_b64 v[0:1], v61 offset:29152
	s_wait_dscnt 0x0
	ds_store_b64 v79, v[0:1] offset:31168
	ds_load_b64 v[0:1], v61 offset:29160
	s_wait_dscnt 0x0
	ds_store_b64 v79, v[0:1] offset:31680
	;; [unrolled: 3-line block ×4, first 2 shown]
.LBB33_961:                             ;   in Loop: Header=BB33_3 Depth=1
	s_or_b32 exec_lo, exec_lo, s51
	s_wait_dscnt 0x0
	s_barrier_signal -1
	s_barrier_wait -1
	s_and_saveexec_b32 s51, s10
	s_cbranch_execz .LBB33_963
; %bb.962:                              ;   in Loop: Header=BB33_3 Depth=1
	ds_load_b64 v[0:1], v9 offset:31208
	v_mov_b32_e32 v2, v9
	ds_store_b64 v9, v[30:31] offset:31200
	s_wait_dscnt 0x1
	ds_store_b128 v9, v[0:3] offset:31712
.LBB33_963:                             ;   in Loop: Header=BB33_3 Depth=1
	s_or_b32 exec_lo, exec_lo, s51
	v_mov_b64_e32 v[0:1], 0
	s_wait_dscnt 0x0
	s_barrier_signal -1
	s_barrier_wait -1
	s_and_saveexec_b32 s51, s0
	s_cbranch_execz .LBB33_967
; %bb.964:                              ;   in Loop: Header=BB33_3 Depth=1
	ds_load_b64 v[0:1], v64 offset:31216
	ds_load_b64 v[44:45], v65 offset:31200
	s_wait_dscnt 0x0
	v_fma_f64 v[0:1], v[0:1], v[44:45], 0
	s_and_saveexec_b32 s52, s11
	s_cbranch_execz .LBB33_966
; %bb.965:                              ;   in Loop: Header=BB33_3 Depth=1
	ds_load_b64 v[44:45], v79 offset:31728
	ds_load_b64 v[46:47], v9 offset:31208
	s_wait_dscnt 0x0
	v_fmac_f64_e32 v[0:1], v[44:45], v[46:47]
.LBB33_966:                             ;   in Loop: Header=BB33_3 Depth=1
	s_or_b32 exec_lo, exec_lo, s52
	s_delay_alu instid0(VALU_DEP_1)
	v_xor_b32_e32 v1, 0x80000000, v1
.LBB33_967:                             ;   in Loop: Header=BB33_3 Depth=1
	s_or_b32 exec_lo, exec_lo, s51
	s_and_saveexec_b32 s51, s92
; %bb.968:                              ;   in Loop: Header=BB33_3 Depth=1
	ds_store_b64 v56, v[0:1]
; %bb.969:                              ;   in Loop: Header=BB33_3 Depth=1
	s_or_b32 exec_lo, exec_lo, s51
	s_wait_dscnt 0x0
	s_barrier_signal -1
	s_barrier_wait -1
	s_and_saveexec_b32 s51, s93
	s_cbranch_execz .LBB33_971
; %bb.970:                              ;   in Loop: Header=BB33_3 Depth=1
	ds_load_b64 v[44:45], v9 offset:32248
	ds_load_b64 v[46:47], v56
	s_wait_dscnt 0x0
	v_fmac_f64_e32 v[0:1], v[44:45], v[46:47]
.LBB33_971:                             ;   in Loop: Header=BB33_3 Depth=1
	s_or_b32 exec_lo, exec_lo, s51
	s_barrier_signal -1
	s_barrier_wait -1
	s_and_saveexec_b32 s51, s93
; %bb.972:                              ;   in Loop: Header=BB33_3 Depth=1
	ds_store_b64 v56, v[0:1]
; %bb.973:                              ;   in Loop: Header=BB33_3 Depth=1
	s_or_b32 exec_lo, exec_lo, s51
	s_wait_dscnt 0x0
	s_barrier_signal -1
	s_barrier_wait -1
	s_barrier_signal -1
	s_barrier_wait -1
	s_and_saveexec_b32 s51, s0
; %bb.974:                              ;   in Loop: Header=BB33_3 Depth=1
	v_xor_b32_e32 v1, 0x80000000, v1
	ds_store_b64 v64, v[0:1] offset:31216
; %bb.975:                              ;   in Loop: Header=BB33_3 Depth=1
	s_or_b32 exec_lo, exec_lo, s51
	s_wait_dscnt 0x0
	s_barrier_signal -1
	s_barrier_wait -1
	s_barrier_signal -1
	s_barrier_wait -1
	s_and_saveexec_b32 s51, s94
	s_cbranch_execz .LBB33_977
; %bb.976:                              ;   in Loop: Header=BB33_3 Depth=1
	ds_load_b64 v[0:1], v80 offset:31216
	s_wait_dscnt 0x0
	ds_store_b64 v79, v[0:1] offset:32224
	ds_load_b64 v[0:1], v80 offset:31224
	s_wait_dscnt 0x0
	ds_store_b64 v79, v[0:1] offset:32736
.LBB33_977:                             ;   in Loop: Header=BB33_3 Depth=1
	s_or_b32 exec_lo, exec_lo, s51
	s_wait_dscnt 0x0
	s_barrier_signal -1
	s_barrier_wait -1
	s_and_saveexec_b32 s51, s10
	s_cbranch_execz .LBB33_979
; %bb.978:                              ;   in Loop: Header=BB33_3 Depth=1
	ds_load_b64 v[0:1], v9 offset:32248
	v_mov_b32_e32 v2, v9
	ds_store_b64 v9, v[30:31] offset:32240
	s_wait_dscnt 0x1
	ds_store_b128 v9, v[0:3] offset:32752
.LBB33_979:                             ;   in Loop: Header=BB33_3 Depth=1
	s_or_b32 exec_lo, exec_lo, s51
.LBB33_980:                             ;   in Loop: Header=BB33_3 Depth=1
	v_mov_b64_e32 v[0:1], 0
	s_mul_u64 s[52:53], s[72:73], s[76:77]
	s_wait_dscnt 0x0
	s_lshl_b64 s[52:53], s[52:53], 3
	s_barrier_signal -1
	s_add_nc_u64 s[82:83], s[66:67], s[52:53]
	s_barrier_wait -1
	s_and_saveexec_b32 s51, s49
	s_cbranch_execz .LBB33_982
; %bb.981:                              ;   in Loop: Header=BB33_3 Depth=1
	v_lshl_add_u64 v[0:1], v[18:19], 3, s[82:83]
	global_load_b64 v[0:1], v[0:1], off
	s_wait_loadcnt 0x0
	v_mul_f64_e64 v[0:1], v[0:1], -v[42:43]
.LBB33_982:                             ;   in Loop: Header=BB33_3 Depth=1
	s_or_b32 exec_lo, exec_lo, s51
	s_delay_alu instid0(SALU_CYCLE_1)
	s_and_not1_b32 vcc_lo, exec_lo, s50
	s_cbranch_vccnz .LBB33_1008
; %bb.983:                              ;   in Loop: Header=BB33_3 Depth=1
	v_mov_b32_e32 v2, -1
	s_lshl_b64 s[52:53], s[76:77], 2
	s_mov_b32 s61, 0
	s_add_nc_u64 s[84:85], s[74:75], s[52:53]
	s_branch .LBB33_986
.LBB33_984:                             ;   in Loop: Header=BB33_986 Depth=2
	s_wait_xcnt 0x0
	ds_load_b64 v[42:43], v86 offset:384
	s_wait_loadcnt_dscnt 0x0
	v_fmac_f64_e32 v[0:1], v[44:45], v[42:43]
.LBB33_985:                             ;   in Loop: Header=BB33_986 Depth=2
	s_or_b32 exec_lo, exec_lo, s51
	s_add_co_i32 s61, s61, 1
	s_delay_alu instid0(SALU_CYCLE_1)
	s_cmp_eq_u32 s61, s87
	s_cbranch_scc1 .LBB33_1008
.LBB33_986:                             ;   Parent Loop BB33_3 Depth=1
                                        ; =>  This Loop Header: Depth=2
                                        ;       Child Loop BB33_988 Depth 3
	v_cmp_gt_i32_e32 vcc_lo, s61, v2
	s_and_b32 s52, s55, vcc_lo
	s_delay_alu instid0(SALU_CYCLE_1)
	s_and_saveexec_b32 s51, s52
	s_cbranch_execz .LBB33_989
; %bb.987:                              ;   in Loop: Header=BB33_986 Depth=2
	global_load_b32 v2, v9, s[84:85]
	s_wait_loadcnt 0x0
	v_cmp_le_i32_e32 vcc_lo, s61, v2
	s_cbranch_vccnz .LBB33_989
.LBB33_988:                             ;   Parent Loop BB33_3 Depth=1
                                        ;     Parent Loop BB33_986 Depth=2
                                        ; =>    This Inner Loop Header: Depth=3
	global_wb scope:SCOPE_DEV
	s_wait_storecnt 0x0
	global_inv scope:SCOPE_DEV
	global_load_b32 v2, v9, s[84:85]
	s_wait_loadcnt 0x0
	v_cmp_gt_i32_e32 vcc_lo, s61, v2
	s_cbranch_vccnz .LBB33_988
.LBB33_989:                             ;   in Loop: Header=BB33_986 Depth=2
	s_or_b32 exec_lo, exec_lo, s51
	s_sub_co_i32 s60, s88, s61
	global_wb scope:SCOPE_DEV
	s_wait_storecnt 0x0
	global_inv scope:SCOPE_DEV
	s_lshl_b32 s51, s60, 6
	s_wait_loadcnt 0x0
	s_barrier_signal -1
	s_barrier_wait -1
	s_and_saveexec_b32 s52, s56
	s_cbranch_execz .LBB33_993
; %bb.990:                              ;   in Loop: Header=BB33_986 Depth=2
	s_ashr_i32 s53, s51, 31
	v_mov_b64_e32 v[44:45], 0
	v_dual_mov_b32 v43, s53 :: v_dual_bitop2_b32 v42, s51, v10 bitop3:0x54
	s_mov_b32 s53, exec_lo
	s_delay_alu instid0(VALU_DEP_1)
	v_cmpx_gt_i64_e64 s[78:79], v[42:43]
	s_cbranch_execz .LBB33_992
; %bb.991:                              ;   in Loop: Header=BB33_986 Depth=2
	v_mul_u64_e32 v[42:43], s[70:71], v[42:43]
	s_delay_alu instid0(VALU_DEP_1)
	v_lshl_add_u64 v[42:43], v[42:43], 3, s[82:83]
	global_load_b64 v[44:45], v[42:43], off
.LBB33_992:                             ;   in Loop: Header=BB33_986 Depth=2
	s_wait_xcnt 0x0
	s_or_b32 exec_lo, exec_lo, s53
	s_wait_loadcnt 0x0
	ds_store_b64 v91, v[44:45]
.LBB33_993:                             ;   in Loop: Header=BB33_986 Depth=2
	s_or_b32 exec_lo, exec_lo, s52
	v_add_nc_u32_e32 v44, s51, v4
	s_cmp_lg_u32 s60, s57
	s_wait_dscnt 0x0
	s_cselect_b32 s52, -1, 0
	s_barrier_signal -1
	v_ashrrev_i32_e32 v45, 31, v44
	v_cmp_gt_i32_e32 vcc_lo, s78, v44
	v_cndmask_b32_e64 v5, 0, 1, s52
	s_barrier_wait -1
	s_delay_alu instid0(VALU_DEP_3) | instskip(SKIP_1) | instid1(SALU_CYCLE_1)
	v_lshl_add_u64 v[42:43], v[44:45], 3, v[40:41]
	s_and_b32 s53, vcc_lo, s5
	s_and_saveexec_b32 s51, s53
	s_cbranch_execz .LBB33_997
; %bb.994:                              ;   in Loop: Header=BB33_986 Depth=2
	v_mov_b64_e32 v[46:47], v[32:33]
	s_and_not1_b32 vcc_lo, exec_lo, s52
	s_cbranch_vccnz .LBB33_996
; %bb.995:                              ;   in Loop: Header=BB33_986 Depth=2
	global_load_b64 v[46:47], v[42:43], off
.LBB33_996:                             ;   in Loop: Header=BB33_986 Depth=2
	ds_load_b64 v[98:99], v86
	s_wait_loadcnt_dscnt 0x0
	v_fmac_f64_e32 v[0:1], v[46:47], v[98:99]
.LBB33_997:                             ;   in Loop: Header=BB33_986 Depth=2
	s_or_b32 exec_lo, exec_lo, s51
	v_add_nc_u32_e32 v45, 16, v44
	s_delay_alu instid0(VALU_DEP_1) | instskip(SKIP_1) | instid1(SALU_CYCLE_1)
	v_cmp_gt_i32_e32 vcc_lo, s78, v45
	s_and_b32 s52, vcc_lo, s5
	s_and_saveexec_b32 s51, s52
	s_cbranch_execz .LBB33_1001
; %bb.998:                              ;   in Loop: Header=BB33_986 Depth=2
	v_cmp_ne_u32_e32 vcc_lo, 1, v5
	v_mov_b64_e32 v[46:47], v[34:35]
	s_cbranch_vccnz .LBB33_1000
; %bb.999:                              ;   in Loop: Header=BB33_986 Depth=2
	global_load_b64 v[46:47], v[42:43], off offset:128
.LBB33_1000:                            ;   in Loop: Header=BB33_986 Depth=2
	ds_load_b64 v[98:99], v86 offset:128
	s_wait_loadcnt_dscnt 0x0
	v_fmac_f64_e32 v[0:1], v[46:47], v[98:99]
.LBB33_1001:                            ;   in Loop: Header=BB33_986 Depth=2
	s_or_b32 exec_lo, exec_lo, s51
	v_add_nc_u32_e32 v45, 32, v44
	s_delay_alu instid0(VALU_DEP_1) | instskip(SKIP_1) | instid1(SALU_CYCLE_1)
	v_cmp_gt_i32_e32 vcc_lo, s78, v45
	s_and_b32 s52, vcc_lo, s5
	s_and_saveexec_b32 s51, s52
	s_cbranch_execz .LBB33_1005
; %bb.1002:                             ;   in Loop: Header=BB33_986 Depth=2
	v_cmp_ne_u32_e32 vcc_lo, 1, v5
	v_mov_b64_e32 v[46:47], v[36:37]
	s_cbranch_vccnz .LBB33_1004
; %bb.1003:                             ;   in Loop: Header=BB33_986 Depth=2
	global_load_b64 v[46:47], v[42:43], off offset:256
.LBB33_1004:                            ;   in Loop: Header=BB33_986 Depth=2
	ds_load_b64 v[98:99], v86 offset:256
	s_wait_loadcnt_dscnt 0x0
	v_fmac_f64_e32 v[0:1], v[46:47], v[98:99]
.LBB33_1005:                            ;   in Loop: Header=BB33_986 Depth=2
	s_or_b32 exec_lo, exec_lo, s51
	v_add_nc_u32_e32 v44, 48, v44
	s_delay_alu instid0(VALU_DEP_1) | instskip(SKIP_1) | instid1(SALU_CYCLE_1)
	v_cmp_gt_i32_e32 vcc_lo, s78, v44
	s_and_b32 s52, vcc_lo, s5
	s_and_saveexec_b32 s51, s52
	s_cbranch_execz .LBB33_985
; %bb.1006:                             ;   in Loop: Header=BB33_986 Depth=2
	v_cmp_ne_u32_e32 vcc_lo, 1, v5
	v_mov_b64_e32 v[44:45], v[38:39]
	s_cbranch_vccnz .LBB33_984
; %bb.1007:                             ;   in Loop: Header=BB33_986 Depth=2
	global_load_b64 v[44:45], v[42:43], off offset:384
	s_branch .LBB33_984
.LBB33_1008:                            ;   in Loop: Header=BB33_3 Depth=1
	ds_store_b64 v92, v[0:1]
	s_wait_dscnt 0x0
	s_barrier_signal -1
	s_barrier_wait -1
	s_and_saveexec_b32 s61, s1
	s_cbranch_execz .LBB33_1010
; %bb.1009:                             ;   in Loop: Header=BB33_3 Depth=1
	ds_load_2addr_stride64_b64 v[40:43], v93 offset0:1 offset1:2
	ds_load_2addr_stride64_b64 v[44:47], v93 offset0:3 offset1:4
	s_wait_dscnt 0x1
	v_add_f64_e32 v[0:1], v[0:1], v[40:41]
	s_delay_alu instid0(VALU_DEP_1) | instskip(SKIP_1) | instid1(VALU_DEP_1)
	v_add_f64_e32 v[0:1], v[0:1], v[42:43]
	s_wait_dscnt 0x0
	v_add_f64_e32 v[0:1], v[0:1], v[44:45]
	s_delay_alu instid0(VALU_DEP_1) | instskip(SKIP_4) | instid1(VALU_DEP_1)
	v_add_f64_e32 v[0:1], v[0:1], v[46:47]
	ds_load_2addr_stride64_b64 v[40:43], v93 offset0:5 offset1:6
	ds_load_2addr_stride64_b64 v[44:47], v93 offset0:7 offset1:8
	s_wait_dscnt 0x1
	v_add_f64_e32 v[0:1], v[0:1], v[40:41]
	v_add_f64_e32 v[0:1], v[0:1], v[42:43]
	s_wait_dscnt 0x0
	s_delay_alu instid0(VALU_DEP_1) | instskip(NEXT) | instid1(VALU_DEP_1)
	v_add_f64_e32 v[0:1], v[0:1], v[44:45]
	v_add_f64_e32 v[0:1], v[0:1], v[46:47]
	ds_load_2addr_stride64_b64 v[40:43], v93 offset0:9 offset1:10
	ds_load_2addr_stride64_b64 v[44:47], v93 offset0:11 offset1:12
	s_wait_dscnt 0x1
	v_add_f64_e32 v[0:1], v[0:1], v[40:41]
	s_delay_alu instid0(VALU_DEP_1) | instskip(SKIP_1) | instid1(VALU_DEP_1)
	v_add_f64_e32 v[0:1], v[0:1], v[42:43]
	s_wait_dscnt 0x0
	v_add_f64_e32 v[0:1], v[0:1], v[44:45]
	ds_load_2addr_stride64_b64 v[40:43], v93 offset0:13 offset1:14
	ds_load_b64 v[44:45], v93 offset:7680
	v_add_f64_e32 v[0:1], v[0:1], v[46:47]
	s_wait_dscnt 0x1
	s_delay_alu instid0(VALU_DEP_1) | instskip(NEXT) | instid1(VALU_DEP_1)
	v_add_f64_e32 v[0:1], v[0:1], v[40:41]
	v_add_f64_e32 v[0:1], v[0:1], v[42:43]
	s_wait_dscnt 0x0
	s_delay_alu instid0(VALU_DEP_1) | instskip(NEXT) | instid1(VALU_DEP_1)
	v_add_f64_e32 v[0:1], v[0:1], v[44:45]
	v_xor_b32_e32 v1, 0x80000000, v1
	s_delay_alu instid0(VALU_DEP_2) | instskip(NEXT) | instid1(VALU_DEP_2)
	v_cndmask_b32_e64 v0, v0, 0, s47
	v_cndmask_b32_e64 v1, v1, 0, s47
.LBB33_1010:                            ;   in Loop: Header=BB33_3 Depth=1
	s_or_b32 exec_lo, exec_lo, s61
	s_delay_alu instid0(SALU_CYCLE_1)
	s_and_not1_b32 vcc_lo, exec_lo, s91
	s_cbranch_vccnz .LBB33_1020
; %bb.1011:                             ;   in Loop: Header=BB33_3 Depth=1
	s_and_saveexec_b32 s51, s1
; %bb.1012:                             ;   in Loop: Header=BB33_3 Depth=1
	ds_store_b64 v95, v[0:1]
; %bb.1013:                             ;   in Loop: Header=BB33_3 Depth=1
	s_or_b32 exec_lo, exec_lo, s51
	v_mov_b64_e32 v[40:41], 0
	s_wait_dscnt 0x0
	s_barrier_signal -1
	s_barrier_wait -1
	s_and_saveexec_b32 s51, s6
	s_cbranch_execnz .LBB33_1060
; %bb.1014:                             ;   in Loop: Header=BB33_3 Depth=1
	s_or_b32 exec_lo, exec_lo, s51
	s_and_saveexec_b32 s51, s7
	s_cbranch_execnz .LBB33_1061
.LBB33_1015:                            ;   in Loop: Header=BB33_3 Depth=1
	s_or_b32 exec_lo, exec_lo, s51
	s_and_saveexec_b32 s51, s8
	s_cbranch_execnz .LBB33_1062
.LBB33_1016:                            ;   in Loop: Header=BB33_3 Depth=1
	s_or_b32 exec_lo, exec_lo, s51
	s_and_saveexec_b32 s51, s9
	s_cbranch_execz .LBB33_1018
.LBB33_1017:                            ;   in Loop: Header=BB33_3 Depth=1
	ds_load_b64 v[42:43], v94 offset:24576
	ds_load_b64 v[44:45], v86 offset:384
	s_wait_dscnt 0x0
	v_fmac_f64_e32 v[40:41], v[42:43], v[44:45]
.LBB33_1018:                            ;   in Loop: Header=BB33_3 Depth=1
	s_or_b32 exec_lo, exec_lo, s51
	s_mov_b32 s61, 0
	s_mov_b32 s84, 0
	ds_store_b64 v92, v[40:41]
	s_wait_dscnt 0x0
	s_barrier_signal -1
	s_barrier_wait -1
                                        ; implicit-def: $vgpr42_vgpr43
	s_and_saveexec_b32 s85, s1
	s_cbranch_execz .LBB33_1063
; %bb.1019:                             ;   in Loop: Header=BB33_3 Depth=1
	ds_load_2addr_stride64_b64 v[42:45], v93 offset0:1 offset1:2
	ds_load_2addr_stride64_b64 v[98:101], v93 offset0:3 offset1:4
	s_mov_b32 s84, exec_lo
	s_wait_dscnt 0x1
	v_add_f64_e32 v[40:41], v[40:41], v[42:43]
	s_delay_alu instid0(VALU_DEP_1) | instskip(SKIP_1) | instid1(VALU_DEP_1)
	v_add_f64_e32 v[40:41], v[44:45], v[40:41]
	s_wait_dscnt 0x0
	v_add_f64_e32 v[40:41], v[98:99], v[40:41]
	s_delay_alu instid0(VALU_DEP_1) | instskip(SKIP_4) | instid1(VALU_DEP_1)
	v_add_f64_e32 v[98:99], v[100:101], v[40:41]
	ds_load_2addr_stride64_b64 v[40:43], v93 offset0:5 offset1:6
	ds_load_2addr_stride64_b64 v[44:47], v93 offset0:7 offset1:8
	s_wait_dscnt 0x1
	v_add_f64_e32 v[40:41], v[40:41], v[98:99]
	v_add_f64_e32 v[40:41], v[42:43], v[40:41]
	s_wait_dscnt 0x0
	s_delay_alu instid0(VALU_DEP_1) | instskip(NEXT) | instid1(VALU_DEP_1)
	v_add_f64_e32 v[40:41], v[44:45], v[40:41]
	v_add_f64_e32 v[98:99], v[46:47], v[40:41]
	ds_load_2addr_stride64_b64 v[40:43], v93 offset0:9 offset1:10
	ds_load_2addr_stride64_b64 v[44:47], v93 offset0:11 offset1:12
	s_wait_dscnt 0x1
	v_add_f64_e32 v[40:41], v[40:41], v[98:99]
	s_delay_alu instid0(VALU_DEP_1) | instskip(SKIP_1) | instid1(VALU_DEP_1)
	v_add_f64_e32 v[40:41], v[42:43], v[40:41]
	s_wait_dscnt 0x0
	v_add_f64_e32 v[40:41], v[44:45], v[40:41]
	s_delay_alu instid0(VALU_DEP_1) | instskip(SKIP_4) | instid1(VALU_DEP_1)
	v_add_f64_e32 v[44:45], v[46:47], v[40:41]
	ds_load_2addr_stride64_b64 v[40:43], v93 offset0:13 offset1:14
	ds_load_b64 v[46:47], v93 offset:7680
	s_wait_dscnt 0x1
	v_add_f64_e32 v[40:41], v[40:41], v[44:45]
	v_add_f64_e32 v[40:41], v[42:43], v[40:41]
	s_wait_dscnt 0x0
	s_delay_alu instid0(VALU_DEP_1) | instskip(SKIP_1) | instid1(SALU_CYCLE_1)
	v_add_f64_e32 v[42:43], v[46:47], v[40:41]
	s_or_b32 exec_lo, exec_lo, s85
	s_and_b32 vcc_lo, exec_lo, s61
	s_cbranch_vccnz .LBB33_1021
	s_branch .LBB33_1064
.LBB33_1020:                            ;   in Loop: Header=BB33_3 Depth=1
	s_mov_b32 s84, 0
                                        ; implicit-def: $vgpr42_vgpr43
	s_cbranch_execz .LBB33_1064
.LBB33_1021:                            ;   in Loop: Header=BB33_3 Depth=1
	v_dual_mov_b32 v2, v96 :: v_dual_mov_b32 v5, v89
	s_mov_b32 s61, 63
	s_branch .LBB33_1023
.LBB33_1022:                            ;   in Loop: Header=BB33_1023 Depth=2
	s_or_b32 exec_lo, exec_lo, s51
	v_add_nc_u32_e32 v5, 0xfffff800, v5
	v_add_nc_u32_e32 v2, 4, v2
	s_add_co_i32 s61, s61, -4
	s_cmp_lg_u32 s60, 0
	s_barrier_signal -1
	s_barrier_wait -1
	s_cbranch_scc0 .LBB33_1039
.LBB33_1023:                            ;   Parent Loop BB33_3 Depth=1
                                        ; =>  This Inner Loop Header: Depth=2
	s_delay_alu instid0(VALU_DEP_1) | instskip(SKIP_1) | instid1(SALU_CYCLE_1)
	v_cmp_eq_u32_e32 vcc_lo, 0, v2
	s_and_b32 s52, s1, vcc_lo
	s_and_saveexec_b32 s51, s52
; %bb.1024:                             ;   in Loop: Header=BB33_1023 Depth=2
	ds_store_b64 v9, v[0:1] offset:41472
; %bb.1025:                             ;   in Loop: Header=BB33_1023 Depth=2
	s_or_b32 exec_lo, exec_lo, s51
	v_cmp_gt_u32_e32 vcc_lo, s61, v6
	s_wait_dscnt 0x0
	s_barrier_signal -1
	s_barrier_wait -1
	s_and_b32 s52, s1, vcc_lo
	s_delay_alu instid0(SALU_CYCLE_1)
	s_and_saveexec_b32 s51, s52
	s_cbranch_execz .LBB33_1027
; %bb.1026:                             ;   in Loop: Header=BB33_1023 Depth=2
	ds_load_b64 v[40:41], v5 offset:1536
	ds_load_b64 v[42:43], v9 offset:41472
	s_wait_dscnt 0x0
	v_fmac_f64_e32 v[0:1], v[40:41], v[42:43]
.LBB33_1027:                            ;   in Loop: Header=BB33_1023 Depth=2
	s_or_b32 exec_lo, exec_lo, s51
	s_add_co_i32 s51, s61, -1
	s_delay_alu instid0(SALU_CYCLE_1) | instskip(SKIP_3) | instid1(SALU_CYCLE_1)
	v_cmp_eq_u32_e32 vcc_lo, s51, v6
	s_barrier_signal -1
	s_barrier_wait -1
	s_and_b32 s53, s1, vcc_lo
	s_and_saveexec_b32 s52, s53
; %bb.1028:                             ;   in Loop: Header=BB33_1023 Depth=2
	ds_store_b64 v9, v[0:1] offset:41472
; %bb.1029:                             ;   in Loop: Header=BB33_1023 Depth=2
	s_or_b32 exec_lo, exec_lo, s52
	v_cmp_gt_u32_e32 vcc_lo, s51, v6
	s_wait_dscnt 0x0
	s_barrier_signal -1
	s_barrier_wait -1
	s_and_b32 s52, s1, vcc_lo
	s_delay_alu instid0(SALU_CYCLE_1)
	s_and_saveexec_b32 s51, s52
	s_cbranch_execz .LBB33_1031
; %bb.1030:                             ;   in Loop: Header=BB33_1023 Depth=2
	ds_load_b64 v[40:41], v5 offset:1024
	ds_load_b64 v[42:43], v9 offset:41472
	s_wait_dscnt 0x0
	v_fmac_f64_e32 v[0:1], v[40:41], v[42:43]
.LBB33_1031:                            ;   in Loop: Header=BB33_1023 Depth=2
	s_or_b32 exec_lo, exec_lo, s51
	s_add_co_i32 s51, s61, -2
	s_delay_alu instid0(SALU_CYCLE_1) | instskip(SKIP_3) | instid1(SALU_CYCLE_1)
	v_cmp_eq_u32_e32 vcc_lo, s51, v6
	s_barrier_signal -1
	s_barrier_wait -1
	;; [unrolled: 26-line block ×3, first 2 shown]
	s_and_b32 s52, s1, vcc_lo
	s_and_saveexec_b32 s51, s52
; %bb.1036:                             ;   in Loop: Header=BB33_1023 Depth=2
	ds_store_b64 v9, v[0:1] offset:41472
; %bb.1037:                             ;   in Loop: Header=BB33_1023 Depth=2
	s_or_b32 exec_lo, exec_lo, s51
	v_cmp_gt_u32_e32 vcc_lo, s60, v6
	s_wait_dscnt 0x0
	s_barrier_signal -1
	s_barrier_wait -1
	s_and_b32 s52, s1, vcc_lo
	s_delay_alu instid0(SALU_CYCLE_1)
	s_and_saveexec_b32 s51, s52
	s_cbranch_execz .LBB33_1022
; %bb.1038:                             ;   in Loop: Header=BB33_1023 Depth=2
	ds_load_b64 v[40:41], v5
	ds_load_b64 v[42:43], v9 offset:41472
	s_wait_dscnt 0x0
	v_fmac_f64_e32 v[0:1], v[40:41], v[42:43]
	s_branch .LBB33_1022
.LBB33_1039:                            ;   in Loop: Header=BB33_3 Depth=1
	s_and_b32 vcc_lo, exec_lo, s89
	s_mov_b32 s51, -1
	s_cbranch_vccnz .LBB33_1065
; %bb.1040:                             ;   in Loop: Header=BB33_3 Depth=1
	s_and_not1_b32 vcc_lo, exec_lo, s51
	s_cbranch_vccz .LBB33_1066
.LBB33_1041:                            ;   in Loop: Header=BB33_3 Depth=1
	s_and_saveexec_b32 s51, s84
	s_cbranch_execz .LBB33_1043
.LBB33_1042:                            ;   in Loop: Header=BB33_3 Depth=1
	v_lshl_add_u64 v[40:41], v[14:15], 3, s[82:83]
	global_store_b64 v[40:41], v[0:1], off
.LBB33_1043:                            ;   in Loop: Header=BB33_3 Depth=1
	s_wait_xcnt 0x0
	s_or_b32 exec_lo, exec_lo, s51
	global_wb scope:SCOPE_DEV
	s_wait_storecnt 0x0
	global_inv scope:SCOPE_DEV
	s_wait_loadcnt 0x0
	s_barrier_signal -1
	s_barrier_wait -1
	s_and_saveexec_b32 s51, s55
	s_cbranch_execz .LBB33_2
; %bb.1044:                             ;   in Loop: Header=BB33_3 Depth=1
	s_lshl_b64 s[52:53], s[76:77], 2
	s_delay_alu instid0(SALU_CYCLE_1)
	s_add_nc_u64 s[52:53], s[74:75], s[52:53]
	global_load_b32 v0, v9, s[52:53]
	s_wait_loadcnt 0x0
	v_add_nc_u32_e32 v0, 1, v0
	global_store_b32 v9, v0, s[52:53]
	s_branch .LBB33_2
.LBB33_1045:                            ;   in Loop: Header=BB33_3 Depth=1
	s_mov_b32 s52, exec_lo
	v_readlane_b32 s53, v97, 25
	s_and_b32 s53, s52, s53
	s_delay_alu instid0(SALU_CYCLE_1)
	s_mov_b32 exec_lo, s53
; %bb.1046:                             ;   in Loop: Header=BB33_3 Depth=1
	ds_store_b64 v82, v[28:29]
; %bb.1047:                             ;   in Loop: Header=BB33_3 Depth=1
	s_or_b32 exec_lo, exec_lo, s52
	s_and_not1_saveexec_b32 s51, s51
	s_cbranch_execz .LBB33_16
.LBB33_1048:                            ;   in Loop: Header=BB33_3 Depth=1
	v_lshl_add_u64 v[44:45], v[26:27], 3, v[0:1]
	global_load_b64 v[44:45], v[44:45], off
	s_wait_loadcnt 0x0
	v_xor_b32_e32 v45, 0x80000000, v45
	ds_store_b64 v82, v[44:45]
	s_or_b32 exec_lo, exec_lo, s51
	s_and_saveexec_b32 s51, s7
	s_delay_alu instid0(SALU_CYCLE_1)
	s_xor_b32 s51, exec_lo, s51
	s_cbranch_execz .LBB33_17
.LBB33_1049:                            ;   in Loop: Header=BB33_3 Depth=1
	s_mov_b32 s52, exec_lo
	v_readlane_b32 s53, v97, 26
	s_and_b32 s53, s52, s53
	s_delay_alu instid0(SALU_CYCLE_1)
	s_mov_b32 exec_lo, s53
; %bb.1050:                             ;   in Loop: Header=BB33_3 Depth=1
	ds_store_b64 v83, v[28:29]
; %bb.1051:                             ;   in Loop: Header=BB33_3 Depth=1
	s_or_b32 exec_lo, exec_lo, s52
	s_and_not1_saveexec_b32 s51, s51
	s_cbranch_execz .LBB33_18
.LBB33_1052:                            ;   in Loop: Header=BB33_3 Depth=1
	v_lshl_add_u64 v[44:45], v[24:25], 3, v[0:1]
	global_load_b64 v[44:45], v[44:45], off
	s_wait_loadcnt 0x0
	v_xor_b32_e32 v45, 0x80000000, v45
	ds_store_b64 v83, v[44:45]
	s_or_b32 exec_lo, exec_lo, s51
	s_and_saveexec_b32 s51, s8
	s_delay_alu instid0(SALU_CYCLE_1)
	s_xor_b32 s51, exec_lo, s51
	s_cbranch_execz .LBB33_19
.LBB33_1053:                            ;   in Loop: Header=BB33_3 Depth=1
	s_mov_b32 s52, exec_lo
	v_readlane_b32 s53, v97, 27
	s_and_b32 s53, s52, s53
	s_delay_alu instid0(SALU_CYCLE_1)
	s_mov_b32 exec_lo, s53
; %bb.1054:                             ;   in Loop: Header=BB33_3 Depth=1
	ds_store_b64 v84, v[28:29]
; %bb.1055:                             ;   in Loop: Header=BB33_3 Depth=1
	s_or_b32 exec_lo, exec_lo, s52
	s_and_not1_saveexec_b32 s51, s51
	s_cbranch_execz .LBB33_20
.LBB33_1056:                            ;   in Loop: Header=BB33_3 Depth=1
	v_lshl_add_u64 v[44:45], v[20:21], 3, v[0:1]
	global_load_b64 v[44:45], v[44:45], off
	s_wait_loadcnt 0x0
	v_xor_b32_e32 v45, 0x80000000, v45
	ds_store_b64 v84, v[44:45]
	s_or_b32 exec_lo, exec_lo, s51
	s_and_saveexec_b32 s51, s9
	s_delay_alu instid0(SALU_CYCLE_1)
	s_xor_b32 s51, exec_lo, s51
	s_cbranch_execz .LBB33_21
.LBB33_1057:                            ;   in Loop: Header=BB33_3 Depth=1
	s_mov_b32 s52, exec_lo
	v_readlane_b32 s53, v97, 28
	s_and_b32 s53, s52, s53
	s_delay_alu instid0(SALU_CYCLE_1)
	s_mov_b32 exec_lo, s53
; %bb.1058:                             ;   in Loop: Header=BB33_3 Depth=1
	ds_store_b64 v85, v[28:29]
; %bb.1059:                             ;   in Loop: Header=BB33_3 Depth=1
	s_or_b32 exec_lo, exec_lo, s52
	s_and_not1_saveexec_b32 s51, s51
	s_cbranch_execnz .LBB33_22
	s_branch .LBB33_23
.LBB33_1060:                            ;   in Loop: Header=BB33_3 Depth=1
	ds_load_b64 v[40:41], v94
	ds_load_b64 v[42:43], v86
	s_wait_dscnt 0x0
	v_fma_f64 v[40:41], v[40:41], v[42:43], 0
	s_or_b32 exec_lo, exec_lo, s51
	s_and_saveexec_b32 s51, s7
	s_cbranch_execz .LBB33_1015
.LBB33_1061:                            ;   in Loop: Header=BB33_3 Depth=1
	ds_load_b64 v[42:43], v94 offset:8192
	ds_load_b64 v[44:45], v86 offset:128
	s_wait_dscnt 0x0
	v_fmac_f64_e32 v[40:41], v[42:43], v[44:45]
	s_or_b32 exec_lo, exec_lo, s51
	s_and_saveexec_b32 s51, s8
	s_cbranch_execz .LBB33_1016
.LBB33_1062:                            ;   in Loop: Header=BB33_3 Depth=1
	ds_load_b64 v[42:43], v94 offset:16384
	ds_load_b64 v[44:45], v86 offset:256
	s_wait_dscnt 0x0
	v_fmac_f64_e32 v[40:41], v[42:43], v[44:45]
	s_or_b32 exec_lo, exec_lo, s51
	s_and_saveexec_b32 s51, s9
	s_cbranch_execnz .LBB33_1017
	s_branch .LBB33_1018
.LBB33_1063:                            ;   in Loop: Header=BB33_3 Depth=1
	s_or_b32 exec_lo, exec_lo, s85
	s_delay_alu instid0(SALU_CYCLE_1)
	s_and_b32 vcc_lo, exec_lo, s61
	s_cbranch_vccnz .LBB33_1021
.LBB33_1064:                            ;   in Loop: Header=BB33_3 Depth=1
	s_delay_alu instid0(VALU_DEP_1)
	v_mov_b64_e32 v[0:1], v[42:43]
	s_and_saveexec_b32 s51, s84
	s_cbranch_execnz .LBB33_1042
	s_branch .LBB33_1043
.LBB33_1065:                            ;   in Loop: Header=BB33_3 Depth=1
	s_and_not1_b32 s52, s84, exec_lo
	s_and_b32 s53, s1, exec_lo
	s_delay_alu instid0(SALU_CYCLE_1)
	s_or_b32 s84, s52, s53
	s_cbranch_execnz .LBB33_1041
.LBB33_1066:                            ;   in Loop: Header=BB33_3 Depth=1
	v_readlane_b32 s52, v102, 14
	s_and_not1_b32 s51, s84, exec_lo
	s_and_b32 s52, s52, exec_lo
	s_delay_alu instid0(SALU_CYCLE_1) | instskip(NEXT) | instid1(SALU_CYCLE_1)
	s_or_b32 s84, s51, s52
	s_and_saveexec_b32 s51, s84
	s_cbranch_execnz .LBB33_1042
	s_branch .LBB33_1043
.LBB33_1067:                            ;   in Loop: Header=BB33_3 Depth=1
	ds_load_b64 v[44:45], v69 offset:544
	ds_load_b64 v[46:47], v55 offset:8
	s_wait_dscnt 0x0
	v_fmac_f64_e32 v[0:1], v[44:45], v[46:47]
	s_or_b32 exec_lo, exec_lo, s51
	s_and_saveexec_b32 s51, s13
	s_cbranch_execz .LBB33_72
.LBB33_1068:                            ;   in Loop: Header=BB33_3 Depth=1
	ds_load_b64 v[44:45], v68 offset:1056
	ds_load_b64 v[46:47], v55 offset:16
	s_wait_dscnt 0x0
	v_fmac_f64_e32 v[0:1], v[44:45], v[46:47]
	s_or_b32 exec_lo, exec_lo, s51
	s_and_saveexec_b32 s51, s0
	s_cbranch_execnz .LBB33_73
	s_branch .LBB33_74
.LBB33_1069:                            ;   in Loop: Header=BB33_3 Depth=1
	ds_load_b64 v[44:45], v73 offset:576
	ds_load_b64 v[46:47], v58 offset:8
	s_wait_dscnt 0x0
	v_fmac_f64_e32 v[0:1], v[44:45], v[46:47]
	s_or_b32 exec_lo, exec_lo, s51
	s_and_saveexec_b32 s51, s15
	s_cbranch_execz .LBB33_114
.LBB33_1070:                            ;   in Loop: Header=BB33_3 Depth=1
	ds_load_b64 v[44:45], v73 offset:1088
	ds_load_b64 v[46:47], v58 offset:16
	s_wait_dscnt 0x0
	v_fmac_f64_e32 v[0:1], v[44:45], v[46:47]
	s_or_b32 exec_lo, exec_lo, s51
	s_and_saveexec_b32 s51, s16
	s_cbranch_execz .LBB33_115
.LBB33_1071:                            ;   in Loop: Header=BB33_3 Depth=1
	ds_load_b64 v[44:45], v73 offset:1600
	ds_load_b64 v[46:47], v58 offset:24
	s_wait_dscnt 0x0
	v_fmac_f64_e32 v[0:1], v[44:45], v[46:47]
	s_or_b32 exec_lo, exec_lo, s51
	s_and_saveexec_b32 s51, s17
	s_cbranch_execz .LBB33_116
.LBB33_1072:                            ;   in Loop: Header=BB33_3 Depth=1
	ds_load_b64 v[44:45], v72 offset:2112
	ds_load_b64 v[46:47], v58 offset:32
	s_wait_dscnt 0x0
	v_fmac_f64_e32 v[0:1], v[44:45], v[46:47]
	s_or_b32 exec_lo, exec_lo, s51
	s_and_saveexec_b32 s51, s18
	s_cbranch_execz .LBB33_117
.LBB33_1073:                            ;   in Loop: Header=BB33_3 Depth=1
	ds_load_b64 v[44:45], v73 offset:2624
	ds_load_b64 v[46:47], v58 offset:40
	s_wait_dscnt 0x0
	v_fmac_f64_e32 v[0:1], v[44:45], v[46:47]
	s_or_b32 exec_lo, exec_lo, s51
	s_and_saveexec_b32 s51, s2
	s_cbranch_execz .LBB33_118
.LBB33_1074:                            ;   in Loop: Header=BB33_3 Depth=1
	ds_load_b64 v[44:45], v72 offset:3136
	ds_load_b64 v[46:47], v58 offset:48
	s_wait_dscnt 0x0
	v_fmac_f64_e32 v[0:1], v[44:45], v[46:47]
	s_or_b32 exec_lo, exec_lo, s51
	s_and_saveexec_b32 s51, s13
	s_cbranch_execnz .LBB33_119
	s_branch .LBB33_120
.LBB33_1075:                            ;   in Loop: Header=BB33_3 Depth=1
	ds_load_b64 v[44:45], v69 offset:4704
	ds_load_b64 v[46:47], v55 offset:4168
	s_wait_dscnt 0x0
	v_fmac_f64_e32 v[0:1], v[44:45], v[46:47]
	s_or_b32 exec_lo, exec_lo, s51
	s_and_saveexec_b32 s51, s13
	s_cbranch_execz .LBB33_176
.LBB33_1076:                            ;   in Loop: Header=BB33_3 Depth=1
	ds_load_b64 v[44:45], v68 offset:5216
	ds_load_b64 v[46:47], v55 offset:4176
	s_wait_dscnt 0x0
	v_fmac_f64_e32 v[0:1], v[44:45], v[46:47]
	s_or_b32 exec_lo, exec_lo, s51
	s_and_saveexec_b32 s51, s0
	s_cbranch_execnz .LBB33_177
	s_branch .LBB33_178
.LBB33_1077:                            ;   in Loop: Header=BB33_3 Depth=1
	ds_load_b64 v[44:45], v76 offset:5760
	ds_load_b64 v[46:47], v60 offset:88
	s_wait_dscnt 0x0
	v_fmac_f64_e32 v[0:1], v[44:45], v[46:47]
	s_or_b32 exec_lo, exec_lo, s51
	s_and_saveexec_b32 s51, s3
	s_cbranch_execz .LBB33_238
.LBB33_1078:                            ;   in Loop: Header=BB33_3 Depth=1
	ds_load_b64 v[44:45], v75 offset:6272
	ds_load_b64 v[46:47], v60 offset:96
	s_wait_dscnt 0x0
	v_fmac_f64_e32 v[0:1], v[44:45], v[46:47]
	s_or_b32 exec_lo, exec_lo, s51
	s_and_saveexec_b32 s51, s15
	s_cbranch_execz .LBB33_239
.LBB33_1079:                            ;   in Loop: Header=BB33_3 Depth=1
	ds_load_b64 v[44:45], v76 offset:6784
	ds_load_b64 v[46:47], v60 offset:104
	s_wait_dscnt 0x0
	v_fmac_f64_e32 v[0:1], v[44:45], v[46:47]
	s_or_b32 exec_lo, exec_lo, s51
	s_and_saveexec_b32 s51, s17
	s_cbranch_execz .LBB33_240
.LBB33_1080:                            ;   in Loop: Header=BB33_3 Depth=1
	ds_load_b64 v[44:45], v75 offset:7296
	ds_load_b64 v[46:47], v60 offset:112
	s_wait_dscnt 0x0
	v_fmac_f64_e32 v[0:1], v[44:45], v[46:47]
	s_or_b32 exec_lo, exec_lo, s51
	s_and_saveexec_b32 s51, s2
	s_cbranch_execnz .LBB33_241
	s_branch .LBB33_242
.LBB33_1081:                            ;   in Loop: Header=BB33_3 Depth=1
	ds_load_b64 v[44:45], v69 offset:8864
	ds_load_b64 v[46:47], v55 offset:8328
	s_wait_dscnt 0x0
	v_fmac_f64_e32 v[0:1], v[44:45], v[46:47]
	s_or_b32 exec_lo, exec_lo, s51
	s_and_saveexec_b32 s51, s13
	s_cbranch_execz .LBB33_330
.LBB33_1082:                            ;   in Loop: Header=BB33_3 Depth=1
	ds_load_b64 v[44:45], v68 offset:9376
	ds_load_b64 v[46:47], v55 offset:8336
	s_wait_dscnt 0x0
	v_fmac_f64_e32 v[0:1], v[44:45], v[46:47]
	s_or_b32 exec_lo, exec_lo, s51
	s_and_saveexec_b32 s51, s0
	s_cbranch_execnz .LBB33_331
	s_branch .LBB33_332
.LBB33_1083:                            ;   in Loop: Header=BB33_3 Depth=1
	ds_load_b64 v[44:45], v73 offset:8896
	ds_load_b64 v[46:47], v58 offset:8328
	s_wait_dscnt 0x0
	v_fmac_f64_e32 v[0:1], v[44:45], v[46:47]
	s_or_b32 exec_lo, exec_lo, s51
	s_and_saveexec_b32 s51, s15
	s_cbranch_execz .LBB33_372
.LBB33_1084:                            ;   in Loop: Header=BB33_3 Depth=1
	ds_load_b64 v[44:45], v73 offset:9408
	ds_load_b64 v[46:47], v58 offset:8336
	s_wait_dscnt 0x0
	v_fmac_f64_e32 v[0:1], v[44:45], v[46:47]
	s_or_b32 exec_lo, exec_lo, s51
	s_and_saveexec_b32 s51, s16
	s_cbranch_execz .LBB33_373
.LBB33_1085:                            ;   in Loop: Header=BB33_3 Depth=1
	ds_load_b64 v[44:45], v73 offset:9920
	ds_load_b64 v[46:47], v58 offset:8344
	s_wait_dscnt 0x0
	v_fmac_f64_e32 v[0:1], v[44:45], v[46:47]
	s_or_b32 exec_lo, exec_lo, s51
	s_and_saveexec_b32 s51, s17
	s_cbranch_execz .LBB33_374
.LBB33_1086:                            ;   in Loop: Header=BB33_3 Depth=1
	ds_load_b64 v[44:45], v72 offset:10432
	ds_load_b64 v[46:47], v58 offset:8352
	s_wait_dscnt 0x0
	v_fmac_f64_e32 v[0:1], v[44:45], v[46:47]
	s_or_b32 exec_lo, exec_lo, s51
	s_and_saveexec_b32 s51, s18
	s_cbranch_execz .LBB33_375
.LBB33_1087:                            ;   in Loop: Header=BB33_3 Depth=1
	ds_load_b64 v[44:45], v73 offset:10944
	ds_load_b64 v[46:47], v58 offset:8360
	s_wait_dscnt 0x0
	v_fmac_f64_e32 v[0:1], v[44:45], v[46:47]
	s_or_b32 exec_lo, exec_lo, s51
	s_and_saveexec_b32 s51, s2
	s_cbranch_execz .LBB33_376
.LBB33_1088:                            ;   in Loop: Header=BB33_3 Depth=1
	ds_load_b64 v[44:45], v72 offset:11456
	ds_load_b64 v[46:47], v58 offset:8368
	s_wait_dscnt 0x0
	v_fmac_f64_e32 v[0:1], v[44:45], v[46:47]
	s_or_b32 exec_lo, exec_lo, s51
	s_and_saveexec_b32 s51, s13
	s_cbranch_execnz .LBB33_377
	s_branch .LBB33_378
.LBB33_1089:                            ;   in Loop: Header=BB33_3 Depth=1
	ds_load_b64 v[44:45], v69 offset:13024
	ds_load_b64 v[46:47], v55 offset:12488
	s_wait_dscnt 0x0
	v_fmac_f64_e32 v[0:1], v[44:45], v[46:47]
	s_or_b32 exec_lo, exec_lo, s51
	s_and_saveexec_b32 s51, s13
	s_cbranch_execz .LBB33_434
.LBB33_1090:                            ;   in Loop: Header=BB33_3 Depth=1
	ds_load_b64 v[44:45], v68 offset:13536
	ds_load_b64 v[46:47], v55 offset:12496
	s_wait_dscnt 0x0
	v_fmac_f64_e32 v[0:1], v[44:45], v[46:47]
	s_or_b32 exec_lo, exec_lo, s51
	s_and_saveexec_b32 s51, s0
	s_cbranch_execnz .LBB33_435
	s_branch .LBB33_436
.LBB33_1091:                            ;   in Loop: Header=BB33_3 Depth=1
	ds_load_b64 v[44:45], v81 offset:15104
	ds_load_b64 v[46:47], v2 offset:232
	s_wait_dscnt 0x0
	v_fmac_f64_e32 v[0:1], v[44:45], v[46:47]
	s_or_b32 exec_lo, exec_lo, s51
	s_and_saveexec_b32 s51, s3
	s_cbranch_execz .LBB33_532
.LBB33_1092:                            ;   in Loop: Header=BB33_3 Depth=1
	ds_load_b64 v[44:45], v81 offset:15616
	ds_load_b64 v[46:47], v2 offset:240
	s_wait_dscnt 0x0
	v_fmac_f64_e32 v[0:1], v[44:45], v[46:47]
	s_or_b32 exec_lo, exec_lo, s51
	s_and_saveexec_b32 s51, s17
	s_cbranch_execnz .LBB33_533
	s_branch .LBB33_534
.LBB33_1093:                            ;   in Loop: Header=BB33_3 Depth=1
	ds_load_b64 v[44:45], v69 offset:17184
	ds_load_b64 v[46:47], v55 offset:16648
	s_wait_dscnt 0x0
	v_fmac_f64_e32 v[0:1], v[44:45], v[46:47]
	s_or_b32 exec_lo, exec_lo, s51
	s_and_saveexec_b32 s51, s13
	s_cbranch_execz .LBB33_578
.LBB33_1094:                            ;   in Loop: Header=BB33_3 Depth=1
	ds_load_b64 v[44:45], v68 offset:17696
	ds_load_b64 v[46:47], v55 offset:16656
	s_wait_dscnt 0x0
	v_fmac_f64_e32 v[0:1], v[44:45], v[46:47]
	s_or_b32 exec_lo, exec_lo, s51
	s_and_saveexec_b32 s51, s0
	s_cbranch_execnz .LBB33_579
	s_branch .LBB33_580
.LBB33_1095:                            ;   in Loop: Header=BB33_3 Depth=1
	ds_load_b64 v[44:45], v73 offset:17216
	ds_load_b64 v[46:47], v58 offset:16648
	s_wait_dscnt 0x0
	v_fmac_f64_e32 v[0:1], v[44:45], v[46:47]
	s_or_b32 exec_lo, exec_lo, s51
	s_and_saveexec_b32 s51, s15
	s_cbranch_execz .LBB33_620
.LBB33_1096:                            ;   in Loop: Header=BB33_3 Depth=1
	ds_load_b64 v[44:45], v73 offset:17728
	ds_load_b64 v[46:47], v58 offset:16656
	s_wait_dscnt 0x0
	v_fmac_f64_e32 v[0:1], v[44:45], v[46:47]
	s_or_b32 exec_lo, exec_lo, s51
	s_and_saveexec_b32 s51, s16
	s_cbranch_execz .LBB33_621
.LBB33_1097:                            ;   in Loop: Header=BB33_3 Depth=1
	ds_load_b64 v[44:45], v73 offset:18240
	ds_load_b64 v[46:47], v58 offset:16664
	s_wait_dscnt 0x0
	v_fmac_f64_e32 v[0:1], v[44:45], v[46:47]
	s_or_b32 exec_lo, exec_lo, s51
	s_and_saveexec_b32 s51, s17
	s_cbranch_execz .LBB33_622
.LBB33_1098:                            ;   in Loop: Header=BB33_3 Depth=1
	ds_load_b64 v[44:45], v72 offset:18752
	ds_load_b64 v[46:47], v58 offset:16672
	s_wait_dscnt 0x0
	v_fmac_f64_e32 v[0:1], v[44:45], v[46:47]
	s_or_b32 exec_lo, exec_lo, s51
	s_and_saveexec_b32 s51, s18
	s_cbranch_execz .LBB33_623
.LBB33_1099:                            ;   in Loop: Header=BB33_3 Depth=1
	ds_load_b64 v[44:45], v73 offset:19264
	ds_load_b64 v[46:47], v58 offset:16680
	s_wait_dscnt 0x0
	v_fmac_f64_e32 v[0:1], v[44:45], v[46:47]
	s_or_b32 exec_lo, exec_lo, s51
	s_and_saveexec_b32 s51, s2
	s_cbranch_execz .LBB33_624
.LBB33_1100:                            ;   in Loop: Header=BB33_3 Depth=1
	ds_load_b64 v[44:45], v72 offset:19776
	ds_load_b64 v[46:47], v58 offset:16688
	s_wait_dscnt 0x0
	v_fmac_f64_e32 v[0:1], v[44:45], v[46:47]
	s_or_b32 exec_lo, exec_lo, s51
	s_and_saveexec_b32 s51, s13
	s_cbranch_execnz .LBB33_625
	s_branch .LBB33_626
.LBB33_1101:                            ;   in Loop: Header=BB33_3 Depth=1
	ds_load_b64 v[44:45], v69 offset:21344
	ds_load_b64 v[46:47], v55 offset:20808
	s_wait_dscnt 0x0
	v_fmac_f64_e32 v[0:1], v[44:45], v[46:47]
	s_or_b32 exec_lo, exec_lo, s51
	s_and_saveexec_b32 s51, s13
	s_cbranch_execz .LBB33_682
.LBB33_1102:                            ;   in Loop: Header=BB33_3 Depth=1
	ds_load_b64 v[44:45], v68 offset:21856
	ds_load_b64 v[46:47], v55 offset:20816
	s_wait_dscnt 0x0
	v_fmac_f64_e32 v[0:1], v[44:45], v[46:47]
	s_or_b32 exec_lo, exec_lo, s51
	s_and_saveexec_b32 s51, s0
	s_cbranch_execnz .LBB33_683
	s_branch .LBB33_684
.LBB33_1103:                            ;   in Loop: Header=BB33_3 Depth=1
	ds_load_b64 v[44:45], v76 offset:22400
	ds_load_b64 v[46:47], v60 offset:16728
	s_wait_dscnt 0x0
	v_fmac_f64_e32 v[0:1], v[44:45], v[46:47]
	s_or_b32 exec_lo, exec_lo, s51
	s_and_saveexec_b32 s51, s3
	s_cbranch_execz .LBB33_744
.LBB33_1104:                            ;   in Loop: Header=BB33_3 Depth=1
	ds_load_b64 v[44:45], v75 offset:22912
	ds_load_b64 v[46:47], v60 offset:16736
	s_wait_dscnt 0x0
	v_fmac_f64_e32 v[0:1], v[44:45], v[46:47]
	s_or_b32 exec_lo, exec_lo, s51
	s_and_saveexec_b32 s51, s15
	s_cbranch_execz .LBB33_745
.LBB33_1105:                            ;   in Loop: Header=BB33_3 Depth=1
	ds_load_b64 v[44:45], v76 offset:23424
	ds_load_b64 v[46:47], v60 offset:16744
	s_wait_dscnt 0x0
	v_fmac_f64_e32 v[0:1], v[44:45], v[46:47]
	s_or_b32 exec_lo, exec_lo, s51
	s_and_saveexec_b32 s51, s17
	s_cbranch_execz .LBB33_746
.LBB33_1106:                            ;   in Loop: Header=BB33_3 Depth=1
	ds_load_b64 v[44:45], v75 offset:23936
	ds_load_b64 v[46:47], v60 offset:16752
	s_wait_dscnt 0x0
	v_fmac_f64_e32 v[0:1], v[44:45], v[46:47]
	s_or_b32 exec_lo, exec_lo, s51
	s_and_saveexec_b32 s51, s2
	s_cbranch_execnz .LBB33_747
	s_branch .LBB33_748
.LBB33_1107:                            ;   in Loop: Header=BB33_3 Depth=1
	ds_load_b64 v[44:45], v69 offset:25504
	ds_load_b64 v[46:47], v55 offset:24968
	s_wait_dscnt 0x0
	v_fmac_f64_e32 v[0:1], v[44:45], v[46:47]
	s_or_b32 exec_lo, exec_lo, s51
	s_and_saveexec_b32 s51, s13
	s_cbranch_execz .LBB33_836
.LBB33_1108:                            ;   in Loop: Header=BB33_3 Depth=1
	ds_load_b64 v[44:45], v68 offset:26016
	ds_load_b64 v[46:47], v55 offset:24976
	s_wait_dscnt 0x0
	v_fmac_f64_e32 v[0:1], v[44:45], v[46:47]
	s_or_b32 exec_lo, exec_lo, s51
	s_and_saveexec_b32 s51, s0
	s_cbranch_execnz .LBB33_837
	s_branch .LBB33_838
.LBB33_1109:                            ;   in Loop: Header=BB33_3 Depth=1
	ds_load_b64 v[44:45], v73 offset:25536
	ds_load_b64 v[46:47], v58 offset:24968
	s_wait_dscnt 0x0
	v_fmac_f64_e32 v[0:1], v[44:45], v[46:47]
	s_or_b32 exec_lo, exec_lo, s51
	s_and_saveexec_b32 s51, s15
	s_cbranch_execz .LBB33_878
.LBB33_1110:                            ;   in Loop: Header=BB33_3 Depth=1
	ds_load_b64 v[44:45], v73 offset:26048
	ds_load_b64 v[46:47], v58 offset:24976
	s_wait_dscnt 0x0
	v_fmac_f64_e32 v[0:1], v[44:45], v[46:47]
	s_or_b32 exec_lo, exec_lo, s51
	s_and_saveexec_b32 s51, s16
	s_cbranch_execz .LBB33_879
.LBB33_1111:                            ;   in Loop: Header=BB33_3 Depth=1
	ds_load_b64 v[44:45], v73 offset:26560
	ds_load_b64 v[46:47], v58 offset:24984
	s_wait_dscnt 0x0
	v_fmac_f64_e32 v[0:1], v[44:45], v[46:47]
	s_or_b32 exec_lo, exec_lo, s51
	s_and_saveexec_b32 s51, s17
	s_cbranch_execz .LBB33_880
.LBB33_1112:                            ;   in Loop: Header=BB33_3 Depth=1
	ds_load_b64 v[44:45], v72 offset:27072
	ds_load_b64 v[46:47], v58 offset:24992
	s_wait_dscnt 0x0
	v_fmac_f64_e32 v[0:1], v[44:45], v[46:47]
	s_or_b32 exec_lo, exec_lo, s51
	s_and_saveexec_b32 s51, s18
	s_cbranch_execz .LBB33_881
.LBB33_1113:                            ;   in Loop: Header=BB33_3 Depth=1
	ds_load_b64 v[44:45], v73 offset:27584
	ds_load_b64 v[46:47], v58 offset:25000
	s_wait_dscnt 0x0
	v_fmac_f64_e32 v[0:1], v[44:45], v[46:47]
	s_or_b32 exec_lo, exec_lo, s51
	s_and_saveexec_b32 s51, s2
	s_cbranch_execz .LBB33_882
.LBB33_1114:                            ;   in Loop: Header=BB33_3 Depth=1
	ds_load_b64 v[44:45], v72 offset:28096
	ds_load_b64 v[46:47], v58 offset:25008
	s_wait_dscnt 0x0
	v_fmac_f64_e32 v[0:1], v[44:45], v[46:47]
	s_or_b32 exec_lo, exec_lo, s51
	s_and_saveexec_b32 s51, s13
	s_cbranch_execnz .LBB33_883
	s_branch .LBB33_884
.LBB33_1115:                            ;   in Loop: Header=BB33_3 Depth=1
	ds_load_b64 v[44:45], v69 offset:29664
	ds_load_b64 v[46:47], v55 offset:29128
	s_wait_dscnt 0x0
	v_fmac_f64_e32 v[0:1], v[44:45], v[46:47]
	s_or_b32 exec_lo, exec_lo, s51
	s_and_saveexec_b32 s51, s13
	s_cbranch_execz .LBB33_940
.LBB33_1116:                            ;   in Loop: Header=BB33_3 Depth=1
	ds_load_b64 v[44:45], v68 offset:30176
	ds_load_b64 v[46:47], v55 offset:29136
	s_wait_dscnt 0x0
	v_fmac_f64_e32 v[0:1], v[44:45], v[46:47]
	s_or_b32 exec_lo, exec_lo, s51
	s_and_saveexec_b32 s51, s0
	s_cbranch_execnz .LBB33_941
	s_branch .LBB33_942
.LBB33_1117:
	s_endpgm
	.section	.rodata,"a",@progbits
	.p2align	6, 0x0
	.amdhsa_kernel _ZL19rocblas_trsv_deviceILi64ELi16ELb1ELb1ELb1ELb1EdPKdS1_PdEviT7_lllT6_T8_lllPii
		.amdhsa_group_segment_fixed_size 41480
		.amdhsa_private_segment_fixed_size 0
		.amdhsa_kernarg_size 352
		.amdhsa_user_sgpr_count 2
		.amdhsa_user_sgpr_dispatch_ptr 0
		.amdhsa_user_sgpr_queue_ptr 0
		.amdhsa_user_sgpr_kernarg_segment_ptr 1
		.amdhsa_user_sgpr_dispatch_id 0
		.amdhsa_user_sgpr_kernarg_preload_length 0
		.amdhsa_user_sgpr_kernarg_preload_offset 0
		.amdhsa_user_sgpr_private_segment_size 0
		.amdhsa_wavefront_size32 1
		.amdhsa_uses_dynamic_stack 0
		.amdhsa_enable_private_segment 0
		.amdhsa_system_sgpr_workgroup_id_x 1
		.amdhsa_system_sgpr_workgroup_id_y 0
		.amdhsa_system_sgpr_workgroup_id_z 1
		.amdhsa_system_sgpr_workgroup_info 0
		.amdhsa_system_vgpr_workitem_id 1
		.amdhsa_next_free_vgpr 103
		.amdhsa_next_free_sgpr 105
		.amdhsa_named_barrier_count 0
		.amdhsa_reserve_vcc 1
		.amdhsa_float_round_mode_32 0
		.amdhsa_float_round_mode_16_64 0
		.amdhsa_float_denorm_mode_32 3
		.amdhsa_float_denorm_mode_16_64 3
		.amdhsa_fp16_overflow 0
		.amdhsa_memory_ordered 1
		.amdhsa_forward_progress 1
		.amdhsa_inst_pref_size 241
		.amdhsa_round_robin_scheduling 0
		.amdhsa_exception_fp_ieee_invalid_op 0
		.amdhsa_exception_fp_denorm_src 0
		.amdhsa_exception_fp_ieee_div_zero 0
		.amdhsa_exception_fp_ieee_overflow 0
		.amdhsa_exception_fp_ieee_underflow 0
		.amdhsa_exception_fp_ieee_inexact 0
		.amdhsa_exception_int_div_zero 0
	.end_amdhsa_kernel
	.section	.text._ZL19rocblas_trsv_deviceILi64ELi16ELb1ELb1ELb1ELb1EdPKdS1_PdEviT7_lllT6_T8_lllPii,"axG",@progbits,_ZL19rocblas_trsv_deviceILi64ELi16ELb1ELb1ELb1ELb1EdPKdS1_PdEviT7_lllT6_T8_lllPii,comdat
.Lfunc_end33:
	.size	_ZL19rocblas_trsv_deviceILi64ELi16ELb1ELb1ELb1ELb1EdPKdS1_PdEviT7_lllT6_T8_lllPii, .Lfunc_end33-_ZL19rocblas_trsv_deviceILi64ELi16ELb1ELb1ELb1ELb1EdPKdS1_PdEviT7_lllT6_T8_lllPii
                                        ; -- End function
	.set _ZL19rocblas_trsv_deviceILi64ELi16ELb1ELb1ELb1ELb1EdPKdS1_PdEviT7_lllT6_T8_lllPii.num_vgpr, 103
	.set _ZL19rocblas_trsv_deviceILi64ELi16ELb1ELb1ELb1ELb1EdPKdS1_PdEviT7_lllT6_T8_lllPii.num_agpr, 0
	.set _ZL19rocblas_trsv_deviceILi64ELi16ELb1ELb1ELb1ELb1EdPKdS1_PdEviT7_lllT6_T8_lllPii.numbered_sgpr, 105
	.set _ZL19rocblas_trsv_deviceILi64ELi16ELb1ELb1ELb1ELb1EdPKdS1_PdEviT7_lllT6_T8_lllPii.num_named_barrier, 0
	.set _ZL19rocblas_trsv_deviceILi64ELi16ELb1ELb1ELb1ELb1EdPKdS1_PdEviT7_lllT6_T8_lllPii.private_seg_size, 0
	.set _ZL19rocblas_trsv_deviceILi64ELi16ELb1ELb1ELb1ELb1EdPKdS1_PdEviT7_lllT6_T8_lllPii.uses_vcc, 1
	.set _ZL19rocblas_trsv_deviceILi64ELi16ELb1ELb1ELb1ELb1EdPKdS1_PdEviT7_lllT6_T8_lllPii.uses_flat_scratch, 0
	.set _ZL19rocblas_trsv_deviceILi64ELi16ELb1ELb1ELb1ELb1EdPKdS1_PdEviT7_lllT6_T8_lllPii.has_dyn_sized_stack, 0
	.set _ZL19rocblas_trsv_deviceILi64ELi16ELb1ELb1ELb1ELb1EdPKdS1_PdEviT7_lllT6_T8_lllPii.has_recursion, 0
	.set _ZL19rocblas_trsv_deviceILi64ELi16ELb1ELb1ELb1ELb1EdPKdS1_PdEviT7_lllT6_T8_lllPii.has_indirect_call, 0
	.section	.AMDGPU.csdata,"",@progbits
; Kernel info:
; codeLenInByte = 30824
; TotalNumSgprs: 107
; NumVgprs: 103
; ScratchSize: 0
; MemoryBound: 0
; FloatMode: 240
; IeeeMode: 1
; LDSByteSize: 41480 bytes/workgroup (compile time only)
; SGPRBlocks: 0
; VGPRBlocks: 6
; NumSGPRsForWavesPerEU: 107
; NumVGPRsForWavesPerEU: 103
; NamedBarCnt: 0
; Occupancy: 9
; WaveLimiterHint : 0
; COMPUTE_PGM_RSRC2:SCRATCH_EN: 0
; COMPUTE_PGM_RSRC2:USER_SGPR: 2
; COMPUTE_PGM_RSRC2:TRAP_HANDLER: 0
; COMPUTE_PGM_RSRC2:TGID_X_EN: 1
; COMPUTE_PGM_RSRC2:TGID_Y_EN: 0
; COMPUTE_PGM_RSRC2:TGID_Z_EN: 1
; COMPUTE_PGM_RSRC2:TIDIG_COMP_CNT: 1
	.section	.text._ZL19rocblas_trsv_deviceILi64ELi16ELb1ELb0ELb0ELb0EdPKdS1_PdEviT7_lllT6_T8_lllPii,"axG",@progbits,_ZL19rocblas_trsv_deviceILi64ELi16ELb1ELb0ELb0ELb0EdPKdS1_PdEviT7_lllT6_T8_lllPii,comdat
	.globl	_ZL19rocblas_trsv_deviceILi64ELi16ELb1ELb0ELb0ELb0EdPKdS1_PdEviT7_lllT6_T8_lllPii ; -- Begin function _ZL19rocblas_trsv_deviceILi64ELi16ELb1ELb0ELb0ELb0EdPKdS1_PdEviT7_lllT6_T8_lllPii
	.p2align	8
	.type	_ZL19rocblas_trsv_deviceILi64ELi16ELb1ELb0ELb0ELb0EdPKdS1_PdEviT7_lllT6_T8_lllPii,@function
_ZL19rocblas_trsv_deviceILi64ELi16ELb1ELb0ELb0ELb0EdPKdS1_PdEviT7_lllT6_T8_lllPii: ; @_ZL19rocblas_trsv_deviceILi64ELi16ELb1ELb0ELb0ELb0EdPKdS1_PdEviT7_lllT6_T8_lllPii
; %bb.0:
	s_load_b32 s98, s[0:1], 0x58
	s_bfe_u32 s2, ttmp6, 0x40014
	s_lshr_b32 s3, ttmp7, 16
	s_add_co_i32 s2, s2, 1
	s_bfe_u32 s5, ttmp6, 0x40008
	s_mul_i32 s4, s3, s2
	s_getreg_b32 s2, hwreg(HW_REG_IB_STS2, 6, 4)
	s_add_co_i32 s5, s5, s4
	s_cmp_eq_u32 s2, 0
	s_mov_b32 s89, 0
	s_cselect_b32 s88, s3, s5
	s_wait_kmcnt 0x0
	s_cmp_ge_u32 s88, s98
	s_cbranch_scc1 .LBB34_1087
; %bb.1:
	s_clause 0x2
	s_load_b512 s[68:83], s[0:1], 0x8
	s_load_b32 s3, s[0:1], 0x6c
	s_load_b32 s99, s[0:1], 0x0
	s_bfe_u32 s5, ttmp6, 0x4000c
	s_and_b32 s4, ttmp6, 15
	s_add_co_i32 s5, s5, 1
	s_load_b128 s[84:87], s[0:1], 0x48
	s_wait_xcnt 0x0
	s_mul_i32 s0, ttmp9, s5
	v_bfe_u32 v42, v0, 10, 10
	s_add_co_i32 s6, s4, s0
                                        ; implicit-def: $vgpr84 : SGPR spill to VGPR lane
	v_mov_b32_e32 v1, 0
	v_and_b32_e32 v2, 0x3ff, v0
                                        ; implicit-def: $vgpr83 : SGPR spill to VGPR lane
                                        ; implicit-def: $vgpr82 : SGPR spill to VGPR lane
	v_mov_b64_e32 v[24:25], 0
	v_dual_lshlrev_b32 v10, 6, v42 :: v_dual_add_nc_u32 v36, 16, v42
	s_delay_alu instid0(VALU_DEP_4) | instskip(SKIP_2) | instid1(VALU_DEP_4)
	v_dual_add_nc_u32 v37, 32, v42 :: v_dual_mov_b32 v5, v1
	v_mov_b32_e32 v3, v1
	v_lshl_add_u32 v69, v42, 3, 0xa000
                                        ; implicit-def: $vgpr26_vgpr27
                                        ; implicit-def: $vgpr28_vgpr29
                                        ; implicit-def: $vgpr30_vgpr31
                                        ; implicit-def: $vgpr32_vgpr33
	v_add_nc_u32_e32 v35, v10, v2
	s_wait_kmcnt 0x0
	s_lshl_b64 s[0:1], s[70:71], 3
	s_lshl_b64 s[4:5], s[80:81], 3
	s_cmp_eq_u32 s2, 0
	s_add_nc_u64 s[0:1], s[68:69], s[0:1]
	s_cselect_b32 s100, ttmp9, s6
	s_add_co_i32 s2, s99, -1
	s_and_b32 s6, s3, 0xffff
	s_ashr_i32 s3, s99, 31
	s_ashr_i32 s7, s2, 31
	s_lshr_b32 s3, s3, 26
	s_lshr_b32 s7, s7, 26
	s_add_co_i32 s3, s99, s3
	s_add_co_i32 s2, s2, s7
	s_and_not1_b32 s3, s3, 63
	s_ashr_i32 s2, s2, 6
	s_sub_co_i32 s9, s99, s3
	v_writelane_b32 v84, s0, 0
	s_cmp_eq_u32 s2, s100
	s_add_nc_u64 s[2:3], s[72:73], 1
	s_cselect_b32 s7, -1, 0
	s_cmp_lg_u32 s9, 0
	v_writelane_b32 v84, s1, 1
	s_cselect_b32 s0, -1, 0
	s_lshl_b32 s10, s100, 6
	s_delay_alu instid0(SALU_CYCLE_1) | instskip(SKIP_3) | instid1(VALU_DEP_4)
	v_dual_add_nc_u32 v6, s10, v2 :: v_dual_bitop2_b32 v11, v10, v2 bitop3:0x14
	v_add_nc_u32_e32 v12, s10, v42
	v_mad_nc_u64_u32 v[18:19], s2, s10, v[2:3]
	v_and_b32_e32 v3, v10, v2
	v_lshrrev_b16 v11, 1, v11
	s_add_nc_u64 s[4:5], s[78:79], s[4:5]
	v_sub_co_u32 v43, s1, s100, 1
	v_writelane_b32 v84, s4, 2
	s_delay_alu instid0(VALU_DEP_3)
	v_add_nc_u16 v3, v3, v11
	v_and_b32_e32 v11, 1, v0
	v_subrev_nc_u32_e32 v14, 64, v12
	s_xor_b32 s1, s1, -1
	v_writelane_b32 v84, s5, 3
	s_ashr_i32 s11, s10, 31
	v_ashrrev_i32_e32 v7, 31, v6
	v_dual_ashrrev_i32 v15, 31, v14 :: v_dual_lshrrev_b32 v13, 10, v0
	v_writelane_b32 v84, s1, 4
	s_mul_i32 s1, s3, s10
	s_mul_i32 s2, s2, s11
	s_delay_alu instid0(VALU_DEP_2)
	v_mul_u64_e32 v[8:9], s[72:73], v[14:15]
	v_add3_u32 v19, s2, s1, v19
	v_and_b32_e32 v10, 0xffff, v3
	v_lshlrev_b32_e32 v15, 3, v11
	v_cmp_eq_u32_e64 s2, 1, v11
	v_dual_lshrrev_b32 v11, 2, v35 :: v_dual_lshlrev_b32 v46, 3, v2
	s_and_b32 s15, s0, s7
	v_bitop3_b32 v34, v0, v13, 0x3ff bitop3:0xa8
	s_xor_b32 s102, s15, -1
	v_lshl_add_u32 v3, v10, 3, 0x8000
	v_lshl_or_b32 v44, v10, 9, v15
	v_mul_u32_u24_e32 v45, 0x208, v10
	v_dual_lshlrev_b32 v10, 3, v11 :: v_dual_bitop2_b32 v13, 3, v0 bitop3:0x40
	v_mul_u32_u24_e32 v47, 0x208, v11
	s_cmp_gt_i32 s100, 4
	v_mad_u32_u24 v4, v42, s6, v2
	s_cselect_b32 s1, -1, 0
	v_add_nc_u32_e32 v48, 0x8000, v10
	s_and_b32 s103, s1, s102
	v_cmp_gt_u32_e64 s1, 4, v35
	v_dual_lshlrev_b32 v49, 3, v13 :: v_dual_sub_nc_u32 v10, v47, v10
	s_xor_b32 s3, s2, -1
	v_cmp_ne_u32_e64 s4, 0, v13
	s_and_b32 s104, s3, s1
	s_and_b32 vcc_hi, s2, s1
	v_cmp_gt_u32_e64 s2, 16, v35
	v_cmp_eq_u32_e64 s3, 0, v13
	v_cmp_eq_u32_e64 s5, 1, v13
	v_dual_add_nc_u32 v51, v10, v49 :: v_dual_lshrrev_b32 v10, 3, v35
	v_lshl_or_b32 v50, v11, 9, v49
	s_and_b32 s36, s3, s2
	s_and_b32 s37, s4, s2
	;; [unrolled: 1-line block ×3, first 2 shown]
	v_cmp_lt_u32_e64 s3, 1, v13
	v_cmp_eq_u32_e64 s4, 2, v13
	v_cmp_eq_u32_e64 s5, 3, v13
	v_and_b32_e32 v13, 0x1fff8, v35
	v_mul_u32_u24_e32 v52, 0x208, v10
	v_and_b32_e32 v11, 7, v0
	s_and_b32 s39, s3, s2
	s_and_b32 s40, s4, s2
	v_cmp_gt_u32_e64 s3, 64, v35
	v_sub_nc_u32_e32 v15, v52, v13
	v_cmp_eq_u32_e64 s4, 0, v11
	s_and_b32 s41, s5, s2
	v_cmp_ne_u32_e64 s5, 0, v11
	v_cmp_lt_u32_e64 s6, 1, v11
	v_cmp_eq_u32_e64 s7, 2, v11
	s_and_b32 s42, s4, s3
	v_cmp_eq_u32_e64 s4, 1, v11
	v_cmp_lt_u32_e64 s8, 2, v11
	s_and_b32 s43, s5, s3
	s_and_b32 s45, s6, s3
	v_cmp_lt_u32_e64 s5, 3, v11
	s_and_b32 s44, s4, s3
	v_cmp_eq_u32_e64 s4, 3, v11
	v_cmp_eq_u32_e64 s6, 4, v11
	v_lshlrev_b32_e32 v53, 3, v11
	s_and_b32 s46, s7, s3
	s_and_b32 s47, s8, s3
	v_cmp_lt_u32_e64 s7, 4, v11
	v_cmp_eq_u32_e64 s8, 5, v11
	s_and_b32 s48, s4, s3
	s_and_b32 s49, s5, s3
	;; [unrolled: 1-line block ×3, first 2 shown]
	v_cmp_lt_u32_e64 s4, 5, v11
	v_cmp_eq_u32_e64 s5, 6, v11
	v_cmp_eq_u32_e64 s6, 7, v11
	v_and_b32_e32 v11, 15, v0
	s_and_b32 s51, s7, s3
	s_and_b32 s53, s4, s3
	;; [unrolled: 1-line block ×3, first 2 shown]
	v_cmp_gt_u32_e64 s4, 0x100, v35
	v_cmp_eq_u32_e64 s5, 0, v11
	s_and_b32 s55, s6, s3
	v_cmp_ne_u32_e64 s6, 0, v11
	v_cmp_eq_u32_e64 s7, 1, v11
	s_and_b32 s52, s8, s3
	s_and_b32 s5, s5, s4
	v_cmp_lt_u32_e64 s8, 1, v11
	v_writelane_b32 v84, s5, 5
	v_cmp_eq_u32_e64 s5, 2, v11
	s_and_b32 s6, s6, s4
	v_lshl_or_b32 v55, v10, 9, v53
	v_dual_add_nc_u32 v56, v15, v53 :: v_dual_lshrrev_b32 v10, 4, v35
	v_writelane_b32 v84, s6, 6
	s_and_b32 s66, s5, s4
	v_cmp_eq_u32_e64 s5, 3, v11
	s_and_b32 s6, s7, s4
	v_cmp_lt_u32_e64 s7, 3, v11
	v_writelane_b32 v84, s6, 7
	s_and_b32 s6, s8, s4
	s_and_b32 s68, s5, s4
	v_cmp_eq_u32_e64 s5, 5, v11
	v_cmp_eq_u32_e64 s8, 4, v11
	v_writelane_b32 v84, s6, 8
	v_cmp_lt_u32_e64 s6, 2, v11
	s_and_b32 s12, s7, s4
	s_and_b32 s25, s5, s4
	v_cmp_eq_u32_e64 s5, 7, v11
	s_and_b32 s13, s8, s4
	s_and_b32 s67, s6, s4
	v_cmp_lt_u32_e64 s6, 4, v11
	v_cmp_eq_u32_e64 s7, 6, v11
	s_and_b32 s34, s5, s4
	v_cmp_eq_u32_e64 s5, 8, v11
	v_cmp_lt_u32_e64 s8, 6, v11
	s_and_b32 s23, s6, s4
	v_cmp_lt_u32_e64 s6, 5, v11
	s_and_b32 s29, s7, s4
	s_and_b32 s62, s5, s4
	v_cmp_eq_u32_e64 s5, 10, v11
	s_and_b32 s31, s8, s4
	s_and_b32 s27, s6, s4
	v_cmp_lt_u32_e64 s6, 7, v11
	v_cmp_lt_u32_e64 s7, 8, v11
	s_and_b32 s26, s5, s4
	v_cmp_eq_u32_e64 s5, 12, v11
	v_cmp_eq_u32_e64 s8, 9, v11
	s_and_b32 s61, s6, s4
	v_cmp_lt_u32_e64 s6, 9, v11
	s_and_b32 s63, s7, s4
	s_and_b32 s70, s5, s4
	v_cmp_eq_u32_e64 s5, 13, v11
	s_and_b32 s64, s8, s4
	s_and_b32 s24, s6, s4
	v_cmp_lt_u32_e64 s6, 10, v11
	v_cmp_eq_u32_e64 s7, 11, v11
	v_cmp_lt_u32_e64 s8, 11, v11
	s_and_b32 s78, s5, s4
	v_cmp_eq_u32_e64 s5, 15, v11
	v_cmp_le_i32_e64 s14, s9, v2
	v_add_nc_u32_e32 v54, 0x8000, v13
	v_dual_lshlrev_b32 v13, 3, v10 :: v_dual_lshlrev_b32 v58, 3, v11
	v_mul_u32_u24_e32 v57, 0x208, v10
	s_and_b32 s28, s6, s4
	v_cmp_lt_u32_e64 s6, 12, v11
	s_and_b32 s30, s7, s4
	s_and_b32 s33, s8, s4
	v_cmp_lt_u32_e64 s7, 13, v11
	v_cmp_eq_u32_e64 s8, 14, v11
	s_and_b32 s56, s5, s4
	v_cmp_eq_u32_e64 s5, 0, v42
	s_and_b32 s57, s14, s15
	v_cmp_gt_i32_e32 vcc_lo, s9, v2
	v_sub_nc_u32_e32 v15, v57, v13
	s_and_b32 s71, s6, s4
	s_xor_b32 s6, s57, -1
	s_and_b32 s79, s7, s4
	s_and_b32 s101, s8, s4
	;; [unrolled: 1-line block ×3, first 2 shown]
	s_cmp_gt_i32 s100, 0
	v_cmp_gt_i32_e64 s0, s99, v6
	v_lshl_or_b32 v60, v10, 9, v58
	v_dual_lshrrev_b32 v10, 5, v35 :: v_dual_add_nc_u32 v61, v15, v58
	v_and_b32_e32 v63, 31, v0
	s_cselect_b32 s65, -1, 0
	s_and_b32 s6, s5, vcc_lo
	v_subrev_nc_u32_e32 v15, 48, v12
	v_cmp_gt_i32_e32 vcc_lo, s99, v14
	v_writelane_b32 v84, s6, 9
	v_dual_lshlrev_b32 v62, 3, v10 :: v_dual_lshlrev_b32 v64, 9, v10
	v_add_nc_u64_e32 v[10:11], s[10:11], v[4:5]
	v_dual_add_nc_u32 v38, 48, v42 :: v_dual_add_nc_u32 v0, s10, v4
	v_subrev_nc_u32_e32 v21, 32, v12
	v_cmp_gt_i32_e64 s6, s99, v15
	s_and_b32 s10, s0, vcc_lo
	v_dual_add_nc_u32 v22, -16, v12 :: v_dual_bitop2_b32 v39, v36, v2 bitop3:0x54
	v_writelane_b32 v84, s10, 10
	v_cmp_gt_i32_e64 s7, s99, v21
	s_and_b32 s6, s0, s6
	v_cmp_gt_i32_e64 s8, s99, v22
	v_cmp_le_i32_e32 vcc_lo, s9, v42
	v_writelane_b32 v84, s6, 11
	s_and_b32 s6, s0, s7
	v_cmp_le_i32_e64 s7, s9, v37
	v_mul_u32_u24_e32 v67, 0x208, v63
	v_dual_lshlrev_b32 v20, 9, v63 :: v_dual_add_nc_u32 v5, v69, v46
	v_writelane_b32 v84, s6, 12
	s_and_b32 s6, s0, s8
	v_cmp_le_u32_e64 s8, v2, v42
	s_or_b32 s7, s7, s14
	v_dual_sub_nc_u32 v22, v67, v20 :: v_dual_bitop2_b32 v40, v37, v2 bitop3:0x54
	v_writelane_b32 v84, s6, 13
	s_or_b32 s6, vcc_lo, s14
	v_cmp_le_i32_e32 vcc_lo, s9, v36
	s_or_b32 s6, s6, s8
	v_cmp_le_i32_e64 s9, s9, v38
	v_writelane_b32 v84, s8, 14
	v_cmp_le_u32_e64 s8, v2, v36
	v_mul_u64_e32 v[10:11], s[82:83], v[10:11]
	v_mul_u64_e32 v[20:21], s[82:83], v[6:7]
	v_add_nc_u32_e32 v76, 0x4100, v22
	v_writelane_b32 v84, s6, 15
	s_or_b32 s6, vcc_lo, s14
	v_mul_u64_e32 v[22:23], s[82:83], v[0:1]
	s_or_b32 s6, s6, s8
	v_add_nc_u32_e32 v59, 0x8000, v13
	v_writelane_b32 v84, s8, 16
	v_cmp_ne_u32_e64 s8, v2, v37
	v_mad_nc_u64_u32 v[12:13], s72, v42, v[18:19]
	v_mad_nc_u64_u32 v[14:15], s72, v36, v[18:19]
	v_mad_nc_u64_u32 v[16:17], s72, v37, v[18:19]
	v_writelane_b32 v84, s6, 17
	v_cmp_le_u32_e64 s6, v2, v37
	v_mad_nc_u64_u32 v[18:19], s72, v38, v[18:19]
	v_or_b32_e32 v41, v38, v2
	v_cmp_lt_u32_e32 vcc_lo, 0x3ff, v35
	v_add_nc_u32_e32 v65, 0x8000, v62
	v_writelane_b32 v84, s6, 18
	s_or_b32 s6, s7, s6
	v_cmp_le_u32_e64 s7, v2, v38
	v_mad_u32 v13, s73, v42, v13
	v_mad_u32 v15, s73, v36, v15
	v_writelane_b32 v84, s6, 19
	s_or_b32 s6, s9, s14
	v_cmp_ne_u32_e64 s9, v2, v38
	s_or_b32 s6, s6, s7
	v_mad_u32 v17, s73, v37, v17
	v_writelane_b32 v84, s7, 20
	v_cmp_ne_u32_e64 s7, v2, v36
	v_mad_u32 v19, s73, v38, v19
	v_lshl_or_b32 v66, v63, 3, v64
	v_lshl_add_u32 v68, v4, 3, 0xa000
	v_writelane_b32 v84, s6, 21
	v_cmp_ne_u32_e64 s6, v2, v42
	v_lshl_add_u32 v70, v35, 3, 0x8000
	v_add_nc_u32_e32 v71, 0x8000, v46
	v_lshl_add_u32 v72, v42, 9, v46
	v_lshl_add_u32 v73, v2, 9, v46
	v_writelane_b32 v84, s6, 22
	s_or_b32 s6, s14, s6
	v_lshl_add_u32 v74, v36, 9, v46
	v_lshl_add_u32 v75, v37, 9, v46
	;; [unrolled: 1-line block ×3, first 2 shown]
	v_writelane_b32 v84, s6, 23
	s_or_b32 s6, s14, s7
	v_cmp_gt_u32_e64 s15, 2, v35
	v_cmp_gt_u32_e64 s16, 12, v35
	;; [unrolled: 1-line block ×3, first 2 shown]
	v_writelane_b32 v84, s7, 24
	v_cmp_gt_u32_e64 s18, 56, v35
	v_cmp_gt_u32_e64 s19, 48, v35
	;; [unrolled: 1-line block ×4, first 2 shown]
	v_writelane_b32 v84, s6, 25
	s_or_b32 s6, s14, s8
	v_cmp_gt_u32_e64 s22, 24, v35
	v_cmp_gt_u32_e64 s7, 0x80, v35
	;; [unrolled: 1-line block ×3, first 2 shown]
	v_writelane_b32 v84, s8, 26
	v_cmp_gt_u32_e64 s8, 0x60, v35
	v_cmp_eq_u32_e64 s59, 0, v4
	v_cmp_gt_u32_e64 s60, 64, v4
	s_lshl_b64 s[80:81], s[72:73], 7
	v_writelane_b32 v84, s6, 27
	s_or_b32 s6, s14, s9
	v_cmp_eq_u32_e64 s14, 0, v34
	s_lshl_b64 s[90:91], s[72:73], 8
	s_mul_u64 s[92:93], s[72:73], 0x180
	v_writelane_b32 v84, s9, 28
	s_xor_b32 s9, vcc_lo, -1
	v_writelane_b32 v84, s6, 29
	v_cmp_gt_u32_e64 s6, 0xf0, v35
	s_delay_alu instid0(VALU_DEP_1) | instskip(SKIP_1) | instid1(VALU_DEP_1)
	v_writelane_b32 v84, s6, 30
	v_cmp_gt_u32_e64 s6, 0xe0, v35
	v_writelane_b32 v84, s6, 31
	v_cmp_gt_u32_e64 s6, 0xd0, v35
	s_delay_alu instid0(VALU_DEP_1) | instskip(SKIP_1) | instid1(VALU_DEP_1)
	v_writelane_b32 v83, s6, 0
	v_cmp_gt_u32_e64 s6, 0xc0, v35
	;; [unrolled: 5-line block ×16, first 2 shown]
	v_writelane_b32 v83, s6, 29
	v_cmp_ge_u32_e64 s6, v2, v42
	s_delay_alu instid0(VALU_DEP_1) | instskip(SKIP_1) | instid1(VALU_DEP_1)
	v_writelane_b32 v83, s6, 30
	v_cmp_ge_u32_e64 s6, v2, v36
	v_writelane_b32 v83, s6, 31
	v_cmp_ge_u32_e64 s6, v2, v37
	s_delay_alu instid0(VALU_DEP_1) | instskip(SKIP_1) | instid1(VALU_DEP_1)
	v_writelane_b32 v82, s6, 0
	v_cmp_ge_u32_e64 s6, v2, v38
	v_writelane_b32 v82, s6, 1
	v_cmp_gt_u32_e64 s6, 64, v34
	s_delay_alu instid0(VALU_DEP_1) | instskip(SKIP_1) | instid1(VALU_DEP_1)
	v_writelane_b32 v82, s6, 2
	v_cmp_gt_u32_e64 s6, 64, v39
	v_writelane_b32 v82, s6, 3
	v_cmp_gt_u32_e64 s6, 64, v40
	s_delay_alu instid0(VALU_DEP_1) | instskip(SKIP_1) | instid1(VALU_DEP_1)
	v_writelane_b32 v82, s6, 4
	v_cmp_gt_u32_e64 s6, 64, v41
	v_writelane_b32 v82, s6, 5
	s_branch .LBB34_3
.LBB34_2:                               ;   in Loop: Header=BB34_3 Depth=1
	s_wait_xcnt 0x0
	s_or_b32 exec_lo, exec_lo, s6
	s_add_co_i32 s88, s88, 0x10000
	global_wb scope:SCOPE_DEV
	s_wait_storecnt 0x0
	global_inv scope:SCOPE_DEV
	s_cmp_lt_u32 s88, s98
	s_cbranch_scc0 .LBB34_1087
.LBB34_3:                               ; =>This Loop Header: Depth=1
                                        ;     Child Loop BB34_540 Depth 2
                                        ;     Child Loop BB34_957 Depth 2
                                        ;       Child Loop BB34_959 Depth 3
                                        ;     Child Loop BB34_997 Depth 2
	global_load_b64 v[34:35], v1, s[76:77]
	v_readlane_b32 s94, v84, 0
	v_readlane_b32 s6, v84, 4
	;; [unrolled: 1-line block ×3, first 2 shown]
	s_mul_u64 s[10:11], s[74:75], s[88:89]
	s_delay_alu instid0(SALU_CYCLE_1)
	s_lshl_b64 s[10:11], s[10:11], 3
	s_and_not1_b32 vcc_lo, exec_lo, s6
	s_add_nc_u64 s[94:95], s[94:95], s[10:11]
	s_cbranch_vccz .LBB34_6
; %bb.4:                                ;   in Loop: Header=BB34_3 Depth=1
	s_and_not1_b32 vcc_lo, exec_lo, s102
	s_mov_b32 s6, -1
	s_cbranch_vccz .LBB34_15
.LBB34_5:                               ;   in Loop: Header=BB34_3 Depth=1
	s_and_b32 vcc_lo, exec_lo, s6
	s_cbranch_vccnz .LBB34_50
	s_branch .LBB34_85
.LBB34_6:                               ;   in Loop: Header=BB34_3 Depth=1
	v_lshl_add_u64 v[30:31], v[8:9], 3, s[94:95]
	v_mov_b64_e32 v[28:29], 0
	v_mov_b64_e32 v[26:27], 0
	s_wait_loadcnt 0x0
	s_barrier_signal -1
	v_lshl_add_u64 v[36:37], v[6:7], 3, v[30:31]
	s_barrier_wait -1
	s_wait_xcnt 0x0
	s_mov_b32 s6, exec_lo
	v_readlane_b32 s10, v84, 10
	s_and_b32 s10, s6, s10
	s_delay_alu instid0(SALU_CYCLE_1)
	s_mov_b32 exec_lo, s10
	s_cbranch_execz .LBB34_8
; %bb.7:                                ;   in Loop: Header=BB34_3 Depth=1
	global_load_b64 v[26:27], v[36:37], off
.LBB34_8:                               ;   in Loop: Header=BB34_3 Depth=1
	s_wait_xcnt 0x0
	s_or_b32 exec_lo, exec_lo, s6
	s_wait_loadcnt 0x0
	s_barrier_signal -1
	s_barrier_wait -1
	s_mov_b32 s6, exec_lo
	v_readlane_b32 s10, v84, 11
	s_and_b32 s10, s6, s10
	s_delay_alu instid0(SALU_CYCLE_1)
	s_mov_b32 exec_lo, s10
	s_cbranch_execz .LBB34_10
; %bb.9:                                ;   in Loop: Header=BB34_3 Depth=1
	v_add_nc_u64_e32 v[28:29], s[80:81], v[36:37]
	global_load_b64 v[28:29], v[28:29], off
.LBB34_10:                              ;   in Loop: Header=BB34_3 Depth=1
	s_wait_xcnt 0x0
	s_or_b32 exec_lo, exec_lo, s6
	v_mov_b64_e32 v[32:33], 0
	v_mov_b64_e32 v[30:31], 0
	s_wait_loadcnt 0x0
	s_barrier_signal -1
	s_barrier_wait -1
	s_mov_b32 s6, exec_lo
	v_readlane_b32 s10, v84, 12
	s_and_b32 s10, s6, s10
	s_delay_alu instid0(SALU_CYCLE_1)
	s_mov_b32 exec_lo, s10
	s_cbranch_execz .LBB34_12
; %bb.11:                               ;   in Loop: Header=BB34_3 Depth=1
	v_add_nc_u64_e32 v[30:31], s[90:91], v[36:37]
	global_load_b64 v[30:31], v[30:31], off
.LBB34_12:                              ;   in Loop: Header=BB34_3 Depth=1
	s_wait_xcnt 0x0
	s_or_b32 exec_lo, exec_lo, s6
	s_wait_loadcnt 0x0
	s_barrier_signal -1
	s_barrier_wait -1
	s_mov_b32 s6, exec_lo
	v_readlane_b32 s10, v84, 13
	s_and_b32 s10, s6, s10
	s_delay_alu instid0(SALU_CYCLE_1)
	s_mov_b32 exec_lo, s10
	s_cbranch_execz .LBB34_14
; %bb.13:                               ;   in Loop: Header=BB34_3 Depth=1
	v_add_nc_u64_e32 v[32:33], s[92:93], v[36:37]
	global_load_b64 v[32:33], v[32:33], off
.LBB34_14:                              ;   in Loop: Header=BB34_3 Depth=1
	s_wait_xcnt 0x0
	s_or_b32 exec_lo, exec_lo, s6
	s_delay_alu instid0(SALU_CYCLE_1)
	s_and_not1_b32 vcc_lo, exec_lo, s102
	s_mov_b32 s6, -1
	s_cbranch_vccnz .LBB34_5
.LBB34_15:                              ;   in Loop: Header=BB34_3 Depth=1
	v_readlane_b32 s10, v84, 14
	s_mov_b32 s69, 0
                                        ; implicit-def: $vgpr36_vgpr37
	s_wait_xcnt 0x0
	s_and_saveexec_b32 s6, s10
	s_delay_alu instid0(SALU_CYCLE_1)
	s_xor_b32 s10, exec_lo, s6
	s_cbranch_execnz .LBB34_1018
; %bb.16:                               ;   in Loop: Header=BB34_3 Depth=1
	s_and_not1_saveexec_b32 s10, s10
	s_cbranch_execnz .LBB34_1023
.LBB34_17:                              ;   in Loop: Header=BB34_3 Depth=1
	s_or_b32 exec_lo, exec_lo, s10
	s_and_saveexec_b32 s6, s69
.LBB34_18:                              ;   in Loop: Header=BB34_3 Depth=1
	ds_store_b64 v72, v[36:37]
.LBB34_19:                              ;   in Loop: Header=BB34_3 Depth=1
	s_or_b32 exec_lo, exec_lo, s6
	v_readlane_b32 s10, v84, 16
	s_and_saveexec_b32 s6, s10
	s_delay_alu instid0(SALU_CYCLE_1)
	s_xor_b32 s10, exec_lo, s6
	s_cbranch_execz .LBB34_27
; %bb.20:                               ;   in Loop: Header=BB34_3 Depth=1
	v_readlane_b32 s11, v84, 24
	s_and_saveexec_b32 s6, s11
	s_delay_alu instid0(SALU_CYCLE_1)
	s_xor_b32 s11, exec_lo, s6
	s_cbranch_execz .LBB34_24
; %bb.21:                               ;   in Loop: Header=BB34_3 Depth=1
	s_mov_b32 s6, exec_lo
	v_readlane_b32 s69, v82, 3
	s_and_b32 s69, s6, s69
	s_delay_alu instid0(SALU_CYCLE_1)
	s_mov_b32 exec_lo, s69
; %bb.22:                               ;   in Loop: Header=BB34_3 Depth=1
	ds_store_b64 v74, v[24:25]
; %bb.23:                               ;   in Loop: Header=BB34_3 Depth=1
	s_or_b32 exec_lo, exec_lo, s6
.LBB34_24:                              ;   in Loop: Header=BB34_3 Depth=1
	s_and_not1_saveexec_b32 s11, s11
	s_cbranch_execz .LBB34_26
; %bb.25:                               ;   in Loop: Header=BB34_3 Depth=1
	v_lshl_add_u64 v[36:37], v[14:15], 3, s[94:95]
	global_load_b64 v[36:37], v[36:37], off
	s_wait_loadcnt 0x0
	v_div_scale_f64 v[38:39], null, v[36:37], v[36:37], 1.0
	s_delay_alu instid0(VALU_DEP_1) | instskip(SKIP_1) | instid1(TRANS32_DEP_1)
	v_rcp_f64_e32 v[40:41], v[38:39]
	v_nop
	v_fma_f64 v[78:79], -v[38:39], v[40:41], 1.0
	s_delay_alu instid0(VALU_DEP_1) | instskip(NEXT) | instid1(VALU_DEP_1)
	v_fmac_f64_e32 v[40:41], v[40:41], v[78:79]
	v_fma_f64 v[78:79], -v[38:39], v[40:41], 1.0
	s_delay_alu instid0(VALU_DEP_1) | instskip(SKIP_1) | instid1(VALU_DEP_1)
	v_fmac_f64_e32 v[40:41], v[40:41], v[78:79]
	v_div_scale_f64 v[78:79], vcc_lo, 1.0, v[36:37], 1.0
	v_mul_f64_e32 v[80:81], v[78:79], v[40:41]
	s_delay_alu instid0(VALU_DEP_1) | instskip(NEXT) | instid1(VALU_DEP_1)
	v_fma_f64 v[38:39], -v[38:39], v[80:81], v[78:79]
	v_div_fmas_f64 v[38:39], v[38:39], v[40:41], v[80:81]
	s_delay_alu instid0(VALU_DEP_1)
	v_div_fixup_f64 v[36:37], v[38:39], v[36:37], 1.0
	ds_store_b64 v74, v[36:37]
.LBB34_26:                              ;   in Loop: Header=BB34_3 Depth=1
	s_or_b32 exec_lo, exec_lo, s11
.LBB34_27:                              ;   in Loop: Header=BB34_3 Depth=1
	s_and_not1_saveexec_b32 s10, s10
	s_cbranch_execz .LBB34_29
; %bb.28:                               ;   in Loop: Header=BB34_3 Depth=1
	v_lshl_add_u64 v[36:37], v[14:15], 3, s[94:95]
	global_load_b64 v[36:37], v[36:37], off
	s_wait_loadcnt 0x0
	v_xor_b32_e32 v37, 0x80000000, v37
	ds_store_b64 v74, v[36:37]
.LBB34_29:                              ;   in Loop: Header=BB34_3 Depth=1
	s_or_b32 exec_lo, exec_lo, s10
	v_readlane_b32 s10, v84, 18
	s_and_saveexec_b32 s6, s10
	s_delay_alu instid0(SALU_CYCLE_1)
	s_xor_b32 s10, exec_lo, s6
	s_cbranch_execz .LBB34_37
; %bb.30:                               ;   in Loop: Header=BB34_3 Depth=1
	v_readlane_b32 s11, v84, 26
	s_and_saveexec_b32 s6, s11
	s_delay_alu instid0(SALU_CYCLE_1)
	s_xor_b32 s11, exec_lo, s6
	s_cbranch_execz .LBB34_34
; %bb.31:                               ;   in Loop: Header=BB34_3 Depth=1
	s_mov_b32 s6, exec_lo
	v_readlane_b32 s69, v82, 4
	s_and_b32 s69, s6, s69
	s_delay_alu instid0(SALU_CYCLE_1)
	s_mov_b32 exec_lo, s69
; %bb.32:                               ;   in Loop: Header=BB34_3 Depth=1
	ds_store_b64 v75, v[24:25]
; %bb.33:                               ;   in Loop: Header=BB34_3 Depth=1
	s_or_b32 exec_lo, exec_lo, s6
.LBB34_34:                              ;   in Loop: Header=BB34_3 Depth=1
	s_and_not1_saveexec_b32 s11, s11
	s_cbranch_execz .LBB34_36
; %bb.35:                               ;   in Loop: Header=BB34_3 Depth=1
	v_lshl_add_u64 v[36:37], v[16:17], 3, s[94:95]
	global_load_b64 v[36:37], v[36:37], off
	s_wait_loadcnt 0x0
	v_div_scale_f64 v[38:39], null, v[36:37], v[36:37], 1.0
	s_delay_alu instid0(VALU_DEP_1) | instskip(SKIP_1) | instid1(TRANS32_DEP_1)
	v_rcp_f64_e32 v[40:41], v[38:39]
	v_nop
	v_fma_f64 v[78:79], -v[38:39], v[40:41], 1.0
	s_delay_alu instid0(VALU_DEP_1) | instskip(NEXT) | instid1(VALU_DEP_1)
	v_fmac_f64_e32 v[40:41], v[40:41], v[78:79]
	v_fma_f64 v[78:79], -v[38:39], v[40:41], 1.0
	s_delay_alu instid0(VALU_DEP_1) | instskip(SKIP_1) | instid1(VALU_DEP_1)
	v_fmac_f64_e32 v[40:41], v[40:41], v[78:79]
	v_div_scale_f64 v[78:79], vcc_lo, 1.0, v[36:37], 1.0
	v_mul_f64_e32 v[80:81], v[78:79], v[40:41]
	s_delay_alu instid0(VALU_DEP_1) | instskip(NEXT) | instid1(VALU_DEP_1)
	v_fma_f64 v[38:39], -v[38:39], v[80:81], v[78:79]
	v_div_fmas_f64 v[38:39], v[38:39], v[40:41], v[80:81]
	s_delay_alu instid0(VALU_DEP_1)
	v_div_fixup_f64 v[36:37], v[38:39], v[36:37], 1.0
	ds_store_b64 v75, v[36:37]
.LBB34_36:                              ;   in Loop: Header=BB34_3 Depth=1
	s_or_b32 exec_lo, exec_lo, s11
.LBB34_37:                              ;   in Loop: Header=BB34_3 Depth=1
	s_and_not1_saveexec_b32 s10, s10
	s_cbranch_execz .LBB34_39
; %bb.38:                               ;   in Loop: Header=BB34_3 Depth=1
	v_lshl_add_u64 v[36:37], v[16:17], 3, s[94:95]
	global_load_b64 v[36:37], v[36:37], off
	s_wait_loadcnt 0x0
	v_xor_b32_e32 v37, 0x80000000, v37
	ds_store_b64 v75, v[36:37]
.LBB34_39:                              ;   in Loop: Header=BB34_3 Depth=1
	;; [unrolled: 59-line block ×3, first 2 shown]
	s_or_b32 exec_lo, exec_lo, s10
	s_branch .LBB34_85
.LBB34_50:                              ;   in Loop: Header=BB34_3 Depth=1
	v_readlane_b32 s10, v84, 15
	s_mov_b32 s69, 0
                                        ; implicit-def: $vgpr36_vgpr37
	s_wait_xcnt 0x0
	s_and_saveexec_b32 s6, s10
	s_delay_alu instid0(SALU_CYCLE_1)
	s_xor_b32 s10, exec_lo, s6
	s_cbranch_execnz .LBB34_1024
; %bb.51:                               ;   in Loop: Header=BB34_3 Depth=1
	s_and_not1_saveexec_b32 s10, s10
	s_cbranch_execnz .LBB34_1029
.LBB34_52:                              ;   in Loop: Header=BB34_3 Depth=1
	s_or_b32 exec_lo, exec_lo, s10
	s_and_saveexec_b32 s6, s69
.LBB34_53:                              ;   in Loop: Header=BB34_3 Depth=1
	ds_store_b64 v72, v[36:37]
.LBB34_54:                              ;   in Loop: Header=BB34_3 Depth=1
	s_or_b32 exec_lo, exec_lo, s6
	v_readlane_b32 s10, v84, 17
	s_and_saveexec_b32 s6, s10
	s_delay_alu instid0(SALU_CYCLE_1)
	s_xor_b32 s10, exec_lo, s6
	s_cbranch_execz .LBB34_62
; %bb.55:                               ;   in Loop: Header=BB34_3 Depth=1
	v_readlane_b32 s11, v84, 25
	s_and_saveexec_b32 s6, s11
	s_delay_alu instid0(SALU_CYCLE_1)
	s_xor_b32 s11, exec_lo, s6
	s_cbranch_execz .LBB34_59
; %bb.56:                               ;   in Loop: Header=BB34_3 Depth=1
	s_mov_b32 s6, exec_lo
	v_readlane_b32 s69, v82, 3
	s_and_b32 s69, s6, s69
	s_delay_alu instid0(SALU_CYCLE_1)
	s_mov_b32 exec_lo, s69
; %bb.57:                               ;   in Loop: Header=BB34_3 Depth=1
	ds_store_b64 v74, v[24:25]
; %bb.58:                               ;   in Loop: Header=BB34_3 Depth=1
	s_or_b32 exec_lo, exec_lo, s6
.LBB34_59:                              ;   in Loop: Header=BB34_3 Depth=1
	s_and_not1_saveexec_b32 s11, s11
	s_cbranch_execz .LBB34_61
; %bb.60:                               ;   in Loop: Header=BB34_3 Depth=1
	v_lshl_add_u64 v[36:37], v[14:15], 3, s[94:95]
	global_load_b64 v[36:37], v[36:37], off
	s_wait_loadcnt 0x0
	v_div_scale_f64 v[38:39], null, v[36:37], v[36:37], 1.0
	s_delay_alu instid0(VALU_DEP_1) | instskip(SKIP_1) | instid1(TRANS32_DEP_1)
	v_rcp_f64_e32 v[40:41], v[38:39]
	v_nop
	v_fma_f64 v[78:79], -v[38:39], v[40:41], 1.0
	s_delay_alu instid0(VALU_DEP_1) | instskip(NEXT) | instid1(VALU_DEP_1)
	v_fmac_f64_e32 v[40:41], v[40:41], v[78:79]
	v_fma_f64 v[78:79], -v[38:39], v[40:41], 1.0
	s_delay_alu instid0(VALU_DEP_1) | instskip(SKIP_1) | instid1(VALU_DEP_1)
	v_fmac_f64_e32 v[40:41], v[40:41], v[78:79]
	v_div_scale_f64 v[78:79], vcc_lo, 1.0, v[36:37], 1.0
	v_mul_f64_e32 v[80:81], v[78:79], v[40:41]
	s_delay_alu instid0(VALU_DEP_1) | instskip(NEXT) | instid1(VALU_DEP_1)
	v_fma_f64 v[38:39], -v[38:39], v[80:81], v[78:79]
	v_div_fmas_f64 v[38:39], v[38:39], v[40:41], v[80:81]
	s_delay_alu instid0(VALU_DEP_1)
	v_div_fixup_f64 v[36:37], v[38:39], v[36:37], 1.0
	ds_store_b64 v74, v[36:37]
.LBB34_61:                              ;   in Loop: Header=BB34_3 Depth=1
	s_or_b32 exec_lo, exec_lo, s11
.LBB34_62:                              ;   in Loop: Header=BB34_3 Depth=1
	s_and_not1_saveexec_b32 s10, s10
	s_cbranch_execz .LBB34_64
; %bb.63:                               ;   in Loop: Header=BB34_3 Depth=1
	v_lshl_add_u64 v[36:37], v[14:15], 3, s[94:95]
	global_load_b64 v[36:37], v[36:37], off
	s_wait_loadcnt 0x0
	v_xor_b32_e32 v37, 0x80000000, v37
	ds_store_b64 v74, v[36:37]
.LBB34_64:                              ;   in Loop: Header=BB34_3 Depth=1
	s_or_b32 exec_lo, exec_lo, s10
	v_readlane_b32 s10, v84, 19
	s_and_saveexec_b32 s6, s10
	s_delay_alu instid0(SALU_CYCLE_1)
	s_xor_b32 s10, exec_lo, s6
	s_cbranch_execz .LBB34_72
; %bb.65:                               ;   in Loop: Header=BB34_3 Depth=1
	v_readlane_b32 s11, v84, 27
	s_and_saveexec_b32 s6, s11
	s_delay_alu instid0(SALU_CYCLE_1)
	s_xor_b32 s11, exec_lo, s6
	s_cbranch_execz .LBB34_69
; %bb.66:                               ;   in Loop: Header=BB34_3 Depth=1
	s_mov_b32 s6, exec_lo
	v_readlane_b32 s69, v82, 4
	s_and_b32 s69, s6, s69
	s_delay_alu instid0(SALU_CYCLE_1)
	s_mov_b32 exec_lo, s69
; %bb.67:                               ;   in Loop: Header=BB34_3 Depth=1
	ds_store_b64 v75, v[24:25]
; %bb.68:                               ;   in Loop: Header=BB34_3 Depth=1
	s_or_b32 exec_lo, exec_lo, s6
.LBB34_69:                              ;   in Loop: Header=BB34_3 Depth=1
	s_and_not1_saveexec_b32 s11, s11
	s_cbranch_execz .LBB34_71
; %bb.70:                               ;   in Loop: Header=BB34_3 Depth=1
	v_lshl_add_u64 v[36:37], v[16:17], 3, s[94:95]
	global_load_b64 v[36:37], v[36:37], off
	s_wait_loadcnt 0x0
	v_div_scale_f64 v[38:39], null, v[36:37], v[36:37], 1.0
	s_delay_alu instid0(VALU_DEP_1) | instskip(SKIP_1) | instid1(TRANS32_DEP_1)
	v_rcp_f64_e32 v[40:41], v[38:39]
	v_nop
	v_fma_f64 v[78:79], -v[38:39], v[40:41], 1.0
	s_delay_alu instid0(VALU_DEP_1) | instskip(NEXT) | instid1(VALU_DEP_1)
	v_fmac_f64_e32 v[40:41], v[40:41], v[78:79]
	v_fma_f64 v[78:79], -v[38:39], v[40:41], 1.0
	s_delay_alu instid0(VALU_DEP_1) | instskip(SKIP_1) | instid1(VALU_DEP_1)
	v_fmac_f64_e32 v[40:41], v[40:41], v[78:79]
	v_div_scale_f64 v[78:79], vcc_lo, 1.0, v[36:37], 1.0
	v_mul_f64_e32 v[80:81], v[78:79], v[40:41]
	s_delay_alu instid0(VALU_DEP_1) | instskip(NEXT) | instid1(VALU_DEP_1)
	v_fma_f64 v[38:39], -v[38:39], v[80:81], v[78:79]
	v_div_fmas_f64 v[38:39], v[38:39], v[40:41], v[80:81]
	s_delay_alu instid0(VALU_DEP_1)
	v_div_fixup_f64 v[36:37], v[38:39], v[36:37], 1.0
	ds_store_b64 v75, v[36:37]
.LBB34_71:                              ;   in Loop: Header=BB34_3 Depth=1
	s_or_b32 exec_lo, exec_lo, s11
.LBB34_72:                              ;   in Loop: Header=BB34_3 Depth=1
	s_and_not1_saveexec_b32 s10, s10
	s_cbranch_execz .LBB34_74
; %bb.73:                               ;   in Loop: Header=BB34_3 Depth=1
	v_lshl_add_u64 v[36:37], v[16:17], 3, s[94:95]
	global_load_b64 v[36:37], v[36:37], off
	s_wait_loadcnt 0x0
	v_xor_b32_e32 v37, 0x80000000, v37
	ds_store_b64 v75, v[36:37]
.LBB34_74:                              ;   in Loop: Header=BB34_3 Depth=1
	;; [unrolled: 59-line block ×3, first 2 shown]
	s_or_b32 exec_lo, exec_lo, s10
.LBB34_85:                              ;   in Loop: Header=BB34_3 Depth=1
	s_delay_alu instid0(SALU_CYCLE_1)
	s_and_not1_b32 vcc_lo, exec_lo, s103
	s_wait_loadcnt_dscnt 0x0
	s_barrier_signal -1
	s_barrier_wait -1
	s_cbranch_vccnz .LBB34_951
; %bb.86:                               ;   in Loop: Header=BB34_3 Depth=1
	s_and_saveexec_b32 s10, s14
	s_cbranch_execz .LBB34_88
; %bb.87:                               ;   in Loop: Header=BB34_3 Depth=1
	ds_load_b128 v[36:39], v1
	ds_load_b64 v[40:41], v1 offset:520
	s_wait_dscnt 0x0
	v_mul_f64_e32 v[36:37], v[36:37], v[40:41]
	s_delay_alu instid0(VALU_DEP_1)
	v_mul_f64_e32 v[36:37], v[38:39], v[36:37]
	ds_store_b64 v1, v[36:37] offset:8
.LBB34_88:                              ;   in Loop: Header=BB34_3 Depth=1
	s_or_b32 exec_lo, exec_lo, s10
	v_mov_b64_e32 v[36:37], 0
	s_wait_dscnt 0x0
	s_barrier_signal -1
	s_barrier_wait -1
	s_and_saveexec_b32 s10, s1
	s_cbranch_execz .LBB34_92
; %bb.89:                               ;   in Loop: Header=BB34_3 Depth=1
	ds_load_b64 v[36:37], v44 offset:16
	ds_load_b64 v[38:39], v45
	s_wait_dscnt 0x0
	v_fma_f64 v[36:37], v[36:37], v[38:39], 0
	s_and_saveexec_b32 s6, s15
	s_cbranch_execz .LBB34_91
; %bb.90:                               ;   in Loop: Header=BB34_3 Depth=1
	ds_load_b64 v[38:39], v46 offset:528
	ds_load_b64 v[40:41], v1 offset:8
	s_wait_dscnt 0x0
	v_fmac_f64_e32 v[36:37], v[38:39], v[40:41]
.LBB34_91:                              ;   in Loop: Header=BB34_3 Depth=1
	s_or_b32 exec_lo, exec_lo, s6
	s_delay_alu instid0(VALU_DEP_1)
	v_xor_b32_e32 v37, 0x80000000, v37
.LBB34_92:                              ;   in Loop: Header=BB34_3 Depth=1
	s_or_b32 exec_lo, exec_lo, s10
	s_and_saveexec_b32 s6, s104
	s_cbranch_execz .LBB34_94
; %bb.93:                               ;   in Loop: Header=BB34_3 Depth=1
	ds_load_b64 v[38:39], v1 offset:1040
	s_wait_dscnt 0x0
	v_mul_f64_e32 v[36:37], v[36:37], v[38:39]
	ds_store_b64 v3, v[36:37]
.LBB34_94:                              ;   in Loop: Header=BB34_3 Depth=1
	s_or_b32 exec_lo, exec_lo, s6
	s_wait_dscnt 0x0
	s_barrier_signal -1
	s_barrier_wait -1
	s_and_saveexec_b32 s6, vcc_hi
	s_cbranch_execz .LBB34_96
; %bb.95:                               ;   in Loop: Header=BB34_3 Depth=1
	ds_load_b64 v[38:39], v1 offset:1048
	ds_load_b64 v[40:41], v3
	s_wait_dscnt 0x0
	v_fmac_f64_e32 v[36:37], v[38:39], v[40:41]
.LBB34_96:                              ;   in Loop: Header=BB34_3 Depth=1
	s_or_b32 exec_lo, exec_lo, s6
	s_barrier_signal -1
	s_barrier_wait -1
	s_and_saveexec_b32 s6, vcc_hi
	s_cbranch_execz .LBB34_98
; %bb.97:                               ;   in Loop: Header=BB34_3 Depth=1
	ds_load_b64 v[38:39], v1 offset:1560
	s_wait_dscnt 0x0
	v_mul_f64_e32 v[36:37], v[36:37], v[38:39]
	ds_store_b64 v3, v[36:37]
.LBB34_98:                              ;   in Loop: Header=BB34_3 Depth=1
	s_or_b32 exec_lo, exec_lo, s6
	s_wait_dscnt 0x0
	s_barrier_signal -1
	s_barrier_wait -1
	s_barrier_signal -1
	s_barrier_wait -1
	s_and_saveexec_b32 s6, s1
; %bb.99:                               ;   in Loop: Header=BB34_3 Depth=1
	s_delay_alu instid0(VALU_DEP_1)
	v_xor_b32_e32 v37, 0x80000000, v37
	ds_store_b64 v44, v[36:37] offset:16
; %bb.100:                              ;   in Loop: Header=BB34_3 Depth=1
	s_or_b32 exec_lo, exec_lo, s6
	s_wait_dscnt 0x0
	s_barrier_signal -1
	s_barrier_wait -1
	s_barrier_signal -1
	s_barrier_wait -1
	s_and_saveexec_b32 s10, s14
	s_cbranch_execz .LBB34_102
; %bb.101:                              ;   in Loop: Header=BB34_3 Depth=1
	ds_load_b128 v[36:39], v1 offset:1040
	ds_load_b64 v[40:41], v1 offset:1560
	s_wait_dscnt 0x0
	v_mul_f64_e32 v[36:37], v[36:37], v[40:41]
	s_delay_alu instid0(VALU_DEP_1)
	v_mul_f64_e32 v[36:37], v[38:39], v[36:37]
	ds_store_b64 v1, v[36:37] offset:1048
.LBB34_102:                             ;   in Loop: Header=BB34_3 Depth=1
	s_or_b32 exec_lo, exec_lo, s10
	v_mov_b64_e32 v[36:37], 0
	s_wait_dscnt 0x0
	s_barrier_signal -1
	s_barrier_wait -1
	s_and_saveexec_b32 s10, s2
	s_cbranch_execz .LBB34_108
; %bb.103:                              ;   in Loop: Header=BB34_3 Depth=1
	ds_load_b64 v[36:37], v50 offset:32
	ds_load_b64 v[38:39], v47
	s_wait_dscnt 0x0
	v_fma_f64 v[36:37], v[36:37], v[38:39], 0
	s_and_saveexec_b32 s6, s16
	s_cbranch_execnz .LBB34_1035
; %bb.104:                              ;   in Loop: Header=BB34_3 Depth=1
	s_or_b32 exec_lo, exec_lo, s6
	s_and_saveexec_b32 s6, s17
	s_cbranch_execnz .LBB34_1036
.LBB34_105:                             ;   in Loop: Header=BB34_3 Depth=1
	s_or_b32 exec_lo, exec_lo, s6
	s_and_saveexec_b32 s6, s1
	s_cbranch_execz .LBB34_107
.LBB34_106:                             ;   in Loop: Header=BB34_3 Depth=1
	ds_load_b64 v[38:39], v46 offset:1568
	ds_load_b64 v[40:41], v1 offset:24
	s_wait_dscnt 0x0
	v_fmac_f64_e32 v[36:37], v[38:39], v[40:41]
.LBB34_107:                             ;   in Loop: Header=BB34_3 Depth=1
	s_or_b32 exec_lo, exec_lo, s6
	s_delay_alu instid0(VALU_DEP_1)
	v_xor_b32_e32 v37, 0x80000000, v37
.LBB34_108:                             ;   in Loop: Header=BB34_3 Depth=1
	s_or_b32 exec_lo, exec_lo, s10
	s_and_saveexec_b32 s6, s36
	s_cbranch_execz .LBB34_110
; %bb.109:                              ;   in Loop: Header=BB34_3 Depth=1
	ds_load_b64 v[38:39], v1 offset:2080
	s_wait_dscnt 0x0
	v_mul_f64_e32 v[36:37], v[36:37], v[38:39]
	ds_store_b64 v48, v[36:37]
.LBB34_110:                             ;   in Loop: Header=BB34_3 Depth=1
	s_or_b32 exec_lo, exec_lo, s6
	s_wait_dscnt 0x0
	s_barrier_signal -1
	s_barrier_wait -1
	s_and_saveexec_b32 s6, s37
	s_cbranch_execz .LBB34_112
; %bb.111:                              ;   in Loop: Header=BB34_3 Depth=1
	ds_load_b64 v[38:39], v49 offset:2080
	ds_load_b64 v[40:41], v48
	s_wait_dscnt 0x0
	v_fmac_f64_e32 v[36:37], v[38:39], v[40:41]
.LBB34_112:                             ;   in Loop: Header=BB34_3 Depth=1
	s_or_b32 exec_lo, exec_lo, s6
	s_barrier_signal -1
	s_barrier_wait -1
	s_and_saveexec_b32 s6, s38
	s_cbranch_execz .LBB34_114
; %bb.113:                              ;   in Loop: Header=BB34_3 Depth=1
	ds_load_b64 v[38:39], v1 offset:2600
	s_wait_dscnt 0x0
	v_mul_f64_e32 v[36:37], v[36:37], v[38:39]
	ds_store_b64 v48, v[36:37]
.LBB34_114:                             ;   in Loop: Header=BB34_3 Depth=1
	s_or_b32 exec_lo, exec_lo, s6
	s_wait_dscnt 0x0
	s_barrier_signal -1
	s_barrier_wait -1
	s_and_saveexec_b32 s6, s39
	s_cbranch_execz .LBB34_116
; %bb.115:                              ;   in Loop: Header=BB34_3 Depth=1
	ds_load_b64 v[38:39], v49 offset:2592
	ds_load_b64 v[40:41], v48
	s_wait_dscnt 0x0
	v_fmac_f64_e32 v[36:37], v[38:39], v[40:41]
.LBB34_116:                             ;   in Loop: Header=BB34_3 Depth=1
	s_or_b32 exec_lo, exec_lo, s6
	s_barrier_signal -1
	s_barrier_wait -1
	;; [unrolled: 23-line block ×3, first 2 shown]
	s_and_saveexec_b32 s6, s41
	s_cbranch_execz .LBB34_122
; %bb.121:                              ;   in Loop: Header=BB34_3 Depth=1
	ds_load_b64 v[38:39], v1 offset:3640
	s_wait_dscnt 0x0
	v_mul_f64_e32 v[36:37], v[36:37], v[38:39]
	ds_store_b64 v48, v[36:37]
.LBB34_122:                             ;   in Loop: Header=BB34_3 Depth=1
	s_or_b32 exec_lo, exec_lo, s6
	s_wait_dscnt 0x0
	s_barrier_signal -1
	s_barrier_wait -1
	s_barrier_signal -1
	s_barrier_wait -1
	s_and_saveexec_b32 s6, s2
; %bb.123:                              ;   in Loop: Header=BB34_3 Depth=1
	s_delay_alu instid0(VALU_DEP_1)
	v_xor_b32_e32 v37, 0x80000000, v37
	ds_store_b64 v50, v[36:37] offset:32
; %bb.124:                              ;   in Loop: Header=BB34_3 Depth=1
	s_or_b32 exec_lo, exec_lo, s6
	s_wait_dscnt 0x0
	s_barrier_signal -1
	s_barrier_wait -1
	s_barrier_signal -1
	s_barrier_wait -1
	s_and_saveexec_b32 s10, s14
	s_cbranch_execz .LBB34_126
; %bb.125:                              ;   in Loop: Header=BB34_3 Depth=1
	ds_load_b128 v[36:39], v1 offset:2080
	ds_load_b64 v[40:41], v1 offset:2600
	s_wait_dscnt 0x0
	v_mul_f64_e32 v[36:37], v[36:37], v[40:41]
	s_delay_alu instid0(VALU_DEP_1)
	v_mul_f64_e32 v[36:37], v[38:39], v[36:37]
	ds_store_b64 v1, v[36:37] offset:2088
.LBB34_126:                             ;   in Loop: Header=BB34_3 Depth=1
	s_or_b32 exec_lo, exec_lo, s10
	v_mov_b64_e32 v[36:37], 0
	s_wait_dscnt 0x0
	s_barrier_signal -1
	s_barrier_wait -1
	s_and_saveexec_b32 s10, s1
	s_cbranch_execz .LBB34_130
; %bb.127:                              ;   in Loop: Header=BB34_3 Depth=1
	ds_load_b64 v[36:37], v44 offset:2096
	ds_load_b64 v[38:39], v45 offset:2080
	s_wait_dscnt 0x0
	v_fma_f64 v[36:37], v[36:37], v[38:39], 0
	s_and_saveexec_b32 s6, s15
	s_cbranch_execz .LBB34_129
; %bb.128:                              ;   in Loop: Header=BB34_3 Depth=1
	ds_load_b64 v[38:39], v46 offset:2608
	ds_load_b64 v[40:41], v1 offset:2088
	s_wait_dscnt 0x0
	v_fmac_f64_e32 v[36:37], v[38:39], v[40:41]
.LBB34_129:                             ;   in Loop: Header=BB34_3 Depth=1
	s_or_b32 exec_lo, exec_lo, s6
	s_delay_alu instid0(VALU_DEP_1)
	v_xor_b32_e32 v37, 0x80000000, v37
.LBB34_130:                             ;   in Loop: Header=BB34_3 Depth=1
	s_or_b32 exec_lo, exec_lo, s10
	s_and_saveexec_b32 s6, s104
	s_cbranch_execz .LBB34_132
; %bb.131:                              ;   in Loop: Header=BB34_3 Depth=1
	ds_load_b64 v[38:39], v1 offset:3120
	s_wait_dscnt 0x0
	v_mul_f64_e32 v[36:37], v[36:37], v[38:39]
	ds_store_b64 v3, v[36:37]
.LBB34_132:                             ;   in Loop: Header=BB34_3 Depth=1
	s_or_b32 exec_lo, exec_lo, s6
	s_wait_dscnt 0x0
	s_barrier_signal -1
	s_barrier_wait -1
	s_and_saveexec_b32 s6, vcc_hi
	s_cbranch_execz .LBB34_134
; %bb.133:                              ;   in Loop: Header=BB34_3 Depth=1
	ds_load_b64 v[38:39], v1 offset:3128
	ds_load_b64 v[40:41], v3
	s_wait_dscnt 0x0
	v_fmac_f64_e32 v[36:37], v[38:39], v[40:41]
.LBB34_134:                             ;   in Loop: Header=BB34_3 Depth=1
	s_or_b32 exec_lo, exec_lo, s6
	s_barrier_signal -1
	s_barrier_wait -1
	s_and_saveexec_b32 s6, vcc_hi
	s_cbranch_execz .LBB34_136
; %bb.135:                              ;   in Loop: Header=BB34_3 Depth=1
	ds_load_b64 v[38:39], v1 offset:3640
	s_wait_dscnt 0x0
	v_mul_f64_e32 v[36:37], v[36:37], v[38:39]
	ds_store_b64 v3, v[36:37]
.LBB34_136:                             ;   in Loop: Header=BB34_3 Depth=1
	s_or_b32 exec_lo, exec_lo, s6
	s_wait_dscnt 0x0
	s_barrier_signal -1
	s_barrier_wait -1
	s_barrier_signal -1
	s_barrier_wait -1
	s_and_saveexec_b32 s6, s1
; %bb.137:                              ;   in Loop: Header=BB34_3 Depth=1
	s_delay_alu instid0(VALU_DEP_1)
	v_xor_b32_e32 v37, 0x80000000, v37
	ds_store_b64 v44, v[36:37] offset:2096
; %bb.138:                              ;   in Loop: Header=BB34_3 Depth=1
	s_or_b32 exec_lo, exec_lo, s6
	s_wait_dscnt 0x0
	s_barrier_signal -1
	s_barrier_wait -1
	s_barrier_signal -1
	s_barrier_wait -1
	s_and_saveexec_b32 s10, s14
	s_cbranch_execz .LBB34_140
; %bb.139:                              ;   in Loop: Header=BB34_3 Depth=1
	ds_load_b128 v[36:39], v1 offset:3120
	ds_load_b64 v[40:41], v1 offset:3640
	s_wait_dscnt 0x0
	v_mul_f64_e32 v[36:37], v[36:37], v[40:41]
	s_delay_alu instid0(VALU_DEP_1)
	v_mul_f64_e32 v[36:37], v[38:39], v[36:37]
	ds_store_b64 v1, v[36:37] offset:3128
.LBB34_140:                             ;   in Loop: Header=BB34_3 Depth=1
	s_or_b32 exec_lo, exec_lo, s10
	v_mov_b64_e32 v[36:37], 0
	s_wait_dscnt 0x0
	s_barrier_signal -1
	s_barrier_wait -1
	s_and_saveexec_b32 s10, s3
	s_cbranch_execz .LBB34_150
; %bb.141:                              ;   in Loop: Header=BB34_3 Depth=1
	ds_load_b64 v[36:37], v55 offset:64
	ds_load_b64 v[38:39], v52
	s_wait_dscnt 0x0
	v_fma_f64 v[36:37], v[36:37], v[38:39], 0
	s_and_saveexec_b32 s6, s18
	s_cbranch_execnz .LBB34_1037
; %bb.142:                              ;   in Loop: Header=BB34_3 Depth=1
	s_or_b32 exec_lo, exec_lo, s6
	s_and_saveexec_b32 s6, s19
	s_cbranch_execnz .LBB34_1038
.LBB34_143:                             ;   in Loop: Header=BB34_3 Depth=1
	s_or_b32 exec_lo, exec_lo, s6
	s_and_saveexec_b32 s6, s20
	s_cbranch_execnz .LBB34_1039
.LBB34_144:                             ;   in Loop: Header=BB34_3 Depth=1
	s_or_b32 exec_lo, exec_lo, s6
	s_and_saveexec_b32 s6, s21
	s_cbranch_execnz .LBB34_1040
.LBB34_145:                             ;   in Loop: Header=BB34_3 Depth=1
	s_or_b32 exec_lo, exec_lo, s6
	s_and_saveexec_b32 s6, s22
	s_cbranch_execnz .LBB34_1041
.LBB34_146:                             ;   in Loop: Header=BB34_3 Depth=1
	s_or_b32 exec_lo, exec_lo, s6
	s_and_saveexec_b32 s6, s2
	s_cbranch_execnz .LBB34_1042
.LBB34_147:                             ;   in Loop: Header=BB34_3 Depth=1
	s_or_b32 exec_lo, exec_lo, s6
	s_and_saveexec_b32 s6, s17
	s_cbranch_execz .LBB34_149
.LBB34_148:                             ;   in Loop: Header=BB34_3 Depth=1
	ds_load_b64 v[38:39], v46 offset:3648
	ds_load_b64 v[40:41], v1 offset:56
	s_wait_dscnt 0x0
	v_fmac_f64_e32 v[36:37], v[38:39], v[40:41]
.LBB34_149:                             ;   in Loop: Header=BB34_3 Depth=1
	s_or_b32 exec_lo, exec_lo, s6
	s_delay_alu instid0(VALU_DEP_1)
	v_xor_b32_e32 v37, 0x80000000, v37
.LBB34_150:                             ;   in Loop: Header=BB34_3 Depth=1
	s_or_b32 exec_lo, exec_lo, s10
	s_and_saveexec_b32 s6, s42
	s_cbranch_execz .LBB34_152
; %bb.151:                              ;   in Loop: Header=BB34_3 Depth=1
	ds_load_b64 v[38:39], v1 offset:4160
	s_wait_dscnt 0x0
	v_mul_f64_e32 v[36:37], v[36:37], v[38:39]
	ds_store_b64 v54, v[36:37]
.LBB34_152:                             ;   in Loop: Header=BB34_3 Depth=1
	s_or_b32 exec_lo, exec_lo, s6
	s_wait_dscnt 0x0
	s_barrier_signal -1
	s_barrier_wait -1
	s_and_saveexec_b32 s6, s43
	s_cbranch_execz .LBB34_154
; %bb.153:                              ;   in Loop: Header=BB34_3 Depth=1
	ds_load_b64 v[38:39], v53 offset:4160
	ds_load_b64 v[40:41], v54
	s_wait_dscnt 0x0
	v_fmac_f64_e32 v[36:37], v[38:39], v[40:41]
.LBB34_154:                             ;   in Loop: Header=BB34_3 Depth=1
	s_or_b32 exec_lo, exec_lo, s6
	s_barrier_signal -1
	s_barrier_wait -1
	s_and_saveexec_b32 s6, s44
	s_cbranch_execz .LBB34_156
; %bb.155:                              ;   in Loop: Header=BB34_3 Depth=1
	ds_load_b64 v[38:39], v1 offset:4680
	s_wait_dscnt 0x0
	v_mul_f64_e32 v[36:37], v[36:37], v[38:39]
	ds_store_b64 v54, v[36:37]
.LBB34_156:                             ;   in Loop: Header=BB34_3 Depth=1
	s_or_b32 exec_lo, exec_lo, s6
	s_wait_dscnt 0x0
	s_barrier_signal -1
	s_barrier_wait -1
	s_and_saveexec_b32 s6, s45
	s_cbranch_execz .LBB34_158
; %bb.157:                              ;   in Loop: Header=BB34_3 Depth=1
	ds_load_b64 v[38:39], v53 offset:4672
	ds_load_b64 v[40:41], v54
	s_wait_dscnt 0x0
	v_fmac_f64_e32 v[36:37], v[38:39], v[40:41]
.LBB34_158:                             ;   in Loop: Header=BB34_3 Depth=1
	s_or_b32 exec_lo, exec_lo, s6
	s_barrier_signal -1
	s_barrier_wait -1
	;; [unrolled: 23-line block ×7, first 2 shown]
	s_and_saveexec_b32 s6, s55
	s_cbranch_execz .LBB34_180
; %bb.179:                              ;   in Loop: Header=BB34_3 Depth=1
	ds_load_b64 v[38:39], v1 offset:7800
	s_wait_dscnt 0x0
	v_mul_f64_e32 v[36:37], v[36:37], v[38:39]
	ds_store_b64 v54, v[36:37]
.LBB34_180:                             ;   in Loop: Header=BB34_3 Depth=1
	s_or_b32 exec_lo, exec_lo, s6
	s_wait_dscnt 0x0
	s_barrier_signal -1
	s_barrier_wait -1
	s_barrier_signal -1
	s_barrier_wait -1
	s_and_saveexec_b32 s6, s3
; %bb.181:                              ;   in Loop: Header=BB34_3 Depth=1
	s_delay_alu instid0(VALU_DEP_1)
	v_xor_b32_e32 v37, 0x80000000, v37
	ds_store_b64 v55, v[36:37] offset:64
; %bb.182:                              ;   in Loop: Header=BB34_3 Depth=1
	s_or_b32 exec_lo, exec_lo, s6
	s_wait_dscnt 0x0
	s_barrier_signal -1
	s_barrier_wait -1
	s_barrier_signal -1
	s_barrier_wait -1
	s_and_saveexec_b32 s10, s14
	s_cbranch_execz .LBB34_184
; %bb.183:                              ;   in Loop: Header=BB34_3 Depth=1
	ds_load_b128 v[36:39], v1 offset:4160
	ds_load_b64 v[40:41], v1 offset:4680
	s_wait_dscnt 0x0
	v_mul_f64_e32 v[36:37], v[36:37], v[40:41]
	s_delay_alu instid0(VALU_DEP_1)
	v_mul_f64_e32 v[36:37], v[38:39], v[36:37]
	ds_store_b64 v1, v[36:37] offset:4168
.LBB34_184:                             ;   in Loop: Header=BB34_3 Depth=1
	s_or_b32 exec_lo, exec_lo, s10
	v_mov_b64_e32 v[36:37], 0
	s_wait_dscnt 0x0
	s_barrier_signal -1
	s_barrier_wait -1
	s_and_saveexec_b32 s10, s1
	s_cbranch_execz .LBB34_188
; %bb.185:                              ;   in Loop: Header=BB34_3 Depth=1
	ds_load_b64 v[36:37], v44 offset:4176
	ds_load_b64 v[38:39], v45 offset:4160
	s_wait_dscnt 0x0
	v_fma_f64 v[36:37], v[36:37], v[38:39], 0
	s_and_saveexec_b32 s6, s15
	s_cbranch_execz .LBB34_187
; %bb.186:                              ;   in Loop: Header=BB34_3 Depth=1
	ds_load_b64 v[38:39], v46 offset:4688
	ds_load_b64 v[40:41], v1 offset:4168
	s_wait_dscnt 0x0
	v_fmac_f64_e32 v[36:37], v[38:39], v[40:41]
.LBB34_187:                             ;   in Loop: Header=BB34_3 Depth=1
	s_or_b32 exec_lo, exec_lo, s6
	s_delay_alu instid0(VALU_DEP_1)
	v_xor_b32_e32 v37, 0x80000000, v37
.LBB34_188:                             ;   in Loop: Header=BB34_3 Depth=1
	s_or_b32 exec_lo, exec_lo, s10
	s_and_saveexec_b32 s6, s104
	s_cbranch_execz .LBB34_190
; %bb.189:                              ;   in Loop: Header=BB34_3 Depth=1
	ds_load_b64 v[38:39], v1 offset:5200
	s_wait_dscnt 0x0
	v_mul_f64_e32 v[36:37], v[36:37], v[38:39]
	ds_store_b64 v3, v[36:37]
.LBB34_190:                             ;   in Loop: Header=BB34_3 Depth=1
	s_or_b32 exec_lo, exec_lo, s6
	s_wait_dscnt 0x0
	s_barrier_signal -1
	s_barrier_wait -1
	s_and_saveexec_b32 s6, vcc_hi
	s_cbranch_execz .LBB34_192
; %bb.191:                              ;   in Loop: Header=BB34_3 Depth=1
	ds_load_b64 v[38:39], v1 offset:5208
	ds_load_b64 v[40:41], v3
	s_wait_dscnt 0x0
	v_fmac_f64_e32 v[36:37], v[38:39], v[40:41]
.LBB34_192:                             ;   in Loop: Header=BB34_3 Depth=1
	s_or_b32 exec_lo, exec_lo, s6
	s_barrier_signal -1
	s_barrier_wait -1
	s_and_saveexec_b32 s6, vcc_hi
	s_cbranch_execz .LBB34_194
; %bb.193:                              ;   in Loop: Header=BB34_3 Depth=1
	ds_load_b64 v[38:39], v1 offset:5720
	s_wait_dscnt 0x0
	v_mul_f64_e32 v[36:37], v[36:37], v[38:39]
	ds_store_b64 v3, v[36:37]
.LBB34_194:                             ;   in Loop: Header=BB34_3 Depth=1
	s_or_b32 exec_lo, exec_lo, s6
	s_wait_dscnt 0x0
	s_barrier_signal -1
	s_barrier_wait -1
	s_barrier_signal -1
	s_barrier_wait -1
	s_and_saveexec_b32 s6, s1
; %bb.195:                              ;   in Loop: Header=BB34_3 Depth=1
	s_delay_alu instid0(VALU_DEP_1)
	v_xor_b32_e32 v37, 0x80000000, v37
	ds_store_b64 v44, v[36:37] offset:4176
; %bb.196:                              ;   in Loop: Header=BB34_3 Depth=1
	s_or_b32 exec_lo, exec_lo, s6
	s_wait_dscnt 0x0
	s_barrier_signal -1
	s_barrier_wait -1
	s_barrier_signal -1
	s_barrier_wait -1
	s_and_saveexec_b32 s10, s14
	s_cbranch_execz .LBB34_198
; %bb.197:                              ;   in Loop: Header=BB34_3 Depth=1
	ds_load_b128 v[36:39], v1 offset:5200
	ds_load_b64 v[40:41], v1 offset:5720
	s_wait_dscnt 0x0
	v_mul_f64_e32 v[36:37], v[36:37], v[40:41]
	s_delay_alu instid0(VALU_DEP_1)
	v_mul_f64_e32 v[36:37], v[38:39], v[36:37]
	ds_store_b64 v1, v[36:37] offset:5208
.LBB34_198:                             ;   in Loop: Header=BB34_3 Depth=1
	s_or_b32 exec_lo, exec_lo, s10
	v_mov_b64_e32 v[36:37], 0
	s_wait_dscnt 0x0
	s_barrier_signal -1
	s_barrier_wait -1
	s_and_saveexec_b32 s10, s2
	s_cbranch_execz .LBB34_204
; %bb.199:                              ;   in Loop: Header=BB34_3 Depth=1
	ds_load_b64 v[36:37], v50 offset:4192
	ds_load_b64 v[38:39], v47 offset:4160
	s_wait_dscnt 0x0
	v_fma_f64 v[36:37], v[36:37], v[38:39], 0
	s_and_saveexec_b32 s6, s16
	s_cbranch_execnz .LBB34_1043
; %bb.200:                              ;   in Loop: Header=BB34_3 Depth=1
	s_or_b32 exec_lo, exec_lo, s6
	s_and_saveexec_b32 s6, s17
	s_cbranch_execnz .LBB34_1044
.LBB34_201:                             ;   in Loop: Header=BB34_3 Depth=1
	s_or_b32 exec_lo, exec_lo, s6
	s_and_saveexec_b32 s6, s1
	s_cbranch_execz .LBB34_203
.LBB34_202:                             ;   in Loop: Header=BB34_3 Depth=1
	ds_load_b64 v[38:39], v46 offset:5728
	ds_load_b64 v[40:41], v1 offset:4184
	s_wait_dscnt 0x0
	v_fmac_f64_e32 v[36:37], v[38:39], v[40:41]
.LBB34_203:                             ;   in Loop: Header=BB34_3 Depth=1
	s_or_b32 exec_lo, exec_lo, s6
	s_delay_alu instid0(VALU_DEP_1)
	v_xor_b32_e32 v37, 0x80000000, v37
.LBB34_204:                             ;   in Loop: Header=BB34_3 Depth=1
	s_or_b32 exec_lo, exec_lo, s10
	s_and_saveexec_b32 s6, s36
	s_cbranch_execz .LBB34_206
; %bb.205:                              ;   in Loop: Header=BB34_3 Depth=1
	ds_load_b64 v[38:39], v1 offset:6240
	s_wait_dscnt 0x0
	v_mul_f64_e32 v[36:37], v[36:37], v[38:39]
	ds_store_b64 v48, v[36:37]
.LBB34_206:                             ;   in Loop: Header=BB34_3 Depth=1
	s_or_b32 exec_lo, exec_lo, s6
	s_wait_dscnt 0x0
	s_barrier_signal -1
	s_barrier_wait -1
	s_and_saveexec_b32 s6, s37
	s_cbranch_execz .LBB34_208
; %bb.207:                              ;   in Loop: Header=BB34_3 Depth=1
	ds_load_b64 v[38:39], v49 offset:6240
	ds_load_b64 v[40:41], v48
	s_wait_dscnt 0x0
	v_fmac_f64_e32 v[36:37], v[38:39], v[40:41]
.LBB34_208:                             ;   in Loop: Header=BB34_3 Depth=1
	s_or_b32 exec_lo, exec_lo, s6
	s_barrier_signal -1
	s_barrier_wait -1
	s_and_saveexec_b32 s6, s38
	s_cbranch_execz .LBB34_210
; %bb.209:                              ;   in Loop: Header=BB34_3 Depth=1
	ds_load_b64 v[38:39], v1 offset:6760
	s_wait_dscnt 0x0
	v_mul_f64_e32 v[36:37], v[36:37], v[38:39]
	ds_store_b64 v48, v[36:37]
.LBB34_210:                             ;   in Loop: Header=BB34_3 Depth=1
	s_or_b32 exec_lo, exec_lo, s6
	s_wait_dscnt 0x0
	s_barrier_signal -1
	s_barrier_wait -1
	s_and_saveexec_b32 s6, s39
	s_cbranch_execz .LBB34_212
; %bb.211:                              ;   in Loop: Header=BB34_3 Depth=1
	ds_load_b64 v[38:39], v49 offset:6752
	ds_load_b64 v[40:41], v48
	s_wait_dscnt 0x0
	v_fmac_f64_e32 v[36:37], v[38:39], v[40:41]
.LBB34_212:                             ;   in Loop: Header=BB34_3 Depth=1
	s_or_b32 exec_lo, exec_lo, s6
	s_barrier_signal -1
	s_barrier_wait -1
	;; [unrolled: 23-line block ×3, first 2 shown]
	s_and_saveexec_b32 s6, s41
	s_cbranch_execz .LBB34_218
; %bb.217:                              ;   in Loop: Header=BB34_3 Depth=1
	ds_load_b64 v[38:39], v1 offset:7800
	s_wait_dscnt 0x0
	v_mul_f64_e32 v[36:37], v[36:37], v[38:39]
	ds_store_b64 v48, v[36:37]
.LBB34_218:                             ;   in Loop: Header=BB34_3 Depth=1
	s_or_b32 exec_lo, exec_lo, s6
	s_wait_dscnt 0x0
	s_barrier_signal -1
	s_barrier_wait -1
	s_barrier_signal -1
	s_barrier_wait -1
	s_and_saveexec_b32 s6, s2
; %bb.219:                              ;   in Loop: Header=BB34_3 Depth=1
	s_delay_alu instid0(VALU_DEP_1)
	v_xor_b32_e32 v37, 0x80000000, v37
	ds_store_b64 v50, v[36:37] offset:4192
; %bb.220:                              ;   in Loop: Header=BB34_3 Depth=1
	s_or_b32 exec_lo, exec_lo, s6
	s_wait_dscnt 0x0
	s_barrier_signal -1
	s_barrier_wait -1
	s_barrier_signal -1
	s_barrier_wait -1
	s_and_saveexec_b32 s10, s14
	s_cbranch_execz .LBB34_222
; %bb.221:                              ;   in Loop: Header=BB34_3 Depth=1
	ds_load_b128 v[36:39], v1 offset:6240
	ds_load_b64 v[40:41], v1 offset:6760
	s_wait_dscnt 0x0
	v_mul_f64_e32 v[36:37], v[36:37], v[40:41]
	s_delay_alu instid0(VALU_DEP_1)
	v_mul_f64_e32 v[36:37], v[38:39], v[36:37]
	ds_store_b64 v1, v[36:37] offset:6248
.LBB34_222:                             ;   in Loop: Header=BB34_3 Depth=1
	s_or_b32 exec_lo, exec_lo, s10
	v_mov_b64_e32 v[36:37], 0
	s_wait_dscnt 0x0
	s_barrier_signal -1
	s_barrier_wait -1
	s_and_saveexec_b32 s10, s1
	s_cbranch_execz .LBB34_226
; %bb.223:                              ;   in Loop: Header=BB34_3 Depth=1
	ds_load_b64 v[36:37], v44 offset:6256
	ds_load_b64 v[38:39], v45 offset:6240
	s_wait_dscnt 0x0
	v_fma_f64 v[36:37], v[36:37], v[38:39], 0
	s_and_saveexec_b32 s6, s15
	s_cbranch_execz .LBB34_225
; %bb.224:                              ;   in Loop: Header=BB34_3 Depth=1
	ds_load_b64 v[38:39], v46 offset:6768
	ds_load_b64 v[40:41], v1 offset:6248
	s_wait_dscnt 0x0
	v_fmac_f64_e32 v[36:37], v[38:39], v[40:41]
.LBB34_225:                             ;   in Loop: Header=BB34_3 Depth=1
	s_or_b32 exec_lo, exec_lo, s6
	s_delay_alu instid0(VALU_DEP_1)
	v_xor_b32_e32 v37, 0x80000000, v37
.LBB34_226:                             ;   in Loop: Header=BB34_3 Depth=1
	s_or_b32 exec_lo, exec_lo, s10
	s_and_saveexec_b32 s6, s104
	s_cbranch_execz .LBB34_228
; %bb.227:                              ;   in Loop: Header=BB34_3 Depth=1
	ds_load_b64 v[38:39], v1 offset:7280
	s_wait_dscnt 0x0
	v_mul_f64_e32 v[36:37], v[36:37], v[38:39]
	ds_store_b64 v3, v[36:37]
.LBB34_228:                             ;   in Loop: Header=BB34_3 Depth=1
	s_or_b32 exec_lo, exec_lo, s6
	s_wait_dscnt 0x0
	s_barrier_signal -1
	s_barrier_wait -1
	s_and_saveexec_b32 s6, vcc_hi
	s_cbranch_execz .LBB34_230
; %bb.229:                              ;   in Loop: Header=BB34_3 Depth=1
	ds_load_b64 v[38:39], v1 offset:7288
	ds_load_b64 v[40:41], v3
	s_wait_dscnt 0x0
	v_fmac_f64_e32 v[36:37], v[38:39], v[40:41]
.LBB34_230:                             ;   in Loop: Header=BB34_3 Depth=1
	s_or_b32 exec_lo, exec_lo, s6
	s_barrier_signal -1
	s_barrier_wait -1
	s_and_saveexec_b32 s6, vcc_hi
	s_cbranch_execz .LBB34_232
; %bb.231:                              ;   in Loop: Header=BB34_3 Depth=1
	ds_load_b64 v[38:39], v1 offset:7800
	s_wait_dscnt 0x0
	v_mul_f64_e32 v[36:37], v[36:37], v[38:39]
	ds_store_b64 v3, v[36:37]
.LBB34_232:                             ;   in Loop: Header=BB34_3 Depth=1
	s_or_b32 exec_lo, exec_lo, s6
	s_wait_dscnt 0x0
	s_barrier_signal -1
	s_barrier_wait -1
	s_barrier_signal -1
	s_barrier_wait -1
	s_and_saveexec_b32 s6, s1
; %bb.233:                              ;   in Loop: Header=BB34_3 Depth=1
	s_delay_alu instid0(VALU_DEP_1)
	v_xor_b32_e32 v37, 0x80000000, v37
	ds_store_b64 v44, v[36:37] offset:6256
; %bb.234:                              ;   in Loop: Header=BB34_3 Depth=1
	s_or_b32 exec_lo, exec_lo, s6
	s_wait_dscnt 0x0
	s_barrier_signal -1
	s_barrier_wait -1
	s_barrier_signal -1
	s_barrier_wait -1
	s_and_saveexec_b32 s10, s14
	s_cbranch_execz .LBB34_236
; %bb.235:                              ;   in Loop: Header=BB34_3 Depth=1
	ds_load_b128 v[36:39], v1 offset:7280
	ds_load_b64 v[40:41], v1 offset:7800
	s_wait_dscnt 0x0
	v_mul_f64_e32 v[36:37], v[36:37], v[40:41]
	s_delay_alu instid0(VALU_DEP_1)
	v_mul_f64_e32 v[36:37], v[38:39], v[36:37]
	ds_store_b64 v1, v[36:37] offset:7288
.LBB34_236:                             ;   in Loop: Header=BB34_3 Depth=1
	s_or_b32 exec_lo, exec_lo, s10
	v_mov_b64_e32 v[36:37], 0
	s_wait_dscnt 0x0
	s_barrier_signal -1
	s_barrier_wait -1
	s_and_saveexec_b32 s69, s4
	s_cbranch_execz .LBB34_264
; %bb.237:                              ;   in Loop: Header=BB34_3 Depth=1
	ds_load_b64 v[36:37], v60 offset:128
	ds_load_b64 v[38:39], v57
	s_wait_dscnt 0x0
	v_fma_f64 v[36:37], v[36:37], v[38:39], 0
	s_mov_b32 s6, exec_lo
	v_readlane_b32 s10, v84, 30
	s_and_b32 s10, s6, s10
	s_delay_alu instid0(SALU_CYCLE_1)
	s_mov_b32 exec_lo, s10
	s_cbranch_execz .LBB34_239
; %bb.238:                              ;   in Loop: Header=BB34_3 Depth=1
	ds_load_b64 v[38:39], v61 offset:640
	ds_load_b64 v[40:41], v57 offset:8
	s_wait_dscnt 0x0
	v_fmac_f64_e32 v[36:37], v[38:39], v[40:41]
.LBB34_239:                             ;   in Loop: Header=BB34_3 Depth=1
	s_or_b32 exec_lo, exec_lo, s6
	s_delay_alu instid0(SALU_CYCLE_1) | instskip(SKIP_2) | instid1(SALU_CYCLE_1)
	s_mov_b32 s6, exec_lo
	v_readlane_b32 s10, v84, 31
	s_and_b32 s10, s6, s10
	s_mov_b32 exec_lo, s10
	s_cbranch_execz .LBB34_241
; %bb.240:                              ;   in Loop: Header=BB34_3 Depth=1
	ds_load_b64 v[38:39], v61 offset:1152
	ds_load_b64 v[40:41], v57 offset:16
	s_wait_dscnt 0x0
	v_fmac_f64_e32 v[36:37], v[38:39], v[40:41]
.LBB34_241:                             ;   in Loop: Header=BB34_3 Depth=1
	s_or_b32 exec_lo, exec_lo, s6
	s_delay_alu instid0(SALU_CYCLE_1) | instskip(SKIP_2) | instid1(SALU_CYCLE_1)
	s_mov_b32 s6, exec_lo
	v_readlane_b32 s10, v83, 0
	s_and_b32 s10, s6, s10
	;; [unrolled: 13-line block ×6, first 2 shown]
	s_mov_b32 exec_lo, s10
	s_cbranch_execz .LBB34_251
; %bb.250:                              ;   in Loop: Header=BB34_3 Depth=1
	ds_load_b64 v[38:39], v61 offset:3712
	ds_load_b64 v[40:41], v57 offset:56
	s_wait_dscnt 0x0
	v_fmac_f64_e32 v[36:37], v[38:39], v[40:41]
.LBB34_251:                             ;   in Loop: Header=BB34_3 Depth=1
	s_or_b32 exec_lo, exec_lo, s6
	s_and_saveexec_b32 s6, s7
	s_cbranch_execz .LBB34_253
; %bb.252:                              ;   in Loop: Header=BB34_3 Depth=1
	ds_load_b64 v[38:39], v60 offset:4224
	ds_load_b64 v[40:41], v57 offset:64
	s_wait_dscnt 0x0
	v_fmac_f64_e32 v[36:37], v[38:39], v[40:41]
.LBB34_253:                             ;   in Loop: Header=BB34_3 Depth=1
	s_or_b32 exec_lo, exec_lo, s6
	s_delay_alu instid0(SALU_CYCLE_1) | instskip(SKIP_2) | instid1(SALU_CYCLE_1)
	s_mov_b32 s6, exec_lo
	v_readlane_b32 s10, v83, 5
	s_and_b32 s10, s6, s10
	s_mov_b32 exec_lo, s10
	s_cbranch_execz .LBB34_255
; %bb.254:                              ;   in Loop: Header=BB34_3 Depth=1
	ds_load_b64 v[38:39], v61 offset:4736
	ds_load_b64 v[40:41], v57 offset:72
	s_wait_dscnt 0x0
	v_fmac_f64_e32 v[36:37], v[38:39], v[40:41]
.LBB34_255:                             ;   in Loop: Header=BB34_3 Depth=1
	s_or_b32 exec_lo, exec_lo, s6
	s_and_saveexec_b32 s6, s8
	s_cbranch_execz .LBB34_257
; %bb.256:                              ;   in Loop: Header=BB34_3 Depth=1
	ds_load_b64 v[38:39], v61 offset:5248
	ds_load_b64 v[40:41], v57 offset:80
	s_wait_dscnt 0x0
	v_fmac_f64_e32 v[36:37], v[38:39], v[40:41]
.LBB34_257:                             ;   in Loop: Header=BB34_3 Depth=1
	s_or_b32 exec_lo, exec_lo, s6
	s_delay_alu instid0(SALU_CYCLE_1) | instskip(SKIP_2) | instid1(SALU_CYCLE_1)
	s_mov_b32 s6, exec_lo
	v_readlane_b32 s10, v83, 6
	s_and_b32 s10, s6, s10
	s_mov_b32 exec_lo, s10
	s_cbranch_execnz .LBB34_1045
; %bb.258:                              ;   in Loop: Header=BB34_3 Depth=1
	s_or_b32 exec_lo, exec_lo, s6
	s_and_saveexec_b32 s6, s3
	s_cbranch_execnz .LBB34_1046
.LBB34_259:                             ;   in Loop: Header=BB34_3 Depth=1
	s_or_b32 exec_lo, exec_lo, s6
	s_and_saveexec_b32 s6, s19
	s_cbranch_execnz .LBB34_1047
.LBB34_260:                             ;   in Loop: Header=BB34_3 Depth=1
	s_or_b32 exec_lo, exec_lo, s6
	s_and_saveexec_b32 s6, s21
	s_cbranch_execnz .LBB34_1048
.LBB34_261:                             ;   in Loop: Header=BB34_3 Depth=1
	s_or_b32 exec_lo, exec_lo, s6
	s_and_saveexec_b32 s6, s2
	s_cbranch_execz .LBB34_263
.LBB34_262:                             ;   in Loop: Header=BB34_3 Depth=1
	ds_load_b64 v[38:39], v46 offset:7808
	ds_load_b64 v[40:41], v1 offset:120
	s_wait_dscnt 0x0
	v_fmac_f64_e32 v[36:37], v[38:39], v[40:41]
.LBB34_263:                             ;   in Loop: Header=BB34_3 Depth=1
	s_or_b32 exec_lo, exec_lo, s6
	s_delay_alu instid0(VALU_DEP_1)
	v_xor_b32_e32 v37, 0x80000000, v37
.LBB34_264:                             ;   in Loop: Header=BB34_3 Depth=1
	s_or_b32 exec_lo, exec_lo, s69
	s_delay_alu instid0(SALU_CYCLE_1) | instskip(SKIP_2) | instid1(SALU_CYCLE_1)
	s_mov_b32 s6, exec_lo
	v_readlane_b32 s10, v84, 5
	s_and_b32 s10, s6, s10
	s_mov_b32 exec_lo, s10
	s_cbranch_execz .LBB34_266
; %bb.265:                              ;   in Loop: Header=BB34_3 Depth=1
	ds_load_b64 v[38:39], v1 offset:8320
	s_wait_dscnt 0x0
	v_mul_f64_e32 v[36:37], v[36:37], v[38:39]
	ds_store_b64 v59, v[36:37]
.LBB34_266:                             ;   in Loop: Header=BB34_3 Depth=1
	s_or_b32 exec_lo, exec_lo, s6
	s_wait_dscnt 0x0
	s_barrier_signal -1
	s_barrier_wait -1
	s_mov_b32 s6, exec_lo
	v_readlane_b32 s10, v84, 6
	s_and_b32 s10, s6, s10
	s_delay_alu instid0(SALU_CYCLE_1)
	s_mov_b32 exec_lo, s10
	s_cbranch_execz .LBB34_268
; %bb.267:                              ;   in Loop: Header=BB34_3 Depth=1
	ds_load_b64 v[38:39], v58 offset:8320
	ds_load_b64 v[40:41], v59
	s_wait_dscnt 0x0
	v_fmac_f64_e32 v[36:37], v[38:39], v[40:41]
.LBB34_268:                             ;   in Loop: Header=BB34_3 Depth=1
	s_or_b32 exec_lo, exec_lo, s6
	s_barrier_signal -1
	s_barrier_wait -1
	s_mov_b32 s6, exec_lo
	v_readlane_b32 s10, v84, 7
	s_and_b32 s10, s6, s10
	s_delay_alu instid0(SALU_CYCLE_1)
	s_mov_b32 exec_lo, s10
	s_cbranch_execz .LBB34_270
; %bb.269:                              ;   in Loop: Header=BB34_3 Depth=1
	ds_load_b64 v[38:39], v1 offset:8840
	s_wait_dscnt 0x0
	v_mul_f64_e32 v[36:37], v[36:37], v[38:39]
	ds_store_b64 v59, v[36:37]
.LBB34_270:                             ;   in Loop: Header=BB34_3 Depth=1
	s_or_b32 exec_lo, exec_lo, s6
	s_wait_dscnt 0x0
	s_barrier_signal -1
	s_barrier_wait -1
	s_mov_b32 s6, exec_lo
	v_readlane_b32 s10, v84, 8
	s_and_b32 s10, s6, s10
	s_delay_alu instid0(SALU_CYCLE_1)
	s_mov_b32 exec_lo, s10
	s_cbranch_execz .LBB34_272
; %bb.271:                              ;   in Loop: Header=BB34_3 Depth=1
	ds_load_b64 v[38:39], v58 offset:8832
	ds_load_b64 v[40:41], v59
	s_wait_dscnt 0x0
	v_fmac_f64_e32 v[36:37], v[38:39], v[40:41]
.LBB34_272:                             ;   in Loop: Header=BB34_3 Depth=1
	s_or_b32 exec_lo, exec_lo, s6
	s_barrier_signal -1
	s_barrier_wait -1
	s_and_saveexec_b32 s6, s66
	s_cbranch_execz .LBB34_274
; %bb.273:                              ;   in Loop: Header=BB34_3 Depth=1
	ds_load_b64 v[38:39], v1 offset:9360
	s_wait_dscnt 0x0
	v_mul_f64_e32 v[36:37], v[36:37], v[38:39]
	ds_store_b64 v59, v[36:37]
.LBB34_274:                             ;   in Loop: Header=BB34_3 Depth=1
	s_or_b32 exec_lo, exec_lo, s6
	s_wait_dscnt 0x0
	s_barrier_signal -1
	s_barrier_wait -1
	s_and_saveexec_b32 s6, s67
	s_cbranch_execz .LBB34_276
; %bb.275:                              ;   in Loop: Header=BB34_3 Depth=1
	ds_load_b64 v[38:39], v58 offset:9344
	ds_load_b64 v[40:41], v59
	s_wait_dscnt 0x0
	v_fmac_f64_e32 v[36:37], v[38:39], v[40:41]
.LBB34_276:                             ;   in Loop: Header=BB34_3 Depth=1
	s_or_b32 exec_lo, exec_lo, s6
	s_barrier_signal -1
	s_barrier_wait -1
	s_and_saveexec_b32 s6, s68
	s_cbranch_execz .LBB34_278
; %bb.277:                              ;   in Loop: Header=BB34_3 Depth=1
	ds_load_b64 v[38:39], v1 offset:9880
	s_wait_dscnt 0x0
	v_mul_f64_e32 v[36:37], v[36:37], v[38:39]
	ds_store_b64 v59, v[36:37]
.LBB34_278:                             ;   in Loop: Header=BB34_3 Depth=1
	s_or_b32 exec_lo, exec_lo, s6
	s_wait_dscnt 0x0
	s_barrier_signal -1
	s_barrier_wait -1
	s_and_saveexec_b32 s6, s12
	;; [unrolled: 23-line block ×13, first 2 shown]
	s_cbranch_execz .LBB34_324
; %bb.323:                              ;   in Loop: Header=BB34_3 Depth=1
	ds_load_b64 v[38:39], v1 offset:15608
	ds_load_b64 v[40:41], v59
	s_wait_dscnt 0x0
	v_fmac_f64_e32 v[36:37], v[38:39], v[40:41]
.LBB34_324:                             ;   in Loop: Header=BB34_3 Depth=1
	s_or_b32 exec_lo, exec_lo, s6
	s_barrier_signal -1
	s_barrier_wait -1
	s_and_saveexec_b32 s6, s56
	s_cbranch_execz .LBB34_326
; %bb.325:                              ;   in Loop: Header=BB34_3 Depth=1
	ds_load_b64 v[38:39], v1 offset:16120
	s_wait_dscnt 0x0
	v_mul_f64_e32 v[36:37], v[36:37], v[38:39]
	ds_store_b64 v59, v[36:37]
.LBB34_326:                             ;   in Loop: Header=BB34_3 Depth=1
	s_or_b32 exec_lo, exec_lo, s6
	s_wait_dscnt 0x0
	s_barrier_signal -1
	s_barrier_wait -1
	s_barrier_signal -1
	s_barrier_wait -1
	s_and_saveexec_b32 s6, s4
; %bb.327:                              ;   in Loop: Header=BB34_3 Depth=1
	s_delay_alu instid0(VALU_DEP_1)
	v_xor_b32_e32 v37, 0x80000000, v37
	ds_store_b64 v60, v[36:37] offset:128
; %bb.328:                              ;   in Loop: Header=BB34_3 Depth=1
	s_or_b32 exec_lo, exec_lo, s6
	s_wait_dscnt 0x0
	s_barrier_signal -1
	s_barrier_wait -1
	s_barrier_signal -1
	s_barrier_wait -1
	s_and_saveexec_b32 s10, s14
	s_cbranch_execz .LBB34_330
; %bb.329:                              ;   in Loop: Header=BB34_3 Depth=1
	ds_load_b128 v[36:39], v1 offset:8320
	ds_load_b64 v[40:41], v1 offset:8840
	s_wait_dscnt 0x0
	v_mul_f64_e32 v[36:37], v[36:37], v[40:41]
	s_delay_alu instid0(VALU_DEP_1)
	v_mul_f64_e32 v[36:37], v[38:39], v[36:37]
	ds_store_b64 v1, v[36:37] offset:8328
.LBB34_330:                             ;   in Loop: Header=BB34_3 Depth=1
	s_or_b32 exec_lo, exec_lo, s10
	v_mov_b64_e32 v[36:37], 0
	s_wait_dscnt 0x0
	s_barrier_signal -1
	s_barrier_wait -1
	s_and_saveexec_b32 s10, s1
	s_cbranch_execz .LBB34_334
; %bb.331:                              ;   in Loop: Header=BB34_3 Depth=1
	ds_load_b64 v[36:37], v44 offset:8336
	ds_load_b64 v[38:39], v45 offset:8320
	s_wait_dscnt 0x0
	v_fma_f64 v[36:37], v[36:37], v[38:39], 0
	s_and_saveexec_b32 s6, s15
	s_cbranch_execz .LBB34_333
; %bb.332:                              ;   in Loop: Header=BB34_3 Depth=1
	ds_load_b64 v[38:39], v46 offset:8848
	ds_load_b64 v[40:41], v1 offset:8328
	s_wait_dscnt 0x0
	v_fmac_f64_e32 v[36:37], v[38:39], v[40:41]
.LBB34_333:                             ;   in Loop: Header=BB34_3 Depth=1
	s_or_b32 exec_lo, exec_lo, s6
	s_delay_alu instid0(VALU_DEP_1)
	v_xor_b32_e32 v37, 0x80000000, v37
.LBB34_334:                             ;   in Loop: Header=BB34_3 Depth=1
	s_or_b32 exec_lo, exec_lo, s10
	s_and_saveexec_b32 s6, s104
	s_cbranch_execz .LBB34_336
; %bb.335:                              ;   in Loop: Header=BB34_3 Depth=1
	ds_load_b64 v[38:39], v1 offset:9360
	s_wait_dscnt 0x0
	v_mul_f64_e32 v[36:37], v[36:37], v[38:39]
	ds_store_b64 v3, v[36:37]
.LBB34_336:                             ;   in Loop: Header=BB34_3 Depth=1
	s_or_b32 exec_lo, exec_lo, s6
	s_wait_dscnt 0x0
	s_barrier_signal -1
	s_barrier_wait -1
	s_and_saveexec_b32 s6, vcc_hi
	s_cbranch_execz .LBB34_338
; %bb.337:                              ;   in Loop: Header=BB34_3 Depth=1
	ds_load_b64 v[38:39], v1 offset:9368
	ds_load_b64 v[40:41], v3
	s_wait_dscnt 0x0
	v_fmac_f64_e32 v[36:37], v[38:39], v[40:41]
.LBB34_338:                             ;   in Loop: Header=BB34_3 Depth=1
	s_or_b32 exec_lo, exec_lo, s6
	s_barrier_signal -1
	s_barrier_wait -1
	s_and_saveexec_b32 s6, vcc_hi
	s_cbranch_execz .LBB34_340
; %bb.339:                              ;   in Loop: Header=BB34_3 Depth=1
	ds_load_b64 v[38:39], v1 offset:9880
	s_wait_dscnt 0x0
	v_mul_f64_e32 v[36:37], v[36:37], v[38:39]
	ds_store_b64 v3, v[36:37]
.LBB34_340:                             ;   in Loop: Header=BB34_3 Depth=1
	s_or_b32 exec_lo, exec_lo, s6
	s_wait_dscnt 0x0
	s_barrier_signal -1
	s_barrier_wait -1
	s_barrier_signal -1
	s_barrier_wait -1
	s_and_saveexec_b32 s6, s1
; %bb.341:                              ;   in Loop: Header=BB34_3 Depth=1
	s_delay_alu instid0(VALU_DEP_1)
	v_xor_b32_e32 v37, 0x80000000, v37
	ds_store_b64 v44, v[36:37] offset:8336
; %bb.342:                              ;   in Loop: Header=BB34_3 Depth=1
	s_or_b32 exec_lo, exec_lo, s6
	s_wait_dscnt 0x0
	s_barrier_signal -1
	s_barrier_wait -1
	s_barrier_signal -1
	s_barrier_wait -1
	s_and_saveexec_b32 s10, s14
	s_cbranch_execz .LBB34_344
; %bb.343:                              ;   in Loop: Header=BB34_3 Depth=1
	ds_load_b128 v[36:39], v1 offset:9360
	ds_load_b64 v[40:41], v1 offset:9880
	s_wait_dscnt 0x0
	v_mul_f64_e32 v[36:37], v[36:37], v[40:41]
	s_delay_alu instid0(VALU_DEP_1)
	v_mul_f64_e32 v[36:37], v[38:39], v[36:37]
	ds_store_b64 v1, v[36:37] offset:9368
.LBB34_344:                             ;   in Loop: Header=BB34_3 Depth=1
	s_or_b32 exec_lo, exec_lo, s10
	v_mov_b64_e32 v[36:37], 0
	s_wait_dscnt 0x0
	s_barrier_signal -1
	s_barrier_wait -1
	s_and_saveexec_b32 s10, s2
	s_cbranch_execz .LBB34_350
; %bb.345:                              ;   in Loop: Header=BB34_3 Depth=1
	ds_load_b64 v[36:37], v50 offset:8352
	ds_load_b64 v[38:39], v47 offset:8320
	s_wait_dscnt 0x0
	v_fma_f64 v[36:37], v[36:37], v[38:39], 0
	s_and_saveexec_b32 s6, s16
	s_cbranch_execnz .LBB34_1049
; %bb.346:                              ;   in Loop: Header=BB34_3 Depth=1
	s_or_b32 exec_lo, exec_lo, s6
	s_and_saveexec_b32 s6, s17
	s_cbranch_execnz .LBB34_1050
.LBB34_347:                             ;   in Loop: Header=BB34_3 Depth=1
	s_or_b32 exec_lo, exec_lo, s6
	s_and_saveexec_b32 s6, s1
	s_cbranch_execz .LBB34_349
.LBB34_348:                             ;   in Loop: Header=BB34_3 Depth=1
	ds_load_b64 v[38:39], v46 offset:9888
	ds_load_b64 v[40:41], v1 offset:8344
	s_wait_dscnt 0x0
	v_fmac_f64_e32 v[36:37], v[38:39], v[40:41]
.LBB34_349:                             ;   in Loop: Header=BB34_3 Depth=1
	s_or_b32 exec_lo, exec_lo, s6
	s_delay_alu instid0(VALU_DEP_1)
	v_xor_b32_e32 v37, 0x80000000, v37
.LBB34_350:                             ;   in Loop: Header=BB34_3 Depth=1
	s_or_b32 exec_lo, exec_lo, s10
	s_and_saveexec_b32 s6, s36
	s_cbranch_execz .LBB34_352
; %bb.351:                              ;   in Loop: Header=BB34_3 Depth=1
	ds_load_b64 v[38:39], v1 offset:10400
	s_wait_dscnt 0x0
	v_mul_f64_e32 v[36:37], v[36:37], v[38:39]
	ds_store_b64 v48, v[36:37]
.LBB34_352:                             ;   in Loop: Header=BB34_3 Depth=1
	s_or_b32 exec_lo, exec_lo, s6
	s_wait_dscnt 0x0
	s_barrier_signal -1
	s_barrier_wait -1
	s_and_saveexec_b32 s6, s37
	s_cbranch_execz .LBB34_354
; %bb.353:                              ;   in Loop: Header=BB34_3 Depth=1
	ds_load_b64 v[38:39], v49 offset:10400
	ds_load_b64 v[40:41], v48
	s_wait_dscnt 0x0
	v_fmac_f64_e32 v[36:37], v[38:39], v[40:41]
.LBB34_354:                             ;   in Loop: Header=BB34_3 Depth=1
	s_or_b32 exec_lo, exec_lo, s6
	s_barrier_signal -1
	s_barrier_wait -1
	s_and_saveexec_b32 s6, s38
	s_cbranch_execz .LBB34_356
; %bb.355:                              ;   in Loop: Header=BB34_3 Depth=1
	ds_load_b64 v[38:39], v1 offset:10920
	s_wait_dscnt 0x0
	v_mul_f64_e32 v[36:37], v[36:37], v[38:39]
	ds_store_b64 v48, v[36:37]
.LBB34_356:                             ;   in Loop: Header=BB34_3 Depth=1
	s_or_b32 exec_lo, exec_lo, s6
	s_wait_dscnt 0x0
	s_barrier_signal -1
	s_barrier_wait -1
	s_and_saveexec_b32 s6, s39
	s_cbranch_execz .LBB34_358
; %bb.357:                              ;   in Loop: Header=BB34_3 Depth=1
	ds_load_b64 v[38:39], v49 offset:10912
	ds_load_b64 v[40:41], v48
	s_wait_dscnt 0x0
	v_fmac_f64_e32 v[36:37], v[38:39], v[40:41]
.LBB34_358:                             ;   in Loop: Header=BB34_3 Depth=1
	s_or_b32 exec_lo, exec_lo, s6
	s_barrier_signal -1
	s_barrier_wait -1
	;; [unrolled: 23-line block ×3, first 2 shown]
	s_and_saveexec_b32 s6, s41
	s_cbranch_execz .LBB34_364
; %bb.363:                              ;   in Loop: Header=BB34_3 Depth=1
	ds_load_b64 v[38:39], v1 offset:11960
	s_wait_dscnt 0x0
	v_mul_f64_e32 v[36:37], v[36:37], v[38:39]
	ds_store_b64 v48, v[36:37]
.LBB34_364:                             ;   in Loop: Header=BB34_3 Depth=1
	s_or_b32 exec_lo, exec_lo, s6
	s_wait_dscnt 0x0
	s_barrier_signal -1
	s_barrier_wait -1
	s_barrier_signal -1
	s_barrier_wait -1
	s_and_saveexec_b32 s6, s2
; %bb.365:                              ;   in Loop: Header=BB34_3 Depth=1
	s_delay_alu instid0(VALU_DEP_1)
	v_xor_b32_e32 v37, 0x80000000, v37
	ds_store_b64 v50, v[36:37] offset:8352
; %bb.366:                              ;   in Loop: Header=BB34_3 Depth=1
	s_or_b32 exec_lo, exec_lo, s6
	s_wait_dscnt 0x0
	s_barrier_signal -1
	s_barrier_wait -1
	s_barrier_signal -1
	s_barrier_wait -1
	s_and_saveexec_b32 s10, s14
	s_cbranch_execz .LBB34_368
; %bb.367:                              ;   in Loop: Header=BB34_3 Depth=1
	ds_load_b128 v[36:39], v1 offset:10400
	ds_load_b64 v[40:41], v1 offset:10920
	s_wait_dscnt 0x0
	v_mul_f64_e32 v[36:37], v[36:37], v[40:41]
	s_delay_alu instid0(VALU_DEP_1)
	v_mul_f64_e32 v[36:37], v[38:39], v[36:37]
	ds_store_b64 v1, v[36:37] offset:10408
.LBB34_368:                             ;   in Loop: Header=BB34_3 Depth=1
	s_or_b32 exec_lo, exec_lo, s10
	v_mov_b64_e32 v[36:37], 0
	s_wait_dscnt 0x0
	s_barrier_signal -1
	s_barrier_wait -1
	s_and_saveexec_b32 s10, s1
	s_cbranch_execz .LBB34_372
; %bb.369:                              ;   in Loop: Header=BB34_3 Depth=1
	ds_load_b64 v[36:37], v44 offset:10416
	ds_load_b64 v[38:39], v45 offset:10400
	s_wait_dscnt 0x0
	v_fma_f64 v[36:37], v[36:37], v[38:39], 0
	s_and_saveexec_b32 s6, s15
	s_cbranch_execz .LBB34_371
; %bb.370:                              ;   in Loop: Header=BB34_3 Depth=1
	ds_load_b64 v[38:39], v46 offset:10928
	ds_load_b64 v[40:41], v1 offset:10408
	s_wait_dscnt 0x0
	v_fmac_f64_e32 v[36:37], v[38:39], v[40:41]
.LBB34_371:                             ;   in Loop: Header=BB34_3 Depth=1
	s_or_b32 exec_lo, exec_lo, s6
	s_delay_alu instid0(VALU_DEP_1)
	v_xor_b32_e32 v37, 0x80000000, v37
.LBB34_372:                             ;   in Loop: Header=BB34_3 Depth=1
	s_or_b32 exec_lo, exec_lo, s10
	s_and_saveexec_b32 s6, s104
	s_cbranch_execz .LBB34_374
; %bb.373:                              ;   in Loop: Header=BB34_3 Depth=1
	ds_load_b64 v[38:39], v1 offset:11440
	s_wait_dscnt 0x0
	v_mul_f64_e32 v[36:37], v[36:37], v[38:39]
	ds_store_b64 v3, v[36:37]
.LBB34_374:                             ;   in Loop: Header=BB34_3 Depth=1
	s_or_b32 exec_lo, exec_lo, s6
	s_wait_dscnt 0x0
	s_barrier_signal -1
	s_barrier_wait -1
	s_and_saveexec_b32 s6, vcc_hi
	s_cbranch_execz .LBB34_376
; %bb.375:                              ;   in Loop: Header=BB34_3 Depth=1
	ds_load_b64 v[38:39], v1 offset:11448
	ds_load_b64 v[40:41], v3
	s_wait_dscnt 0x0
	v_fmac_f64_e32 v[36:37], v[38:39], v[40:41]
.LBB34_376:                             ;   in Loop: Header=BB34_3 Depth=1
	s_or_b32 exec_lo, exec_lo, s6
	s_barrier_signal -1
	s_barrier_wait -1
	s_and_saveexec_b32 s6, vcc_hi
	s_cbranch_execz .LBB34_378
; %bb.377:                              ;   in Loop: Header=BB34_3 Depth=1
	ds_load_b64 v[38:39], v1 offset:11960
	s_wait_dscnt 0x0
	v_mul_f64_e32 v[36:37], v[36:37], v[38:39]
	ds_store_b64 v3, v[36:37]
.LBB34_378:                             ;   in Loop: Header=BB34_3 Depth=1
	s_or_b32 exec_lo, exec_lo, s6
	s_wait_dscnt 0x0
	s_barrier_signal -1
	s_barrier_wait -1
	s_barrier_signal -1
	s_barrier_wait -1
	s_and_saveexec_b32 s6, s1
; %bb.379:                              ;   in Loop: Header=BB34_3 Depth=1
	s_delay_alu instid0(VALU_DEP_1)
	v_xor_b32_e32 v37, 0x80000000, v37
	ds_store_b64 v44, v[36:37] offset:10416
; %bb.380:                              ;   in Loop: Header=BB34_3 Depth=1
	s_or_b32 exec_lo, exec_lo, s6
	s_wait_dscnt 0x0
	s_barrier_signal -1
	s_barrier_wait -1
	s_barrier_signal -1
	s_barrier_wait -1
	s_and_saveexec_b32 s10, s14
	s_cbranch_execz .LBB34_382
; %bb.381:                              ;   in Loop: Header=BB34_3 Depth=1
	ds_load_b128 v[36:39], v1 offset:11440
	ds_load_b64 v[40:41], v1 offset:11960
	s_wait_dscnt 0x0
	v_mul_f64_e32 v[36:37], v[36:37], v[40:41]
	s_delay_alu instid0(VALU_DEP_1)
	v_mul_f64_e32 v[36:37], v[38:39], v[36:37]
	ds_store_b64 v1, v[36:37] offset:11448
.LBB34_382:                             ;   in Loop: Header=BB34_3 Depth=1
	s_or_b32 exec_lo, exec_lo, s10
	v_mov_b64_e32 v[36:37], 0
	s_wait_dscnt 0x0
	s_barrier_signal -1
	s_barrier_wait -1
	s_and_saveexec_b32 s10, s3
	s_cbranch_execz .LBB34_392
; %bb.383:                              ;   in Loop: Header=BB34_3 Depth=1
	ds_load_b64 v[36:37], v55 offset:8384
	ds_load_b64 v[38:39], v52 offset:8320
	s_wait_dscnt 0x0
	v_fma_f64 v[36:37], v[36:37], v[38:39], 0
	s_and_saveexec_b32 s6, s18
	s_cbranch_execnz .LBB34_1051
; %bb.384:                              ;   in Loop: Header=BB34_3 Depth=1
	s_or_b32 exec_lo, exec_lo, s6
	s_and_saveexec_b32 s6, s19
	s_cbranch_execnz .LBB34_1052
.LBB34_385:                             ;   in Loop: Header=BB34_3 Depth=1
	s_or_b32 exec_lo, exec_lo, s6
	s_and_saveexec_b32 s6, s20
	s_cbranch_execnz .LBB34_1053
.LBB34_386:                             ;   in Loop: Header=BB34_3 Depth=1
	s_or_b32 exec_lo, exec_lo, s6
	s_and_saveexec_b32 s6, s21
	s_cbranch_execnz .LBB34_1054
.LBB34_387:                             ;   in Loop: Header=BB34_3 Depth=1
	s_or_b32 exec_lo, exec_lo, s6
	s_and_saveexec_b32 s6, s22
	s_cbranch_execnz .LBB34_1055
.LBB34_388:                             ;   in Loop: Header=BB34_3 Depth=1
	s_or_b32 exec_lo, exec_lo, s6
	s_and_saveexec_b32 s6, s2
	s_cbranch_execnz .LBB34_1056
.LBB34_389:                             ;   in Loop: Header=BB34_3 Depth=1
	s_or_b32 exec_lo, exec_lo, s6
	s_and_saveexec_b32 s6, s17
	s_cbranch_execz .LBB34_391
.LBB34_390:                             ;   in Loop: Header=BB34_3 Depth=1
	ds_load_b64 v[38:39], v46 offset:11968
	ds_load_b64 v[40:41], v1 offset:8376
	s_wait_dscnt 0x0
	v_fmac_f64_e32 v[36:37], v[38:39], v[40:41]
.LBB34_391:                             ;   in Loop: Header=BB34_3 Depth=1
	s_or_b32 exec_lo, exec_lo, s6
	s_delay_alu instid0(VALU_DEP_1)
	v_xor_b32_e32 v37, 0x80000000, v37
.LBB34_392:                             ;   in Loop: Header=BB34_3 Depth=1
	s_or_b32 exec_lo, exec_lo, s10
	s_and_saveexec_b32 s6, s42
	s_cbranch_execz .LBB34_394
; %bb.393:                              ;   in Loop: Header=BB34_3 Depth=1
	ds_load_b64 v[38:39], v1 offset:12480
	s_wait_dscnt 0x0
	v_mul_f64_e32 v[36:37], v[36:37], v[38:39]
	ds_store_b64 v54, v[36:37]
.LBB34_394:                             ;   in Loop: Header=BB34_3 Depth=1
	s_or_b32 exec_lo, exec_lo, s6
	s_wait_dscnt 0x0
	s_barrier_signal -1
	s_barrier_wait -1
	s_and_saveexec_b32 s6, s43
	s_cbranch_execz .LBB34_396
; %bb.395:                              ;   in Loop: Header=BB34_3 Depth=1
	ds_load_b64 v[38:39], v53 offset:12480
	ds_load_b64 v[40:41], v54
	s_wait_dscnt 0x0
	v_fmac_f64_e32 v[36:37], v[38:39], v[40:41]
.LBB34_396:                             ;   in Loop: Header=BB34_3 Depth=1
	s_or_b32 exec_lo, exec_lo, s6
	s_barrier_signal -1
	s_barrier_wait -1
	s_and_saveexec_b32 s6, s44
	s_cbranch_execz .LBB34_398
; %bb.397:                              ;   in Loop: Header=BB34_3 Depth=1
	ds_load_b64 v[38:39], v1 offset:13000
	s_wait_dscnt 0x0
	v_mul_f64_e32 v[36:37], v[36:37], v[38:39]
	ds_store_b64 v54, v[36:37]
.LBB34_398:                             ;   in Loop: Header=BB34_3 Depth=1
	s_or_b32 exec_lo, exec_lo, s6
	s_wait_dscnt 0x0
	s_barrier_signal -1
	s_barrier_wait -1
	s_and_saveexec_b32 s6, s45
	s_cbranch_execz .LBB34_400
; %bb.399:                              ;   in Loop: Header=BB34_3 Depth=1
	ds_load_b64 v[38:39], v53 offset:12992
	ds_load_b64 v[40:41], v54
	s_wait_dscnt 0x0
	v_fmac_f64_e32 v[36:37], v[38:39], v[40:41]
.LBB34_400:                             ;   in Loop: Header=BB34_3 Depth=1
	s_or_b32 exec_lo, exec_lo, s6
	s_barrier_signal -1
	s_barrier_wait -1
	s_and_saveexec_b32 s6, s46
	s_cbranch_execz .LBB34_402
; %bb.401:                              ;   in Loop: Header=BB34_3 Depth=1
	ds_load_b64 v[38:39], v1 offset:13520
	s_wait_dscnt 0x0
	v_mul_f64_e32 v[36:37], v[36:37], v[38:39]
	ds_store_b64 v54, v[36:37]
.LBB34_402:                             ;   in Loop: Header=BB34_3 Depth=1
	s_or_b32 exec_lo, exec_lo, s6
	s_wait_dscnt 0x0
	s_barrier_signal -1
	s_barrier_wait -1
	s_and_saveexec_b32 s6, s47
	s_cbranch_execz .LBB34_404
; %bb.403:                              ;   in Loop: Header=BB34_3 Depth=1
	ds_load_b64 v[38:39], v53 offset:13504
	ds_load_b64 v[40:41], v54
	s_wait_dscnt 0x0
	v_fmac_f64_e32 v[36:37], v[38:39], v[40:41]
.LBB34_404:                             ;   in Loop: Header=BB34_3 Depth=1
	s_or_b32 exec_lo, exec_lo, s6
	s_barrier_signal -1
	s_barrier_wait -1
	s_and_saveexec_b32 s6, s48
	s_cbranch_execz .LBB34_406
; %bb.405:                              ;   in Loop: Header=BB34_3 Depth=1
	ds_load_b64 v[38:39], v1 offset:14040
	s_wait_dscnt 0x0
	v_mul_f64_e32 v[36:37], v[36:37], v[38:39]
	ds_store_b64 v54, v[36:37]
.LBB34_406:                             ;   in Loop: Header=BB34_3 Depth=1
	s_or_b32 exec_lo, exec_lo, s6
	s_wait_dscnt 0x0
	s_barrier_signal -1
	s_barrier_wait -1
	s_and_saveexec_b32 s6, s49
	s_cbranch_execz .LBB34_408
; %bb.407:                              ;   in Loop: Header=BB34_3 Depth=1
	ds_load_b64 v[38:39], v53 offset:14016
	ds_load_b64 v[40:41], v54
	s_wait_dscnt 0x0
	v_fmac_f64_e32 v[36:37], v[38:39], v[40:41]
.LBB34_408:                             ;   in Loop: Header=BB34_3 Depth=1
	s_or_b32 exec_lo, exec_lo, s6
	s_barrier_signal -1
	s_barrier_wait -1
	s_and_saveexec_b32 s6, s50
	s_cbranch_execz .LBB34_410
; %bb.409:                              ;   in Loop: Header=BB34_3 Depth=1
	ds_load_b64 v[38:39], v1 offset:14560
	s_wait_dscnt 0x0
	v_mul_f64_e32 v[36:37], v[36:37], v[38:39]
	ds_store_b64 v54, v[36:37]
.LBB34_410:                             ;   in Loop: Header=BB34_3 Depth=1
	s_or_b32 exec_lo, exec_lo, s6
	s_wait_dscnt 0x0
	s_barrier_signal -1
	s_barrier_wait -1
	s_and_saveexec_b32 s6, s51
	s_cbranch_execz .LBB34_412
; %bb.411:                              ;   in Loop: Header=BB34_3 Depth=1
	ds_load_b64 v[38:39], v53 offset:14528
	ds_load_b64 v[40:41], v54
	s_wait_dscnt 0x0
	v_fmac_f64_e32 v[36:37], v[38:39], v[40:41]
.LBB34_412:                             ;   in Loop: Header=BB34_3 Depth=1
	s_or_b32 exec_lo, exec_lo, s6
	s_barrier_signal -1
	s_barrier_wait -1
	s_and_saveexec_b32 s6, s52
	s_cbranch_execz .LBB34_414
; %bb.413:                              ;   in Loop: Header=BB34_3 Depth=1
	ds_load_b64 v[38:39], v1 offset:15080
	s_wait_dscnt 0x0
	v_mul_f64_e32 v[36:37], v[36:37], v[38:39]
	ds_store_b64 v54, v[36:37]
.LBB34_414:                             ;   in Loop: Header=BB34_3 Depth=1
	s_or_b32 exec_lo, exec_lo, s6
	s_wait_dscnt 0x0
	s_barrier_signal -1
	s_barrier_wait -1
	s_and_saveexec_b32 s6, s53
	s_cbranch_execz .LBB34_416
; %bb.415:                              ;   in Loop: Header=BB34_3 Depth=1
	ds_load_b64 v[38:39], v53 offset:15040
	ds_load_b64 v[40:41], v54
	s_wait_dscnt 0x0
	v_fmac_f64_e32 v[36:37], v[38:39], v[40:41]
.LBB34_416:                             ;   in Loop: Header=BB34_3 Depth=1
	s_or_b32 exec_lo, exec_lo, s6
	s_barrier_signal -1
	s_barrier_wait -1
	s_and_saveexec_b32 s6, s54
	s_cbranch_execz .LBB34_418
; %bb.417:                              ;   in Loop: Header=BB34_3 Depth=1
	ds_load_b64 v[38:39], v1 offset:15600
	s_wait_dscnt 0x0
	v_mul_f64_e32 v[36:37], v[36:37], v[38:39]
	ds_store_b64 v54, v[36:37]
.LBB34_418:                             ;   in Loop: Header=BB34_3 Depth=1
	s_or_b32 exec_lo, exec_lo, s6
	s_wait_dscnt 0x0
	s_barrier_signal -1
	s_barrier_wait -1
	s_and_saveexec_b32 s6, s55
	s_cbranch_execz .LBB34_420
; %bb.419:                              ;   in Loop: Header=BB34_3 Depth=1
	ds_load_b64 v[38:39], v1 offset:15608
	ds_load_b64 v[40:41], v54
	s_wait_dscnt 0x0
	v_fmac_f64_e32 v[36:37], v[38:39], v[40:41]
.LBB34_420:                             ;   in Loop: Header=BB34_3 Depth=1
	s_or_b32 exec_lo, exec_lo, s6
	s_barrier_signal -1
	s_barrier_wait -1
	s_and_saveexec_b32 s6, s55
	s_cbranch_execz .LBB34_422
; %bb.421:                              ;   in Loop: Header=BB34_3 Depth=1
	ds_load_b64 v[38:39], v1 offset:16120
	s_wait_dscnt 0x0
	v_mul_f64_e32 v[36:37], v[36:37], v[38:39]
	ds_store_b64 v54, v[36:37]
.LBB34_422:                             ;   in Loop: Header=BB34_3 Depth=1
	s_or_b32 exec_lo, exec_lo, s6
	s_wait_dscnt 0x0
	s_barrier_signal -1
	s_barrier_wait -1
	s_barrier_signal -1
	s_barrier_wait -1
	s_and_saveexec_b32 s6, s3
; %bb.423:                              ;   in Loop: Header=BB34_3 Depth=1
	s_delay_alu instid0(VALU_DEP_1)
	v_xor_b32_e32 v37, 0x80000000, v37
	ds_store_b64 v55, v[36:37] offset:8384
; %bb.424:                              ;   in Loop: Header=BB34_3 Depth=1
	s_or_b32 exec_lo, exec_lo, s6
	s_wait_dscnt 0x0
	s_barrier_signal -1
	s_barrier_wait -1
	s_barrier_signal -1
	s_barrier_wait -1
	s_and_saveexec_b32 s10, s14
	s_cbranch_execz .LBB34_426
; %bb.425:                              ;   in Loop: Header=BB34_3 Depth=1
	ds_load_b128 v[36:39], v1 offset:12480
	ds_load_b64 v[40:41], v1 offset:13000
	s_wait_dscnt 0x0
	v_mul_f64_e32 v[36:37], v[36:37], v[40:41]
	s_delay_alu instid0(VALU_DEP_1)
	v_mul_f64_e32 v[36:37], v[38:39], v[36:37]
	ds_store_b64 v1, v[36:37] offset:12488
.LBB34_426:                             ;   in Loop: Header=BB34_3 Depth=1
	s_or_b32 exec_lo, exec_lo, s10
	v_mov_b64_e32 v[36:37], 0
	s_wait_dscnt 0x0
	s_barrier_signal -1
	s_barrier_wait -1
	s_and_saveexec_b32 s10, s1
	s_cbranch_execz .LBB34_430
; %bb.427:                              ;   in Loop: Header=BB34_3 Depth=1
	ds_load_b64 v[36:37], v44 offset:12496
	ds_load_b64 v[38:39], v45 offset:12480
	s_wait_dscnt 0x0
	v_fma_f64 v[36:37], v[36:37], v[38:39], 0
	s_and_saveexec_b32 s6, s15
	s_cbranch_execz .LBB34_429
; %bb.428:                              ;   in Loop: Header=BB34_3 Depth=1
	ds_load_b64 v[38:39], v46 offset:13008
	ds_load_b64 v[40:41], v1 offset:12488
	s_wait_dscnt 0x0
	v_fmac_f64_e32 v[36:37], v[38:39], v[40:41]
.LBB34_429:                             ;   in Loop: Header=BB34_3 Depth=1
	s_or_b32 exec_lo, exec_lo, s6
	s_delay_alu instid0(VALU_DEP_1)
	v_xor_b32_e32 v37, 0x80000000, v37
.LBB34_430:                             ;   in Loop: Header=BB34_3 Depth=1
	s_or_b32 exec_lo, exec_lo, s10
	s_and_saveexec_b32 s6, s104
	s_cbranch_execz .LBB34_432
; %bb.431:                              ;   in Loop: Header=BB34_3 Depth=1
	ds_load_b64 v[38:39], v1 offset:13520
	s_wait_dscnt 0x0
	v_mul_f64_e32 v[36:37], v[36:37], v[38:39]
	ds_store_b64 v3, v[36:37]
.LBB34_432:                             ;   in Loop: Header=BB34_3 Depth=1
	s_or_b32 exec_lo, exec_lo, s6
	s_wait_dscnt 0x0
	s_barrier_signal -1
	s_barrier_wait -1
	s_and_saveexec_b32 s6, vcc_hi
	s_cbranch_execz .LBB34_434
; %bb.433:                              ;   in Loop: Header=BB34_3 Depth=1
	ds_load_b64 v[38:39], v1 offset:13528
	ds_load_b64 v[40:41], v3
	s_wait_dscnt 0x0
	v_fmac_f64_e32 v[36:37], v[38:39], v[40:41]
.LBB34_434:                             ;   in Loop: Header=BB34_3 Depth=1
	s_or_b32 exec_lo, exec_lo, s6
	s_barrier_signal -1
	s_barrier_wait -1
	s_and_saveexec_b32 s6, vcc_hi
	s_cbranch_execz .LBB34_436
; %bb.435:                              ;   in Loop: Header=BB34_3 Depth=1
	ds_load_b64 v[38:39], v1 offset:14040
	s_wait_dscnt 0x0
	v_mul_f64_e32 v[36:37], v[36:37], v[38:39]
	ds_store_b64 v3, v[36:37]
.LBB34_436:                             ;   in Loop: Header=BB34_3 Depth=1
	s_or_b32 exec_lo, exec_lo, s6
	s_wait_dscnt 0x0
	s_barrier_signal -1
	s_barrier_wait -1
	s_barrier_signal -1
	s_barrier_wait -1
	s_and_saveexec_b32 s6, s1
; %bb.437:                              ;   in Loop: Header=BB34_3 Depth=1
	s_delay_alu instid0(VALU_DEP_1)
	v_xor_b32_e32 v37, 0x80000000, v37
	ds_store_b64 v44, v[36:37] offset:12496
; %bb.438:                              ;   in Loop: Header=BB34_3 Depth=1
	s_or_b32 exec_lo, exec_lo, s6
	s_wait_dscnt 0x0
	s_barrier_signal -1
	s_barrier_wait -1
	s_barrier_signal -1
	s_barrier_wait -1
	s_and_saveexec_b32 s10, s14
	s_cbranch_execz .LBB34_440
; %bb.439:                              ;   in Loop: Header=BB34_3 Depth=1
	ds_load_b128 v[36:39], v1 offset:13520
	ds_load_b64 v[40:41], v1 offset:14040
	s_wait_dscnt 0x0
	v_mul_f64_e32 v[36:37], v[36:37], v[40:41]
	s_delay_alu instid0(VALU_DEP_1)
	v_mul_f64_e32 v[36:37], v[38:39], v[36:37]
	ds_store_b64 v1, v[36:37] offset:13528
.LBB34_440:                             ;   in Loop: Header=BB34_3 Depth=1
	s_or_b32 exec_lo, exec_lo, s10
	v_mov_b64_e32 v[36:37], 0
	s_wait_dscnt 0x0
	s_barrier_signal -1
	s_barrier_wait -1
	s_and_saveexec_b32 s10, s2
	s_cbranch_execz .LBB34_446
; %bb.441:                              ;   in Loop: Header=BB34_3 Depth=1
	ds_load_b64 v[36:37], v50 offset:12512
	ds_load_b64 v[38:39], v47 offset:12480
	s_wait_dscnt 0x0
	v_fma_f64 v[36:37], v[36:37], v[38:39], 0
	s_and_saveexec_b32 s6, s16
	s_cbranch_execnz .LBB34_1057
; %bb.442:                              ;   in Loop: Header=BB34_3 Depth=1
	s_or_b32 exec_lo, exec_lo, s6
	s_and_saveexec_b32 s6, s17
	s_cbranch_execnz .LBB34_1058
.LBB34_443:                             ;   in Loop: Header=BB34_3 Depth=1
	s_or_b32 exec_lo, exec_lo, s6
	s_and_saveexec_b32 s6, s1
	s_cbranch_execz .LBB34_445
.LBB34_444:                             ;   in Loop: Header=BB34_3 Depth=1
	ds_load_b64 v[38:39], v46 offset:14048
	ds_load_b64 v[40:41], v1 offset:12504
	s_wait_dscnt 0x0
	v_fmac_f64_e32 v[36:37], v[38:39], v[40:41]
.LBB34_445:                             ;   in Loop: Header=BB34_3 Depth=1
	s_or_b32 exec_lo, exec_lo, s6
	s_delay_alu instid0(VALU_DEP_1)
	v_xor_b32_e32 v37, 0x80000000, v37
.LBB34_446:                             ;   in Loop: Header=BB34_3 Depth=1
	s_or_b32 exec_lo, exec_lo, s10
	s_and_saveexec_b32 s6, s36
	s_cbranch_execz .LBB34_448
; %bb.447:                              ;   in Loop: Header=BB34_3 Depth=1
	ds_load_b64 v[38:39], v1 offset:14560
	s_wait_dscnt 0x0
	v_mul_f64_e32 v[36:37], v[36:37], v[38:39]
	ds_store_b64 v48, v[36:37]
.LBB34_448:                             ;   in Loop: Header=BB34_3 Depth=1
	s_or_b32 exec_lo, exec_lo, s6
	s_wait_dscnt 0x0
	s_barrier_signal -1
	s_barrier_wait -1
	s_and_saveexec_b32 s6, s37
	s_cbranch_execz .LBB34_450
; %bb.449:                              ;   in Loop: Header=BB34_3 Depth=1
	ds_load_b64 v[38:39], v49 offset:14560
	ds_load_b64 v[40:41], v48
	s_wait_dscnt 0x0
	v_fmac_f64_e32 v[36:37], v[38:39], v[40:41]
.LBB34_450:                             ;   in Loop: Header=BB34_3 Depth=1
	s_or_b32 exec_lo, exec_lo, s6
	s_barrier_signal -1
	s_barrier_wait -1
	s_and_saveexec_b32 s6, s38
	s_cbranch_execz .LBB34_452
; %bb.451:                              ;   in Loop: Header=BB34_3 Depth=1
	ds_load_b64 v[38:39], v1 offset:15080
	s_wait_dscnt 0x0
	v_mul_f64_e32 v[36:37], v[36:37], v[38:39]
	ds_store_b64 v48, v[36:37]
.LBB34_452:                             ;   in Loop: Header=BB34_3 Depth=1
	s_or_b32 exec_lo, exec_lo, s6
	s_wait_dscnt 0x0
	s_barrier_signal -1
	s_barrier_wait -1
	s_and_saveexec_b32 s6, s39
	s_cbranch_execz .LBB34_454
; %bb.453:                              ;   in Loop: Header=BB34_3 Depth=1
	ds_load_b64 v[38:39], v49 offset:15072
	ds_load_b64 v[40:41], v48
	s_wait_dscnt 0x0
	v_fmac_f64_e32 v[36:37], v[38:39], v[40:41]
.LBB34_454:                             ;   in Loop: Header=BB34_3 Depth=1
	s_or_b32 exec_lo, exec_lo, s6
	s_barrier_signal -1
	s_barrier_wait -1
	;; [unrolled: 23-line block ×3, first 2 shown]
	s_and_saveexec_b32 s6, s41
	s_cbranch_execz .LBB34_460
; %bb.459:                              ;   in Loop: Header=BB34_3 Depth=1
	ds_load_b64 v[38:39], v1 offset:16120
	s_wait_dscnt 0x0
	v_mul_f64_e32 v[36:37], v[36:37], v[38:39]
	ds_store_b64 v48, v[36:37]
.LBB34_460:                             ;   in Loop: Header=BB34_3 Depth=1
	s_or_b32 exec_lo, exec_lo, s6
	s_wait_dscnt 0x0
	s_barrier_signal -1
	s_barrier_wait -1
	s_barrier_signal -1
	s_barrier_wait -1
	s_and_saveexec_b32 s6, s2
; %bb.461:                              ;   in Loop: Header=BB34_3 Depth=1
	s_delay_alu instid0(VALU_DEP_1)
	v_xor_b32_e32 v37, 0x80000000, v37
	ds_store_b64 v50, v[36:37] offset:12512
; %bb.462:                              ;   in Loop: Header=BB34_3 Depth=1
	s_or_b32 exec_lo, exec_lo, s6
	s_wait_dscnt 0x0
	s_barrier_signal -1
	s_barrier_wait -1
	s_barrier_signal -1
	s_barrier_wait -1
	s_and_saveexec_b32 s10, s14
	s_cbranch_execz .LBB34_464
; %bb.463:                              ;   in Loop: Header=BB34_3 Depth=1
	ds_load_b128 v[36:39], v1 offset:14560
	ds_load_b64 v[40:41], v1 offset:15080
	s_wait_dscnt 0x0
	v_mul_f64_e32 v[36:37], v[36:37], v[40:41]
	s_delay_alu instid0(VALU_DEP_1)
	v_mul_f64_e32 v[36:37], v[38:39], v[36:37]
	ds_store_b64 v1, v[36:37] offset:14568
.LBB34_464:                             ;   in Loop: Header=BB34_3 Depth=1
	s_or_b32 exec_lo, exec_lo, s10
	v_mov_b64_e32 v[36:37], 0
	s_wait_dscnt 0x0
	s_barrier_signal -1
	s_barrier_wait -1
	s_and_saveexec_b32 s10, s1
	s_cbranch_execz .LBB34_468
; %bb.465:                              ;   in Loop: Header=BB34_3 Depth=1
	ds_load_b64 v[36:37], v44 offset:14576
	ds_load_b64 v[38:39], v45 offset:14560
	s_wait_dscnt 0x0
	v_fma_f64 v[36:37], v[36:37], v[38:39], 0
	s_and_saveexec_b32 s6, s15
	s_cbranch_execz .LBB34_467
; %bb.466:                              ;   in Loop: Header=BB34_3 Depth=1
	ds_load_b64 v[38:39], v46 offset:15088
	ds_load_b64 v[40:41], v1 offset:14568
	s_wait_dscnt 0x0
	v_fmac_f64_e32 v[36:37], v[38:39], v[40:41]
.LBB34_467:                             ;   in Loop: Header=BB34_3 Depth=1
	s_or_b32 exec_lo, exec_lo, s6
	s_delay_alu instid0(VALU_DEP_1)
	v_xor_b32_e32 v37, 0x80000000, v37
.LBB34_468:                             ;   in Loop: Header=BB34_3 Depth=1
	s_or_b32 exec_lo, exec_lo, s10
	s_and_saveexec_b32 s6, s104
	s_cbranch_execz .LBB34_470
; %bb.469:                              ;   in Loop: Header=BB34_3 Depth=1
	ds_load_b64 v[38:39], v1 offset:15600
	s_wait_dscnt 0x0
	v_mul_f64_e32 v[36:37], v[36:37], v[38:39]
	ds_store_b64 v3, v[36:37]
.LBB34_470:                             ;   in Loop: Header=BB34_3 Depth=1
	s_or_b32 exec_lo, exec_lo, s6
	s_wait_dscnt 0x0
	s_barrier_signal -1
	s_barrier_wait -1
	s_and_saveexec_b32 s6, vcc_hi
	s_cbranch_execz .LBB34_472
; %bb.471:                              ;   in Loop: Header=BB34_3 Depth=1
	ds_load_b64 v[38:39], v1 offset:15608
	ds_load_b64 v[40:41], v3
	s_wait_dscnt 0x0
	v_fmac_f64_e32 v[36:37], v[38:39], v[40:41]
.LBB34_472:                             ;   in Loop: Header=BB34_3 Depth=1
	s_or_b32 exec_lo, exec_lo, s6
	s_barrier_signal -1
	s_barrier_wait -1
	s_and_saveexec_b32 s6, vcc_hi
	s_cbranch_execz .LBB34_474
; %bb.473:                              ;   in Loop: Header=BB34_3 Depth=1
	ds_load_b64 v[38:39], v1 offset:16120
	s_wait_dscnt 0x0
	v_mul_f64_e32 v[36:37], v[36:37], v[38:39]
	ds_store_b64 v3, v[36:37]
.LBB34_474:                             ;   in Loop: Header=BB34_3 Depth=1
	s_or_b32 exec_lo, exec_lo, s6
	s_wait_dscnt 0x0
	s_barrier_signal -1
	s_barrier_wait -1
	s_barrier_signal -1
	s_barrier_wait -1
	s_and_saveexec_b32 s6, s1
; %bb.475:                              ;   in Loop: Header=BB34_3 Depth=1
	s_delay_alu instid0(VALU_DEP_1)
	v_xor_b32_e32 v37, 0x80000000, v37
	ds_store_b64 v44, v[36:37] offset:14576
; %bb.476:                              ;   in Loop: Header=BB34_3 Depth=1
	s_or_b32 exec_lo, exec_lo, s6
	s_wait_dscnt 0x0
	s_barrier_signal -1
	s_barrier_wait -1
	s_barrier_signal -1
	s_barrier_wait -1
	s_and_saveexec_b32 s10, s14
	s_cbranch_execz .LBB34_478
; %bb.477:                              ;   in Loop: Header=BB34_3 Depth=1
	ds_load_b128 v[36:39], v1 offset:15600
	ds_load_b64 v[40:41], v1 offset:16120
	s_wait_dscnt 0x0
	v_mul_f64_e32 v[36:37], v[36:37], v[40:41]
	s_delay_alu instid0(VALU_DEP_1)
	v_mul_f64_e32 v[36:37], v[38:39], v[36:37]
	ds_store_b64 v1, v[36:37] offset:15608
.LBB34_478:                             ;   in Loop: Header=BB34_3 Depth=1
	s_or_b32 exec_lo, exec_lo, s10
	v_mov_b64_e32 v[36:37], 0
	s_wait_dscnt 0x0
	s_barrier_signal -1
	s_barrier_wait -1
	s_and_saveexec_b32 s69, s35
	s_cbranch_execz .LBB34_538
; %bb.479:                              ;   in Loop: Header=BB34_3 Depth=1
	v_add_nc_u32_e32 v0, v64, v62
	ds_load_b64 v[36:37], v66 offset:256
	ds_load_b64 v[38:39], v0
	s_wait_dscnt 0x0
	v_fma_f64 v[36:37], v[36:37], v[38:39], 0
	s_mov_b32 s6, exec_lo
	v_readlane_b32 s10, v83, 7
	s_and_b32 s10, s6, s10
	s_delay_alu instid0(SALU_CYCLE_1)
	s_mov_b32 exec_lo, s10
	s_cbranch_execz .LBB34_481
; %bb.480:                              ;   in Loop: Header=BB34_3 Depth=1
	ds_load_b64 v[38:39], v66 offset:768
	ds_load_b64 v[40:41], v0 offset:8
	s_wait_dscnt 0x0
	v_fmac_f64_e32 v[36:37], v[38:39], v[40:41]
.LBB34_481:                             ;   in Loop: Header=BB34_3 Depth=1
	s_or_b32 exec_lo, exec_lo, s6
	s_delay_alu instid0(SALU_CYCLE_1) | instskip(SKIP_2) | instid1(SALU_CYCLE_1)
	s_mov_b32 s6, exec_lo
	v_readlane_b32 s10, v83, 8
	s_and_b32 s10, s6, s10
	s_mov_b32 exec_lo, s10
	s_cbranch_execz .LBB34_483
; %bb.482:                              ;   in Loop: Header=BB34_3 Depth=1
	ds_load_b64 v[38:39], v66 offset:1280
	ds_load_b64 v[40:41], v0 offset:16
	s_wait_dscnt 0x0
	v_fmac_f64_e32 v[36:37], v[38:39], v[40:41]
.LBB34_483:                             ;   in Loop: Header=BB34_3 Depth=1
	s_or_b32 exec_lo, exec_lo, s6
	s_delay_alu instid0(SALU_CYCLE_1) | instskip(SKIP_2) | instid1(SALU_CYCLE_1)
	s_mov_b32 s6, exec_lo
	v_readlane_b32 s10, v83, 9
	s_and_b32 s10, s6, s10
	;; [unrolled: 13-line block ×22, first 2 shown]
	s_mov_b32 exec_lo, s10
	s_cbranch_execz .LBB34_525
; %bb.524:                              ;   in Loop: Header=BB34_3 Depth=1
	ds_load_b64 v[38:39], v66 offset:12032
	ds_load_b64 v[40:41], v0 offset:184
	s_wait_dscnt 0x0
	v_fmac_f64_e32 v[36:37], v[38:39], v[40:41]
.LBB34_525:                             ;   in Loop: Header=BB34_3 Depth=1
	s_or_b32 exec_lo, exec_lo, s6
	s_and_saveexec_b32 s6, s4
	s_cbranch_execz .LBB34_527
; %bb.526:                              ;   in Loop: Header=BB34_3 Depth=1
	ds_load_b64 v[38:39], v66 offset:12544
	ds_load_b64 v[40:41], v0 offset:192
	s_wait_dscnt 0x0
	v_fmac_f64_e32 v[36:37], v[38:39], v[40:41]
.LBB34_527:                             ;   in Loop: Header=BB34_3 Depth=1
	s_or_b32 exec_lo, exec_lo, s6
	s_delay_alu instid0(SALU_CYCLE_1) | instskip(SKIP_2) | instid1(SALU_CYCLE_1)
	s_mov_b32 s6, exec_lo
	v_readlane_b32 s10, v84, 31
	s_and_b32 s10, s6, s10
	s_mov_b32 exec_lo, s10
	s_cbranch_execz .LBB34_529
; %bb.528:                              ;   in Loop: Header=BB34_3 Depth=1
	ds_load_b64 v[38:39], v66 offset:13056
	ds_load_b64 v[40:41], v0 offset:200
	s_wait_dscnt 0x0
	v_fmac_f64_e32 v[36:37], v[38:39], v[40:41]
.LBB34_529:                             ;   in Loop: Header=BB34_3 Depth=1
	s_or_b32 exec_lo, exec_lo, s6
	s_delay_alu instid0(SALU_CYCLE_1) | instskip(SKIP_2) | instid1(SALU_CYCLE_1)
	s_mov_b32 s6, exec_lo
	v_readlane_b32 s10, v83, 1
	s_and_b32 s10, s6, s10
	s_mov_b32 exec_lo, s10
	;; [unrolled: 13-line block ×3, first 2 shown]
	s_cbranch_execnz .LBB34_1059
; %bb.532:                              ;   in Loop: Header=BB34_3 Depth=1
	s_or_b32 exec_lo, exec_lo, s6
	s_and_saveexec_b32 s6, s7
	s_cbranch_execnz .LBB34_1060
.LBB34_533:                             ;   in Loop: Header=BB34_3 Depth=1
	s_or_b32 exec_lo, exec_lo, s6
	s_and_saveexec_b32 s6, s8
	s_cbranch_execnz .LBB34_1061
.LBB34_534:                             ;   in Loop: Header=BB34_3 Depth=1
	s_or_b32 exec_lo, exec_lo, s6
	s_and_saveexec_b32 s6, s3
	s_cbranch_execnz .LBB34_1062
.LBB34_535:                             ;   in Loop: Header=BB34_3 Depth=1
	s_or_b32 exec_lo, exec_lo, s6
	s_and_saveexec_b32 s6, s21
	s_cbranch_execz .LBB34_537
.LBB34_536:                             ;   in Loop: Header=BB34_3 Depth=1
	ds_load_b64 v[38:39], v46 offset:16128
	ds_load_b64 v[40:41], v1 offset:248
	s_wait_dscnt 0x0
	v_fmac_f64_e32 v[36:37], v[38:39], v[40:41]
.LBB34_537:                             ;   in Loop: Header=BB34_3 Depth=1
	s_or_b32 exec_lo, exec_lo, s6
	s_delay_alu instid0(VALU_DEP_1)
	v_xor_b32_e32 v37, 0x80000000, v37
.LBB34_538:                             ;   in Loop: Header=BB34_3 Depth=1
	s_or_b32 exec_lo, exec_lo, s69
	v_dual_mov_b32 v0, v63 :: v_dual_mov_b32 v38, v76
	s_mov_b32 s10, 0
	s_branch .LBB34_540
.LBB34_539:                             ;   in Loop: Header=BB34_540 Depth=2
	s_or_b32 exec_lo, exec_lo, s6
	v_add_nc_u32_e32 v38, 0x800, v38
	v_add_nc_u32_e32 v0, -4, v0
	s_add_co_i32 s10, s10, 4
	s_delay_alu instid0(SALU_CYCLE_1)
	s_cmp_eq_u32 s10, 32
	s_barrier_signal -1
	s_barrier_wait -1
	s_cbranch_scc1 .LBB34_556
.LBB34_540:                             ;   Parent Loop BB34_3 Depth=1
                                        ; =>  This Inner Loop Header: Depth=2
	s_delay_alu instid0(VALU_DEP_1) | instskip(SKIP_1) | instid1(SALU_CYCLE_1)
	v_cmp_eq_u32_e32 vcc_lo, 0, v0
	s_and_b32 s11, s9, vcc_lo
	s_and_saveexec_b32 s6, s11
	s_cbranch_execz .LBB34_542
; %bb.541:                              ;   in Loop: Header=BB34_540 Depth=2
	ds_load_b64 v[40:41], v67 offset:16640
	s_wait_dscnt 0x0
	v_mul_f64_e32 v[36:37], v[36:37], v[40:41]
	ds_store_b64 v65, v[36:37]
.LBB34_542:                             ;   in Loop: Header=BB34_540 Depth=2
	s_or_b32 exec_lo, exec_lo, s6
	v_cmp_lt_u32_e32 vcc_lo, s10, v63
	s_wait_dscnt 0x0
	s_barrier_signal -1
	s_barrier_wait -1
	s_and_b32 s11, s9, vcc_lo
	s_delay_alu instid0(SALU_CYCLE_1)
	s_and_saveexec_b32 s6, s11
	s_cbranch_execz .LBB34_544
; %bb.543:                              ;   in Loop: Header=BB34_540 Depth=2
	ds_load_b64 v[40:41], v38
	ds_load_b64 v[78:79], v65
	s_wait_dscnt 0x0
	v_fmac_f64_e32 v[36:37], v[40:41], v[78:79]
.LBB34_544:                             ;   in Loop: Header=BB34_540 Depth=2
	s_or_b32 exec_lo, exec_lo, s6
	s_or_b32 s11, s10, 1
	s_delay_alu instid0(SALU_CYCLE_1) | instskip(SKIP_3) | instid1(SALU_CYCLE_1)
	v_cmp_eq_u32_e32 vcc_lo, s11, v63
	s_barrier_signal -1
	s_barrier_wait -1
	s_and_b32 s69, s9, vcc_lo
	s_and_saveexec_b32 s6, s69
	s_cbranch_execz .LBB34_546
; %bb.545:                              ;   in Loop: Header=BB34_540 Depth=2
	ds_load_b64 v[40:41], v67 offset:16640
	s_wait_dscnt 0x0
	v_mul_f64_e32 v[36:37], v[36:37], v[40:41]
	ds_store_b64 v65, v[36:37]
.LBB34_546:                             ;   in Loop: Header=BB34_540 Depth=2
	s_or_b32 exec_lo, exec_lo, s6
	v_cmp_lt_u32_e32 vcc_lo, s11, v63
	s_wait_dscnt 0x0
	s_barrier_signal -1
	s_barrier_wait -1
	s_and_b32 s11, s9, vcc_lo
	s_delay_alu instid0(SALU_CYCLE_1)
	s_and_saveexec_b32 s6, s11
	s_cbranch_execz .LBB34_548
; %bb.547:                              ;   in Loop: Header=BB34_540 Depth=2
	ds_load_b64 v[40:41], v38 offset:512
	ds_load_b64 v[78:79], v65
	s_wait_dscnt 0x0
	v_fmac_f64_e32 v[36:37], v[40:41], v[78:79]
.LBB34_548:                             ;   in Loop: Header=BB34_540 Depth=2
	s_or_b32 exec_lo, exec_lo, s6
	s_or_b32 s11, s10, 2
	s_delay_alu instid0(SALU_CYCLE_1) | instskip(SKIP_3) | instid1(SALU_CYCLE_1)
	v_cmp_eq_u32_e32 vcc_lo, s11, v63
	s_barrier_signal -1
	s_barrier_wait -1
	s_and_b32 s69, s9, vcc_lo
	s_and_saveexec_b32 s6, s69
	s_cbranch_execz .LBB34_550
; %bb.549:                              ;   in Loop: Header=BB34_540 Depth=2
	ds_load_b64 v[40:41], v67 offset:16640
	s_wait_dscnt 0x0
	v_mul_f64_e32 v[36:37], v[36:37], v[40:41]
	ds_store_b64 v65, v[36:37]
.LBB34_550:                             ;   in Loop: Header=BB34_540 Depth=2
	s_or_b32 exec_lo, exec_lo, s6
	v_cmp_lt_u32_e32 vcc_lo, s11, v63
	s_wait_dscnt 0x0
	s_barrier_signal -1
	s_barrier_wait -1
	s_and_b32 s11, s9, vcc_lo
	s_delay_alu instid0(SALU_CYCLE_1)
	s_and_saveexec_b32 s6, s11
	s_cbranch_execz .LBB34_552
; %bb.551:                              ;   in Loop: Header=BB34_540 Depth=2
	ds_load_b64 v[40:41], v38 offset:1024
	ds_load_b64 v[78:79], v65
	s_wait_dscnt 0x0
	v_fmac_f64_e32 v[36:37], v[40:41], v[78:79]
.LBB34_552:                             ;   in Loop: Header=BB34_540 Depth=2
	s_or_b32 exec_lo, exec_lo, s6
	s_or_b32 s11, s10, 3
	s_delay_alu instid0(SALU_CYCLE_1) | instskip(SKIP_3) | instid1(SALU_CYCLE_1)
	v_cmp_eq_u32_e32 vcc_lo, s11, v63
	s_barrier_signal -1
	s_barrier_wait -1
	s_and_b32 s69, s9, vcc_lo
	s_and_saveexec_b32 s6, s69
	s_cbranch_execz .LBB34_554
; %bb.553:                              ;   in Loop: Header=BB34_540 Depth=2
	ds_load_b64 v[40:41], v67 offset:16640
	s_wait_dscnt 0x0
	v_mul_f64_e32 v[36:37], v[36:37], v[40:41]
	ds_store_b64 v65, v[36:37]
.LBB34_554:                             ;   in Loop: Header=BB34_540 Depth=2
	s_or_b32 exec_lo, exec_lo, s6
	v_cmp_lt_u32_e32 vcc_lo, s11, v63
	s_wait_dscnt 0x0
	s_barrier_signal -1
	s_barrier_wait -1
	s_and_b32 s11, s9, vcc_lo
	s_delay_alu instid0(SALU_CYCLE_1)
	s_and_saveexec_b32 s6, s11
	s_cbranch_execz .LBB34_539
; %bb.555:                              ;   in Loop: Header=BB34_540 Depth=2
	ds_load_b64 v[40:41], v38 offset:1536
	ds_load_b64 v[78:79], v65
	s_wait_dscnt 0x0
	v_fmac_f64_e32 v[36:37], v[40:41], v[78:79]
	s_branch .LBB34_539
.LBB34_556:                             ;   in Loop: Header=BB34_3 Depth=1
	s_and_saveexec_b32 s6, s35
; %bb.557:                              ;   in Loop: Header=BB34_3 Depth=1
	s_delay_alu instid0(VALU_DEP_3)
	v_xor_b32_e32 v37, 0x80000000, v37
	ds_store_b64 v66, v[36:37] offset:256
; %bb.558:                              ;   in Loop: Header=BB34_3 Depth=1
	s_or_b32 exec_lo, exec_lo, s6
	s_wait_dscnt 0x0
	s_barrier_signal -1
	s_barrier_wait -1
	s_barrier_signal -1
	s_barrier_wait -1
	s_and_saveexec_b32 s10, s14
	s_cbranch_execz .LBB34_560
; %bb.559:                              ;   in Loop: Header=BB34_3 Depth=1
	ds_load_b128 v[36:39], v1 offset:16640
	ds_load_b64 v[40:41], v1 offset:17160
	s_wait_dscnt 0x0
	v_mul_f64_e32 v[36:37], v[36:37], v[40:41]
	s_delay_alu instid0(VALU_DEP_1)
	v_mul_f64_e32 v[36:37], v[38:39], v[36:37]
	ds_store_b64 v1, v[36:37] offset:16648
.LBB34_560:                             ;   in Loop: Header=BB34_3 Depth=1
	s_or_b32 exec_lo, exec_lo, s10
	v_mov_b64_e32 v[36:37], 0
	s_wait_dscnt 0x0
	s_barrier_signal -1
	s_barrier_wait -1
	s_and_saveexec_b32 s10, s1
	s_cbranch_execz .LBB34_564
; %bb.561:                              ;   in Loop: Header=BB34_3 Depth=1
	ds_load_b64 v[36:37], v44 offset:16656
	ds_load_b64 v[38:39], v45 offset:16640
	s_wait_dscnt 0x0
	v_fma_f64 v[36:37], v[36:37], v[38:39], 0
	s_and_saveexec_b32 s6, s15
	s_cbranch_execz .LBB34_563
; %bb.562:                              ;   in Loop: Header=BB34_3 Depth=1
	ds_load_b64 v[38:39], v46 offset:17168
	ds_load_b64 v[40:41], v1 offset:16648
	s_wait_dscnt 0x0
	v_fmac_f64_e32 v[36:37], v[38:39], v[40:41]
.LBB34_563:                             ;   in Loop: Header=BB34_3 Depth=1
	s_or_b32 exec_lo, exec_lo, s6
	s_delay_alu instid0(VALU_DEP_1)
	v_xor_b32_e32 v37, 0x80000000, v37
.LBB34_564:                             ;   in Loop: Header=BB34_3 Depth=1
	s_or_b32 exec_lo, exec_lo, s10
	s_and_saveexec_b32 s6, s104
	s_cbranch_execz .LBB34_566
; %bb.565:                              ;   in Loop: Header=BB34_3 Depth=1
	ds_load_b64 v[38:39], v1 offset:17680
	s_wait_dscnt 0x0
	v_mul_f64_e32 v[36:37], v[36:37], v[38:39]
	ds_store_b64 v3, v[36:37]
.LBB34_566:                             ;   in Loop: Header=BB34_3 Depth=1
	s_or_b32 exec_lo, exec_lo, s6
	s_wait_dscnt 0x0
	s_barrier_signal -1
	s_barrier_wait -1
	s_and_saveexec_b32 s6, vcc_hi
	s_cbranch_execz .LBB34_568
; %bb.567:                              ;   in Loop: Header=BB34_3 Depth=1
	ds_load_b64 v[38:39], v1 offset:17688
	ds_load_b64 v[40:41], v3
	s_wait_dscnt 0x0
	v_fmac_f64_e32 v[36:37], v[38:39], v[40:41]
.LBB34_568:                             ;   in Loop: Header=BB34_3 Depth=1
	s_or_b32 exec_lo, exec_lo, s6
	s_barrier_signal -1
	s_barrier_wait -1
	s_and_saveexec_b32 s6, vcc_hi
	s_cbranch_execz .LBB34_570
; %bb.569:                              ;   in Loop: Header=BB34_3 Depth=1
	ds_load_b64 v[38:39], v1 offset:18200
	s_wait_dscnt 0x0
	v_mul_f64_e32 v[36:37], v[36:37], v[38:39]
	ds_store_b64 v3, v[36:37]
.LBB34_570:                             ;   in Loop: Header=BB34_3 Depth=1
	s_or_b32 exec_lo, exec_lo, s6
	s_wait_dscnt 0x0
	s_barrier_signal -1
	s_barrier_wait -1
	s_barrier_signal -1
	s_barrier_wait -1
	s_and_saveexec_b32 s6, s1
; %bb.571:                              ;   in Loop: Header=BB34_3 Depth=1
	s_delay_alu instid0(VALU_DEP_1)
	v_xor_b32_e32 v37, 0x80000000, v37
	ds_store_b64 v44, v[36:37] offset:16656
; %bb.572:                              ;   in Loop: Header=BB34_3 Depth=1
	s_or_b32 exec_lo, exec_lo, s6
	s_wait_dscnt 0x0
	s_barrier_signal -1
	s_barrier_wait -1
	s_barrier_signal -1
	s_barrier_wait -1
	s_and_saveexec_b32 s10, s14
	s_cbranch_execz .LBB34_574
; %bb.573:                              ;   in Loop: Header=BB34_3 Depth=1
	ds_load_b128 v[36:39], v1 offset:17680
	ds_load_b64 v[40:41], v1 offset:18200
	s_wait_dscnt 0x0
	v_mul_f64_e32 v[36:37], v[36:37], v[40:41]
	s_delay_alu instid0(VALU_DEP_1)
	v_mul_f64_e32 v[36:37], v[38:39], v[36:37]
	ds_store_b64 v1, v[36:37] offset:17688
.LBB34_574:                             ;   in Loop: Header=BB34_3 Depth=1
	s_or_b32 exec_lo, exec_lo, s10
	v_mov_b64_e32 v[36:37], 0
	s_wait_dscnt 0x0
	s_barrier_signal -1
	s_barrier_wait -1
	s_and_saveexec_b32 s10, s2
	s_cbranch_execz .LBB34_580
; %bb.575:                              ;   in Loop: Header=BB34_3 Depth=1
	ds_load_b64 v[36:37], v50 offset:16672
	ds_load_b64 v[38:39], v47 offset:16640
	s_wait_dscnt 0x0
	v_fma_f64 v[36:37], v[36:37], v[38:39], 0
	s_and_saveexec_b32 s6, s16
	s_cbranch_execnz .LBB34_1063
; %bb.576:                              ;   in Loop: Header=BB34_3 Depth=1
	s_or_b32 exec_lo, exec_lo, s6
	s_and_saveexec_b32 s6, s17
	s_cbranch_execnz .LBB34_1064
.LBB34_577:                             ;   in Loop: Header=BB34_3 Depth=1
	s_or_b32 exec_lo, exec_lo, s6
	s_and_saveexec_b32 s6, s1
	s_cbranch_execz .LBB34_579
.LBB34_578:                             ;   in Loop: Header=BB34_3 Depth=1
	ds_load_b64 v[38:39], v46 offset:18208
	ds_load_b64 v[40:41], v1 offset:16664
	s_wait_dscnt 0x0
	v_fmac_f64_e32 v[36:37], v[38:39], v[40:41]
.LBB34_579:                             ;   in Loop: Header=BB34_3 Depth=1
	s_or_b32 exec_lo, exec_lo, s6
	s_delay_alu instid0(VALU_DEP_1)
	v_xor_b32_e32 v37, 0x80000000, v37
.LBB34_580:                             ;   in Loop: Header=BB34_3 Depth=1
	s_or_b32 exec_lo, exec_lo, s10
	s_and_saveexec_b32 s6, s36
	s_cbranch_execz .LBB34_582
; %bb.581:                              ;   in Loop: Header=BB34_3 Depth=1
	ds_load_b64 v[38:39], v1 offset:18720
	s_wait_dscnt 0x0
	v_mul_f64_e32 v[36:37], v[36:37], v[38:39]
	ds_store_b64 v48, v[36:37]
.LBB34_582:                             ;   in Loop: Header=BB34_3 Depth=1
	s_or_b32 exec_lo, exec_lo, s6
	s_wait_dscnt 0x0
	s_barrier_signal -1
	s_barrier_wait -1
	s_and_saveexec_b32 s6, s37
	s_cbranch_execz .LBB34_584
; %bb.583:                              ;   in Loop: Header=BB34_3 Depth=1
	ds_load_b64 v[38:39], v49 offset:18720
	ds_load_b64 v[40:41], v48
	s_wait_dscnt 0x0
	v_fmac_f64_e32 v[36:37], v[38:39], v[40:41]
.LBB34_584:                             ;   in Loop: Header=BB34_3 Depth=1
	s_or_b32 exec_lo, exec_lo, s6
	s_barrier_signal -1
	s_barrier_wait -1
	s_and_saveexec_b32 s6, s38
	s_cbranch_execz .LBB34_586
; %bb.585:                              ;   in Loop: Header=BB34_3 Depth=1
	ds_load_b64 v[38:39], v1 offset:19240
	s_wait_dscnt 0x0
	v_mul_f64_e32 v[36:37], v[36:37], v[38:39]
	ds_store_b64 v48, v[36:37]
.LBB34_586:                             ;   in Loop: Header=BB34_3 Depth=1
	s_or_b32 exec_lo, exec_lo, s6
	s_wait_dscnt 0x0
	s_barrier_signal -1
	s_barrier_wait -1
	s_and_saveexec_b32 s6, s39
	s_cbranch_execz .LBB34_588
; %bb.587:                              ;   in Loop: Header=BB34_3 Depth=1
	ds_load_b64 v[38:39], v49 offset:19232
	ds_load_b64 v[40:41], v48
	s_wait_dscnt 0x0
	v_fmac_f64_e32 v[36:37], v[38:39], v[40:41]
.LBB34_588:                             ;   in Loop: Header=BB34_3 Depth=1
	s_or_b32 exec_lo, exec_lo, s6
	s_barrier_signal -1
	s_barrier_wait -1
	;; [unrolled: 23-line block ×3, first 2 shown]
	s_and_saveexec_b32 s6, s41
	s_cbranch_execz .LBB34_594
; %bb.593:                              ;   in Loop: Header=BB34_3 Depth=1
	ds_load_b64 v[38:39], v1 offset:20280
	s_wait_dscnt 0x0
	v_mul_f64_e32 v[36:37], v[36:37], v[38:39]
	ds_store_b64 v48, v[36:37]
.LBB34_594:                             ;   in Loop: Header=BB34_3 Depth=1
	s_or_b32 exec_lo, exec_lo, s6
	s_wait_dscnt 0x0
	s_barrier_signal -1
	s_barrier_wait -1
	s_barrier_signal -1
	s_barrier_wait -1
	s_and_saveexec_b32 s6, s2
; %bb.595:                              ;   in Loop: Header=BB34_3 Depth=1
	s_delay_alu instid0(VALU_DEP_1)
	v_xor_b32_e32 v37, 0x80000000, v37
	ds_store_b64 v50, v[36:37] offset:16672
; %bb.596:                              ;   in Loop: Header=BB34_3 Depth=1
	s_or_b32 exec_lo, exec_lo, s6
	s_wait_dscnt 0x0
	s_barrier_signal -1
	s_barrier_wait -1
	s_barrier_signal -1
	s_barrier_wait -1
	s_and_saveexec_b32 s10, s14
	s_cbranch_execz .LBB34_598
; %bb.597:                              ;   in Loop: Header=BB34_3 Depth=1
	ds_load_b128 v[36:39], v1 offset:18720
	ds_load_b64 v[40:41], v1 offset:19240
	s_wait_dscnt 0x0
	v_mul_f64_e32 v[36:37], v[36:37], v[40:41]
	s_delay_alu instid0(VALU_DEP_1)
	v_mul_f64_e32 v[36:37], v[38:39], v[36:37]
	ds_store_b64 v1, v[36:37] offset:18728
.LBB34_598:                             ;   in Loop: Header=BB34_3 Depth=1
	s_or_b32 exec_lo, exec_lo, s10
	v_mov_b64_e32 v[36:37], 0
	s_wait_dscnt 0x0
	s_barrier_signal -1
	s_barrier_wait -1
	s_and_saveexec_b32 s10, s1
	s_cbranch_execz .LBB34_602
; %bb.599:                              ;   in Loop: Header=BB34_3 Depth=1
	ds_load_b64 v[36:37], v44 offset:18736
	ds_load_b64 v[38:39], v45 offset:18720
	s_wait_dscnt 0x0
	v_fma_f64 v[36:37], v[36:37], v[38:39], 0
	s_and_saveexec_b32 s6, s15
	s_cbranch_execz .LBB34_601
; %bb.600:                              ;   in Loop: Header=BB34_3 Depth=1
	ds_load_b64 v[38:39], v46 offset:19248
	ds_load_b64 v[40:41], v1 offset:18728
	s_wait_dscnt 0x0
	v_fmac_f64_e32 v[36:37], v[38:39], v[40:41]
.LBB34_601:                             ;   in Loop: Header=BB34_3 Depth=1
	s_or_b32 exec_lo, exec_lo, s6
	s_delay_alu instid0(VALU_DEP_1)
	v_xor_b32_e32 v37, 0x80000000, v37
.LBB34_602:                             ;   in Loop: Header=BB34_3 Depth=1
	s_or_b32 exec_lo, exec_lo, s10
	s_and_saveexec_b32 s6, s104
	s_cbranch_execz .LBB34_604
; %bb.603:                              ;   in Loop: Header=BB34_3 Depth=1
	ds_load_b64 v[38:39], v1 offset:19760
	s_wait_dscnt 0x0
	v_mul_f64_e32 v[36:37], v[36:37], v[38:39]
	ds_store_b64 v3, v[36:37]
.LBB34_604:                             ;   in Loop: Header=BB34_3 Depth=1
	s_or_b32 exec_lo, exec_lo, s6
	s_wait_dscnt 0x0
	s_barrier_signal -1
	s_barrier_wait -1
	s_and_saveexec_b32 s6, vcc_hi
	s_cbranch_execz .LBB34_606
; %bb.605:                              ;   in Loop: Header=BB34_3 Depth=1
	ds_load_b64 v[38:39], v1 offset:19768
	ds_load_b64 v[40:41], v3
	s_wait_dscnt 0x0
	v_fmac_f64_e32 v[36:37], v[38:39], v[40:41]
.LBB34_606:                             ;   in Loop: Header=BB34_3 Depth=1
	s_or_b32 exec_lo, exec_lo, s6
	s_barrier_signal -1
	s_barrier_wait -1
	s_and_saveexec_b32 s6, vcc_hi
	s_cbranch_execz .LBB34_608
; %bb.607:                              ;   in Loop: Header=BB34_3 Depth=1
	ds_load_b64 v[38:39], v1 offset:20280
	s_wait_dscnt 0x0
	v_mul_f64_e32 v[36:37], v[36:37], v[38:39]
	ds_store_b64 v3, v[36:37]
.LBB34_608:                             ;   in Loop: Header=BB34_3 Depth=1
	s_or_b32 exec_lo, exec_lo, s6
	s_wait_dscnt 0x0
	s_barrier_signal -1
	s_barrier_wait -1
	s_barrier_signal -1
	s_barrier_wait -1
	s_and_saveexec_b32 s6, s1
; %bb.609:                              ;   in Loop: Header=BB34_3 Depth=1
	s_delay_alu instid0(VALU_DEP_1)
	v_xor_b32_e32 v37, 0x80000000, v37
	ds_store_b64 v44, v[36:37] offset:18736
; %bb.610:                              ;   in Loop: Header=BB34_3 Depth=1
	s_or_b32 exec_lo, exec_lo, s6
	s_wait_dscnt 0x0
	s_barrier_signal -1
	s_barrier_wait -1
	s_barrier_signal -1
	s_barrier_wait -1
	s_and_saveexec_b32 s10, s14
	s_cbranch_execz .LBB34_612
; %bb.611:                              ;   in Loop: Header=BB34_3 Depth=1
	ds_load_b128 v[36:39], v1 offset:19760
	ds_load_b64 v[40:41], v1 offset:20280
	s_wait_dscnt 0x0
	v_mul_f64_e32 v[36:37], v[36:37], v[40:41]
	s_delay_alu instid0(VALU_DEP_1)
	v_mul_f64_e32 v[36:37], v[38:39], v[36:37]
	ds_store_b64 v1, v[36:37] offset:19768
.LBB34_612:                             ;   in Loop: Header=BB34_3 Depth=1
	s_or_b32 exec_lo, exec_lo, s10
	v_mov_b64_e32 v[36:37], 0
	s_wait_dscnt 0x0
	s_barrier_signal -1
	s_barrier_wait -1
	s_and_saveexec_b32 s10, s3
	s_cbranch_execz .LBB34_622
; %bb.613:                              ;   in Loop: Header=BB34_3 Depth=1
	ds_load_b64 v[36:37], v55 offset:16704
	ds_load_b64 v[38:39], v52 offset:16640
	s_wait_dscnt 0x0
	v_fma_f64 v[36:37], v[36:37], v[38:39], 0
	s_and_saveexec_b32 s6, s18
	s_cbranch_execnz .LBB34_1065
; %bb.614:                              ;   in Loop: Header=BB34_3 Depth=1
	s_or_b32 exec_lo, exec_lo, s6
	s_and_saveexec_b32 s6, s19
	s_cbranch_execnz .LBB34_1066
.LBB34_615:                             ;   in Loop: Header=BB34_3 Depth=1
	s_or_b32 exec_lo, exec_lo, s6
	s_and_saveexec_b32 s6, s20
	s_cbranch_execnz .LBB34_1067
.LBB34_616:                             ;   in Loop: Header=BB34_3 Depth=1
	s_or_b32 exec_lo, exec_lo, s6
	s_and_saveexec_b32 s6, s21
	s_cbranch_execnz .LBB34_1068
.LBB34_617:                             ;   in Loop: Header=BB34_3 Depth=1
	s_or_b32 exec_lo, exec_lo, s6
	s_and_saveexec_b32 s6, s22
	s_cbranch_execnz .LBB34_1069
.LBB34_618:                             ;   in Loop: Header=BB34_3 Depth=1
	s_or_b32 exec_lo, exec_lo, s6
	s_and_saveexec_b32 s6, s2
	s_cbranch_execnz .LBB34_1070
.LBB34_619:                             ;   in Loop: Header=BB34_3 Depth=1
	s_or_b32 exec_lo, exec_lo, s6
	s_and_saveexec_b32 s6, s17
	s_cbranch_execz .LBB34_621
.LBB34_620:                             ;   in Loop: Header=BB34_3 Depth=1
	ds_load_b64 v[38:39], v46 offset:20288
	ds_load_b64 v[40:41], v1 offset:16696
	s_wait_dscnt 0x0
	v_fmac_f64_e32 v[36:37], v[38:39], v[40:41]
.LBB34_621:                             ;   in Loop: Header=BB34_3 Depth=1
	s_or_b32 exec_lo, exec_lo, s6
	s_delay_alu instid0(VALU_DEP_1)
	v_xor_b32_e32 v37, 0x80000000, v37
.LBB34_622:                             ;   in Loop: Header=BB34_3 Depth=1
	s_or_b32 exec_lo, exec_lo, s10
	s_and_saveexec_b32 s6, s42
	s_cbranch_execz .LBB34_624
; %bb.623:                              ;   in Loop: Header=BB34_3 Depth=1
	ds_load_b64 v[38:39], v1 offset:20800
	s_wait_dscnt 0x0
	v_mul_f64_e32 v[36:37], v[36:37], v[38:39]
	ds_store_b64 v54, v[36:37]
.LBB34_624:                             ;   in Loop: Header=BB34_3 Depth=1
	s_or_b32 exec_lo, exec_lo, s6
	s_wait_dscnt 0x0
	s_barrier_signal -1
	s_barrier_wait -1
	s_and_saveexec_b32 s6, s43
	s_cbranch_execz .LBB34_626
; %bb.625:                              ;   in Loop: Header=BB34_3 Depth=1
	ds_load_b64 v[38:39], v53 offset:20800
	ds_load_b64 v[40:41], v54
	s_wait_dscnt 0x0
	v_fmac_f64_e32 v[36:37], v[38:39], v[40:41]
.LBB34_626:                             ;   in Loop: Header=BB34_3 Depth=1
	s_or_b32 exec_lo, exec_lo, s6
	s_barrier_signal -1
	s_barrier_wait -1
	s_and_saveexec_b32 s6, s44
	s_cbranch_execz .LBB34_628
; %bb.627:                              ;   in Loop: Header=BB34_3 Depth=1
	ds_load_b64 v[38:39], v1 offset:21320
	s_wait_dscnt 0x0
	v_mul_f64_e32 v[36:37], v[36:37], v[38:39]
	ds_store_b64 v54, v[36:37]
.LBB34_628:                             ;   in Loop: Header=BB34_3 Depth=1
	s_or_b32 exec_lo, exec_lo, s6
	s_wait_dscnt 0x0
	s_barrier_signal -1
	s_barrier_wait -1
	s_and_saveexec_b32 s6, s45
	s_cbranch_execz .LBB34_630
; %bb.629:                              ;   in Loop: Header=BB34_3 Depth=1
	ds_load_b64 v[38:39], v53 offset:21312
	ds_load_b64 v[40:41], v54
	s_wait_dscnt 0x0
	v_fmac_f64_e32 v[36:37], v[38:39], v[40:41]
.LBB34_630:                             ;   in Loop: Header=BB34_3 Depth=1
	s_or_b32 exec_lo, exec_lo, s6
	s_barrier_signal -1
	s_barrier_wait -1
	;; [unrolled: 23-line block ×7, first 2 shown]
	s_and_saveexec_b32 s6, s55
	s_cbranch_execz .LBB34_652
; %bb.651:                              ;   in Loop: Header=BB34_3 Depth=1
	ds_load_b64 v[38:39], v1 offset:24440
	s_wait_dscnt 0x0
	v_mul_f64_e32 v[36:37], v[36:37], v[38:39]
	ds_store_b64 v54, v[36:37]
.LBB34_652:                             ;   in Loop: Header=BB34_3 Depth=1
	s_or_b32 exec_lo, exec_lo, s6
	s_wait_dscnt 0x0
	s_barrier_signal -1
	s_barrier_wait -1
	s_barrier_signal -1
	s_barrier_wait -1
	s_and_saveexec_b32 s6, s3
; %bb.653:                              ;   in Loop: Header=BB34_3 Depth=1
	s_delay_alu instid0(VALU_DEP_1)
	v_xor_b32_e32 v37, 0x80000000, v37
	ds_store_b64 v55, v[36:37] offset:16704
; %bb.654:                              ;   in Loop: Header=BB34_3 Depth=1
	s_or_b32 exec_lo, exec_lo, s6
	s_wait_dscnt 0x0
	s_barrier_signal -1
	s_barrier_wait -1
	s_barrier_signal -1
	s_barrier_wait -1
	s_and_saveexec_b32 s10, s14
	s_cbranch_execz .LBB34_656
; %bb.655:                              ;   in Loop: Header=BB34_3 Depth=1
	ds_load_b128 v[36:39], v1 offset:20800
	ds_load_b64 v[40:41], v1 offset:21320
	s_wait_dscnt 0x0
	v_mul_f64_e32 v[36:37], v[36:37], v[40:41]
	s_delay_alu instid0(VALU_DEP_1)
	v_mul_f64_e32 v[36:37], v[38:39], v[36:37]
	ds_store_b64 v1, v[36:37] offset:20808
.LBB34_656:                             ;   in Loop: Header=BB34_3 Depth=1
	s_or_b32 exec_lo, exec_lo, s10
	v_mov_b64_e32 v[36:37], 0
	s_wait_dscnt 0x0
	s_barrier_signal -1
	s_barrier_wait -1
	s_and_saveexec_b32 s10, s1
	s_cbranch_execz .LBB34_660
; %bb.657:                              ;   in Loop: Header=BB34_3 Depth=1
	ds_load_b64 v[36:37], v44 offset:20816
	ds_load_b64 v[38:39], v45 offset:20800
	s_wait_dscnt 0x0
	v_fma_f64 v[36:37], v[36:37], v[38:39], 0
	s_and_saveexec_b32 s6, s15
	s_cbranch_execz .LBB34_659
; %bb.658:                              ;   in Loop: Header=BB34_3 Depth=1
	ds_load_b64 v[38:39], v46 offset:21328
	ds_load_b64 v[40:41], v1 offset:20808
	s_wait_dscnt 0x0
	v_fmac_f64_e32 v[36:37], v[38:39], v[40:41]
.LBB34_659:                             ;   in Loop: Header=BB34_3 Depth=1
	s_or_b32 exec_lo, exec_lo, s6
	s_delay_alu instid0(VALU_DEP_1)
	v_xor_b32_e32 v37, 0x80000000, v37
.LBB34_660:                             ;   in Loop: Header=BB34_3 Depth=1
	s_or_b32 exec_lo, exec_lo, s10
	s_and_saveexec_b32 s6, s104
	s_cbranch_execz .LBB34_662
; %bb.661:                              ;   in Loop: Header=BB34_3 Depth=1
	ds_load_b64 v[38:39], v1 offset:21840
	s_wait_dscnt 0x0
	v_mul_f64_e32 v[36:37], v[36:37], v[38:39]
	ds_store_b64 v3, v[36:37]
.LBB34_662:                             ;   in Loop: Header=BB34_3 Depth=1
	s_or_b32 exec_lo, exec_lo, s6
	s_wait_dscnt 0x0
	s_barrier_signal -1
	s_barrier_wait -1
	s_and_saveexec_b32 s6, vcc_hi
	s_cbranch_execz .LBB34_664
; %bb.663:                              ;   in Loop: Header=BB34_3 Depth=1
	ds_load_b64 v[38:39], v1 offset:21848
	ds_load_b64 v[40:41], v3
	s_wait_dscnt 0x0
	v_fmac_f64_e32 v[36:37], v[38:39], v[40:41]
.LBB34_664:                             ;   in Loop: Header=BB34_3 Depth=1
	s_or_b32 exec_lo, exec_lo, s6
	s_barrier_signal -1
	s_barrier_wait -1
	s_and_saveexec_b32 s6, vcc_hi
	s_cbranch_execz .LBB34_666
; %bb.665:                              ;   in Loop: Header=BB34_3 Depth=1
	ds_load_b64 v[38:39], v1 offset:22360
	s_wait_dscnt 0x0
	v_mul_f64_e32 v[36:37], v[36:37], v[38:39]
	ds_store_b64 v3, v[36:37]
.LBB34_666:                             ;   in Loop: Header=BB34_3 Depth=1
	s_or_b32 exec_lo, exec_lo, s6
	s_wait_dscnt 0x0
	s_barrier_signal -1
	s_barrier_wait -1
	s_barrier_signal -1
	s_barrier_wait -1
	s_and_saveexec_b32 s6, s1
; %bb.667:                              ;   in Loop: Header=BB34_3 Depth=1
	s_delay_alu instid0(VALU_DEP_1)
	v_xor_b32_e32 v37, 0x80000000, v37
	ds_store_b64 v44, v[36:37] offset:20816
; %bb.668:                              ;   in Loop: Header=BB34_3 Depth=1
	s_or_b32 exec_lo, exec_lo, s6
	s_wait_dscnt 0x0
	s_barrier_signal -1
	s_barrier_wait -1
	s_barrier_signal -1
	s_barrier_wait -1
	s_and_saveexec_b32 s10, s14
	s_cbranch_execz .LBB34_670
; %bb.669:                              ;   in Loop: Header=BB34_3 Depth=1
	ds_load_b128 v[36:39], v1 offset:21840
	ds_load_b64 v[40:41], v1 offset:22360
	s_wait_dscnt 0x0
	v_mul_f64_e32 v[36:37], v[36:37], v[40:41]
	s_delay_alu instid0(VALU_DEP_1)
	v_mul_f64_e32 v[36:37], v[38:39], v[36:37]
	ds_store_b64 v1, v[36:37] offset:21848
.LBB34_670:                             ;   in Loop: Header=BB34_3 Depth=1
	s_or_b32 exec_lo, exec_lo, s10
	v_mov_b64_e32 v[36:37], 0
	s_wait_dscnt 0x0
	s_barrier_signal -1
	s_barrier_wait -1
	s_and_saveexec_b32 s10, s2
	s_cbranch_execz .LBB34_676
; %bb.671:                              ;   in Loop: Header=BB34_3 Depth=1
	ds_load_b64 v[36:37], v50 offset:20832
	ds_load_b64 v[38:39], v47 offset:20800
	s_wait_dscnt 0x0
	v_fma_f64 v[36:37], v[36:37], v[38:39], 0
	s_and_saveexec_b32 s6, s16
	s_cbranch_execnz .LBB34_1071
; %bb.672:                              ;   in Loop: Header=BB34_3 Depth=1
	s_or_b32 exec_lo, exec_lo, s6
	s_and_saveexec_b32 s6, s17
	s_cbranch_execnz .LBB34_1072
.LBB34_673:                             ;   in Loop: Header=BB34_3 Depth=1
	s_or_b32 exec_lo, exec_lo, s6
	s_and_saveexec_b32 s6, s1
	s_cbranch_execz .LBB34_675
.LBB34_674:                             ;   in Loop: Header=BB34_3 Depth=1
	ds_load_b64 v[38:39], v46 offset:22368
	ds_load_b64 v[40:41], v1 offset:20824
	s_wait_dscnt 0x0
	v_fmac_f64_e32 v[36:37], v[38:39], v[40:41]
.LBB34_675:                             ;   in Loop: Header=BB34_3 Depth=1
	s_or_b32 exec_lo, exec_lo, s6
	s_delay_alu instid0(VALU_DEP_1)
	v_xor_b32_e32 v37, 0x80000000, v37
.LBB34_676:                             ;   in Loop: Header=BB34_3 Depth=1
	s_or_b32 exec_lo, exec_lo, s10
	s_and_saveexec_b32 s6, s36
	s_cbranch_execz .LBB34_678
; %bb.677:                              ;   in Loop: Header=BB34_3 Depth=1
	ds_load_b64 v[38:39], v1 offset:22880
	s_wait_dscnt 0x0
	v_mul_f64_e32 v[36:37], v[36:37], v[38:39]
	ds_store_b64 v48, v[36:37]
.LBB34_678:                             ;   in Loop: Header=BB34_3 Depth=1
	s_or_b32 exec_lo, exec_lo, s6
	s_wait_dscnt 0x0
	s_barrier_signal -1
	s_barrier_wait -1
	s_and_saveexec_b32 s6, s37
	s_cbranch_execz .LBB34_680
; %bb.679:                              ;   in Loop: Header=BB34_3 Depth=1
	ds_load_b64 v[38:39], v49 offset:22880
	ds_load_b64 v[40:41], v48
	s_wait_dscnt 0x0
	v_fmac_f64_e32 v[36:37], v[38:39], v[40:41]
.LBB34_680:                             ;   in Loop: Header=BB34_3 Depth=1
	s_or_b32 exec_lo, exec_lo, s6
	s_barrier_signal -1
	s_barrier_wait -1
	s_and_saveexec_b32 s6, s38
	s_cbranch_execz .LBB34_682
; %bb.681:                              ;   in Loop: Header=BB34_3 Depth=1
	ds_load_b64 v[38:39], v1 offset:23400
	s_wait_dscnt 0x0
	v_mul_f64_e32 v[36:37], v[36:37], v[38:39]
	ds_store_b64 v48, v[36:37]
.LBB34_682:                             ;   in Loop: Header=BB34_3 Depth=1
	s_or_b32 exec_lo, exec_lo, s6
	s_wait_dscnt 0x0
	s_barrier_signal -1
	s_barrier_wait -1
	s_and_saveexec_b32 s6, s39
	s_cbranch_execz .LBB34_684
; %bb.683:                              ;   in Loop: Header=BB34_3 Depth=1
	ds_load_b64 v[38:39], v49 offset:23392
	ds_load_b64 v[40:41], v48
	s_wait_dscnt 0x0
	v_fmac_f64_e32 v[36:37], v[38:39], v[40:41]
.LBB34_684:                             ;   in Loop: Header=BB34_3 Depth=1
	s_or_b32 exec_lo, exec_lo, s6
	s_barrier_signal -1
	s_barrier_wait -1
	;; [unrolled: 23-line block ×3, first 2 shown]
	s_and_saveexec_b32 s6, s41
	s_cbranch_execz .LBB34_690
; %bb.689:                              ;   in Loop: Header=BB34_3 Depth=1
	ds_load_b64 v[38:39], v1 offset:24440
	s_wait_dscnt 0x0
	v_mul_f64_e32 v[36:37], v[36:37], v[38:39]
	ds_store_b64 v48, v[36:37]
.LBB34_690:                             ;   in Loop: Header=BB34_3 Depth=1
	s_or_b32 exec_lo, exec_lo, s6
	s_wait_dscnt 0x0
	s_barrier_signal -1
	s_barrier_wait -1
	s_barrier_signal -1
	s_barrier_wait -1
	s_and_saveexec_b32 s6, s2
; %bb.691:                              ;   in Loop: Header=BB34_3 Depth=1
	s_delay_alu instid0(VALU_DEP_1)
	v_xor_b32_e32 v37, 0x80000000, v37
	ds_store_b64 v50, v[36:37] offset:20832
; %bb.692:                              ;   in Loop: Header=BB34_3 Depth=1
	s_or_b32 exec_lo, exec_lo, s6
	s_wait_dscnt 0x0
	s_barrier_signal -1
	s_barrier_wait -1
	s_barrier_signal -1
	s_barrier_wait -1
	s_and_saveexec_b32 s10, s14
	s_cbranch_execz .LBB34_694
; %bb.693:                              ;   in Loop: Header=BB34_3 Depth=1
	ds_load_b128 v[36:39], v1 offset:22880
	ds_load_b64 v[40:41], v1 offset:23400
	s_wait_dscnt 0x0
	v_mul_f64_e32 v[36:37], v[36:37], v[40:41]
	s_delay_alu instid0(VALU_DEP_1)
	v_mul_f64_e32 v[36:37], v[38:39], v[36:37]
	ds_store_b64 v1, v[36:37] offset:22888
.LBB34_694:                             ;   in Loop: Header=BB34_3 Depth=1
	s_or_b32 exec_lo, exec_lo, s10
	v_mov_b64_e32 v[36:37], 0
	s_wait_dscnt 0x0
	s_barrier_signal -1
	s_barrier_wait -1
	s_and_saveexec_b32 s10, s1
	s_cbranch_execz .LBB34_698
; %bb.695:                              ;   in Loop: Header=BB34_3 Depth=1
	ds_load_b64 v[36:37], v44 offset:22896
	ds_load_b64 v[38:39], v45 offset:22880
	s_wait_dscnt 0x0
	v_fma_f64 v[36:37], v[36:37], v[38:39], 0
	s_and_saveexec_b32 s6, s15
	s_cbranch_execz .LBB34_697
; %bb.696:                              ;   in Loop: Header=BB34_3 Depth=1
	ds_load_b64 v[38:39], v46 offset:23408
	ds_load_b64 v[40:41], v1 offset:22888
	s_wait_dscnt 0x0
	v_fmac_f64_e32 v[36:37], v[38:39], v[40:41]
.LBB34_697:                             ;   in Loop: Header=BB34_3 Depth=1
	s_or_b32 exec_lo, exec_lo, s6
	s_delay_alu instid0(VALU_DEP_1)
	v_xor_b32_e32 v37, 0x80000000, v37
.LBB34_698:                             ;   in Loop: Header=BB34_3 Depth=1
	s_or_b32 exec_lo, exec_lo, s10
	s_and_saveexec_b32 s6, s104
	s_cbranch_execz .LBB34_700
; %bb.699:                              ;   in Loop: Header=BB34_3 Depth=1
	ds_load_b64 v[38:39], v1 offset:23920
	s_wait_dscnt 0x0
	v_mul_f64_e32 v[36:37], v[36:37], v[38:39]
	ds_store_b64 v3, v[36:37]
.LBB34_700:                             ;   in Loop: Header=BB34_3 Depth=1
	s_or_b32 exec_lo, exec_lo, s6
	s_wait_dscnt 0x0
	s_barrier_signal -1
	s_barrier_wait -1
	s_and_saveexec_b32 s6, vcc_hi
	s_cbranch_execz .LBB34_702
; %bb.701:                              ;   in Loop: Header=BB34_3 Depth=1
	ds_load_b64 v[38:39], v1 offset:23928
	ds_load_b64 v[40:41], v3
	s_wait_dscnt 0x0
	v_fmac_f64_e32 v[36:37], v[38:39], v[40:41]
.LBB34_702:                             ;   in Loop: Header=BB34_3 Depth=1
	s_or_b32 exec_lo, exec_lo, s6
	s_barrier_signal -1
	s_barrier_wait -1
	s_and_saveexec_b32 s6, vcc_hi
	s_cbranch_execz .LBB34_704
; %bb.703:                              ;   in Loop: Header=BB34_3 Depth=1
	ds_load_b64 v[38:39], v1 offset:24440
	s_wait_dscnt 0x0
	v_mul_f64_e32 v[36:37], v[36:37], v[38:39]
	ds_store_b64 v3, v[36:37]
.LBB34_704:                             ;   in Loop: Header=BB34_3 Depth=1
	s_or_b32 exec_lo, exec_lo, s6
	s_wait_dscnt 0x0
	s_barrier_signal -1
	s_barrier_wait -1
	s_barrier_signal -1
	s_barrier_wait -1
	s_and_saveexec_b32 s6, s1
; %bb.705:                              ;   in Loop: Header=BB34_3 Depth=1
	s_delay_alu instid0(VALU_DEP_1)
	v_xor_b32_e32 v37, 0x80000000, v37
	ds_store_b64 v44, v[36:37] offset:22896
; %bb.706:                              ;   in Loop: Header=BB34_3 Depth=1
	s_or_b32 exec_lo, exec_lo, s6
	s_wait_dscnt 0x0
	s_barrier_signal -1
	s_barrier_wait -1
	s_barrier_signal -1
	s_barrier_wait -1
	s_and_saveexec_b32 s10, s14
	s_cbranch_execz .LBB34_708
; %bb.707:                              ;   in Loop: Header=BB34_3 Depth=1
	ds_load_b128 v[36:39], v1 offset:23920
	ds_load_b64 v[40:41], v1 offset:24440
	s_wait_dscnt 0x0
	v_mul_f64_e32 v[36:37], v[36:37], v[40:41]
	s_delay_alu instid0(VALU_DEP_1)
	v_mul_f64_e32 v[36:37], v[38:39], v[36:37]
	ds_store_b64 v1, v[36:37] offset:23928
.LBB34_708:                             ;   in Loop: Header=BB34_3 Depth=1
	s_or_b32 exec_lo, exec_lo, s10
	v_mov_b64_e32 v[36:37], 0
	s_wait_dscnt 0x0
	s_barrier_signal -1
	s_barrier_wait -1
	s_and_saveexec_b32 s69, s4
	s_cbranch_execz .LBB34_736
; %bb.709:                              ;   in Loop: Header=BB34_3 Depth=1
	ds_load_b64 v[36:37], v60 offset:16768
	ds_load_b64 v[38:39], v57 offset:16640
	s_wait_dscnt 0x0
	v_fma_f64 v[36:37], v[36:37], v[38:39], 0
	s_mov_b32 s6, exec_lo
	v_readlane_b32 s10, v84, 30
	s_and_b32 s10, s6, s10
	s_delay_alu instid0(SALU_CYCLE_1)
	s_mov_b32 exec_lo, s10
	s_cbranch_execz .LBB34_711
; %bb.710:                              ;   in Loop: Header=BB34_3 Depth=1
	ds_load_b64 v[38:39], v61 offset:17280
	ds_load_b64 v[40:41], v57 offset:16648
	s_wait_dscnt 0x0
	v_fmac_f64_e32 v[36:37], v[38:39], v[40:41]
.LBB34_711:                             ;   in Loop: Header=BB34_3 Depth=1
	s_or_b32 exec_lo, exec_lo, s6
	s_delay_alu instid0(SALU_CYCLE_1) | instskip(SKIP_2) | instid1(SALU_CYCLE_1)
	s_mov_b32 s6, exec_lo
	v_readlane_b32 s10, v84, 31
	s_and_b32 s10, s6, s10
	s_mov_b32 exec_lo, s10
	s_cbranch_execz .LBB34_713
; %bb.712:                              ;   in Loop: Header=BB34_3 Depth=1
	ds_load_b64 v[38:39], v61 offset:17792
	ds_load_b64 v[40:41], v57 offset:16656
	s_wait_dscnt 0x0
	v_fmac_f64_e32 v[36:37], v[38:39], v[40:41]
.LBB34_713:                             ;   in Loop: Header=BB34_3 Depth=1
	s_or_b32 exec_lo, exec_lo, s6
	s_delay_alu instid0(SALU_CYCLE_1) | instskip(SKIP_2) | instid1(SALU_CYCLE_1)
	s_mov_b32 s6, exec_lo
	v_readlane_b32 s10, v83, 0
	s_and_b32 s10, s6, s10
	;; [unrolled: 13-line block ×6, first 2 shown]
	s_mov_b32 exec_lo, s10
	s_cbranch_execz .LBB34_723
; %bb.722:                              ;   in Loop: Header=BB34_3 Depth=1
	ds_load_b64 v[38:39], v61 offset:20352
	ds_load_b64 v[40:41], v57 offset:16696
	s_wait_dscnt 0x0
	v_fmac_f64_e32 v[36:37], v[38:39], v[40:41]
.LBB34_723:                             ;   in Loop: Header=BB34_3 Depth=1
	s_or_b32 exec_lo, exec_lo, s6
	s_and_saveexec_b32 s6, s7
	s_cbranch_execz .LBB34_725
; %bb.724:                              ;   in Loop: Header=BB34_3 Depth=1
	ds_load_b64 v[38:39], v60 offset:20864
	ds_load_b64 v[40:41], v57 offset:16704
	s_wait_dscnt 0x0
	v_fmac_f64_e32 v[36:37], v[38:39], v[40:41]
.LBB34_725:                             ;   in Loop: Header=BB34_3 Depth=1
	s_or_b32 exec_lo, exec_lo, s6
	s_delay_alu instid0(SALU_CYCLE_1) | instskip(SKIP_2) | instid1(SALU_CYCLE_1)
	s_mov_b32 s6, exec_lo
	v_readlane_b32 s10, v83, 5
	s_and_b32 s10, s6, s10
	s_mov_b32 exec_lo, s10
	s_cbranch_execz .LBB34_727
; %bb.726:                              ;   in Loop: Header=BB34_3 Depth=1
	ds_load_b64 v[38:39], v61 offset:21376
	ds_load_b64 v[40:41], v57 offset:16712
	s_wait_dscnt 0x0
	v_fmac_f64_e32 v[36:37], v[38:39], v[40:41]
.LBB34_727:                             ;   in Loop: Header=BB34_3 Depth=1
	s_or_b32 exec_lo, exec_lo, s6
	s_and_saveexec_b32 s6, s8
	s_cbranch_execz .LBB34_729
; %bb.728:                              ;   in Loop: Header=BB34_3 Depth=1
	ds_load_b64 v[38:39], v61 offset:21888
	ds_load_b64 v[40:41], v57 offset:16720
	s_wait_dscnt 0x0
	v_fmac_f64_e32 v[36:37], v[38:39], v[40:41]
.LBB34_729:                             ;   in Loop: Header=BB34_3 Depth=1
	s_or_b32 exec_lo, exec_lo, s6
	s_delay_alu instid0(SALU_CYCLE_1) | instskip(SKIP_2) | instid1(SALU_CYCLE_1)
	s_mov_b32 s6, exec_lo
	v_readlane_b32 s10, v83, 6
	s_and_b32 s10, s6, s10
	s_mov_b32 exec_lo, s10
	s_cbranch_execnz .LBB34_1073
; %bb.730:                              ;   in Loop: Header=BB34_3 Depth=1
	s_or_b32 exec_lo, exec_lo, s6
	s_and_saveexec_b32 s6, s3
	s_cbranch_execnz .LBB34_1074
.LBB34_731:                             ;   in Loop: Header=BB34_3 Depth=1
	s_or_b32 exec_lo, exec_lo, s6
	s_and_saveexec_b32 s6, s19
	s_cbranch_execnz .LBB34_1075
.LBB34_732:                             ;   in Loop: Header=BB34_3 Depth=1
	s_or_b32 exec_lo, exec_lo, s6
	s_and_saveexec_b32 s6, s21
	s_cbranch_execnz .LBB34_1076
.LBB34_733:                             ;   in Loop: Header=BB34_3 Depth=1
	s_or_b32 exec_lo, exec_lo, s6
	s_and_saveexec_b32 s6, s2
	s_cbranch_execz .LBB34_735
.LBB34_734:                             ;   in Loop: Header=BB34_3 Depth=1
	ds_load_b64 v[38:39], v46 offset:24448
	ds_load_b64 v[40:41], v1 offset:16760
	s_wait_dscnt 0x0
	v_fmac_f64_e32 v[36:37], v[38:39], v[40:41]
.LBB34_735:                             ;   in Loop: Header=BB34_3 Depth=1
	s_or_b32 exec_lo, exec_lo, s6
	s_delay_alu instid0(VALU_DEP_1)
	v_xor_b32_e32 v37, 0x80000000, v37
.LBB34_736:                             ;   in Loop: Header=BB34_3 Depth=1
	s_or_b32 exec_lo, exec_lo, s69
	s_delay_alu instid0(SALU_CYCLE_1) | instskip(SKIP_2) | instid1(SALU_CYCLE_1)
	s_mov_b32 s6, exec_lo
	v_readlane_b32 s10, v84, 5
	s_and_b32 s10, s6, s10
	s_mov_b32 exec_lo, s10
	s_cbranch_execz .LBB34_738
; %bb.737:                              ;   in Loop: Header=BB34_3 Depth=1
	ds_load_b64 v[38:39], v1 offset:24960
	s_wait_dscnt 0x0
	v_mul_f64_e32 v[36:37], v[36:37], v[38:39]
	ds_store_b64 v59, v[36:37]
.LBB34_738:                             ;   in Loop: Header=BB34_3 Depth=1
	s_or_b32 exec_lo, exec_lo, s6
	s_wait_dscnt 0x0
	s_barrier_signal -1
	s_barrier_wait -1
	s_mov_b32 s6, exec_lo
	v_readlane_b32 s10, v84, 6
	s_and_b32 s10, s6, s10
	s_delay_alu instid0(SALU_CYCLE_1)
	s_mov_b32 exec_lo, s10
	s_cbranch_execz .LBB34_740
; %bb.739:                              ;   in Loop: Header=BB34_3 Depth=1
	ds_load_b64 v[38:39], v58 offset:24960
	ds_load_b64 v[40:41], v59
	s_wait_dscnt 0x0
	v_fmac_f64_e32 v[36:37], v[38:39], v[40:41]
.LBB34_740:                             ;   in Loop: Header=BB34_3 Depth=1
	s_or_b32 exec_lo, exec_lo, s6
	s_barrier_signal -1
	s_barrier_wait -1
	s_mov_b32 s6, exec_lo
	v_readlane_b32 s10, v84, 7
	s_and_b32 s10, s6, s10
	s_delay_alu instid0(SALU_CYCLE_1)
	s_mov_b32 exec_lo, s10
	s_cbranch_execz .LBB34_742
; %bb.741:                              ;   in Loop: Header=BB34_3 Depth=1
	ds_load_b64 v[38:39], v1 offset:25480
	s_wait_dscnt 0x0
	v_mul_f64_e32 v[36:37], v[36:37], v[38:39]
	ds_store_b64 v59, v[36:37]
.LBB34_742:                             ;   in Loop: Header=BB34_3 Depth=1
	s_or_b32 exec_lo, exec_lo, s6
	s_wait_dscnt 0x0
	s_barrier_signal -1
	s_barrier_wait -1
	s_mov_b32 s6, exec_lo
	v_readlane_b32 s10, v84, 8
	s_and_b32 s10, s6, s10
	s_delay_alu instid0(SALU_CYCLE_1)
	s_mov_b32 exec_lo, s10
	s_cbranch_execz .LBB34_744
; %bb.743:                              ;   in Loop: Header=BB34_3 Depth=1
	ds_load_b64 v[38:39], v58 offset:25472
	ds_load_b64 v[40:41], v59
	s_wait_dscnt 0x0
	v_fmac_f64_e32 v[36:37], v[38:39], v[40:41]
.LBB34_744:                             ;   in Loop: Header=BB34_3 Depth=1
	s_or_b32 exec_lo, exec_lo, s6
	s_barrier_signal -1
	s_barrier_wait -1
	s_and_saveexec_b32 s6, s66
	s_cbranch_execz .LBB34_746
; %bb.745:                              ;   in Loop: Header=BB34_3 Depth=1
	ds_load_b64 v[38:39], v1 offset:26000
	s_wait_dscnt 0x0
	v_mul_f64_e32 v[36:37], v[36:37], v[38:39]
	ds_store_b64 v59, v[36:37]
.LBB34_746:                             ;   in Loop: Header=BB34_3 Depth=1
	s_or_b32 exec_lo, exec_lo, s6
	s_wait_dscnt 0x0
	s_barrier_signal -1
	s_barrier_wait -1
	s_and_saveexec_b32 s6, s67
	s_cbranch_execz .LBB34_748
; %bb.747:                              ;   in Loop: Header=BB34_3 Depth=1
	ds_load_b64 v[38:39], v58 offset:25984
	ds_load_b64 v[40:41], v59
	s_wait_dscnt 0x0
	v_fmac_f64_e32 v[36:37], v[38:39], v[40:41]
.LBB34_748:                             ;   in Loop: Header=BB34_3 Depth=1
	s_or_b32 exec_lo, exec_lo, s6
	s_barrier_signal -1
	s_barrier_wait -1
	s_and_saveexec_b32 s6, s68
	s_cbranch_execz .LBB34_750
; %bb.749:                              ;   in Loop: Header=BB34_3 Depth=1
	ds_load_b64 v[38:39], v1 offset:26520
	s_wait_dscnt 0x0
	v_mul_f64_e32 v[36:37], v[36:37], v[38:39]
	ds_store_b64 v59, v[36:37]
.LBB34_750:                             ;   in Loop: Header=BB34_3 Depth=1
	s_or_b32 exec_lo, exec_lo, s6
	s_wait_dscnt 0x0
	s_barrier_signal -1
	s_barrier_wait -1
	s_and_saveexec_b32 s6, s12
	s_cbranch_execz .LBB34_752
; %bb.751:                              ;   in Loop: Header=BB34_3 Depth=1
	ds_load_b64 v[38:39], v58 offset:26496
	ds_load_b64 v[40:41], v59
	s_wait_dscnt 0x0
	v_fmac_f64_e32 v[36:37], v[38:39], v[40:41]
.LBB34_752:                             ;   in Loop: Header=BB34_3 Depth=1
	s_or_b32 exec_lo, exec_lo, s6
	s_barrier_signal -1
	s_barrier_wait -1
	s_and_saveexec_b32 s6, s13
	s_cbranch_execz .LBB34_754
; %bb.753:                              ;   in Loop: Header=BB34_3 Depth=1
	ds_load_b64 v[38:39], v1 offset:27040
	s_wait_dscnt 0x0
	v_mul_f64_e32 v[36:37], v[36:37], v[38:39]
	ds_store_b64 v59, v[36:37]
.LBB34_754:                             ;   in Loop: Header=BB34_3 Depth=1
	s_or_b32 exec_lo, exec_lo, s6
	s_wait_dscnt 0x0
	s_barrier_signal -1
	s_barrier_wait -1
	s_and_saveexec_b32 s6, s23
	s_cbranch_execz .LBB34_756
; %bb.755:                              ;   in Loop: Header=BB34_3 Depth=1
	ds_load_b64 v[38:39], v58 offset:27008
	ds_load_b64 v[40:41], v59
	s_wait_dscnt 0x0
	v_fmac_f64_e32 v[36:37], v[38:39], v[40:41]
.LBB34_756:                             ;   in Loop: Header=BB34_3 Depth=1
	s_or_b32 exec_lo, exec_lo, s6
	s_barrier_signal -1
	s_barrier_wait -1
	s_and_saveexec_b32 s6, s25
	s_cbranch_execz .LBB34_758
; %bb.757:                              ;   in Loop: Header=BB34_3 Depth=1
	ds_load_b64 v[38:39], v1 offset:27560
	s_wait_dscnt 0x0
	v_mul_f64_e32 v[36:37], v[36:37], v[38:39]
	ds_store_b64 v59, v[36:37]
.LBB34_758:                             ;   in Loop: Header=BB34_3 Depth=1
	s_or_b32 exec_lo, exec_lo, s6
	s_wait_dscnt 0x0
	s_barrier_signal -1
	s_barrier_wait -1
	s_and_saveexec_b32 s6, s27
	s_cbranch_execz .LBB34_760
; %bb.759:                              ;   in Loop: Header=BB34_3 Depth=1
	ds_load_b64 v[38:39], v58 offset:27520
	ds_load_b64 v[40:41], v59
	s_wait_dscnt 0x0
	v_fmac_f64_e32 v[36:37], v[38:39], v[40:41]
.LBB34_760:                             ;   in Loop: Header=BB34_3 Depth=1
	s_or_b32 exec_lo, exec_lo, s6
	s_barrier_signal -1
	s_barrier_wait -1
	s_and_saveexec_b32 s6, s29
	s_cbranch_execz .LBB34_762
; %bb.761:                              ;   in Loop: Header=BB34_3 Depth=1
	ds_load_b64 v[38:39], v1 offset:28080
	s_wait_dscnt 0x0
	v_mul_f64_e32 v[36:37], v[36:37], v[38:39]
	ds_store_b64 v59, v[36:37]
.LBB34_762:                             ;   in Loop: Header=BB34_3 Depth=1
	s_or_b32 exec_lo, exec_lo, s6
	s_wait_dscnt 0x0
	s_barrier_signal -1
	s_barrier_wait -1
	s_and_saveexec_b32 s6, s31
	s_cbranch_execz .LBB34_764
; %bb.763:                              ;   in Loop: Header=BB34_3 Depth=1
	ds_load_b64 v[38:39], v58 offset:28032
	ds_load_b64 v[40:41], v59
	s_wait_dscnt 0x0
	v_fmac_f64_e32 v[36:37], v[38:39], v[40:41]
.LBB34_764:                             ;   in Loop: Header=BB34_3 Depth=1
	s_or_b32 exec_lo, exec_lo, s6
	s_barrier_signal -1
	s_barrier_wait -1
	s_and_saveexec_b32 s6, s34
	s_cbranch_execz .LBB34_766
; %bb.765:                              ;   in Loop: Header=BB34_3 Depth=1
	ds_load_b64 v[38:39], v1 offset:28600
	s_wait_dscnt 0x0
	v_mul_f64_e32 v[36:37], v[36:37], v[38:39]
	ds_store_b64 v59, v[36:37]
.LBB34_766:                             ;   in Loop: Header=BB34_3 Depth=1
	s_or_b32 exec_lo, exec_lo, s6
	s_wait_dscnt 0x0
	s_barrier_signal -1
	s_barrier_wait -1
	s_and_saveexec_b32 s6, s61
	s_cbranch_execz .LBB34_768
; %bb.767:                              ;   in Loop: Header=BB34_3 Depth=1
	ds_load_b64 v[38:39], v58 offset:28544
	ds_load_b64 v[40:41], v59
	s_wait_dscnt 0x0
	v_fmac_f64_e32 v[36:37], v[38:39], v[40:41]
.LBB34_768:                             ;   in Loop: Header=BB34_3 Depth=1
	s_or_b32 exec_lo, exec_lo, s6
	s_barrier_signal -1
	s_barrier_wait -1
	s_and_saveexec_b32 s6, s62
	s_cbranch_execz .LBB34_770
; %bb.769:                              ;   in Loop: Header=BB34_3 Depth=1
	ds_load_b64 v[38:39], v1 offset:29120
	s_wait_dscnt 0x0
	v_mul_f64_e32 v[36:37], v[36:37], v[38:39]
	ds_store_b64 v59, v[36:37]
.LBB34_770:                             ;   in Loop: Header=BB34_3 Depth=1
	s_or_b32 exec_lo, exec_lo, s6
	s_wait_dscnt 0x0
	s_barrier_signal -1
	s_barrier_wait -1
	s_and_saveexec_b32 s6, s63
	s_cbranch_execz .LBB34_772
; %bb.771:                              ;   in Loop: Header=BB34_3 Depth=1
	ds_load_b64 v[38:39], v58 offset:29056
	ds_load_b64 v[40:41], v59
	s_wait_dscnt 0x0
	v_fmac_f64_e32 v[36:37], v[38:39], v[40:41]
.LBB34_772:                             ;   in Loop: Header=BB34_3 Depth=1
	s_or_b32 exec_lo, exec_lo, s6
	s_barrier_signal -1
	s_barrier_wait -1
	s_and_saveexec_b32 s6, s64
	s_cbranch_execz .LBB34_774
; %bb.773:                              ;   in Loop: Header=BB34_3 Depth=1
	ds_load_b64 v[38:39], v1 offset:29640
	s_wait_dscnt 0x0
	v_mul_f64_e32 v[36:37], v[36:37], v[38:39]
	ds_store_b64 v59, v[36:37]
.LBB34_774:                             ;   in Loop: Header=BB34_3 Depth=1
	s_or_b32 exec_lo, exec_lo, s6
	s_wait_dscnt 0x0
	s_barrier_signal -1
	s_barrier_wait -1
	s_and_saveexec_b32 s6, s24
	s_cbranch_execz .LBB34_776
; %bb.775:                              ;   in Loop: Header=BB34_3 Depth=1
	ds_load_b64 v[38:39], v58 offset:29568
	ds_load_b64 v[40:41], v59
	s_wait_dscnt 0x0
	v_fmac_f64_e32 v[36:37], v[38:39], v[40:41]
.LBB34_776:                             ;   in Loop: Header=BB34_3 Depth=1
	s_or_b32 exec_lo, exec_lo, s6
	s_barrier_signal -1
	s_barrier_wait -1
	s_and_saveexec_b32 s6, s26
	s_cbranch_execz .LBB34_778
; %bb.777:                              ;   in Loop: Header=BB34_3 Depth=1
	ds_load_b64 v[38:39], v1 offset:30160
	s_wait_dscnt 0x0
	v_mul_f64_e32 v[36:37], v[36:37], v[38:39]
	ds_store_b64 v59, v[36:37]
.LBB34_778:                             ;   in Loop: Header=BB34_3 Depth=1
	s_or_b32 exec_lo, exec_lo, s6
	s_wait_dscnt 0x0
	s_barrier_signal -1
	s_barrier_wait -1
	s_and_saveexec_b32 s6, s28
	s_cbranch_execz .LBB34_780
; %bb.779:                              ;   in Loop: Header=BB34_3 Depth=1
	ds_load_b64 v[38:39], v58 offset:30080
	ds_load_b64 v[40:41], v59
	s_wait_dscnt 0x0
	v_fmac_f64_e32 v[36:37], v[38:39], v[40:41]
.LBB34_780:                             ;   in Loop: Header=BB34_3 Depth=1
	s_or_b32 exec_lo, exec_lo, s6
	s_barrier_signal -1
	s_barrier_wait -1
	s_and_saveexec_b32 s6, s30
	s_cbranch_execz .LBB34_782
; %bb.781:                              ;   in Loop: Header=BB34_3 Depth=1
	ds_load_b64 v[38:39], v1 offset:30680
	s_wait_dscnt 0x0
	v_mul_f64_e32 v[36:37], v[36:37], v[38:39]
	ds_store_b64 v59, v[36:37]
.LBB34_782:                             ;   in Loop: Header=BB34_3 Depth=1
	s_or_b32 exec_lo, exec_lo, s6
	s_wait_dscnt 0x0
	s_barrier_signal -1
	s_barrier_wait -1
	s_and_saveexec_b32 s6, s33
	s_cbranch_execz .LBB34_784
; %bb.783:                              ;   in Loop: Header=BB34_3 Depth=1
	ds_load_b64 v[38:39], v58 offset:30592
	ds_load_b64 v[40:41], v59
	s_wait_dscnt 0x0
	v_fmac_f64_e32 v[36:37], v[38:39], v[40:41]
.LBB34_784:                             ;   in Loop: Header=BB34_3 Depth=1
	s_or_b32 exec_lo, exec_lo, s6
	s_barrier_signal -1
	s_barrier_wait -1
	s_and_saveexec_b32 s6, s70
	s_cbranch_execz .LBB34_786
; %bb.785:                              ;   in Loop: Header=BB34_3 Depth=1
	ds_load_b64 v[38:39], v1 offset:31200
	s_wait_dscnt 0x0
	v_mul_f64_e32 v[36:37], v[36:37], v[38:39]
	ds_store_b64 v59, v[36:37]
.LBB34_786:                             ;   in Loop: Header=BB34_3 Depth=1
	s_or_b32 exec_lo, exec_lo, s6
	s_wait_dscnt 0x0
	s_barrier_signal -1
	s_barrier_wait -1
	s_and_saveexec_b32 s6, s71
	s_cbranch_execz .LBB34_788
; %bb.787:                              ;   in Loop: Header=BB34_3 Depth=1
	ds_load_b64 v[38:39], v58 offset:31104
	ds_load_b64 v[40:41], v59
	s_wait_dscnt 0x0
	v_fmac_f64_e32 v[36:37], v[38:39], v[40:41]
.LBB34_788:                             ;   in Loop: Header=BB34_3 Depth=1
	s_or_b32 exec_lo, exec_lo, s6
	s_barrier_signal -1
	s_barrier_wait -1
	s_and_saveexec_b32 s6, s78
	s_cbranch_execz .LBB34_790
; %bb.789:                              ;   in Loop: Header=BB34_3 Depth=1
	ds_load_b64 v[38:39], v1 offset:31720
	s_wait_dscnt 0x0
	v_mul_f64_e32 v[36:37], v[36:37], v[38:39]
	ds_store_b64 v59, v[36:37]
.LBB34_790:                             ;   in Loop: Header=BB34_3 Depth=1
	s_or_b32 exec_lo, exec_lo, s6
	s_wait_dscnt 0x0
	s_barrier_signal -1
	s_barrier_wait -1
	s_and_saveexec_b32 s6, s79
	s_cbranch_execz .LBB34_792
; %bb.791:                              ;   in Loop: Header=BB34_3 Depth=1
	ds_load_b64 v[38:39], v58 offset:31616
	ds_load_b64 v[40:41], v59
	s_wait_dscnt 0x0
	v_fmac_f64_e32 v[36:37], v[38:39], v[40:41]
.LBB34_792:                             ;   in Loop: Header=BB34_3 Depth=1
	s_or_b32 exec_lo, exec_lo, s6
	s_barrier_signal -1
	s_barrier_wait -1
	s_and_saveexec_b32 s6, s101
	s_cbranch_execz .LBB34_794
; %bb.793:                              ;   in Loop: Header=BB34_3 Depth=1
	ds_load_b64 v[38:39], v1 offset:32240
	s_wait_dscnt 0x0
	v_mul_f64_e32 v[36:37], v[36:37], v[38:39]
	ds_store_b64 v59, v[36:37]
.LBB34_794:                             ;   in Loop: Header=BB34_3 Depth=1
	s_or_b32 exec_lo, exec_lo, s6
	s_wait_dscnt 0x0
	s_barrier_signal -1
	s_barrier_wait -1
	s_and_saveexec_b32 s6, s56
	s_cbranch_execz .LBB34_796
; %bb.795:                              ;   in Loop: Header=BB34_3 Depth=1
	ds_load_b64 v[38:39], v1 offset:32248
	ds_load_b64 v[40:41], v59
	s_wait_dscnt 0x0
	v_fmac_f64_e32 v[36:37], v[38:39], v[40:41]
.LBB34_796:                             ;   in Loop: Header=BB34_3 Depth=1
	s_or_b32 exec_lo, exec_lo, s6
	s_barrier_signal -1
	s_barrier_wait -1
	s_and_saveexec_b32 s6, s56
	s_cbranch_execz .LBB34_798
; %bb.797:                              ;   in Loop: Header=BB34_3 Depth=1
	ds_load_b64 v[38:39], v1 offset:32760
	s_wait_dscnt 0x0
	v_mul_f64_e32 v[36:37], v[36:37], v[38:39]
	ds_store_b64 v59, v[36:37]
.LBB34_798:                             ;   in Loop: Header=BB34_3 Depth=1
	s_or_b32 exec_lo, exec_lo, s6
	s_wait_dscnt 0x0
	s_barrier_signal -1
	s_barrier_wait -1
	s_barrier_signal -1
	s_barrier_wait -1
	s_and_saveexec_b32 s6, s4
; %bb.799:                              ;   in Loop: Header=BB34_3 Depth=1
	s_delay_alu instid0(VALU_DEP_1)
	v_xor_b32_e32 v37, 0x80000000, v37
	ds_store_b64 v60, v[36:37] offset:16768
; %bb.800:                              ;   in Loop: Header=BB34_3 Depth=1
	s_or_b32 exec_lo, exec_lo, s6
	s_wait_dscnt 0x0
	s_barrier_signal -1
	s_barrier_wait -1
	s_barrier_signal -1
	s_barrier_wait -1
	s_and_saveexec_b32 s10, s14
	s_cbranch_execz .LBB34_802
; %bb.801:                              ;   in Loop: Header=BB34_3 Depth=1
	ds_load_b128 v[36:39], v1 offset:24960
	ds_load_b64 v[40:41], v1 offset:25480
	s_wait_dscnt 0x0
	v_mul_f64_e32 v[36:37], v[36:37], v[40:41]
	s_delay_alu instid0(VALU_DEP_1)
	v_mul_f64_e32 v[36:37], v[38:39], v[36:37]
	ds_store_b64 v1, v[36:37] offset:24968
.LBB34_802:                             ;   in Loop: Header=BB34_3 Depth=1
	s_or_b32 exec_lo, exec_lo, s10
	v_mov_b64_e32 v[36:37], 0
	s_wait_dscnt 0x0
	s_barrier_signal -1
	s_barrier_wait -1
	s_and_saveexec_b32 s10, s1
	s_cbranch_execz .LBB34_806
; %bb.803:                              ;   in Loop: Header=BB34_3 Depth=1
	ds_load_b64 v[36:37], v44 offset:24976
	ds_load_b64 v[38:39], v45 offset:24960
	s_wait_dscnt 0x0
	v_fma_f64 v[36:37], v[36:37], v[38:39], 0
	s_and_saveexec_b32 s6, s15
	s_cbranch_execz .LBB34_805
; %bb.804:                              ;   in Loop: Header=BB34_3 Depth=1
	ds_load_b64 v[38:39], v46 offset:25488
	ds_load_b64 v[40:41], v1 offset:24968
	s_wait_dscnt 0x0
	v_fmac_f64_e32 v[36:37], v[38:39], v[40:41]
.LBB34_805:                             ;   in Loop: Header=BB34_3 Depth=1
	s_or_b32 exec_lo, exec_lo, s6
	s_delay_alu instid0(VALU_DEP_1)
	v_xor_b32_e32 v37, 0x80000000, v37
.LBB34_806:                             ;   in Loop: Header=BB34_3 Depth=1
	s_or_b32 exec_lo, exec_lo, s10
	s_and_saveexec_b32 s6, s104
	s_cbranch_execz .LBB34_808
; %bb.807:                              ;   in Loop: Header=BB34_3 Depth=1
	ds_load_b64 v[38:39], v1 offset:26000
	s_wait_dscnt 0x0
	v_mul_f64_e32 v[36:37], v[36:37], v[38:39]
	ds_store_b64 v3, v[36:37]
.LBB34_808:                             ;   in Loop: Header=BB34_3 Depth=1
	s_or_b32 exec_lo, exec_lo, s6
	s_wait_dscnt 0x0
	s_barrier_signal -1
	s_barrier_wait -1
	s_and_saveexec_b32 s6, vcc_hi
	s_cbranch_execz .LBB34_810
; %bb.809:                              ;   in Loop: Header=BB34_3 Depth=1
	ds_load_b64 v[38:39], v1 offset:26008
	ds_load_b64 v[40:41], v3
	s_wait_dscnt 0x0
	v_fmac_f64_e32 v[36:37], v[38:39], v[40:41]
.LBB34_810:                             ;   in Loop: Header=BB34_3 Depth=1
	s_or_b32 exec_lo, exec_lo, s6
	s_barrier_signal -1
	s_barrier_wait -1
	s_and_saveexec_b32 s6, vcc_hi
	s_cbranch_execz .LBB34_812
; %bb.811:                              ;   in Loop: Header=BB34_3 Depth=1
	ds_load_b64 v[38:39], v1 offset:26520
	s_wait_dscnt 0x0
	v_mul_f64_e32 v[36:37], v[36:37], v[38:39]
	ds_store_b64 v3, v[36:37]
.LBB34_812:                             ;   in Loop: Header=BB34_3 Depth=1
	s_or_b32 exec_lo, exec_lo, s6
	s_wait_dscnt 0x0
	s_barrier_signal -1
	s_barrier_wait -1
	s_barrier_signal -1
	s_barrier_wait -1
	s_and_saveexec_b32 s6, s1
; %bb.813:                              ;   in Loop: Header=BB34_3 Depth=1
	s_delay_alu instid0(VALU_DEP_1)
	v_xor_b32_e32 v37, 0x80000000, v37
	ds_store_b64 v44, v[36:37] offset:24976
; %bb.814:                              ;   in Loop: Header=BB34_3 Depth=1
	s_or_b32 exec_lo, exec_lo, s6
	s_wait_dscnt 0x0
	s_barrier_signal -1
	s_barrier_wait -1
	s_barrier_signal -1
	s_barrier_wait -1
	s_and_saveexec_b32 s10, s14
	s_cbranch_execz .LBB34_816
; %bb.815:                              ;   in Loop: Header=BB34_3 Depth=1
	ds_load_b128 v[36:39], v1 offset:26000
	ds_load_b64 v[40:41], v1 offset:26520
	s_wait_dscnt 0x0
	v_mul_f64_e32 v[36:37], v[36:37], v[40:41]
	s_delay_alu instid0(VALU_DEP_1)
	v_mul_f64_e32 v[36:37], v[38:39], v[36:37]
	ds_store_b64 v1, v[36:37] offset:26008
.LBB34_816:                             ;   in Loop: Header=BB34_3 Depth=1
	s_or_b32 exec_lo, exec_lo, s10
	v_mov_b64_e32 v[36:37], 0
	s_wait_dscnt 0x0
	s_barrier_signal -1
	s_barrier_wait -1
	s_and_saveexec_b32 s10, s2
	s_cbranch_execz .LBB34_822
; %bb.817:                              ;   in Loop: Header=BB34_3 Depth=1
	ds_load_b64 v[36:37], v50 offset:24992
	ds_load_b64 v[38:39], v47 offset:24960
	s_wait_dscnt 0x0
	v_fma_f64 v[36:37], v[36:37], v[38:39], 0
	s_and_saveexec_b32 s6, s16
	s_cbranch_execnz .LBB34_1077
; %bb.818:                              ;   in Loop: Header=BB34_3 Depth=1
	s_or_b32 exec_lo, exec_lo, s6
	s_and_saveexec_b32 s6, s17
	s_cbranch_execnz .LBB34_1078
.LBB34_819:                             ;   in Loop: Header=BB34_3 Depth=1
	s_or_b32 exec_lo, exec_lo, s6
	s_and_saveexec_b32 s6, s1
	s_cbranch_execz .LBB34_821
.LBB34_820:                             ;   in Loop: Header=BB34_3 Depth=1
	ds_load_b64 v[38:39], v46 offset:26528
	ds_load_b64 v[40:41], v1 offset:24984
	s_wait_dscnt 0x0
	v_fmac_f64_e32 v[36:37], v[38:39], v[40:41]
.LBB34_821:                             ;   in Loop: Header=BB34_3 Depth=1
	s_or_b32 exec_lo, exec_lo, s6
	s_delay_alu instid0(VALU_DEP_1)
	v_xor_b32_e32 v37, 0x80000000, v37
.LBB34_822:                             ;   in Loop: Header=BB34_3 Depth=1
	s_or_b32 exec_lo, exec_lo, s10
	s_and_saveexec_b32 s6, s36
	s_cbranch_execz .LBB34_824
; %bb.823:                              ;   in Loop: Header=BB34_3 Depth=1
	ds_load_b64 v[38:39], v1 offset:27040
	s_wait_dscnt 0x0
	v_mul_f64_e32 v[36:37], v[36:37], v[38:39]
	ds_store_b64 v48, v[36:37]
.LBB34_824:                             ;   in Loop: Header=BB34_3 Depth=1
	s_or_b32 exec_lo, exec_lo, s6
	s_wait_dscnt 0x0
	s_barrier_signal -1
	s_barrier_wait -1
	s_and_saveexec_b32 s6, s37
	s_cbranch_execz .LBB34_826
; %bb.825:                              ;   in Loop: Header=BB34_3 Depth=1
	ds_load_b64 v[38:39], v49 offset:27040
	ds_load_b64 v[40:41], v48
	s_wait_dscnt 0x0
	v_fmac_f64_e32 v[36:37], v[38:39], v[40:41]
.LBB34_826:                             ;   in Loop: Header=BB34_3 Depth=1
	s_or_b32 exec_lo, exec_lo, s6
	s_barrier_signal -1
	s_barrier_wait -1
	s_and_saveexec_b32 s6, s38
	s_cbranch_execz .LBB34_828
; %bb.827:                              ;   in Loop: Header=BB34_3 Depth=1
	ds_load_b64 v[38:39], v1 offset:27560
	s_wait_dscnt 0x0
	v_mul_f64_e32 v[36:37], v[36:37], v[38:39]
	ds_store_b64 v48, v[36:37]
.LBB34_828:                             ;   in Loop: Header=BB34_3 Depth=1
	s_or_b32 exec_lo, exec_lo, s6
	s_wait_dscnt 0x0
	s_barrier_signal -1
	s_barrier_wait -1
	s_and_saveexec_b32 s6, s39
	s_cbranch_execz .LBB34_830
; %bb.829:                              ;   in Loop: Header=BB34_3 Depth=1
	ds_load_b64 v[38:39], v49 offset:27552
	ds_load_b64 v[40:41], v48
	s_wait_dscnt 0x0
	v_fmac_f64_e32 v[36:37], v[38:39], v[40:41]
.LBB34_830:                             ;   in Loop: Header=BB34_3 Depth=1
	s_or_b32 exec_lo, exec_lo, s6
	s_barrier_signal -1
	s_barrier_wait -1
	;; [unrolled: 23-line block ×3, first 2 shown]
	s_and_saveexec_b32 s6, s41
	s_cbranch_execz .LBB34_836
; %bb.835:                              ;   in Loop: Header=BB34_3 Depth=1
	ds_load_b64 v[38:39], v1 offset:28600
	s_wait_dscnt 0x0
	v_mul_f64_e32 v[36:37], v[36:37], v[38:39]
	ds_store_b64 v48, v[36:37]
.LBB34_836:                             ;   in Loop: Header=BB34_3 Depth=1
	s_or_b32 exec_lo, exec_lo, s6
	s_wait_dscnt 0x0
	s_barrier_signal -1
	s_barrier_wait -1
	s_barrier_signal -1
	s_barrier_wait -1
	s_and_saveexec_b32 s6, s2
; %bb.837:                              ;   in Loop: Header=BB34_3 Depth=1
	s_delay_alu instid0(VALU_DEP_1)
	v_xor_b32_e32 v37, 0x80000000, v37
	ds_store_b64 v50, v[36:37] offset:24992
; %bb.838:                              ;   in Loop: Header=BB34_3 Depth=1
	s_or_b32 exec_lo, exec_lo, s6
	s_wait_dscnt 0x0
	s_barrier_signal -1
	s_barrier_wait -1
	s_barrier_signal -1
	s_barrier_wait -1
	s_and_saveexec_b32 s10, s14
	s_cbranch_execz .LBB34_840
; %bb.839:                              ;   in Loop: Header=BB34_3 Depth=1
	ds_load_b128 v[36:39], v1 offset:27040
	ds_load_b64 v[40:41], v1 offset:27560
	s_wait_dscnt 0x0
	v_mul_f64_e32 v[36:37], v[36:37], v[40:41]
	s_delay_alu instid0(VALU_DEP_1)
	v_mul_f64_e32 v[36:37], v[38:39], v[36:37]
	ds_store_b64 v1, v[36:37] offset:27048
.LBB34_840:                             ;   in Loop: Header=BB34_3 Depth=1
	s_or_b32 exec_lo, exec_lo, s10
	v_mov_b64_e32 v[36:37], 0
	s_wait_dscnt 0x0
	s_barrier_signal -1
	s_barrier_wait -1
	s_and_saveexec_b32 s10, s1
	s_cbranch_execz .LBB34_844
; %bb.841:                              ;   in Loop: Header=BB34_3 Depth=1
	ds_load_b64 v[36:37], v44 offset:27056
	ds_load_b64 v[38:39], v45 offset:27040
	s_wait_dscnt 0x0
	v_fma_f64 v[36:37], v[36:37], v[38:39], 0
	s_and_saveexec_b32 s6, s15
	s_cbranch_execz .LBB34_843
; %bb.842:                              ;   in Loop: Header=BB34_3 Depth=1
	ds_load_b64 v[38:39], v46 offset:27568
	ds_load_b64 v[40:41], v1 offset:27048
	s_wait_dscnt 0x0
	v_fmac_f64_e32 v[36:37], v[38:39], v[40:41]
.LBB34_843:                             ;   in Loop: Header=BB34_3 Depth=1
	s_or_b32 exec_lo, exec_lo, s6
	s_delay_alu instid0(VALU_DEP_1)
	v_xor_b32_e32 v37, 0x80000000, v37
.LBB34_844:                             ;   in Loop: Header=BB34_3 Depth=1
	s_or_b32 exec_lo, exec_lo, s10
	s_and_saveexec_b32 s6, s104
	s_cbranch_execz .LBB34_846
; %bb.845:                              ;   in Loop: Header=BB34_3 Depth=1
	ds_load_b64 v[38:39], v1 offset:28080
	s_wait_dscnt 0x0
	v_mul_f64_e32 v[36:37], v[36:37], v[38:39]
	ds_store_b64 v3, v[36:37]
.LBB34_846:                             ;   in Loop: Header=BB34_3 Depth=1
	s_or_b32 exec_lo, exec_lo, s6
	s_wait_dscnt 0x0
	s_barrier_signal -1
	s_barrier_wait -1
	s_and_saveexec_b32 s6, vcc_hi
	s_cbranch_execz .LBB34_848
; %bb.847:                              ;   in Loop: Header=BB34_3 Depth=1
	ds_load_b64 v[38:39], v1 offset:28088
	ds_load_b64 v[40:41], v3
	s_wait_dscnt 0x0
	v_fmac_f64_e32 v[36:37], v[38:39], v[40:41]
.LBB34_848:                             ;   in Loop: Header=BB34_3 Depth=1
	s_or_b32 exec_lo, exec_lo, s6
	s_barrier_signal -1
	s_barrier_wait -1
	s_and_saveexec_b32 s6, vcc_hi
	s_cbranch_execz .LBB34_850
; %bb.849:                              ;   in Loop: Header=BB34_3 Depth=1
	ds_load_b64 v[38:39], v1 offset:28600
	s_wait_dscnt 0x0
	v_mul_f64_e32 v[36:37], v[36:37], v[38:39]
	ds_store_b64 v3, v[36:37]
.LBB34_850:                             ;   in Loop: Header=BB34_3 Depth=1
	s_or_b32 exec_lo, exec_lo, s6
	s_wait_dscnt 0x0
	s_barrier_signal -1
	s_barrier_wait -1
	s_barrier_signal -1
	s_barrier_wait -1
	s_and_saveexec_b32 s6, s1
; %bb.851:                              ;   in Loop: Header=BB34_3 Depth=1
	s_delay_alu instid0(VALU_DEP_1)
	v_xor_b32_e32 v37, 0x80000000, v37
	ds_store_b64 v44, v[36:37] offset:27056
; %bb.852:                              ;   in Loop: Header=BB34_3 Depth=1
	s_or_b32 exec_lo, exec_lo, s6
	s_wait_dscnt 0x0
	s_barrier_signal -1
	s_barrier_wait -1
	s_barrier_signal -1
	s_barrier_wait -1
	s_and_saveexec_b32 s10, s14
	s_cbranch_execz .LBB34_854
; %bb.853:                              ;   in Loop: Header=BB34_3 Depth=1
	ds_load_b128 v[36:39], v1 offset:28080
	ds_load_b64 v[40:41], v1 offset:28600
	s_wait_dscnt 0x0
	v_mul_f64_e32 v[36:37], v[36:37], v[40:41]
	s_delay_alu instid0(VALU_DEP_1)
	v_mul_f64_e32 v[36:37], v[38:39], v[36:37]
	ds_store_b64 v1, v[36:37] offset:28088
.LBB34_854:                             ;   in Loop: Header=BB34_3 Depth=1
	s_or_b32 exec_lo, exec_lo, s10
	v_mov_b64_e32 v[36:37], 0
	s_wait_dscnt 0x0
	s_barrier_signal -1
	s_barrier_wait -1
	s_and_saveexec_b32 s10, s3
	s_cbranch_execz .LBB34_864
; %bb.855:                              ;   in Loop: Header=BB34_3 Depth=1
	ds_load_b64 v[36:37], v55 offset:25024
	ds_load_b64 v[38:39], v52 offset:24960
	s_wait_dscnt 0x0
	v_fma_f64 v[36:37], v[36:37], v[38:39], 0
	s_and_saveexec_b32 s6, s18
	s_cbranch_execnz .LBB34_1079
; %bb.856:                              ;   in Loop: Header=BB34_3 Depth=1
	s_or_b32 exec_lo, exec_lo, s6
	s_and_saveexec_b32 s6, s19
	s_cbranch_execnz .LBB34_1080
.LBB34_857:                             ;   in Loop: Header=BB34_3 Depth=1
	s_or_b32 exec_lo, exec_lo, s6
	s_and_saveexec_b32 s6, s20
	s_cbranch_execnz .LBB34_1081
.LBB34_858:                             ;   in Loop: Header=BB34_3 Depth=1
	s_or_b32 exec_lo, exec_lo, s6
	s_and_saveexec_b32 s6, s21
	s_cbranch_execnz .LBB34_1082
.LBB34_859:                             ;   in Loop: Header=BB34_3 Depth=1
	s_or_b32 exec_lo, exec_lo, s6
	s_and_saveexec_b32 s6, s22
	s_cbranch_execnz .LBB34_1083
.LBB34_860:                             ;   in Loop: Header=BB34_3 Depth=1
	s_or_b32 exec_lo, exec_lo, s6
	s_and_saveexec_b32 s6, s2
	s_cbranch_execnz .LBB34_1084
.LBB34_861:                             ;   in Loop: Header=BB34_3 Depth=1
	s_or_b32 exec_lo, exec_lo, s6
	s_and_saveexec_b32 s6, s17
	s_cbranch_execz .LBB34_863
.LBB34_862:                             ;   in Loop: Header=BB34_3 Depth=1
	ds_load_b64 v[38:39], v46 offset:28608
	ds_load_b64 v[40:41], v1 offset:25016
	s_wait_dscnt 0x0
	v_fmac_f64_e32 v[36:37], v[38:39], v[40:41]
.LBB34_863:                             ;   in Loop: Header=BB34_3 Depth=1
	s_or_b32 exec_lo, exec_lo, s6
	s_delay_alu instid0(VALU_DEP_1)
	v_xor_b32_e32 v37, 0x80000000, v37
.LBB34_864:                             ;   in Loop: Header=BB34_3 Depth=1
	s_or_b32 exec_lo, exec_lo, s10
	s_and_saveexec_b32 s6, s42
	s_cbranch_execz .LBB34_866
; %bb.865:                              ;   in Loop: Header=BB34_3 Depth=1
	ds_load_b64 v[38:39], v1 offset:29120
	s_wait_dscnt 0x0
	v_mul_f64_e32 v[36:37], v[36:37], v[38:39]
	ds_store_b64 v54, v[36:37]
.LBB34_866:                             ;   in Loop: Header=BB34_3 Depth=1
	s_or_b32 exec_lo, exec_lo, s6
	s_wait_dscnt 0x0
	s_barrier_signal -1
	s_barrier_wait -1
	s_and_saveexec_b32 s6, s43
	s_cbranch_execz .LBB34_868
; %bb.867:                              ;   in Loop: Header=BB34_3 Depth=1
	ds_load_b64 v[38:39], v53 offset:29120
	ds_load_b64 v[40:41], v54
	s_wait_dscnt 0x0
	v_fmac_f64_e32 v[36:37], v[38:39], v[40:41]
.LBB34_868:                             ;   in Loop: Header=BB34_3 Depth=1
	s_or_b32 exec_lo, exec_lo, s6
	s_barrier_signal -1
	s_barrier_wait -1
	s_and_saveexec_b32 s6, s44
	s_cbranch_execz .LBB34_870
; %bb.869:                              ;   in Loop: Header=BB34_3 Depth=1
	ds_load_b64 v[38:39], v1 offset:29640
	s_wait_dscnt 0x0
	v_mul_f64_e32 v[36:37], v[36:37], v[38:39]
	ds_store_b64 v54, v[36:37]
.LBB34_870:                             ;   in Loop: Header=BB34_3 Depth=1
	s_or_b32 exec_lo, exec_lo, s6
	s_wait_dscnt 0x0
	s_barrier_signal -1
	s_barrier_wait -1
	s_and_saveexec_b32 s6, s45
	s_cbranch_execz .LBB34_872
; %bb.871:                              ;   in Loop: Header=BB34_3 Depth=1
	ds_load_b64 v[38:39], v53 offset:29632
	ds_load_b64 v[40:41], v54
	s_wait_dscnt 0x0
	v_fmac_f64_e32 v[36:37], v[38:39], v[40:41]
.LBB34_872:                             ;   in Loop: Header=BB34_3 Depth=1
	s_or_b32 exec_lo, exec_lo, s6
	s_barrier_signal -1
	s_barrier_wait -1
	;; [unrolled: 23-line block ×7, first 2 shown]
	s_and_saveexec_b32 s6, s55
	s_cbranch_execz .LBB34_894
; %bb.893:                              ;   in Loop: Header=BB34_3 Depth=1
	ds_load_b64 v[38:39], v1 offset:32760
	s_wait_dscnt 0x0
	v_mul_f64_e32 v[36:37], v[36:37], v[38:39]
	ds_store_b64 v54, v[36:37]
.LBB34_894:                             ;   in Loop: Header=BB34_3 Depth=1
	s_or_b32 exec_lo, exec_lo, s6
	s_wait_dscnt 0x0
	s_barrier_signal -1
	s_barrier_wait -1
	s_barrier_signal -1
	s_barrier_wait -1
	s_and_saveexec_b32 s6, s3
; %bb.895:                              ;   in Loop: Header=BB34_3 Depth=1
	s_delay_alu instid0(VALU_DEP_1)
	v_xor_b32_e32 v37, 0x80000000, v37
	ds_store_b64 v55, v[36:37] offset:25024
; %bb.896:                              ;   in Loop: Header=BB34_3 Depth=1
	s_or_b32 exec_lo, exec_lo, s6
	s_wait_dscnt 0x0
	s_barrier_signal -1
	s_barrier_wait -1
	s_barrier_signal -1
	s_barrier_wait -1
	s_and_saveexec_b32 s10, s14
	s_cbranch_execz .LBB34_898
; %bb.897:                              ;   in Loop: Header=BB34_3 Depth=1
	ds_load_b128 v[36:39], v1 offset:29120
	ds_load_b64 v[40:41], v1 offset:29640
	s_wait_dscnt 0x0
	v_mul_f64_e32 v[36:37], v[36:37], v[40:41]
	s_delay_alu instid0(VALU_DEP_1)
	v_mul_f64_e32 v[36:37], v[38:39], v[36:37]
	ds_store_b64 v1, v[36:37] offset:29128
.LBB34_898:                             ;   in Loop: Header=BB34_3 Depth=1
	s_or_b32 exec_lo, exec_lo, s10
	v_mov_b64_e32 v[36:37], 0
	s_wait_dscnt 0x0
	s_barrier_signal -1
	s_barrier_wait -1
	s_and_saveexec_b32 s10, s1
	s_cbranch_execz .LBB34_902
; %bb.899:                              ;   in Loop: Header=BB34_3 Depth=1
	ds_load_b64 v[36:37], v44 offset:29136
	ds_load_b64 v[38:39], v45 offset:29120
	s_wait_dscnt 0x0
	v_fma_f64 v[36:37], v[36:37], v[38:39], 0
	s_and_saveexec_b32 s6, s15
	s_cbranch_execz .LBB34_901
; %bb.900:                              ;   in Loop: Header=BB34_3 Depth=1
	ds_load_b64 v[38:39], v46 offset:29648
	ds_load_b64 v[40:41], v1 offset:29128
	s_wait_dscnt 0x0
	v_fmac_f64_e32 v[36:37], v[38:39], v[40:41]
.LBB34_901:                             ;   in Loop: Header=BB34_3 Depth=1
	s_or_b32 exec_lo, exec_lo, s6
	s_delay_alu instid0(VALU_DEP_1)
	v_xor_b32_e32 v37, 0x80000000, v37
.LBB34_902:                             ;   in Loop: Header=BB34_3 Depth=1
	s_or_b32 exec_lo, exec_lo, s10
	s_and_saveexec_b32 s6, s104
	s_cbranch_execz .LBB34_904
; %bb.903:                              ;   in Loop: Header=BB34_3 Depth=1
	ds_load_b64 v[38:39], v1 offset:30160
	s_wait_dscnt 0x0
	v_mul_f64_e32 v[36:37], v[36:37], v[38:39]
	ds_store_b64 v3, v[36:37]
.LBB34_904:                             ;   in Loop: Header=BB34_3 Depth=1
	s_or_b32 exec_lo, exec_lo, s6
	s_wait_dscnt 0x0
	s_barrier_signal -1
	s_barrier_wait -1
	s_and_saveexec_b32 s6, vcc_hi
	s_cbranch_execz .LBB34_906
; %bb.905:                              ;   in Loop: Header=BB34_3 Depth=1
	ds_load_b64 v[38:39], v1 offset:30168
	ds_load_b64 v[40:41], v3
	s_wait_dscnt 0x0
	v_fmac_f64_e32 v[36:37], v[38:39], v[40:41]
.LBB34_906:                             ;   in Loop: Header=BB34_3 Depth=1
	s_or_b32 exec_lo, exec_lo, s6
	s_barrier_signal -1
	s_barrier_wait -1
	s_and_saveexec_b32 s6, vcc_hi
	s_cbranch_execz .LBB34_908
; %bb.907:                              ;   in Loop: Header=BB34_3 Depth=1
	ds_load_b64 v[38:39], v1 offset:30680
	s_wait_dscnt 0x0
	v_mul_f64_e32 v[36:37], v[36:37], v[38:39]
	ds_store_b64 v3, v[36:37]
.LBB34_908:                             ;   in Loop: Header=BB34_3 Depth=1
	s_or_b32 exec_lo, exec_lo, s6
	s_wait_dscnt 0x0
	s_barrier_signal -1
	s_barrier_wait -1
	s_barrier_signal -1
	s_barrier_wait -1
	s_and_saveexec_b32 s6, s1
; %bb.909:                              ;   in Loop: Header=BB34_3 Depth=1
	s_delay_alu instid0(VALU_DEP_1)
	v_xor_b32_e32 v37, 0x80000000, v37
	ds_store_b64 v44, v[36:37] offset:29136
; %bb.910:                              ;   in Loop: Header=BB34_3 Depth=1
	s_or_b32 exec_lo, exec_lo, s6
	s_wait_dscnt 0x0
	s_barrier_signal -1
	s_barrier_wait -1
	s_barrier_signal -1
	s_barrier_wait -1
	s_and_saveexec_b32 s10, s14
	s_cbranch_execz .LBB34_912
; %bb.911:                              ;   in Loop: Header=BB34_3 Depth=1
	ds_load_b128 v[36:39], v1 offset:30160
	ds_load_b64 v[40:41], v1 offset:30680
	s_wait_dscnt 0x0
	v_mul_f64_e32 v[36:37], v[36:37], v[40:41]
	s_delay_alu instid0(VALU_DEP_1)
	v_mul_f64_e32 v[36:37], v[38:39], v[36:37]
	ds_store_b64 v1, v[36:37] offset:30168
.LBB34_912:                             ;   in Loop: Header=BB34_3 Depth=1
	s_or_b32 exec_lo, exec_lo, s10
	v_mov_b64_e32 v[36:37], 0
	s_wait_dscnt 0x0
	s_barrier_signal -1
	s_barrier_wait -1
	s_and_saveexec_b32 s10, s2
	s_cbranch_execz .LBB34_918
; %bb.913:                              ;   in Loop: Header=BB34_3 Depth=1
	ds_load_b64 v[36:37], v50 offset:29152
	ds_load_b64 v[38:39], v47 offset:29120
	s_wait_dscnt 0x0
	v_fma_f64 v[36:37], v[36:37], v[38:39], 0
	s_and_saveexec_b32 s6, s16
	s_cbranch_execnz .LBB34_1085
; %bb.914:                              ;   in Loop: Header=BB34_3 Depth=1
	s_or_b32 exec_lo, exec_lo, s6
	s_and_saveexec_b32 s6, s17
	s_cbranch_execnz .LBB34_1086
.LBB34_915:                             ;   in Loop: Header=BB34_3 Depth=1
	s_or_b32 exec_lo, exec_lo, s6
	s_and_saveexec_b32 s6, s1
	s_cbranch_execz .LBB34_917
.LBB34_916:                             ;   in Loop: Header=BB34_3 Depth=1
	ds_load_b64 v[38:39], v46 offset:30688
	ds_load_b64 v[40:41], v1 offset:29144
	s_wait_dscnt 0x0
	v_fmac_f64_e32 v[36:37], v[38:39], v[40:41]
.LBB34_917:                             ;   in Loop: Header=BB34_3 Depth=1
	s_or_b32 exec_lo, exec_lo, s6
	s_delay_alu instid0(VALU_DEP_1)
	v_xor_b32_e32 v37, 0x80000000, v37
.LBB34_918:                             ;   in Loop: Header=BB34_3 Depth=1
	s_or_b32 exec_lo, exec_lo, s10
	s_and_saveexec_b32 s6, s36
	s_cbranch_execz .LBB34_920
; %bb.919:                              ;   in Loop: Header=BB34_3 Depth=1
	ds_load_b64 v[38:39], v1 offset:31200
	s_wait_dscnt 0x0
	v_mul_f64_e32 v[36:37], v[36:37], v[38:39]
	ds_store_b64 v48, v[36:37]
.LBB34_920:                             ;   in Loop: Header=BB34_3 Depth=1
	s_or_b32 exec_lo, exec_lo, s6
	s_wait_dscnt 0x0
	s_barrier_signal -1
	s_barrier_wait -1
	s_and_saveexec_b32 s6, s37
	s_cbranch_execz .LBB34_922
; %bb.921:                              ;   in Loop: Header=BB34_3 Depth=1
	ds_load_b64 v[38:39], v49 offset:31200
	ds_load_b64 v[40:41], v48
	s_wait_dscnt 0x0
	v_fmac_f64_e32 v[36:37], v[38:39], v[40:41]
.LBB34_922:                             ;   in Loop: Header=BB34_3 Depth=1
	s_or_b32 exec_lo, exec_lo, s6
	s_barrier_signal -1
	s_barrier_wait -1
	s_and_saveexec_b32 s6, s38
	s_cbranch_execz .LBB34_924
; %bb.923:                              ;   in Loop: Header=BB34_3 Depth=1
	ds_load_b64 v[38:39], v1 offset:31720
	s_wait_dscnt 0x0
	v_mul_f64_e32 v[36:37], v[36:37], v[38:39]
	ds_store_b64 v48, v[36:37]
.LBB34_924:                             ;   in Loop: Header=BB34_3 Depth=1
	s_or_b32 exec_lo, exec_lo, s6
	s_wait_dscnt 0x0
	s_barrier_signal -1
	s_barrier_wait -1
	s_and_saveexec_b32 s6, s39
	s_cbranch_execz .LBB34_926
; %bb.925:                              ;   in Loop: Header=BB34_3 Depth=1
	ds_load_b64 v[38:39], v49 offset:31712
	ds_load_b64 v[40:41], v48
	s_wait_dscnt 0x0
	v_fmac_f64_e32 v[36:37], v[38:39], v[40:41]
.LBB34_926:                             ;   in Loop: Header=BB34_3 Depth=1
	s_or_b32 exec_lo, exec_lo, s6
	s_barrier_signal -1
	s_barrier_wait -1
	s_and_saveexec_b32 s6, s40
	s_cbranch_execz .LBB34_928
; %bb.927:                              ;   in Loop: Header=BB34_3 Depth=1
	ds_load_b64 v[38:39], v1 offset:32240
	s_wait_dscnt 0x0
	v_mul_f64_e32 v[36:37], v[36:37], v[38:39]
	ds_store_b64 v48, v[36:37]
.LBB34_928:                             ;   in Loop: Header=BB34_3 Depth=1
	s_or_b32 exec_lo, exec_lo, s6
	s_wait_dscnt 0x0
	s_barrier_signal -1
	s_barrier_wait -1
	s_and_saveexec_b32 s6, s41
	s_cbranch_execz .LBB34_930
; %bb.929:                              ;   in Loop: Header=BB34_3 Depth=1
	ds_load_b64 v[38:39], v1 offset:32248
	ds_load_b64 v[40:41], v48
	s_wait_dscnt 0x0
	v_fmac_f64_e32 v[36:37], v[38:39], v[40:41]
.LBB34_930:                             ;   in Loop: Header=BB34_3 Depth=1
	s_or_b32 exec_lo, exec_lo, s6
	s_barrier_signal -1
	s_barrier_wait -1
	s_and_saveexec_b32 s6, s41
	s_cbranch_execz .LBB34_932
; %bb.931:                              ;   in Loop: Header=BB34_3 Depth=1
	ds_load_b64 v[38:39], v1 offset:32760
	s_wait_dscnt 0x0
	v_mul_f64_e32 v[36:37], v[36:37], v[38:39]
	ds_store_b64 v48, v[36:37]
.LBB34_932:                             ;   in Loop: Header=BB34_3 Depth=1
	s_or_b32 exec_lo, exec_lo, s6
	s_wait_dscnt 0x0
	s_barrier_signal -1
	s_barrier_wait -1
	s_barrier_signal -1
	s_barrier_wait -1
	s_and_saveexec_b32 s6, s2
; %bb.933:                              ;   in Loop: Header=BB34_3 Depth=1
	s_delay_alu instid0(VALU_DEP_1)
	v_xor_b32_e32 v37, 0x80000000, v37
	ds_store_b64 v50, v[36:37] offset:29152
; %bb.934:                              ;   in Loop: Header=BB34_3 Depth=1
	s_or_b32 exec_lo, exec_lo, s6
	s_wait_dscnt 0x0
	s_barrier_signal -1
	s_barrier_wait -1
	s_barrier_signal -1
	s_barrier_wait -1
	s_and_saveexec_b32 s10, s14
	s_cbranch_execz .LBB34_936
; %bb.935:                              ;   in Loop: Header=BB34_3 Depth=1
	ds_load_b128 v[36:39], v1 offset:31200
	ds_load_b64 v[40:41], v1 offset:31720
	s_wait_dscnt 0x0
	v_mul_f64_e32 v[36:37], v[36:37], v[40:41]
	s_delay_alu instid0(VALU_DEP_1)
	v_mul_f64_e32 v[36:37], v[38:39], v[36:37]
	ds_store_b64 v1, v[36:37] offset:31208
.LBB34_936:                             ;   in Loop: Header=BB34_3 Depth=1
	s_or_b32 exec_lo, exec_lo, s10
	v_mov_b64_e32 v[36:37], 0
	s_wait_dscnt 0x0
	s_barrier_signal -1
	s_barrier_wait -1
	s_and_saveexec_b32 s10, s1
	s_cbranch_execz .LBB34_940
; %bb.937:                              ;   in Loop: Header=BB34_3 Depth=1
	ds_load_b64 v[36:37], v44 offset:31216
	ds_load_b64 v[38:39], v45 offset:31200
	s_wait_dscnt 0x0
	v_fma_f64 v[36:37], v[36:37], v[38:39], 0
	s_and_saveexec_b32 s6, s15
	s_cbranch_execz .LBB34_939
; %bb.938:                              ;   in Loop: Header=BB34_3 Depth=1
	ds_load_b64 v[38:39], v46 offset:31728
	ds_load_b64 v[40:41], v1 offset:31208
	s_wait_dscnt 0x0
	v_fmac_f64_e32 v[36:37], v[38:39], v[40:41]
.LBB34_939:                             ;   in Loop: Header=BB34_3 Depth=1
	s_or_b32 exec_lo, exec_lo, s6
	s_delay_alu instid0(VALU_DEP_1)
	v_xor_b32_e32 v37, 0x80000000, v37
.LBB34_940:                             ;   in Loop: Header=BB34_3 Depth=1
	s_or_b32 exec_lo, exec_lo, s10
	s_and_saveexec_b32 s6, s104
	s_cbranch_execz .LBB34_942
; %bb.941:                              ;   in Loop: Header=BB34_3 Depth=1
	ds_load_b64 v[38:39], v1 offset:32240
	s_wait_dscnt 0x0
	v_mul_f64_e32 v[36:37], v[36:37], v[38:39]
	ds_store_b64 v3, v[36:37]
.LBB34_942:                             ;   in Loop: Header=BB34_3 Depth=1
	s_or_b32 exec_lo, exec_lo, s6
	s_wait_dscnt 0x0
	s_barrier_signal -1
	s_barrier_wait -1
	s_and_saveexec_b32 s6, vcc_hi
	s_cbranch_execz .LBB34_944
; %bb.943:                              ;   in Loop: Header=BB34_3 Depth=1
	ds_load_b64 v[38:39], v1 offset:32248
	ds_load_b64 v[40:41], v3
	s_wait_dscnt 0x0
	v_fmac_f64_e32 v[36:37], v[38:39], v[40:41]
.LBB34_944:                             ;   in Loop: Header=BB34_3 Depth=1
	s_or_b32 exec_lo, exec_lo, s6
	s_barrier_signal -1
	s_barrier_wait -1
	s_and_saveexec_b32 s6, vcc_hi
	s_cbranch_execz .LBB34_946
; %bb.945:                              ;   in Loop: Header=BB34_3 Depth=1
	ds_load_b64 v[38:39], v1 offset:32760
	s_wait_dscnt 0x0
	v_mul_f64_e32 v[36:37], v[36:37], v[38:39]
	ds_store_b64 v3, v[36:37]
.LBB34_946:                             ;   in Loop: Header=BB34_3 Depth=1
	s_or_b32 exec_lo, exec_lo, s6
	s_wait_dscnt 0x0
	s_barrier_signal -1
	s_barrier_wait -1
	s_barrier_signal -1
	s_barrier_wait -1
	s_and_saveexec_b32 s6, s1
; %bb.947:                              ;   in Loop: Header=BB34_3 Depth=1
	s_delay_alu instid0(VALU_DEP_1)
	v_xor_b32_e32 v37, 0x80000000, v37
	ds_store_b64 v44, v[36:37] offset:31216
; %bb.948:                              ;   in Loop: Header=BB34_3 Depth=1
	s_or_b32 exec_lo, exec_lo, s6
	s_wait_dscnt 0x0
	s_barrier_signal -1
	s_barrier_wait -1
	s_barrier_signal -1
	s_barrier_wait -1
	s_and_saveexec_b32 s10, s14
	s_cbranch_execz .LBB34_950
; %bb.949:                              ;   in Loop: Header=BB34_3 Depth=1
	ds_load_b128 v[36:39], v1 offset:32240
	ds_load_b64 v[40:41], v1 offset:32760
	s_wait_dscnt 0x0
	v_mul_f64_e32 v[36:37], v[36:37], v[40:41]
	s_delay_alu instid0(VALU_DEP_1)
	v_mul_f64_e32 v[36:37], v[38:39], v[36:37]
	ds_store_b64 v1, v[36:37] offset:32248
.LBB34_950:                             ;   in Loop: Header=BB34_3 Depth=1
	s_or_b32 exec_lo, exec_lo, s10
.LBB34_951:                             ;   in Loop: Header=BB34_3 Depth=1
	v_readlane_b32 s96, v84, 2
	v_mov_b64_e32 v[36:37], 0
	v_readlane_b32 s97, v84, 3
	s_mul_u64 s[10:11], s[84:85], s[88:89]
	s_wait_dscnt 0x0
	s_lshl_b64 s[10:11], s[10:11], 3
	s_barrier_signal -1
	s_add_nc_u64 s[96:97], s[96:97], s[10:11]
	s_barrier_wait -1
	s_and_saveexec_b32 s6, s58
	s_cbranch_execz .LBB34_953
; %bb.952:                              ;   in Loop: Header=BB34_3 Depth=1
	v_lshl_add_u64 v[36:37], v[20:21], 3, s[96:97]
	global_load_b64 v[36:37], v[36:37], off
	s_wait_loadcnt 0x0
	v_mul_f64_e64 v[36:37], v[36:37], -v[34:35]
.LBB34_953:                             ;   in Loop: Header=BB34_3 Depth=1
	s_or_b32 exec_lo, exec_lo, s6
	s_delay_alu instid0(SALU_CYCLE_1)
	s_and_not1_b32 vcc_lo, exec_lo, s65
	s_cbranch_vccnz .LBB34_979
; %bb.954:                              ;   in Loop: Header=BB34_3 Depth=1
	v_lshl_add_u64 v[34:35], v[6:7], 3, s[94:95]
	v_mov_b32_e32 v78, -1
	s_lshl_b64 s[10:11], s[88:89], 2
	s_delay_alu instid0(SALU_CYCLE_1)
	s_add_nc_u64 s[94:95], s[86:87], s[10:11]
	s_mov_b32 s10, 0
	s_branch .LBB34_957
.LBB34_955:                             ;   in Loop: Header=BB34_957 Depth=2
	s_wait_xcnt 0x0
	ds_load_b64 v[38:39], v69 offset:384
	s_wait_loadcnt_dscnt 0x0
	v_fmac_f64_e32 v[36:37], v[40:41], v[38:39]
.LBB34_956:                             ;   in Loop: Header=BB34_957 Depth=2
	s_or_b32 exec_lo, exec_lo, s11
	s_add_co_i32 s10, s10, 1
	s_delay_alu instid0(SALU_CYCLE_1)
	s_cmp_eq_u32 s10, s100
	s_cbranch_scc1 .LBB34_979
.LBB34_957:                             ;   Parent Loop BB34_3 Depth=1
                                        ; =>  This Loop Header: Depth=2
                                        ;       Child Loop BB34_959 Depth 3
	v_cmp_gt_i32_e32 vcc_lo, s10, v78
	s_and_b32 s6, s59, vcc_lo
	s_delay_alu instid0(SALU_CYCLE_1)
	s_and_saveexec_b32 s11, s6
	s_cbranch_execz .LBB34_960
; %bb.958:                              ;   in Loop: Header=BB34_957 Depth=2
	global_load_b32 v78, v1, s[94:95]
	s_wait_loadcnt 0x0
	v_cmp_le_i32_e32 vcc_lo, s10, v78
	s_cbranch_vccnz .LBB34_960
.LBB34_959:                             ;   Parent Loop BB34_3 Depth=1
                                        ;     Parent Loop BB34_957 Depth=2
                                        ; =>    This Inner Loop Header: Depth=3
	global_wb scope:SCOPE_DEV
	s_wait_storecnt 0x0
	global_inv scope:SCOPE_DEV
	global_load_b32 v78, v1, s[94:95]
	s_wait_loadcnt 0x0
	v_cmp_gt_i32_e32 vcc_lo, s10, v78
	s_cbranch_vccnz .LBB34_959
.LBB34_960:                             ;   in Loop: Header=BB34_957 Depth=2
	s_or_b32 exec_lo, exec_lo, s11
	s_lshl_b32 s69, s10, 6
	global_wb scope:SCOPE_DEV
	s_wait_storecnt 0x0
	global_inv scope:SCOPE_DEV
	s_wait_loadcnt 0x0
	s_barrier_signal -1
	s_barrier_wait -1
	s_and_saveexec_b32 s11, s60
	s_cbranch_execz .LBB34_964
; %bb.961:                              ;   in Loop: Header=BB34_957 Depth=2
	v_mov_b64_e32 v[38:39], 0
	v_or_b32_e32 v0, s69, v4
	s_mov_b32 s6, exec_lo
	s_delay_alu instid0(VALU_DEP_1)
	v_cmpx_gt_i32_e64 s99, v0
	s_cbranch_execz .LBB34_963
; %bb.962:                              ;   in Loop: Header=BB34_957 Depth=2
	v_mul_u64_e32 v[38:39], s[82:83], v[0:1]
	s_delay_alu instid0(VALU_DEP_1)
	v_lshl_add_u64 v[38:39], v[38:39], 3, s[96:97]
	global_load_b64 v[38:39], v[38:39], off
.LBB34_963:                             ;   in Loop: Header=BB34_957 Depth=2
	s_wait_xcnt 0x0
	s_or_b32 exec_lo, exec_lo, s6
	s_wait_loadcnt 0x0
	ds_store_b64 v68, v[38:39]
.LBB34_964:                             ;   in Loop: Header=BB34_957 Depth=2
	s_or_b32 exec_lo, exec_lo, s11
	v_add_nc_u32_e32 v0, s69, v42
	v_cmp_ne_u32_e32 vcc_lo, s10, v43
	s_wait_dscnt 0x0
	s_barrier_signal -1
	s_barrier_wait -1
	v_mul_u64_e32 v[38:39], s[72:73], v[0:1]
	v_cmp_gt_i32_e64 s69, s99, v0
	v_cndmask_b32_e64 v79, 0, 1, vcc_lo
	s_and_b32 s6, s0, s69
	v_lshl_add_u64 v[38:39], v[38:39], 3, v[34:35]
	s_and_saveexec_b32 s11, s6
	s_cbranch_execz .LBB34_968
; %bb.965:                              ;   in Loop: Header=BB34_957 Depth=2
	v_mov_b64_e32 v[40:41], v[26:27]
	s_and_not1_b32 vcc_lo, exec_lo, vcc_lo
	s_cbranch_vccnz .LBB34_967
; %bb.966:                              ;   in Loop: Header=BB34_957 Depth=2
	global_load_b64 v[40:41], v[38:39], off
.LBB34_967:                             ;   in Loop: Header=BB34_957 Depth=2
	ds_load_b64 v[80:81], v69
	s_wait_loadcnt_dscnt 0x0
	v_fmac_f64_e32 v[36:37], v[40:41], v[80:81]
.LBB34_968:                             ;   in Loop: Header=BB34_957 Depth=2
	s_or_b32 exec_lo, exec_lo, s11
	v_add_nc_u32_e32 v40, 16, v0
	s_delay_alu instid0(VALU_DEP_1) | instskip(SKIP_1) | instid1(SALU_CYCLE_1)
	v_cmp_gt_i32_e32 vcc_lo, s99, v40
	s_and_b32 s6, s0, vcc_lo
	s_and_saveexec_b32 s11, s6
	s_cbranch_execz .LBB34_972
; %bb.969:                              ;   in Loop: Header=BB34_957 Depth=2
	v_cmp_ne_u32_e32 vcc_lo, 1, v79
	v_mov_b64_e32 v[40:41], v[28:29]
	s_cbranch_vccnz .LBB34_971
; %bb.970:                              ;   in Loop: Header=BB34_957 Depth=2
	v_add_nc_u64_e32 v[40:41], s[80:81], v[38:39]
	global_load_b64 v[40:41], v[40:41], off
.LBB34_971:                             ;   in Loop: Header=BB34_957 Depth=2
	ds_load_b64 v[80:81], v69 offset:128
	s_wait_loadcnt_dscnt 0x0
	v_fmac_f64_e32 v[36:37], v[40:41], v[80:81]
.LBB34_972:                             ;   in Loop: Header=BB34_957 Depth=2
	s_or_b32 exec_lo, exec_lo, s11
	v_add_nc_u32_e32 v40, 32, v0
	s_delay_alu instid0(VALU_DEP_1) | instskip(SKIP_1) | instid1(SALU_CYCLE_1)
	v_cmp_gt_i32_e32 vcc_lo, s99, v40
	s_and_b32 s6, s0, vcc_lo
	s_and_saveexec_b32 s11, s6
	s_cbranch_execz .LBB34_976
; %bb.973:                              ;   in Loop: Header=BB34_957 Depth=2
	v_cmp_ne_u32_e32 vcc_lo, 1, v79
	v_mov_b64_e32 v[40:41], v[30:31]
	s_cbranch_vccnz .LBB34_975
; %bb.974:                              ;   in Loop: Header=BB34_957 Depth=2
	v_add_nc_u64_e32 v[40:41], s[90:91], v[38:39]
	global_load_b64 v[40:41], v[40:41], off
.LBB34_975:                             ;   in Loop: Header=BB34_957 Depth=2
	ds_load_b64 v[80:81], v69 offset:256
	s_wait_loadcnt_dscnt 0x0
	v_fmac_f64_e32 v[36:37], v[40:41], v[80:81]
.LBB34_976:                             ;   in Loop: Header=BB34_957 Depth=2
	s_or_b32 exec_lo, exec_lo, s11
	v_add_nc_u32_e32 v0, 48, v0
	s_delay_alu instid0(VALU_DEP_1) | instskip(SKIP_1) | instid1(SALU_CYCLE_1)
	v_cmp_gt_i32_e32 vcc_lo, s99, v0
	s_and_b32 s6, s0, vcc_lo
	s_and_saveexec_b32 s11, s6
	s_cbranch_execz .LBB34_956
; %bb.977:                              ;   in Loop: Header=BB34_957 Depth=2
	v_cmp_ne_u32_e32 vcc_lo, 1, v79
	v_mov_b64_e32 v[40:41], v[32:33]
	s_cbranch_vccnz .LBB34_955
; %bb.978:                              ;   in Loop: Header=BB34_957 Depth=2
	v_add_nc_u64_e32 v[38:39], s[92:93], v[38:39]
	global_load_b64 v[40:41], v[38:39], off
	s_branch .LBB34_955
.LBB34_979:                             ;   in Loop: Header=BB34_3 Depth=1
	ds_store_b64 v70, v[36:37]
	s_wait_dscnt 0x0
	s_barrier_signal -1
	s_barrier_wait -1
	s_and_saveexec_b32 s10, s5
	s_cbranch_execz .LBB34_981
; %bb.980:                              ;   in Loop: Header=BB34_3 Depth=1
	ds_load_2addr_stride64_b64 v[38:41], v71 offset0:1 offset1:2
	ds_load_2addr_stride64_b64 v[78:81], v71 offset0:3 offset1:4
	s_wait_dscnt 0x1
	v_add_f64_e32 v[34:35], v[36:37], v[38:39]
	s_delay_alu instid0(VALU_DEP_1) | instskip(SKIP_1) | instid1(VALU_DEP_1)
	v_add_f64_e32 v[34:35], v[34:35], v[40:41]
	s_wait_dscnt 0x0
	v_add_f64_e32 v[34:35], v[34:35], v[78:79]
	s_delay_alu instid0(VALU_DEP_1) | instskip(SKIP_4) | instid1(VALU_DEP_1)
	v_add_f64_e32 v[78:79], v[34:35], v[80:81]
	ds_load_2addr_stride64_b64 v[34:37], v71 offset0:5 offset1:6
	ds_load_2addr_stride64_b64 v[38:41], v71 offset0:7 offset1:8
	s_wait_dscnt 0x1
	v_add_f64_e32 v[34:35], v[78:79], v[34:35]
	v_add_f64_e32 v[34:35], v[34:35], v[36:37]
	s_wait_dscnt 0x0
	s_delay_alu instid0(VALU_DEP_1) | instskip(NEXT) | instid1(VALU_DEP_1)
	v_add_f64_e32 v[34:35], v[34:35], v[38:39]
	v_add_f64_e32 v[78:79], v[34:35], v[40:41]
	ds_load_2addr_stride64_b64 v[34:37], v71 offset0:9 offset1:10
	ds_load_2addr_stride64_b64 v[38:41], v71 offset0:11 offset1:12
	s_wait_dscnt 0x1
	v_add_f64_e32 v[34:35], v[78:79], v[34:35]
	s_delay_alu instid0(VALU_DEP_1) | instskip(SKIP_1) | instid1(VALU_DEP_1)
	v_add_f64_e32 v[34:35], v[34:35], v[36:37]
	s_wait_dscnt 0x0
	v_add_f64_e32 v[34:35], v[34:35], v[38:39]
	s_delay_alu instid0(VALU_DEP_1) | instskip(SKIP_4) | instid1(VALU_DEP_1)
	v_add_f64_e32 v[38:39], v[34:35], v[40:41]
	ds_load_2addr_stride64_b64 v[34:37], v71 offset0:13 offset1:14
	ds_load_b64 v[40:41], v71 offset:7680
	s_wait_dscnt 0x1
	v_add_f64_e32 v[34:35], v[38:39], v[34:35]
	v_add_f64_e32 v[34:35], v[34:35], v[36:37]
	s_wait_dscnt 0x0
	s_delay_alu instid0(VALU_DEP_1) | instskip(NEXT) | instid1(VALU_DEP_1)
	v_add_f64_e32 v[34:35], v[34:35], v[40:41]
	v_xor_b32_e32 v0, 0x80000000, v35
	s_delay_alu instid0(VALU_DEP_2) | instskip(NEXT) | instid1(VALU_DEP_2)
	v_cndmask_b32_e64 v36, v34, 0, s57
	v_cndmask_b32_e64 v37, v0, 0, s57
.LBB34_981:                             ;   in Loop: Header=BB34_3 Depth=1
	s_or_b32 exec_lo, exec_lo, s10
	s_delay_alu instid0(SALU_CYCLE_1)
	s_and_not1_b32 vcc_lo, exec_lo, s103
	s_cbranch_vccnz .LBB34_994
; %bb.982:                              ;   in Loop: Header=BB34_3 Depth=1
	s_and_saveexec_b32 s6, s5
; %bb.983:                              ;   in Loop: Header=BB34_3 Depth=1
	ds_store_b64 v5, v[36:37]
; %bb.984:                              ;   in Loop: Header=BB34_3 Depth=1
	s_or_b32 exec_lo, exec_lo, s6
	v_mov_b64_e32 v[34:35], 0
	s_wait_dscnt 0x0
	s_barrier_signal -1
	s_barrier_wait -1
	s_mov_b32 s6, exec_lo
	v_readlane_b32 s10, v83, 30
	s_and_b32 s10, s6, s10
	s_delay_alu instid0(SALU_CYCLE_1)
	s_mov_b32 exec_lo, s10
	s_cbranch_execz .LBB34_986
; %bb.985:                              ;   in Loop: Header=BB34_3 Depth=1
	ds_load_b64 v[34:35], v72
	ds_load_b64 v[38:39], v69
	s_wait_dscnt 0x0
	v_fma_f64 v[34:35], v[34:35], v[38:39], 0
.LBB34_986:                             ;   in Loop: Header=BB34_3 Depth=1
	s_or_b32 exec_lo, exec_lo, s6
	s_delay_alu instid0(SALU_CYCLE_1) | instskip(SKIP_2) | instid1(SALU_CYCLE_1)
	s_mov_b32 s6, exec_lo
	v_readlane_b32 s10, v83, 31
	s_and_b32 s10, s6, s10
	s_mov_b32 exec_lo, s10
	s_cbranch_execz .LBB34_988
; %bb.987:                              ;   in Loop: Header=BB34_3 Depth=1
	ds_load_b64 v[38:39], v72 offset:8192
	ds_load_b64 v[40:41], v69 offset:128
	s_wait_dscnt 0x0
	v_fmac_f64_e32 v[34:35], v[38:39], v[40:41]
.LBB34_988:                             ;   in Loop: Header=BB34_3 Depth=1
	s_or_b32 exec_lo, exec_lo, s6
	s_delay_alu instid0(SALU_CYCLE_1) | instskip(SKIP_2) | instid1(SALU_CYCLE_1)
	s_mov_b32 s6, exec_lo
	v_readlane_b32 s10, v82, 0
	s_and_b32 s10, s6, s10
	s_mov_b32 exec_lo, s10
	s_cbranch_execz .LBB34_990
; %bb.989:                              ;   in Loop: Header=BB34_3 Depth=1
	ds_load_b64 v[38:39], v72 offset:16384
	ds_load_b64 v[40:41], v69 offset:256
	s_wait_dscnt 0x0
	v_fmac_f64_e32 v[34:35], v[38:39], v[40:41]
.LBB34_990:                             ;   in Loop: Header=BB34_3 Depth=1
	;; [unrolled: 13-line block ×3, first 2 shown]
	s_or_b32 exec_lo, exec_lo, s6
	s_mov_b32 s10, 0
	s_mov_b32 s69, 0
	ds_store_b64 v70, v[34:35]
	s_wait_dscnt 0x0
	s_barrier_signal -1
	s_barrier_wait -1
                                        ; implicit-def: $vgpr38_vgpr39
	s_and_saveexec_b32 s94, s5
	s_cbranch_execz .LBB34_1030
; %bb.993:                              ;   in Loop: Header=BB34_3 Depth=1
	ds_load_2addr_stride64_b64 v[38:41], v71 offset0:1 offset1:2
	ds_load_2addr_stride64_b64 v[78:81], v71 offset0:3 offset1:4
	s_mov_b32 s69, exec_lo
	s_wait_dscnt 0x1
	v_add_f64_e32 v[34:35], v[34:35], v[38:39]
	s_delay_alu instid0(VALU_DEP_1) | instskip(SKIP_1) | instid1(VALU_DEP_1)
	v_add_f64_e32 v[34:35], v[40:41], v[34:35]
	s_wait_dscnt 0x0
	v_add_f64_e32 v[34:35], v[78:79], v[34:35]
	s_delay_alu instid0(VALU_DEP_1) | instskip(SKIP_4) | instid1(VALU_DEP_1)
	v_add_f64_e32 v[34:35], v[80:81], v[34:35]
	ds_load_2addr_stride64_b64 v[38:41], v71 offset0:5 offset1:6
	ds_load_2addr_stride64_b64 v[78:81], v71 offset0:7 offset1:8
	s_wait_dscnt 0x1
	v_add_f64_e32 v[34:35], v[38:39], v[34:35]
	v_add_f64_e32 v[34:35], v[40:41], v[34:35]
	s_wait_dscnt 0x0
	s_delay_alu instid0(VALU_DEP_1) | instskip(NEXT) | instid1(VALU_DEP_1)
	v_add_f64_e32 v[34:35], v[78:79], v[34:35]
	v_add_f64_e32 v[34:35], v[80:81], v[34:35]
	ds_load_2addr_stride64_b64 v[38:41], v71 offset0:9 offset1:10
	ds_load_2addr_stride64_b64 v[78:81], v71 offset0:11 offset1:12
	s_wait_dscnt 0x1
	v_add_f64_e32 v[34:35], v[38:39], v[34:35]
	s_delay_alu instid0(VALU_DEP_1) | instskip(SKIP_1) | instid1(VALU_DEP_1)
	v_add_f64_e32 v[34:35], v[40:41], v[34:35]
	s_wait_dscnt 0x0
	v_add_f64_e32 v[34:35], v[78:79], v[34:35]
	ds_load_2addr_stride64_b64 v[38:41], v71 offset0:13 offset1:14
	ds_load_b64 v[78:79], v71 offset:7680
	v_add_f64_e32 v[34:35], v[80:81], v[34:35]
	s_wait_dscnt 0x1
	s_delay_alu instid0(VALU_DEP_1) | instskip(NEXT) | instid1(VALU_DEP_1)
	v_add_f64_e32 v[34:35], v[38:39], v[34:35]
	v_add_f64_e32 v[34:35], v[40:41], v[34:35]
	s_wait_dscnt 0x0
	s_delay_alu instid0(VALU_DEP_1) | instskip(SKIP_1) | instid1(SALU_CYCLE_1)
	v_add_f64_e32 v[38:39], v[78:79], v[34:35]
	s_or_b32 exec_lo, exec_lo, s94
	s_and_b32 vcc_lo, exec_lo, s10
	s_cbranch_vccnz .LBB34_995
	s_branch .LBB34_1031
.LBB34_994:                             ;   in Loop: Header=BB34_3 Depth=1
	s_mov_b32 s69, 0
                                        ; implicit-def: $vgpr38_vgpr39
	s_cbranch_execz .LBB34_1031
.LBB34_995:                             ;   in Loop: Header=BB34_3 Depth=1
	v_dual_mov_b32 v0, v2 :: v_dual_mov_b32 v34, v46
	s_mov_b32 s10, 0
	s_branch .LBB34_997
.LBB34_996:                             ;   in Loop: Header=BB34_997 Depth=2
	s_or_b32 exec_lo, exec_lo, s6
	v_add_nc_u32_e32 v34, 0x800, v34
	v_add_nc_u32_e32 v0, -4, v0
	s_add_co_i32 s10, s10, 4
	s_delay_alu instid0(SALU_CYCLE_1)
	s_cmp_lg_u32 s10, 64
	s_barrier_signal -1
	s_barrier_wait -1
	s_cbranch_scc0 .LBB34_1013
.LBB34_997:                             ;   Parent Loop BB34_3 Depth=1
                                        ; =>  This Inner Loop Header: Depth=2
	s_delay_alu instid0(VALU_DEP_1) | instskip(SKIP_1) | instid1(SALU_CYCLE_1)
	v_cmp_eq_u32_e32 vcc_lo, 0, v0
	s_and_b32 s11, s5, vcc_lo
	s_and_saveexec_b32 s6, s11
	s_cbranch_execz .LBB34_999
; %bb.998:                              ;   in Loop: Header=BB34_997 Depth=2
	ds_load_b64 v[38:39], v73
	s_wait_dscnt 0x0
	v_mul_f64_e32 v[36:37], v[36:37], v[38:39]
	ds_store_b64 v1, v[36:37] offset:41472
.LBB34_999:                             ;   in Loop: Header=BB34_997 Depth=2
	s_or_b32 exec_lo, exec_lo, s6
	v_cmp_lt_u32_e32 vcc_lo, s10, v2
	s_wait_dscnt 0x0
	s_barrier_signal -1
	s_barrier_wait -1
	s_and_b32 s11, s5, vcc_lo
	s_delay_alu instid0(SALU_CYCLE_1)
	s_and_saveexec_b32 s6, s11
	s_cbranch_execz .LBB34_1001
; %bb.1000:                             ;   in Loop: Header=BB34_997 Depth=2
	ds_load_b64 v[38:39], v34
	ds_load_b64 v[40:41], v1 offset:41472
	s_wait_dscnt 0x0
	v_fmac_f64_e32 v[36:37], v[38:39], v[40:41]
.LBB34_1001:                            ;   in Loop: Header=BB34_997 Depth=2
	s_or_b32 exec_lo, exec_lo, s6
	s_or_b32 s11, s10, 1
	s_delay_alu instid0(SALU_CYCLE_1) | instskip(SKIP_3) | instid1(SALU_CYCLE_1)
	v_cmp_eq_u32_e32 vcc_lo, s11, v2
	s_barrier_signal -1
	s_barrier_wait -1
	s_and_b32 s94, s5, vcc_lo
	s_and_saveexec_b32 s6, s94
	s_cbranch_execz .LBB34_1003
; %bb.1002:                             ;   in Loop: Header=BB34_997 Depth=2
	ds_load_b64 v[38:39], v73
	s_wait_dscnt 0x0
	v_mul_f64_e32 v[36:37], v[36:37], v[38:39]
	ds_store_b64 v1, v[36:37] offset:41472
.LBB34_1003:                            ;   in Loop: Header=BB34_997 Depth=2
	s_or_b32 exec_lo, exec_lo, s6
	v_cmp_lt_u32_e32 vcc_lo, s11, v2
	s_wait_dscnt 0x0
	s_barrier_signal -1
	s_barrier_wait -1
	s_and_b32 s11, s5, vcc_lo
	s_delay_alu instid0(SALU_CYCLE_1)
	s_and_saveexec_b32 s6, s11
	s_cbranch_execz .LBB34_1005
; %bb.1004:                             ;   in Loop: Header=BB34_997 Depth=2
	ds_load_b64 v[38:39], v34 offset:512
	ds_load_b64 v[40:41], v1 offset:41472
	s_wait_dscnt 0x0
	v_fmac_f64_e32 v[36:37], v[38:39], v[40:41]
.LBB34_1005:                            ;   in Loop: Header=BB34_997 Depth=2
	s_or_b32 exec_lo, exec_lo, s6
	s_or_b32 s11, s10, 2
	s_delay_alu instid0(SALU_CYCLE_1) | instskip(SKIP_3) | instid1(SALU_CYCLE_1)
	v_cmp_eq_u32_e32 vcc_lo, s11, v2
	s_barrier_signal -1
	s_barrier_wait -1
	s_and_b32 s94, s5, vcc_lo
	s_and_saveexec_b32 s6, s94
	s_cbranch_execz .LBB34_1007
; %bb.1006:                             ;   in Loop: Header=BB34_997 Depth=2
	ds_load_b64 v[38:39], v73
	s_wait_dscnt 0x0
	v_mul_f64_e32 v[36:37], v[36:37], v[38:39]
	ds_store_b64 v1, v[36:37] offset:41472
.LBB34_1007:                            ;   in Loop: Header=BB34_997 Depth=2
	s_or_b32 exec_lo, exec_lo, s6
	v_cmp_lt_u32_e32 vcc_lo, s11, v2
	s_wait_dscnt 0x0
	s_barrier_signal -1
	s_barrier_wait -1
	s_and_b32 s11, s5, vcc_lo
	s_delay_alu instid0(SALU_CYCLE_1)
	s_and_saveexec_b32 s6, s11
	s_cbranch_execz .LBB34_1009
; %bb.1008:                             ;   in Loop: Header=BB34_997 Depth=2
	ds_load_b64 v[38:39], v34 offset:1024
	ds_load_b64 v[40:41], v1 offset:41472
	s_wait_dscnt 0x0
	v_fmac_f64_e32 v[36:37], v[38:39], v[40:41]
.LBB34_1009:                            ;   in Loop: Header=BB34_997 Depth=2
	s_or_b32 exec_lo, exec_lo, s6
	s_or_b32 s11, s10, 3
	s_delay_alu instid0(SALU_CYCLE_1) | instskip(SKIP_3) | instid1(SALU_CYCLE_1)
	v_cmp_eq_u32_e32 vcc_lo, s11, v2
	s_barrier_signal -1
	s_barrier_wait -1
	s_and_b32 s94, s5, vcc_lo
	s_and_saveexec_b32 s6, s94
	s_cbranch_execz .LBB34_1011
; %bb.1010:                             ;   in Loop: Header=BB34_997 Depth=2
	ds_load_b64 v[38:39], v73
	s_wait_dscnt 0x0
	v_mul_f64_e32 v[36:37], v[36:37], v[38:39]
	ds_store_b64 v1, v[36:37] offset:41472
.LBB34_1011:                            ;   in Loop: Header=BB34_997 Depth=2
	s_or_b32 exec_lo, exec_lo, s6
	v_cmp_lt_u32_e32 vcc_lo, s11, v2
	s_wait_dscnt 0x0
	s_barrier_signal -1
	s_barrier_wait -1
	s_and_b32 s11, s5, vcc_lo
	s_delay_alu instid0(SALU_CYCLE_1)
	s_and_saveexec_b32 s6, s11
	s_cbranch_execz .LBB34_996
; %bb.1012:                             ;   in Loop: Header=BB34_997 Depth=2
	ds_load_b64 v[38:39], v34 offset:1536
	ds_load_b64 v[40:41], v1 offset:41472
	s_wait_dscnt 0x0
	v_fmac_f64_e32 v[36:37], v[38:39], v[40:41]
	s_branch .LBB34_996
.LBB34_1013:                            ;   in Loop: Header=BB34_3 Depth=1
	s_and_b32 vcc_lo, exec_lo, s102
	s_mov_b32 s10, -1
	s_cbranch_vccz .LBB34_1015
; %bb.1014:                             ;   in Loop: Header=BB34_3 Depth=1
	s_and_not1_b32 s6, s69, exec_lo
	s_and_b32 s11, s5, exec_lo
	s_mov_b32 s10, 0
	s_or_b32 s69, s6, s11
.LBB34_1015:                            ;   in Loop: Header=BB34_3 Depth=1
	s_and_not1_b32 vcc_lo, exec_lo, s10
	s_cbranch_vccnz .LBB34_1017
; %bb.1016:                             ;   in Loop: Header=BB34_3 Depth=1
	v_readlane_b32 s10, v84, 9
	s_and_not1_b32 s6, s69, exec_lo
	s_and_b32 s10, s10, exec_lo
	s_delay_alu instid0(SALU_CYCLE_1)
	s_or_b32 s69, s6, s10
.LBB34_1017:                            ;   in Loop: Header=BB34_3 Depth=1
	v_mov_b64_e32 v[34:35], v[10:11]
	s_and_saveexec_b32 s6, s69
	s_cbranch_execnz .LBB34_1032
	s_branch .LBB34_1033
.LBB34_1018:                            ;   in Loop: Header=BB34_3 Depth=1
	s_mov_b32 s6, exec_lo
	v_readlane_b32 s11, v84, 22
	s_and_b32 s11, s6, s11
	s_delay_alu instid0(SALU_CYCLE_1)
	s_xor_b32 s6, s11, s6
	s_mov_b32 exec_lo, s11
	s_cbranch_execz .LBB34_1020
; %bb.1019:                             ;   in Loop: Header=BB34_3 Depth=1
	v_readlane_b32 s11, v82, 2
	s_and_b32 s69, s11, exec_lo
.LBB34_1020:                            ;   in Loop: Header=BB34_3 Depth=1
	s_or_saveexec_b32 s96, s6
	v_mov_b64_e32 v[36:37], 0
	s_xor_b32 exec_lo, exec_lo, s96
	s_cbranch_execz .LBB34_1022
; %bb.1021:                             ;   in Loop: Header=BB34_3 Depth=1
	v_lshl_add_u64 v[36:37], v[12:13], 3, s[94:95]
	s_or_b32 s69, s69, exec_lo
	global_load_b64 v[36:37], v[36:37], off
	s_wait_loadcnt 0x0
	v_div_scale_f64 v[38:39], null, v[36:37], v[36:37], 1.0
	s_delay_alu instid0(VALU_DEP_1) | instskip(SKIP_1) | instid1(TRANS32_DEP_1)
	v_rcp_f64_e32 v[40:41], v[38:39]
	v_nop
	v_fma_f64 v[78:79], -v[38:39], v[40:41], 1.0
	s_delay_alu instid0(VALU_DEP_1) | instskip(NEXT) | instid1(VALU_DEP_1)
	v_fmac_f64_e32 v[40:41], v[40:41], v[78:79]
	v_fma_f64 v[78:79], -v[38:39], v[40:41], 1.0
	s_delay_alu instid0(VALU_DEP_1) | instskip(SKIP_1) | instid1(VALU_DEP_1)
	v_fmac_f64_e32 v[40:41], v[40:41], v[78:79]
	v_div_scale_f64 v[78:79], vcc_lo, 1.0, v[36:37], 1.0
	v_mul_f64_e32 v[80:81], v[78:79], v[40:41]
	s_delay_alu instid0(VALU_DEP_1) | instskip(NEXT) | instid1(VALU_DEP_1)
	v_fma_f64 v[38:39], -v[38:39], v[80:81], v[78:79]
	v_div_fmas_f64 v[38:39], v[38:39], v[40:41], v[80:81]
	s_delay_alu instid0(VALU_DEP_1)
	v_div_fixup_f64 v[36:37], v[38:39], v[36:37], 1.0
.LBB34_1022:                            ;   in Loop: Header=BB34_3 Depth=1
	s_or_b32 exec_lo, exec_lo, s96
	s_delay_alu instid0(SALU_CYCLE_1)
	s_and_b32 s69, s69, exec_lo
	s_and_not1_saveexec_b32 s10, s10
	s_cbranch_execz .LBB34_17
.LBB34_1023:                            ;   in Loop: Header=BB34_3 Depth=1
	v_lshl_add_u64 v[36:37], v[12:13], 3, s[94:95]
	s_or_b32 s69, s69, exec_lo
	global_load_b64 v[36:37], v[36:37], off
	s_wait_loadcnt 0x0
	v_xor_b32_e32 v37, 0x80000000, v37
	s_or_b32 exec_lo, exec_lo, s10
	s_and_saveexec_b32 s6, s69
	s_cbranch_execnz .LBB34_18
	s_branch .LBB34_19
.LBB34_1024:                            ;   in Loop: Header=BB34_3 Depth=1
	s_mov_b32 s6, exec_lo
	v_readlane_b32 s11, v84, 23
	s_and_b32 s11, s6, s11
	s_delay_alu instid0(SALU_CYCLE_1)
	s_xor_b32 s6, s11, s6
	s_mov_b32 exec_lo, s11
	s_cbranch_execz .LBB34_1026
; %bb.1025:                             ;   in Loop: Header=BB34_3 Depth=1
	v_readlane_b32 s11, v82, 2
	s_and_b32 s69, s11, exec_lo
.LBB34_1026:                            ;   in Loop: Header=BB34_3 Depth=1
	s_or_saveexec_b32 s96, s6
	v_mov_b64_e32 v[36:37], 0
	s_xor_b32 exec_lo, exec_lo, s96
	s_cbranch_execz .LBB34_1028
; %bb.1027:                             ;   in Loop: Header=BB34_3 Depth=1
	v_lshl_add_u64 v[36:37], v[12:13], 3, s[94:95]
	s_or_b32 s69, s69, exec_lo
	global_load_b64 v[36:37], v[36:37], off
	s_wait_loadcnt 0x0
	v_div_scale_f64 v[38:39], null, v[36:37], v[36:37], 1.0
	s_delay_alu instid0(VALU_DEP_1) | instskip(SKIP_1) | instid1(TRANS32_DEP_1)
	v_rcp_f64_e32 v[40:41], v[38:39]
	v_nop
	v_fma_f64 v[78:79], -v[38:39], v[40:41], 1.0
	s_delay_alu instid0(VALU_DEP_1) | instskip(NEXT) | instid1(VALU_DEP_1)
	v_fmac_f64_e32 v[40:41], v[40:41], v[78:79]
	v_fma_f64 v[78:79], -v[38:39], v[40:41], 1.0
	s_delay_alu instid0(VALU_DEP_1) | instskip(SKIP_1) | instid1(VALU_DEP_1)
	v_fmac_f64_e32 v[40:41], v[40:41], v[78:79]
	v_div_scale_f64 v[78:79], vcc_lo, 1.0, v[36:37], 1.0
	v_mul_f64_e32 v[80:81], v[78:79], v[40:41]
	s_delay_alu instid0(VALU_DEP_1) | instskip(NEXT) | instid1(VALU_DEP_1)
	v_fma_f64 v[38:39], -v[38:39], v[80:81], v[78:79]
	v_div_fmas_f64 v[38:39], v[38:39], v[40:41], v[80:81]
	s_delay_alu instid0(VALU_DEP_1)
	v_div_fixup_f64 v[36:37], v[38:39], v[36:37], 1.0
.LBB34_1028:                            ;   in Loop: Header=BB34_3 Depth=1
	s_or_b32 exec_lo, exec_lo, s96
	s_delay_alu instid0(SALU_CYCLE_1)
	s_and_b32 s69, s69, exec_lo
	s_and_not1_saveexec_b32 s10, s10
	s_cbranch_execz .LBB34_52
.LBB34_1029:                            ;   in Loop: Header=BB34_3 Depth=1
	v_lshl_add_u64 v[36:37], v[12:13], 3, s[94:95]
	s_or_b32 s69, s69, exec_lo
	global_load_b64 v[36:37], v[36:37], off
	s_wait_loadcnt 0x0
	v_xor_b32_e32 v37, 0x80000000, v37
	s_or_b32 exec_lo, exec_lo, s10
	s_and_saveexec_b32 s6, s69
	s_cbranch_execnz .LBB34_53
	s_branch .LBB34_54
.LBB34_1030:                            ;   in Loop: Header=BB34_3 Depth=1
	s_or_b32 exec_lo, exec_lo, s94
	s_delay_alu instid0(SALU_CYCLE_1)
	s_and_b32 vcc_lo, exec_lo, s10
	s_cbranch_vccnz .LBB34_995
.LBB34_1031:                            ;   in Loop: Header=BB34_3 Depth=1
	s_delay_alu instid0(VALU_DEP_1)
	v_mov_b64_e32 v[36:37], v[38:39]
	v_mov_b64_e32 v[34:35], v[22:23]
	s_and_saveexec_b32 s6, s69
	s_cbranch_execz .LBB34_1033
.LBB34_1032:                            ;   in Loop: Header=BB34_3 Depth=1
	s_delay_alu instid0(VALU_DEP_1)
	v_lshl_add_u64 v[34:35], v[34:35], 3, s[96:97]
	global_store_b64 v[34:35], v[36:37], off
.LBB34_1033:                            ;   in Loop: Header=BB34_3 Depth=1
	s_wait_xcnt 0x0
	s_or_b32 exec_lo, exec_lo, s6
	global_wb scope:SCOPE_DEV
	s_wait_storecnt 0x0
	global_inv scope:SCOPE_DEV
	s_wait_loadcnt 0x0
	s_barrier_signal -1
	s_barrier_wait -1
	s_and_saveexec_b32 s6, s59
	s_cbranch_execz .LBB34_2
; %bb.1034:                             ;   in Loop: Header=BB34_3 Depth=1
	s_lshl_b64 s[10:11], s[88:89], 2
	s_delay_alu instid0(SALU_CYCLE_1)
	s_add_nc_u64 s[10:11], s[86:87], s[10:11]
	global_load_b32 v0, v1, s[10:11]
	s_wait_loadcnt 0x0
	v_add_nc_u32_e32 v0, 1, v0
	global_store_b32 v1, v0, s[10:11]
	s_branch .LBB34_2
.LBB34_1035:                            ;   in Loop: Header=BB34_3 Depth=1
	ds_load_b64 v[38:39], v51 offset:544
	ds_load_b64 v[40:41], v47 offset:8
	s_wait_dscnt 0x0
	v_fmac_f64_e32 v[36:37], v[38:39], v[40:41]
	s_or_b32 exec_lo, exec_lo, s6
	s_and_saveexec_b32 s6, s17
	s_cbranch_execz .LBB34_105
.LBB34_1036:                            ;   in Loop: Header=BB34_3 Depth=1
	ds_load_b64 v[38:39], v50 offset:1056
	ds_load_b64 v[40:41], v47 offset:16
	s_wait_dscnt 0x0
	v_fmac_f64_e32 v[36:37], v[38:39], v[40:41]
	s_or_b32 exec_lo, exec_lo, s6
	s_and_saveexec_b32 s6, s1
	s_cbranch_execnz .LBB34_106
	s_branch .LBB34_107
.LBB34_1037:                            ;   in Loop: Header=BB34_3 Depth=1
	ds_load_b64 v[38:39], v56 offset:576
	ds_load_b64 v[40:41], v52 offset:8
	s_wait_dscnt 0x0
	v_fmac_f64_e32 v[36:37], v[38:39], v[40:41]
	s_or_b32 exec_lo, exec_lo, s6
	s_and_saveexec_b32 s6, s19
	s_cbranch_execz .LBB34_143
.LBB34_1038:                            ;   in Loop: Header=BB34_3 Depth=1
	ds_load_b64 v[38:39], v56 offset:1088
	ds_load_b64 v[40:41], v52 offset:16
	s_wait_dscnt 0x0
	v_fmac_f64_e32 v[36:37], v[38:39], v[40:41]
	s_or_b32 exec_lo, exec_lo, s6
	s_and_saveexec_b32 s6, s20
	s_cbranch_execz .LBB34_144
.LBB34_1039:                            ;   in Loop: Header=BB34_3 Depth=1
	ds_load_b64 v[38:39], v56 offset:1600
	ds_load_b64 v[40:41], v52 offset:24
	s_wait_dscnt 0x0
	v_fmac_f64_e32 v[36:37], v[38:39], v[40:41]
	s_or_b32 exec_lo, exec_lo, s6
	s_and_saveexec_b32 s6, s21
	s_cbranch_execz .LBB34_145
.LBB34_1040:                            ;   in Loop: Header=BB34_3 Depth=1
	ds_load_b64 v[38:39], v55 offset:2112
	ds_load_b64 v[40:41], v52 offset:32
	s_wait_dscnt 0x0
	v_fmac_f64_e32 v[36:37], v[38:39], v[40:41]
	s_or_b32 exec_lo, exec_lo, s6
	s_and_saveexec_b32 s6, s22
	s_cbranch_execz .LBB34_146
.LBB34_1041:                            ;   in Loop: Header=BB34_3 Depth=1
	ds_load_b64 v[38:39], v56 offset:2624
	ds_load_b64 v[40:41], v52 offset:40
	s_wait_dscnt 0x0
	v_fmac_f64_e32 v[36:37], v[38:39], v[40:41]
	s_or_b32 exec_lo, exec_lo, s6
	s_and_saveexec_b32 s6, s2
	s_cbranch_execz .LBB34_147
.LBB34_1042:                            ;   in Loop: Header=BB34_3 Depth=1
	ds_load_b64 v[38:39], v55 offset:3136
	ds_load_b64 v[40:41], v52 offset:48
	s_wait_dscnt 0x0
	v_fmac_f64_e32 v[36:37], v[38:39], v[40:41]
	s_or_b32 exec_lo, exec_lo, s6
	s_and_saveexec_b32 s6, s17
	s_cbranch_execnz .LBB34_148
	s_branch .LBB34_149
.LBB34_1043:                            ;   in Loop: Header=BB34_3 Depth=1
	ds_load_b64 v[38:39], v51 offset:4704
	ds_load_b64 v[40:41], v47 offset:4168
	s_wait_dscnt 0x0
	v_fmac_f64_e32 v[36:37], v[38:39], v[40:41]
	s_or_b32 exec_lo, exec_lo, s6
	s_and_saveexec_b32 s6, s17
	s_cbranch_execz .LBB34_201
.LBB34_1044:                            ;   in Loop: Header=BB34_3 Depth=1
	ds_load_b64 v[38:39], v50 offset:5216
	ds_load_b64 v[40:41], v47 offset:4176
	s_wait_dscnt 0x0
	v_fmac_f64_e32 v[36:37], v[38:39], v[40:41]
	s_or_b32 exec_lo, exec_lo, s6
	s_and_saveexec_b32 s6, s1
	s_cbranch_execnz .LBB34_202
	s_branch .LBB34_203
.LBB34_1045:                            ;   in Loop: Header=BB34_3 Depth=1
	ds_load_b64 v[38:39], v61 offset:5760
	ds_load_b64 v[40:41], v57 offset:88
	s_wait_dscnt 0x0
	v_fmac_f64_e32 v[36:37], v[38:39], v[40:41]
	s_or_b32 exec_lo, exec_lo, s6
	s_and_saveexec_b32 s6, s3
	s_cbranch_execz .LBB34_259
.LBB34_1046:                            ;   in Loop: Header=BB34_3 Depth=1
	ds_load_b64 v[38:39], v60 offset:6272
	ds_load_b64 v[40:41], v57 offset:96
	s_wait_dscnt 0x0
	v_fmac_f64_e32 v[36:37], v[38:39], v[40:41]
	s_or_b32 exec_lo, exec_lo, s6
	s_and_saveexec_b32 s6, s19
	s_cbranch_execz .LBB34_260
.LBB34_1047:                            ;   in Loop: Header=BB34_3 Depth=1
	ds_load_b64 v[38:39], v61 offset:6784
	ds_load_b64 v[40:41], v57 offset:104
	s_wait_dscnt 0x0
	v_fmac_f64_e32 v[36:37], v[38:39], v[40:41]
	s_or_b32 exec_lo, exec_lo, s6
	s_and_saveexec_b32 s6, s21
	s_cbranch_execz .LBB34_261
.LBB34_1048:                            ;   in Loop: Header=BB34_3 Depth=1
	ds_load_b64 v[38:39], v60 offset:7296
	ds_load_b64 v[40:41], v57 offset:112
	s_wait_dscnt 0x0
	v_fmac_f64_e32 v[36:37], v[38:39], v[40:41]
	s_or_b32 exec_lo, exec_lo, s6
	s_and_saveexec_b32 s6, s2
	s_cbranch_execnz .LBB34_262
	s_branch .LBB34_263
.LBB34_1049:                            ;   in Loop: Header=BB34_3 Depth=1
	ds_load_b64 v[38:39], v51 offset:8864
	ds_load_b64 v[40:41], v47 offset:8328
	s_wait_dscnt 0x0
	v_fmac_f64_e32 v[36:37], v[38:39], v[40:41]
	s_or_b32 exec_lo, exec_lo, s6
	s_and_saveexec_b32 s6, s17
	s_cbranch_execz .LBB34_347
.LBB34_1050:                            ;   in Loop: Header=BB34_3 Depth=1
	ds_load_b64 v[38:39], v50 offset:9376
	ds_load_b64 v[40:41], v47 offset:8336
	s_wait_dscnt 0x0
	v_fmac_f64_e32 v[36:37], v[38:39], v[40:41]
	s_or_b32 exec_lo, exec_lo, s6
	s_and_saveexec_b32 s6, s1
	s_cbranch_execnz .LBB34_348
	s_branch .LBB34_349
.LBB34_1051:                            ;   in Loop: Header=BB34_3 Depth=1
	ds_load_b64 v[38:39], v56 offset:8896
	ds_load_b64 v[40:41], v52 offset:8328
	s_wait_dscnt 0x0
	v_fmac_f64_e32 v[36:37], v[38:39], v[40:41]
	s_or_b32 exec_lo, exec_lo, s6
	s_and_saveexec_b32 s6, s19
	s_cbranch_execz .LBB34_385
.LBB34_1052:                            ;   in Loop: Header=BB34_3 Depth=1
	ds_load_b64 v[38:39], v56 offset:9408
	ds_load_b64 v[40:41], v52 offset:8336
	s_wait_dscnt 0x0
	v_fmac_f64_e32 v[36:37], v[38:39], v[40:41]
	s_or_b32 exec_lo, exec_lo, s6
	s_and_saveexec_b32 s6, s20
	s_cbranch_execz .LBB34_386
.LBB34_1053:                            ;   in Loop: Header=BB34_3 Depth=1
	ds_load_b64 v[38:39], v56 offset:9920
	ds_load_b64 v[40:41], v52 offset:8344
	s_wait_dscnt 0x0
	v_fmac_f64_e32 v[36:37], v[38:39], v[40:41]
	s_or_b32 exec_lo, exec_lo, s6
	s_and_saveexec_b32 s6, s21
	s_cbranch_execz .LBB34_387
.LBB34_1054:                            ;   in Loop: Header=BB34_3 Depth=1
	ds_load_b64 v[38:39], v55 offset:10432
	ds_load_b64 v[40:41], v52 offset:8352
	s_wait_dscnt 0x0
	v_fmac_f64_e32 v[36:37], v[38:39], v[40:41]
	s_or_b32 exec_lo, exec_lo, s6
	s_and_saveexec_b32 s6, s22
	s_cbranch_execz .LBB34_388
.LBB34_1055:                            ;   in Loop: Header=BB34_3 Depth=1
	ds_load_b64 v[38:39], v56 offset:10944
	ds_load_b64 v[40:41], v52 offset:8360
	s_wait_dscnt 0x0
	v_fmac_f64_e32 v[36:37], v[38:39], v[40:41]
	s_or_b32 exec_lo, exec_lo, s6
	s_and_saveexec_b32 s6, s2
	s_cbranch_execz .LBB34_389
.LBB34_1056:                            ;   in Loop: Header=BB34_3 Depth=1
	ds_load_b64 v[38:39], v55 offset:11456
	ds_load_b64 v[40:41], v52 offset:8368
	s_wait_dscnt 0x0
	v_fmac_f64_e32 v[36:37], v[38:39], v[40:41]
	s_or_b32 exec_lo, exec_lo, s6
	s_and_saveexec_b32 s6, s17
	s_cbranch_execnz .LBB34_390
	s_branch .LBB34_391
.LBB34_1057:                            ;   in Loop: Header=BB34_3 Depth=1
	ds_load_b64 v[38:39], v51 offset:13024
	ds_load_b64 v[40:41], v47 offset:12488
	s_wait_dscnt 0x0
	v_fmac_f64_e32 v[36:37], v[38:39], v[40:41]
	s_or_b32 exec_lo, exec_lo, s6
	s_and_saveexec_b32 s6, s17
	s_cbranch_execz .LBB34_443
.LBB34_1058:                            ;   in Loop: Header=BB34_3 Depth=1
	ds_load_b64 v[38:39], v50 offset:13536
	ds_load_b64 v[40:41], v47 offset:12496
	s_wait_dscnt 0x0
	v_fmac_f64_e32 v[36:37], v[38:39], v[40:41]
	s_or_b32 exec_lo, exec_lo, s6
	s_and_saveexec_b32 s6, s1
	s_cbranch_execnz .LBB34_444
	s_branch .LBB34_445
.LBB34_1059:                            ;   in Loop: Header=BB34_3 Depth=1
	ds_load_b64 v[38:39], v66 offset:14080
	ds_load_b64 v[40:41], v0 offset:216
	s_wait_dscnt 0x0
	v_fmac_f64_e32 v[36:37], v[38:39], v[40:41]
	s_or_b32 exec_lo, exec_lo, s6
	s_and_saveexec_b32 s6, s7
	s_cbranch_execz .LBB34_533
.LBB34_1060:                            ;   in Loop: Header=BB34_3 Depth=1
	ds_load_b64 v[38:39], v66 offset:14592
	ds_load_b64 v[40:41], v0 offset:224
	s_wait_dscnt 0x0
	v_fmac_f64_e32 v[36:37], v[38:39], v[40:41]
	s_or_b32 exec_lo, exec_lo, s6
	s_and_saveexec_b32 s6, s8
	s_cbranch_execz .LBB34_534
.LBB34_1061:                            ;   in Loop: Header=BB34_3 Depth=1
	ds_load_b64 v[38:39], v66 offset:15104
	ds_load_b64 v[40:41], v0 offset:232
	s_wait_dscnt 0x0
	v_fmac_f64_e32 v[36:37], v[38:39], v[40:41]
	s_or_b32 exec_lo, exec_lo, s6
	s_and_saveexec_b32 s6, s3
	s_cbranch_execz .LBB34_535
.LBB34_1062:                            ;   in Loop: Header=BB34_3 Depth=1
	ds_load_b64 v[38:39], v66 offset:15616
	ds_load_b64 v[40:41], v0 offset:240
	s_wait_dscnt 0x0
	v_fmac_f64_e32 v[36:37], v[38:39], v[40:41]
	s_or_b32 exec_lo, exec_lo, s6
	s_and_saveexec_b32 s6, s21
	s_cbranch_execnz .LBB34_536
	s_branch .LBB34_537
.LBB34_1063:                            ;   in Loop: Header=BB34_3 Depth=1
	ds_load_b64 v[38:39], v51 offset:17184
	ds_load_b64 v[40:41], v47 offset:16648
	s_wait_dscnt 0x0
	v_fmac_f64_e32 v[36:37], v[38:39], v[40:41]
	s_or_b32 exec_lo, exec_lo, s6
	s_and_saveexec_b32 s6, s17
	s_cbranch_execz .LBB34_577
.LBB34_1064:                            ;   in Loop: Header=BB34_3 Depth=1
	ds_load_b64 v[38:39], v50 offset:17696
	ds_load_b64 v[40:41], v47 offset:16656
	s_wait_dscnt 0x0
	v_fmac_f64_e32 v[36:37], v[38:39], v[40:41]
	s_or_b32 exec_lo, exec_lo, s6
	s_and_saveexec_b32 s6, s1
	s_cbranch_execnz .LBB34_578
	s_branch .LBB34_579
.LBB34_1065:                            ;   in Loop: Header=BB34_3 Depth=1
	ds_load_b64 v[38:39], v56 offset:17216
	ds_load_b64 v[40:41], v52 offset:16648
	s_wait_dscnt 0x0
	v_fmac_f64_e32 v[36:37], v[38:39], v[40:41]
	s_or_b32 exec_lo, exec_lo, s6
	s_and_saveexec_b32 s6, s19
	s_cbranch_execz .LBB34_615
.LBB34_1066:                            ;   in Loop: Header=BB34_3 Depth=1
	ds_load_b64 v[38:39], v56 offset:17728
	ds_load_b64 v[40:41], v52 offset:16656
	s_wait_dscnt 0x0
	v_fmac_f64_e32 v[36:37], v[38:39], v[40:41]
	s_or_b32 exec_lo, exec_lo, s6
	s_and_saveexec_b32 s6, s20
	s_cbranch_execz .LBB34_616
.LBB34_1067:                            ;   in Loop: Header=BB34_3 Depth=1
	ds_load_b64 v[38:39], v56 offset:18240
	ds_load_b64 v[40:41], v52 offset:16664
	s_wait_dscnt 0x0
	v_fmac_f64_e32 v[36:37], v[38:39], v[40:41]
	s_or_b32 exec_lo, exec_lo, s6
	s_and_saveexec_b32 s6, s21
	s_cbranch_execz .LBB34_617
.LBB34_1068:                            ;   in Loop: Header=BB34_3 Depth=1
	ds_load_b64 v[38:39], v55 offset:18752
	ds_load_b64 v[40:41], v52 offset:16672
	s_wait_dscnt 0x0
	v_fmac_f64_e32 v[36:37], v[38:39], v[40:41]
	s_or_b32 exec_lo, exec_lo, s6
	s_and_saveexec_b32 s6, s22
	s_cbranch_execz .LBB34_618
.LBB34_1069:                            ;   in Loop: Header=BB34_3 Depth=1
	ds_load_b64 v[38:39], v56 offset:19264
	ds_load_b64 v[40:41], v52 offset:16680
	s_wait_dscnt 0x0
	v_fmac_f64_e32 v[36:37], v[38:39], v[40:41]
	s_or_b32 exec_lo, exec_lo, s6
	s_and_saveexec_b32 s6, s2
	s_cbranch_execz .LBB34_619
.LBB34_1070:                            ;   in Loop: Header=BB34_3 Depth=1
	ds_load_b64 v[38:39], v55 offset:19776
	ds_load_b64 v[40:41], v52 offset:16688
	s_wait_dscnt 0x0
	v_fmac_f64_e32 v[36:37], v[38:39], v[40:41]
	s_or_b32 exec_lo, exec_lo, s6
	s_and_saveexec_b32 s6, s17
	s_cbranch_execnz .LBB34_620
	s_branch .LBB34_621
.LBB34_1071:                            ;   in Loop: Header=BB34_3 Depth=1
	ds_load_b64 v[38:39], v51 offset:21344
	ds_load_b64 v[40:41], v47 offset:20808
	s_wait_dscnt 0x0
	v_fmac_f64_e32 v[36:37], v[38:39], v[40:41]
	s_or_b32 exec_lo, exec_lo, s6
	s_and_saveexec_b32 s6, s17
	s_cbranch_execz .LBB34_673
.LBB34_1072:                            ;   in Loop: Header=BB34_3 Depth=1
	ds_load_b64 v[38:39], v50 offset:21856
	ds_load_b64 v[40:41], v47 offset:20816
	s_wait_dscnt 0x0
	v_fmac_f64_e32 v[36:37], v[38:39], v[40:41]
	s_or_b32 exec_lo, exec_lo, s6
	s_and_saveexec_b32 s6, s1
	s_cbranch_execnz .LBB34_674
	s_branch .LBB34_675
.LBB34_1073:                            ;   in Loop: Header=BB34_3 Depth=1
	ds_load_b64 v[38:39], v61 offset:22400
	ds_load_b64 v[40:41], v57 offset:16728
	s_wait_dscnt 0x0
	v_fmac_f64_e32 v[36:37], v[38:39], v[40:41]
	s_or_b32 exec_lo, exec_lo, s6
	s_and_saveexec_b32 s6, s3
	s_cbranch_execz .LBB34_731
.LBB34_1074:                            ;   in Loop: Header=BB34_3 Depth=1
	ds_load_b64 v[38:39], v60 offset:22912
	ds_load_b64 v[40:41], v57 offset:16736
	s_wait_dscnt 0x0
	v_fmac_f64_e32 v[36:37], v[38:39], v[40:41]
	s_or_b32 exec_lo, exec_lo, s6
	s_and_saveexec_b32 s6, s19
	s_cbranch_execz .LBB34_732
.LBB34_1075:                            ;   in Loop: Header=BB34_3 Depth=1
	ds_load_b64 v[38:39], v61 offset:23424
	ds_load_b64 v[40:41], v57 offset:16744
	s_wait_dscnt 0x0
	v_fmac_f64_e32 v[36:37], v[38:39], v[40:41]
	s_or_b32 exec_lo, exec_lo, s6
	s_and_saveexec_b32 s6, s21
	s_cbranch_execz .LBB34_733
.LBB34_1076:                            ;   in Loop: Header=BB34_3 Depth=1
	ds_load_b64 v[38:39], v60 offset:23936
	ds_load_b64 v[40:41], v57 offset:16752
	s_wait_dscnt 0x0
	v_fmac_f64_e32 v[36:37], v[38:39], v[40:41]
	s_or_b32 exec_lo, exec_lo, s6
	s_and_saveexec_b32 s6, s2
	s_cbranch_execnz .LBB34_734
	s_branch .LBB34_735
.LBB34_1077:                            ;   in Loop: Header=BB34_3 Depth=1
	ds_load_b64 v[38:39], v51 offset:25504
	ds_load_b64 v[40:41], v47 offset:24968
	s_wait_dscnt 0x0
	v_fmac_f64_e32 v[36:37], v[38:39], v[40:41]
	s_or_b32 exec_lo, exec_lo, s6
	s_and_saveexec_b32 s6, s17
	s_cbranch_execz .LBB34_819
.LBB34_1078:                            ;   in Loop: Header=BB34_3 Depth=1
	ds_load_b64 v[38:39], v50 offset:26016
	ds_load_b64 v[40:41], v47 offset:24976
	s_wait_dscnt 0x0
	v_fmac_f64_e32 v[36:37], v[38:39], v[40:41]
	s_or_b32 exec_lo, exec_lo, s6
	s_and_saveexec_b32 s6, s1
	s_cbranch_execnz .LBB34_820
	s_branch .LBB34_821
.LBB34_1079:                            ;   in Loop: Header=BB34_3 Depth=1
	ds_load_b64 v[38:39], v56 offset:25536
	ds_load_b64 v[40:41], v52 offset:24968
	s_wait_dscnt 0x0
	v_fmac_f64_e32 v[36:37], v[38:39], v[40:41]
	s_or_b32 exec_lo, exec_lo, s6
	s_and_saveexec_b32 s6, s19
	s_cbranch_execz .LBB34_857
.LBB34_1080:                            ;   in Loop: Header=BB34_3 Depth=1
	ds_load_b64 v[38:39], v56 offset:26048
	ds_load_b64 v[40:41], v52 offset:24976
	s_wait_dscnt 0x0
	v_fmac_f64_e32 v[36:37], v[38:39], v[40:41]
	s_or_b32 exec_lo, exec_lo, s6
	s_and_saveexec_b32 s6, s20
	s_cbranch_execz .LBB34_858
.LBB34_1081:                            ;   in Loop: Header=BB34_3 Depth=1
	ds_load_b64 v[38:39], v56 offset:26560
	ds_load_b64 v[40:41], v52 offset:24984
	s_wait_dscnt 0x0
	v_fmac_f64_e32 v[36:37], v[38:39], v[40:41]
	s_or_b32 exec_lo, exec_lo, s6
	s_and_saveexec_b32 s6, s21
	s_cbranch_execz .LBB34_859
.LBB34_1082:                            ;   in Loop: Header=BB34_3 Depth=1
	ds_load_b64 v[38:39], v55 offset:27072
	ds_load_b64 v[40:41], v52 offset:24992
	s_wait_dscnt 0x0
	v_fmac_f64_e32 v[36:37], v[38:39], v[40:41]
	s_or_b32 exec_lo, exec_lo, s6
	s_and_saveexec_b32 s6, s22
	s_cbranch_execz .LBB34_860
.LBB34_1083:                            ;   in Loop: Header=BB34_3 Depth=1
	ds_load_b64 v[38:39], v56 offset:27584
	ds_load_b64 v[40:41], v52 offset:25000
	s_wait_dscnt 0x0
	v_fmac_f64_e32 v[36:37], v[38:39], v[40:41]
	s_or_b32 exec_lo, exec_lo, s6
	s_and_saveexec_b32 s6, s2
	s_cbranch_execz .LBB34_861
.LBB34_1084:                            ;   in Loop: Header=BB34_3 Depth=1
	ds_load_b64 v[38:39], v55 offset:28096
	ds_load_b64 v[40:41], v52 offset:25008
	s_wait_dscnt 0x0
	v_fmac_f64_e32 v[36:37], v[38:39], v[40:41]
	s_or_b32 exec_lo, exec_lo, s6
	s_and_saveexec_b32 s6, s17
	s_cbranch_execnz .LBB34_862
	s_branch .LBB34_863
.LBB34_1085:                            ;   in Loop: Header=BB34_3 Depth=1
	ds_load_b64 v[38:39], v51 offset:29664
	ds_load_b64 v[40:41], v47 offset:29128
	s_wait_dscnt 0x0
	v_fmac_f64_e32 v[36:37], v[38:39], v[40:41]
	s_or_b32 exec_lo, exec_lo, s6
	s_and_saveexec_b32 s6, s17
	s_cbranch_execz .LBB34_915
.LBB34_1086:                            ;   in Loop: Header=BB34_3 Depth=1
	ds_load_b64 v[38:39], v50 offset:30176
	ds_load_b64 v[40:41], v47 offset:29136
	s_wait_dscnt 0x0
	v_fmac_f64_e32 v[36:37], v[38:39], v[40:41]
	s_or_b32 exec_lo, exec_lo, s6
	s_and_saveexec_b32 s6, s1
	s_cbranch_execnz .LBB34_916
	s_branch .LBB34_917
.LBB34_1087:
	s_endpgm
	.section	.rodata,"a",@progbits
	.p2align	6, 0x0
	.amdhsa_kernel _ZL19rocblas_trsv_deviceILi64ELi16ELb1ELb0ELb0ELb0EdPKdS1_PdEviT7_lllT6_T8_lllPii
		.amdhsa_group_segment_fixed_size 41480
		.amdhsa_private_segment_fixed_size 0
		.amdhsa_kernarg_size 352
		.amdhsa_user_sgpr_count 2
		.amdhsa_user_sgpr_dispatch_ptr 0
		.amdhsa_user_sgpr_queue_ptr 0
		.amdhsa_user_sgpr_kernarg_segment_ptr 1
		.amdhsa_user_sgpr_dispatch_id 0
		.amdhsa_user_sgpr_kernarg_preload_length 0
		.amdhsa_user_sgpr_kernarg_preload_offset 0
		.amdhsa_user_sgpr_private_segment_size 0
		.amdhsa_wavefront_size32 1
		.amdhsa_uses_dynamic_stack 0
		.amdhsa_enable_private_segment 0
		.amdhsa_system_sgpr_workgroup_id_x 1
		.amdhsa_system_sgpr_workgroup_id_y 0
		.amdhsa_system_sgpr_workgroup_id_z 1
		.amdhsa_system_sgpr_workgroup_info 0
		.amdhsa_system_vgpr_workitem_id 1
		.amdhsa_next_free_vgpr 85
		.amdhsa_next_free_sgpr 105
		.amdhsa_named_barrier_count 0
		.amdhsa_reserve_vcc 1
		.amdhsa_float_round_mode_32 0
		.amdhsa_float_round_mode_16_64 0
		.amdhsa_float_denorm_mode_32 3
		.amdhsa_float_denorm_mode_16_64 3
		.amdhsa_fp16_overflow 0
		.amdhsa_memory_ordered 1
		.amdhsa_forward_progress 1
		.amdhsa_inst_pref_size 242
		.amdhsa_round_robin_scheduling 0
		.amdhsa_exception_fp_ieee_invalid_op 0
		.amdhsa_exception_fp_denorm_src 0
		.amdhsa_exception_fp_ieee_div_zero 0
		.amdhsa_exception_fp_ieee_overflow 0
		.amdhsa_exception_fp_ieee_underflow 0
		.amdhsa_exception_fp_ieee_inexact 0
		.amdhsa_exception_int_div_zero 0
	.end_amdhsa_kernel
	.section	.text._ZL19rocblas_trsv_deviceILi64ELi16ELb1ELb0ELb0ELb0EdPKdS1_PdEviT7_lllT6_T8_lllPii,"axG",@progbits,_ZL19rocblas_trsv_deviceILi64ELi16ELb1ELb0ELb0ELb0EdPKdS1_PdEviT7_lllT6_T8_lllPii,comdat
.Lfunc_end34:
	.size	_ZL19rocblas_trsv_deviceILi64ELi16ELb1ELb0ELb0ELb0EdPKdS1_PdEviT7_lllT6_T8_lllPii, .Lfunc_end34-_ZL19rocblas_trsv_deviceILi64ELi16ELb1ELb0ELb0ELb0EdPKdS1_PdEviT7_lllT6_T8_lllPii
                                        ; -- End function
	.set _ZL19rocblas_trsv_deviceILi64ELi16ELb1ELb0ELb0ELb0EdPKdS1_PdEviT7_lllT6_T8_lllPii.num_vgpr, 85
	.set _ZL19rocblas_trsv_deviceILi64ELi16ELb1ELb0ELb0ELb0EdPKdS1_PdEviT7_lllT6_T8_lllPii.num_agpr, 0
	.set _ZL19rocblas_trsv_deviceILi64ELi16ELb1ELb0ELb0ELb0EdPKdS1_PdEviT7_lllT6_T8_lllPii.numbered_sgpr, 105
	.set _ZL19rocblas_trsv_deviceILi64ELi16ELb1ELb0ELb0ELb0EdPKdS1_PdEviT7_lllT6_T8_lllPii.num_named_barrier, 0
	.set _ZL19rocblas_trsv_deviceILi64ELi16ELb1ELb0ELb0ELb0EdPKdS1_PdEviT7_lllT6_T8_lllPii.private_seg_size, 0
	.set _ZL19rocblas_trsv_deviceILi64ELi16ELb1ELb0ELb0ELb0EdPKdS1_PdEviT7_lllT6_T8_lllPii.uses_vcc, 1
	.set _ZL19rocblas_trsv_deviceILi64ELi16ELb1ELb0ELb0ELb0EdPKdS1_PdEviT7_lllT6_T8_lllPii.uses_flat_scratch, 0
	.set _ZL19rocblas_trsv_deviceILi64ELi16ELb1ELb0ELb0ELb0EdPKdS1_PdEviT7_lllT6_T8_lllPii.has_dyn_sized_stack, 0
	.set _ZL19rocblas_trsv_deviceILi64ELi16ELb1ELb0ELb0ELb0EdPKdS1_PdEviT7_lllT6_T8_lllPii.has_recursion, 0
	.set _ZL19rocblas_trsv_deviceILi64ELi16ELb1ELb0ELb0ELb0EdPKdS1_PdEviT7_lllT6_T8_lllPii.has_indirect_call, 0
	.section	.AMDGPU.csdata,"",@progbits
; Kernel info:
; codeLenInByte = 30924
; TotalNumSgprs: 107
; NumVgprs: 85
; ScratchSize: 0
; MemoryBound: 0
; FloatMode: 240
; IeeeMode: 1
; LDSByteSize: 41480 bytes/workgroup (compile time only)
; SGPRBlocks: 0
; VGPRBlocks: 5
; NumSGPRsForWavesPerEU: 107
; NumVGPRsForWavesPerEU: 85
; NamedBarCnt: 0
; Occupancy: 10
; WaveLimiterHint : 0
; COMPUTE_PGM_RSRC2:SCRATCH_EN: 0
; COMPUTE_PGM_RSRC2:USER_SGPR: 2
; COMPUTE_PGM_RSRC2:TRAP_HANDLER: 0
; COMPUTE_PGM_RSRC2:TGID_X_EN: 1
; COMPUTE_PGM_RSRC2:TGID_Y_EN: 0
; COMPUTE_PGM_RSRC2:TGID_Z_EN: 1
; COMPUTE_PGM_RSRC2:TIDIG_COMP_CNT: 1
	.section	.text._ZL19rocblas_trsv_deviceILi64ELi16ELb1ELb1ELb0ELb0EdPKdS1_PdEviT7_lllT6_T8_lllPii,"axG",@progbits,_ZL19rocblas_trsv_deviceILi64ELi16ELb1ELb1ELb0ELb0EdPKdS1_PdEviT7_lllT6_T8_lllPii,comdat
	.globl	_ZL19rocblas_trsv_deviceILi64ELi16ELb1ELb1ELb0ELb0EdPKdS1_PdEviT7_lllT6_T8_lllPii ; -- Begin function _ZL19rocblas_trsv_deviceILi64ELi16ELb1ELb1ELb0ELb0EdPKdS1_PdEviT7_lllT6_T8_lllPii
	.p2align	8
	.type	_ZL19rocblas_trsv_deviceILi64ELi16ELb1ELb1ELb0ELb0EdPKdS1_PdEviT7_lllT6_T8_lllPii,@function
_ZL19rocblas_trsv_deviceILi64ELi16ELb1ELb1ELb0ELb0EdPKdS1_PdEviT7_lllT6_T8_lllPii: ; @_ZL19rocblas_trsv_deviceILi64ELi16ELb1ELb1ELb0ELb0EdPKdS1_PdEviT7_lllT6_T8_lllPii
; %bb.0:
	s_load_b32 s6, s[0:1], 0x58
	s_bfe_u32 s2, ttmp6, 0x40014
	s_lshr_b32 s3, ttmp7, 16
	s_add_co_i32 s2, s2, 1
	s_bfe_u32 s5, ttmp6, 0x40008
	s_mul_i32 s4, s3, s2
	s_getreg_b32 s2, hwreg(HW_REG_IB_STS2, 6, 4)
	s_add_co_i32 s5, s5, s4
	s_cmp_eq_u32 s2, 0
	s_mov_b32 s81, 0
	s_cselect_b32 s80, s3, s5
                                        ; implicit-def: $vgpr98 : SGPR spill to VGPR lane
	s_wait_kmcnt 0x0
	s_cmp_ge_u32 s80, s6
	v_writelane_b32 v98, s6, 0
	s_cbranch_scc1 .LBB35_1149
; %bb.1:
	s_clause 0x3
	s_load_b512 s[60:75], s[0:1], 0x8
	s_load_b32 s3, s[0:1], 0x6c
	s_load_b32 s90, s[0:1], 0x60
	s_load_b32 s82, s[0:1], 0x0
	s_bfe_u32 s5, ttmp6, 0x4000c
	s_and_b32 s4, ttmp6, 15
	s_add_co_i32 s5, s5, 1
	s_load_b128 s[76:79], s[0:1], 0x48
	s_mul_i32 s5, ttmp9, s5
	v_and_b32_e32 v2, 0x3ff, v0
	s_add_co_i32 s6, s4, s5
	v_mov_b32_e32 v5, 0
	v_bfe_u32 v40, v0, 10, 10
                                        ; implicit-def: $vgpr97 : SGPR spill to VGPR lane
                                        ; implicit-def: $vgpr96 : SGPR spill to VGPR lane
	s_delay_alu instid0(VALU_DEP_3) | instskip(NEXT) | instid1(VALU_DEP_3)
	v_dual_lshlrev_b32 v1, 6, v2 :: v_dual_bitop2_b32 v65, 31, v0 bitop3:0x40
	v_dual_lshlrev_b32 v43, 3, v2 :: v_dual_mov_b32 v3, v5
	s_delay_alu instid0(VALU_DEP_3)
	v_add_nc_u32_e32 v20, 16, v40
	v_lshl_add_u32 v30, v40, 6, v2
	v_add_nc_u32_e32 v25, 48, v40
	s_wait_kmcnt 0x0
	s_lshl_b64 s[0:1], s[62:63], 3
	s_lshl_b64 s[4:5], s[72:73], 3
	s_cmp_eq_u32 s2, 0
	s_add_nc_u64 s[0:1], s[60:61], s[0:1]
	s_cselect_b32 s89, ttmp9, s6
	s_add_co_i32 s2, s82, -1
	s_ashr_i32 s83, s82, 31
	s_and_b32 s6, s3, 0xffff
	s_ashr_i32 s3, s2, 31
	s_lshr_b32 s7, s83, 26
	s_lshr_b32 s3, s3, 26
	s_add_co_i32 s7, s82, s7
	s_add_co_i32 s90, s90, -1
	s_add_co_i32 s2, s2, s3
	s_and_not1_b32 s7, s7, 63
	s_sub_co_i32 s49, s90, s89
	s_ashr_i32 s2, s2, 6
	s_sub_co_i32 s9, s82, s7
	s_cmp_eq_u32 s2, s49
	v_lshl_add_u32 v14, v20, 6, v2
	s_cselect_b32 s2, -1, 0
	s_cmp_lg_u32 s9, 0
	v_mad_u32_u24 v4, v40, s6, v2
	s_cselect_b32 s3, -1, 0
	v_lshl_add_u32 v27, v25, 6, v2
	s_and_b32 s15, s3, s2
	v_add_nc_u32_e32 v24, 32, v40
	s_xor_b32 s91, s15, -1
	s_cmp_lg_u32 s89, 0
	v_cmp_le_i32_e64 s14, s9, v2
	s_cselect_b32 s2, -1, 0
	s_lshl_b32 s10, s49, 6
	v_writelane_b32 v98, s2, 1
	s_add_nc_u64 s[2:3], s[64:65], 1
	v_dual_add_nc_u32 v10, v40, v1 :: v_dual_add_nc_u32 v21, s10, v40
	s_cmp_lt_i32 s89, 5
	v_writelane_b32 v98, s0, 2
	v_mad_nc_u64_u32 v[18:19], s2, s10, v[2:3]
	s_cselect_b32 vcc_lo, -1, 0
	s_delay_alu instid0(SALU_CYCLE_1)
	v_dual_cndmask_b32 v22, v30, v10, vcc_lo :: v_dual_bitop2_b32 v3, 1, v0 bitop3:0x40
	v_writelane_b32 v98, s1, 3
	s_add_nc_u64 s[0:1], s[70:71], s[4:5]
	v_dual_add_nc_u32 v11, v20, v1 :: v_dual_add_nc_u32 v12, s10, v2
	v_add_nc_u32_e32 v6, 64, v21
	v_writelane_b32 v98, s0, 4
	s_ashr_i32 s11, s10, 31
	s_or_b32 vcc_lo, vcc_lo, s15
	s_delay_alu instid0(VALU_DEP_2)
	v_dual_ashrrev_i32 v13, 31, v12 :: v_dual_ashrrev_i32 v7, 31, v6
	v_cndmask_b32_e32 v23, v14, v11, vcc_lo
	v_writelane_b32 v98, s1, 5
	s_mul_i32 s0, s2, s11
	s_mul_i32 s1, s3, s10
	v_cmp_eq_u32_e64 s2, 1, v3
	v_dual_lshrrev_b32 v10, 10, v0 :: v_dual_lshrrev_b32 v11, 1, v30
	v_add3_u32 v19, s0, s1, v19
	v_lshlrev_b32_e32 v14, 3, v3
	v_cmp_gt_u32_e64 s0, 4, v30
	s_xor_b32 s1, s2, -1
	v_bitop3_b32 v31, v0, v10, 0x3ff bitop3:0xa8
	v_lshl_add_u32 v3, v11, 3, 0x8000
	v_lshl_or_b32 v41, v11, 9, v14
	v_mul_u32_u24_e32 v42, 0x208, v11
	s_and_b32 s94, s1, s0
	v_dual_lshrrev_b32 v10, 2, v30 :: v_dual_bitop2_b32 v11, 3, v0 bitop3:0x40
	v_cmp_eq_u32_e64 s1, 0, v40
	v_cmp_gt_u32_e64 s3, 2, v2
	s_and_b32 s95, s2, s0
	v_cmp_gt_u32_e64 s2, 16, v30
	v_dual_lshlrev_b32 v14, 3, v10 :: v_dual_lshlrev_b32 v45, 3, v11
	s_and_b32 s96, s1, s3
	v_cmp_eq_u32_e64 s3, 0, v11
	v_mul_u32_u24_e32 v44, 0x208, v10
	v_cmp_ne_u32_e64 s4, 0, v11
	v_cmp_lt_u32_e64 s5, 1, v11
	v_cmp_eq_u32_e64 s6, 2, v11
	s_and_b32 s97, s3, s2
	v_cmp_eq_u32_e64 s3, 1, v11
	v_sub_nc_u32_e32 v16, v44, v14
	s_and_b32 s98, s4, s2
	v_cmp_eq_u32_e64 s4, 3, v11
	v_and_b32_e32 v11, 7, v0
	s_and_b32 s99, s3, s2
	v_cmp_gt_u32_e64 s3, 4, v2
	s_and_b32 s100, s5, s2
	s_and_b32 s102, s4, s2
	v_cmp_eq_u32_e64 s4, 0, v11
	v_cmp_ne_u32_e64 s5, 0, v11
	s_and_b32 s103, s1, s3
	v_cmp_gt_u32_e64 s3, 64, v30
	v_lshl_or_b32 v48, v10, 9, v45
	v_dual_add_nc_u32 v49, v16, v45 :: v_dual_lshrrev_b32 v10, 3, v30
	v_dual_lshlrev_b32 v54, 3, v11 :: v_dual_bitop2_b32 v16, -8, v30 bitop3:0x40
	s_and_b32 s104, s4, s3
	s_and_b32 vcc_hi, s5, s3
	v_cmp_lt_u32_e64 s4, 1, v11
	v_cmp_eq_u32_e64 s5, 2, v11
	v_mul_u32_u24_e32 v53, 0x208, v10
	s_and_b32 s101, s6, s2
	v_cmp_eq_u32_e64 s6, 1, v11
	s_and_b32 s37, s4, s3
	v_cmp_lt_u32_e64 s4, 3, v11
	s_and_b32 s38, s5, s3
	v_cmp_eq_u32_e64 s5, 4, v11
	v_sub_nc_u32_e32 v17, v53, v16
	v_add_nc_u32_e32 v56, 0x8000, v16
	s_and_b32 s41, s4, s3
	v_cmp_lt_u32_e64 s4, 4, v11
	s_and_b32 s42, s5, s3
	v_cmp_eq_u32_e64 s5, 6, v11
	v_lshl_or_b32 v57, v10, 9, v54
	s_and_b32 s36, s6, s3
	v_cmp_lt_u32_e64 s6, 2, v11
	s_and_b32 s43, s4, s3
	v_lshrrev_b32_e32 v10, 4, v30
	v_dual_add_nc_u32 v58, v17, v54 :: v_dual_bitop2_b32 v16, 15, v0 bitop3:0x40
	s_and_b32 s46, s5, s3
	v_cmp_eq_u32_e64 s4, 7, v11
	v_cmp_gt_u32_e64 s5, 8, v2
	s_and_b32 s39, s6, s3
	v_cmp_eq_u32_e64 s6, 5, v11
	v_cmp_eq_u32_e64 s7, 3, v11
	s_and_b32 s47, s4, s3
	s_and_b32 s48, s1, s5
	v_cmp_gt_u32_e64 s4, 0x100, v30
	v_cmp_eq_u32_e64 s5, 0, v16
	s_and_b32 s44, s6, s3
	v_cmp_ne_u32_e64 s6, 0, v16
	s_and_b32 s40, s7, s3
	v_cmp_lt_u32_e64 s7, 5, v11
	s_and_b32 s5, s5, s4
	v_dual_lshlrev_b32 v11, 3, v10 :: v_dual_lshlrev_b32 v61, 3, v16
	v_writelane_b32 v98, s5, 6
	v_cmp_eq_u32_e64 s5, 1, v16
	s_and_b32 s6, s6, s4
	s_and_b32 s45, s7, s3
	v_cmp_lt_u32_e64 s7, 1, v16
	v_writelane_b32 v98, s6, 7
	s_and_b32 s5, s5, s4
	v_cmp_eq_u32_e64 s6, 2, v16
	v_mul_u32_u24_e32 v60, 0x208, v10
	v_cmp_lt_u32_e64 s8, 2, v16
	v_writelane_b32 v98, s5, 8
	s_and_b32 s5, s7, s4
	s_and_b32 s6, s6, s4
	v_cmp_eq_u32_e64 s7, 4, v16
	v_sub_nc_u32_e32 v17, v60, v11
	v_writelane_b32 v98, s5, 9
	v_cmp_eq_u32_e64 s5, 3, v16
	s_and_b32 s54, s8, s4
	v_cmp_eq_u32_e64 s8, 5, v16
	s_and_b32 s57, s7, s4
	v_writelane_b32 v98, s6, 10
	v_cmp_lt_u32_e64 s6, 3, v16
	s_and_b32 s55, s5, s4
	v_cmp_lt_u32_e64 s5, 4, v16
	v_cmp_lt_u32_e64 s7, 6, v16
	v_add_nc_u32_e32 v64, v17, v61
	s_and_b32 s56, s6, s4
	v_cmp_lt_u32_e64 s6, 5, v16
	s_and_b32 s58, s5, s4
	v_cmp_eq_u32_e64 s5, 6, v16
	v_add_nc_u32_e32 v17, v24, v1
	v_lshl_add_u32 v26, v24, 6, v2
	s_and_b32 s62, s6, s4
	v_cmp_eq_u32_e64 s6, 7, v16
	s_and_b32 s63, s5, s4
	v_cmp_eq_u32_e64 s5, 8, v16
	v_add_nc_u32_e32 v1, v25, v1
	s_and_b32 s61, s8, s4
	s_and_b32 s13, s6, s4
	v_cmp_lt_u32_e64 s6, 8, v16
	s_and_b32 s25, s5, s4
	v_cmp_lt_u32_e64 s5, 9, v16
	v_cmp_lt_u32_e64 s8, 7, v16
	s_and_b32 s12, s7, s4
	s_and_b32 s27, s6, s4
	v_cmp_lt_u32_e64 s6, 10, v16
	s_and_b32 s31, s5, s4
	v_cmp_eq_u32_e64 s5, 11, v16
	v_cmp_eq_u32_e64 s7, 9, v16
	s_xor_b32 s93, vcc_lo, -1
	v_dual_cndmask_b32 v26, v26, v17 :: v_dual_add_nc_u32 v47, 0x8000, v14
	s_and_b32 s24, s6, s4
	v_cmp_eq_u32_e64 s6, 12, v16
	s_and_b32 s26, s5, s4
	v_cmp_eq_u32_e64 s5, 13, v16
	v_cndmask_b32_e32 v27, v27, v1, vcc_lo
	v_cmp_gt_u32_e32 vcc_lo, 16, v2
	s_and_b32 s23, s8, s4
	v_cmp_eq_u32_e64 s8, 10, v16
	s_and_b32 s29, s7, s4
	v_cmp_lt_u32_e64 s7, 11, v16
	v_add_nc_u32_e32 v62, 0x8000, v11
	v_lshl_or_b32 v63, v10, 9, v61
	s_and_b32 s30, s6, s4
	v_cmp_lt_u32_e64 s6, 13, v16
	v_add_nc_u64_e32 v[10:11], s[10:11], v[4:5]
	s_and_b32 s10, s5, s4
	v_cmp_eq_u32_e64 s5, 15, v16
	s_and_b32 s73, s1, vcc_lo
	v_cmp_gt_u32_e32 vcc_lo, 32, v2
	s_and_b32 s34, s8, s4
	v_cmp_lt_u32_e64 s8, 12, v16
	s_and_b32 s28, s7, s4
	v_cmp_eq_u32_e64 s7, 14, v16
	s_and_b32 s70, s14, s15
	s_and_b32 s11, s6, s4
	s_and_b32 s72, s5, s4
	s_xor_b32 s5, s70, -1
	s_and_b32 s6, s1, vcc_lo
	v_cmp_gt_i32_e32 vcc_lo, s9, v2
	s_and_b32 s33, s8, s4
	s_and_b32 s92, s7, s4
	v_lshrrev_b32_e32 v1, 5, v30
	v_writelane_b32 v98, s6, 11
	s_and_b32 s71, s1, s5
	s_cmp_gt_i32 s89, 0
	v_mul_u64_e32 v[8:9], s[64:65], v[12:13]
	s_cselect_b32 s88, -1, 0
	s_and_b32 s5, s1, vcc_lo
	v_dual_lshlrev_b32 v66, 3, v1 :: v_dual_lshlrev_b32 v67, 9, v1
	v_mul_u64_e32 v[0:1], s[74:75], v[12:13]
	v_add_nc_u32_e32 v13, 0x50, v21
	v_writelane_b32 v98, s5, 12
	v_cmp_gt_i32_e64 s5, s82, v12
	v_cmp_gt_i32_e32 vcc_lo, s82, v6
	v_add_nc_u32_e32 v28, 0x60, v21
	v_add_nc_u32_e32 v21, 0x70, v21
	v_cmp_ne_u32_e64 s16, v2, v20
	v_cmp_ne_u32_e64 s17, v2, v24
	s_and_b32 s6, vcc_lo, s5
	v_cmp_gt_i32_e32 vcc_lo, s82, v13
	v_writelane_b32 v98, s6, 13
	v_cmp_ne_u32_e64 s18, v2, v25
	v_cmp_gt_u32_e64 s35, 0xf0, v30
	v_cmp_gt_u32_e64 s50, 0x3e0, v30
	s_and_b32 s6, vcc_lo, s5
	v_cmp_gt_i32_e32 vcc_lo, s82, v28
	v_writelane_b32 v98, s6, 14
	v_mad_u32_u24 v46, 0x1f8, v2, v43
	v_mul_i32_i24_e32 v14, 0xfffffe08, v2
	v_mul_u32_u24_e32 v15, 0x1f8, v2
	s_and_b32 s6, vcc_lo, s5
	v_cmp_gt_i32_e32 vcc_lo, s82, v21
	v_writelane_b32 v98, s6, 15
	v_mad_i32_i24 v50, 0xfffffe08, v2, v46
	v_mul_lo_u32 v14, v14, 6
	v_mul_u64_e32 v[10:11], s[74:75], v[10:11]
	s_and_b32 s6, vcc_lo, s5
	v_cmp_le_i32_e32 vcc_lo, s9, v40
	v_writelane_b32 v98, s6, 16
	v_cmp_le_u32_e64 s6, v2, v40
	v_mad_u32_u24 v51, 0x1f8, v2, v50
	v_dual_lshlrev_b32 v76, 3, v27 :: v_dual_lshlrev_b32 v21, 3, v40
	s_or_b32 s7, vcc_lo, s14
	v_cmp_le_i32_e32 vcc_lo, s9, v20
	s_or_b32 s7, s7, s6
	v_mad_i32_i24 v52, 0xfffffe08, v2, v51
	v_writelane_b32 v98, s7, 17
	v_cmp_le_u32_e64 s7, v2, v20
	s_or_b32 s8, vcc_lo, s14
	v_cmp_le_i32_e32 vcc_lo, s9, v24
	v_mad_u32_u24 v55, 0x1f8, v2, v52
	v_mad_u32 v14, v15, 7, v14
	s_or_b32 s8, s8, s7
	v_mul_u32_u24_e32 v15, 0x1f0, v2
	v_writelane_b32 v98, s8, 18
	v_cmp_le_u32_e64 s8, v2, v24
	s_or_b32 s15, vcc_lo, s14
	v_cmp_le_i32_e32 vcc_lo, s9, v25
	v_mad_i32_i24 v59, 0xfffffe08, v2, v55
	v_mad_nc_u64_u32 v[12:13], s64, v40, v[18:19]
	s_or_b32 s9, s15, s8
	v_mad_nc_u64_u32 v[16:17], s64, v24, v[18:19]
	v_writelane_b32 v98, s9, 19
	v_cmp_le_u32_e64 s9, v2, v25
	s_or_b32 s15, vcc_lo, s14
	v_mad_u32_u24 v68, 0x1f8, v2, v59
	v_dual_sub_nc_u32 v29, v14, v15 :: v_dual_lshlrev_b32 v72, 3, v22
	s_or_b32 s15, s15, s9
	v_mad_nc_u64_u32 v[14:15], s64, v20, v[18:19]
	v_writelane_b32 v98, s15, 20
	v_cmp_ne_u32_e64 s15, v2, v40
	v_mad_i32_i24 v69, 0xfffffe08, v2, v68
	v_mad_nc_u64_u32 v[18:19], s64, v25, v[18:19]
	v_or_b32_e32 v79, 0xa000, v21
	v_mul_u32_u24_e32 v81, 0x208, v65
	v_writelane_b32 v98, s15, 21
	s_or_b32 s15, s14, s15
	v_mad_u32_u24 v70, 0x1f8, v2, v69
	v_or_b32_e32 v32, v20, v2
	v_dual_add_nc_u32 v90, v79, v43 :: v_dual_bitop2_b32 v33, v24, v2 bitop3:0x54
	v_writelane_b32 v98, s15, 22
	s_or_b32 s15, s14, s16
	v_mad_i32_i24 v71, 0xfffffe08, v2, v70
	v_mad_u32 v13, s65, v40, v13
	v_mad_u32 v15, s65, v20, v15
	v_writelane_b32 v98, s16, 23
	v_mad_u32 v17, s65, v24, v17
	v_mad_u32_u24 v74, 0x1f8, v2, v71
	v_mad_u32 v19, s65, v25, v19
	v_or_b32_e32 v34, v25, v2
	v_writelane_b32 v98, s15, 24
	s_or_b32 s15, s14, s17
	s_or_b32 s14, s14, s18
	v_mad_i32_i24 v77, 0xfffffe08, v2, v74
	v_cmp_lt_u32_e32 vcc_lo, 0x3ff, v30
	v_writelane_b32 v98, s17, 25
	v_dual_lshlrev_b32 v73, 3, v23 :: v_dual_lshlrev_b32 v75, 3, v26
	s_delay_alu instid0(VALU_DEP_4)
	v_mad_u32_u24 v78, 0x1f8, v2, v77
	v_add_nc_u32_e32 v82, 0x8000, v66
	v_writelane_b32 v98, s15, 26
	v_lshl_or_b32 v83, v65, 3, v67
	v_lshl_add_u32 v84, v4, 3, 0xa000
	v_add_nc_u32_e32 v80, v78, v21
	v_lshlrev_b32_e32 v21, 9, v65
	v_writelane_b32 v98, s18, 27
	v_lshl_add_u32 v85, v30, 3, 0x8000
	v_add_nc_u32_e32 v86, 0x8000, v43
	v_add_nc_u32_e32 v88, 0x7800, v29
	v_sub_nc_u32_e32 v21, v81, v21
	v_writelane_b32 v98, s14, 28
	v_lshl_add_u32 v89, v40, 9, v71
	v_subrev_nc_u32_e32 v91, 63, v2
	v_cmp_eq_u32_e64 s14, 0, v31
	v_add_nc_u32_e32 v87, 0x4100, v21
	v_writelane_b32 v98, s35, 29
	v_cmp_gt_u32_e64 s35, 0xe0, v30
	v_mov_b64_e32 v[20:21], 0
	v_cmp_gt_u32_e64 s15, 2, v30
	v_cmp_gt_u32_e64 s16, 12, v30
	v_cmp_gt_u32_e64 s17, 8, v30
	v_writelane_b32 v98, s35, 30
	v_cmp_gt_u32_e64 s35, 0xd0, v30
	v_cmp_gt_u32_e64 s18, 56, v30
	;; [unrolled: 1-line block ×5, first 2 shown]
	v_writelane_b32 v98, s35, 31
	v_cmp_gt_u32_e64 s35, 0xc0, v30
	v_cmp_gt_u32_e64 s22, 24, v30
	v_cmp_eq_u32_e64 s59, 0, v4
	v_cmp_gt_u32_e64 s60, 64, v4
	s_add_co_i32 s49, s49, 1
	v_writelane_b32 v97, s35, 0
	v_cmp_gt_u32_e64 s35, 0xb0, v30
	s_xor_b32 s64, vcc_lo, -1
                                        ; implicit-def: $vgpr22_vgpr23
                                        ; implicit-def: $vgpr24_vgpr25
                                        ; implicit-def: $vgpr26_vgpr27
                                        ; implicit-def: $vgpr28_vgpr29
	v_writelane_b32 v97, s35, 1
	v_cmp_gt_u32_e64 s35, 0xa0, v30
	s_delay_alu instid0(VALU_DEP_1) | instskip(SKIP_1) | instid1(VALU_DEP_1)
	v_writelane_b32 v97, s35, 2
	v_cmp_gt_u32_e64 s35, 0x90, v30
	v_writelane_b32 v97, s35, 3
	v_cmp_gt_u32_e64 s35, 0x80, v30
	s_delay_alu instid0(VALU_DEP_1) | instskip(SKIP_1) | instid1(VALU_DEP_1)
	v_writelane_b32 v97, s35, 4
	v_cmp_gt_u32_e64 s35, 0x70, v30
	;; [unrolled: 5-line block ×3, first 2 shown]
	v_writelane_b32 v97, s35, 7
	v_cmp_gt_u32_e64 s35, 0x400, v30
	v_writelane_b32 v97, s50, 8
	v_cmp_gt_u32_e64 s50, 0x3c0, v30
	s_delay_alu instid0(VALU_DEP_1) | instskip(SKIP_1) | instid1(VALU_DEP_1)
	v_writelane_b32 v97, s50, 9
	v_cmp_gt_u32_e64 s50, 0x3a0, v30
	v_writelane_b32 v97, s50, 10
	v_cmp_gt_u32_e64 s50, 0x380, v30
	s_delay_alu instid0(VALU_DEP_1) | instskip(SKIP_1) | instid1(VALU_DEP_1)
	v_writelane_b32 v97, s50, 11
	v_cmp_gt_u32_e64 s50, 0x360, v30
	v_writelane_b32 v97, s50, 12
	v_cmp_gt_u32_e64 s50, 0x340, v30
	s_delay_alu instid0(VALU_DEP_1) | instskip(SKIP_1) | instid1(VALU_DEP_1)
	v_writelane_b32 v97, s50, 13
	v_cmp_gt_u32_e64 s50, 0x320, v30
	v_writelane_b32 v97, s50, 14
	v_cmp_gt_u32_e64 s50, 0x300, v30
	s_delay_alu instid0(VALU_DEP_1) | instskip(SKIP_1) | instid1(VALU_DEP_1)
	v_writelane_b32 v97, s50, 15
	v_cmp_gt_u32_e64 s50, 0x2e0, v30
	v_writelane_b32 v97, s50, 16
	v_cmp_gt_u32_e64 s50, 0x2c0, v30
	s_delay_alu instid0(VALU_DEP_1) | instskip(SKIP_1) | instid1(VALU_DEP_1)
	v_writelane_b32 v97, s50, 17
	v_cmp_gt_u32_e64 s50, 0x2a0, v30
	v_writelane_b32 v97, s50, 18
	v_cmp_gt_u32_e64 s50, 0x280, v30
	s_delay_alu instid0(VALU_DEP_1) | instskip(SKIP_1) | instid1(VALU_DEP_1)
	v_writelane_b32 v97, s50, 19
	v_cmp_gt_u32_e64 s50, 0x260, v30
	v_writelane_b32 v97, s50, 20
	v_cmp_gt_u32_e64 s50, 0x240, v30
	s_delay_alu instid0(VALU_DEP_1) | instskip(SKIP_1) | instid1(VALU_DEP_1)
	v_writelane_b32 v97, s50, 21
	v_cmp_gt_u32_e64 s50, 0x220, v30
	v_writelane_b32 v97, s50, 22
	v_cmp_gt_u32_e64 s50, 0x200, v30
	s_delay_alu instid0(VALU_DEP_1) | instskip(SKIP_1) | instid1(VALU_DEP_1)
	v_writelane_b32 v97, s50, 23
	v_cmp_gt_u32_e64 s50, 0x1e0, v30
	v_writelane_b32 v97, s50, 24
	v_cmp_gt_u32_e64 s50, 0x1c0, v30
	s_delay_alu instid0(VALU_DEP_1) | instskip(SKIP_1) | instid1(VALU_DEP_1)
	v_writelane_b32 v97, s50, 25
	v_cmp_gt_u32_e64 s50, 0x1a0, v30
	v_writelane_b32 v97, s50, 26
	v_cmp_gt_u32_e64 s50, 0x180, v30
	s_delay_alu instid0(VALU_DEP_1) | instskip(SKIP_1) | instid1(VALU_DEP_1)
	v_writelane_b32 v97, s50, 27
	v_cmp_gt_u32_e64 s50, 0x160, v30
	v_writelane_b32 v97, s50, 28
	v_cmp_gt_u32_e64 s50, 0x140, v30
	s_delay_alu instid0(VALU_DEP_1) | instskip(SKIP_1) | instid1(VALU_DEP_1)
	v_writelane_b32 v97, s50, 29
	v_cmp_gt_u32_e64 s50, 0x120, v30
	v_writelane_b32 v97, s50, 30
	v_cmp_gt_u32_e64 s50, 64, v31
	s_delay_alu instid0(VALU_DEP_1) | instskip(SKIP_1) | instid1(VALU_DEP_1)
	v_writelane_b32 v97, s50, 31
	v_cmp_gt_u32_e64 s50, 64, v32
	v_writelane_b32 v96, s50, 0
	v_cmp_gt_u32_e64 s50, 64, v33
	s_delay_alu instid0(VALU_DEP_1) | instskip(SKIP_1) | instid1(VALU_DEP_1)
	v_writelane_b32 v96, s50, 1
	v_cmp_gt_u32_e64 s50, 64, v34
	v_writelane_b32 v96, s50, 2
	s_branch .LBB35_3
.LBB35_2:                               ;   in Loop: Header=BB35_3 Depth=1
	s_wait_xcnt 0x0
	s_or_b32 exec_lo, exec_lo, s50
	v_readlane_b32 s50, v98, 0
	s_add_co_i32 s80, s80, 0x10000
	global_wb scope:SCOPE_DEV
	s_wait_storecnt 0x0
	global_inv scope:SCOPE_DEV
	s_cmp_lt_u32 s80, s50
	s_cbranch_scc0 .LBB35_1149
.LBB35_3:                               ; =>This Loop Header: Depth=1
                                        ;     Child Loop BB35_553 Depth 2
                                        ;     Child Loop BB35_1002 Depth 2
                                        ;       Child Loop BB35_1004 Depth 3
                                        ;     Child Loop BB35_1039 Depth 2
	global_load_b64 v[32:33], v5, s[68:69]
	v_readlane_b32 s52, v98, 2
	v_readlane_b32 s53, v98, 3
	s_mul_u64 s[50:51], s[66:67], s[80:81]
	s_delay_alu instid0(SALU_CYCLE_1) | instskip(NEXT) | instid1(SALU_CYCLE_1)
	s_lshl_b64 s[50:51], s[50:51], 3
	s_add_nc_u64 s[84:85], s[52:53], s[50:51]
	v_readlane_b32 s50, v98, 1
	v_lshl_add_u64 v[30:31], v[8:9], 3, s[84:85]
	s_and_not1_b32 vcc_lo, exec_lo, s50
	s_cbranch_vccnz .LBB35_13
; %bb.4:                                ;   in Loop: Header=BB35_3 Depth=1
	v_mov_b64_e32 v[24:25], 0
	v_mov_b64_e32 v[22:23], 0
	v_lshl_add_u64 v[34:35], v[6:7], 3, v[30:31]
	s_wait_loadcnt 0x0
	s_barrier_signal -1
	s_barrier_wait -1
	s_wait_xcnt 0x0
	s_mov_b32 s50, exec_lo
	v_readlane_b32 s51, v98, 13
	s_and_b32 s51, s50, s51
	s_delay_alu instid0(SALU_CYCLE_1)
	s_mov_b32 exec_lo, s51
	s_cbranch_execz .LBB35_6
; %bb.5:                                ;   in Loop: Header=BB35_3 Depth=1
	global_load_b64 v[22:23], v[34:35], off
.LBB35_6:                               ;   in Loop: Header=BB35_3 Depth=1
	s_wait_xcnt 0x0
	s_or_b32 exec_lo, exec_lo, s50
	s_wait_loadcnt 0x0
	s_barrier_signal -1
	s_barrier_wait -1
	s_mov_b32 s50, exec_lo
	v_readlane_b32 s51, v98, 14
	s_and_b32 s51, s50, s51
	s_delay_alu instid0(SALU_CYCLE_1)
	s_mov_b32 exec_lo, s51
	s_cbranch_execz .LBB35_8
; %bb.7:                                ;   in Loop: Header=BB35_3 Depth=1
	global_load_b64 v[24:25], v[34:35], off offset:128
.LBB35_8:                               ;   in Loop: Header=BB35_3 Depth=1
	s_wait_xcnt 0x0
	s_or_b32 exec_lo, exec_lo, s50
	v_mov_b64_e32 v[28:29], 0
	v_mov_b64_e32 v[26:27], 0
	s_wait_loadcnt 0x0
	s_barrier_signal -1
	s_barrier_wait -1
	s_mov_b32 s50, exec_lo
	v_readlane_b32 s51, v98, 15
	s_and_b32 s51, s50, s51
	s_delay_alu instid0(SALU_CYCLE_1)
	s_mov_b32 exec_lo, s51
	s_cbranch_execz .LBB35_10
; %bb.9:                                ;   in Loop: Header=BB35_3 Depth=1
	global_load_b64 v[26:27], v[34:35], off offset:256
.LBB35_10:                              ;   in Loop: Header=BB35_3 Depth=1
	s_wait_xcnt 0x0
	s_or_b32 exec_lo, exec_lo, s50
	s_wait_loadcnt 0x0
	s_barrier_signal -1
	s_barrier_wait -1
	s_mov_b32 s50, exec_lo
	v_readlane_b32 s51, v98, 16
	s_and_b32 s51, s50, s51
	s_delay_alu instid0(SALU_CYCLE_1)
	s_mov_b32 exec_lo, s51
	s_cbranch_execz .LBB35_12
; %bb.11:                               ;   in Loop: Header=BB35_3 Depth=1
	global_load_b64 v[28:29], v[34:35], off offset:384
.LBB35_12:                              ;   in Loop: Header=BB35_3 Depth=1
	s_wait_xcnt 0x0
	s_or_b32 exec_lo, exec_lo, s50
.LBB35_13:                              ;   in Loop: Header=BB35_3 Depth=1
	s_delay_alu instid0(SALU_CYCLE_1)
	s_and_not1_b32 vcc_lo, exec_lo, s91
	s_mov_b32 s50, -1
	s_cbranch_vccnz .LBB35_24
; %bb.14:                               ;   in Loop: Header=BB35_3 Depth=1
	s_wait_xcnt 0x0
	s_and_saveexec_b32 s50, s6
	s_delay_alu instid0(SALU_CYCLE_1)
	s_xor_b32 s65, exec_lo, s50
	s_cbranch_execnz .LBB35_1061
; %bb.15:                               ;   in Loop: Header=BB35_3 Depth=1
	s_and_not1_saveexec_b32 s50, s65
	s_cbranch_execnz .LBB35_1068
.LBB35_16:                              ;   in Loop: Header=BB35_3 Depth=1
	s_or_b32 exec_lo, exec_lo, s50
	s_and_saveexec_b32 s50, s7
	s_delay_alu instid0(SALU_CYCLE_1)
	s_xor_b32 s65, exec_lo, s50
	s_cbranch_execnz .LBB35_1069
.LBB35_17:                              ;   in Loop: Header=BB35_3 Depth=1
	s_and_not1_saveexec_b32 s50, s65
	s_cbranch_execnz .LBB35_1076
.LBB35_18:                              ;   in Loop: Header=BB35_3 Depth=1
	s_or_b32 exec_lo, exec_lo, s50
	s_and_saveexec_b32 s50, s8
	s_delay_alu instid0(SALU_CYCLE_1)
	s_xor_b32 s65, exec_lo, s50
	s_cbranch_execnz .LBB35_1077
.LBB35_19:                              ;   in Loop: Header=BB35_3 Depth=1
	s_and_not1_saveexec_b32 s50, s65
	s_cbranch_execnz .LBB35_1084
.LBB35_20:                              ;   in Loop: Header=BB35_3 Depth=1
	s_or_b32 exec_lo, exec_lo, s50
	s_and_saveexec_b32 s50, s9
	s_delay_alu instid0(SALU_CYCLE_1)
	s_xor_b32 s65, exec_lo, s50
	s_cbranch_execnz .LBB35_1085
.LBB35_21:                              ;   in Loop: Header=BB35_3 Depth=1
	s_and_not1_saveexec_b32 s50, s65
	s_cbranch_execz .LBB35_23
.LBB35_22:                              ;   in Loop: Header=BB35_3 Depth=1
	v_lshl_add_u64 v[34:35], v[18:19], 3, s[84:85]
	global_load_b64 v[34:35], v[34:35], off
	s_wait_loadcnt 0x0
	v_xor_b32_e32 v35, 0x80000000, v35
	ds_store_b64 v76, v[34:35]
.LBB35_23:                              ;   in Loop: Header=BB35_3 Depth=1
	s_or_b32 exec_lo, exec_lo, s50
	s_mov_b32 s50, 0
.LBB35_24:                              ;   in Loop: Header=BB35_3 Depth=1
	s_delay_alu instid0(SALU_CYCLE_1)
	s_and_b32 vcc_lo, exec_lo, s50
	s_cbranch_vccz .LBB35_66
; %bb.25:                               ;   in Loop: Header=BB35_3 Depth=1
	s_wait_xcnt 0x0
	s_mov_b32 s50, exec_lo
	v_readlane_b32 s51, v98, 17
	s_and_b32 s51, s50, s51
	s_delay_alu instid0(SALU_CYCLE_1)
	s_xor_b32 s65, s51, s50
	s_mov_b32 exec_lo, s51
	s_cbranch_execz .LBB35_33
; %bb.26:                               ;   in Loop: Header=BB35_3 Depth=1
	s_mov_b32 s50, exec_lo
	v_readlane_b32 s51, v98, 22
	s_and_b32 s51, s50, s51
	s_delay_alu instid0(SALU_CYCLE_1)
	s_xor_b32 s50, s51, s50
	s_mov_b32 exec_lo, s51
	s_cbranch_execz .LBB35_30
; %bb.27:                               ;   in Loop: Header=BB35_3 Depth=1
	s_mov_b32 s51, exec_lo
	v_readlane_b32 s52, v97, 31
	s_and_b32 s52, s51, s52
	s_delay_alu instid0(SALU_CYCLE_1)
	s_mov_b32 exec_lo, s52
; %bb.28:                               ;   in Loop: Header=BB35_3 Depth=1
	ds_store_b64 v80, v[20:21]
; %bb.29:                               ;   in Loop: Header=BB35_3 Depth=1
	s_or_b32 exec_lo, exec_lo, s51
.LBB35_30:                              ;   in Loop: Header=BB35_3 Depth=1
	s_and_not1_saveexec_b32 s50, s50
	s_cbranch_execz .LBB35_32
; %bb.31:                               ;   in Loop: Header=BB35_3 Depth=1
	v_lshl_add_u64 v[34:35], v[12:13], 3, s[84:85]
	global_load_b64 v[34:35], v[34:35], off
	s_wait_loadcnt 0x0
	v_div_scale_f64 v[36:37], null, v[34:35], v[34:35], 1.0
	s_delay_alu instid0(VALU_DEP_1) | instskip(SKIP_1) | instid1(TRANS32_DEP_1)
	v_rcp_f64_e32 v[38:39], v[36:37]
	v_nop
	v_fma_f64 v[92:93], -v[36:37], v[38:39], 1.0
	s_delay_alu instid0(VALU_DEP_1) | instskip(NEXT) | instid1(VALU_DEP_1)
	v_fmac_f64_e32 v[38:39], v[38:39], v[92:93]
	v_fma_f64 v[92:93], -v[36:37], v[38:39], 1.0
	s_delay_alu instid0(VALU_DEP_1) | instskip(SKIP_1) | instid1(VALU_DEP_1)
	v_fmac_f64_e32 v[38:39], v[38:39], v[92:93]
	v_div_scale_f64 v[92:93], vcc_lo, 1.0, v[34:35], 1.0
	v_mul_f64_e32 v[94:95], v[92:93], v[38:39]
	s_delay_alu instid0(VALU_DEP_1) | instskip(NEXT) | instid1(VALU_DEP_1)
	v_fma_f64 v[36:37], -v[36:37], v[94:95], v[92:93]
	v_div_fmas_f64 v[36:37], v[36:37], v[38:39], v[94:95]
	s_delay_alu instid0(VALU_DEP_1)
	v_div_fixup_f64 v[34:35], v[36:37], v[34:35], 1.0
	ds_store_b64 v80, v[34:35]
.LBB35_32:                              ;   in Loop: Header=BB35_3 Depth=1
	s_or_b32 exec_lo, exec_lo, s50
.LBB35_33:                              ;   in Loop: Header=BB35_3 Depth=1
	s_and_not1_saveexec_b32 s50, s65
	s_cbranch_execz .LBB35_35
; %bb.34:                               ;   in Loop: Header=BB35_3 Depth=1
	v_lshl_add_u64 v[34:35], v[12:13], 3, s[84:85]
	global_load_b64 v[34:35], v[34:35], off
	s_wait_loadcnt 0x0
	v_xor_b32_e32 v35, 0x80000000, v35
	ds_store_b64 v80, v[34:35]
.LBB35_35:                              ;   in Loop: Header=BB35_3 Depth=1
	s_or_b32 exec_lo, exec_lo, s50
	s_delay_alu instid0(SALU_CYCLE_1) | instskip(SKIP_2) | instid1(SALU_CYCLE_1)
	s_mov_b32 s50, exec_lo
	v_readlane_b32 s51, v98, 18
	s_and_b32 s51, s50, s51
	s_xor_b32 s65, s51, s50
	s_mov_b32 exec_lo, s51
	s_cbranch_execz .LBB35_43
; %bb.36:                               ;   in Loop: Header=BB35_3 Depth=1
	s_mov_b32 s50, exec_lo
	v_readlane_b32 s51, v98, 24
	s_and_b32 s51, s50, s51
	s_delay_alu instid0(SALU_CYCLE_1)
	s_xor_b32 s50, s51, s50
	s_mov_b32 exec_lo, s51
	s_cbranch_execz .LBB35_40
; %bb.37:                               ;   in Loop: Header=BB35_3 Depth=1
	s_mov_b32 s51, exec_lo
	v_readlane_b32 s52, v96, 0
	s_and_b32 s52, s51, s52
	s_delay_alu instid0(SALU_CYCLE_1)
	s_mov_b32 exec_lo, s52
; %bb.38:                               ;   in Loop: Header=BB35_3 Depth=1
	ds_store_b64 v73, v[20:21]
; %bb.39:                               ;   in Loop: Header=BB35_3 Depth=1
	s_or_b32 exec_lo, exec_lo, s51
.LBB35_40:                              ;   in Loop: Header=BB35_3 Depth=1
	s_and_not1_saveexec_b32 s50, s50
	s_cbranch_execz .LBB35_42
; %bb.41:                               ;   in Loop: Header=BB35_3 Depth=1
	v_lshl_add_u64 v[34:35], v[14:15], 3, s[84:85]
	global_load_b64 v[34:35], v[34:35], off
	s_wait_loadcnt 0x0
	v_div_scale_f64 v[36:37], null, v[34:35], v[34:35], 1.0
	s_delay_alu instid0(VALU_DEP_1) | instskip(SKIP_1) | instid1(TRANS32_DEP_1)
	v_rcp_f64_e32 v[38:39], v[36:37]
	v_nop
	v_fma_f64 v[92:93], -v[36:37], v[38:39], 1.0
	s_delay_alu instid0(VALU_DEP_1) | instskip(NEXT) | instid1(VALU_DEP_1)
	v_fmac_f64_e32 v[38:39], v[38:39], v[92:93]
	v_fma_f64 v[92:93], -v[36:37], v[38:39], 1.0
	s_delay_alu instid0(VALU_DEP_1) | instskip(SKIP_1) | instid1(VALU_DEP_1)
	v_fmac_f64_e32 v[38:39], v[38:39], v[92:93]
	v_div_scale_f64 v[92:93], vcc_lo, 1.0, v[34:35], 1.0
	v_mul_f64_e32 v[94:95], v[92:93], v[38:39]
	s_delay_alu instid0(VALU_DEP_1) | instskip(NEXT) | instid1(VALU_DEP_1)
	v_fma_f64 v[36:37], -v[36:37], v[94:95], v[92:93]
	v_div_fmas_f64 v[36:37], v[36:37], v[38:39], v[94:95]
	s_delay_alu instid0(VALU_DEP_1)
	v_div_fixup_f64 v[34:35], v[36:37], v[34:35], 1.0
	ds_store_b64 v73, v[34:35]
.LBB35_42:                              ;   in Loop: Header=BB35_3 Depth=1
	s_or_b32 exec_lo, exec_lo, s50
.LBB35_43:                              ;   in Loop: Header=BB35_3 Depth=1
	s_and_not1_saveexec_b32 s50, s65
	s_cbranch_execz .LBB35_45
; %bb.44:                               ;   in Loop: Header=BB35_3 Depth=1
	v_lshl_add_u64 v[34:35], v[14:15], 3, s[84:85]
	global_load_b64 v[34:35], v[34:35], off
	s_wait_loadcnt 0x0
	v_xor_b32_e32 v35, 0x80000000, v35
	ds_store_b64 v73, v[34:35]
.LBB35_45:                              ;   in Loop: Header=BB35_3 Depth=1
	s_or_b32 exec_lo, exec_lo, s50
	s_delay_alu instid0(SALU_CYCLE_1) | instskip(SKIP_2) | instid1(SALU_CYCLE_1)
	s_mov_b32 s50, exec_lo
	v_readlane_b32 s51, v98, 19
	s_and_b32 s51, s50, s51
	;; [unrolled: 63-line block ×3, first 2 shown]
	s_xor_b32 s65, s51, s50
	s_mov_b32 exec_lo, s51
	s_cbranch_execz .LBB35_63
; %bb.56:                               ;   in Loop: Header=BB35_3 Depth=1
	s_mov_b32 s50, exec_lo
	v_readlane_b32 s51, v98, 28
	s_and_b32 s51, s50, s51
	s_delay_alu instid0(SALU_CYCLE_1)
	s_xor_b32 s50, s51, s50
	s_mov_b32 exec_lo, s51
	s_cbranch_execz .LBB35_60
; %bb.57:                               ;   in Loop: Header=BB35_3 Depth=1
	s_mov_b32 s51, exec_lo
	v_readlane_b32 s52, v96, 2
	s_and_b32 s52, s51, s52
	s_delay_alu instid0(SALU_CYCLE_1)
	s_mov_b32 exec_lo, s52
; %bb.58:                               ;   in Loop: Header=BB35_3 Depth=1
	ds_store_b64 v76, v[20:21]
; %bb.59:                               ;   in Loop: Header=BB35_3 Depth=1
	s_or_b32 exec_lo, exec_lo, s51
.LBB35_60:                              ;   in Loop: Header=BB35_3 Depth=1
	s_and_not1_saveexec_b32 s50, s50
	s_cbranch_execz .LBB35_62
; %bb.61:                               ;   in Loop: Header=BB35_3 Depth=1
	v_lshl_add_u64 v[34:35], v[18:19], 3, s[84:85]
	global_load_b64 v[34:35], v[34:35], off
	s_wait_loadcnt 0x0
	v_div_scale_f64 v[36:37], null, v[34:35], v[34:35], 1.0
	s_delay_alu instid0(VALU_DEP_1) | instskip(SKIP_1) | instid1(TRANS32_DEP_1)
	v_rcp_f64_e32 v[38:39], v[36:37]
	v_nop
	v_fma_f64 v[92:93], -v[36:37], v[38:39], 1.0
	s_delay_alu instid0(VALU_DEP_1) | instskip(NEXT) | instid1(VALU_DEP_1)
	v_fmac_f64_e32 v[38:39], v[38:39], v[92:93]
	v_fma_f64 v[92:93], -v[36:37], v[38:39], 1.0
	s_delay_alu instid0(VALU_DEP_1) | instskip(SKIP_1) | instid1(VALU_DEP_1)
	v_fmac_f64_e32 v[38:39], v[38:39], v[92:93]
	v_div_scale_f64 v[92:93], vcc_lo, 1.0, v[34:35], 1.0
	v_mul_f64_e32 v[94:95], v[92:93], v[38:39]
	s_delay_alu instid0(VALU_DEP_1) | instskip(NEXT) | instid1(VALU_DEP_1)
	v_fma_f64 v[36:37], -v[36:37], v[94:95], v[92:93]
	v_div_fmas_f64 v[36:37], v[36:37], v[38:39], v[94:95]
	s_delay_alu instid0(VALU_DEP_1)
	v_div_fixup_f64 v[34:35], v[36:37], v[34:35], 1.0
	ds_store_b64 v76, v[34:35]
.LBB35_62:                              ;   in Loop: Header=BB35_3 Depth=1
	s_or_b32 exec_lo, exec_lo, s50
.LBB35_63:                              ;   in Loop: Header=BB35_3 Depth=1
	s_and_not1_saveexec_b32 s50, s65
	s_cbranch_execz .LBB35_65
; %bb.64:                               ;   in Loop: Header=BB35_3 Depth=1
	v_lshl_add_u64 v[34:35], v[18:19], 3, s[84:85]
	global_load_b64 v[34:35], v[34:35], off
	s_wait_loadcnt 0x0
	v_xor_b32_e32 v35, 0x80000000, v35
	ds_store_b64 v76, v[34:35]
.LBB35_65:                              ;   in Loop: Header=BB35_3 Depth=1
	s_or_b32 exec_lo, exec_lo, s50
.LBB35_66:                              ;   in Loop: Header=BB35_3 Depth=1
	s_delay_alu instid0(SALU_CYCLE_1)
	s_and_not1_b32 vcc_lo, exec_lo, s93
	s_wait_loadcnt_dscnt 0x0
	s_barrier_signal -1
	s_barrier_wait -1
	s_cbranch_vccnz .LBB35_996
; %bb.67:                               ;   in Loop: Header=BB35_3 Depth=1
	s_and_saveexec_b32 s50, s14
	s_cbranch_execz .LBB35_69
; %bb.68:                               ;   in Loop: Header=BB35_3 Depth=1
	ds_load_b128 v[34:37], v5
	ds_load_b64 v[38:39], v5 offset:520
	s_wait_dscnt 0x0
	v_mul_f64_e32 v[34:35], v[34:35], v[38:39]
	s_delay_alu instid0(VALU_DEP_1)
	v_mul_f64_e32 v[34:35], v[36:37], v[34:35]
	ds_store_2addr_b64 v5, v[34:35], v[34:35] offset0:1 offset1:64
.LBB35_69:                              ;   in Loop: Header=BB35_3 Depth=1
	s_or_b32 exec_lo, exec_lo, s50
	v_mov_b64_e32 v[34:35], 0
	s_wait_dscnt 0x0
	s_barrier_signal -1
	s_barrier_wait -1
	s_and_saveexec_b32 s50, s0
	s_cbranch_execz .LBB35_73
; %bb.70:                               ;   in Loop: Header=BB35_3 Depth=1
	ds_load_b64 v[34:35], v41 offset:16
	ds_load_b64 v[36:37], v42
	s_wait_dscnt 0x0
	v_fma_f64 v[34:35], v[34:35], v[36:37], 0
	s_and_saveexec_b32 s51, s15
	s_cbranch_execz .LBB35_72
; %bb.71:                               ;   in Loop: Header=BB35_3 Depth=1
	ds_load_b64 v[36:37], v43 offset:528
	ds_load_b64 v[38:39], v5 offset:8
	s_wait_dscnt 0x0
	v_fmac_f64_e32 v[34:35], v[36:37], v[38:39]
.LBB35_72:                              ;   in Loop: Header=BB35_3 Depth=1
	s_or_b32 exec_lo, exec_lo, s51
	s_delay_alu instid0(VALU_DEP_1)
	v_xor_b32_e32 v35, 0x80000000, v35
.LBB35_73:                              ;   in Loop: Header=BB35_3 Depth=1
	s_or_b32 exec_lo, exec_lo, s50
	s_and_saveexec_b32 s50, s94
	s_cbranch_execz .LBB35_75
; %bb.74:                               ;   in Loop: Header=BB35_3 Depth=1
	ds_load_b64 v[36:37], v5 offset:1040
	s_wait_dscnt 0x0
	v_mul_f64_e32 v[34:35], v[34:35], v[36:37]
	ds_store_b64 v3, v[34:35]
.LBB35_75:                              ;   in Loop: Header=BB35_3 Depth=1
	s_or_b32 exec_lo, exec_lo, s50
	s_wait_dscnt 0x0
	s_barrier_signal -1
	s_barrier_wait -1
	s_and_saveexec_b32 s50, s95
	s_cbranch_execz .LBB35_77
; %bb.76:                               ;   in Loop: Header=BB35_3 Depth=1
	ds_load_b64 v[36:37], v5 offset:1048
	ds_load_b64 v[38:39], v3
	s_wait_dscnt 0x0
	v_fmac_f64_e32 v[34:35], v[36:37], v[38:39]
.LBB35_77:                              ;   in Loop: Header=BB35_3 Depth=1
	s_or_b32 exec_lo, exec_lo, s50
	s_barrier_signal -1
	s_barrier_wait -1
	s_and_saveexec_b32 s50, s95
	s_cbranch_execz .LBB35_79
; %bb.78:                               ;   in Loop: Header=BB35_3 Depth=1
	ds_load_b64 v[36:37], v5 offset:1560
	s_wait_dscnt 0x0
	v_mul_f64_e32 v[34:35], v[34:35], v[36:37]
	ds_store_b64 v3, v[34:35]
.LBB35_79:                              ;   in Loop: Header=BB35_3 Depth=1
	s_or_b32 exec_lo, exec_lo, s50
	s_wait_dscnt 0x0
	s_barrier_signal -1
	s_barrier_wait -1
	s_barrier_signal -1
	s_barrier_wait -1
	s_and_saveexec_b32 s50, s0
; %bb.80:                               ;   in Loop: Header=BB35_3 Depth=1
	s_delay_alu instid0(VALU_DEP_1)
	v_xor_b32_e32 v35, 0x80000000, v35
	ds_store_b64 v41, v[34:35] offset:16
; %bb.81:                               ;   in Loop: Header=BB35_3 Depth=1
	s_or_b32 exec_lo, exec_lo, s50
	s_wait_dscnt 0x0
	s_barrier_signal -1
	s_barrier_wait -1
	s_barrier_signal -1
	s_barrier_wait -1
	s_and_saveexec_b32 s50, s96
	s_cbranch_execz .LBB35_83
; %bb.82:                               ;   in Loop: Header=BB35_3 Depth=1
	ds_load_b64 v[34:35], v46 offset:16
	s_wait_dscnt 0x0
	ds_store_b64 v43, v[34:35] offset:1024
	ds_load_b64 v[34:35], v46 offset:24
	s_wait_dscnt 0x0
	ds_store_b64 v43, v[34:35] offset:1536
.LBB35_83:                              ;   in Loop: Header=BB35_3 Depth=1
	s_or_b32 exec_lo, exec_lo, s50
	s_wait_dscnt 0x0
	s_barrier_signal -1
	s_barrier_wait -1
	s_and_saveexec_b32 s50, s14
	s_cbranch_execz .LBB35_85
; %bb.84:                               ;   in Loop: Header=BB35_3 Depth=1
	ds_load_b128 v[34:37], v5 offset:1040
	ds_load_b64 v[38:39], v5 offset:1560
	s_wait_dscnt 0x0
	v_mul_f64_e32 v[34:35], v[34:35], v[38:39]
	s_delay_alu instid0(VALU_DEP_1)
	v_mul_f64_e32 v[34:35], v[36:37], v[34:35]
	ds_store_2addr_b64 v5, v[34:35], v[34:35] offset0:131 offset1:194
.LBB35_85:                              ;   in Loop: Header=BB35_3 Depth=1
	s_or_b32 exec_lo, exec_lo, s50
	v_mov_b64_e32 v[34:35], 0
	s_wait_dscnt 0x0
	s_barrier_signal -1
	s_barrier_wait -1
	s_and_saveexec_b32 s65, s2
	s_cbranch_execz .LBB35_91
; %bb.86:                               ;   in Loop: Header=BB35_3 Depth=1
	ds_load_b64 v[34:35], v48 offset:32
	ds_load_b64 v[36:37], v44
	s_wait_dscnt 0x0
	v_fma_f64 v[34:35], v[34:35], v[36:37], 0
	s_and_saveexec_b32 s50, s16
	s_cbranch_execnz .LBB35_1099
; %bb.87:                               ;   in Loop: Header=BB35_3 Depth=1
	s_or_b32 exec_lo, exec_lo, s50
	s_and_saveexec_b32 s50, s17
	s_cbranch_execnz .LBB35_1100
.LBB35_88:                              ;   in Loop: Header=BB35_3 Depth=1
	s_or_b32 exec_lo, exec_lo, s50
	s_and_saveexec_b32 s50, s0
	s_cbranch_execz .LBB35_90
.LBB35_89:                              ;   in Loop: Header=BB35_3 Depth=1
	ds_load_b64 v[36:37], v50 offset:1568
	ds_load_b64 v[38:39], v5 offset:24
	s_wait_dscnt 0x0
	v_fmac_f64_e32 v[34:35], v[36:37], v[38:39]
.LBB35_90:                              ;   in Loop: Header=BB35_3 Depth=1
	s_or_b32 exec_lo, exec_lo, s50
	s_delay_alu instid0(VALU_DEP_1)
	v_xor_b32_e32 v35, 0x80000000, v35
.LBB35_91:                              ;   in Loop: Header=BB35_3 Depth=1
	s_or_b32 exec_lo, exec_lo, s65
	s_and_saveexec_b32 s50, s97
	s_cbranch_execz .LBB35_93
; %bb.92:                               ;   in Loop: Header=BB35_3 Depth=1
	ds_load_b64 v[36:37], v5 offset:2080
	s_wait_dscnt 0x0
	v_mul_f64_e32 v[34:35], v[34:35], v[36:37]
	ds_store_b64 v47, v[34:35]
.LBB35_93:                              ;   in Loop: Header=BB35_3 Depth=1
	s_or_b32 exec_lo, exec_lo, s50
	s_wait_dscnt 0x0
	s_barrier_signal -1
	s_barrier_wait -1
	s_and_saveexec_b32 s50, s98
	s_cbranch_execz .LBB35_95
; %bb.94:                               ;   in Loop: Header=BB35_3 Depth=1
	ds_load_b64 v[36:37], v45 offset:2080
	ds_load_b64 v[38:39], v47
	s_wait_dscnt 0x0
	v_fmac_f64_e32 v[34:35], v[36:37], v[38:39]
.LBB35_95:                              ;   in Loop: Header=BB35_3 Depth=1
	s_or_b32 exec_lo, exec_lo, s50
	s_barrier_signal -1
	s_barrier_wait -1
	s_and_saveexec_b32 s50, s99
	s_cbranch_execz .LBB35_97
; %bb.96:                               ;   in Loop: Header=BB35_3 Depth=1
	ds_load_b64 v[36:37], v5 offset:2600
	s_wait_dscnt 0x0
	v_mul_f64_e32 v[34:35], v[34:35], v[36:37]
	ds_store_b64 v47, v[34:35]
.LBB35_97:                              ;   in Loop: Header=BB35_3 Depth=1
	s_or_b32 exec_lo, exec_lo, s50
	s_wait_dscnt 0x0
	s_barrier_signal -1
	s_barrier_wait -1
	s_and_saveexec_b32 s50, s100
	s_cbranch_execz .LBB35_99
; %bb.98:                               ;   in Loop: Header=BB35_3 Depth=1
	ds_load_b64 v[36:37], v45 offset:2592
	ds_load_b64 v[38:39], v47
	s_wait_dscnt 0x0
	v_fmac_f64_e32 v[34:35], v[36:37], v[38:39]
.LBB35_99:                              ;   in Loop: Header=BB35_3 Depth=1
	s_or_b32 exec_lo, exec_lo, s50
	s_barrier_signal -1
	s_barrier_wait -1
	s_and_saveexec_b32 s50, s101
	s_cbranch_execz .LBB35_101
; %bb.100:                              ;   in Loop: Header=BB35_3 Depth=1
	ds_load_b64 v[36:37], v5 offset:3120
	s_wait_dscnt 0x0
	v_mul_f64_e32 v[34:35], v[34:35], v[36:37]
	ds_store_b64 v47, v[34:35]
.LBB35_101:                             ;   in Loop: Header=BB35_3 Depth=1
	s_or_b32 exec_lo, exec_lo, s50
	s_wait_dscnt 0x0
	s_barrier_signal -1
	s_barrier_wait -1
	s_and_saveexec_b32 s50, s102
	s_cbranch_execz .LBB35_103
; %bb.102:                              ;   in Loop: Header=BB35_3 Depth=1
	ds_load_b64 v[36:37], v5 offset:3128
	ds_load_b64 v[38:39], v47
	s_wait_dscnt 0x0
	v_fmac_f64_e32 v[34:35], v[36:37], v[38:39]
.LBB35_103:                             ;   in Loop: Header=BB35_3 Depth=1
	s_or_b32 exec_lo, exec_lo, s50
	s_barrier_signal -1
	s_barrier_wait -1
	s_and_saveexec_b32 s50, s102
	s_cbranch_execz .LBB35_105
; %bb.104:                              ;   in Loop: Header=BB35_3 Depth=1
	ds_load_b64 v[36:37], v5 offset:3640
	s_wait_dscnt 0x0
	v_mul_f64_e32 v[34:35], v[34:35], v[36:37]
	ds_store_b64 v47, v[34:35]
.LBB35_105:                             ;   in Loop: Header=BB35_3 Depth=1
	s_or_b32 exec_lo, exec_lo, s50
	s_wait_dscnt 0x0
	s_barrier_signal -1
	s_barrier_wait -1
	s_barrier_signal -1
	s_barrier_wait -1
	s_and_saveexec_b32 s50, s2
; %bb.106:                              ;   in Loop: Header=BB35_3 Depth=1
	s_delay_alu instid0(VALU_DEP_1)
	v_xor_b32_e32 v35, 0x80000000, v35
	ds_store_b64 v48, v[34:35] offset:32
; %bb.107:                              ;   in Loop: Header=BB35_3 Depth=1
	s_or_b32 exec_lo, exec_lo, s50
	s_wait_dscnt 0x0
	s_barrier_signal -1
	s_barrier_wait -1
	s_barrier_signal -1
	s_barrier_wait -1
	s_and_saveexec_b32 s50, s103
	s_cbranch_execz .LBB35_109
; %bb.108:                              ;   in Loop: Header=BB35_3 Depth=1
	ds_load_b64 v[34:35], v51 offset:32
	s_wait_dscnt 0x0
	ds_store_b64 v52, v[34:35] offset:2048
	ds_load_b64 v[34:35], v51 offset:40
	s_wait_dscnt 0x0
	ds_store_b64 v52, v[34:35] offset:2560
	;; [unrolled: 3-line block ×4, first 2 shown]
.LBB35_109:                             ;   in Loop: Header=BB35_3 Depth=1
	s_or_b32 exec_lo, exec_lo, s50
	s_wait_dscnt 0x0
	s_barrier_signal -1
	s_barrier_wait -1
	s_and_saveexec_b32 s50, s14
	s_cbranch_execz .LBB35_111
; %bb.110:                              ;   in Loop: Header=BB35_3 Depth=1
	ds_load_b128 v[34:37], v5 offset:2080
	ds_load_b64 v[38:39], v5 offset:2600
	s_wait_dscnt 0x0
	v_mul_f64_e32 v[34:35], v[34:35], v[38:39]
	s_delay_alu instid0(VALU_DEP_1)
	v_mul_f64_e32 v[34:35], v[36:37], v[34:35]
	v_add_nc_u32_e64 v36, 0x800, 0
	ds_store_2addr_b64 v36, v[34:35], v[34:35] offset0:5 offset1:68
.LBB35_111:                             ;   in Loop: Header=BB35_3 Depth=1
	s_or_b32 exec_lo, exec_lo, s50
	v_mov_b64_e32 v[34:35], 0
	s_wait_dscnt 0x0
	s_barrier_signal -1
	s_barrier_wait -1
	s_and_saveexec_b32 s50, s0
	s_cbranch_execz .LBB35_115
; %bb.112:                              ;   in Loop: Header=BB35_3 Depth=1
	ds_load_b64 v[34:35], v41 offset:2096
	ds_load_b64 v[36:37], v42 offset:2080
	s_wait_dscnt 0x0
	v_fma_f64 v[34:35], v[34:35], v[36:37], 0
	s_and_saveexec_b32 s51, s15
	s_cbranch_execz .LBB35_114
; %bb.113:                              ;   in Loop: Header=BB35_3 Depth=1
	ds_load_b64 v[36:37], v52 offset:2608
	ds_load_b64 v[38:39], v5 offset:2088
	s_wait_dscnt 0x0
	v_fmac_f64_e32 v[34:35], v[36:37], v[38:39]
.LBB35_114:                             ;   in Loop: Header=BB35_3 Depth=1
	s_or_b32 exec_lo, exec_lo, s51
	s_delay_alu instid0(VALU_DEP_1)
	v_xor_b32_e32 v35, 0x80000000, v35
.LBB35_115:                             ;   in Loop: Header=BB35_3 Depth=1
	s_or_b32 exec_lo, exec_lo, s50
	s_and_saveexec_b32 s50, s94
	s_cbranch_execz .LBB35_117
; %bb.116:                              ;   in Loop: Header=BB35_3 Depth=1
	ds_load_b64 v[36:37], v5 offset:3120
	s_wait_dscnt 0x0
	v_mul_f64_e32 v[34:35], v[34:35], v[36:37]
	ds_store_b64 v3, v[34:35]
.LBB35_117:                             ;   in Loop: Header=BB35_3 Depth=1
	s_or_b32 exec_lo, exec_lo, s50
	s_wait_dscnt 0x0
	s_barrier_signal -1
	s_barrier_wait -1
	s_and_saveexec_b32 s50, s95
	s_cbranch_execz .LBB35_119
; %bb.118:                              ;   in Loop: Header=BB35_3 Depth=1
	ds_load_b64 v[36:37], v5 offset:3128
	ds_load_b64 v[38:39], v3
	s_wait_dscnt 0x0
	v_fmac_f64_e32 v[34:35], v[36:37], v[38:39]
.LBB35_119:                             ;   in Loop: Header=BB35_3 Depth=1
	s_or_b32 exec_lo, exec_lo, s50
	s_barrier_signal -1
	s_barrier_wait -1
	s_and_saveexec_b32 s50, s95
	s_cbranch_execz .LBB35_121
; %bb.120:                              ;   in Loop: Header=BB35_3 Depth=1
	ds_load_b64 v[36:37], v5 offset:3640
	s_wait_dscnt 0x0
	v_mul_f64_e32 v[34:35], v[34:35], v[36:37]
	ds_store_b64 v3, v[34:35]
.LBB35_121:                             ;   in Loop: Header=BB35_3 Depth=1
	s_or_b32 exec_lo, exec_lo, s50
	s_wait_dscnt 0x0
	s_barrier_signal -1
	s_barrier_wait -1
	s_barrier_signal -1
	s_barrier_wait -1
	s_and_saveexec_b32 s50, s0
; %bb.122:                              ;   in Loop: Header=BB35_3 Depth=1
	s_delay_alu instid0(VALU_DEP_1)
	v_xor_b32_e32 v35, 0x80000000, v35
	ds_store_b64 v41, v[34:35] offset:2096
; %bb.123:                              ;   in Loop: Header=BB35_3 Depth=1
	s_or_b32 exec_lo, exec_lo, s50
	s_wait_dscnt 0x0
	s_barrier_signal -1
	s_barrier_wait -1
	s_barrier_signal -1
	s_barrier_wait -1
	s_and_saveexec_b32 s50, s96
	s_cbranch_execz .LBB35_125
; %bb.124:                              ;   in Loop: Header=BB35_3 Depth=1
	ds_load_b64 v[34:35], v55 offset:2096
	s_wait_dscnt 0x0
	ds_store_b64 v52, v[34:35] offset:3104
	ds_load_b64 v[34:35], v55 offset:2104
	s_wait_dscnt 0x0
	ds_store_b64 v52, v[34:35] offset:3616
.LBB35_125:                             ;   in Loop: Header=BB35_3 Depth=1
	s_or_b32 exec_lo, exec_lo, s50
	s_wait_dscnt 0x0
	s_barrier_signal -1
	s_barrier_wait -1
	s_and_saveexec_b32 s50, s14
	s_cbranch_execz .LBB35_127
; %bb.126:                              ;   in Loop: Header=BB35_3 Depth=1
	ds_load_b128 v[34:37], v5 offset:3120
	ds_load_b64 v[38:39], v5 offset:3640
	s_wait_dscnt 0x0
	v_mul_f64_e32 v[34:35], v[34:35], v[38:39]
	s_delay_alu instid0(VALU_DEP_1)
	v_mul_f64_e32 v[34:35], v[36:37], v[34:35]
	v_add_nc_u32_e64 v36, 0x800, 0
	ds_store_2addr_b64 v36, v[34:35], v[34:35] offset0:135 offset1:198
.LBB35_127:                             ;   in Loop: Header=BB35_3 Depth=1
	s_or_b32 exec_lo, exec_lo, s50
	v_mov_b64_e32 v[34:35], 0
	s_wait_dscnt 0x0
	s_barrier_signal -1
	s_barrier_wait -1
	s_and_saveexec_b32 s65, s3
	s_cbranch_execz .LBB35_137
; %bb.128:                              ;   in Loop: Header=BB35_3 Depth=1
	ds_load_b64 v[34:35], v57 offset:64
	ds_load_b64 v[36:37], v53
	s_wait_dscnt 0x0
	v_fma_f64 v[34:35], v[34:35], v[36:37], 0
	s_and_saveexec_b32 s50, s18
	s_cbranch_execnz .LBB35_1101
; %bb.129:                              ;   in Loop: Header=BB35_3 Depth=1
	s_or_b32 exec_lo, exec_lo, s50
	s_and_saveexec_b32 s50, s19
	s_cbranch_execnz .LBB35_1102
.LBB35_130:                             ;   in Loop: Header=BB35_3 Depth=1
	s_or_b32 exec_lo, exec_lo, s50
	s_and_saveexec_b32 s50, s20
	s_cbranch_execnz .LBB35_1103
.LBB35_131:                             ;   in Loop: Header=BB35_3 Depth=1
	s_or_b32 exec_lo, exec_lo, s50
	s_and_saveexec_b32 s50, s21
	s_cbranch_execnz .LBB35_1104
.LBB35_132:                             ;   in Loop: Header=BB35_3 Depth=1
	s_or_b32 exec_lo, exec_lo, s50
	s_and_saveexec_b32 s50, s22
	s_cbranch_execnz .LBB35_1105
.LBB35_133:                             ;   in Loop: Header=BB35_3 Depth=1
	s_or_b32 exec_lo, exec_lo, s50
	s_and_saveexec_b32 s50, s2
	s_cbranch_execnz .LBB35_1106
.LBB35_134:                             ;   in Loop: Header=BB35_3 Depth=1
	s_or_b32 exec_lo, exec_lo, s50
	s_and_saveexec_b32 s50, s17
	s_cbranch_execz .LBB35_136
.LBB35_135:                             ;   in Loop: Header=BB35_3 Depth=1
	ds_load_b64 v[36:37], v59 offset:3648
	ds_load_b64 v[38:39], v5 offset:56
	s_wait_dscnt 0x0
	v_fmac_f64_e32 v[34:35], v[36:37], v[38:39]
.LBB35_136:                             ;   in Loop: Header=BB35_3 Depth=1
	s_or_b32 exec_lo, exec_lo, s50
	s_delay_alu instid0(VALU_DEP_1)
	v_xor_b32_e32 v35, 0x80000000, v35
.LBB35_137:                             ;   in Loop: Header=BB35_3 Depth=1
	s_or_b32 exec_lo, exec_lo, s65
	s_and_saveexec_b32 s50, s104
	s_cbranch_execz .LBB35_139
; %bb.138:                              ;   in Loop: Header=BB35_3 Depth=1
	ds_load_b64 v[36:37], v5 offset:4160
	s_wait_dscnt 0x0
	v_mul_f64_e32 v[34:35], v[34:35], v[36:37]
	ds_store_b64 v56, v[34:35]
.LBB35_139:                             ;   in Loop: Header=BB35_3 Depth=1
	s_or_b32 exec_lo, exec_lo, s50
	s_wait_dscnt 0x0
	s_barrier_signal -1
	s_barrier_wait -1
	s_and_saveexec_b32 s50, vcc_hi
	s_cbranch_execz .LBB35_141
; %bb.140:                              ;   in Loop: Header=BB35_3 Depth=1
	ds_load_b64 v[36:37], v54 offset:4160
	ds_load_b64 v[38:39], v56
	s_wait_dscnt 0x0
	v_fmac_f64_e32 v[34:35], v[36:37], v[38:39]
.LBB35_141:                             ;   in Loop: Header=BB35_3 Depth=1
	s_or_b32 exec_lo, exec_lo, s50
	s_barrier_signal -1
	s_barrier_wait -1
	s_and_saveexec_b32 s50, s36
	s_cbranch_execz .LBB35_143
; %bb.142:                              ;   in Loop: Header=BB35_3 Depth=1
	ds_load_b64 v[36:37], v5 offset:4680
	s_wait_dscnt 0x0
	v_mul_f64_e32 v[34:35], v[34:35], v[36:37]
	ds_store_b64 v56, v[34:35]
.LBB35_143:                             ;   in Loop: Header=BB35_3 Depth=1
	s_or_b32 exec_lo, exec_lo, s50
	s_wait_dscnt 0x0
	s_barrier_signal -1
	s_barrier_wait -1
	s_and_saveexec_b32 s50, s37
	s_cbranch_execz .LBB35_145
; %bb.144:                              ;   in Loop: Header=BB35_3 Depth=1
	ds_load_b64 v[36:37], v54 offset:4672
	ds_load_b64 v[38:39], v56
	s_wait_dscnt 0x0
	v_fmac_f64_e32 v[34:35], v[36:37], v[38:39]
.LBB35_145:                             ;   in Loop: Header=BB35_3 Depth=1
	s_or_b32 exec_lo, exec_lo, s50
	s_barrier_signal -1
	s_barrier_wait -1
	s_and_saveexec_b32 s50, s38
	s_cbranch_execz .LBB35_147
; %bb.146:                              ;   in Loop: Header=BB35_3 Depth=1
	ds_load_b64 v[36:37], v5 offset:5200
	s_wait_dscnt 0x0
	v_mul_f64_e32 v[34:35], v[34:35], v[36:37]
	ds_store_b64 v56, v[34:35]
.LBB35_147:                             ;   in Loop: Header=BB35_3 Depth=1
	s_or_b32 exec_lo, exec_lo, s50
	s_wait_dscnt 0x0
	s_barrier_signal -1
	s_barrier_wait -1
	s_and_saveexec_b32 s50, s39
	;; [unrolled: 23-line block ×6, first 2 shown]
	s_cbranch_execz .LBB35_165
; %bb.164:                              ;   in Loop: Header=BB35_3 Depth=1
	ds_load_b64 v[36:37], v5 offset:7288
	ds_load_b64 v[38:39], v56
	s_wait_dscnt 0x0
	v_fmac_f64_e32 v[34:35], v[36:37], v[38:39]
.LBB35_165:                             ;   in Loop: Header=BB35_3 Depth=1
	s_or_b32 exec_lo, exec_lo, s50
	s_barrier_signal -1
	s_barrier_wait -1
	s_and_saveexec_b32 s50, s47
	s_cbranch_execz .LBB35_167
; %bb.166:                              ;   in Loop: Header=BB35_3 Depth=1
	ds_load_b64 v[36:37], v5 offset:7800
	s_wait_dscnt 0x0
	v_mul_f64_e32 v[34:35], v[34:35], v[36:37]
	ds_store_b64 v56, v[34:35]
.LBB35_167:                             ;   in Loop: Header=BB35_3 Depth=1
	s_or_b32 exec_lo, exec_lo, s50
	s_wait_dscnt 0x0
	s_barrier_signal -1
	s_barrier_wait -1
	s_barrier_signal -1
	s_barrier_wait -1
	s_and_saveexec_b32 s50, s3
; %bb.168:                              ;   in Loop: Header=BB35_3 Depth=1
	s_delay_alu instid0(VALU_DEP_1)
	v_xor_b32_e32 v35, 0x80000000, v35
	ds_store_b64 v57, v[34:35] offset:64
; %bb.169:                              ;   in Loop: Header=BB35_3 Depth=1
	s_or_b32 exec_lo, exec_lo, s50
	s_wait_dscnt 0x0
	s_barrier_signal -1
	s_barrier_wait -1
	s_barrier_signal -1
	s_barrier_wait -1
	s_and_saveexec_b32 s50, s48
	s_cbranch_execz .LBB35_171
; %bb.170:                              ;   in Loop: Header=BB35_3 Depth=1
	ds_load_b64 v[34:35], v68 offset:64
	s_wait_dscnt 0x0
	ds_store_b64 v69, v[34:35] offset:4096
	ds_load_b64 v[34:35], v68 offset:72
	s_wait_dscnt 0x0
	ds_store_b64 v69, v[34:35] offset:4608
	;; [unrolled: 3-line block ×8, first 2 shown]
.LBB35_171:                             ;   in Loop: Header=BB35_3 Depth=1
	s_or_b32 exec_lo, exec_lo, s50
	s_wait_dscnt 0x0
	s_barrier_signal -1
	s_barrier_wait -1
	s_and_saveexec_b32 s50, s14
	s_cbranch_execz .LBB35_173
; %bb.172:                              ;   in Loop: Header=BB35_3 Depth=1
	ds_load_b128 v[34:37], v5 offset:4160
	ds_load_b64 v[38:39], v5 offset:4680
	s_wait_dscnt 0x0
	v_mul_f64_e32 v[34:35], v[34:35], v[38:39]
	s_delay_alu instid0(VALU_DEP_1)
	v_mul_f64_e32 v[34:35], v[36:37], v[34:35]
	v_add_nc_u32_e64 v36, 0x1000, 0
	ds_store_2addr_b64 v36, v[34:35], v[34:35] offset0:9 offset1:72
.LBB35_173:                             ;   in Loop: Header=BB35_3 Depth=1
	s_or_b32 exec_lo, exec_lo, s50
	v_mov_b64_e32 v[34:35], 0
	s_wait_dscnt 0x0
	s_barrier_signal -1
	s_barrier_wait -1
	s_and_saveexec_b32 s50, s0
	s_cbranch_execz .LBB35_177
; %bb.174:                              ;   in Loop: Header=BB35_3 Depth=1
	ds_load_b64 v[34:35], v41 offset:4176
	ds_load_b64 v[36:37], v42 offset:4160
	s_wait_dscnt 0x0
	v_fma_f64 v[34:35], v[34:35], v[36:37], 0
	s_and_saveexec_b32 s51, s15
	s_cbranch_execz .LBB35_176
; %bb.175:                              ;   in Loop: Header=BB35_3 Depth=1
	ds_load_b64 v[36:37], v69 offset:4688
	ds_load_b64 v[38:39], v5 offset:4168
	s_wait_dscnt 0x0
	v_fmac_f64_e32 v[34:35], v[36:37], v[38:39]
.LBB35_176:                             ;   in Loop: Header=BB35_3 Depth=1
	s_or_b32 exec_lo, exec_lo, s51
	s_delay_alu instid0(VALU_DEP_1)
	v_xor_b32_e32 v35, 0x80000000, v35
.LBB35_177:                             ;   in Loop: Header=BB35_3 Depth=1
	s_or_b32 exec_lo, exec_lo, s50
	s_and_saveexec_b32 s50, s94
	s_cbranch_execz .LBB35_179
; %bb.178:                              ;   in Loop: Header=BB35_3 Depth=1
	ds_load_b64 v[36:37], v5 offset:5200
	s_wait_dscnt 0x0
	v_mul_f64_e32 v[34:35], v[34:35], v[36:37]
	ds_store_b64 v3, v[34:35]
.LBB35_179:                             ;   in Loop: Header=BB35_3 Depth=1
	s_or_b32 exec_lo, exec_lo, s50
	s_wait_dscnt 0x0
	s_barrier_signal -1
	s_barrier_wait -1
	s_and_saveexec_b32 s50, s95
	s_cbranch_execz .LBB35_181
; %bb.180:                              ;   in Loop: Header=BB35_3 Depth=1
	ds_load_b64 v[36:37], v5 offset:5208
	ds_load_b64 v[38:39], v3
	s_wait_dscnt 0x0
	v_fmac_f64_e32 v[34:35], v[36:37], v[38:39]
.LBB35_181:                             ;   in Loop: Header=BB35_3 Depth=1
	s_or_b32 exec_lo, exec_lo, s50
	s_barrier_signal -1
	s_barrier_wait -1
	s_and_saveexec_b32 s50, s95
	s_cbranch_execz .LBB35_183
; %bb.182:                              ;   in Loop: Header=BB35_3 Depth=1
	ds_load_b64 v[36:37], v5 offset:5720
	s_wait_dscnt 0x0
	v_mul_f64_e32 v[34:35], v[34:35], v[36:37]
	ds_store_b64 v3, v[34:35]
.LBB35_183:                             ;   in Loop: Header=BB35_3 Depth=1
	s_or_b32 exec_lo, exec_lo, s50
	s_wait_dscnt 0x0
	s_barrier_signal -1
	s_barrier_wait -1
	s_barrier_signal -1
	s_barrier_wait -1
	s_and_saveexec_b32 s50, s0
; %bb.184:                              ;   in Loop: Header=BB35_3 Depth=1
	s_delay_alu instid0(VALU_DEP_1)
	v_xor_b32_e32 v35, 0x80000000, v35
	ds_store_b64 v41, v[34:35] offset:4176
; %bb.185:                              ;   in Loop: Header=BB35_3 Depth=1
	s_or_b32 exec_lo, exec_lo, s50
	s_wait_dscnt 0x0
	s_barrier_signal -1
	s_barrier_wait -1
	s_barrier_signal -1
	s_barrier_wait -1
	s_and_saveexec_b32 s50, s96
	s_cbranch_execz .LBB35_187
; %bb.186:                              ;   in Loop: Header=BB35_3 Depth=1
	ds_load_b64 v[34:35], v70 offset:4176
	s_wait_dscnt 0x0
	ds_store_b64 v69, v[34:35] offset:5184
	ds_load_b64 v[34:35], v70 offset:4184
	s_wait_dscnt 0x0
	ds_store_b64 v69, v[34:35] offset:5696
.LBB35_187:                             ;   in Loop: Header=BB35_3 Depth=1
	s_or_b32 exec_lo, exec_lo, s50
	s_wait_dscnt 0x0
	s_barrier_signal -1
	s_barrier_wait -1
	s_and_saveexec_b32 s50, s14
	s_cbranch_execz .LBB35_189
; %bb.188:                              ;   in Loop: Header=BB35_3 Depth=1
	ds_load_b128 v[34:37], v5 offset:5200
	ds_load_b64 v[38:39], v5 offset:5720
	s_wait_dscnt 0x0
	v_mul_f64_e32 v[34:35], v[34:35], v[38:39]
	s_delay_alu instid0(VALU_DEP_1)
	v_mul_f64_e32 v[34:35], v[36:37], v[34:35]
	v_add_nc_u32_e64 v36, 0x1000, 0
	ds_store_2addr_b64 v36, v[34:35], v[34:35] offset0:139 offset1:202
.LBB35_189:                             ;   in Loop: Header=BB35_3 Depth=1
	s_or_b32 exec_lo, exec_lo, s50
	v_mov_b64_e32 v[34:35], 0
	s_wait_dscnt 0x0
	s_barrier_signal -1
	s_barrier_wait -1
	s_and_saveexec_b32 s65, s2
	s_cbranch_execz .LBB35_195
; %bb.190:                              ;   in Loop: Header=BB35_3 Depth=1
	ds_load_b64 v[34:35], v48 offset:4192
	ds_load_b64 v[36:37], v44 offset:4160
	s_wait_dscnt 0x0
	v_fma_f64 v[34:35], v[34:35], v[36:37], 0
	s_and_saveexec_b32 s50, s16
	s_cbranch_execnz .LBB35_1107
; %bb.191:                              ;   in Loop: Header=BB35_3 Depth=1
	s_or_b32 exec_lo, exec_lo, s50
	s_and_saveexec_b32 s50, s17
	s_cbranch_execnz .LBB35_1108
.LBB35_192:                             ;   in Loop: Header=BB35_3 Depth=1
	s_or_b32 exec_lo, exec_lo, s50
	s_and_saveexec_b32 s50, s0
	s_cbranch_execz .LBB35_194
.LBB35_193:                             ;   in Loop: Header=BB35_3 Depth=1
	ds_load_b64 v[36:37], v71 offset:5728
	ds_load_b64 v[38:39], v5 offset:4184
	s_wait_dscnt 0x0
	v_fmac_f64_e32 v[34:35], v[36:37], v[38:39]
.LBB35_194:                             ;   in Loop: Header=BB35_3 Depth=1
	s_or_b32 exec_lo, exec_lo, s50
	s_delay_alu instid0(VALU_DEP_1)
	v_xor_b32_e32 v35, 0x80000000, v35
.LBB35_195:                             ;   in Loop: Header=BB35_3 Depth=1
	s_or_b32 exec_lo, exec_lo, s65
	s_and_saveexec_b32 s50, s97
	s_cbranch_execz .LBB35_197
; %bb.196:                              ;   in Loop: Header=BB35_3 Depth=1
	ds_load_b64 v[36:37], v5 offset:6240
	s_wait_dscnt 0x0
	v_mul_f64_e32 v[34:35], v[34:35], v[36:37]
	ds_store_b64 v47, v[34:35]
.LBB35_197:                             ;   in Loop: Header=BB35_3 Depth=1
	s_or_b32 exec_lo, exec_lo, s50
	s_wait_dscnt 0x0
	s_barrier_signal -1
	s_barrier_wait -1
	s_and_saveexec_b32 s50, s98
	s_cbranch_execz .LBB35_199
; %bb.198:                              ;   in Loop: Header=BB35_3 Depth=1
	ds_load_b64 v[36:37], v45 offset:6240
	ds_load_b64 v[38:39], v47
	s_wait_dscnt 0x0
	v_fmac_f64_e32 v[34:35], v[36:37], v[38:39]
.LBB35_199:                             ;   in Loop: Header=BB35_3 Depth=1
	s_or_b32 exec_lo, exec_lo, s50
	s_barrier_signal -1
	s_barrier_wait -1
	s_and_saveexec_b32 s50, s99
	s_cbranch_execz .LBB35_201
; %bb.200:                              ;   in Loop: Header=BB35_3 Depth=1
	ds_load_b64 v[36:37], v5 offset:6760
	s_wait_dscnt 0x0
	v_mul_f64_e32 v[34:35], v[34:35], v[36:37]
	ds_store_b64 v47, v[34:35]
.LBB35_201:                             ;   in Loop: Header=BB35_3 Depth=1
	s_or_b32 exec_lo, exec_lo, s50
	s_wait_dscnt 0x0
	s_barrier_signal -1
	s_barrier_wait -1
	s_and_saveexec_b32 s50, s100
	s_cbranch_execz .LBB35_203
; %bb.202:                              ;   in Loop: Header=BB35_3 Depth=1
	ds_load_b64 v[36:37], v45 offset:6752
	ds_load_b64 v[38:39], v47
	s_wait_dscnt 0x0
	v_fmac_f64_e32 v[34:35], v[36:37], v[38:39]
.LBB35_203:                             ;   in Loop: Header=BB35_3 Depth=1
	s_or_b32 exec_lo, exec_lo, s50
	s_barrier_signal -1
	s_barrier_wait -1
	s_and_saveexec_b32 s50, s101
	s_cbranch_execz .LBB35_205
; %bb.204:                              ;   in Loop: Header=BB35_3 Depth=1
	ds_load_b64 v[36:37], v5 offset:7280
	s_wait_dscnt 0x0
	v_mul_f64_e32 v[34:35], v[34:35], v[36:37]
	ds_store_b64 v47, v[34:35]
.LBB35_205:                             ;   in Loop: Header=BB35_3 Depth=1
	s_or_b32 exec_lo, exec_lo, s50
	s_wait_dscnt 0x0
	s_barrier_signal -1
	s_barrier_wait -1
	s_and_saveexec_b32 s50, s102
	s_cbranch_execz .LBB35_207
; %bb.206:                              ;   in Loop: Header=BB35_3 Depth=1
	ds_load_b64 v[36:37], v5 offset:7288
	ds_load_b64 v[38:39], v47
	s_wait_dscnt 0x0
	v_fmac_f64_e32 v[34:35], v[36:37], v[38:39]
.LBB35_207:                             ;   in Loop: Header=BB35_3 Depth=1
	s_or_b32 exec_lo, exec_lo, s50
	s_barrier_signal -1
	s_barrier_wait -1
	s_and_saveexec_b32 s50, s102
	s_cbranch_execz .LBB35_209
; %bb.208:                              ;   in Loop: Header=BB35_3 Depth=1
	ds_load_b64 v[36:37], v5 offset:7800
	s_wait_dscnt 0x0
	v_mul_f64_e32 v[34:35], v[34:35], v[36:37]
	ds_store_b64 v47, v[34:35]
.LBB35_209:                             ;   in Loop: Header=BB35_3 Depth=1
	s_or_b32 exec_lo, exec_lo, s50
	s_wait_dscnt 0x0
	s_barrier_signal -1
	s_barrier_wait -1
	s_barrier_signal -1
	s_barrier_wait -1
	s_and_saveexec_b32 s50, s2
; %bb.210:                              ;   in Loop: Header=BB35_3 Depth=1
	s_delay_alu instid0(VALU_DEP_1)
	v_xor_b32_e32 v35, 0x80000000, v35
	ds_store_b64 v48, v[34:35] offset:4192
; %bb.211:                              ;   in Loop: Header=BB35_3 Depth=1
	s_or_b32 exec_lo, exec_lo, s50
	s_wait_dscnt 0x0
	s_barrier_signal -1
	s_barrier_wait -1
	s_barrier_signal -1
	s_barrier_wait -1
	s_and_saveexec_b32 s50, s103
	s_cbranch_execz .LBB35_213
; %bb.212:                              ;   in Loop: Header=BB35_3 Depth=1
	ds_load_b64 v[34:35], v74 offset:4192
	s_wait_dscnt 0x0
	ds_store_b64 v77, v[34:35] offset:6208
	ds_load_b64 v[34:35], v74 offset:4200
	s_wait_dscnt 0x0
	ds_store_b64 v77, v[34:35] offset:6720
	;; [unrolled: 3-line block ×4, first 2 shown]
.LBB35_213:                             ;   in Loop: Header=BB35_3 Depth=1
	s_or_b32 exec_lo, exec_lo, s50
	s_wait_dscnt 0x0
	s_barrier_signal -1
	s_barrier_wait -1
	s_and_saveexec_b32 s50, s14
	s_cbranch_execz .LBB35_215
; %bb.214:                              ;   in Loop: Header=BB35_3 Depth=1
	ds_load_b128 v[34:37], v5 offset:6240
	ds_load_b64 v[38:39], v5 offset:6760
	s_wait_dscnt 0x0
	v_mul_f64_e32 v[34:35], v[34:35], v[38:39]
	s_delay_alu instid0(VALU_DEP_1)
	v_mul_f64_e32 v[34:35], v[36:37], v[34:35]
	v_add_nc_u32_e64 v36, 0x1800, 0
	ds_store_2addr_b64 v36, v[34:35], v[34:35] offset0:13 offset1:76
.LBB35_215:                             ;   in Loop: Header=BB35_3 Depth=1
	s_or_b32 exec_lo, exec_lo, s50
	v_mov_b64_e32 v[34:35], 0
	s_wait_dscnt 0x0
	s_barrier_signal -1
	s_barrier_wait -1
	s_and_saveexec_b32 s50, s0
	s_cbranch_execz .LBB35_219
; %bb.216:                              ;   in Loop: Header=BB35_3 Depth=1
	ds_load_b64 v[34:35], v41 offset:6256
	ds_load_b64 v[36:37], v42 offset:6240
	s_wait_dscnt 0x0
	v_fma_f64 v[34:35], v[34:35], v[36:37], 0
	s_and_saveexec_b32 s51, s15
	s_cbranch_execz .LBB35_218
; %bb.217:                              ;   in Loop: Header=BB35_3 Depth=1
	ds_load_b64 v[36:37], v77 offset:6768
	ds_load_b64 v[38:39], v5 offset:6248
	s_wait_dscnt 0x0
	v_fmac_f64_e32 v[34:35], v[36:37], v[38:39]
.LBB35_218:                             ;   in Loop: Header=BB35_3 Depth=1
	s_or_b32 exec_lo, exec_lo, s51
	s_delay_alu instid0(VALU_DEP_1)
	v_xor_b32_e32 v35, 0x80000000, v35
.LBB35_219:                             ;   in Loop: Header=BB35_3 Depth=1
	s_or_b32 exec_lo, exec_lo, s50
	s_and_saveexec_b32 s50, s94
	s_cbranch_execz .LBB35_221
; %bb.220:                              ;   in Loop: Header=BB35_3 Depth=1
	ds_load_b64 v[36:37], v5 offset:7280
	s_wait_dscnt 0x0
	v_mul_f64_e32 v[34:35], v[34:35], v[36:37]
	ds_store_b64 v3, v[34:35]
.LBB35_221:                             ;   in Loop: Header=BB35_3 Depth=1
	s_or_b32 exec_lo, exec_lo, s50
	s_wait_dscnt 0x0
	s_barrier_signal -1
	s_barrier_wait -1
	s_and_saveexec_b32 s50, s95
	s_cbranch_execz .LBB35_223
; %bb.222:                              ;   in Loop: Header=BB35_3 Depth=1
	ds_load_b64 v[36:37], v5 offset:7288
	ds_load_b64 v[38:39], v3
	s_wait_dscnt 0x0
	v_fmac_f64_e32 v[34:35], v[36:37], v[38:39]
.LBB35_223:                             ;   in Loop: Header=BB35_3 Depth=1
	s_or_b32 exec_lo, exec_lo, s50
	s_barrier_signal -1
	s_barrier_wait -1
	s_and_saveexec_b32 s50, s95
	s_cbranch_execz .LBB35_225
; %bb.224:                              ;   in Loop: Header=BB35_3 Depth=1
	ds_load_b64 v[36:37], v5 offset:7800
	s_wait_dscnt 0x0
	v_mul_f64_e32 v[34:35], v[34:35], v[36:37]
	ds_store_b64 v3, v[34:35]
.LBB35_225:                             ;   in Loop: Header=BB35_3 Depth=1
	s_or_b32 exec_lo, exec_lo, s50
	s_wait_dscnt 0x0
	s_barrier_signal -1
	s_barrier_wait -1
	s_barrier_signal -1
	s_barrier_wait -1
	s_and_saveexec_b32 s50, s0
; %bb.226:                              ;   in Loop: Header=BB35_3 Depth=1
	s_delay_alu instid0(VALU_DEP_1)
	v_xor_b32_e32 v35, 0x80000000, v35
	ds_store_b64 v41, v[34:35] offset:6256
; %bb.227:                              ;   in Loop: Header=BB35_3 Depth=1
	s_or_b32 exec_lo, exec_lo, s50
	s_wait_dscnt 0x0
	s_barrier_signal -1
	s_barrier_wait -1
	s_barrier_signal -1
	s_barrier_wait -1
	s_and_saveexec_b32 s50, s96
	s_cbranch_execz .LBB35_229
; %bb.228:                              ;   in Loop: Header=BB35_3 Depth=1
	ds_load_b64 v[34:35], v78 offset:6256
	s_wait_dscnt 0x0
	ds_store_b64 v77, v[34:35] offset:7264
	ds_load_b64 v[34:35], v78 offset:6264
	s_wait_dscnt 0x0
	ds_store_b64 v77, v[34:35] offset:7776
.LBB35_229:                             ;   in Loop: Header=BB35_3 Depth=1
	s_or_b32 exec_lo, exec_lo, s50
	s_wait_dscnt 0x0
	s_barrier_signal -1
	s_barrier_wait -1
	s_and_saveexec_b32 s50, s14
	s_cbranch_execz .LBB35_231
; %bb.230:                              ;   in Loop: Header=BB35_3 Depth=1
	ds_load_b128 v[34:37], v5 offset:7280
	ds_load_b64 v[38:39], v5 offset:7800
	s_wait_dscnt 0x0
	v_mul_f64_e32 v[34:35], v[34:35], v[38:39]
	s_delay_alu instid0(VALU_DEP_1)
	v_mul_f64_e32 v[34:35], v[36:37], v[34:35]
	v_add_nc_u32_e64 v36, 0x1800, 0
	ds_store_2addr_b64 v36, v[34:35], v[34:35] offset0:143 offset1:206
.LBB35_231:                             ;   in Loop: Header=BB35_3 Depth=1
	s_or_b32 exec_lo, exec_lo, s50
	v_mov_b64_e32 v[34:35], 0
	s_wait_dscnt 0x0
	s_barrier_signal -1
	s_barrier_wait -1
	s_and_saveexec_b32 s84, s4
	s_cbranch_execz .LBB35_259
; %bb.232:                              ;   in Loop: Header=BB35_3 Depth=1
	ds_load_b64 v[34:35], v63 offset:128
	ds_load_b64 v[36:37], v60
	s_wait_dscnt 0x0
	v_fma_f64 v[34:35], v[34:35], v[36:37], 0
	s_mov_b32 s50, exec_lo
	v_readlane_b32 s51, v98, 29
	s_and_b32 s51, s50, s51
	s_delay_alu instid0(SALU_CYCLE_1)
	s_mov_b32 exec_lo, s51
	s_cbranch_execz .LBB35_234
; %bb.233:                              ;   in Loop: Header=BB35_3 Depth=1
	ds_load_b64 v[36:37], v64 offset:640
	ds_load_b64 v[38:39], v60 offset:8
	s_wait_dscnt 0x0
	v_fmac_f64_e32 v[34:35], v[36:37], v[38:39]
.LBB35_234:                             ;   in Loop: Header=BB35_3 Depth=1
	s_or_b32 exec_lo, exec_lo, s50
	s_delay_alu instid0(SALU_CYCLE_1) | instskip(SKIP_2) | instid1(SALU_CYCLE_1)
	s_mov_b32 s50, exec_lo
	v_readlane_b32 s51, v98, 30
	s_and_b32 s51, s50, s51
	s_mov_b32 exec_lo, s51
	s_cbranch_execz .LBB35_236
; %bb.235:                              ;   in Loop: Header=BB35_3 Depth=1
	ds_load_b64 v[36:37], v64 offset:1152
	ds_load_b64 v[38:39], v60 offset:16
	s_wait_dscnt 0x0
	v_fmac_f64_e32 v[34:35], v[36:37], v[38:39]
.LBB35_236:                             ;   in Loop: Header=BB35_3 Depth=1
	s_or_b32 exec_lo, exec_lo, s50
	s_delay_alu instid0(SALU_CYCLE_1) | instskip(SKIP_2) | instid1(SALU_CYCLE_1)
	s_mov_b32 s50, exec_lo
	v_readlane_b32 s51, v98, 31
	s_and_b32 s51, s50, s51
	;; [unrolled: 13-line block ×10, first 2 shown]
	s_mov_b32 exec_lo, s51
	s_cbranch_execnz .LBB35_1109
; %bb.253:                              ;   in Loop: Header=BB35_3 Depth=1
	s_or_b32 exec_lo, exec_lo, s50
	s_and_saveexec_b32 s50, s3
	s_cbranch_execnz .LBB35_1110
.LBB35_254:                             ;   in Loop: Header=BB35_3 Depth=1
	s_or_b32 exec_lo, exec_lo, s50
	s_and_saveexec_b32 s50, s19
	s_cbranch_execnz .LBB35_1111
.LBB35_255:                             ;   in Loop: Header=BB35_3 Depth=1
	s_or_b32 exec_lo, exec_lo, s50
	s_and_saveexec_b32 s50, s21
	s_cbranch_execnz .LBB35_1112
.LBB35_256:                             ;   in Loop: Header=BB35_3 Depth=1
	s_or_b32 exec_lo, exec_lo, s50
	s_and_saveexec_b32 s50, s2
	s_cbranch_execz .LBB35_258
.LBB35_257:                             ;   in Loop: Header=BB35_3 Depth=1
	ds_load_b64 v[36:37], v43 offset:7808
	ds_load_b64 v[38:39], v5 offset:120
	s_wait_dscnt 0x0
	v_fmac_f64_e32 v[34:35], v[36:37], v[38:39]
.LBB35_258:                             ;   in Loop: Header=BB35_3 Depth=1
	s_or_b32 exec_lo, exec_lo, s50
	s_delay_alu instid0(VALU_DEP_1)
	v_xor_b32_e32 v35, 0x80000000, v35
.LBB35_259:                             ;   in Loop: Header=BB35_3 Depth=1
	s_or_b32 exec_lo, exec_lo, s84
	s_delay_alu instid0(SALU_CYCLE_1) | instskip(SKIP_2) | instid1(SALU_CYCLE_1)
	s_mov_b32 s50, exec_lo
	v_readlane_b32 s51, v98, 6
	s_and_b32 s51, s50, s51
	s_mov_b32 exec_lo, s51
	s_cbranch_execz .LBB35_261
; %bb.260:                              ;   in Loop: Header=BB35_3 Depth=1
	ds_load_b64 v[36:37], v5 offset:8320
	s_wait_dscnt 0x0
	v_mul_f64_e32 v[34:35], v[34:35], v[36:37]
	ds_store_b64 v62, v[34:35]
.LBB35_261:                             ;   in Loop: Header=BB35_3 Depth=1
	s_or_b32 exec_lo, exec_lo, s50
	s_wait_dscnt 0x0
	s_barrier_signal -1
	s_barrier_wait -1
	s_mov_b32 s50, exec_lo
	v_readlane_b32 s51, v98, 7
	s_and_b32 s51, s50, s51
	s_delay_alu instid0(SALU_CYCLE_1)
	s_mov_b32 exec_lo, s51
	s_cbranch_execz .LBB35_263
; %bb.262:                              ;   in Loop: Header=BB35_3 Depth=1
	ds_load_b64 v[36:37], v61 offset:8320
	ds_load_b64 v[38:39], v62
	s_wait_dscnt 0x0
	v_fmac_f64_e32 v[34:35], v[36:37], v[38:39]
.LBB35_263:                             ;   in Loop: Header=BB35_3 Depth=1
	s_or_b32 exec_lo, exec_lo, s50
	s_barrier_signal -1
	s_barrier_wait -1
	s_mov_b32 s50, exec_lo
	v_readlane_b32 s51, v98, 8
	s_and_b32 s51, s50, s51
	s_delay_alu instid0(SALU_CYCLE_1)
	s_mov_b32 exec_lo, s51
	s_cbranch_execz .LBB35_265
; %bb.264:                              ;   in Loop: Header=BB35_3 Depth=1
	ds_load_b64 v[36:37], v5 offset:8840
	s_wait_dscnt 0x0
	v_mul_f64_e32 v[34:35], v[34:35], v[36:37]
	ds_store_b64 v62, v[34:35]
.LBB35_265:                             ;   in Loop: Header=BB35_3 Depth=1
	s_or_b32 exec_lo, exec_lo, s50
	s_wait_dscnt 0x0
	s_barrier_signal -1
	s_barrier_wait -1
	s_mov_b32 s50, exec_lo
	v_readlane_b32 s51, v98, 9
	s_and_b32 s51, s50, s51
	s_delay_alu instid0(SALU_CYCLE_1)
	s_mov_b32 exec_lo, s51
	s_cbranch_execz .LBB35_267
; %bb.266:                              ;   in Loop: Header=BB35_3 Depth=1
	ds_load_b64 v[36:37], v61 offset:8832
	ds_load_b64 v[38:39], v62
	s_wait_dscnt 0x0
	v_fmac_f64_e32 v[34:35], v[36:37], v[38:39]
.LBB35_267:                             ;   in Loop: Header=BB35_3 Depth=1
	s_or_b32 exec_lo, exec_lo, s50
	s_barrier_signal -1
	s_barrier_wait -1
	s_mov_b32 s50, exec_lo
	v_readlane_b32 s51, v98, 10
	s_and_b32 s51, s50, s51
	s_delay_alu instid0(SALU_CYCLE_1)
	s_mov_b32 exec_lo, s51
	s_cbranch_execz .LBB35_269
; %bb.268:                              ;   in Loop: Header=BB35_3 Depth=1
	ds_load_b64 v[36:37], v5 offset:9360
	s_wait_dscnt 0x0
	v_mul_f64_e32 v[34:35], v[34:35], v[36:37]
	ds_store_b64 v62, v[34:35]
.LBB35_269:                             ;   in Loop: Header=BB35_3 Depth=1
	s_or_b32 exec_lo, exec_lo, s50
	s_wait_dscnt 0x0
	s_barrier_signal -1
	s_barrier_wait -1
	s_and_saveexec_b32 s50, s54
	s_cbranch_execz .LBB35_271
; %bb.270:                              ;   in Loop: Header=BB35_3 Depth=1
	ds_load_b64 v[36:37], v61 offset:9344
	ds_load_b64 v[38:39], v62
	s_wait_dscnt 0x0
	v_fmac_f64_e32 v[34:35], v[36:37], v[38:39]
.LBB35_271:                             ;   in Loop: Header=BB35_3 Depth=1
	s_or_b32 exec_lo, exec_lo, s50
	s_barrier_signal -1
	s_barrier_wait -1
	s_and_saveexec_b32 s50, s55
	s_cbranch_execz .LBB35_273
; %bb.272:                              ;   in Loop: Header=BB35_3 Depth=1
	ds_load_b64 v[36:37], v5 offset:9880
	s_wait_dscnt 0x0
	v_mul_f64_e32 v[34:35], v[34:35], v[36:37]
	ds_store_b64 v62, v[34:35]
.LBB35_273:                             ;   in Loop: Header=BB35_3 Depth=1
	s_or_b32 exec_lo, exec_lo, s50
	s_wait_dscnt 0x0
	s_barrier_signal -1
	s_barrier_wait -1
	s_and_saveexec_b32 s50, s56
	s_cbranch_execz .LBB35_275
; %bb.274:                              ;   in Loop: Header=BB35_3 Depth=1
	ds_load_b64 v[36:37], v61 offset:9856
	ds_load_b64 v[38:39], v62
	s_wait_dscnt 0x0
	v_fmac_f64_e32 v[34:35], v[36:37], v[38:39]
.LBB35_275:                             ;   in Loop: Header=BB35_3 Depth=1
	s_or_b32 exec_lo, exec_lo, s50
	s_barrier_signal -1
	s_barrier_wait -1
	s_and_saveexec_b32 s50, s57
	;; [unrolled: 23-line block ×13, first 2 shown]
	s_cbranch_execz .LBB35_321
; %bb.320:                              ;   in Loop: Header=BB35_3 Depth=1
	ds_load_b64 v[36:37], v5 offset:16120
	s_wait_dscnt 0x0
	v_mul_f64_e32 v[34:35], v[34:35], v[36:37]
	ds_store_b64 v62, v[34:35]
.LBB35_321:                             ;   in Loop: Header=BB35_3 Depth=1
	s_or_b32 exec_lo, exec_lo, s50
	s_wait_dscnt 0x0
	s_barrier_signal -1
	s_barrier_wait -1
	s_barrier_signal -1
	s_barrier_wait -1
	s_and_saveexec_b32 s50, s4
; %bb.322:                              ;   in Loop: Header=BB35_3 Depth=1
	s_delay_alu instid0(VALU_DEP_1)
	v_xor_b32_e32 v35, 0x80000000, v35
	ds_store_b64 v63, v[34:35] offset:128
; %bb.323:                              ;   in Loop: Header=BB35_3 Depth=1
	s_or_b32 exec_lo, exec_lo, s50
	s_wait_dscnt 0x0
	s_barrier_signal -1
	s_barrier_wait -1
	s_barrier_signal -1
	s_barrier_wait -1
	s_and_saveexec_b32 s50, s73
	s_cbranch_execz .LBB35_325
; %bb.324:                              ;   in Loop: Header=BB35_3 Depth=1
	ds_load_b64 v[34:35], v46 offset:128
	s_wait_dscnt 0x0
	ds_store_b64 v50, v[34:35] offset:8192
	ds_load_b64 v[34:35], v46 offset:136
	s_wait_dscnt 0x0
	ds_store_b64 v50, v[34:35] offset:8704
	;; [unrolled: 3-line block ×16, first 2 shown]
.LBB35_325:                             ;   in Loop: Header=BB35_3 Depth=1
	s_or_b32 exec_lo, exec_lo, s50
	s_wait_dscnt 0x0
	s_barrier_signal -1
	s_barrier_wait -1
	s_and_saveexec_b32 s50, s14
	s_cbranch_execz .LBB35_327
; %bb.326:                              ;   in Loop: Header=BB35_3 Depth=1
	ds_load_b128 v[34:37], v5 offset:8320
	ds_load_b64 v[38:39], v5 offset:8840
	s_wait_dscnt 0x0
	v_mul_f64_e32 v[34:35], v[34:35], v[38:39]
	s_delay_alu instid0(VALU_DEP_1)
	v_mul_f64_e32 v[34:35], v[36:37], v[34:35]
	v_add_nc_u32_e64 v36, 0x2000, 0
	ds_store_2addr_b64 v36, v[34:35], v[34:35] offset0:17 offset1:80
.LBB35_327:                             ;   in Loop: Header=BB35_3 Depth=1
	s_or_b32 exec_lo, exec_lo, s50
	v_mov_b64_e32 v[34:35], 0
	s_wait_dscnt 0x0
	s_barrier_signal -1
	s_barrier_wait -1
	s_and_saveexec_b32 s50, s0
	s_cbranch_execz .LBB35_331
; %bb.328:                              ;   in Loop: Header=BB35_3 Depth=1
	ds_load_b64 v[34:35], v41 offset:8336
	ds_load_b64 v[36:37], v42 offset:8320
	s_wait_dscnt 0x0
	v_fma_f64 v[34:35], v[34:35], v[36:37], 0
	s_and_saveexec_b32 s51, s15
	s_cbranch_execz .LBB35_330
; %bb.329:                              ;   in Loop: Header=BB35_3 Depth=1
	ds_load_b64 v[36:37], v43 offset:8848
	ds_load_b64 v[38:39], v5 offset:8328
	s_wait_dscnt 0x0
	v_fmac_f64_e32 v[34:35], v[36:37], v[38:39]
.LBB35_330:                             ;   in Loop: Header=BB35_3 Depth=1
	s_or_b32 exec_lo, exec_lo, s51
	s_delay_alu instid0(VALU_DEP_1)
	v_xor_b32_e32 v35, 0x80000000, v35
.LBB35_331:                             ;   in Loop: Header=BB35_3 Depth=1
	s_or_b32 exec_lo, exec_lo, s50
	s_and_saveexec_b32 s50, s94
	s_cbranch_execz .LBB35_333
; %bb.332:                              ;   in Loop: Header=BB35_3 Depth=1
	ds_load_b64 v[36:37], v5 offset:9360
	s_wait_dscnt 0x0
	v_mul_f64_e32 v[34:35], v[34:35], v[36:37]
	ds_store_b64 v3, v[34:35]
.LBB35_333:                             ;   in Loop: Header=BB35_3 Depth=1
	s_or_b32 exec_lo, exec_lo, s50
	s_wait_dscnt 0x0
	s_barrier_signal -1
	s_barrier_wait -1
	s_and_saveexec_b32 s50, s95
	s_cbranch_execz .LBB35_335
; %bb.334:                              ;   in Loop: Header=BB35_3 Depth=1
	ds_load_b64 v[36:37], v5 offset:9368
	ds_load_b64 v[38:39], v3
	s_wait_dscnt 0x0
	v_fmac_f64_e32 v[34:35], v[36:37], v[38:39]
.LBB35_335:                             ;   in Loop: Header=BB35_3 Depth=1
	s_or_b32 exec_lo, exec_lo, s50
	s_barrier_signal -1
	s_barrier_wait -1
	s_and_saveexec_b32 s50, s95
	s_cbranch_execz .LBB35_337
; %bb.336:                              ;   in Loop: Header=BB35_3 Depth=1
	ds_load_b64 v[36:37], v5 offset:9880
	s_wait_dscnt 0x0
	v_mul_f64_e32 v[34:35], v[34:35], v[36:37]
	ds_store_b64 v3, v[34:35]
.LBB35_337:                             ;   in Loop: Header=BB35_3 Depth=1
	s_or_b32 exec_lo, exec_lo, s50
	s_wait_dscnt 0x0
	s_barrier_signal -1
	s_barrier_wait -1
	s_barrier_signal -1
	s_barrier_wait -1
	s_and_saveexec_b32 s50, s0
; %bb.338:                              ;   in Loop: Header=BB35_3 Depth=1
	s_delay_alu instid0(VALU_DEP_1)
	v_xor_b32_e32 v35, 0x80000000, v35
	ds_store_b64 v41, v[34:35] offset:8336
; %bb.339:                              ;   in Loop: Header=BB35_3 Depth=1
	s_or_b32 exec_lo, exec_lo, s50
	s_wait_dscnt 0x0
	s_barrier_signal -1
	s_barrier_wait -1
	s_barrier_signal -1
	s_barrier_wait -1
	s_and_saveexec_b32 s50, s96
	s_cbranch_execz .LBB35_341
; %bb.340:                              ;   in Loop: Header=BB35_3 Depth=1
	ds_load_b64 v[34:35], v46 offset:8336
	s_wait_dscnt 0x0
	ds_store_b64 v43, v[34:35] offset:9344
	ds_load_b64 v[34:35], v46 offset:8344
	s_wait_dscnt 0x0
	ds_store_b64 v43, v[34:35] offset:9856
.LBB35_341:                             ;   in Loop: Header=BB35_3 Depth=1
	s_or_b32 exec_lo, exec_lo, s50
	s_wait_dscnt 0x0
	s_barrier_signal -1
	s_barrier_wait -1
	s_and_saveexec_b32 s50, s14
	s_cbranch_execz .LBB35_343
; %bb.342:                              ;   in Loop: Header=BB35_3 Depth=1
	ds_load_b128 v[34:37], v5 offset:9360
	ds_load_b64 v[38:39], v5 offset:9880
	s_wait_dscnt 0x0
	v_mul_f64_e32 v[34:35], v[34:35], v[38:39]
	s_delay_alu instid0(VALU_DEP_1)
	v_mul_f64_e32 v[34:35], v[36:37], v[34:35]
	v_add_nc_u32_e64 v36, 0x2000, 0
	ds_store_2addr_b64 v36, v[34:35], v[34:35] offset0:147 offset1:210
.LBB35_343:                             ;   in Loop: Header=BB35_3 Depth=1
	s_or_b32 exec_lo, exec_lo, s50
	v_mov_b64_e32 v[34:35], 0
	s_wait_dscnt 0x0
	s_barrier_signal -1
	s_barrier_wait -1
	s_and_saveexec_b32 s65, s2
	s_cbranch_execz .LBB35_349
; %bb.344:                              ;   in Loop: Header=BB35_3 Depth=1
	ds_load_b64 v[34:35], v48 offset:8352
	ds_load_b64 v[36:37], v44 offset:8320
	s_wait_dscnt 0x0
	v_fma_f64 v[34:35], v[34:35], v[36:37], 0
	s_and_saveexec_b32 s50, s16
	s_cbranch_execnz .LBB35_1113
; %bb.345:                              ;   in Loop: Header=BB35_3 Depth=1
	s_or_b32 exec_lo, exec_lo, s50
	s_and_saveexec_b32 s50, s17
	s_cbranch_execnz .LBB35_1114
.LBB35_346:                             ;   in Loop: Header=BB35_3 Depth=1
	s_or_b32 exec_lo, exec_lo, s50
	s_and_saveexec_b32 s50, s0
	s_cbranch_execz .LBB35_348
.LBB35_347:                             ;   in Loop: Header=BB35_3 Depth=1
	ds_load_b64 v[36:37], v50 offset:9888
	ds_load_b64 v[38:39], v5 offset:8344
	s_wait_dscnt 0x0
	v_fmac_f64_e32 v[34:35], v[36:37], v[38:39]
.LBB35_348:                             ;   in Loop: Header=BB35_3 Depth=1
	s_or_b32 exec_lo, exec_lo, s50
	s_delay_alu instid0(VALU_DEP_1)
	v_xor_b32_e32 v35, 0x80000000, v35
.LBB35_349:                             ;   in Loop: Header=BB35_3 Depth=1
	s_or_b32 exec_lo, exec_lo, s65
	s_and_saveexec_b32 s50, s97
	s_cbranch_execz .LBB35_351
; %bb.350:                              ;   in Loop: Header=BB35_3 Depth=1
	ds_load_b64 v[36:37], v5 offset:10400
	s_wait_dscnt 0x0
	v_mul_f64_e32 v[34:35], v[34:35], v[36:37]
	ds_store_b64 v47, v[34:35]
.LBB35_351:                             ;   in Loop: Header=BB35_3 Depth=1
	s_or_b32 exec_lo, exec_lo, s50
	s_wait_dscnt 0x0
	s_barrier_signal -1
	s_barrier_wait -1
	s_and_saveexec_b32 s50, s98
	s_cbranch_execz .LBB35_353
; %bb.352:                              ;   in Loop: Header=BB35_3 Depth=1
	ds_load_b64 v[36:37], v45 offset:10400
	ds_load_b64 v[38:39], v47
	s_wait_dscnt 0x0
	v_fmac_f64_e32 v[34:35], v[36:37], v[38:39]
.LBB35_353:                             ;   in Loop: Header=BB35_3 Depth=1
	s_or_b32 exec_lo, exec_lo, s50
	s_barrier_signal -1
	s_barrier_wait -1
	s_and_saveexec_b32 s50, s99
	s_cbranch_execz .LBB35_355
; %bb.354:                              ;   in Loop: Header=BB35_3 Depth=1
	ds_load_b64 v[36:37], v5 offset:10920
	s_wait_dscnt 0x0
	v_mul_f64_e32 v[34:35], v[34:35], v[36:37]
	ds_store_b64 v47, v[34:35]
.LBB35_355:                             ;   in Loop: Header=BB35_3 Depth=1
	s_or_b32 exec_lo, exec_lo, s50
	s_wait_dscnt 0x0
	s_barrier_signal -1
	s_barrier_wait -1
	s_and_saveexec_b32 s50, s100
	s_cbranch_execz .LBB35_357
; %bb.356:                              ;   in Loop: Header=BB35_3 Depth=1
	ds_load_b64 v[36:37], v45 offset:10912
	ds_load_b64 v[38:39], v47
	s_wait_dscnt 0x0
	v_fmac_f64_e32 v[34:35], v[36:37], v[38:39]
.LBB35_357:                             ;   in Loop: Header=BB35_3 Depth=1
	s_or_b32 exec_lo, exec_lo, s50
	s_barrier_signal -1
	s_barrier_wait -1
	;; [unrolled: 23-line block ×3, first 2 shown]
	s_and_saveexec_b32 s50, s102
	s_cbranch_execz .LBB35_363
; %bb.362:                              ;   in Loop: Header=BB35_3 Depth=1
	ds_load_b64 v[36:37], v5 offset:11960
	s_wait_dscnt 0x0
	v_mul_f64_e32 v[34:35], v[34:35], v[36:37]
	ds_store_b64 v47, v[34:35]
.LBB35_363:                             ;   in Loop: Header=BB35_3 Depth=1
	s_or_b32 exec_lo, exec_lo, s50
	s_wait_dscnt 0x0
	s_barrier_signal -1
	s_barrier_wait -1
	s_barrier_signal -1
	s_barrier_wait -1
	s_and_saveexec_b32 s50, s2
; %bb.364:                              ;   in Loop: Header=BB35_3 Depth=1
	s_delay_alu instid0(VALU_DEP_1)
	v_xor_b32_e32 v35, 0x80000000, v35
	ds_store_b64 v48, v[34:35] offset:8352
; %bb.365:                              ;   in Loop: Header=BB35_3 Depth=1
	s_or_b32 exec_lo, exec_lo, s50
	s_wait_dscnt 0x0
	s_barrier_signal -1
	s_barrier_wait -1
	s_barrier_signal -1
	s_barrier_wait -1
	s_and_saveexec_b32 s50, s103
	s_cbranch_execz .LBB35_367
; %bb.366:                              ;   in Loop: Header=BB35_3 Depth=1
	ds_load_b64 v[34:35], v51 offset:8352
	s_wait_dscnt 0x0
	ds_store_b64 v52, v[34:35] offset:10368
	ds_load_b64 v[34:35], v51 offset:8360
	s_wait_dscnt 0x0
	ds_store_b64 v52, v[34:35] offset:10880
	;; [unrolled: 3-line block ×4, first 2 shown]
.LBB35_367:                             ;   in Loop: Header=BB35_3 Depth=1
	s_or_b32 exec_lo, exec_lo, s50
	s_wait_dscnt 0x0
	s_barrier_signal -1
	s_barrier_wait -1
	s_and_saveexec_b32 s50, s14
	s_cbranch_execz .LBB35_369
; %bb.368:                              ;   in Loop: Header=BB35_3 Depth=1
	ds_load_b128 v[34:37], v5 offset:10400
	ds_load_b64 v[38:39], v5 offset:10920
	s_wait_dscnt 0x0
	v_mul_f64_e32 v[34:35], v[34:35], v[38:39]
	s_delay_alu instid0(VALU_DEP_1)
	v_mul_f64_e32 v[34:35], v[36:37], v[34:35]
	v_add_nc_u32_e64 v36, 0x2800, 0
	ds_store_2addr_b64 v36, v[34:35], v[34:35] offset0:21 offset1:84
.LBB35_369:                             ;   in Loop: Header=BB35_3 Depth=1
	s_or_b32 exec_lo, exec_lo, s50
	v_mov_b64_e32 v[34:35], 0
	s_wait_dscnt 0x0
	s_barrier_signal -1
	s_barrier_wait -1
	s_and_saveexec_b32 s50, s0
	s_cbranch_execz .LBB35_373
; %bb.370:                              ;   in Loop: Header=BB35_3 Depth=1
	ds_load_b64 v[34:35], v41 offset:10416
	ds_load_b64 v[36:37], v42 offset:10400
	s_wait_dscnt 0x0
	v_fma_f64 v[34:35], v[34:35], v[36:37], 0
	s_and_saveexec_b32 s51, s15
	s_cbranch_execz .LBB35_372
; %bb.371:                              ;   in Loop: Header=BB35_3 Depth=1
	ds_load_b64 v[36:37], v52 offset:10928
	ds_load_b64 v[38:39], v5 offset:10408
	s_wait_dscnt 0x0
	v_fmac_f64_e32 v[34:35], v[36:37], v[38:39]
.LBB35_372:                             ;   in Loop: Header=BB35_3 Depth=1
	s_or_b32 exec_lo, exec_lo, s51
	s_delay_alu instid0(VALU_DEP_1)
	v_xor_b32_e32 v35, 0x80000000, v35
.LBB35_373:                             ;   in Loop: Header=BB35_3 Depth=1
	s_or_b32 exec_lo, exec_lo, s50
	s_and_saveexec_b32 s50, s94
	s_cbranch_execz .LBB35_375
; %bb.374:                              ;   in Loop: Header=BB35_3 Depth=1
	ds_load_b64 v[36:37], v5 offset:11440
	s_wait_dscnt 0x0
	v_mul_f64_e32 v[34:35], v[34:35], v[36:37]
	ds_store_b64 v3, v[34:35]
.LBB35_375:                             ;   in Loop: Header=BB35_3 Depth=1
	s_or_b32 exec_lo, exec_lo, s50
	s_wait_dscnt 0x0
	s_barrier_signal -1
	s_barrier_wait -1
	s_and_saveexec_b32 s50, s95
	s_cbranch_execz .LBB35_377
; %bb.376:                              ;   in Loop: Header=BB35_3 Depth=1
	ds_load_b64 v[36:37], v5 offset:11448
	ds_load_b64 v[38:39], v3
	s_wait_dscnt 0x0
	v_fmac_f64_e32 v[34:35], v[36:37], v[38:39]
.LBB35_377:                             ;   in Loop: Header=BB35_3 Depth=1
	s_or_b32 exec_lo, exec_lo, s50
	s_barrier_signal -1
	s_barrier_wait -1
	s_and_saveexec_b32 s50, s95
	s_cbranch_execz .LBB35_379
; %bb.378:                              ;   in Loop: Header=BB35_3 Depth=1
	ds_load_b64 v[36:37], v5 offset:11960
	s_wait_dscnt 0x0
	v_mul_f64_e32 v[34:35], v[34:35], v[36:37]
	ds_store_b64 v3, v[34:35]
.LBB35_379:                             ;   in Loop: Header=BB35_3 Depth=1
	s_or_b32 exec_lo, exec_lo, s50
	s_wait_dscnt 0x0
	s_barrier_signal -1
	s_barrier_wait -1
	s_barrier_signal -1
	s_barrier_wait -1
	s_and_saveexec_b32 s50, s0
; %bb.380:                              ;   in Loop: Header=BB35_3 Depth=1
	s_delay_alu instid0(VALU_DEP_1)
	v_xor_b32_e32 v35, 0x80000000, v35
	ds_store_b64 v41, v[34:35] offset:10416
; %bb.381:                              ;   in Loop: Header=BB35_3 Depth=1
	s_or_b32 exec_lo, exec_lo, s50
	s_wait_dscnt 0x0
	s_barrier_signal -1
	s_barrier_wait -1
	s_barrier_signal -1
	s_barrier_wait -1
	s_and_saveexec_b32 s50, s96
	s_cbranch_execz .LBB35_383
; %bb.382:                              ;   in Loop: Header=BB35_3 Depth=1
	ds_load_b64 v[34:35], v55 offset:10416
	s_wait_dscnt 0x0
	ds_store_b64 v52, v[34:35] offset:11424
	ds_load_b64 v[34:35], v55 offset:10424
	s_wait_dscnt 0x0
	ds_store_b64 v52, v[34:35] offset:11936
.LBB35_383:                             ;   in Loop: Header=BB35_3 Depth=1
	s_or_b32 exec_lo, exec_lo, s50
	s_wait_dscnt 0x0
	s_barrier_signal -1
	s_barrier_wait -1
	s_and_saveexec_b32 s50, s14
	s_cbranch_execz .LBB35_385
; %bb.384:                              ;   in Loop: Header=BB35_3 Depth=1
	ds_load_b128 v[34:37], v5 offset:11440
	ds_load_b64 v[38:39], v5 offset:11960
	s_wait_dscnt 0x0
	v_mul_f64_e32 v[34:35], v[34:35], v[38:39]
	s_delay_alu instid0(VALU_DEP_1)
	v_mul_f64_e32 v[34:35], v[36:37], v[34:35]
	v_add_nc_u32_e64 v36, 0x2800, 0
	ds_store_2addr_b64 v36, v[34:35], v[34:35] offset0:151 offset1:214
.LBB35_385:                             ;   in Loop: Header=BB35_3 Depth=1
	s_or_b32 exec_lo, exec_lo, s50
	v_mov_b64_e32 v[34:35], 0
	s_wait_dscnt 0x0
	s_barrier_signal -1
	s_barrier_wait -1
	s_and_saveexec_b32 s65, s3
	s_cbranch_execz .LBB35_395
; %bb.386:                              ;   in Loop: Header=BB35_3 Depth=1
	ds_load_b64 v[34:35], v57 offset:8384
	ds_load_b64 v[36:37], v53 offset:8320
	s_wait_dscnt 0x0
	v_fma_f64 v[34:35], v[34:35], v[36:37], 0
	s_and_saveexec_b32 s50, s18
	s_cbranch_execnz .LBB35_1115
; %bb.387:                              ;   in Loop: Header=BB35_3 Depth=1
	s_or_b32 exec_lo, exec_lo, s50
	s_and_saveexec_b32 s50, s19
	s_cbranch_execnz .LBB35_1116
.LBB35_388:                             ;   in Loop: Header=BB35_3 Depth=1
	s_or_b32 exec_lo, exec_lo, s50
	s_and_saveexec_b32 s50, s20
	s_cbranch_execnz .LBB35_1117
.LBB35_389:                             ;   in Loop: Header=BB35_3 Depth=1
	s_or_b32 exec_lo, exec_lo, s50
	s_and_saveexec_b32 s50, s21
	s_cbranch_execnz .LBB35_1118
.LBB35_390:                             ;   in Loop: Header=BB35_3 Depth=1
	s_or_b32 exec_lo, exec_lo, s50
	s_and_saveexec_b32 s50, s22
	s_cbranch_execnz .LBB35_1119
.LBB35_391:                             ;   in Loop: Header=BB35_3 Depth=1
	s_or_b32 exec_lo, exec_lo, s50
	s_and_saveexec_b32 s50, s2
	s_cbranch_execnz .LBB35_1120
.LBB35_392:                             ;   in Loop: Header=BB35_3 Depth=1
	s_or_b32 exec_lo, exec_lo, s50
	s_and_saveexec_b32 s50, s17
	s_cbranch_execz .LBB35_394
.LBB35_393:                             ;   in Loop: Header=BB35_3 Depth=1
	ds_load_b64 v[36:37], v59 offset:11968
	ds_load_b64 v[38:39], v5 offset:8376
	s_wait_dscnt 0x0
	v_fmac_f64_e32 v[34:35], v[36:37], v[38:39]
.LBB35_394:                             ;   in Loop: Header=BB35_3 Depth=1
	s_or_b32 exec_lo, exec_lo, s50
	s_delay_alu instid0(VALU_DEP_1)
	v_xor_b32_e32 v35, 0x80000000, v35
.LBB35_395:                             ;   in Loop: Header=BB35_3 Depth=1
	s_or_b32 exec_lo, exec_lo, s65
	s_and_saveexec_b32 s50, s104
	s_cbranch_execz .LBB35_397
; %bb.396:                              ;   in Loop: Header=BB35_3 Depth=1
	ds_load_b64 v[36:37], v5 offset:12480
	s_wait_dscnt 0x0
	v_mul_f64_e32 v[34:35], v[34:35], v[36:37]
	ds_store_b64 v56, v[34:35]
.LBB35_397:                             ;   in Loop: Header=BB35_3 Depth=1
	s_or_b32 exec_lo, exec_lo, s50
	s_wait_dscnt 0x0
	s_barrier_signal -1
	s_barrier_wait -1
	s_and_saveexec_b32 s50, vcc_hi
	s_cbranch_execz .LBB35_399
; %bb.398:                              ;   in Loop: Header=BB35_3 Depth=1
	ds_load_b64 v[36:37], v54 offset:12480
	ds_load_b64 v[38:39], v56
	s_wait_dscnt 0x0
	v_fmac_f64_e32 v[34:35], v[36:37], v[38:39]
.LBB35_399:                             ;   in Loop: Header=BB35_3 Depth=1
	s_or_b32 exec_lo, exec_lo, s50
	s_barrier_signal -1
	s_barrier_wait -1
	s_and_saveexec_b32 s50, s36
	s_cbranch_execz .LBB35_401
; %bb.400:                              ;   in Loop: Header=BB35_3 Depth=1
	ds_load_b64 v[36:37], v5 offset:13000
	s_wait_dscnt 0x0
	v_mul_f64_e32 v[34:35], v[34:35], v[36:37]
	ds_store_b64 v56, v[34:35]
.LBB35_401:                             ;   in Loop: Header=BB35_3 Depth=1
	s_or_b32 exec_lo, exec_lo, s50
	s_wait_dscnt 0x0
	s_barrier_signal -1
	s_barrier_wait -1
	s_and_saveexec_b32 s50, s37
	s_cbranch_execz .LBB35_403
; %bb.402:                              ;   in Loop: Header=BB35_3 Depth=1
	ds_load_b64 v[36:37], v54 offset:12992
	ds_load_b64 v[38:39], v56
	s_wait_dscnt 0x0
	v_fmac_f64_e32 v[34:35], v[36:37], v[38:39]
.LBB35_403:                             ;   in Loop: Header=BB35_3 Depth=1
	s_or_b32 exec_lo, exec_lo, s50
	s_barrier_signal -1
	s_barrier_wait -1
	s_and_saveexec_b32 s50, s38
	s_cbranch_execz .LBB35_405
; %bb.404:                              ;   in Loop: Header=BB35_3 Depth=1
	ds_load_b64 v[36:37], v5 offset:13520
	s_wait_dscnt 0x0
	v_mul_f64_e32 v[34:35], v[34:35], v[36:37]
	ds_store_b64 v56, v[34:35]
.LBB35_405:                             ;   in Loop: Header=BB35_3 Depth=1
	s_or_b32 exec_lo, exec_lo, s50
	s_wait_dscnt 0x0
	s_barrier_signal -1
	s_barrier_wait -1
	s_and_saveexec_b32 s50, s39
	s_cbranch_execz .LBB35_407
; %bb.406:                              ;   in Loop: Header=BB35_3 Depth=1
	ds_load_b64 v[36:37], v54 offset:13504
	ds_load_b64 v[38:39], v56
	s_wait_dscnt 0x0
	v_fmac_f64_e32 v[34:35], v[36:37], v[38:39]
.LBB35_407:                             ;   in Loop: Header=BB35_3 Depth=1
	s_or_b32 exec_lo, exec_lo, s50
	s_barrier_signal -1
	s_barrier_wait -1
	s_and_saveexec_b32 s50, s40
	s_cbranch_execz .LBB35_409
; %bb.408:                              ;   in Loop: Header=BB35_3 Depth=1
	ds_load_b64 v[36:37], v5 offset:14040
	s_wait_dscnt 0x0
	v_mul_f64_e32 v[34:35], v[34:35], v[36:37]
	ds_store_b64 v56, v[34:35]
.LBB35_409:                             ;   in Loop: Header=BB35_3 Depth=1
	s_or_b32 exec_lo, exec_lo, s50
	s_wait_dscnt 0x0
	s_barrier_signal -1
	s_barrier_wait -1
	s_and_saveexec_b32 s50, s41
	s_cbranch_execz .LBB35_411
; %bb.410:                              ;   in Loop: Header=BB35_3 Depth=1
	ds_load_b64 v[36:37], v54 offset:14016
	ds_load_b64 v[38:39], v56
	s_wait_dscnt 0x0
	v_fmac_f64_e32 v[34:35], v[36:37], v[38:39]
.LBB35_411:                             ;   in Loop: Header=BB35_3 Depth=1
	s_or_b32 exec_lo, exec_lo, s50
	s_barrier_signal -1
	s_barrier_wait -1
	s_and_saveexec_b32 s50, s42
	s_cbranch_execz .LBB35_413
; %bb.412:                              ;   in Loop: Header=BB35_3 Depth=1
	ds_load_b64 v[36:37], v5 offset:14560
	s_wait_dscnt 0x0
	v_mul_f64_e32 v[34:35], v[34:35], v[36:37]
	ds_store_b64 v56, v[34:35]
.LBB35_413:                             ;   in Loop: Header=BB35_3 Depth=1
	s_or_b32 exec_lo, exec_lo, s50
	s_wait_dscnt 0x0
	s_barrier_signal -1
	s_barrier_wait -1
	s_and_saveexec_b32 s50, s43
	s_cbranch_execz .LBB35_415
; %bb.414:                              ;   in Loop: Header=BB35_3 Depth=1
	ds_load_b64 v[36:37], v54 offset:14528
	ds_load_b64 v[38:39], v56
	s_wait_dscnt 0x0
	v_fmac_f64_e32 v[34:35], v[36:37], v[38:39]
.LBB35_415:                             ;   in Loop: Header=BB35_3 Depth=1
	s_or_b32 exec_lo, exec_lo, s50
	s_barrier_signal -1
	s_barrier_wait -1
	s_and_saveexec_b32 s50, s44
	s_cbranch_execz .LBB35_417
; %bb.416:                              ;   in Loop: Header=BB35_3 Depth=1
	ds_load_b64 v[36:37], v5 offset:15080
	s_wait_dscnt 0x0
	v_mul_f64_e32 v[34:35], v[34:35], v[36:37]
	ds_store_b64 v56, v[34:35]
.LBB35_417:                             ;   in Loop: Header=BB35_3 Depth=1
	s_or_b32 exec_lo, exec_lo, s50
	s_wait_dscnt 0x0
	s_barrier_signal -1
	s_barrier_wait -1
	s_and_saveexec_b32 s50, s45
	s_cbranch_execz .LBB35_419
; %bb.418:                              ;   in Loop: Header=BB35_3 Depth=1
	ds_load_b64 v[36:37], v54 offset:15040
	ds_load_b64 v[38:39], v56
	s_wait_dscnt 0x0
	v_fmac_f64_e32 v[34:35], v[36:37], v[38:39]
.LBB35_419:                             ;   in Loop: Header=BB35_3 Depth=1
	s_or_b32 exec_lo, exec_lo, s50
	s_barrier_signal -1
	s_barrier_wait -1
	s_and_saveexec_b32 s50, s46
	s_cbranch_execz .LBB35_421
; %bb.420:                              ;   in Loop: Header=BB35_3 Depth=1
	ds_load_b64 v[36:37], v5 offset:15600
	s_wait_dscnt 0x0
	v_mul_f64_e32 v[34:35], v[34:35], v[36:37]
	ds_store_b64 v56, v[34:35]
.LBB35_421:                             ;   in Loop: Header=BB35_3 Depth=1
	s_or_b32 exec_lo, exec_lo, s50
	s_wait_dscnt 0x0
	s_barrier_signal -1
	s_barrier_wait -1
	s_and_saveexec_b32 s50, s47
	s_cbranch_execz .LBB35_423
; %bb.422:                              ;   in Loop: Header=BB35_3 Depth=1
	ds_load_b64 v[36:37], v5 offset:15608
	ds_load_b64 v[38:39], v56
	s_wait_dscnt 0x0
	v_fmac_f64_e32 v[34:35], v[36:37], v[38:39]
.LBB35_423:                             ;   in Loop: Header=BB35_3 Depth=1
	s_or_b32 exec_lo, exec_lo, s50
	s_barrier_signal -1
	s_barrier_wait -1
	s_and_saveexec_b32 s50, s47
	s_cbranch_execz .LBB35_425
; %bb.424:                              ;   in Loop: Header=BB35_3 Depth=1
	ds_load_b64 v[36:37], v5 offset:16120
	s_wait_dscnt 0x0
	v_mul_f64_e32 v[34:35], v[34:35], v[36:37]
	ds_store_b64 v56, v[34:35]
.LBB35_425:                             ;   in Loop: Header=BB35_3 Depth=1
	s_or_b32 exec_lo, exec_lo, s50
	s_wait_dscnt 0x0
	s_barrier_signal -1
	s_barrier_wait -1
	s_barrier_signal -1
	s_barrier_wait -1
	s_and_saveexec_b32 s50, s3
; %bb.426:                              ;   in Loop: Header=BB35_3 Depth=1
	s_delay_alu instid0(VALU_DEP_1)
	v_xor_b32_e32 v35, 0x80000000, v35
	ds_store_b64 v57, v[34:35] offset:8384
; %bb.427:                              ;   in Loop: Header=BB35_3 Depth=1
	s_or_b32 exec_lo, exec_lo, s50
	s_wait_dscnt 0x0
	s_barrier_signal -1
	s_barrier_wait -1
	s_barrier_signal -1
	s_barrier_wait -1
	s_and_saveexec_b32 s50, s48
	s_cbranch_execz .LBB35_429
; %bb.428:                              ;   in Loop: Header=BB35_3 Depth=1
	ds_load_b64 v[34:35], v68 offset:8384
	s_wait_dscnt 0x0
	ds_store_b64 v69, v[34:35] offset:12416
	ds_load_b64 v[34:35], v68 offset:8392
	s_wait_dscnt 0x0
	ds_store_b64 v69, v[34:35] offset:12928
	;; [unrolled: 3-line block ×8, first 2 shown]
.LBB35_429:                             ;   in Loop: Header=BB35_3 Depth=1
	s_or_b32 exec_lo, exec_lo, s50
	s_wait_dscnt 0x0
	s_barrier_signal -1
	s_barrier_wait -1
	s_and_saveexec_b32 s50, s14
	s_cbranch_execz .LBB35_431
; %bb.430:                              ;   in Loop: Header=BB35_3 Depth=1
	ds_load_b128 v[34:37], v5 offset:12480
	ds_load_b64 v[38:39], v5 offset:13000
	s_wait_dscnt 0x0
	v_mul_f64_e32 v[34:35], v[34:35], v[38:39]
	s_delay_alu instid0(VALU_DEP_1)
	v_mul_f64_e32 v[34:35], v[36:37], v[34:35]
	v_add_nc_u32_e64 v36, 0x3000, 0
	ds_store_2addr_b64 v36, v[34:35], v[34:35] offset0:25 offset1:88
.LBB35_431:                             ;   in Loop: Header=BB35_3 Depth=1
	s_or_b32 exec_lo, exec_lo, s50
	v_mov_b64_e32 v[34:35], 0
	s_wait_dscnt 0x0
	s_barrier_signal -1
	s_barrier_wait -1
	s_and_saveexec_b32 s50, s0
	s_cbranch_execz .LBB35_435
; %bb.432:                              ;   in Loop: Header=BB35_3 Depth=1
	ds_load_b64 v[34:35], v41 offset:12496
	ds_load_b64 v[36:37], v42 offset:12480
	s_wait_dscnt 0x0
	v_fma_f64 v[34:35], v[34:35], v[36:37], 0
	s_and_saveexec_b32 s51, s15
	s_cbranch_execz .LBB35_434
; %bb.433:                              ;   in Loop: Header=BB35_3 Depth=1
	ds_load_b64 v[36:37], v69 offset:13008
	ds_load_b64 v[38:39], v5 offset:12488
	s_wait_dscnt 0x0
	v_fmac_f64_e32 v[34:35], v[36:37], v[38:39]
.LBB35_434:                             ;   in Loop: Header=BB35_3 Depth=1
	s_or_b32 exec_lo, exec_lo, s51
	s_delay_alu instid0(VALU_DEP_1)
	v_xor_b32_e32 v35, 0x80000000, v35
.LBB35_435:                             ;   in Loop: Header=BB35_3 Depth=1
	s_or_b32 exec_lo, exec_lo, s50
	s_and_saveexec_b32 s50, s94
	s_cbranch_execz .LBB35_437
; %bb.436:                              ;   in Loop: Header=BB35_3 Depth=1
	ds_load_b64 v[36:37], v5 offset:13520
	s_wait_dscnt 0x0
	v_mul_f64_e32 v[34:35], v[34:35], v[36:37]
	ds_store_b64 v3, v[34:35]
.LBB35_437:                             ;   in Loop: Header=BB35_3 Depth=1
	s_or_b32 exec_lo, exec_lo, s50
	s_wait_dscnt 0x0
	s_barrier_signal -1
	s_barrier_wait -1
	s_and_saveexec_b32 s50, s95
	s_cbranch_execz .LBB35_439
; %bb.438:                              ;   in Loop: Header=BB35_3 Depth=1
	ds_load_b64 v[36:37], v5 offset:13528
	ds_load_b64 v[38:39], v3
	s_wait_dscnt 0x0
	v_fmac_f64_e32 v[34:35], v[36:37], v[38:39]
.LBB35_439:                             ;   in Loop: Header=BB35_3 Depth=1
	s_or_b32 exec_lo, exec_lo, s50
	s_barrier_signal -1
	s_barrier_wait -1
	s_and_saveexec_b32 s50, s95
	s_cbranch_execz .LBB35_441
; %bb.440:                              ;   in Loop: Header=BB35_3 Depth=1
	ds_load_b64 v[36:37], v5 offset:14040
	s_wait_dscnt 0x0
	v_mul_f64_e32 v[34:35], v[34:35], v[36:37]
	ds_store_b64 v3, v[34:35]
.LBB35_441:                             ;   in Loop: Header=BB35_3 Depth=1
	s_or_b32 exec_lo, exec_lo, s50
	s_wait_dscnt 0x0
	s_barrier_signal -1
	s_barrier_wait -1
	s_barrier_signal -1
	s_barrier_wait -1
	s_and_saveexec_b32 s50, s0
; %bb.442:                              ;   in Loop: Header=BB35_3 Depth=1
	s_delay_alu instid0(VALU_DEP_1)
	v_xor_b32_e32 v35, 0x80000000, v35
	ds_store_b64 v41, v[34:35] offset:12496
; %bb.443:                              ;   in Loop: Header=BB35_3 Depth=1
	s_or_b32 exec_lo, exec_lo, s50
	s_wait_dscnt 0x0
	s_barrier_signal -1
	s_barrier_wait -1
	s_barrier_signal -1
	s_barrier_wait -1
	s_and_saveexec_b32 s50, s96
	s_cbranch_execz .LBB35_445
; %bb.444:                              ;   in Loop: Header=BB35_3 Depth=1
	ds_load_b64 v[34:35], v70 offset:12496
	s_wait_dscnt 0x0
	ds_store_b64 v69, v[34:35] offset:13504
	ds_load_b64 v[34:35], v70 offset:12504
	s_wait_dscnt 0x0
	ds_store_b64 v69, v[34:35] offset:14016
.LBB35_445:                             ;   in Loop: Header=BB35_3 Depth=1
	s_or_b32 exec_lo, exec_lo, s50
	s_wait_dscnt 0x0
	s_barrier_signal -1
	s_barrier_wait -1
	s_and_saveexec_b32 s50, s14
	s_cbranch_execz .LBB35_447
; %bb.446:                              ;   in Loop: Header=BB35_3 Depth=1
	ds_load_b128 v[34:37], v5 offset:13520
	ds_load_b64 v[38:39], v5 offset:14040
	s_wait_dscnt 0x0
	v_mul_f64_e32 v[34:35], v[34:35], v[38:39]
	s_delay_alu instid0(VALU_DEP_1)
	v_mul_f64_e32 v[34:35], v[36:37], v[34:35]
	v_add_nc_u32_e64 v36, 0x3000, 0
	ds_store_2addr_b64 v36, v[34:35], v[34:35] offset0:155 offset1:218
.LBB35_447:                             ;   in Loop: Header=BB35_3 Depth=1
	s_or_b32 exec_lo, exec_lo, s50
	v_mov_b64_e32 v[34:35], 0
	s_wait_dscnt 0x0
	s_barrier_signal -1
	s_barrier_wait -1
	s_and_saveexec_b32 s65, s2
	s_cbranch_execz .LBB35_453
; %bb.448:                              ;   in Loop: Header=BB35_3 Depth=1
	ds_load_b64 v[34:35], v48 offset:12512
	ds_load_b64 v[36:37], v44 offset:12480
	s_wait_dscnt 0x0
	v_fma_f64 v[34:35], v[34:35], v[36:37], 0
	s_and_saveexec_b32 s50, s16
	s_cbranch_execnz .LBB35_1121
; %bb.449:                              ;   in Loop: Header=BB35_3 Depth=1
	s_or_b32 exec_lo, exec_lo, s50
	s_and_saveexec_b32 s50, s17
	s_cbranch_execnz .LBB35_1122
.LBB35_450:                             ;   in Loop: Header=BB35_3 Depth=1
	s_or_b32 exec_lo, exec_lo, s50
	s_and_saveexec_b32 s50, s0
	s_cbranch_execz .LBB35_452
.LBB35_451:                             ;   in Loop: Header=BB35_3 Depth=1
	ds_load_b64 v[36:37], v71 offset:14048
	ds_load_b64 v[38:39], v5 offset:12504
	s_wait_dscnt 0x0
	v_fmac_f64_e32 v[34:35], v[36:37], v[38:39]
.LBB35_452:                             ;   in Loop: Header=BB35_3 Depth=1
	s_or_b32 exec_lo, exec_lo, s50
	s_delay_alu instid0(VALU_DEP_1)
	v_xor_b32_e32 v35, 0x80000000, v35
.LBB35_453:                             ;   in Loop: Header=BB35_3 Depth=1
	s_or_b32 exec_lo, exec_lo, s65
	s_and_saveexec_b32 s50, s97
	s_cbranch_execz .LBB35_455
; %bb.454:                              ;   in Loop: Header=BB35_3 Depth=1
	ds_load_b64 v[36:37], v5 offset:14560
	s_wait_dscnt 0x0
	v_mul_f64_e32 v[34:35], v[34:35], v[36:37]
	ds_store_b64 v47, v[34:35]
.LBB35_455:                             ;   in Loop: Header=BB35_3 Depth=1
	s_or_b32 exec_lo, exec_lo, s50
	s_wait_dscnt 0x0
	s_barrier_signal -1
	s_barrier_wait -1
	s_and_saveexec_b32 s50, s98
	s_cbranch_execz .LBB35_457
; %bb.456:                              ;   in Loop: Header=BB35_3 Depth=1
	ds_load_b64 v[36:37], v45 offset:14560
	ds_load_b64 v[38:39], v47
	s_wait_dscnt 0x0
	v_fmac_f64_e32 v[34:35], v[36:37], v[38:39]
.LBB35_457:                             ;   in Loop: Header=BB35_3 Depth=1
	s_or_b32 exec_lo, exec_lo, s50
	s_barrier_signal -1
	s_barrier_wait -1
	s_and_saveexec_b32 s50, s99
	s_cbranch_execz .LBB35_459
; %bb.458:                              ;   in Loop: Header=BB35_3 Depth=1
	ds_load_b64 v[36:37], v5 offset:15080
	s_wait_dscnt 0x0
	v_mul_f64_e32 v[34:35], v[34:35], v[36:37]
	ds_store_b64 v47, v[34:35]
.LBB35_459:                             ;   in Loop: Header=BB35_3 Depth=1
	s_or_b32 exec_lo, exec_lo, s50
	s_wait_dscnt 0x0
	s_barrier_signal -1
	s_barrier_wait -1
	s_and_saveexec_b32 s50, s100
	s_cbranch_execz .LBB35_461
; %bb.460:                              ;   in Loop: Header=BB35_3 Depth=1
	ds_load_b64 v[36:37], v45 offset:15072
	ds_load_b64 v[38:39], v47
	s_wait_dscnt 0x0
	v_fmac_f64_e32 v[34:35], v[36:37], v[38:39]
.LBB35_461:                             ;   in Loop: Header=BB35_3 Depth=1
	s_or_b32 exec_lo, exec_lo, s50
	s_barrier_signal -1
	s_barrier_wait -1
	;; [unrolled: 23-line block ×3, first 2 shown]
	s_and_saveexec_b32 s50, s102
	s_cbranch_execz .LBB35_467
; %bb.466:                              ;   in Loop: Header=BB35_3 Depth=1
	ds_load_b64 v[36:37], v5 offset:16120
	s_wait_dscnt 0x0
	v_mul_f64_e32 v[34:35], v[34:35], v[36:37]
	ds_store_b64 v47, v[34:35]
.LBB35_467:                             ;   in Loop: Header=BB35_3 Depth=1
	s_or_b32 exec_lo, exec_lo, s50
	s_wait_dscnt 0x0
	s_barrier_signal -1
	s_barrier_wait -1
	s_barrier_signal -1
	s_barrier_wait -1
	s_and_saveexec_b32 s50, s2
; %bb.468:                              ;   in Loop: Header=BB35_3 Depth=1
	s_delay_alu instid0(VALU_DEP_1)
	v_xor_b32_e32 v35, 0x80000000, v35
	ds_store_b64 v48, v[34:35] offset:12512
; %bb.469:                              ;   in Loop: Header=BB35_3 Depth=1
	s_or_b32 exec_lo, exec_lo, s50
	s_wait_dscnt 0x0
	s_barrier_signal -1
	s_barrier_wait -1
	s_barrier_signal -1
	s_barrier_wait -1
	s_and_saveexec_b32 s50, s103
	s_cbranch_execz .LBB35_471
; %bb.470:                              ;   in Loop: Header=BB35_3 Depth=1
	ds_load_b64 v[34:35], v74 offset:12512
	s_wait_dscnt 0x0
	ds_store_b64 v77, v[34:35] offset:14528
	ds_load_b64 v[34:35], v74 offset:12520
	s_wait_dscnt 0x0
	ds_store_b64 v77, v[34:35] offset:15040
	;; [unrolled: 3-line block ×4, first 2 shown]
.LBB35_471:                             ;   in Loop: Header=BB35_3 Depth=1
	s_or_b32 exec_lo, exec_lo, s50
	s_wait_dscnt 0x0
	s_barrier_signal -1
	s_barrier_wait -1
	s_and_saveexec_b32 s50, s14
	s_cbranch_execz .LBB35_473
; %bb.472:                              ;   in Loop: Header=BB35_3 Depth=1
	ds_load_b128 v[34:37], v5 offset:14560
	ds_load_b64 v[38:39], v5 offset:15080
	s_wait_dscnt 0x0
	v_mul_f64_e32 v[34:35], v[34:35], v[38:39]
	s_delay_alu instid0(VALU_DEP_1)
	v_mul_f64_e32 v[34:35], v[36:37], v[34:35]
	v_add_nc_u32_e64 v36, 0x3800, 0
	ds_store_2addr_b64 v36, v[34:35], v[34:35] offset0:29 offset1:92
.LBB35_473:                             ;   in Loop: Header=BB35_3 Depth=1
	s_or_b32 exec_lo, exec_lo, s50
	v_mov_b64_e32 v[34:35], 0
	s_wait_dscnt 0x0
	s_barrier_signal -1
	s_barrier_wait -1
	s_and_saveexec_b32 s50, s0
	s_cbranch_execz .LBB35_477
; %bb.474:                              ;   in Loop: Header=BB35_3 Depth=1
	ds_load_b64 v[34:35], v41 offset:14576
	ds_load_b64 v[36:37], v42 offset:14560
	s_wait_dscnt 0x0
	v_fma_f64 v[34:35], v[34:35], v[36:37], 0
	s_and_saveexec_b32 s51, s15
	s_cbranch_execz .LBB35_476
; %bb.475:                              ;   in Loop: Header=BB35_3 Depth=1
	ds_load_b64 v[36:37], v77 offset:15088
	ds_load_b64 v[38:39], v5 offset:14568
	s_wait_dscnt 0x0
	v_fmac_f64_e32 v[34:35], v[36:37], v[38:39]
.LBB35_476:                             ;   in Loop: Header=BB35_3 Depth=1
	s_or_b32 exec_lo, exec_lo, s51
	s_delay_alu instid0(VALU_DEP_1)
	v_xor_b32_e32 v35, 0x80000000, v35
.LBB35_477:                             ;   in Loop: Header=BB35_3 Depth=1
	s_or_b32 exec_lo, exec_lo, s50
	s_and_saveexec_b32 s50, s94
	s_cbranch_execz .LBB35_479
; %bb.478:                              ;   in Loop: Header=BB35_3 Depth=1
	ds_load_b64 v[36:37], v5 offset:15600
	s_wait_dscnt 0x0
	v_mul_f64_e32 v[34:35], v[34:35], v[36:37]
	ds_store_b64 v3, v[34:35]
.LBB35_479:                             ;   in Loop: Header=BB35_3 Depth=1
	s_or_b32 exec_lo, exec_lo, s50
	s_wait_dscnt 0x0
	s_barrier_signal -1
	s_barrier_wait -1
	s_and_saveexec_b32 s50, s95
	s_cbranch_execz .LBB35_481
; %bb.480:                              ;   in Loop: Header=BB35_3 Depth=1
	ds_load_b64 v[36:37], v5 offset:15608
	ds_load_b64 v[38:39], v3
	s_wait_dscnt 0x0
	v_fmac_f64_e32 v[34:35], v[36:37], v[38:39]
.LBB35_481:                             ;   in Loop: Header=BB35_3 Depth=1
	s_or_b32 exec_lo, exec_lo, s50
	s_barrier_signal -1
	s_barrier_wait -1
	s_and_saveexec_b32 s50, s95
	s_cbranch_execz .LBB35_483
; %bb.482:                              ;   in Loop: Header=BB35_3 Depth=1
	ds_load_b64 v[36:37], v5 offset:16120
	s_wait_dscnt 0x0
	v_mul_f64_e32 v[34:35], v[34:35], v[36:37]
	ds_store_b64 v3, v[34:35]
.LBB35_483:                             ;   in Loop: Header=BB35_3 Depth=1
	s_or_b32 exec_lo, exec_lo, s50
	s_wait_dscnt 0x0
	s_barrier_signal -1
	s_barrier_wait -1
	s_barrier_signal -1
	s_barrier_wait -1
	s_and_saveexec_b32 s50, s0
; %bb.484:                              ;   in Loop: Header=BB35_3 Depth=1
	s_delay_alu instid0(VALU_DEP_1)
	v_xor_b32_e32 v35, 0x80000000, v35
	ds_store_b64 v41, v[34:35] offset:14576
; %bb.485:                              ;   in Loop: Header=BB35_3 Depth=1
	s_or_b32 exec_lo, exec_lo, s50
	s_wait_dscnt 0x0
	s_barrier_signal -1
	s_barrier_wait -1
	s_barrier_signal -1
	s_barrier_wait -1
	s_and_saveexec_b32 s50, s96
	s_cbranch_execz .LBB35_487
; %bb.486:                              ;   in Loop: Header=BB35_3 Depth=1
	ds_load_b64 v[34:35], v78 offset:14576
	s_wait_dscnt 0x0
	ds_store_b64 v77, v[34:35] offset:15584
	ds_load_b64 v[34:35], v78 offset:14584
	s_wait_dscnt 0x0
	ds_store_b64 v77, v[34:35] offset:16096
.LBB35_487:                             ;   in Loop: Header=BB35_3 Depth=1
	s_or_b32 exec_lo, exec_lo, s50
	s_wait_dscnt 0x0
	s_barrier_signal -1
	s_barrier_wait -1
	s_and_saveexec_b32 s50, s14
	s_cbranch_execz .LBB35_489
; %bb.488:                              ;   in Loop: Header=BB35_3 Depth=1
	ds_load_b128 v[34:37], v5 offset:15600
	ds_load_b64 v[38:39], v5 offset:16120
	s_wait_dscnt 0x0
	v_mul_f64_e32 v[34:35], v[34:35], v[38:39]
	s_delay_alu instid0(VALU_DEP_1)
	v_mul_f64_e32 v[34:35], v[36:37], v[34:35]
	v_add_nc_u32_e64 v36, 0x3800, 0
	ds_store_2addr_b64 v36, v[34:35], v[34:35] offset0:159 offset1:222
.LBB35_489:                             ;   in Loop: Header=BB35_3 Depth=1
	s_or_b32 exec_lo, exec_lo, s50
	v_mov_b64_e32 v[34:35], 0
	s_wait_dscnt 0x0
	s_barrier_signal -1
	s_barrier_wait -1
	s_and_saveexec_b32 s84, s35
	s_cbranch_execz .LBB35_551
; %bb.490:                              ;   in Loop: Header=BB35_3 Depth=1
	v_add_nc_u32_e32 v36, v67, v66
	ds_load_b64 v[34:35], v83 offset:256
	ds_load_b64 v[38:39], v36
	s_wait_dscnt 0x0
	v_fma_f64 v[34:35], v[34:35], v[38:39], 0
	s_mov_b32 s50, exec_lo
	v_readlane_b32 s51, v97, 8
	s_and_b32 s51, s50, s51
	s_delay_alu instid0(SALU_CYCLE_1)
	s_mov_b32 exec_lo, s51
	s_cbranch_execz .LBB35_492
; %bb.491:                              ;   in Loop: Header=BB35_3 Depth=1
	ds_load_b64 v[38:39], v83 offset:768
	ds_load_b64 v[92:93], v36 offset:8
	s_wait_dscnt 0x0
	v_fmac_f64_e32 v[34:35], v[38:39], v[92:93]
.LBB35_492:                             ;   in Loop: Header=BB35_3 Depth=1
	s_or_b32 exec_lo, exec_lo, s50
	s_delay_alu instid0(SALU_CYCLE_1) | instskip(SKIP_2) | instid1(SALU_CYCLE_1)
	s_mov_b32 s50, exec_lo
	v_readlane_b32 s51, v97, 9
	s_and_b32 s51, s50, s51
	s_mov_b32 exec_lo, s51
	s_cbranch_execz .LBB35_494
; %bb.493:                              ;   in Loop: Header=BB35_3 Depth=1
	ds_load_b64 v[38:39], v83 offset:1280
	ds_load_b64 v[92:93], v36 offset:16
	s_wait_dscnt 0x0
	v_fmac_f64_e32 v[34:35], v[38:39], v[92:93]
.LBB35_494:                             ;   in Loop: Header=BB35_3 Depth=1
	s_or_b32 exec_lo, exec_lo, s50
	s_delay_alu instid0(SALU_CYCLE_1) | instskip(SKIP_2) | instid1(SALU_CYCLE_1)
	s_mov_b32 s50, exec_lo
	v_readlane_b32 s51, v97, 10
	s_and_b32 s51, s50, s51
	;; [unrolled: 13-line block ×22, first 2 shown]
	s_mov_b32 exec_lo, s51
	s_cbranch_execz .LBB35_536
; %bb.535:                              ;   in Loop: Header=BB35_3 Depth=1
	ds_load_b64 v[38:39], v83 offset:12032
	ds_load_b64 v[92:93], v36 offset:184
	s_wait_dscnt 0x0
	v_fmac_f64_e32 v[34:35], v[38:39], v[92:93]
.LBB35_536:                             ;   in Loop: Header=BB35_3 Depth=1
	s_or_b32 exec_lo, exec_lo, s50
	s_and_saveexec_b32 s50, s4
	s_cbranch_execz .LBB35_538
; %bb.537:                              ;   in Loop: Header=BB35_3 Depth=1
	ds_load_b64 v[38:39], v83 offset:12544
	ds_load_b64 v[92:93], v36 offset:192
	s_wait_dscnt 0x0
	v_fmac_f64_e32 v[34:35], v[38:39], v[92:93]
.LBB35_538:                             ;   in Loop: Header=BB35_3 Depth=1
	s_or_b32 exec_lo, exec_lo, s50
	s_delay_alu instid0(SALU_CYCLE_1) | instskip(SKIP_2) | instid1(SALU_CYCLE_1)
	s_mov_b32 s50, exec_lo
	v_readlane_b32 s51, v98, 30
	s_and_b32 s51, s50, s51
	s_mov_b32 exec_lo, s51
	s_cbranch_execz .LBB35_540
; %bb.539:                              ;   in Loop: Header=BB35_3 Depth=1
	ds_load_b64 v[38:39], v83 offset:13056
	ds_load_b64 v[92:93], v36 offset:200
	s_wait_dscnt 0x0
	v_fmac_f64_e32 v[34:35], v[38:39], v[92:93]
.LBB35_540:                             ;   in Loop: Header=BB35_3 Depth=1
	s_or_b32 exec_lo, exec_lo, s50
	s_delay_alu instid0(SALU_CYCLE_1) | instskip(SKIP_2) | instid1(SALU_CYCLE_1)
	s_mov_b32 s50, exec_lo
	v_readlane_b32 s51, v97, 0
	s_and_b32 s51, s50, s51
	s_mov_b32 exec_lo, s51
	;; [unrolled: 13-line block ×5, first 2 shown]
	s_cbranch_execnz .LBB35_1123
; %bb.547:                              ;   in Loop: Header=BB35_3 Depth=1
	s_or_b32 exec_lo, exec_lo, s50
	s_and_saveexec_b32 s50, s3
	s_cbranch_execnz .LBB35_1124
.LBB35_548:                             ;   in Loop: Header=BB35_3 Depth=1
	s_or_b32 exec_lo, exec_lo, s50
	s_and_saveexec_b32 s50, s21
	s_cbranch_execz .LBB35_550
.LBB35_549:                             ;   in Loop: Header=BB35_3 Depth=1
	ds_load_b64 v[36:37], v43 offset:16128
	ds_load_b64 v[38:39], v5 offset:248
	s_wait_dscnt 0x0
	v_fmac_f64_e32 v[34:35], v[36:37], v[38:39]
.LBB35_550:                             ;   in Loop: Header=BB35_3 Depth=1
	s_or_b32 exec_lo, exec_lo, s50
	s_delay_alu instid0(VALU_DEP_1)
	v_xor_b32_e32 v35, 0x80000000, v35
.LBB35_551:                             ;   in Loop: Header=BB35_3 Depth=1
	s_or_b32 exec_lo, exec_lo, s84
	v_dual_mov_b32 v36, v65 :: v_dual_mov_b32 v37, v87
	s_mov_b32 s65, 0
	s_branch .LBB35_553
.LBB35_552:                             ;   in Loop: Header=BB35_553 Depth=2
	s_or_b32 exec_lo, exec_lo, s50
	v_add_nc_u32_e32 v37, 0x800, v37
	v_add_nc_u32_e32 v36, -4, v36
	s_add_co_i32 s65, s65, 4
	s_delay_alu instid0(SALU_CYCLE_1)
	s_cmp_eq_u32 s65, 32
	s_barrier_signal -1
	s_barrier_wait -1
	s_cbranch_scc1 .LBB35_569
.LBB35_553:                             ;   Parent Loop BB35_3 Depth=1
                                        ; =>  This Inner Loop Header: Depth=2
	s_delay_alu instid0(VALU_DEP_1) | instskip(SKIP_1) | instid1(SALU_CYCLE_1)
	v_cmp_eq_u32_e32 vcc_lo, 0, v36
	s_and_b32 s51, s64, vcc_lo
	s_and_saveexec_b32 s50, s51
	s_cbranch_execz .LBB35_555
; %bb.554:                              ;   in Loop: Header=BB35_553 Depth=2
	ds_load_b64 v[38:39], v81 offset:16640
	s_wait_dscnt 0x0
	v_mul_f64_e32 v[34:35], v[34:35], v[38:39]
	ds_store_b64 v82, v[34:35]
.LBB35_555:                             ;   in Loop: Header=BB35_553 Depth=2
	s_or_b32 exec_lo, exec_lo, s50
	v_cmp_lt_u32_e32 vcc_lo, s65, v65
	s_wait_dscnt 0x0
	s_barrier_signal -1
	s_barrier_wait -1
	s_and_b32 s51, s64, vcc_lo
	s_delay_alu instid0(SALU_CYCLE_1)
	s_and_saveexec_b32 s50, s51
	s_cbranch_execz .LBB35_557
; %bb.556:                              ;   in Loop: Header=BB35_553 Depth=2
	ds_load_b64 v[38:39], v37
	ds_load_b64 v[92:93], v82
	s_wait_dscnt 0x0
	v_fmac_f64_e32 v[34:35], v[38:39], v[92:93]
.LBB35_557:                             ;   in Loop: Header=BB35_553 Depth=2
	s_or_b32 exec_lo, exec_lo, s50
	s_or_b32 s50, s65, 1
	s_delay_alu instid0(SALU_CYCLE_1) | instskip(SKIP_3) | instid1(SALU_CYCLE_1)
	v_cmp_eq_u32_e32 vcc_lo, s50, v65
	s_barrier_signal -1
	s_barrier_wait -1
	s_and_b32 s52, s64, vcc_lo
	s_and_saveexec_b32 s51, s52
	s_cbranch_execz .LBB35_559
; %bb.558:                              ;   in Loop: Header=BB35_553 Depth=2
	ds_load_b64 v[38:39], v81 offset:16640
	s_wait_dscnt 0x0
	v_mul_f64_e32 v[34:35], v[34:35], v[38:39]
	ds_store_b64 v82, v[34:35]
.LBB35_559:                             ;   in Loop: Header=BB35_553 Depth=2
	s_or_b32 exec_lo, exec_lo, s51
	v_cmp_lt_u32_e32 vcc_lo, s50, v65
	s_wait_dscnt 0x0
	s_barrier_signal -1
	s_barrier_wait -1
	s_and_b32 s51, s64, vcc_lo
	s_delay_alu instid0(SALU_CYCLE_1)
	s_and_saveexec_b32 s50, s51
	s_cbranch_execz .LBB35_561
; %bb.560:                              ;   in Loop: Header=BB35_553 Depth=2
	ds_load_b64 v[38:39], v37 offset:512
	ds_load_b64 v[92:93], v82
	s_wait_dscnt 0x0
	v_fmac_f64_e32 v[34:35], v[38:39], v[92:93]
.LBB35_561:                             ;   in Loop: Header=BB35_553 Depth=2
	s_or_b32 exec_lo, exec_lo, s50
	s_or_b32 s50, s65, 2
	s_delay_alu instid0(SALU_CYCLE_1) | instskip(SKIP_3) | instid1(SALU_CYCLE_1)
	v_cmp_eq_u32_e32 vcc_lo, s50, v65
	s_barrier_signal -1
	s_barrier_wait -1
	s_and_b32 s52, s64, vcc_lo
	s_and_saveexec_b32 s51, s52
	s_cbranch_execz .LBB35_563
; %bb.562:                              ;   in Loop: Header=BB35_553 Depth=2
	ds_load_b64 v[38:39], v81 offset:16640
	s_wait_dscnt 0x0
	v_mul_f64_e32 v[34:35], v[34:35], v[38:39]
	ds_store_b64 v82, v[34:35]
.LBB35_563:                             ;   in Loop: Header=BB35_553 Depth=2
	s_or_b32 exec_lo, exec_lo, s51
	v_cmp_lt_u32_e32 vcc_lo, s50, v65
	s_wait_dscnt 0x0
	s_barrier_signal -1
	s_barrier_wait -1
	s_and_b32 s51, s64, vcc_lo
	s_delay_alu instid0(SALU_CYCLE_1)
	s_and_saveexec_b32 s50, s51
	s_cbranch_execz .LBB35_565
; %bb.564:                              ;   in Loop: Header=BB35_553 Depth=2
	ds_load_b64 v[38:39], v37 offset:1024
	ds_load_b64 v[92:93], v82
	s_wait_dscnt 0x0
	v_fmac_f64_e32 v[34:35], v[38:39], v[92:93]
.LBB35_565:                             ;   in Loop: Header=BB35_553 Depth=2
	s_or_b32 exec_lo, exec_lo, s50
	s_or_b32 s50, s65, 3
	s_delay_alu instid0(SALU_CYCLE_1) | instskip(SKIP_3) | instid1(SALU_CYCLE_1)
	v_cmp_eq_u32_e32 vcc_lo, s50, v65
	s_barrier_signal -1
	s_barrier_wait -1
	s_and_b32 s52, s64, vcc_lo
	s_and_saveexec_b32 s51, s52
	s_cbranch_execz .LBB35_567
; %bb.566:                              ;   in Loop: Header=BB35_553 Depth=2
	ds_load_b64 v[38:39], v81 offset:16640
	s_wait_dscnt 0x0
	v_mul_f64_e32 v[34:35], v[34:35], v[38:39]
	ds_store_b64 v82, v[34:35]
.LBB35_567:                             ;   in Loop: Header=BB35_553 Depth=2
	s_or_b32 exec_lo, exec_lo, s51
	v_cmp_lt_u32_e32 vcc_lo, s50, v65
	s_wait_dscnt 0x0
	s_barrier_signal -1
	s_barrier_wait -1
	s_and_b32 s51, s64, vcc_lo
	s_delay_alu instid0(SALU_CYCLE_1)
	s_and_saveexec_b32 s50, s51
	s_cbranch_execz .LBB35_552
; %bb.568:                              ;   in Loop: Header=BB35_553 Depth=2
	ds_load_b64 v[38:39], v37 offset:1536
	ds_load_b64 v[92:93], v82
	s_wait_dscnt 0x0
	v_fmac_f64_e32 v[34:35], v[38:39], v[92:93]
	s_branch .LBB35_552
.LBB35_569:                             ;   in Loop: Header=BB35_3 Depth=1
	s_and_saveexec_b32 s50, s35
; %bb.570:                              ;   in Loop: Header=BB35_3 Depth=1
	s_delay_alu instid0(VALU_DEP_3)
	v_xor_b32_e32 v35, 0x80000000, v35
	ds_store_b64 v83, v[34:35] offset:256
; %bb.571:                              ;   in Loop: Header=BB35_3 Depth=1
	s_or_b32 exec_lo, exec_lo, s50
	s_wait_dscnt 0x0
	s_barrier_signal -1
	s_barrier_wait -1
	s_barrier_signal -1
	s_barrier_wait -1
	s_mov_b32 s65, exec_lo
	v_readlane_b32 s50, v98, 11
	s_and_b32 s50, s65, s50
	s_delay_alu instid0(SALU_CYCLE_1)
	s_mov_b32 exec_lo, s50
	s_cbranch_execz .LBB35_573
; %bb.572:                              ;   in Loop: Header=BB35_3 Depth=1
	ds_load_b64 v[34:35], v46 offset:256
	s_wait_dscnt 0x0
	ds_store_b64 v50, v[34:35] offset:16384
	ds_load_b64 v[34:35], v46 offset:264
	s_wait_dscnt 0x0
	ds_store_b64 v50, v[34:35] offset:16896
	;; [unrolled: 3-line block ×32, first 2 shown]
.LBB35_573:                             ;   in Loop: Header=BB35_3 Depth=1
	s_or_b32 exec_lo, exec_lo, s65
	s_wait_dscnt 0x0
	s_barrier_signal -1
	s_barrier_wait -1
	s_and_saveexec_b32 s50, s14
	s_cbranch_execz .LBB35_575
; %bb.574:                              ;   in Loop: Header=BB35_3 Depth=1
	ds_load_b128 v[34:37], v5 offset:16640
	ds_load_b64 v[38:39], v5 offset:17160
	s_wait_dscnt 0x0
	v_mul_f64_e32 v[34:35], v[34:35], v[38:39]
	s_delay_alu instid0(VALU_DEP_1)
	v_mul_f64_e32 v[34:35], v[36:37], v[34:35]
	v_add_nc_u32_e64 v36, 0x4000, 0
	ds_store_2addr_b64 v36, v[34:35], v[34:35] offset0:33 offset1:96
.LBB35_575:                             ;   in Loop: Header=BB35_3 Depth=1
	s_or_b32 exec_lo, exec_lo, s50
	v_mov_b64_e32 v[34:35], 0
	s_wait_dscnt 0x0
	s_barrier_signal -1
	s_barrier_wait -1
	s_and_saveexec_b32 s50, s0
	s_cbranch_execz .LBB35_579
; %bb.576:                              ;   in Loop: Header=BB35_3 Depth=1
	ds_load_b64 v[34:35], v41 offset:16656
	ds_load_b64 v[36:37], v42 offset:16640
	s_wait_dscnt 0x0
	v_fma_f64 v[34:35], v[34:35], v[36:37], 0
	s_and_saveexec_b32 s51, s15
	s_cbranch_execz .LBB35_578
; %bb.577:                              ;   in Loop: Header=BB35_3 Depth=1
	ds_load_b64 v[36:37], v43 offset:17168
	ds_load_b64 v[38:39], v5 offset:16648
	s_wait_dscnt 0x0
	v_fmac_f64_e32 v[34:35], v[36:37], v[38:39]
.LBB35_578:                             ;   in Loop: Header=BB35_3 Depth=1
	s_or_b32 exec_lo, exec_lo, s51
	s_delay_alu instid0(VALU_DEP_1)
	v_xor_b32_e32 v35, 0x80000000, v35
.LBB35_579:                             ;   in Loop: Header=BB35_3 Depth=1
	s_or_b32 exec_lo, exec_lo, s50
	s_and_saveexec_b32 s50, s94
	s_cbranch_execz .LBB35_581
; %bb.580:                              ;   in Loop: Header=BB35_3 Depth=1
	ds_load_b64 v[36:37], v5 offset:17680
	s_wait_dscnt 0x0
	v_mul_f64_e32 v[34:35], v[34:35], v[36:37]
	ds_store_b64 v3, v[34:35]
.LBB35_581:                             ;   in Loop: Header=BB35_3 Depth=1
	s_or_b32 exec_lo, exec_lo, s50
	s_wait_dscnt 0x0
	s_barrier_signal -1
	s_barrier_wait -1
	s_and_saveexec_b32 s50, s95
	s_cbranch_execz .LBB35_583
; %bb.582:                              ;   in Loop: Header=BB35_3 Depth=1
	ds_load_b64 v[36:37], v5 offset:17688
	ds_load_b64 v[38:39], v3
	s_wait_dscnt 0x0
	v_fmac_f64_e32 v[34:35], v[36:37], v[38:39]
.LBB35_583:                             ;   in Loop: Header=BB35_3 Depth=1
	s_or_b32 exec_lo, exec_lo, s50
	s_barrier_signal -1
	s_barrier_wait -1
	s_and_saveexec_b32 s50, s95
	s_cbranch_execz .LBB35_585
; %bb.584:                              ;   in Loop: Header=BB35_3 Depth=1
	ds_load_b64 v[36:37], v5 offset:18200
	s_wait_dscnt 0x0
	v_mul_f64_e32 v[34:35], v[34:35], v[36:37]
	ds_store_b64 v3, v[34:35]
.LBB35_585:                             ;   in Loop: Header=BB35_3 Depth=1
	s_or_b32 exec_lo, exec_lo, s50
	s_wait_dscnt 0x0
	s_barrier_signal -1
	s_barrier_wait -1
	s_barrier_signal -1
	s_barrier_wait -1
	s_and_saveexec_b32 s50, s0
; %bb.586:                              ;   in Loop: Header=BB35_3 Depth=1
	s_delay_alu instid0(VALU_DEP_1)
	v_xor_b32_e32 v35, 0x80000000, v35
	ds_store_b64 v41, v[34:35] offset:16656
; %bb.587:                              ;   in Loop: Header=BB35_3 Depth=1
	s_or_b32 exec_lo, exec_lo, s50
	s_wait_dscnt 0x0
	s_barrier_signal -1
	s_barrier_wait -1
	s_barrier_signal -1
	s_barrier_wait -1
	s_and_saveexec_b32 s50, s96
	s_cbranch_execz .LBB35_589
; %bb.588:                              ;   in Loop: Header=BB35_3 Depth=1
	ds_load_b64 v[34:35], v46 offset:16656
	s_wait_dscnt 0x0
	ds_store_b64 v43, v[34:35] offset:17664
	ds_load_b64 v[34:35], v46 offset:16664
	s_wait_dscnt 0x0
	ds_store_b64 v43, v[34:35] offset:18176
.LBB35_589:                             ;   in Loop: Header=BB35_3 Depth=1
	s_or_b32 exec_lo, exec_lo, s50
	s_wait_dscnt 0x0
	s_barrier_signal -1
	s_barrier_wait -1
	s_and_saveexec_b32 s50, s14
	s_cbranch_execz .LBB35_591
; %bb.590:                              ;   in Loop: Header=BB35_3 Depth=1
	ds_load_b128 v[34:37], v5 offset:17680
	ds_load_b64 v[38:39], v5 offset:18200
	s_wait_dscnt 0x0
	v_mul_f64_e32 v[34:35], v[34:35], v[38:39]
	s_delay_alu instid0(VALU_DEP_1)
	v_mul_f64_e32 v[34:35], v[36:37], v[34:35]
	v_add_nc_u32_e64 v36, 0x4000, 0
	ds_store_2addr_b64 v36, v[34:35], v[34:35] offset0:163 offset1:226
.LBB35_591:                             ;   in Loop: Header=BB35_3 Depth=1
	s_or_b32 exec_lo, exec_lo, s50
	v_mov_b64_e32 v[34:35], 0
	s_wait_dscnt 0x0
	s_barrier_signal -1
	s_barrier_wait -1
	s_and_saveexec_b32 s65, s2
	s_cbranch_execz .LBB35_597
; %bb.592:                              ;   in Loop: Header=BB35_3 Depth=1
	ds_load_b64 v[34:35], v48 offset:16672
	ds_load_b64 v[36:37], v44 offset:16640
	s_wait_dscnt 0x0
	v_fma_f64 v[34:35], v[34:35], v[36:37], 0
	s_and_saveexec_b32 s50, s16
	s_cbranch_execnz .LBB35_1125
; %bb.593:                              ;   in Loop: Header=BB35_3 Depth=1
	s_or_b32 exec_lo, exec_lo, s50
	s_and_saveexec_b32 s50, s17
	s_cbranch_execnz .LBB35_1126
.LBB35_594:                             ;   in Loop: Header=BB35_3 Depth=1
	s_or_b32 exec_lo, exec_lo, s50
	s_and_saveexec_b32 s50, s0
	s_cbranch_execz .LBB35_596
.LBB35_595:                             ;   in Loop: Header=BB35_3 Depth=1
	ds_load_b64 v[36:37], v50 offset:18208
	ds_load_b64 v[38:39], v5 offset:16664
	s_wait_dscnt 0x0
	v_fmac_f64_e32 v[34:35], v[36:37], v[38:39]
.LBB35_596:                             ;   in Loop: Header=BB35_3 Depth=1
	s_or_b32 exec_lo, exec_lo, s50
	s_delay_alu instid0(VALU_DEP_1)
	v_xor_b32_e32 v35, 0x80000000, v35
.LBB35_597:                             ;   in Loop: Header=BB35_3 Depth=1
	s_or_b32 exec_lo, exec_lo, s65
	s_and_saveexec_b32 s50, s97
	s_cbranch_execz .LBB35_599
; %bb.598:                              ;   in Loop: Header=BB35_3 Depth=1
	ds_load_b64 v[36:37], v5 offset:18720
	s_wait_dscnt 0x0
	v_mul_f64_e32 v[34:35], v[34:35], v[36:37]
	ds_store_b64 v47, v[34:35]
.LBB35_599:                             ;   in Loop: Header=BB35_3 Depth=1
	s_or_b32 exec_lo, exec_lo, s50
	s_wait_dscnt 0x0
	s_barrier_signal -1
	s_barrier_wait -1
	s_and_saveexec_b32 s50, s98
	s_cbranch_execz .LBB35_601
; %bb.600:                              ;   in Loop: Header=BB35_3 Depth=1
	ds_load_b64 v[36:37], v45 offset:18720
	ds_load_b64 v[38:39], v47
	s_wait_dscnt 0x0
	v_fmac_f64_e32 v[34:35], v[36:37], v[38:39]
.LBB35_601:                             ;   in Loop: Header=BB35_3 Depth=1
	s_or_b32 exec_lo, exec_lo, s50
	s_barrier_signal -1
	s_barrier_wait -1
	s_and_saveexec_b32 s50, s99
	s_cbranch_execz .LBB35_603
; %bb.602:                              ;   in Loop: Header=BB35_3 Depth=1
	ds_load_b64 v[36:37], v5 offset:19240
	s_wait_dscnt 0x0
	v_mul_f64_e32 v[34:35], v[34:35], v[36:37]
	ds_store_b64 v47, v[34:35]
.LBB35_603:                             ;   in Loop: Header=BB35_3 Depth=1
	s_or_b32 exec_lo, exec_lo, s50
	s_wait_dscnt 0x0
	s_barrier_signal -1
	s_barrier_wait -1
	s_and_saveexec_b32 s50, s100
	s_cbranch_execz .LBB35_605
; %bb.604:                              ;   in Loop: Header=BB35_3 Depth=1
	ds_load_b64 v[36:37], v45 offset:19232
	ds_load_b64 v[38:39], v47
	s_wait_dscnt 0x0
	v_fmac_f64_e32 v[34:35], v[36:37], v[38:39]
.LBB35_605:                             ;   in Loop: Header=BB35_3 Depth=1
	s_or_b32 exec_lo, exec_lo, s50
	s_barrier_signal -1
	s_barrier_wait -1
	;; [unrolled: 23-line block ×3, first 2 shown]
	s_and_saveexec_b32 s50, s102
	s_cbranch_execz .LBB35_611
; %bb.610:                              ;   in Loop: Header=BB35_3 Depth=1
	ds_load_b64 v[36:37], v5 offset:20280
	s_wait_dscnt 0x0
	v_mul_f64_e32 v[34:35], v[34:35], v[36:37]
	ds_store_b64 v47, v[34:35]
.LBB35_611:                             ;   in Loop: Header=BB35_3 Depth=1
	s_or_b32 exec_lo, exec_lo, s50
	s_wait_dscnt 0x0
	s_barrier_signal -1
	s_barrier_wait -1
	s_barrier_signal -1
	s_barrier_wait -1
	s_and_saveexec_b32 s50, s2
; %bb.612:                              ;   in Loop: Header=BB35_3 Depth=1
	s_delay_alu instid0(VALU_DEP_1)
	v_xor_b32_e32 v35, 0x80000000, v35
	ds_store_b64 v48, v[34:35] offset:16672
; %bb.613:                              ;   in Loop: Header=BB35_3 Depth=1
	s_or_b32 exec_lo, exec_lo, s50
	s_wait_dscnt 0x0
	s_barrier_signal -1
	s_barrier_wait -1
	s_barrier_signal -1
	s_barrier_wait -1
	s_and_saveexec_b32 s50, s103
	s_cbranch_execz .LBB35_615
; %bb.614:                              ;   in Loop: Header=BB35_3 Depth=1
	ds_load_b64 v[34:35], v51 offset:16672
	s_wait_dscnt 0x0
	ds_store_b64 v52, v[34:35] offset:18688
	ds_load_b64 v[34:35], v51 offset:16680
	s_wait_dscnt 0x0
	ds_store_b64 v52, v[34:35] offset:19200
	;; [unrolled: 3-line block ×4, first 2 shown]
.LBB35_615:                             ;   in Loop: Header=BB35_3 Depth=1
	s_or_b32 exec_lo, exec_lo, s50
	s_wait_dscnt 0x0
	s_barrier_signal -1
	s_barrier_wait -1
	s_and_saveexec_b32 s50, s14
	s_cbranch_execz .LBB35_617
; %bb.616:                              ;   in Loop: Header=BB35_3 Depth=1
	ds_load_b128 v[34:37], v5 offset:18720
	ds_load_b64 v[38:39], v5 offset:19240
	s_wait_dscnt 0x0
	v_mul_f64_e32 v[34:35], v[34:35], v[38:39]
	s_delay_alu instid0(VALU_DEP_1)
	v_mul_f64_e32 v[34:35], v[36:37], v[34:35]
	v_add_nc_u32_e64 v36, 0x4800, 0
	ds_store_2addr_b64 v36, v[34:35], v[34:35] offset0:37 offset1:100
.LBB35_617:                             ;   in Loop: Header=BB35_3 Depth=1
	s_or_b32 exec_lo, exec_lo, s50
	v_mov_b64_e32 v[34:35], 0
	s_wait_dscnt 0x0
	s_barrier_signal -1
	s_barrier_wait -1
	s_and_saveexec_b32 s50, s0
	s_cbranch_execz .LBB35_621
; %bb.618:                              ;   in Loop: Header=BB35_3 Depth=1
	ds_load_b64 v[34:35], v41 offset:18736
	ds_load_b64 v[36:37], v42 offset:18720
	s_wait_dscnt 0x0
	v_fma_f64 v[34:35], v[34:35], v[36:37], 0
	s_and_saveexec_b32 s51, s15
	s_cbranch_execz .LBB35_620
; %bb.619:                              ;   in Loop: Header=BB35_3 Depth=1
	ds_load_b64 v[36:37], v52 offset:19248
	ds_load_b64 v[38:39], v5 offset:18728
	s_wait_dscnt 0x0
	v_fmac_f64_e32 v[34:35], v[36:37], v[38:39]
.LBB35_620:                             ;   in Loop: Header=BB35_3 Depth=1
	s_or_b32 exec_lo, exec_lo, s51
	s_delay_alu instid0(VALU_DEP_1)
	v_xor_b32_e32 v35, 0x80000000, v35
.LBB35_621:                             ;   in Loop: Header=BB35_3 Depth=1
	s_or_b32 exec_lo, exec_lo, s50
	s_and_saveexec_b32 s50, s94
	s_cbranch_execz .LBB35_623
; %bb.622:                              ;   in Loop: Header=BB35_3 Depth=1
	ds_load_b64 v[36:37], v5 offset:19760
	s_wait_dscnt 0x0
	v_mul_f64_e32 v[34:35], v[34:35], v[36:37]
	ds_store_b64 v3, v[34:35]
.LBB35_623:                             ;   in Loop: Header=BB35_3 Depth=1
	s_or_b32 exec_lo, exec_lo, s50
	s_wait_dscnt 0x0
	s_barrier_signal -1
	s_barrier_wait -1
	s_and_saveexec_b32 s50, s95
	s_cbranch_execz .LBB35_625
; %bb.624:                              ;   in Loop: Header=BB35_3 Depth=1
	ds_load_b64 v[36:37], v5 offset:19768
	ds_load_b64 v[38:39], v3
	s_wait_dscnt 0x0
	v_fmac_f64_e32 v[34:35], v[36:37], v[38:39]
.LBB35_625:                             ;   in Loop: Header=BB35_3 Depth=1
	s_or_b32 exec_lo, exec_lo, s50
	s_barrier_signal -1
	s_barrier_wait -1
	s_and_saveexec_b32 s50, s95
	s_cbranch_execz .LBB35_627
; %bb.626:                              ;   in Loop: Header=BB35_3 Depth=1
	ds_load_b64 v[36:37], v5 offset:20280
	s_wait_dscnt 0x0
	v_mul_f64_e32 v[34:35], v[34:35], v[36:37]
	ds_store_b64 v3, v[34:35]
.LBB35_627:                             ;   in Loop: Header=BB35_3 Depth=1
	s_or_b32 exec_lo, exec_lo, s50
	s_wait_dscnt 0x0
	s_barrier_signal -1
	s_barrier_wait -1
	s_barrier_signal -1
	s_barrier_wait -1
	s_and_saveexec_b32 s50, s0
; %bb.628:                              ;   in Loop: Header=BB35_3 Depth=1
	s_delay_alu instid0(VALU_DEP_1)
	v_xor_b32_e32 v35, 0x80000000, v35
	ds_store_b64 v41, v[34:35] offset:18736
; %bb.629:                              ;   in Loop: Header=BB35_3 Depth=1
	s_or_b32 exec_lo, exec_lo, s50
	s_wait_dscnt 0x0
	s_barrier_signal -1
	s_barrier_wait -1
	s_barrier_signal -1
	s_barrier_wait -1
	s_and_saveexec_b32 s50, s96
	s_cbranch_execz .LBB35_631
; %bb.630:                              ;   in Loop: Header=BB35_3 Depth=1
	ds_load_b64 v[34:35], v55 offset:18736
	s_wait_dscnt 0x0
	ds_store_b64 v52, v[34:35] offset:19744
	ds_load_b64 v[34:35], v55 offset:18744
	s_wait_dscnt 0x0
	ds_store_b64 v52, v[34:35] offset:20256
.LBB35_631:                             ;   in Loop: Header=BB35_3 Depth=1
	s_or_b32 exec_lo, exec_lo, s50
	s_wait_dscnt 0x0
	s_barrier_signal -1
	s_barrier_wait -1
	s_and_saveexec_b32 s50, s14
	s_cbranch_execz .LBB35_633
; %bb.632:                              ;   in Loop: Header=BB35_3 Depth=1
	ds_load_b128 v[34:37], v5 offset:19760
	ds_load_b64 v[38:39], v5 offset:20280
	s_wait_dscnt 0x0
	v_mul_f64_e32 v[34:35], v[34:35], v[38:39]
	s_delay_alu instid0(VALU_DEP_1)
	v_mul_f64_e32 v[34:35], v[36:37], v[34:35]
	v_add_nc_u32_e64 v36, 0x4800, 0
	ds_store_2addr_b64 v36, v[34:35], v[34:35] offset0:167 offset1:230
.LBB35_633:                             ;   in Loop: Header=BB35_3 Depth=1
	s_or_b32 exec_lo, exec_lo, s50
	v_mov_b64_e32 v[34:35], 0
	s_wait_dscnt 0x0
	s_barrier_signal -1
	s_barrier_wait -1
	s_and_saveexec_b32 s65, s3
	s_cbranch_execz .LBB35_643
; %bb.634:                              ;   in Loop: Header=BB35_3 Depth=1
	ds_load_b64 v[34:35], v57 offset:16704
	ds_load_b64 v[36:37], v53 offset:16640
	s_wait_dscnt 0x0
	v_fma_f64 v[34:35], v[34:35], v[36:37], 0
	s_and_saveexec_b32 s50, s18
	s_cbranch_execnz .LBB35_1127
; %bb.635:                              ;   in Loop: Header=BB35_3 Depth=1
	s_or_b32 exec_lo, exec_lo, s50
	s_and_saveexec_b32 s50, s19
	s_cbranch_execnz .LBB35_1128
.LBB35_636:                             ;   in Loop: Header=BB35_3 Depth=1
	s_or_b32 exec_lo, exec_lo, s50
	s_and_saveexec_b32 s50, s20
	s_cbranch_execnz .LBB35_1129
.LBB35_637:                             ;   in Loop: Header=BB35_3 Depth=1
	s_or_b32 exec_lo, exec_lo, s50
	s_and_saveexec_b32 s50, s21
	s_cbranch_execnz .LBB35_1130
.LBB35_638:                             ;   in Loop: Header=BB35_3 Depth=1
	s_or_b32 exec_lo, exec_lo, s50
	s_and_saveexec_b32 s50, s22
	s_cbranch_execnz .LBB35_1131
.LBB35_639:                             ;   in Loop: Header=BB35_3 Depth=1
	s_or_b32 exec_lo, exec_lo, s50
	s_and_saveexec_b32 s50, s2
	s_cbranch_execnz .LBB35_1132
.LBB35_640:                             ;   in Loop: Header=BB35_3 Depth=1
	s_or_b32 exec_lo, exec_lo, s50
	s_and_saveexec_b32 s50, s17
	s_cbranch_execz .LBB35_642
.LBB35_641:                             ;   in Loop: Header=BB35_3 Depth=1
	ds_load_b64 v[36:37], v59 offset:20288
	ds_load_b64 v[38:39], v5 offset:16696
	s_wait_dscnt 0x0
	v_fmac_f64_e32 v[34:35], v[36:37], v[38:39]
.LBB35_642:                             ;   in Loop: Header=BB35_3 Depth=1
	s_or_b32 exec_lo, exec_lo, s50
	s_delay_alu instid0(VALU_DEP_1)
	v_xor_b32_e32 v35, 0x80000000, v35
.LBB35_643:                             ;   in Loop: Header=BB35_3 Depth=1
	s_or_b32 exec_lo, exec_lo, s65
	s_and_saveexec_b32 s50, s104
	s_cbranch_execz .LBB35_645
; %bb.644:                              ;   in Loop: Header=BB35_3 Depth=1
	ds_load_b64 v[36:37], v5 offset:20800
	s_wait_dscnt 0x0
	v_mul_f64_e32 v[34:35], v[34:35], v[36:37]
	ds_store_b64 v56, v[34:35]
.LBB35_645:                             ;   in Loop: Header=BB35_3 Depth=1
	s_or_b32 exec_lo, exec_lo, s50
	s_wait_dscnt 0x0
	s_barrier_signal -1
	s_barrier_wait -1
	s_and_saveexec_b32 s50, vcc_hi
	s_cbranch_execz .LBB35_647
; %bb.646:                              ;   in Loop: Header=BB35_3 Depth=1
	ds_load_b64 v[36:37], v54 offset:20800
	ds_load_b64 v[38:39], v56
	s_wait_dscnt 0x0
	v_fmac_f64_e32 v[34:35], v[36:37], v[38:39]
.LBB35_647:                             ;   in Loop: Header=BB35_3 Depth=1
	s_or_b32 exec_lo, exec_lo, s50
	s_barrier_signal -1
	s_barrier_wait -1
	s_and_saveexec_b32 s50, s36
	s_cbranch_execz .LBB35_649
; %bb.648:                              ;   in Loop: Header=BB35_3 Depth=1
	ds_load_b64 v[36:37], v5 offset:21320
	s_wait_dscnt 0x0
	v_mul_f64_e32 v[34:35], v[34:35], v[36:37]
	ds_store_b64 v56, v[34:35]
.LBB35_649:                             ;   in Loop: Header=BB35_3 Depth=1
	s_or_b32 exec_lo, exec_lo, s50
	s_wait_dscnt 0x0
	s_barrier_signal -1
	s_barrier_wait -1
	s_and_saveexec_b32 s50, s37
	s_cbranch_execz .LBB35_651
; %bb.650:                              ;   in Loop: Header=BB35_3 Depth=1
	ds_load_b64 v[36:37], v54 offset:21312
	ds_load_b64 v[38:39], v56
	s_wait_dscnt 0x0
	v_fmac_f64_e32 v[34:35], v[36:37], v[38:39]
.LBB35_651:                             ;   in Loop: Header=BB35_3 Depth=1
	s_or_b32 exec_lo, exec_lo, s50
	s_barrier_signal -1
	s_barrier_wait -1
	s_and_saveexec_b32 s50, s38
	s_cbranch_execz .LBB35_653
; %bb.652:                              ;   in Loop: Header=BB35_3 Depth=1
	ds_load_b64 v[36:37], v5 offset:21840
	s_wait_dscnt 0x0
	v_mul_f64_e32 v[34:35], v[34:35], v[36:37]
	ds_store_b64 v56, v[34:35]
.LBB35_653:                             ;   in Loop: Header=BB35_3 Depth=1
	s_or_b32 exec_lo, exec_lo, s50
	s_wait_dscnt 0x0
	s_barrier_signal -1
	s_barrier_wait -1
	s_and_saveexec_b32 s50, s39
	;; [unrolled: 23-line block ×6, first 2 shown]
	s_cbranch_execz .LBB35_671
; %bb.670:                              ;   in Loop: Header=BB35_3 Depth=1
	ds_load_b64 v[36:37], v5 offset:23928
	ds_load_b64 v[38:39], v56
	s_wait_dscnt 0x0
	v_fmac_f64_e32 v[34:35], v[36:37], v[38:39]
.LBB35_671:                             ;   in Loop: Header=BB35_3 Depth=1
	s_or_b32 exec_lo, exec_lo, s50
	s_barrier_signal -1
	s_barrier_wait -1
	s_and_saveexec_b32 s50, s47
	s_cbranch_execz .LBB35_673
; %bb.672:                              ;   in Loop: Header=BB35_3 Depth=1
	ds_load_b64 v[36:37], v5 offset:24440
	s_wait_dscnt 0x0
	v_mul_f64_e32 v[34:35], v[34:35], v[36:37]
	ds_store_b64 v56, v[34:35]
.LBB35_673:                             ;   in Loop: Header=BB35_3 Depth=1
	s_or_b32 exec_lo, exec_lo, s50
	s_wait_dscnt 0x0
	s_barrier_signal -1
	s_barrier_wait -1
	s_barrier_signal -1
	s_barrier_wait -1
	s_and_saveexec_b32 s50, s3
; %bb.674:                              ;   in Loop: Header=BB35_3 Depth=1
	s_delay_alu instid0(VALU_DEP_1)
	v_xor_b32_e32 v35, 0x80000000, v35
	ds_store_b64 v57, v[34:35] offset:16704
; %bb.675:                              ;   in Loop: Header=BB35_3 Depth=1
	s_or_b32 exec_lo, exec_lo, s50
	s_wait_dscnt 0x0
	s_barrier_signal -1
	s_barrier_wait -1
	s_barrier_signal -1
	s_barrier_wait -1
	s_and_saveexec_b32 s50, s48
	s_cbranch_execz .LBB35_677
; %bb.676:                              ;   in Loop: Header=BB35_3 Depth=1
	ds_load_b64 v[34:35], v68 offset:16704
	s_wait_dscnt 0x0
	ds_store_b64 v69, v[34:35] offset:20736
	ds_load_b64 v[34:35], v68 offset:16712
	s_wait_dscnt 0x0
	ds_store_b64 v69, v[34:35] offset:21248
	;; [unrolled: 3-line block ×8, first 2 shown]
.LBB35_677:                             ;   in Loop: Header=BB35_3 Depth=1
	s_or_b32 exec_lo, exec_lo, s50
	s_wait_dscnt 0x0
	s_barrier_signal -1
	s_barrier_wait -1
	s_and_saveexec_b32 s50, s14
	s_cbranch_execz .LBB35_679
; %bb.678:                              ;   in Loop: Header=BB35_3 Depth=1
	ds_load_b128 v[34:37], v5 offset:20800
	ds_load_b64 v[38:39], v5 offset:21320
	s_wait_dscnt 0x0
	v_mul_f64_e32 v[34:35], v[34:35], v[38:39]
	s_delay_alu instid0(VALU_DEP_1)
	v_mul_f64_e32 v[34:35], v[36:37], v[34:35]
	v_add_nc_u32_e64 v36, 0x5000, 0
	ds_store_2addr_b64 v36, v[34:35], v[34:35] offset0:41 offset1:104
.LBB35_679:                             ;   in Loop: Header=BB35_3 Depth=1
	s_or_b32 exec_lo, exec_lo, s50
	v_mov_b64_e32 v[34:35], 0
	s_wait_dscnt 0x0
	s_barrier_signal -1
	s_barrier_wait -1
	s_and_saveexec_b32 s50, s0
	s_cbranch_execz .LBB35_683
; %bb.680:                              ;   in Loop: Header=BB35_3 Depth=1
	ds_load_b64 v[34:35], v41 offset:20816
	ds_load_b64 v[36:37], v42 offset:20800
	s_wait_dscnt 0x0
	v_fma_f64 v[34:35], v[34:35], v[36:37], 0
	s_and_saveexec_b32 s51, s15
	s_cbranch_execz .LBB35_682
; %bb.681:                              ;   in Loop: Header=BB35_3 Depth=1
	ds_load_b64 v[36:37], v69 offset:21328
	ds_load_b64 v[38:39], v5 offset:20808
	s_wait_dscnt 0x0
	v_fmac_f64_e32 v[34:35], v[36:37], v[38:39]
.LBB35_682:                             ;   in Loop: Header=BB35_3 Depth=1
	s_or_b32 exec_lo, exec_lo, s51
	s_delay_alu instid0(VALU_DEP_1)
	v_xor_b32_e32 v35, 0x80000000, v35
.LBB35_683:                             ;   in Loop: Header=BB35_3 Depth=1
	s_or_b32 exec_lo, exec_lo, s50
	s_and_saveexec_b32 s50, s94
	s_cbranch_execz .LBB35_685
; %bb.684:                              ;   in Loop: Header=BB35_3 Depth=1
	ds_load_b64 v[36:37], v5 offset:21840
	s_wait_dscnt 0x0
	v_mul_f64_e32 v[34:35], v[34:35], v[36:37]
	ds_store_b64 v3, v[34:35]
.LBB35_685:                             ;   in Loop: Header=BB35_3 Depth=1
	s_or_b32 exec_lo, exec_lo, s50
	s_wait_dscnt 0x0
	s_barrier_signal -1
	s_barrier_wait -1
	s_and_saveexec_b32 s50, s95
	s_cbranch_execz .LBB35_687
; %bb.686:                              ;   in Loop: Header=BB35_3 Depth=1
	ds_load_b64 v[36:37], v5 offset:21848
	ds_load_b64 v[38:39], v3
	s_wait_dscnt 0x0
	v_fmac_f64_e32 v[34:35], v[36:37], v[38:39]
.LBB35_687:                             ;   in Loop: Header=BB35_3 Depth=1
	s_or_b32 exec_lo, exec_lo, s50
	s_barrier_signal -1
	s_barrier_wait -1
	s_and_saveexec_b32 s50, s95
	s_cbranch_execz .LBB35_689
; %bb.688:                              ;   in Loop: Header=BB35_3 Depth=1
	ds_load_b64 v[36:37], v5 offset:22360
	s_wait_dscnt 0x0
	v_mul_f64_e32 v[34:35], v[34:35], v[36:37]
	ds_store_b64 v3, v[34:35]
.LBB35_689:                             ;   in Loop: Header=BB35_3 Depth=1
	s_or_b32 exec_lo, exec_lo, s50
	s_wait_dscnt 0x0
	s_barrier_signal -1
	s_barrier_wait -1
	s_barrier_signal -1
	s_barrier_wait -1
	s_and_saveexec_b32 s50, s0
; %bb.690:                              ;   in Loop: Header=BB35_3 Depth=1
	s_delay_alu instid0(VALU_DEP_1)
	v_xor_b32_e32 v35, 0x80000000, v35
	ds_store_b64 v41, v[34:35] offset:20816
; %bb.691:                              ;   in Loop: Header=BB35_3 Depth=1
	s_or_b32 exec_lo, exec_lo, s50
	s_wait_dscnt 0x0
	s_barrier_signal -1
	s_barrier_wait -1
	s_barrier_signal -1
	s_barrier_wait -1
	s_and_saveexec_b32 s50, s96
	s_cbranch_execz .LBB35_693
; %bb.692:                              ;   in Loop: Header=BB35_3 Depth=1
	ds_load_b64 v[34:35], v70 offset:20816
	s_wait_dscnt 0x0
	ds_store_b64 v69, v[34:35] offset:21824
	ds_load_b64 v[34:35], v70 offset:20824
	s_wait_dscnt 0x0
	ds_store_b64 v69, v[34:35] offset:22336
.LBB35_693:                             ;   in Loop: Header=BB35_3 Depth=1
	s_or_b32 exec_lo, exec_lo, s50
	s_wait_dscnt 0x0
	s_barrier_signal -1
	s_barrier_wait -1
	s_and_saveexec_b32 s50, s14
	s_cbranch_execz .LBB35_695
; %bb.694:                              ;   in Loop: Header=BB35_3 Depth=1
	ds_load_b128 v[34:37], v5 offset:21840
	ds_load_b64 v[38:39], v5 offset:22360
	s_wait_dscnt 0x0
	v_mul_f64_e32 v[34:35], v[34:35], v[38:39]
	s_delay_alu instid0(VALU_DEP_1)
	v_mul_f64_e32 v[34:35], v[36:37], v[34:35]
	v_add_nc_u32_e64 v36, 0x5000, 0
	ds_store_2addr_b64 v36, v[34:35], v[34:35] offset0:171 offset1:234
.LBB35_695:                             ;   in Loop: Header=BB35_3 Depth=1
	s_or_b32 exec_lo, exec_lo, s50
	v_mov_b64_e32 v[34:35], 0
	s_wait_dscnt 0x0
	s_barrier_signal -1
	s_barrier_wait -1
	s_and_saveexec_b32 s65, s2
	s_cbranch_execz .LBB35_701
; %bb.696:                              ;   in Loop: Header=BB35_3 Depth=1
	ds_load_b64 v[34:35], v48 offset:20832
	ds_load_b64 v[36:37], v44 offset:20800
	s_wait_dscnt 0x0
	v_fma_f64 v[34:35], v[34:35], v[36:37], 0
	s_and_saveexec_b32 s50, s16
	s_cbranch_execnz .LBB35_1133
; %bb.697:                              ;   in Loop: Header=BB35_3 Depth=1
	s_or_b32 exec_lo, exec_lo, s50
	s_and_saveexec_b32 s50, s17
	s_cbranch_execnz .LBB35_1134
.LBB35_698:                             ;   in Loop: Header=BB35_3 Depth=1
	s_or_b32 exec_lo, exec_lo, s50
	s_and_saveexec_b32 s50, s0
	s_cbranch_execz .LBB35_700
.LBB35_699:                             ;   in Loop: Header=BB35_3 Depth=1
	ds_load_b64 v[36:37], v71 offset:22368
	ds_load_b64 v[38:39], v5 offset:20824
	s_wait_dscnt 0x0
	v_fmac_f64_e32 v[34:35], v[36:37], v[38:39]
.LBB35_700:                             ;   in Loop: Header=BB35_3 Depth=1
	s_or_b32 exec_lo, exec_lo, s50
	s_delay_alu instid0(VALU_DEP_1)
	v_xor_b32_e32 v35, 0x80000000, v35
.LBB35_701:                             ;   in Loop: Header=BB35_3 Depth=1
	s_or_b32 exec_lo, exec_lo, s65
	s_and_saveexec_b32 s50, s97
	s_cbranch_execz .LBB35_703
; %bb.702:                              ;   in Loop: Header=BB35_3 Depth=1
	ds_load_b64 v[36:37], v5 offset:22880
	s_wait_dscnt 0x0
	v_mul_f64_e32 v[34:35], v[34:35], v[36:37]
	ds_store_b64 v47, v[34:35]
.LBB35_703:                             ;   in Loop: Header=BB35_3 Depth=1
	s_or_b32 exec_lo, exec_lo, s50
	s_wait_dscnt 0x0
	s_barrier_signal -1
	s_barrier_wait -1
	s_and_saveexec_b32 s50, s98
	s_cbranch_execz .LBB35_705
; %bb.704:                              ;   in Loop: Header=BB35_3 Depth=1
	ds_load_b64 v[36:37], v45 offset:22880
	ds_load_b64 v[38:39], v47
	s_wait_dscnt 0x0
	v_fmac_f64_e32 v[34:35], v[36:37], v[38:39]
.LBB35_705:                             ;   in Loop: Header=BB35_3 Depth=1
	s_or_b32 exec_lo, exec_lo, s50
	s_barrier_signal -1
	s_barrier_wait -1
	s_and_saveexec_b32 s50, s99
	s_cbranch_execz .LBB35_707
; %bb.706:                              ;   in Loop: Header=BB35_3 Depth=1
	ds_load_b64 v[36:37], v5 offset:23400
	s_wait_dscnt 0x0
	v_mul_f64_e32 v[34:35], v[34:35], v[36:37]
	ds_store_b64 v47, v[34:35]
.LBB35_707:                             ;   in Loop: Header=BB35_3 Depth=1
	s_or_b32 exec_lo, exec_lo, s50
	s_wait_dscnt 0x0
	s_barrier_signal -1
	s_barrier_wait -1
	s_and_saveexec_b32 s50, s100
	s_cbranch_execz .LBB35_709
; %bb.708:                              ;   in Loop: Header=BB35_3 Depth=1
	ds_load_b64 v[36:37], v45 offset:23392
	ds_load_b64 v[38:39], v47
	s_wait_dscnt 0x0
	v_fmac_f64_e32 v[34:35], v[36:37], v[38:39]
.LBB35_709:                             ;   in Loop: Header=BB35_3 Depth=1
	s_or_b32 exec_lo, exec_lo, s50
	s_barrier_signal -1
	s_barrier_wait -1
	;; [unrolled: 23-line block ×3, first 2 shown]
	s_and_saveexec_b32 s50, s102
	s_cbranch_execz .LBB35_715
; %bb.714:                              ;   in Loop: Header=BB35_3 Depth=1
	ds_load_b64 v[36:37], v5 offset:24440
	s_wait_dscnt 0x0
	v_mul_f64_e32 v[34:35], v[34:35], v[36:37]
	ds_store_b64 v47, v[34:35]
.LBB35_715:                             ;   in Loop: Header=BB35_3 Depth=1
	s_or_b32 exec_lo, exec_lo, s50
	s_wait_dscnt 0x0
	s_barrier_signal -1
	s_barrier_wait -1
	s_barrier_signal -1
	s_barrier_wait -1
	s_and_saveexec_b32 s50, s2
; %bb.716:                              ;   in Loop: Header=BB35_3 Depth=1
	s_delay_alu instid0(VALU_DEP_1)
	v_xor_b32_e32 v35, 0x80000000, v35
	ds_store_b64 v48, v[34:35] offset:20832
; %bb.717:                              ;   in Loop: Header=BB35_3 Depth=1
	s_or_b32 exec_lo, exec_lo, s50
	s_wait_dscnt 0x0
	s_barrier_signal -1
	s_barrier_wait -1
	s_barrier_signal -1
	s_barrier_wait -1
	s_and_saveexec_b32 s50, s103
	s_cbranch_execz .LBB35_719
; %bb.718:                              ;   in Loop: Header=BB35_3 Depth=1
	ds_load_b64 v[34:35], v74 offset:20832
	s_wait_dscnt 0x0
	ds_store_b64 v77, v[34:35] offset:22848
	ds_load_b64 v[34:35], v74 offset:20840
	s_wait_dscnt 0x0
	ds_store_b64 v77, v[34:35] offset:23360
	;; [unrolled: 3-line block ×4, first 2 shown]
.LBB35_719:                             ;   in Loop: Header=BB35_3 Depth=1
	s_or_b32 exec_lo, exec_lo, s50
	s_wait_dscnt 0x0
	s_barrier_signal -1
	s_barrier_wait -1
	s_and_saveexec_b32 s50, s14
	s_cbranch_execz .LBB35_721
; %bb.720:                              ;   in Loop: Header=BB35_3 Depth=1
	ds_load_b128 v[34:37], v5 offset:22880
	ds_load_b64 v[38:39], v5 offset:23400
	s_wait_dscnt 0x0
	v_mul_f64_e32 v[34:35], v[34:35], v[38:39]
	s_delay_alu instid0(VALU_DEP_1)
	v_mul_f64_e32 v[34:35], v[36:37], v[34:35]
	v_add_nc_u32_e64 v36, 0x5800, 0
	ds_store_2addr_b64 v36, v[34:35], v[34:35] offset0:45 offset1:108
.LBB35_721:                             ;   in Loop: Header=BB35_3 Depth=1
	s_or_b32 exec_lo, exec_lo, s50
	v_mov_b64_e32 v[34:35], 0
	s_wait_dscnt 0x0
	s_barrier_signal -1
	s_barrier_wait -1
	s_and_saveexec_b32 s50, s0
	s_cbranch_execz .LBB35_725
; %bb.722:                              ;   in Loop: Header=BB35_3 Depth=1
	ds_load_b64 v[34:35], v41 offset:22896
	ds_load_b64 v[36:37], v42 offset:22880
	s_wait_dscnt 0x0
	v_fma_f64 v[34:35], v[34:35], v[36:37], 0
	s_and_saveexec_b32 s51, s15
	s_cbranch_execz .LBB35_724
; %bb.723:                              ;   in Loop: Header=BB35_3 Depth=1
	ds_load_b64 v[36:37], v77 offset:23408
	ds_load_b64 v[38:39], v5 offset:22888
	s_wait_dscnt 0x0
	v_fmac_f64_e32 v[34:35], v[36:37], v[38:39]
.LBB35_724:                             ;   in Loop: Header=BB35_3 Depth=1
	s_or_b32 exec_lo, exec_lo, s51
	s_delay_alu instid0(VALU_DEP_1)
	v_xor_b32_e32 v35, 0x80000000, v35
.LBB35_725:                             ;   in Loop: Header=BB35_3 Depth=1
	s_or_b32 exec_lo, exec_lo, s50
	s_and_saveexec_b32 s50, s94
	s_cbranch_execz .LBB35_727
; %bb.726:                              ;   in Loop: Header=BB35_3 Depth=1
	ds_load_b64 v[36:37], v5 offset:23920
	s_wait_dscnt 0x0
	v_mul_f64_e32 v[34:35], v[34:35], v[36:37]
	ds_store_b64 v3, v[34:35]
.LBB35_727:                             ;   in Loop: Header=BB35_3 Depth=1
	s_or_b32 exec_lo, exec_lo, s50
	s_wait_dscnt 0x0
	s_barrier_signal -1
	s_barrier_wait -1
	s_and_saveexec_b32 s50, s95
	s_cbranch_execz .LBB35_729
; %bb.728:                              ;   in Loop: Header=BB35_3 Depth=1
	ds_load_b64 v[36:37], v5 offset:23928
	ds_load_b64 v[38:39], v3
	s_wait_dscnt 0x0
	v_fmac_f64_e32 v[34:35], v[36:37], v[38:39]
.LBB35_729:                             ;   in Loop: Header=BB35_3 Depth=1
	s_or_b32 exec_lo, exec_lo, s50
	s_barrier_signal -1
	s_barrier_wait -1
	s_and_saveexec_b32 s50, s95
	s_cbranch_execz .LBB35_731
; %bb.730:                              ;   in Loop: Header=BB35_3 Depth=1
	ds_load_b64 v[36:37], v5 offset:24440
	s_wait_dscnt 0x0
	v_mul_f64_e32 v[34:35], v[34:35], v[36:37]
	ds_store_b64 v3, v[34:35]
.LBB35_731:                             ;   in Loop: Header=BB35_3 Depth=1
	s_or_b32 exec_lo, exec_lo, s50
	s_wait_dscnt 0x0
	s_barrier_signal -1
	s_barrier_wait -1
	s_barrier_signal -1
	s_barrier_wait -1
	s_and_saveexec_b32 s50, s0
; %bb.732:                              ;   in Loop: Header=BB35_3 Depth=1
	s_delay_alu instid0(VALU_DEP_1)
	v_xor_b32_e32 v35, 0x80000000, v35
	ds_store_b64 v41, v[34:35] offset:22896
; %bb.733:                              ;   in Loop: Header=BB35_3 Depth=1
	s_or_b32 exec_lo, exec_lo, s50
	s_wait_dscnt 0x0
	s_barrier_signal -1
	s_barrier_wait -1
	s_barrier_signal -1
	s_barrier_wait -1
	s_and_saveexec_b32 s50, s96
	s_cbranch_execz .LBB35_735
; %bb.734:                              ;   in Loop: Header=BB35_3 Depth=1
	ds_load_b64 v[34:35], v78 offset:22896
	s_wait_dscnt 0x0
	ds_store_b64 v77, v[34:35] offset:23904
	ds_load_b64 v[34:35], v78 offset:22904
	s_wait_dscnt 0x0
	ds_store_b64 v77, v[34:35] offset:24416
.LBB35_735:                             ;   in Loop: Header=BB35_3 Depth=1
	s_or_b32 exec_lo, exec_lo, s50
	s_wait_dscnt 0x0
	s_barrier_signal -1
	s_barrier_wait -1
	s_and_saveexec_b32 s50, s14
	s_cbranch_execz .LBB35_737
; %bb.736:                              ;   in Loop: Header=BB35_3 Depth=1
	ds_load_b128 v[34:37], v5 offset:23920
	ds_load_b64 v[38:39], v5 offset:24440
	s_wait_dscnt 0x0
	v_mul_f64_e32 v[34:35], v[34:35], v[38:39]
	s_delay_alu instid0(VALU_DEP_1)
	v_mul_f64_e32 v[34:35], v[36:37], v[34:35]
	v_add_nc_u32_e64 v36, 0x5800, 0
	ds_store_2addr_b64 v36, v[34:35], v[34:35] offset0:175 offset1:238
.LBB35_737:                             ;   in Loop: Header=BB35_3 Depth=1
	s_or_b32 exec_lo, exec_lo, s50
	v_mov_b64_e32 v[34:35], 0
	s_wait_dscnt 0x0
	s_barrier_signal -1
	s_barrier_wait -1
	s_and_saveexec_b32 s84, s4
	s_cbranch_execz .LBB35_765
; %bb.738:                              ;   in Loop: Header=BB35_3 Depth=1
	ds_load_b64 v[34:35], v63 offset:16768
	ds_load_b64 v[36:37], v60 offset:16640
	s_wait_dscnt 0x0
	v_fma_f64 v[34:35], v[34:35], v[36:37], 0
	s_mov_b32 s50, exec_lo
	v_readlane_b32 s51, v98, 29
	s_and_b32 s51, s50, s51
	s_delay_alu instid0(SALU_CYCLE_1)
	s_mov_b32 exec_lo, s51
	s_cbranch_execz .LBB35_740
; %bb.739:                              ;   in Loop: Header=BB35_3 Depth=1
	ds_load_b64 v[36:37], v64 offset:17280
	ds_load_b64 v[38:39], v60 offset:16648
	s_wait_dscnt 0x0
	v_fmac_f64_e32 v[34:35], v[36:37], v[38:39]
.LBB35_740:                             ;   in Loop: Header=BB35_3 Depth=1
	s_or_b32 exec_lo, exec_lo, s50
	s_delay_alu instid0(SALU_CYCLE_1) | instskip(SKIP_2) | instid1(SALU_CYCLE_1)
	s_mov_b32 s50, exec_lo
	v_readlane_b32 s51, v98, 30
	s_and_b32 s51, s50, s51
	s_mov_b32 exec_lo, s51
	s_cbranch_execz .LBB35_742
; %bb.741:                              ;   in Loop: Header=BB35_3 Depth=1
	ds_load_b64 v[36:37], v64 offset:17792
	ds_load_b64 v[38:39], v60 offset:16656
	s_wait_dscnt 0x0
	v_fmac_f64_e32 v[34:35], v[36:37], v[38:39]
.LBB35_742:                             ;   in Loop: Header=BB35_3 Depth=1
	s_or_b32 exec_lo, exec_lo, s50
	s_delay_alu instid0(SALU_CYCLE_1) | instskip(SKIP_2) | instid1(SALU_CYCLE_1)
	s_mov_b32 s50, exec_lo
	v_readlane_b32 s51, v98, 31
	s_and_b32 s51, s50, s51
	;; [unrolled: 13-line block ×10, first 2 shown]
	s_mov_b32 exec_lo, s51
	s_cbranch_execnz .LBB35_1135
; %bb.759:                              ;   in Loop: Header=BB35_3 Depth=1
	s_or_b32 exec_lo, exec_lo, s50
	s_and_saveexec_b32 s50, s3
	s_cbranch_execnz .LBB35_1136
.LBB35_760:                             ;   in Loop: Header=BB35_3 Depth=1
	s_or_b32 exec_lo, exec_lo, s50
	s_and_saveexec_b32 s50, s19
	s_cbranch_execnz .LBB35_1137
.LBB35_761:                             ;   in Loop: Header=BB35_3 Depth=1
	s_or_b32 exec_lo, exec_lo, s50
	s_and_saveexec_b32 s50, s21
	s_cbranch_execnz .LBB35_1138
.LBB35_762:                             ;   in Loop: Header=BB35_3 Depth=1
	s_or_b32 exec_lo, exec_lo, s50
	s_and_saveexec_b32 s50, s2
	s_cbranch_execz .LBB35_764
.LBB35_763:                             ;   in Loop: Header=BB35_3 Depth=1
	ds_load_b64 v[36:37], v43 offset:24448
	ds_load_b64 v[38:39], v5 offset:16760
	s_wait_dscnt 0x0
	v_fmac_f64_e32 v[34:35], v[36:37], v[38:39]
.LBB35_764:                             ;   in Loop: Header=BB35_3 Depth=1
	s_or_b32 exec_lo, exec_lo, s50
	s_delay_alu instid0(VALU_DEP_1)
	v_xor_b32_e32 v35, 0x80000000, v35
.LBB35_765:                             ;   in Loop: Header=BB35_3 Depth=1
	s_or_b32 exec_lo, exec_lo, s84
	s_delay_alu instid0(SALU_CYCLE_1) | instskip(SKIP_2) | instid1(SALU_CYCLE_1)
	s_mov_b32 s50, exec_lo
	v_readlane_b32 s51, v98, 6
	s_and_b32 s51, s50, s51
	s_mov_b32 exec_lo, s51
	s_cbranch_execz .LBB35_767
; %bb.766:                              ;   in Loop: Header=BB35_3 Depth=1
	ds_load_b64 v[36:37], v5 offset:24960
	s_wait_dscnt 0x0
	v_mul_f64_e32 v[34:35], v[34:35], v[36:37]
	ds_store_b64 v62, v[34:35]
.LBB35_767:                             ;   in Loop: Header=BB35_3 Depth=1
	s_or_b32 exec_lo, exec_lo, s50
	s_wait_dscnt 0x0
	s_barrier_signal -1
	s_barrier_wait -1
	s_mov_b32 s50, exec_lo
	v_readlane_b32 s51, v98, 7
	s_and_b32 s51, s50, s51
	s_delay_alu instid0(SALU_CYCLE_1)
	s_mov_b32 exec_lo, s51
	s_cbranch_execz .LBB35_769
; %bb.768:                              ;   in Loop: Header=BB35_3 Depth=1
	ds_load_b64 v[36:37], v61 offset:24960
	ds_load_b64 v[38:39], v62
	s_wait_dscnt 0x0
	v_fmac_f64_e32 v[34:35], v[36:37], v[38:39]
.LBB35_769:                             ;   in Loop: Header=BB35_3 Depth=1
	s_or_b32 exec_lo, exec_lo, s50
	s_barrier_signal -1
	s_barrier_wait -1
	s_mov_b32 s50, exec_lo
	v_readlane_b32 s51, v98, 8
	s_and_b32 s51, s50, s51
	s_delay_alu instid0(SALU_CYCLE_1)
	s_mov_b32 exec_lo, s51
	s_cbranch_execz .LBB35_771
; %bb.770:                              ;   in Loop: Header=BB35_3 Depth=1
	ds_load_b64 v[36:37], v5 offset:25480
	s_wait_dscnt 0x0
	v_mul_f64_e32 v[34:35], v[34:35], v[36:37]
	ds_store_b64 v62, v[34:35]
.LBB35_771:                             ;   in Loop: Header=BB35_3 Depth=1
	s_or_b32 exec_lo, exec_lo, s50
	s_wait_dscnt 0x0
	s_barrier_signal -1
	s_barrier_wait -1
	s_mov_b32 s50, exec_lo
	v_readlane_b32 s51, v98, 9
	s_and_b32 s51, s50, s51
	s_delay_alu instid0(SALU_CYCLE_1)
	s_mov_b32 exec_lo, s51
	s_cbranch_execz .LBB35_773
; %bb.772:                              ;   in Loop: Header=BB35_3 Depth=1
	ds_load_b64 v[36:37], v61 offset:25472
	ds_load_b64 v[38:39], v62
	s_wait_dscnt 0x0
	v_fmac_f64_e32 v[34:35], v[36:37], v[38:39]
.LBB35_773:                             ;   in Loop: Header=BB35_3 Depth=1
	s_or_b32 exec_lo, exec_lo, s50
	s_barrier_signal -1
	s_barrier_wait -1
	s_mov_b32 s50, exec_lo
	v_readlane_b32 s51, v98, 10
	s_and_b32 s51, s50, s51
	s_delay_alu instid0(SALU_CYCLE_1)
	s_mov_b32 exec_lo, s51
	s_cbranch_execz .LBB35_775
; %bb.774:                              ;   in Loop: Header=BB35_3 Depth=1
	ds_load_b64 v[36:37], v5 offset:26000
	s_wait_dscnt 0x0
	v_mul_f64_e32 v[34:35], v[34:35], v[36:37]
	ds_store_b64 v62, v[34:35]
.LBB35_775:                             ;   in Loop: Header=BB35_3 Depth=1
	s_or_b32 exec_lo, exec_lo, s50
	s_wait_dscnt 0x0
	s_barrier_signal -1
	s_barrier_wait -1
	s_and_saveexec_b32 s50, s54
	s_cbranch_execz .LBB35_777
; %bb.776:                              ;   in Loop: Header=BB35_3 Depth=1
	ds_load_b64 v[36:37], v61 offset:25984
	ds_load_b64 v[38:39], v62
	s_wait_dscnt 0x0
	v_fmac_f64_e32 v[34:35], v[36:37], v[38:39]
.LBB35_777:                             ;   in Loop: Header=BB35_3 Depth=1
	s_or_b32 exec_lo, exec_lo, s50
	s_barrier_signal -1
	s_barrier_wait -1
	s_and_saveexec_b32 s50, s55
	s_cbranch_execz .LBB35_779
; %bb.778:                              ;   in Loop: Header=BB35_3 Depth=1
	ds_load_b64 v[36:37], v5 offset:26520
	s_wait_dscnt 0x0
	v_mul_f64_e32 v[34:35], v[34:35], v[36:37]
	ds_store_b64 v62, v[34:35]
.LBB35_779:                             ;   in Loop: Header=BB35_3 Depth=1
	s_or_b32 exec_lo, exec_lo, s50
	s_wait_dscnt 0x0
	s_barrier_signal -1
	s_barrier_wait -1
	s_and_saveexec_b32 s50, s56
	s_cbranch_execz .LBB35_781
; %bb.780:                              ;   in Loop: Header=BB35_3 Depth=1
	ds_load_b64 v[36:37], v61 offset:26496
	ds_load_b64 v[38:39], v62
	s_wait_dscnt 0x0
	v_fmac_f64_e32 v[34:35], v[36:37], v[38:39]
.LBB35_781:                             ;   in Loop: Header=BB35_3 Depth=1
	s_or_b32 exec_lo, exec_lo, s50
	s_barrier_signal -1
	s_barrier_wait -1
	s_and_saveexec_b32 s50, s57
	;; [unrolled: 23-line block ×13, first 2 shown]
	s_cbranch_execz .LBB35_827
; %bb.826:                              ;   in Loop: Header=BB35_3 Depth=1
	ds_load_b64 v[36:37], v5 offset:32760
	s_wait_dscnt 0x0
	v_mul_f64_e32 v[34:35], v[34:35], v[36:37]
	ds_store_b64 v62, v[34:35]
.LBB35_827:                             ;   in Loop: Header=BB35_3 Depth=1
	s_or_b32 exec_lo, exec_lo, s50
	s_wait_dscnt 0x0
	s_barrier_signal -1
	s_barrier_wait -1
	s_barrier_signal -1
	s_barrier_wait -1
	s_and_saveexec_b32 s50, s4
; %bb.828:                              ;   in Loop: Header=BB35_3 Depth=1
	s_delay_alu instid0(VALU_DEP_1)
	v_xor_b32_e32 v35, 0x80000000, v35
	ds_store_b64 v63, v[34:35] offset:16768
; %bb.829:                              ;   in Loop: Header=BB35_3 Depth=1
	s_or_b32 exec_lo, exec_lo, s50
	s_wait_dscnt 0x0
	s_barrier_signal -1
	s_barrier_wait -1
	s_barrier_signal -1
	s_barrier_wait -1
	s_and_saveexec_b32 s50, s73
	s_cbranch_execz .LBB35_831
; %bb.830:                              ;   in Loop: Header=BB35_3 Depth=1
	ds_load_b64 v[34:35], v46 offset:16768
	s_wait_dscnt 0x0
	ds_store_b64 v50, v[34:35] offset:24832
	ds_load_b64 v[34:35], v46 offset:16776
	s_wait_dscnt 0x0
	ds_store_b64 v50, v[34:35] offset:25344
	;; [unrolled: 3-line block ×16, first 2 shown]
.LBB35_831:                             ;   in Loop: Header=BB35_3 Depth=1
	s_or_b32 exec_lo, exec_lo, s50
	s_wait_dscnt 0x0
	s_barrier_signal -1
	s_barrier_wait -1
	s_and_saveexec_b32 s50, s14
	s_cbranch_execz .LBB35_833
; %bb.832:                              ;   in Loop: Header=BB35_3 Depth=1
	ds_load_b128 v[34:37], v5 offset:24960
	ds_load_b64 v[38:39], v5 offset:25480
	s_wait_dscnt 0x0
	v_mul_f64_e32 v[34:35], v[34:35], v[38:39]
	s_delay_alu instid0(VALU_DEP_1)
	v_mul_f64_e32 v[34:35], v[36:37], v[34:35]
	v_add_nc_u32_e64 v36, 0x6000, 0
	ds_store_2addr_b64 v36, v[34:35], v[34:35] offset0:49 offset1:112
.LBB35_833:                             ;   in Loop: Header=BB35_3 Depth=1
	s_or_b32 exec_lo, exec_lo, s50
	v_mov_b64_e32 v[34:35], 0
	s_wait_dscnt 0x0
	s_barrier_signal -1
	s_barrier_wait -1
	s_and_saveexec_b32 s50, s0
	s_cbranch_execz .LBB35_837
; %bb.834:                              ;   in Loop: Header=BB35_3 Depth=1
	ds_load_b64 v[34:35], v41 offset:24976
	ds_load_b64 v[36:37], v42 offset:24960
	s_wait_dscnt 0x0
	v_fma_f64 v[34:35], v[34:35], v[36:37], 0
	s_and_saveexec_b32 s51, s15
	s_cbranch_execz .LBB35_836
; %bb.835:                              ;   in Loop: Header=BB35_3 Depth=1
	ds_load_b64 v[36:37], v43 offset:25488
	ds_load_b64 v[38:39], v5 offset:24968
	s_wait_dscnt 0x0
	v_fmac_f64_e32 v[34:35], v[36:37], v[38:39]
.LBB35_836:                             ;   in Loop: Header=BB35_3 Depth=1
	s_or_b32 exec_lo, exec_lo, s51
	s_delay_alu instid0(VALU_DEP_1)
	v_xor_b32_e32 v35, 0x80000000, v35
.LBB35_837:                             ;   in Loop: Header=BB35_3 Depth=1
	s_or_b32 exec_lo, exec_lo, s50
	s_and_saveexec_b32 s50, s94
	s_cbranch_execz .LBB35_839
; %bb.838:                              ;   in Loop: Header=BB35_3 Depth=1
	ds_load_b64 v[36:37], v5 offset:26000
	s_wait_dscnt 0x0
	v_mul_f64_e32 v[34:35], v[34:35], v[36:37]
	ds_store_b64 v3, v[34:35]
.LBB35_839:                             ;   in Loop: Header=BB35_3 Depth=1
	s_or_b32 exec_lo, exec_lo, s50
	s_wait_dscnt 0x0
	s_barrier_signal -1
	s_barrier_wait -1
	s_and_saveexec_b32 s50, s95
	s_cbranch_execz .LBB35_841
; %bb.840:                              ;   in Loop: Header=BB35_3 Depth=1
	ds_load_b64 v[36:37], v5 offset:26008
	ds_load_b64 v[38:39], v3
	s_wait_dscnt 0x0
	v_fmac_f64_e32 v[34:35], v[36:37], v[38:39]
.LBB35_841:                             ;   in Loop: Header=BB35_3 Depth=1
	s_or_b32 exec_lo, exec_lo, s50
	s_barrier_signal -1
	s_barrier_wait -1
	s_and_saveexec_b32 s50, s95
	s_cbranch_execz .LBB35_843
; %bb.842:                              ;   in Loop: Header=BB35_3 Depth=1
	ds_load_b64 v[36:37], v5 offset:26520
	s_wait_dscnt 0x0
	v_mul_f64_e32 v[34:35], v[34:35], v[36:37]
	ds_store_b64 v3, v[34:35]
.LBB35_843:                             ;   in Loop: Header=BB35_3 Depth=1
	s_or_b32 exec_lo, exec_lo, s50
	s_wait_dscnt 0x0
	s_barrier_signal -1
	s_barrier_wait -1
	s_barrier_signal -1
	s_barrier_wait -1
	s_and_saveexec_b32 s50, s0
; %bb.844:                              ;   in Loop: Header=BB35_3 Depth=1
	s_delay_alu instid0(VALU_DEP_1)
	v_xor_b32_e32 v35, 0x80000000, v35
	ds_store_b64 v41, v[34:35] offset:24976
; %bb.845:                              ;   in Loop: Header=BB35_3 Depth=1
	s_or_b32 exec_lo, exec_lo, s50
	s_wait_dscnt 0x0
	s_barrier_signal -1
	s_barrier_wait -1
	s_barrier_signal -1
	s_barrier_wait -1
	s_and_saveexec_b32 s50, s96
	s_cbranch_execz .LBB35_847
; %bb.846:                              ;   in Loop: Header=BB35_3 Depth=1
	ds_load_b64 v[34:35], v46 offset:24976
	s_wait_dscnt 0x0
	ds_store_b64 v43, v[34:35] offset:25984
	ds_load_b64 v[34:35], v46 offset:24984
	s_wait_dscnt 0x0
	ds_store_b64 v43, v[34:35] offset:26496
.LBB35_847:                             ;   in Loop: Header=BB35_3 Depth=1
	s_or_b32 exec_lo, exec_lo, s50
	s_wait_dscnt 0x0
	s_barrier_signal -1
	s_barrier_wait -1
	s_and_saveexec_b32 s50, s14
	s_cbranch_execz .LBB35_849
; %bb.848:                              ;   in Loop: Header=BB35_3 Depth=1
	ds_load_b128 v[34:37], v5 offset:26000
	ds_load_b64 v[38:39], v5 offset:26520
	s_wait_dscnt 0x0
	v_mul_f64_e32 v[34:35], v[34:35], v[38:39]
	s_delay_alu instid0(VALU_DEP_1)
	v_mul_f64_e32 v[34:35], v[36:37], v[34:35]
	v_add_nc_u32_e64 v36, 0x6000, 0
	ds_store_2addr_b64 v36, v[34:35], v[34:35] offset0:179 offset1:242
.LBB35_849:                             ;   in Loop: Header=BB35_3 Depth=1
	s_or_b32 exec_lo, exec_lo, s50
	v_mov_b64_e32 v[34:35], 0
	s_wait_dscnt 0x0
	s_barrier_signal -1
	s_barrier_wait -1
	s_and_saveexec_b32 s65, s2
	s_cbranch_execz .LBB35_855
; %bb.850:                              ;   in Loop: Header=BB35_3 Depth=1
	ds_load_b64 v[34:35], v48 offset:24992
	ds_load_b64 v[36:37], v44 offset:24960
	s_wait_dscnt 0x0
	v_fma_f64 v[34:35], v[34:35], v[36:37], 0
	s_and_saveexec_b32 s50, s16
	s_cbranch_execnz .LBB35_1139
; %bb.851:                              ;   in Loop: Header=BB35_3 Depth=1
	s_or_b32 exec_lo, exec_lo, s50
	s_and_saveexec_b32 s50, s17
	s_cbranch_execnz .LBB35_1140
.LBB35_852:                             ;   in Loop: Header=BB35_3 Depth=1
	s_or_b32 exec_lo, exec_lo, s50
	s_and_saveexec_b32 s50, s0
	s_cbranch_execz .LBB35_854
.LBB35_853:                             ;   in Loop: Header=BB35_3 Depth=1
	ds_load_b64 v[36:37], v50 offset:26528
	ds_load_b64 v[38:39], v5 offset:24984
	s_wait_dscnt 0x0
	v_fmac_f64_e32 v[34:35], v[36:37], v[38:39]
.LBB35_854:                             ;   in Loop: Header=BB35_3 Depth=1
	s_or_b32 exec_lo, exec_lo, s50
	s_delay_alu instid0(VALU_DEP_1)
	v_xor_b32_e32 v35, 0x80000000, v35
.LBB35_855:                             ;   in Loop: Header=BB35_3 Depth=1
	s_or_b32 exec_lo, exec_lo, s65
	s_and_saveexec_b32 s50, s97
	s_cbranch_execz .LBB35_857
; %bb.856:                              ;   in Loop: Header=BB35_3 Depth=1
	ds_load_b64 v[36:37], v5 offset:27040
	s_wait_dscnt 0x0
	v_mul_f64_e32 v[34:35], v[34:35], v[36:37]
	ds_store_b64 v47, v[34:35]
.LBB35_857:                             ;   in Loop: Header=BB35_3 Depth=1
	s_or_b32 exec_lo, exec_lo, s50
	s_wait_dscnt 0x0
	s_barrier_signal -1
	s_barrier_wait -1
	s_and_saveexec_b32 s50, s98
	s_cbranch_execz .LBB35_859
; %bb.858:                              ;   in Loop: Header=BB35_3 Depth=1
	ds_load_b64 v[36:37], v45 offset:27040
	ds_load_b64 v[38:39], v47
	s_wait_dscnt 0x0
	v_fmac_f64_e32 v[34:35], v[36:37], v[38:39]
.LBB35_859:                             ;   in Loop: Header=BB35_3 Depth=1
	s_or_b32 exec_lo, exec_lo, s50
	s_barrier_signal -1
	s_barrier_wait -1
	s_and_saveexec_b32 s50, s99
	s_cbranch_execz .LBB35_861
; %bb.860:                              ;   in Loop: Header=BB35_3 Depth=1
	ds_load_b64 v[36:37], v5 offset:27560
	s_wait_dscnt 0x0
	v_mul_f64_e32 v[34:35], v[34:35], v[36:37]
	ds_store_b64 v47, v[34:35]
.LBB35_861:                             ;   in Loop: Header=BB35_3 Depth=1
	s_or_b32 exec_lo, exec_lo, s50
	s_wait_dscnt 0x0
	s_barrier_signal -1
	s_barrier_wait -1
	s_and_saveexec_b32 s50, s100
	s_cbranch_execz .LBB35_863
; %bb.862:                              ;   in Loop: Header=BB35_3 Depth=1
	ds_load_b64 v[36:37], v45 offset:27552
	ds_load_b64 v[38:39], v47
	s_wait_dscnt 0x0
	v_fmac_f64_e32 v[34:35], v[36:37], v[38:39]
.LBB35_863:                             ;   in Loop: Header=BB35_3 Depth=1
	s_or_b32 exec_lo, exec_lo, s50
	s_barrier_signal -1
	s_barrier_wait -1
	;; [unrolled: 23-line block ×3, first 2 shown]
	s_and_saveexec_b32 s50, s102
	s_cbranch_execz .LBB35_869
; %bb.868:                              ;   in Loop: Header=BB35_3 Depth=1
	ds_load_b64 v[36:37], v5 offset:28600
	s_wait_dscnt 0x0
	v_mul_f64_e32 v[34:35], v[34:35], v[36:37]
	ds_store_b64 v47, v[34:35]
.LBB35_869:                             ;   in Loop: Header=BB35_3 Depth=1
	s_or_b32 exec_lo, exec_lo, s50
	s_wait_dscnt 0x0
	s_barrier_signal -1
	s_barrier_wait -1
	s_barrier_signal -1
	s_barrier_wait -1
	s_and_saveexec_b32 s50, s2
; %bb.870:                              ;   in Loop: Header=BB35_3 Depth=1
	s_delay_alu instid0(VALU_DEP_1)
	v_xor_b32_e32 v35, 0x80000000, v35
	ds_store_b64 v48, v[34:35] offset:24992
; %bb.871:                              ;   in Loop: Header=BB35_3 Depth=1
	s_or_b32 exec_lo, exec_lo, s50
	s_wait_dscnt 0x0
	s_barrier_signal -1
	s_barrier_wait -1
	s_barrier_signal -1
	s_barrier_wait -1
	s_and_saveexec_b32 s50, s103
	s_cbranch_execz .LBB35_873
; %bb.872:                              ;   in Loop: Header=BB35_3 Depth=1
	ds_load_b64 v[34:35], v51 offset:24992
	s_wait_dscnt 0x0
	ds_store_b64 v52, v[34:35] offset:27008
	ds_load_b64 v[34:35], v51 offset:25000
	s_wait_dscnt 0x0
	ds_store_b64 v52, v[34:35] offset:27520
	;; [unrolled: 3-line block ×4, first 2 shown]
.LBB35_873:                             ;   in Loop: Header=BB35_3 Depth=1
	s_or_b32 exec_lo, exec_lo, s50
	s_wait_dscnt 0x0
	s_barrier_signal -1
	s_barrier_wait -1
	s_and_saveexec_b32 s50, s14
	s_cbranch_execz .LBB35_875
; %bb.874:                              ;   in Loop: Header=BB35_3 Depth=1
	ds_load_b128 v[34:37], v5 offset:27040
	ds_load_b64 v[38:39], v5 offset:27560
	s_wait_dscnt 0x0
	v_mul_f64_e32 v[34:35], v[34:35], v[38:39]
	s_delay_alu instid0(VALU_DEP_1)
	v_mul_f64_e32 v[34:35], v[36:37], v[34:35]
	v_add_nc_u32_e64 v36, 0x6800, 0
	ds_store_2addr_b64 v36, v[34:35], v[34:35] offset0:53 offset1:116
.LBB35_875:                             ;   in Loop: Header=BB35_3 Depth=1
	s_or_b32 exec_lo, exec_lo, s50
	v_mov_b64_e32 v[34:35], 0
	s_wait_dscnt 0x0
	s_barrier_signal -1
	s_barrier_wait -1
	s_and_saveexec_b32 s50, s0
	s_cbranch_execz .LBB35_879
; %bb.876:                              ;   in Loop: Header=BB35_3 Depth=1
	ds_load_b64 v[34:35], v41 offset:27056
	ds_load_b64 v[36:37], v42 offset:27040
	s_wait_dscnt 0x0
	v_fma_f64 v[34:35], v[34:35], v[36:37], 0
	s_and_saveexec_b32 s51, s15
	s_cbranch_execz .LBB35_878
; %bb.877:                              ;   in Loop: Header=BB35_3 Depth=1
	ds_load_b64 v[36:37], v52 offset:27568
	ds_load_b64 v[38:39], v5 offset:27048
	s_wait_dscnt 0x0
	v_fmac_f64_e32 v[34:35], v[36:37], v[38:39]
.LBB35_878:                             ;   in Loop: Header=BB35_3 Depth=1
	s_or_b32 exec_lo, exec_lo, s51
	s_delay_alu instid0(VALU_DEP_1)
	v_xor_b32_e32 v35, 0x80000000, v35
.LBB35_879:                             ;   in Loop: Header=BB35_3 Depth=1
	s_or_b32 exec_lo, exec_lo, s50
	s_and_saveexec_b32 s50, s94
	s_cbranch_execz .LBB35_881
; %bb.880:                              ;   in Loop: Header=BB35_3 Depth=1
	ds_load_b64 v[36:37], v5 offset:28080
	s_wait_dscnt 0x0
	v_mul_f64_e32 v[34:35], v[34:35], v[36:37]
	ds_store_b64 v3, v[34:35]
.LBB35_881:                             ;   in Loop: Header=BB35_3 Depth=1
	s_or_b32 exec_lo, exec_lo, s50
	s_wait_dscnt 0x0
	s_barrier_signal -1
	s_barrier_wait -1
	s_and_saveexec_b32 s50, s95
	s_cbranch_execz .LBB35_883
; %bb.882:                              ;   in Loop: Header=BB35_3 Depth=1
	ds_load_b64 v[36:37], v5 offset:28088
	ds_load_b64 v[38:39], v3
	s_wait_dscnt 0x0
	v_fmac_f64_e32 v[34:35], v[36:37], v[38:39]
.LBB35_883:                             ;   in Loop: Header=BB35_3 Depth=1
	s_or_b32 exec_lo, exec_lo, s50
	s_barrier_signal -1
	s_barrier_wait -1
	s_and_saveexec_b32 s50, s95
	s_cbranch_execz .LBB35_885
; %bb.884:                              ;   in Loop: Header=BB35_3 Depth=1
	ds_load_b64 v[36:37], v5 offset:28600
	s_wait_dscnt 0x0
	v_mul_f64_e32 v[34:35], v[34:35], v[36:37]
	ds_store_b64 v3, v[34:35]
.LBB35_885:                             ;   in Loop: Header=BB35_3 Depth=1
	s_or_b32 exec_lo, exec_lo, s50
	s_wait_dscnt 0x0
	s_barrier_signal -1
	s_barrier_wait -1
	s_barrier_signal -1
	s_barrier_wait -1
	s_and_saveexec_b32 s50, s0
; %bb.886:                              ;   in Loop: Header=BB35_3 Depth=1
	s_delay_alu instid0(VALU_DEP_1)
	v_xor_b32_e32 v35, 0x80000000, v35
	ds_store_b64 v41, v[34:35] offset:27056
; %bb.887:                              ;   in Loop: Header=BB35_3 Depth=1
	s_or_b32 exec_lo, exec_lo, s50
	s_wait_dscnt 0x0
	s_barrier_signal -1
	s_barrier_wait -1
	s_barrier_signal -1
	s_barrier_wait -1
	s_and_saveexec_b32 s50, s96
	s_cbranch_execz .LBB35_889
; %bb.888:                              ;   in Loop: Header=BB35_3 Depth=1
	ds_load_b64 v[34:35], v55 offset:27056
	s_wait_dscnt 0x0
	ds_store_b64 v52, v[34:35] offset:28064
	ds_load_b64 v[34:35], v55 offset:27064
	s_wait_dscnt 0x0
	ds_store_b64 v52, v[34:35] offset:28576
.LBB35_889:                             ;   in Loop: Header=BB35_3 Depth=1
	s_or_b32 exec_lo, exec_lo, s50
	s_wait_dscnt 0x0
	s_barrier_signal -1
	s_barrier_wait -1
	s_and_saveexec_b32 s50, s14
	s_cbranch_execz .LBB35_891
; %bb.890:                              ;   in Loop: Header=BB35_3 Depth=1
	ds_load_b128 v[34:37], v5 offset:28080
	ds_load_b64 v[38:39], v5 offset:28600
	s_wait_dscnt 0x0
	v_mul_f64_e32 v[34:35], v[34:35], v[38:39]
	s_delay_alu instid0(VALU_DEP_1)
	v_mul_f64_e32 v[34:35], v[36:37], v[34:35]
	v_add_nc_u32_e64 v36, 0x6800, 0
	ds_store_2addr_b64 v36, v[34:35], v[34:35] offset0:183 offset1:246
.LBB35_891:                             ;   in Loop: Header=BB35_3 Depth=1
	s_or_b32 exec_lo, exec_lo, s50
	v_mov_b64_e32 v[34:35], 0
	s_wait_dscnt 0x0
	s_barrier_signal -1
	s_barrier_wait -1
	s_and_saveexec_b32 s65, s3
	s_cbranch_execz .LBB35_901
; %bb.892:                              ;   in Loop: Header=BB35_3 Depth=1
	ds_load_b64 v[34:35], v57 offset:25024
	ds_load_b64 v[36:37], v53 offset:24960
	s_wait_dscnt 0x0
	v_fma_f64 v[34:35], v[34:35], v[36:37], 0
	s_and_saveexec_b32 s50, s18
	s_cbranch_execnz .LBB35_1141
; %bb.893:                              ;   in Loop: Header=BB35_3 Depth=1
	s_or_b32 exec_lo, exec_lo, s50
	s_and_saveexec_b32 s50, s19
	s_cbranch_execnz .LBB35_1142
.LBB35_894:                             ;   in Loop: Header=BB35_3 Depth=1
	s_or_b32 exec_lo, exec_lo, s50
	s_and_saveexec_b32 s50, s20
	s_cbranch_execnz .LBB35_1143
.LBB35_895:                             ;   in Loop: Header=BB35_3 Depth=1
	s_or_b32 exec_lo, exec_lo, s50
	s_and_saveexec_b32 s50, s21
	s_cbranch_execnz .LBB35_1144
.LBB35_896:                             ;   in Loop: Header=BB35_3 Depth=1
	s_or_b32 exec_lo, exec_lo, s50
	s_and_saveexec_b32 s50, s22
	s_cbranch_execnz .LBB35_1145
.LBB35_897:                             ;   in Loop: Header=BB35_3 Depth=1
	s_or_b32 exec_lo, exec_lo, s50
	s_and_saveexec_b32 s50, s2
	s_cbranch_execnz .LBB35_1146
.LBB35_898:                             ;   in Loop: Header=BB35_3 Depth=1
	s_or_b32 exec_lo, exec_lo, s50
	s_and_saveexec_b32 s50, s17
	s_cbranch_execz .LBB35_900
.LBB35_899:                             ;   in Loop: Header=BB35_3 Depth=1
	ds_load_b64 v[36:37], v59 offset:28608
	ds_load_b64 v[38:39], v5 offset:25016
	s_wait_dscnt 0x0
	v_fmac_f64_e32 v[34:35], v[36:37], v[38:39]
.LBB35_900:                             ;   in Loop: Header=BB35_3 Depth=1
	s_or_b32 exec_lo, exec_lo, s50
	s_delay_alu instid0(VALU_DEP_1)
	v_xor_b32_e32 v35, 0x80000000, v35
.LBB35_901:                             ;   in Loop: Header=BB35_3 Depth=1
	s_or_b32 exec_lo, exec_lo, s65
	s_and_saveexec_b32 s50, s104
	s_cbranch_execz .LBB35_903
; %bb.902:                              ;   in Loop: Header=BB35_3 Depth=1
	ds_load_b64 v[36:37], v5 offset:29120
	s_wait_dscnt 0x0
	v_mul_f64_e32 v[34:35], v[34:35], v[36:37]
	ds_store_b64 v56, v[34:35]
.LBB35_903:                             ;   in Loop: Header=BB35_3 Depth=1
	s_or_b32 exec_lo, exec_lo, s50
	s_wait_dscnt 0x0
	s_barrier_signal -1
	s_barrier_wait -1
	s_and_saveexec_b32 s50, vcc_hi
	s_cbranch_execz .LBB35_905
; %bb.904:                              ;   in Loop: Header=BB35_3 Depth=1
	ds_load_b64 v[36:37], v54 offset:29120
	ds_load_b64 v[38:39], v56
	s_wait_dscnt 0x0
	v_fmac_f64_e32 v[34:35], v[36:37], v[38:39]
.LBB35_905:                             ;   in Loop: Header=BB35_3 Depth=1
	s_or_b32 exec_lo, exec_lo, s50
	s_barrier_signal -1
	s_barrier_wait -1
	s_and_saveexec_b32 s50, s36
	s_cbranch_execz .LBB35_907
; %bb.906:                              ;   in Loop: Header=BB35_3 Depth=1
	ds_load_b64 v[36:37], v5 offset:29640
	s_wait_dscnt 0x0
	v_mul_f64_e32 v[34:35], v[34:35], v[36:37]
	ds_store_b64 v56, v[34:35]
.LBB35_907:                             ;   in Loop: Header=BB35_3 Depth=1
	s_or_b32 exec_lo, exec_lo, s50
	s_wait_dscnt 0x0
	s_barrier_signal -1
	s_barrier_wait -1
	s_and_saveexec_b32 s50, s37
	s_cbranch_execz .LBB35_909
; %bb.908:                              ;   in Loop: Header=BB35_3 Depth=1
	ds_load_b64 v[36:37], v54 offset:29632
	ds_load_b64 v[38:39], v56
	s_wait_dscnt 0x0
	v_fmac_f64_e32 v[34:35], v[36:37], v[38:39]
.LBB35_909:                             ;   in Loop: Header=BB35_3 Depth=1
	s_or_b32 exec_lo, exec_lo, s50
	s_barrier_signal -1
	s_barrier_wait -1
	s_and_saveexec_b32 s50, s38
	s_cbranch_execz .LBB35_911
; %bb.910:                              ;   in Loop: Header=BB35_3 Depth=1
	ds_load_b64 v[36:37], v5 offset:30160
	s_wait_dscnt 0x0
	v_mul_f64_e32 v[34:35], v[34:35], v[36:37]
	ds_store_b64 v56, v[34:35]
.LBB35_911:                             ;   in Loop: Header=BB35_3 Depth=1
	s_or_b32 exec_lo, exec_lo, s50
	s_wait_dscnt 0x0
	s_barrier_signal -1
	s_barrier_wait -1
	s_and_saveexec_b32 s50, s39
	;; [unrolled: 23-line block ×6, first 2 shown]
	s_cbranch_execz .LBB35_929
; %bb.928:                              ;   in Loop: Header=BB35_3 Depth=1
	ds_load_b64 v[36:37], v5 offset:32248
	ds_load_b64 v[38:39], v56
	s_wait_dscnt 0x0
	v_fmac_f64_e32 v[34:35], v[36:37], v[38:39]
.LBB35_929:                             ;   in Loop: Header=BB35_3 Depth=1
	s_or_b32 exec_lo, exec_lo, s50
	s_barrier_signal -1
	s_barrier_wait -1
	s_and_saveexec_b32 s50, s47
	s_cbranch_execz .LBB35_931
; %bb.930:                              ;   in Loop: Header=BB35_3 Depth=1
	ds_load_b64 v[36:37], v5 offset:32760
	s_wait_dscnt 0x0
	v_mul_f64_e32 v[34:35], v[34:35], v[36:37]
	ds_store_b64 v56, v[34:35]
.LBB35_931:                             ;   in Loop: Header=BB35_3 Depth=1
	s_or_b32 exec_lo, exec_lo, s50
	s_wait_dscnt 0x0
	s_barrier_signal -1
	s_barrier_wait -1
	s_barrier_signal -1
	s_barrier_wait -1
	s_and_saveexec_b32 s50, s3
; %bb.932:                              ;   in Loop: Header=BB35_3 Depth=1
	s_delay_alu instid0(VALU_DEP_1)
	v_xor_b32_e32 v35, 0x80000000, v35
	ds_store_b64 v57, v[34:35] offset:25024
; %bb.933:                              ;   in Loop: Header=BB35_3 Depth=1
	s_or_b32 exec_lo, exec_lo, s50
	s_wait_dscnt 0x0
	s_barrier_signal -1
	s_barrier_wait -1
	s_barrier_signal -1
	s_barrier_wait -1
	s_and_saveexec_b32 s50, s48
	s_cbranch_execz .LBB35_935
; %bb.934:                              ;   in Loop: Header=BB35_3 Depth=1
	ds_load_b64 v[34:35], v68 offset:25024
	s_wait_dscnt 0x0
	ds_store_b64 v69, v[34:35] offset:29056
	ds_load_b64 v[34:35], v68 offset:25032
	s_wait_dscnt 0x0
	ds_store_b64 v69, v[34:35] offset:29568
	;; [unrolled: 3-line block ×8, first 2 shown]
.LBB35_935:                             ;   in Loop: Header=BB35_3 Depth=1
	s_or_b32 exec_lo, exec_lo, s50
	s_wait_dscnt 0x0
	s_barrier_signal -1
	s_barrier_wait -1
	s_and_saveexec_b32 s50, s14
	s_cbranch_execz .LBB35_937
; %bb.936:                              ;   in Loop: Header=BB35_3 Depth=1
	ds_load_b128 v[34:37], v5 offset:29120
	ds_load_b64 v[38:39], v5 offset:29640
	s_wait_dscnt 0x0
	v_mul_f64_e32 v[34:35], v[34:35], v[38:39]
	s_delay_alu instid0(VALU_DEP_1)
	v_mul_f64_e32 v[34:35], v[36:37], v[34:35]
	v_add_nc_u32_e64 v36, 0x7000, 0
	ds_store_2addr_b64 v36, v[34:35], v[34:35] offset0:57 offset1:120
.LBB35_937:                             ;   in Loop: Header=BB35_3 Depth=1
	s_or_b32 exec_lo, exec_lo, s50
	v_mov_b64_e32 v[34:35], 0
	s_wait_dscnt 0x0
	s_barrier_signal -1
	s_barrier_wait -1
	s_and_saveexec_b32 s50, s0
	s_cbranch_execz .LBB35_941
; %bb.938:                              ;   in Loop: Header=BB35_3 Depth=1
	ds_load_b64 v[34:35], v41 offset:29136
	ds_load_b64 v[36:37], v42 offset:29120
	s_wait_dscnt 0x0
	v_fma_f64 v[34:35], v[34:35], v[36:37], 0
	s_and_saveexec_b32 s51, s15
	s_cbranch_execz .LBB35_940
; %bb.939:                              ;   in Loop: Header=BB35_3 Depth=1
	ds_load_b64 v[36:37], v69 offset:29648
	ds_load_b64 v[38:39], v5 offset:29128
	s_wait_dscnt 0x0
	v_fmac_f64_e32 v[34:35], v[36:37], v[38:39]
.LBB35_940:                             ;   in Loop: Header=BB35_3 Depth=1
	s_or_b32 exec_lo, exec_lo, s51
	s_delay_alu instid0(VALU_DEP_1)
	v_xor_b32_e32 v35, 0x80000000, v35
.LBB35_941:                             ;   in Loop: Header=BB35_3 Depth=1
	s_or_b32 exec_lo, exec_lo, s50
	s_and_saveexec_b32 s50, s94
	s_cbranch_execz .LBB35_943
; %bb.942:                              ;   in Loop: Header=BB35_3 Depth=1
	ds_load_b64 v[36:37], v5 offset:30160
	s_wait_dscnt 0x0
	v_mul_f64_e32 v[34:35], v[34:35], v[36:37]
	ds_store_b64 v3, v[34:35]
.LBB35_943:                             ;   in Loop: Header=BB35_3 Depth=1
	s_or_b32 exec_lo, exec_lo, s50
	s_wait_dscnt 0x0
	s_barrier_signal -1
	s_barrier_wait -1
	s_and_saveexec_b32 s50, s95
	s_cbranch_execz .LBB35_945
; %bb.944:                              ;   in Loop: Header=BB35_3 Depth=1
	ds_load_b64 v[36:37], v5 offset:30168
	ds_load_b64 v[38:39], v3
	s_wait_dscnt 0x0
	v_fmac_f64_e32 v[34:35], v[36:37], v[38:39]
.LBB35_945:                             ;   in Loop: Header=BB35_3 Depth=1
	s_or_b32 exec_lo, exec_lo, s50
	s_barrier_signal -1
	s_barrier_wait -1
	s_and_saveexec_b32 s50, s95
	s_cbranch_execz .LBB35_947
; %bb.946:                              ;   in Loop: Header=BB35_3 Depth=1
	ds_load_b64 v[36:37], v5 offset:30680
	s_wait_dscnt 0x0
	v_mul_f64_e32 v[34:35], v[34:35], v[36:37]
	ds_store_b64 v3, v[34:35]
.LBB35_947:                             ;   in Loop: Header=BB35_3 Depth=1
	s_or_b32 exec_lo, exec_lo, s50
	s_wait_dscnt 0x0
	s_barrier_signal -1
	s_barrier_wait -1
	s_barrier_signal -1
	s_barrier_wait -1
	s_and_saveexec_b32 s50, s0
; %bb.948:                              ;   in Loop: Header=BB35_3 Depth=1
	s_delay_alu instid0(VALU_DEP_1)
	v_xor_b32_e32 v35, 0x80000000, v35
	ds_store_b64 v41, v[34:35] offset:29136
; %bb.949:                              ;   in Loop: Header=BB35_3 Depth=1
	s_or_b32 exec_lo, exec_lo, s50
	s_wait_dscnt 0x0
	s_barrier_signal -1
	s_barrier_wait -1
	s_barrier_signal -1
	s_barrier_wait -1
	s_and_saveexec_b32 s50, s96
	s_cbranch_execz .LBB35_951
; %bb.950:                              ;   in Loop: Header=BB35_3 Depth=1
	ds_load_b64 v[34:35], v70 offset:29136
	s_wait_dscnt 0x0
	ds_store_b64 v69, v[34:35] offset:30144
	ds_load_b64 v[34:35], v70 offset:29144
	s_wait_dscnt 0x0
	ds_store_b64 v69, v[34:35] offset:30656
.LBB35_951:                             ;   in Loop: Header=BB35_3 Depth=1
	s_or_b32 exec_lo, exec_lo, s50
	s_wait_dscnt 0x0
	s_barrier_signal -1
	s_barrier_wait -1
	s_and_saveexec_b32 s50, s14
	s_cbranch_execz .LBB35_953
; %bb.952:                              ;   in Loop: Header=BB35_3 Depth=1
	ds_load_b128 v[34:37], v5 offset:30160
	ds_load_b64 v[38:39], v5 offset:30680
	s_wait_dscnt 0x0
	v_mul_f64_e32 v[34:35], v[34:35], v[38:39]
	s_delay_alu instid0(VALU_DEP_1)
	v_mul_f64_e32 v[34:35], v[36:37], v[34:35]
	v_add_nc_u32_e64 v36, 0x7000, 0
	ds_store_2addr_b64 v36, v[34:35], v[34:35] offset0:187 offset1:250
.LBB35_953:                             ;   in Loop: Header=BB35_3 Depth=1
	s_or_b32 exec_lo, exec_lo, s50
	v_mov_b64_e32 v[34:35], 0
	s_wait_dscnt 0x0
	s_barrier_signal -1
	s_barrier_wait -1
	s_and_saveexec_b32 s65, s2
	s_cbranch_execz .LBB35_959
; %bb.954:                              ;   in Loop: Header=BB35_3 Depth=1
	ds_load_b64 v[34:35], v48 offset:29152
	ds_load_b64 v[36:37], v44 offset:29120
	s_wait_dscnt 0x0
	v_fma_f64 v[34:35], v[34:35], v[36:37], 0
	s_and_saveexec_b32 s50, s16
	s_cbranch_execnz .LBB35_1147
; %bb.955:                              ;   in Loop: Header=BB35_3 Depth=1
	s_or_b32 exec_lo, exec_lo, s50
	s_and_saveexec_b32 s50, s17
	s_cbranch_execnz .LBB35_1148
.LBB35_956:                             ;   in Loop: Header=BB35_3 Depth=1
	s_or_b32 exec_lo, exec_lo, s50
	s_and_saveexec_b32 s50, s0
	s_cbranch_execz .LBB35_958
.LBB35_957:                             ;   in Loop: Header=BB35_3 Depth=1
	ds_load_b64 v[36:37], v71 offset:30688
	ds_load_b64 v[38:39], v5 offset:29144
	s_wait_dscnt 0x0
	v_fmac_f64_e32 v[34:35], v[36:37], v[38:39]
.LBB35_958:                             ;   in Loop: Header=BB35_3 Depth=1
	s_or_b32 exec_lo, exec_lo, s50
	s_delay_alu instid0(VALU_DEP_1)
	v_xor_b32_e32 v35, 0x80000000, v35
.LBB35_959:                             ;   in Loop: Header=BB35_3 Depth=1
	s_or_b32 exec_lo, exec_lo, s65
	s_and_saveexec_b32 s50, s97
	s_cbranch_execz .LBB35_961
; %bb.960:                              ;   in Loop: Header=BB35_3 Depth=1
	ds_load_b64 v[36:37], v5 offset:31200
	s_wait_dscnt 0x0
	v_mul_f64_e32 v[34:35], v[34:35], v[36:37]
	ds_store_b64 v47, v[34:35]
.LBB35_961:                             ;   in Loop: Header=BB35_3 Depth=1
	s_or_b32 exec_lo, exec_lo, s50
	s_wait_dscnt 0x0
	s_barrier_signal -1
	s_barrier_wait -1
	s_and_saveexec_b32 s50, s98
	s_cbranch_execz .LBB35_963
; %bb.962:                              ;   in Loop: Header=BB35_3 Depth=1
	ds_load_b64 v[36:37], v45 offset:31200
	ds_load_b64 v[38:39], v47
	s_wait_dscnt 0x0
	v_fmac_f64_e32 v[34:35], v[36:37], v[38:39]
.LBB35_963:                             ;   in Loop: Header=BB35_3 Depth=1
	s_or_b32 exec_lo, exec_lo, s50
	s_barrier_signal -1
	s_barrier_wait -1
	s_and_saveexec_b32 s50, s99
	s_cbranch_execz .LBB35_965
; %bb.964:                              ;   in Loop: Header=BB35_3 Depth=1
	ds_load_b64 v[36:37], v5 offset:31720
	s_wait_dscnt 0x0
	v_mul_f64_e32 v[34:35], v[34:35], v[36:37]
	ds_store_b64 v47, v[34:35]
.LBB35_965:                             ;   in Loop: Header=BB35_3 Depth=1
	s_or_b32 exec_lo, exec_lo, s50
	s_wait_dscnt 0x0
	s_barrier_signal -1
	s_barrier_wait -1
	s_and_saveexec_b32 s50, s100
	s_cbranch_execz .LBB35_967
; %bb.966:                              ;   in Loop: Header=BB35_3 Depth=1
	ds_load_b64 v[36:37], v45 offset:31712
	ds_load_b64 v[38:39], v47
	s_wait_dscnt 0x0
	v_fmac_f64_e32 v[34:35], v[36:37], v[38:39]
.LBB35_967:                             ;   in Loop: Header=BB35_3 Depth=1
	s_or_b32 exec_lo, exec_lo, s50
	s_barrier_signal -1
	s_barrier_wait -1
	;; [unrolled: 23-line block ×3, first 2 shown]
	s_and_saveexec_b32 s50, s102
	s_cbranch_execz .LBB35_973
; %bb.972:                              ;   in Loop: Header=BB35_3 Depth=1
	ds_load_b64 v[36:37], v5 offset:32760
	s_wait_dscnt 0x0
	v_mul_f64_e32 v[34:35], v[34:35], v[36:37]
	ds_store_b64 v47, v[34:35]
.LBB35_973:                             ;   in Loop: Header=BB35_3 Depth=1
	s_or_b32 exec_lo, exec_lo, s50
	s_wait_dscnt 0x0
	s_barrier_signal -1
	s_barrier_wait -1
	s_barrier_signal -1
	s_barrier_wait -1
	s_and_saveexec_b32 s50, s2
; %bb.974:                              ;   in Loop: Header=BB35_3 Depth=1
	s_delay_alu instid0(VALU_DEP_1)
	v_xor_b32_e32 v35, 0x80000000, v35
	ds_store_b64 v48, v[34:35] offset:29152
; %bb.975:                              ;   in Loop: Header=BB35_3 Depth=1
	s_or_b32 exec_lo, exec_lo, s50
	s_wait_dscnt 0x0
	s_barrier_signal -1
	s_barrier_wait -1
	s_barrier_signal -1
	s_barrier_wait -1
	s_and_saveexec_b32 s50, s103
	s_cbranch_execz .LBB35_977
; %bb.976:                              ;   in Loop: Header=BB35_3 Depth=1
	ds_load_b64 v[34:35], v74 offset:29152
	s_wait_dscnt 0x0
	ds_store_b64 v77, v[34:35] offset:31168
	ds_load_b64 v[34:35], v74 offset:29160
	s_wait_dscnt 0x0
	ds_store_b64 v77, v[34:35] offset:31680
	;; [unrolled: 3-line block ×4, first 2 shown]
.LBB35_977:                             ;   in Loop: Header=BB35_3 Depth=1
	s_or_b32 exec_lo, exec_lo, s50
	s_wait_dscnt 0x0
	s_barrier_signal -1
	s_barrier_wait -1
	s_and_saveexec_b32 s50, s14
	s_cbranch_execz .LBB35_979
; %bb.978:                              ;   in Loop: Header=BB35_3 Depth=1
	ds_load_b128 v[34:37], v5 offset:31200
	ds_load_b64 v[38:39], v5 offset:31720
	s_wait_dscnt 0x0
	v_mul_f64_e32 v[34:35], v[34:35], v[38:39]
	s_delay_alu instid0(VALU_DEP_1)
	v_mul_f64_e32 v[34:35], v[36:37], v[34:35]
	v_add_nc_u32_e64 v36, 0x7800, 0
	ds_store_2addr_b64 v36, v[34:35], v[34:35] offset0:61 offset1:124
.LBB35_979:                             ;   in Loop: Header=BB35_3 Depth=1
	s_or_b32 exec_lo, exec_lo, s50
	v_mov_b64_e32 v[34:35], 0
	s_wait_dscnt 0x0
	s_barrier_signal -1
	s_barrier_wait -1
	s_and_saveexec_b32 s50, s0
	s_cbranch_execz .LBB35_983
; %bb.980:                              ;   in Loop: Header=BB35_3 Depth=1
	ds_load_b64 v[34:35], v41 offset:31216
	ds_load_b64 v[36:37], v42 offset:31200
	s_wait_dscnt 0x0
	v_fma_f64 v[34:35], v[34:35], v[36:37], 0
	s_and_saveexec_b32 s51, s15
	s_cbranch_execz .LBB35_982
; %bb.981:                              ;   in Loop: Header=BB35_3 Depth=1
	ds_load_b64 v[36:37], v77 offset:31728
	ds_load_b64 v[38:39], v5 offset:31208
	s_wait_dscnt 0x0
	v_fmac_f64_e32 v[34:35], v[36:37], v[38:39]
.LBB35_982:                             ;   in Loop: Header=BB35_3 Depth=1
	s_or_b32 exec_lo, exec_lo, s51
	s_delay_alu instid0(VALU_DEP_1)
	v_xor_b32_e32 v35, 0x80000000, v35
.LBB35_983:                             ;   in Loop: Header=BB35_3 Depth=1
	s_or_b32 exec_lo, exec_lo, s50
	s_and_saveexec_b32 s50, s94
	s_cbranch_execz .LBB35_985
; %bb.984:                              ;   in Loop: Header=BB35_3 Depth=1
	ds_load_b64 v[36:37], v5 offset:32240
	s_wait_dscnt 0x0
	v_mul_f64_e32 v[34:35], v[34:35], v[36:37]
	ds_store_b64 v3, v[34:35]
.LBB35_985:                             ;   in Loop: Header=BB35_3 Depth=1
	s_or_b32 exec_lo, exec_lo, s50
	s_wait_dscnt 0x0
	s_barrier_signal -1
	s_barrier_wait -1
	s_and_saveexec_b32 s50, s95
	s_cbranch_execz .LBB35_987
; %bb.986:                              ;   in Loop: Header=BB35_3 Depth=1
	ds_load_b64 v[36:37], v5 offset:32248
	ds_load_b64 v[38:39], v3
	s_wait_dscnt 0x0
	v_fmac_f64_e32 v[34:35], v[36:37], v[38:39]
.LBB35_987:                             ;   in Loop: Header=BB35_3 Depth=1
	s_or_b32 exec_lo, exec_lo, s50
	s_barrier_signal -1
	s_barrier_wait -1
	s_and_saveexec_b32 s50, s95
	s_cbranch_execz .LBB35_989
; %bb.988:                              ;   in Loop: Header=BB35_3 Depth=1
	ds_load_b64 v[36:37], v5 offset:32760
	s_wait_dscnt 0x0
	v_mul_f64_e32 v[34:35], v[34:35], v[36:37]
	ds_store_b64 v3, v[34:35]
.LBB35_989:                             ;   in Loop: Header=BB35_3 Depth=1
	s_or_b32 exec_lo, exec_lo, s50
	s_wait_dscnt 0x0
	s_barrier_signal -1
	s_barrier_wait -1
	s_barrier_signal -1
	s_barrier_wait -1
	s_and_saveexec_b32 s50, s0
; %bb.990:                              ;   in Loop: Header=BB35_3 Depth=1
	s_delay_alu instid0(VALU_DEP_1)
	v_xor_b32_e32 v35, 0x80000000, v35
	ds_store_b64 v41, v[34:35] offset:31216
; %bb.991:                              ;   in Loop: Header=BB35_3 Depth=1
	s_or_b32 exec_lo, exec_lo, s50
	s_wait_dscnt 0x0
	s_barrier_signal -1
	s_barrier_wait -1
	s_barrier_signal -1
	s_barrier_wait -1
	s_and_saveexec_b32 s50, s96
	s_cbranch_execz .LBB35_993
; %bb.992:                              ;   in Loop: Header=BB35_3 Depth=1
	ds_load_b64 v[34:35], v78 offset:31216
	s_wait_dscnt 0x0
	ds_store_b64 v77, v[34:35] offset:32224
	ds_load_b64 v[34:35], v78 offset:31224
	s_wait_dscnt 0x0
	ds_store_b64 v77, v[34:35] offset:32736
.LBB35_993:                             ;   in Loop: Header=BB35_3 Depth=1
	s_or_b32 exec_lo, exec_lo, s50
	s_wait_dscnt 0x0
	s_barrier_signal -1
	s_barrier_wait -1
	s_and_saveexec_b32 s50, s14
	s_cbranch_execz .LBB35_995
; %bb.994:                              ;   in Loop: Header=BB35_3 Depth=1
	ds_load_b128 v[34:37], v5 offset:32240
	ds_load_b64 v[38:39], v5 offset:32760
	s_wait_dscnt 0x0
	v_mul_f64_e32 v[34:35], v[34:35], v[38:39]
	s_delay_alu instid0(VALU_DEP_1)
	v_mul_f64_e32 v[34:35], v[36:37], v[34:35]
	v_add_nc_u32_e64 v36, 0x7800, 0
	ds_store_2addr_b64 v36, v[34:35], v[34:35] offset0:191 offset1:254
.LBB35_995:                             ;   in Loop: Header=BB35_3 Depth=1
	s_or_b32 exec_lo, exec_lo, s50
.LBB35_996:                             ;   in Loop: Header=BB35_3 Depth=1
	v_readlane_b32 s52, v98, 4
	v_mov_b64_e32 v[34:35], 0
	v_readlane_b32 s53, v98, 5
	s_mul_u64 s[50:51], s[76:77], s[80:81]
	s_wait_dscnt 0x0
	s_lshl_b64 s[50:51], s[50:51], 3
	s_barrier_signal -1
	s_add_nc_u64 s[84:85], s[52:53], s[50:51]
	s_barrier_wait -1
	s_and_saveexec_b32 s50, s71
	s_cbranch_execz .LBB35_998
; %bb.997:                              ;   in Loop: Header=BB35_3 Depth=1
	v_lshl_add_u64 v[34:35], v[0:1], 3, s[84:85]
	global_load_b64 v[34:35], v[34:35], off
	s_wait_loadcnt 0x0
	v_mul_f64_e64 v[34:35], v[34:35], -v[32:33]
.LBB35_998:                             ;   in Loop: Header=BB35_3 Depth=1
	s_or_b32 exec_lo, exec_lo, s50
	s_delay_alu instid0(SALU_CYCLE_1)
	s_and_not1_b32 vcc_lo, exec_lo, s88
	s_cbranch_vccnz .LBB35_1024
; %bb.999:                              ;   in Loop: Header=BB35_3 Depth=1
	v_mov_b32_e32 v92, -1
	s_lshl_b64 s[50:51], s[80:81], 2
	s_mov_b32 s65, 0
	s_add_nc_u64 s[86:87], s[78:79], s[50:51]
	s_branch .LBB35_1002
.LBB35_1000:                            ;   in Loop: Header=BB35_1002 Depth=2
	s_wait_xcnt 0x0
	ds_load_b64 v[32:33], v79 offset:384
	s_wait_loadcnt_dscnt 0x0
	v_fmac_f64_e32 v[34:35], v[36:37], v[32:33]
.LBB35_1001:                            ;   in Loop: Header=BB35_1002 Depth=2
	s_or_b32 exec_lo, exec_lo, s50
	s_add_co_i32 s65, s65, 1
	s_delay_alu instid0(SALU_CYCLE_1)
	s_cmp_eq_u32 s65, s89
	s_cbranch_scc1 .LBB35_1024
.LBB35_1002:                            ;   Parent Loop BB35_3 Depth=1
                                        ; =>  This Loop Header: Depth=2
                                        ;       Child Loop BB35_1004 Depth 3
	v_cmp_gt_i32_e32 vcc_lo, s65, v92
	s_and_b32 s51, s59, vcc_lo
	s_delay_alu instid0(SALU_CYCLE_1)
	s_and_saveexec_b32 s50, s51
	s_cbranch_execz .LBB35_1005
; %bb.1003:                             ;   in Loop: Header=BB35_1002 Depth=2
	global_load_b32 v92, v5, s[86:87]
	s_wait_loadcnt 0x0
	v_cmp_le_i32_e32 vcc_lo, s65, v92
	s_cbranch_vccnz .LBB35_1005
.LBB35_1004:                            ;   Parent Loop BB35_3 Depth=1
                                        ;     Parent Loop BB35_1002 Depth=2
                                        ; =>    This Inner Loop Header: Depth=3
	global_wb scope:SCOPE_DEV
	s_wait_storecnt 0x0
	global_inv scope:SCOPE_DEV
	global_load_b32 v92, v5, s[86:87]
	s_wait_loadcnt 0x0
	v_cmp_gt_i32_e32 vcc_lo, s65, v92
	s_cbranch_vccnz .LBB35_1004
.LBB35_1005:                            ;   in Loop: Header=BB35_1002 Depth=2
	s_or_b32 exec_lo, exec_lo, s50
	s_sub_co_i32 s50, s90, s65
	global_wb scope:SCOPE_DEV
	s_wait_storecnt 0x0
	global_inv scope:SCOPE_DEV
	s_lshl_b32 s51, s50, 6
	s_wait_loadcnt 0x0
	s_barrier_signal -1
	s_barrier_wait -1
	s_and_saveexec_b32 s52, s60
	s_cbranch_execz .LBB35_1009
; %bb.1006:                             ;   in Loop: Header=BB35_1002 Depth=2
	s_ashr_i32 s53, s51, 31
	v_mov_b64_e32 v[36:37], 0
	v_dual_mov_b32 v33, s53 :: v_dual_bitop2_b32 v32, s51, v4 bitop3:0x54
	s_mov_b32 s53, exec_lo
	s_delay_alu instid0(VALU_DEP_1)
	v_cmpx_gt_i64_e64 s[82:83], v[32:33]
	s_cbranch_execz .LBB35_1008
; %bb.1007:                             ;   in Loop: Header=BB35_1002 Depth=2
	v_mul_u64_e32 v[32:33], s[74:75], v[32:33]
	s_delay_alu instid0(VALU_DEP_1)
	v_lshl_add_u64 v[32:33], v[32:33], 3, s[84:85]
	global_load_b64 v[36:37], v[32:33], off
.LBB35_1008:                            ;   in Loop: Header=BB35_1002 Depth=2
	s_wait_xcnt 0x0
	s_or_b32 exec_lo, exec_lo, s53
	s_wait_loadcnt 0x0
	ds_store_b64 v84, v[36:37]
.LBB35_1009:                            ;   in Loop: Header=BB35_1002 Depth=2
	s_or_b32 exec_lo, exec_lo, s52
	v_add_nc_u32_e32 v36, s51, v40
	s_cmp_lg_u32 s50, s49
	s_wait_dscnt 0x0
	s_cselect_b32 s51, -1, 0
	s_barrier_signal -1
	v_ashrrev_i32_e32 v37, 31, v36
	v_cmp_gt_i32_e32 vcc_lo, s82, v36
	s_barrier_wait -1
	s_delay_alu instid0(VALU_DEP_2) | instskip(SKIP_2) | instid1(SALU_CYCLE_1)
	v_lshl_add_u64 v[32:33], v[36:37], 3, v[30:31]
	v_cndmask_b32_e64 v37, 0, 1, s51
	s_and_b32 s52, vcc_lo, s5
	s_and_saveexec_b32 s50, s52
	s_cbranch_execz .LBB35_1013
; %bb.1010:                             ;   in Loop: Header=BB35_1002 Depth=2
	v_mov_b64_e32 v[38:39], v[22:23]
	s_and_not1_b32 vcc_lo, exec_lo, s51
	s_cbranch_vccnz .LBB35_1012
; %bb.1011:                             ;   in Loop: Header=BB35_1002 Depth=2
	global_load_b64 v[38:39], v[32:33], off
.LBB35_1012:                            ;   in Loop: Header=BB35_1002 Depth=2
	ds_load_b64 v[94:95], v79
	s_wait_loadcnt_dscnt 0x0
	v_fmac_f64_e32 v[34:35], v[38:39], v[94:95]
.LBB35_1013:                            ;   in Loop: Header=BB35_1002 Depth=2
	s_or_b32 exec_lo, exec_lo, s50
	v_add_nc_u32_e32 v38, 16, v36
	s_delay_alu instid0(VALU_DEP_1) | instskip(SKIP_1) | instid1(SALU_CYCLE_1)
	v_cmp_gt_i32_e32 vcc_lo, s82, v38
	s_and_b32 s51, vcc_lo, s5
	s_and_saveexec_b32 s50, s51
	s_cbranch_execz .LBB35_1017
; %bb.1014:                             ;   in Loop: Header=BB35_1002 Depth=2
	v_cmp_ne_u32_e32 vcc_lo, 1, v37
	v_mov_b64_e32 v[38:39], v[24:25]
	s_cbranch_vccnz .LBB35_1016
; %bb.1015:                             ;   in Loop: Header=BB35_1002 Depth=2
	global_load_b64 v[38:39], v[32:33], off offset:128
.LBB35_1016:                            ;   in Loop: Header=BB35_1002 Depth=2
	ds_load_b64 v[94:95], v79 offset:128
	s_wait_loadcnt_dscnt 0x0
	v_fmac_f64_e32 v[34:35], v[38:39], v[94:95]
.LBB35_1017:                            ;   in Loop: Header=BB35_1002 Depth=2
	s_or_b32 exec_lo, exec_lo, s50
	v_add_nc_u32_e32 v38, 32, v36
	s_delay_alu instid0(VALU_DEP_1) | instskip(SKIP_1) | instid1(SALU_CYCLE_1)
	v_cmp_gt_i32_e32 vcc_lo, s82, v38
	s_and_b32 s51, vcc_lo, s5
	s_and_saveexec_b32 s50, s51
	s_cbranch_execz .LBB35_1021
; %bb.1018:                             ;   in Loop: Header=BB35_1002 Depth=2
	v_cmp_ne_u32_e32 vcc_lo, 1, v37
	v_mov_b64_e32 v[38:39], v[26:27]
	s_cbranch_vccnz .LBB35_1020
; %bb.1019:                             ;   in Loop: Header=BB35_1002 Depth=2
	global_load_b64 v[38:39], v[32:33], off offset:256
.LBB35_1020:                            ;   in Loop: Header=BB35_1002 Depth=2
	ds_load_b64 v[94:95], v79 offset:256
	s_wait_loadcnt_dscnt 0x0
	v_fmac_f64_e32 v[34:35], v[38:39], v[94:95]
.LBB35_1021:                            ;   in Loop: Header=BB35_1002 Depth=2
	s_or_b32 exec_lo, exec_lo, s50
	v_add_nc_u32_e32 v36, 48, v36
	s_delay_alu instid0(VALU_DEP_1) | instskip(SKIP_1) | instid1(SALU_CYCLE_1)
	v_cmp_gt_i32_e32 vcc_lo, s82, v36
	s_and_b32 s51, vcc_lo, s5
	s_and_saveexec_b32 s50, s51
	s_cbranch_execz .LBB35_1001
; %bb.1022:                             ;   in Loop: Header=BB35_1002 Depth=2
	v_cmp_ne_u32_e32 vcc_lo, 1, v37
	v_mov_b64_e32 v[36:37], v[28:29]
	s_cbranch_vccnz .LBB35_1000
; %bb.1023:                             ;   in Loop: Header=BB35_1002 Depth=2
	global_load_b64 v[36:37], v[32:33], off offset:384
	s_branch .LBB35_1000
.LBB35_1024:                            ;   in Loop: Header=BB35_3 Depth=1
	ds_store_b64 v85, v[34:35]
	s_wait_dscnt 0x0
	s_barrier_signal -1
	s_barrier_wait -1
	s_and_saveexec_b32 s65, s1
	s_cbranch_execz .LBB35_1026
; %bb.1025:                             ;   in Loop: Header=BB35_3 Depth=1
	ds_load_2addr_stride64_b64 v[30:33], v86 offset0:1 offset1:2
	ds_load_2addr_stride64_b64 v[36:39], v86 offset0:3 offset1:4
	s_wait_dscnt 0x1
	v_add_f64_e32 v[30:31], v[34:35], v[30:31]
	s_delay_alu instid0(VALU_DEP_1) | instskip(SKIP_1) | instid1(VALU_DEP_1)
	v_add_f64_e32 v[30:31], v[30:31], v[32:33]
	s_wait_dscnt 0x0
	v_add_f64_e32 v[30:31], v[30:31], v[36:37]
	s_delay_alu instid0(VALU_DEP_1) | instskip(SKIP_4) | instid1(VALU_DEP_1)
	v_add_f64_e32 v[38:39], v[30:31], v[38:39]
	ds_load_2addr_stride64_b64 v[30:33], v86 offset0:5 offset1:6
	ds_load_2addr_stride64_b64 v[34:37], v86 offset0:7 offset1:8
	s_wait_dscnt 0x1
	v_add_f64_e32 v[30:31], v[38:39], v[30:31]
	v_add_f64_e32 v[30:31], v[30:31], v[32:33]
	s_wait_dscnt 0x0
	s_delay_alu instid0(VALU_DEP_1) | instskip(NEXT) | instid1(VALU_DEP_1)
	v_add_f64_e32 v[30:31], v[30:31], v[34:35]
	v_add_f64_e32 v[38:39], v[30:31], v[36:37]
	ds_load_2addr_stride64_b64 v[30:33], v86 offset0:9 offset1:10
	ds_load_2addr_stride64_b64 v[34:37], v86 offset0:11 offset1:12
	s_wait_dscnt 0x1
	v_add_f64_e32 v[30:31], v[38:39], v[30:31]
	s_delay_alu instid0(VALU_DEP_1) | instskip(SKIP_1) | instid1(VALU_DEP_1)
	v_add_f64_e32 v[30:31], v[30:31], v[32:33]
	s_wait_dscnt 0x0
	v_add_f64_e32 v[30:31], v[30:31], v[34:35]
	s_delay_alu instid0(VALU_DEP_1) | instskip(SKIP_4) | instid1(VALU_DEP_1)
	v_add_f64_e32 v[34:35], v[30:31], v[36:37]
	ds_load_2addr_stride64_b64 v[30:33], v86 offset0:13 offset1:14
	ds_load_b64 v[36:37], v86 offset:7680
	s_wait_dscnt 0x1
	v_add_f64_e32 v[30:31], v[34:35], v[30:31]
	v_add_f64_e32 v[30:31], v[30:31], v[32:33]
	s_wait_dscnt 0x0
	s_delay_alu instid0(VALU_DEP_1) | instskip(NEXT) | instid1(VALU_DEP_1)
	v_add_f64_e32 v[30:31], v[30:31], v[36:37]
	v_xor_b32_e32 v31, 0x80000000, v31
	s_delay_alu instid0(VALU_DEP_2) | instskip(NEXT) | instid1(VALU_DEP_2)
	v_cndmask_b32_e64 v34, v30, 0, s70
	v_cndmask_b32_e64 v35, v31, 0, s70
.LBB35_1026:                            ;   in Loop: Header=BB35_3 Depth=1
	s_or_b32 exec_lo, exec_lo, s65
	s_delay_alu instid0(SALU_CYCLE_1)
	s_and_not1_b32 vcc_lo, exec_lo, s93
	s_cbranch_vccnz .LBB35_1036
; %bb.1027:                             ;   in Loop: Header=BB35_3 Depth=1
	s_and_saveexec_b32 s50, s1
; %bb.1028:                             ;   in Loop: Header=BB35_3 Depth=1
	ds_store_b64 v90, v[34:35]
; %bb.1029:                             ;   in Loop: Header=BB35_3 Depth=1
	s_or_b32 exec_lo, exec_lo, s50
	v_mov_b64_e32 v[30:31], 0
	s_wait_dscnt 0x0
	s_barrier_signal -1
	s_barrier_wait -1
	s_and_saveexec_b32 s50, s6
	s_cbranch_execnz .LBB35_1092
; %bb.1030:                             ;   in Loop: Header=BB35_3 Depth=1
	s_or_b32 exec_lo, exec_lo, s50
	s_and_saveexec_b32 s50, s7
	s_cbranch_execnz .LBB35_1093
.LBB35_1031:                            ;   in Loop: Header=BB35_3 Depth=1
	s_or_b32 exec_lo, exec_lo, s50
	s_and_saveexec_b32 s50, s8
	s_cbranch_execnz .LBB35_1094
.LBB35_1032:                            ;   in Loop: Header=BB35_3 Depth=1
	s_or_b32 exec_lo, exec_lo, s50
	s_and_saveexec_b32 s50, s9
	s_cbranch_execz .LBB35_1034
.LBB35_1033:                            ;   in Loop: Header=BB35_3 Depth=1
	ds_load_b64 v[32:33], v89 offset:24576
	ds_load_b64 v[36:37], v79 offset:384
	s_wait_dscnt 0x0
	v_fmac_f64_e32 v[30:31], v[32:33], v[36:37]
.LBB35_1034:                            ;   in Loop: Header=BB35_3 Depth=1
	s_or_b32 exec_lo, exec_lo, s50
	s_mov_b32 s65, 0
	s_mov_b32 s86, 0
	ds_store_b64 v85, v[30:31]
	s_wait_dscnt 0x0
	s_barrier_signal -1
	s_barrier_wait -1
                                        ; implicit-def: $vgpr32_vgpr33
	s_and_saveexec_b32 s87, s1
	s_cbranch_execz .LBB35_1095
; %bb.1035:                             ;   in Loop: Header=BB35_3 Depth=1
	ds_load_2addr_stride64_b64 v[36:39], v86 offset0:1 offset1:2
	ds_load_2addr_stride64_b64 v[92:95], v86 offset0:3 offset1:4
	s_mov_b32 s86, exec_lo
	s_wait_dscnt 0x1
	v_add_f64_e32 v[30:31], v[30:31], v[36:37]
	s_delay_alu instid0(VALU_DEP_1) | instskip(SKIP_1) | instid1(VALU_DEP_1)
	v_add_f64_e32 v[30:31], v[38:39], v[30:31]
	s_wait_dscnt 0x0
	v_add_f64_e32 v[30:31], v[92:93], v[30:31]
	s_delay_alu instid0(VALU_DEP_1) | instskip(SKIP_4) | instid1(VALU_DEP_1)
	v_add_f64_e32 v[92:93], v[94:95], v[30:31]
	ds_load_2addr_stride64_b64 v[30:33], v86 offset0:5 offset1:6
	ds_load_2addr_stride64_b64 v[36:39], v86 offset0:7 offset1:8
	s_wait_dscnt 0x1
	v_add_f64_e32 v[30:31], v[30:31], v[92:93]
	v_add_f64_e32 v[30:31], v[32:33], v[30:31]
	s_wait_dscnt 0x0
	s_delay_alu instid0(VALU_DEP_1) | instskip(NEXT) | instid1(VALU_DEP_1)
	v_add_f64_e32 v[30:31], v[36:37], v[30:31]
	v_add_f64_e32 v[92:93], v[38:39], v[30:31]
	ds_load_2addr_stride64_b64 v[30:33], v86 offset0:9 offset1:10
	ds_load_2addr_stride64_b64 v[36:39], v86 offset0:11 offset1:12
	s_wait_dscnt 0x1
	v_add_f64_e32 v[30:31], v[30:31], v[92:93]
	s_delay_alu instid0(VALU_DEP_1) | instskip(SKIP_1) | instid1(VALU_DEP_1)
	v_add_f64_e32 v[30:31], v[32:33], v[30:31]
	s_wait_dscnt 0x0
	v_add_f64_e32 v[30:31], v[36:37], v[30:31]
	s_delay_alu instid0(VALU_DEP_1) | instskip(SKIP_4) | instid1(VALU_DEP_1)
	v_add_f64_e32 v[36:37], v[38:39], v[30:31]
	ds_load_2addr_stride64_b64 v[30:33], v86 offset0:13 offset1:14
	ds_load_b64 v[38:39], v86 offset:7680
	s_wait_dscnt 0x1
	v_add_f64_e32 v[30:31], v[30:31], v[36:37]
	v_add_f64_e32 v[30:31], v[32:33], v[30:31]
	s_wait_dscnt 0x0
	s_delay_alu instid0(VALU_DEP_1) | instskip(SKIP_1) | instid1(SALU_CYCLE_1)
	v_add_f64_e32 v[32:33], v[38:39], v[30:31]
	s_or_b32 exec_lo, exec_lo, s87
	s_and_b32 vcc_lo, exec_lo, s65
	s_cbranch_vccnz .LBB35_1037
	s_branch .LBB35_1096
.LBB35_1036:                            ;   in Loop: Header=BB35_3 Depth=1
	s_mov_b32 s86, 0
                                        ; implicit-def: $vgpr32_vgpr33
	s_cbranch_execz .LBB35_1096
.LBB35_1037:                            ;   in Loop: Header=BB35_3 Depth=1
	v_dual_mov_b32 v30, v91 :: v_dual_mov_b32 v31, v88
	s_mov_b32 s65, 63
	s_branch .LBB35_1039
.LBB35_1038:                            ;   in Loop: Header=BB35_1039 Depth=2
	s_or_b32 exec_lo, exec_lo, s50
	v_add_nc_u32_e32 v31, 0xfffff800, v31
	v_add_nc_u32_e32 v30, 4, v30
	s_add_co_i32 s65, s65, -4
	s_cmp_lg_u32 s87, 0
	s_barrier_signal -1
	s_barrier_wait -1
	s_cbranch_scc0 .LBB35_1055
.LBB35_1039:                            ;   Parent Loop BB35_3 Depth=1
                                        ; =>  This Inner Loop Header: Depth=2
	s_delay_alu instid0(VALU_DEP_1) | instskip(SKIP_2) | instid1(SALU_CYCLE_1)
	v_cmp_eq_u32_e32 vcc_lo, 0, v30
	v_add_nc_u32_e32 v32, v78, v43
	s_and_b32 s51, s1, vcc_lo
	s_and_saveexec_b32 s50, s51
	s_cbranch_execz .LBB35_1041
; %bb.1040:                             ;   in Loop: Header=BB35_1039 Depth=2
	ds_load_b64 v[36:37], v32
	s_wait_dscnt 0x0
	v_mul_f64_e32 v[34:35], v[34:35], v[36:37]
	ds_store_b64 v5, v[34:35] offset:41472
.LBB35_1041:                            ;   in Loop: Header=BB35_1039 Depth=2
	s_or_b32 exec_lo, exec_lo, s50
	v_cmp_gt_u32_e32 vcc_lo, s65, v2
	s_wait_dscnt 0x0
	s_barrier_signal -1
	s_barrier_wait -1
	s_and_b32 s51, s1, vcc_lo
	s_delay_alu instid0(SALU_CYCLE_1)
	s_and_saveexec_b32 s50, s51
	s_cbranch_execz .LBB35_1043
; %bb.1042:                             ;   in Loop: Header=BB35_1039 Depth=2
	ds_load_b64 v[36:37], v31 offset:1536
	ds_load_b64 v[38:39], v5 offset:41472
	s_wait_dscnt 0x0
	v_fmac_f64_e32 v[34:35], v[36:37], v[38:39]
.LBB35_1043:                            ;   in Loop: Header=BB35_1039 Depth=2
	s_or_b32 exec_lo, exec_lo, s50
	s_add_co_i32 s50, s65, -1
	s_delay_alu instid0(SALU_CYCLE_1) | instskip(SKIP_3) | instid1(SALU_CYCLE_1)
	v_cmp_eq_u32_e32 vcc_lo, s50, v2
	s_barrier_signal -1
	s_barrier_wait -1
	s_and_b32 s52, s1, vcc_lo
	s_and_saveexec_b32 s51, s52
	s_cbranch_execz .LBB35_1045
; %bb.1044:                             ;   in Loop: Header=BB35_1039 Depth=2
	ds_load_b64 v[36:37], v32
	s_wait_dscnt 0x0
	v_mul_f64_e32 v[34:35], v[34:35], v[36:37]
	ds_store_b64 v5, v[34:35] offset:41472
.LBB35_1045:                            ;   in Loop: Header=BB35_1039 Depth=2
	s_or_b32 exec_lo, exec_lo, s51
	v_cmp_gt_u32_e32 vcc_lo, s50, v2
	s_wait_dscnt 0x0
	s_barrier_signal -1
	s_barrier_wait -1
	s_and_b32 s51, s1, vcc_lo
	s_delay_alu instid0(SALU_CYCLE_1)
	s_and_saveexec_b32 s50, s51
	s_cbranch_execz .LBB35_1047
; %bb.1046:                             ;   in Loop: Header=BB35_1039 Depth=2
	ds_load_b64 v[36:37], v31 offset:1024
	ds_load_b64 v[38:39], v5 offset:41472
	s_wait_dscnt 0x0
	v_fmac_f64_e32 v[34:35], v[36:37], v[38:39]
.LBB35_1047:                            ;   in Loop: Header=BB35_1039 Depth=2
	s_or_b32 exec_lo, exec_lo, s50
	s_add_co_i32 s50, s65, -2
	s_delay_alu instid0(SALU_CYCLE_1) | instskip(SKIP_3) | instid1(SALU_CYCLE_1)
	v_cmp_eq_u32_e32 vcc_lo, s50, v2
	s_barrier_signal -1
	s_barrier_wait -1
	;; [unrolled: 30-line block ×3, first 2 shown]
	s_and_b32 s51, s1, vcc_lo
	s_and_saveexec_b32 s50, s51
	s_cbranch_execz .LBB35_1053
; %bb.1052:                             ;   in Loop: Header=BB35_1039 Depth=2
	ds_load_b64 v[32:33], v32
	s_wait_dscnt 0x0
	v_mul_f64_e32 v[34:35], v[34:35], v[32:33]
	ds_store_b64 v5, v[34:35] offset:41472
.LBB35_1053:                            ;   in Loop: Header=BB35_1039 Depth=2
	s_or_b32 exec_lo, exec_lo, s50
	v_cmp_gt_u32_e32 vcc_lo, s87, v2
	s_wait_dscnt 0x0
	s_barrier_signal -1
	s_barrier_wait -1
	s_and_b32 s51, s1, vcc_lo
	s_delay_alu instid0(SALU_CYCLE_1)
	s_and_saveexec_b32 s50, s51
	s_cbranch_execz .LBB35_1038
; %bb.1054:                             ;   in Loop: Header=BB35_1039 Depth=2
	ds_load_b64 v[32:33], v31
	ds_load_b64 v[36:37], v5 offset:41472
	s_wait_dscnt 0x0
	v_fmac_f64_e32 v[34:35], v[32:33], v[36:37]
	s_branch .LBB35_1038
.LBB35_1055:                            ;   in Loop: Header=BB35_3 Depth=1
	s_and_b32 vcc_lo, exec_lo, s91
	s_mov_b32 s50, -1
	s_cbranch_vccnz .LBB35_1097
; %bb.1056:                             ;   in Loop: Header=BB35_3 Depth=1
	s_and_not1_b32 vcc_lo, exec_lo, s50
	s_cbranch_vccz .LBB35_1098
.LBB35_1057:                            ;   in Loop: Header=BB35_3 Depth=1
	s_and_saveexec_b32 s50, s86
	s_cbranch_execz .LBB35_1059
.LBB35_1058:                            ;   in Loop: Header=BB35_3 Depth=1
	v_lshl_add_u64 v[30:31], v[10:11], 3, s[84:85]
	global_store_b64 v[30:31], v[34:35], off
.LBB35_1059:                            ;   in Loop: Header=BB35_3 Depth=1
	s_wait_xcnt 0x0
	s_or_b32 exec_lo, exec_lo, s50
	global_wb scope:SCOPE_DEV
	s_wait_storecnt 0x0
	global_inv scope:SCOPE_DEV
	s_wait_loadcnt 0x0
	s_barrier_signal -1
	s_barrier_wait -1
	s_and_saveexec_b32 s50, s59
	s_cbranch_execz .LBB35_2
; %bb.1060:                             ;   in Loop: Header=BB35_3 Depth=1
	s_lshl_b64 s[52:53], s[80:81], 2
	s_delay_alu instid0(SALU_CYCLE_1)
	s_add_nc_u64 s[52:53], s[78:79], s[52:53]
	global_load_b32 v30, v5, s[52:53]
	s_wait_loadcnt 0x0
	v_add_nc_u32_e32 v30, 1, v30
	global_store_b32 v5, v30, s[52:53]
	s_branch .LBB35_2
.LBB35_1061:                            ;   in Loop: Header=BB35_3 Depth=1
	s_mov_b32 s50, exec_lo
	v_readlane_b32 s51, v98, 21
	s_and_b32 s51, s50, s51
	s_delay_alu instid0(SALU_CYCLE_1)
	s_xor_b32 s50, s51, s50
	s_mov_b32 exec_lo, s51
	s_cbranch_execz .LBB35_1065
; %bb.1062:                             ;   in Loop: Header=BB35_3 Depth=1
	s_mov_b32 s51, exec_lo
	v_readlane_b32 s52, v97, 31
	s_and_b32 s52, s51, s52
	s_delay_alu instid0(SALU_CYCLE_1)
	s_mov_b32 exec_lo, s52
; %bb.1063:                             ;   in Loop: Header=BB35_3 Depth=1
	ds_store_b64 v72, v[20:21]
; %bb.1064:                             ;   in Loop: Header=BB35_3 Depth=1
	s_or_b32 exec_lo, exec_lo, s51
.LBB35_1065:                            ;   in Loop: Header=BB35_3 Depth=1
	s_and_not1_saveexec_b32 s50, s50
	s_cbranch_execz .LBB35_1067
; %bb.1066:                             ;   in Loop: Header=BB35_3 Depth=1
	v_lshl_add_u64 v[34:35], v[12:13], 3, s[84:85]
	global_load_b64 v[34:35], v[34:35], off
	s_wait_loadcnt 0x0
	v_div_scale_f64 v[36:37], null, v[34:35], v[34:35], 1.0
	s_delay_alu instid0(VALU_DEP_1) | instskip(SKIP_1) | instid1(TRANS32_DEP_1)
	v_rcp_f64_e32 v[38:39], v[36:37]
	v_nop
	v_fma_f64 v[92:93], -v[36:37], v[38:39], 1.0
	s_delay_alu instid0(VALU_DEP_1) | instskip(NEXT) | instid1(VALU_DEP_1)
	v_fmac_f64_e32 v[38:39], v[38:39], v[92:93]
	v_fma_f64 v[92:93], -v[36:37], v[38:39], 1.0
	s_delay_alu instid0(VALU_DEP_1) | instskip(SKIP_1) | instid1(VALU_DEP_1)
	v_fmac_f64_e32 v[38:39], v[38:39], v[92:93]
	v_div_scale_f64 v[92:93], vcc_lo, 1.0, v[34:35], 1.0
	v_mul_f64_e32 v[94:95], v[92:93], v[38:39]
	s_delay_alu instid0(VALU_DEP_1) | instskip(NEXT) | instid1(VALU_DEP_1)
	v_fma_f64 v[36:37], -v[36:37], v[94:95], v[92:93]
	v_div_fmas_f64 v[36:37], v[36:37], v[38:39], v[94:95]
	s_delay_alu instid0(VALU_DEP_1)
	v_div_fixup_f64 v[34:35], v[36:37], v[34:35], 1.0
	ds_store_b64 v72, v[34:35]
.LBB35_1067:                            ;   in Loop: Header=BB35_3 Depth=1
	s_or_b32 exec_lo, exec_lo, s50
	s_and_not1_saveexec_b32 s50, s65
	s_cbranch_execz .LBB35_16
.LBB35_1068:                            ;   in Loop: Header=BB35_3 Depth=1
	v_lshl_add_u64 v[34:35], v[12:13], 3, s[84:85]
	global_load_b64 v[34:35], v[34:35], off
	s_wait_loadcnt 0x0
	v_xor_b32_e32 v35, 0x80000000, v35
	ds_store_b64 v72, v[34:35]
	s_or_b32 exec_lo, exec_lo, s50
	s_and_saveexec_b32 s50, s7
	s_delay_alu instid0(SALU_CYCLE_1)
	s_xor_b32 s65, exec_lo, s50
	s_cbranch_execz .LBB35_17
.LBB35_1069:                            ;   in Loop: Header=BB35_3 Depth=1
	s_mov_b32 s50, exec_lo
	v_readlane_b32 s51, v98, 23
	s_and_b32 s51, s50, s51
	s_delay_alu instid0(SALU_CYCLE_1)
	s_xor_b32 s50, s51, s50
	s_mov_b32 exec_lo, s51
	s_cbranch_execz .LBB35_1073
; %bb.1070:                             ;   in Loop: Header=BB35_3 Depth=1
	s_mov_b32 s51, exec_lo
	v_readlane_b32 s52, v96, 0
	s_and_b32 s52, s51, s52
	s_delay_alu instid0(SALU_CYCLE_1)
	s_mov_b32 exec_lo, s52
; %bb.1071:                             ;   in Loop: Header=BB35_3 Depth=1
	ds_store_b64 v73, v[20:21]
; %bb.1072:                             ;   in Loop: Header=BB35_3 Depth=1
	s_or_b32 exec_lo, exec_lo, s51
.LBB35_1073:                            ;   in Loop: Header=BB35_3 Depth=1
	s_and_not1_saveexec_b32 s50, s50
	s_cbranch_execz .LBB35_1075
; %bb.1074:                             ;   in Loop: Header=BB35_3 Depth=1
	v_lshl_add_u64 v[34:35], v[14:15], 3, s[84:85]
	global_load_b64 v[34:35], v[34:35], off
	s_wait_loadcnt 0x0
	v_div_scale_f64 v[36:37], null, v[34:35], v[34:35], 1.0
	s_delay_alu instid0(VALU_DEP_1) | instskip(SKIP_1) | instid1(TRANS32_DEP_1)
	v_rcp_f64_e32 v[38:39], v[36:37]
	v_nop
	v_fma_f64 v[92:93], -v[36:37], v[38:39], 1.0
	s_delay_alu instid0(VALU_DEP_1) | instskip(NEXT) | instid1(VALU_DEP_1)
	v_fmac_f64_e32 v[38:39], v[38:39], v[92:93]
	v_fma_f64 v[92:93], -v[36:37], v[38:39], 1.0
	s_delay_alu instid0(VALU_DEP_1) | instskip(SKIP_1) | instid1(VALU_DEP_1)
	v_fmac_f64_e32 v[38:39], v[38:39], v[92:93]
	v_div_scale_f64 v[92:93], vcc_lo, 1.0, v[34:35], 1.0
	v_mul_f64_e32 v[94:95], v[92:93], v[38:39]
	s_delay_alu instid0(VALU_DEP_1) | instskip(NEXT) | instid1(VALU_DEP_1)
	v_fma_f64 v[36:37], -v[36:37], v[94:95], v[92:93]
	v_div_fmas_f64 v[36:37], v[36:37], v[38:39], v[94:95]
	s_delay_alu instid0(VALU_DEP_1)
	v_div_fixup_f64 v[34:35], v[36:37], v[34:35], 1.0
	ds_store_b64 v73, v[34:35]
.LBB35_1075:                            ;   in Loop: Header=BB35_3 Depth=1
	s_or_b32 exec_lo, exec_lo, s50
	s_and_not1_saveexec_b32 s50, s65
	s_cbranch_execz .LBB35_18
.LBB35_1076:                            ;   in Loop: Header=BB35_3 Depth=1
	v_lshl_add_u64 v[34:35], v[14:15], 3, s[84:85]
	global_load_b64 v[34:35], v[34:35], off
	s_wait_loadcnt 0x0
	v_xor_b32_e32 v35, 0x80000000, v35
	ds_store_b64 v73, v[34:35]
	s_or_b32 exec_lo, exec_lo, s50
	s_and_saveexec_b32 s50, s8
	s_delay_alu instid0(SALU_CYCLE_1)
	s_xor_b32 s65, exec_lo, s50
	s_cbranch_execz .LBB35_19
.LBB35_1077:                            ;   in Loop: Header=BB35_3 Depth=1
	s_mov_b32 s50, exec_lo
	v_readlane_b32 s51, v98, 25
	s_and_b32 s51, s50, s51
	s_delay_alu instid0(SALU_CYCLE_1)
	s_xor_b32 s50, s51, s50
	s_mov_b32 exec_lo, s51
	s_cbranch_execz .LBB35_1081
; %bb.1078:                             ;   in Loop: Header=BB35_3 Depth=1
	s_mov_b32 s51, exec_lo
	v_readlane_b32 s52, v96, 1
	s_and_b32 s52, s51, s52
	s_delay_alu instid0(SALU_CYCLE_1)
	s_mov_b32 exec_lo, s52
; %bb.1079:                             ;   in Loop: Header=BB35_3 Depth=1
	ds_store_b64 v75, v[20:21]
; %bb.1080:                             ;   in Loop: Header=BB35_3 Depth=1
	s_or_b32 exec_lo, exec_lo, s51
.LBB35_1081:                            ;   in Loop: Header=BB35_3 Depth=1
	s_and_not1_saveexec_b32 s50, s50
	s_cbranch_execz .LBB35_1083
; %bb.1082:                             ;   in Loop: Header=BB35_3 Depth=1
	v_lshl_add_u64 v[34:35], v[16:17], 3, s[84:85]
	global_load_b64 v[34:35], v[34:35], off
	s_wait_loadcnt 0x0
	v_div_scale_f64 v[36:37], null, v[34:35], v[34:35], 1.0
	s_delay_alu instid0(VALU_DEP_1) | instskip(SKIP_1) | instid1(TRANS32_DEP_1)
	v_rcp_f64_e32 v[38:39], v[36:37]
	v_nop
	v_fma_f64 v[92:93], -v[36:37], v[38:39], 1.0
	s_delay_alu instid0(VALU_DEP_1) | instskip(NEXT) | instid1(VALU_DEP_1)
	v_fmac_f64_e32 v[38:39], v[38:39], v[92:93]
	v_fma_f64 v[92:93], -v[36:37], v[38:39], 1.0
	s_delay_alu instid0(VALU_DEP_1) | instskip(SKIP_1) | instid1(VALU_DEP_1)
	v_fmac_f64_e32 v[38:39], v[38:39], v[92:93]
	v_div_scale_f64 v[92:93], vcc_lo, 1.0, v[34:35], 1.0
	v_mul_f64_e32 v[94:95], v[92:93], v[38:39]
	s_delay_alu instid0(VALU_DEP_1) | instskip(NEXT) | instid1(VALU_DEP_1)
	v_fma_f64 v[36:37], -v[36:37], v[94:95], v[92:93]
	v_div_fmas_f64 v[36:37], v[36:37], v[38:39], v[94:95]
	s_delay_alu instid0(VALU_DEP_1)
	v_div_fixup_f64 v[34:35], v[36:37], v[34:35], 1.0
	ds_store_b64 v75, v[34:35]
.LBB35_1083:                            ;   in Loop: Header=BB35_3 Depth=1
	s_or_b32 exec_lo, exec_lo, s50
	s_and_not1_saveexec_b32 s50, s65
	s_cbranch_execz .LBB35_20
.LBB35_1084:                            ;   in Loop: Header=BB35_3 Depth=1
	v_lshl_add_u64 v[34:35], v[16:17], 3, s[84:85]
	global_load_b64 v[34:35], v[34:35], off
	s_wait_loadcnt 0x0
	v_xor_b32_e32 v35, 0x80000000, v35
	ds_store_b64 v75, v[34:35]
	s_or_b32 exec_lo, exec_lo, s50
	s_and_saveexec_b32 s50, s9
	s_delay_alu instid0(SALU_CYCLE_1)
	s_xor_b32 s65, exec_lo, s50
	s_cbranch_execz .LBB35_21
.LBB35_1085:                            ;   in Loop: Header=BB35_3 Depth=1
	s_mov_b32 s50, exec_lo
	v_readlane_b32 s51, v98, 27
	s_and_b32 s51, s50, s51
	s_delay_alu instid0(SALU_CYCLE_1)
	s_xor_b32 s50, s51, s50
	s_mov_b32 exec_lo, s51
	s_cbranch_execz .LBB35_1089
; %bb.1086:                             ;   in Loop: Header=BB35_3 Depth=1
	s_mov_b32 s51, exec_lo
	v_readlane_b32 s52, v96, 2
	s_and_b32 s52, s51, s52
	s_delay_alu instid0(SALU_CYCLE_1)
	s_mov_b32 exec_lo, s52
; %bb.1087:                             ;   in Loop: Header=BB35_3 Depth=1
	ds_store_b64 v76, v[20:21]
; %bb.1088:                             ;   in Loop: Header=BB35_3 Depth=1
	s_or_b32 exec_lo, exec_lo, s51
.LBB35_1089:                            ;   in Loop: Header=BB35_3 Depth=1
	s_and_not1_saveexec_b32 s50, s50
	s_cbranch_execz .LBB35_1091
; %bb.1090:                             ;   in Loop: Header=BB35_3 Depth=1
	v_lshl_add_u64 v[34:35], v[18:19], 3, s[84:85]
	global_load_b64 v[34:35], v[34:35], off
	s_wait_loadcnt 0x0
	v_div_scale_f64 v[36:37], null, v[34:35], v[34:35], 1.0
	s_delay_alu instid0(VALU_DEP_1) | instskip(SKIP_1) | instid1(TRANS32_DEP_1)
	v_rcp_f64_e32 v[38:39], v[36:37]
	v_nop
	v_fma_f64 v[92:93], -v[36:37], v[38:39], 1.0
	s_delay_alu instid0(VALU_DEP_1) | instskip(NEXT) | instid1(VALU_DEP_1)
	v_fmac_f64_e32 v[38:39], v[38:39], v[92:93]
	v_fma_f64 v[92:93], -v[36:37], v[38:39], 1.0
	s_delay_alu instid0(VALU_DEP_1) | instskip(SKIP_1) | instid1(VALU_DEP_1)
	v_fmac_f64_e32 v[38:39], v[38:39], v[92:93]
	v_div_scale_f64 v[92:93], vcc_lo, 1.0, v[34:35], 1.0
	v_mul_f64_e32 v[94:95], v[92:93], v[38:39]
	s_delay_alu instid0(VALU_DEP_1) | instskip(NEXT) | instid1(VALU_DEP_1)
	v_fma_f64 v[36:37], -v[36:37], v[94:95], v[92:93]
	v_div_fmas_f64 v[36:37], v[36:37], v[38:39], v[94:95]
	s_delay_alu instid0(VALU_DEP_1)
	v_div_fixup_f64 v[34:35], v[36:37], v[34:35], 1.0
	ds_store_b64 v76, v[34:35]
.LBB35_1091:                            ;   in Loop: Header=BB35_3 Depth=1
	s_or_b32 exec_lo, exec_lo, s50
	s_and_not1_saveexec_b32 s50, s65
	s_cbranch_execnz .LBB35_22
	s_branch .LBB35_23
.LBB35_1092:                            ;   in Loop: Header=BB35_3 Depth=1
	ds_load_b64 v[30:31], v89
	ds_load_b64 v[32:33], v79
	s_wait_dscnt 0x0
	v_fma_f64 v[30:31], v[30:31], v[32:33], 0
	s_or_b32 exec_lo, exec_lo, s50
	s_and_saveexec_b32 s50, s7
	s_cbranch_execz .LBB35_1031
.LBB35_1093:                            ;   in Loop: Header=BB35_3 Depth=1
	ds_load_b64 v[32:33], v89 offset:8192
	ds_load_b64 v[36:37], v79 offset:128
	s_wait_dscnt 0x0
	v_fmac_f64_e32 v[30:31], v[32:33], v[36:37]
	s_or_b32 exec_lo, exec_lo, s50
	s_and_saveexec_b32 s50, s8
	s_cbranch_execz .LBB35_1032
.LBB35_1094:                            ;   in Loop: Header=BB35_3 Depth=1
	ds_load_b64 v[32:33], v89 offset:16384
	ds_load_b64 v[36:37], v79 offset:256
	s_wait_dscnt 0x0
	v_fmac_f64_e32 v[30:31], v[32:33], v[36:37]
	s_or_b32 exec_lo, exec_lo, s50
	s_and_saveexec_b32 s50, s9
	s_cbranch_execnz .LBB35_1033
	s_branch .LBB35_1034
.LBB35_1095:                            ;   in Loop: Header=BB35_3 Depth=1
	s_or_b32 exec_lo, exec_lo, s87
	s_delay_alu instid0(SALU_CYCLE_1)
	s_and_b32 vcc_lo, exec_lo, s65
	s_cbranch_vccnz .LBB35_1037
.LBB35_1096:                            ;   in Loop: Header=BB35_3 Depth=1
	s_delay_alu instid0(VALU_DEP_1)
	v_mov_b64_e32 v[34:35], v[32:33]
	s_and_saveexec_b32 s50, s86
	s_cbranch_execnz .LBB35_1058
	s_branch .LBB35_1059
.LBB35_1097:                            ;   in Loop: Header=BB35_3 Depth=1
	s_and_not1_b32 s51, s86, exec_lo
	s_and_b32 s52, s1, exec_lo
	s_delay_alu instid0(SALU_CYCLE_1)
	s_or_b32 s86, s51, s52
	s_cbranch_execnz .LBB35_1057
.LBB35_1098:                            ;   in Loop: Header=BB35_3 Depth=1
	v_readlane_b32 s51, v98, 12
	s_and_not1_b32 s50, s86, exec_lo
	s_and_b32 s51, s51, exec_lo
	s_delay_alu instid0(SALU_CYCLE_1) | instskip(NEXT) | instid1(SALU_CYCLE_1)
	s_or_b32 s86, s50, s51
	s_and_saveexec_b32 s50, s86
	s_cbranch_execnz .LBB35_1058
	s_branch .LBB35_1059
.LBB35_1099:                            ;   in Loop: Header=BB35_3 Depth=1
	ds_load_b64 v[36:37], v49 offset:544
	ds_load_b64 v[38:39], v44 offset:8
	s_wait_dscnt 0x0
	v_fmac_f64_e32 v[34:35], v[36:37], v[38:39]
	s_or_b32 exec_lo, exec_lo, s50
	s_and_saveexec_b32 s50, s17
	s_cbranch_execz .LBB35_88
.LBB35_1100:                            ;   in Loop: Header=BB35_3 Depth=1
	ds_load_b64 v[36:37], v48 offset:1056
	ds_load_b64 v[38:39], v44 offset:16
	s_wait_dscnt 0x0
	v_fmac_f64_e32 v[34:35], v[36:37], v[38:39]
	s_or_b32 exec_lo, exec_lo, s50
	s_and_saveexec_b32 s50, s0
	s_cbranch_execnz .LBB35_89
	s_branch .LBB35_90
.LBB35_1101:                            ;   in Loop: Header=BB35_3 Depth=1
	ds_load_b64 v[36:37], v58 offset:576
	ds_load_b64 v[38:39], v53 offset:8
	s_wait_dscnt 0x0
	v_fmac_f64_e32 v[34:35], v[36:37], v[38:39]
	s_or_b32 exec_lo, exec_lo, s50
	s_and_saveexec_b32 s50, s19
	s_cbranch_execz .LBB35_130
.LBB35_1102:                            ;   in Loop: Header=BB35_3 Depth=1
	ds_load_b64 v[36:37], v58 offset:1088
	ds_load_b64 v[38:39], v53 offset:16
	s_wait_dscnt 0x0
	v_fmac_f64_e32 v[34:35], v[36:37], v[38:39]
	s_or_b32 exec_lo, exec_lo, s50
	s_and_saveexec_b32 s50, s20
	s_cbranch_execz .LBB35_131
.LBB35_1103:                            ;   in Loop: Header=BB35_3 Depth=1
	ds_load_b64 v[36:37], v58 offset:1600
	ds_load_b64 v[38:39], v53 offset:24
	s_wait_dscnt 0x0
	v_fmac_f64_e32 v[34:35], v[36:37], v[38:39]
	s_or_b32 exec_lo, exec_lo, s50
	s_and_saveexec_b32 s50, s21
	s_cbranch_execz .LBB35_132
.LBB35_1104:                            ;   in Loop: Header=BB35_3 Depth=1
	ds_load_b64 v[36:37], v57 offset:2112
	ds_load_b64 v[38:39], v53 offset:32
	s_wait_dscnt 0x0
	v_fmac_f64_e32 v[34:35], v[36:37], v[38:39]
	s_or_b32 exec_lo, exec_lo, s50
	s_and_saveexec_b32 s50, s22
	s_cbranch_execz .LBB35_133
.LBB35_1105:                            ;   in Loop: Header=BB35_3 Depth=1
	ds_load_b64 v[36:37], v58 offset:2624
	ds_load_b64 v[38:39], v53 offset:40
	s_wait_dscnt 0x0
	v_fmac_f64_e32 v[34:35], v[36:37], v[38:39]
	s_or_b32 exec_lo, exec_lo, s50
	s_and_saveexec_b32 s50, s2
	s_cbranch_execz .LBB35_134
.LBB35_1106:                            ;   in Loop: Header=BB35_3 Depth=1
	ds_load_b64 v[36:37], v57 offset:3136
	ds_load_b64 v[38:39], v53 offset:48
	s_wait_dscnt 0x0
	v_fmac_f64_e32 v[34:35], v[36:37], v[38:39]
	s_or_b32 exec_lo, exec_lo, s50
	s_and_saveexec_b32 s50, s17
	s_cbranch_execnz .LBB35_135
	s_branch .LBB35_136
.LBB35_1107:                            ;   in Loop: Header=BB35_3 Depth=1
	ds_load_b64 v[36:37], v49 offset:4704
	ds_load_b64 v[38:39], v44 offset:4168
	s_wait_dscnt 0x0
	v_fmac_f64_e32 v[34:35], v[36:37], v[38:39]
	s_or_b32 exec_lo, exec_lo, s50
	s_and_saveexec_b32 s50, s17
	s_cbranch_execz .LBB35_192
.LBB35_1108:                            ;   in Loop: Header=BB35_3 Depth=1
	ds_load_b64 v[36:37], v48 offset:5216
	ds_load_b64 v[38:39], v44 offset:4176
	s_wait_dscnt 0x0
	v_fmac_f64_e32 v[34:35], v[36:37], v[38:39]
	s_or_b32 exec_lo, exec_lo, s50
	s_and_saveexec_b32 s50, s0
	s_cbranch_execnz .LBB35_193
	s_branch .LBB35_194
.LBB35_1109:                            ;   in Loop: Header=BB35_3 Depth=1
	ds_load_b64 v[36:37], v64 offset:5760
	ds_load_b64 v[38:39], v60 offset:88
	s_wait_dscnt 0x0
	v_fmac_f64_e32 v[34:35], v[36:37], v[38:39]
	s_or_b32 exec_lo, exec_lo, s50
	s_and_saveexec_b32 s50, s3
	s_cbranch_execz .LBB35_254
.LBB35_1110:                            ;   in Loop: Header=BB35_3 Depth=1
	ds_load_b64 v[36:37], v63 offset:6272
	ds_load_b64 v[38:39], v60 offset:96
	s_wait_dscnt 0x0
	v_fmac_f64_e32 v[34:35], v[36:37], v[38:39]
	s_or_b32 exec_lo, exec_lo, s50
	s_and_saveexec_b32 s50, s19
	s_cbranch_execz .LBB35_255
.LBB35_1111:                            ;   in Loop: Header=BB35_3 Depth=1
	ds_load_b64 v[36:37], v64 offset:6784
	ds_load_b64 v[38:39], v60 offset:104
	s_wait_dscnt 0x0
	v_fmac_f64_e32 v[34:35], v[36:37], v[38:39]
	s_or_b32 exec_lo, exec_lo, s50
	s_and_saveexec_b32 s50, s21
	s_cbranch_execz .LBB35_256
.LBB35_1112:                            ;   in Loop: Header=BB35_3 Depth=1
	ds_load_b64 v[36:37], v63 offset:7296
	ds_load_b64 v[38:39], v60 offset:112
	s_wait_dscnt 0x0
	v_fmac_f64_e32 v[34:35], v[36:37], v[38:39]
	s_or_b32 exec_lo, exec_lo, s50
	s_and_saveexec_b32 s50, s2
	s_cbranch_execnz .LBB35_257
	s_branch .LBB35_258
.LBB35_1113:                            ;   in Loop: Header=BB35_3 Depth=1
	ds_load_b64 v[36:37], v49 offset:8864
	ds_load_b64 v[38:39], v44 offset:8328
	s_wait_dscnt 0x0
	v_fmac_f64_e32 v[34:35], v[36:37], v[38:39]
	s_or_b32 exec_lo, exec_lo, s50
	s_and_saveexec_b32 s50, s17
	s_cbranch_execz .LBB35_346
.LBB35_1114:                            ;   in Loop: Header=BB35_3 Depth=1
	ds_load_b64 v[36:37], v48 offset:9376
	ds_load_b64 v[38:39], v44 offset:8336
	s_wait_dscnt 0x0
	v_fmac_f64_e32 v[34:35], v[36:37], v[38:39]
	s_or_b32 exec_lo, exec_lo, s50
	s_and_saveexec_b32 s50, s0
	s_cbranch_execnz .LBB35_347
	s_branch .LBB35_348
.LBB35_1115:                            ;   in Loop: Header=BB35_3 Depth=1
	ds_load_b64 v[36:37], v58 offset:8896
	ds_load_b64 v[38:39], v53 offset:8328
	s_wait_dscnt 0x0
	v_fmac_f64_e32 v[34:35], v[36:37], v[38:39]
	s_or_b32 exec_lo, exec_lo, s50
	s_and_saveexec_b32 s50, s19
	s_cbranch_execz .LBB35_388
.LBB35_1116:                            ;   in Loop: Header=BB35_3 Depth=1
	ds_load_b64 v[36:37], v58 offset:9408
	ds_load_b64 v[38:39], v53 offset:8336
	s_wait_dscnt 0x0
	v_fmac_f64_e32 v[34:35], v[36:37], v[38:39]
	s_or_b32 exec_lo, exec_lo, s50
	s_and_saveexec_b32 s50, s20
	s_cbranch_execz .LBB35_389
.LBB35_1117:                            ;   in Loop: Header=BB35_3 Depth=1
	ds_load_b64 v[36:37], v58 offset:9920
	ds_load_b64 v[38:39], v53 offset:8344
	s_wait_dscnt 0x0
	v_fmac_f64_e32 v[34:35], v[36:37], v[38:39]
	s_or_b32 exec_lo, exec_lo, s50
	s_and_saveexec_b32 s50, s21
	s_cbranch_execz .LBB35_390
.LBB35_1118:                            ;   in Loop: Header=BB35_3 Depth=1
	ds_load_b64 v[36:37], v57 offset:10432
	ds_load_b64 v[38:39], v53 offset:8352
	s_wait_dscnt 0x0
	v_fmac_f64_e32 v[34:35], v[36:37], v[38:39]
	s_or_b32 exec_lo, exec_lo, s50
	s_and_saveexec_b32 s50, s22
	s_cbranch_execz .LBB35_391
.LBB35_1119:                            ;   in Loop: Header=BB35_3 Depth=1
	ds_load_b64 v[36:37], v58 offset:10944
	ds_load_b64 v[38:39], v53 offset:8360
	s_wait_dscnt 0x0
	v_fmac_f64_e32 v[34:35], v[36:37], v[38:39]
	s_or_b32 exec_lo, exec_lo, s50
	s_and_saveexec_b32 s50, s2
	s_cbranch_execz .LBB35_392
.LBB35_1120:                            ;   in Loop: Header=BB35_3 Depth=1
	ds_load_b64 v[36:37], v57 offset:11456
	ds_load_b64 v[38:39], v53 offset:8368
	s_wait_dscnt 0x0
	v_fmac_f64_e32 v[34:35], v[36:37], v[38:39]
	s_or_b32 exec_lo, exec_lo, s50
	s_and_saveexec_b32 s50, s17
	s_cbranch_execnz .LBB35_393
	s_branch .LBB35_394
.LBB35_1121:                            ;   in Loop: Header=BB35_3 Depth=1
	ds_load_b64 v[36:37], v49 offset:13024
	ds_load_b64 v[38:39], v44 offset:12488
	s_wait_dscnt 0x0
	v_fmac_f64_e32 v[34:35], v[36:37], v[38:39]
	s_or_b32 exec_lo, exec_lo, s50
	s_and_saveexec_b32 s50, s17
	s_cbranch_execz .LBB35_450
.LBB35_1122:                            ;   in Loop: Header=BB35_3 Depth=1
	ds_load_b64 v[36:37], v48 offset:13536
	ds_load_b64 v[38:39], v44 offset:12496
	s_wait_dscnt 0x0
	v_fmac_f64_e32 v[34:35], v[36:37], v[38:39]
	s_or_b32 exec_lo, exec_lo, s50
	s_and_saveexec_b32 s50, s0
	s_cbranch_execnz .LBB35_451
	s_branch .LBB35_452
.LBB35_1123:                            ;   in Loop: Header=BB35_3 Depth=1
	ds_load_b64 v[38:39], v83 offset:15104
	ds_load_b64 v[92:93], v36 offset:232
	s_wait_dscnt 0x0
	v_fmac_f64_e32 v[34:35], v[38:39], v[92:93]
	s_or_b32 exec_lo, exec_lo, s50
	s_and_saveexec_b32 s50, s3
	s_cbranch_execz .LBB35_548
.LBB35_1124:                            ;   in Loop: Header=BB35_3 Depth=1
	ds_load_b64 v[38:39], v83 offset:15616
	ds_load_b64 v[36:37], v36 offset:240
	s_wait_dscnt 0x0
	v_fmac_f64_e32 v[34:35], v[38:39], v[36:37]
	s_or_b32 exec_lo, exec_lo, s50
	s_and_saveexec_b32 s50, s21
	s_cbranch_execnz .LBB35_549
	s_branch .LBB35_550
.LBB35_1125:                            ;   in Loop: Header=BB35_3 Depth=1
	ds_load_b64 v[36:37], v49 offset:17184
	ds_load_b64 v[38:39], v44 offset:16648
	s_wait_dscnt 0x0
	v_fmac_f64_e32 v[34:35], v[36:37], v[38:39]
	s_or_b32 exec_lo, exec_lo, s50
	s_and_saveexec_b32 s50, s17
	s_cbranch_execz .LBB35_594
.LBB35_1126:                            ;   in Loop: Header=BB35_3 Depth=1
	ds_load_b64 v[36:37], v48 offset:17696
	ds_load_b64 v[38:39], v44 offset:16656
	s_wait_dscnt 0x0
	v_fmac_f64_e32 v[34:35], v[36:37], v[38:39]
	s_or_b32 exec_lo, exec_lo, s50
	s_and_saveexec_b32 s50, s0
	s_cbranch_execnz .LBB35_595
	s_branch .LBB35_596
.LBB35_1127:                            ;   in Loop: Header=BB35_3 Depth=1
	ds_load_b64 v[36:37], v58 offset:17216
	ds_load_b64 v[38:39], v53 offset:16648
	s_wait_dscnt 0x0
	v_fmac_f64_e32 v[34:35], v[36:37], v[38:39]
	s_or_b32 exec_lo, exec_lo, s50
	s_and_saveexec_b32 s50, s19
	s_cbranch_execz .LBB35_636
.LBB35_1128:                            ;   in Loop: Header=BB35_3 Depth=1
	ds_load_b64 v[36:37], v58 offset:17728
	ds_load_b64 v[38:39], v53 offset:16656
	s_wait_dscnt 0x0
	v_fmac_f64_e32 v[34:35], v[36:37], v[38:39]
	s_or_b32 exec_lo, exec_lo, s50
	s_and_saveexec_b32 s50, s20
	s_cbranch_execz .LBB35_637
.LBB35_1129:                            ;   in Loop: Header=BB35_3 Depth=1
	ds_load_b64 v[36:37], v58 offset:18240
	ds_load_b64 v[38:39], v53 offset:16664
	s_wait_dscnt 0x0
	v_fmac_f64_e32 v[34:35], v[36:37], v[38:39]
	s_or_b32 exec_lo, exec_lo, s50
	s_and_saveexec_b32 s50, s21
	s_cbranch_execz .LBB35_638
.LBB35_1130:                            ;   in Loop: Header=BB35_3 Depth=1
	ds_load_b64 v[36:37], v57 offset:18752
	ds_load_b64 v[38:39], v53 offset:16672
	s_wait_dscnt 0x0
	v_fmac_f64_e32 v[34:35], v[36:37], v[38:39]
	s_or_b32 exec_lo, exec_lo, s50
	s_and_saveexec_b32 s50, s22
	s_cbranch_execz .LBB35_639
.LBB35_1131:                            ;   in Loop: Header=BB35_3 Depth=1
	ds_load_b64 v[36:37], v58 offset:19264
	ds_load_b64 v[38:39], v53 offset:16680
	s_wait_dscnt 0x0
	v_fmac_f64_e32 v[34:35], v[36:37], v[38:39]
	s_or_b32 exec_lo, exec_lo, s50
	s_and_saveexec_b32 s50, s2
	s_cbranch_execz .LBB35_640
.LBB35_1132:                            ;   in Loop: Header=BB35_3 Depth=1
	ds_load_b64 v[36:37], v57 offset:19776
	ds_load_b64 v[38:39], v53 offset:16688
	s_wait_dscnt 0x0
	v_fmac_f64_e32 v[34:35], v[36:37], v[38:39]
	s_or_b32 exec_lo, exec_lo, s50
	s_and_saveexec_b32 s50, s17
	s_cbranch_execnz .LBB35_641
	s_branch .LBB35_642
.LBB35_1133:                            ;   in Loop: Header=BB35_3 Depth=1
	ds_load_b64 v[36:37], v49 offset:21344
	ds_load_b64 v[38:39], v44 offset:20808
	s_wait_dscnt 0x0
	v_fmac_f64_e32 v[34:35], v[36:37], v[38:39]
	s_or_b32 exec_lo, exec_lo, s50
	s_and_saveexec_b32 s50, s17
	s_cbranch_execz .LBB35_698
.LBB35_1134:                            ;   in Loop: Header=BB35_3 Depth=1
	ds_load_b64 v[36:37], v48 offset:21856
	ds_load_b64 v[38:39], v44 offset:20816
	s_wait_dscnt 0x0
	v_fmac_f64_e32 v[34:35], v[36:37], v[38:39]
	s_or_b32 exec_lo, exec_lo, s50
	s_and_saveexec_b32 s50, s0
	s_cbranch_execnz .LBB35_699
	s_branch .LBB35_700
.LBB35_1135:                            ;   in Loop: Header=BB35_3 Depth=1
	ds_load_b64 v[36:37], v64 offset:22400
	ds_load_b64 v[38:39], v60 offset:16728
	s_wait_dscnt 0x0
	v_fmac_f64_e32 v[34:35], v[36:37], v[38:39]
	s_or_b32 exec_lo, exec_lo, s50
	s_and_saveexec_b32 s50, s3
	s_cbranch_execz .LBB35_760
.LBB35_1136:                            ;   in Loop: Header=BB35_3 Depth=1
	ds_load_b64 v[36:37], v63 offset:22912
	ds_load_b64 v[38:39], v60 offset:16736
	s_wait_dscnt 0x0
	v_fmac_f64_e32 v[34:35], v[36:37], v[38:39]
	s_or_b32 exec_lo, exec_lo, s50
	s_and_saveexec_b32 s50, s19
	s_cbranch_execz .LBB35_761
.LBB35_1137:                            ;   in Loop: Header=BB35_3 Depth=1
	ds_load_b64 v[36:37], v64 offset:23424
	ds_load_b64 v[38:39], v60 offset:16744
	s_wait_dscnt 0x0
	v_fmac_f64_e32 v[34:35], v[36:37], v[38:39]
	s_or_b32 exec_lo, exec_lo, s50
	s_and_saveexec_b32 s50, s21
	s_cbranch_execz .LBB35_762
.LBB35_1138:                            ;   in Loop: Header=BB35_3 Depth=1
	ds_load_b64 v[36:37], v63 offset:23936
	ds_load_b64 v[38:39], v60 offset:16752
	s_wait_dscnt 0x0
	v_fmac_f64_e32 v[34:35], v[36:37], v[38:39]
	s_or_b32 exec_lo, exec_lo, s50
	s_and_saveexec_b32 s50, s2
	s_cbranch_execnz .LBB35_763
	s_branch .LBB35_764
.LBB35_1139:                            ;   in Loop: Header=BB35_3 Depth=1
	ds_load_b64 v[36:37], v49 offset:25504
	ds_load_b64 v[38:39], v44 offset:24968
	s_wait_dscnt 0x0
	v_fmac_f64_e32 v[34:35], v[36:37], v[38:39]
	s_or_b32 exec_lo, exec_lo, s50
	s_and_saveexec_b32 s50, s17
	s_cbranch_execz .LBB35_852
.LBB35_1140:                            ;   in Loop: Header=BB35_3 Depth=1
	ds_load_b64 v[36:37], v48 offset:26016
	ds_load_b64 v[38:39], v44 offset:24976
	s_wait_dscnt 0x0
	v_fmac_f64_e32 v[34:35], v[36:37], v[38:39]
	s_or_b32 exec_lo, exec_lo, s50
	s_and_saveexec_b32 s50, s0
	s_cbranch_execnz .LBB35_853
	s_branch .LBB35_854
.LBB35_1141:                            ;   in Loop: Header=BB35_3 Depth=1
	ds_load_b64 v[36:37], v58 offset:25536
	ds_load_b64 v[38:39], v53 offset:24968
	s_wait_dscnt 0x0
	v_fmac_f64_e32 v[34:35], v[36:37], v[38:39]
	s_or_b32 exec_lo, exec_lo, s50
	s_and_saveexec_b32 s50, s19
	s_cbranch_execz .LBB35_894
.LBB35_1142:                            ;   in Loop: Header=BB35_3 Depth=1
	ds_load_b64 v[36:37], v58 offset:26048
	ds_load_b64 v[38:39], v53 offset:24976
	s_wait_dscnt 0x0
	v_fmac_f64_e32 v[34:35], v[36:37], v[38:39]
	s_or_b32 exec_lo, exec_lo, s50
	s_and_saveexec_b32 s50, s20
	s_cbranch_execz .LBB35_895
.LBB35_1143:                            ;   in Loop: Header=BB35_3 Depth=1
	ds_load_b64 v[36:37], v58 offset:26560
	ds_load_b64 v[38:39], v53 offset:24984
	s_wait_dscnt 0x0
	v_fmac_f64_e32 v[34:35], v[36:37], v[38:39]
	s_or_b32 exec_lo, exec_lo, s50
	s_and_saveexec_b32 s50, s21
	s_cbranch_execz .LBB35_896
.LBB35_1144:                            ;   in Loop: Header=BB35_3 Depth=1
	ds_load_b64 v[36:37], v57 offset:27072
	ds_load_b64 v[38:39], v53 offset:24992
	s_wait_dscnt 0x0
	v_fmac_f64_e32 v[34:35], v[36:37], v[38:39]
	s_or_b32 exec_lo, exec_lo, s50
	s_and_saveexec_b32 s50, s22
	s_cbranch_execz .LBB35_897
.LBB35_1145:                            ;   in Loop: Header=BB35_3 Depth=1
	ds_load_b64 v[36:37], v58 offset:27584
	ds_load_b64 v[38:39], v53 offset:25000
	s_wait_dscnt 0x0
	v_fmac_f64_e32 v[34:35], v[36:37], v[38:39]
	s_or_b32 exec_lo, exec_lo, s50
	s_and_saveexec_b32 s50, s2
	s_cbranch_execz .LBB35_898
.LBB35_1146:                            ;   in Loop: Header=BB35_3 Depth=1
	ds_load_b64 v[36:37], v57 offset:28096
	ds_load_b64 v[38:39], v53 offset:25008
	s_wait_dscnt 0x0
	v_fmac_f64_e32 v[34:35], v[36:37], v[38:39]
	s_or_b32 exec_lo, exec_lo, s50
	s_and_saveexec_b32 s50, s17
	s_cbranch_execnz .LBB35_899
	s_branch .LBB35_900
.LBB35_1147:                            ;   in Loop: Header=BB35_3 Depth=1
	ds_load_b64 v[36:37], v49 offset:29664
	ds_load_b64 v[38:39], v44 offset:29128
	s_wait_dscnt 0x0
	v_fmac_f64_e32 v[34:35], v[36:37], v[38:39]
	s_or_b32 exec_lo, exec_lo, s50
	s_and_saveexec_b32 s50, s17
	s_cbranch_execz .LBB35_956
.LBB35_1148:                            ;   in Loop: Header=BB35_3 Depth=1
	ds_load_b64 v[36:37], v48 offset:30176
	ds_load_b64 v[38:39], v44 offset:29136
	s_wait_dscnt 0x0
	v_fmac_f64_e32 v[34:35], v[36:37], v[38:39]
	s_or_b32 exec_lo, exec_lo, s50
	s_and_saveexec_b32 s50, s0
	s_cbranch_execnz .LBB35_957
	s_branch .LBB35_958
.LBB35_1149:
	s_endpgm
	.section	.rodata,"a",@progbits
	.p2align	6, 0x0
	.amdhsa_kernel _ZL19rocblas_trsv_deviceILi64ELi16ELb1ELb1ELb0ELb0EdPKdS1_PdEviT7_lllT6_T8_lllPii
		.amdhsa_group_segment_fixed_size 41480
		.amdhsa_private_segment_fixed_size 0
		.amdhsa_kernarg_size 352
		.amdhsa_user_sgpr_count 2
		.amdhsa_user_sgpr_dispatch_ptr 0
		.amdhsa_user_sgpr_queue_ptr 0
		.amdhsa_user_sgpr_kernarg_segment_ptr 1
		.amdhsa_user_sgpr_dispatch_id 0
		.amdhsa_user_sgpr_kernarg_preload_length 0
		.amdhsa_user_sgpr_kernarg_preload_offset 0
		.amdhsa_user_sgpr_private_segment_size 0
		.amdhsa_wavefront_size32 1
		.amdhsa_uses_dynamic_stack 0
		.amdhsa_enable_private_segment 0
		.amdhsa_system_sgpr_workgroup_id_x 1
		.amdhsa_system_sgpr_workgroup_id_y 0
		.amdhsa_system_sgpr_workgroup_id_z 1
		.amdhsa_system_sgpr_workgroup_info 0
		.amdhsa_system_vgpr_workitem_id 1
		.amdhsa_next_free_vgpr 99
		.amdhsa_next_free_sgpr 105
		.amdhsa_named_barrier_count 0
		.amdhsa_reserve_vcc 1
		.amdhsa_float_round_mode_32 0
		.amdhsa_float_round_mode_16_64 0
		.amdhsa_float_denorm_mode_32 3
		.amdhsa_float_denorm_mode_16_64 3
		.amdhsa_fp16_overflow 0
		.amdhsa_memory_ordered 1
		.amdhsa_forward_progress 1
		.amdhsa_inst_pref_size 255
		.amdhsa_round_robin_scheduling 0
		.amdhsa_exception_fp_ieee_invalid_op 0
		.amdhsa_exception_fp_denorm_src 0
		.amdhsa_exception_fp_ieee_div_zero 0
		.amdhsa_exception_fp_ieee_overflow 0
		.amdhsa_exception_fp_ieee_underflow 0
		.amdhsa_exception_fp_ieee_inexact 0
		.amdhsa_exception_int_div_zero 0
	.end_amdhsa_kernel
	.section	.text._ZL19rocblas_trsv_deviceILi64ELi16ELb1ELb1ELb0ELb0EdPKdS1_PdEviT7_lllT6_T8_lllPii,"axG",@progbits,_ZL19rocblas_trsv_deviceILi64ELi16ELb1ELb1ELb0ELb0EdPKdS1_PdEviT7_lllT6_T8_lllPii,comdat
.Lfunc_end35:
	.size	_ZL19rocblas_trsv_deviceILi64ELi16ELb1ELb1ELb0ELb0EdPKdS1_PdEviT7_lllT6_T8_lllPii, .Lfunc_end35-_ZL19rocblas_trsv_deviceILi64ELi16ELb1ELb1ELb0ELb0EdPKdS1_PdEviT7_lllT6_T8_lllPii
                                        ; -- End function
	.set _ZL19rocblas_trsv_deviceILi64ELi16ELb1ELb1ELb0ELb0EdPKdS1_PdEviT7_lllT6_T8_lllPii.num_vgpr, 99
	.set _ZL19rocblas_trsv_deviceILi64ELi16ELb1ELb1ELb0ELb0EdPKdS1_PdEviT7_lllT6_T8_lllPii.num_agpr, 0
	.set _ZL19rocblas_trsv_deviceILi64ELi16ELb1ELb1ELb0ELb0EdPKdS1_PdEviT7_lllT6_T8_lllPii.numbered_sgpr, 105
	.set _ZL19rocblas_trsv_deviceILi64ELi16ELb1ELb1ELb0ELb0EdPKdS1_PdEviT7_lllT6_T8_lllPii.num_named_barrier, 0
	.set _ZL19rocblas_trsv_deviceILi64ELi16ELb1ELb1ELb0ELb0EdPKdS1_PdEviT7_lllT6_T8_lllPii.private_seg_size, 0
	.set _ZL19rocblas_trsv_deviceILi64ELi16ELb1ELb1ELb0ELb0EdPKdS1_PdEviT7_lllT6_T8_lllPii.uses_vcc, 1
	.set _ZL19rocblas_trsv_deviceILi64ELi16ELb1ELb1ELb0ELb0EdPKdS1_PdEviT7_lllT6_T8_lllPii.uses_flat_scratch, 0
	.set _ZL19rocblas_trsv_deviceILi64ELi16ELb1ELb1ELb0ELb0EdPKdS1_PdEviT7_lllT6_T8_lllPii.has_dyn_sized_stack, 0
	.set _ZL19rocblas_trsv_deviceILi64ELi16ELb1ELb1ELb0ELb0EdPKdS1_PdEviT7_lllT6_T8_lllPii.has_recursion, 0
	.set _ZL19rocblas_trsv_deviceILi64ELi16ELb1ELb1ELb0ELb0EdPKdS1_PdEviT7_lllT6_T8_lllPii.has_indirect_call, 0
	.section	.AMDGPU.csdata,"",@progbits
; Kernel info:
; codeLenInByte = 35608
; TotalNumSgprs: 107
; NumVgprs: 99
; ScratchSize: 0
; MemoryBound: 0
; FloatMode: 240
; IeeeMode: 1
; LDSByteSize: 41480 bytes/workgroup (compile time only)
; SGPRBlocks: 0
; VGPRBlocks: 6
; NumSGPRsForWavesPerEU: 107
; NumVGPRsForWavesPerEU: 99
; NamedBarCnt: 0
; Occupancy: 9
; WaveLimiterHint : 0
; COMPUTE_PGM_RSRC2:SCRATCH_EN: 0
; COMPUTE_PGM_RSRC2:USER_SGPR: 2
; COMPUTE_PGM_RSRC2:TRAP_HANDLER: 0
; COMPUTE_PGM_RSRC2:TGID_X_EN: 1
; COMPUTE_PGM_RSRC2:TGID_Y_EN: 0
; COMPUTE_PGM_RSRC2:TGID_Z_EN: 1
; COMPUTE_PGM_RSRC2:TIDIG_COMP_CNT: 1
	.section	.text._ZL19rocblas_trsv_deviceILi64ELi16ELb1ELb1ELb1ELb0EdPKdS1_PdEviT7_lllT6_T8_lllPii,"axG",@progbits,_ZL19rocblas_trsv_deviceILi64ELi16ELb1ELb1ELb1ELb0EdPKdS1_PdEviT7_lllT6_T8_lllPii,comdat
	.globl	_ZL19rocblas_trsv_deviceILi64ELi16ELb1ELb1ELb1ELb0EdPKdS1_PdEviT7_lllT6_T8_lllPii ; -- Begin function _ZL19rocblas_trsv_deviceILi64ELi16ELb1ELb1ELb1ELb0EdPKdS1_PdEviT7_lllT6_T8_lllPii
	.p2align	8
	.type	_ZL19rocblas_trsv_deviceILi64ELi16ELb1ELb1ELb1ELb0EdPKdS1_PdEviT7_lllT6_T8_lllPii,@function
_ZL19rocblas_trsv_deviceILi64ELi16ELb1ELb1ELb1ELb0EdPKdS1_PdEviT7_lllT6_T8_lllPii: ; @_ZL19rocblas_trsv_deviceILi64ELi16ELb1ELb1ELb1ELb0EdPKdS1_PdEviT7_lllT6_T8_lllPii
; %bb.0:
	s_load_b32 s6, s[0:1], 0x58
	s_bfe_u32 s2, ttmp6, 0x40014
	s_lshr_b32 s3, ttmp7, 16
	s_add_co_i32 s2, s2, 1
	s_bfe_u32 s5, ttmp6, 0x40008
	s_mul_i32 s4, s3, s2
	s_getreg_b32 s2, hwreg(HW_REG_IB_STS2, 6, 4)
	s_add_co_i32 s5, s5, s4
	s_cmp_eq_u32 s2, 0
	s_mov_b32 s81, 0
	s_cselect_b32 s80, s3, s5
                                        ; implicit-def: $vgpr98 : SGPR spill to VGPR lane
	s_wait_kmcnt 0x0
	s_cmp_ge_u32 s80, s6
	v_writelane_b32 v98, s6, 0
	s_cbranch_scc1 .LBB36_1149
; %bb.1:
	s_clause 0x3
	s_load_b512 s[60:75], s[0:1], 0x8
	s_load_b32 s3, s[0:1], 0x6c
	s_load_b32 s90, s[0:1], 0x60
	;; [unrolled: 1-line block ×3, first 2 shown]
	s_bfe_u32 s5, ttmp6, 0x4000c
	s_and_b32 s4, ttmp6, 15
	s_add_co_i32 s5, s5, 1
	s_load_b128 s[76:79], s[0:1], 0x48
	s_mul_i32 s5, ttmp9, s5
	v_and_b32_e32 v2, 0x3ff, v0
	s_add_co_i32 s6, s4, s5
	v_mov_b32_e32 v5, 0
	v_bfe_u32 v40, v0, 10, 10
                                        ; implicit-def: $vgpr97 : SGPR spill to VGPR lane
                                        ; implicit-def: $vgpr96 : SGPR spill to VGPR lane
	s_delay_alu instid0(VALU_DEP_3) | instskip(NEXT) | instid1(VALU_DEP_3)
	v_dual_lshlrev_b32 v1, 6, v2 :: v_dual_bitop2_b32 v65, 31, v0 bitop3:0x40
	v_dual_lshlrev_b32 v43, 3, v2 :: v_dual_mov_b32 v3, v5
	s_delay_alu instid0(VALU_DEP_3)
	v_add_nc_u32_e32 v20, 16, v40
	v_lshl_add_u32 v30, v40, 6, v2
	v_add_nc_u32_e32 v25, 48, v40
	s_wait_kmcnt 0x0
	s_lshl_b64 s[0:1], s[62:63], 3
	s_lshl_b64 s[4:5], s[72:73], 3
	s_cmp_eq_u32 s2, 0
	s_add_nc_u64 s[0:1], s[60:61], s[0:1]
	s_cselect_b32 s89, ttmp9, s6
	s_add_co_i32 s2, s82, -1
	s_ashr_i32 s83, s82, 31
	s_and_b32 s6, s3, 0xffff
	s_ashr_i32 s3, s2, 31
	s_lshr_b32 s7, s83, 26
	s_lshr_b32 s3, s3, 26
	s_add_co_i32 s7, s82, s7
	s_add_co_i32 s90, s90, -1
	s_add_co_i32 s2, s2, s3
	s_and_not1_b32 s7, s7, 63
	s_sub_co_i32 s49, s90, s89
	s_ashr_i32 s2, s2, 6
	s_sub_co_i32 s9, s82, s7
	s_cmp_eq_u32 s2, s49
	v_lshl_add_u32 v14, v20, 6, v2
	s_cselect_b32 s2, -1, 0
	s_cmp_lg_u32 s9, 0
	v_mad_u32_u24 v4, v40, s6, v2
	s_cselect_b32 s3, -1, 0
	v_lshl_add_u32 v27, v25, 6, v2
	s_and_b32 s15, s3, s2
	v_add_nc_u32_e32 v24, 32, v40
	s_xor_b32 s91, s15, -1
	s_cmp_lg_u32 s89, 0
	v_cmp_le_i32_e64 s14, s9, v2
	s_cselect_b32 s2, -1, 0
	s_lshl_b32 s10, s49, 6
	v_writelane_b32 v98, s2, 1
	s_add_nc_u64 s[2:3], s[64:65], 1
	v_dual_add_nc_u32 v10, v40, v1 :: v_dual_add_nc_u32 v21, s10, v40
	s_cmp_lt_i32 s89, 5
	v_writelane_b32 v98, s0, 2
	v_mad_nc_u64_u32 v[18:19], s2, s10, v[2:3]
	s_cselect_b32 vcc_lo, -1, 0
	s_delay_alu instid0(SALU_CYCLE_1)
	v_dual_cndmask_b32 v22, v30, v10, vcc_lo :: v_dual_bitop2_b32 v3, 1, v0 bitop3:0x40
	v_writelane_b32 v98, s1, 3
	s_add_nc_u64 s[0:1], s[70:71], s[4:5]
	v_dual_add_nc_u32 v11, v20, v1 :: v_dual_add_nc_u32 v12, s10, v2
	v_add_nc_u32_e32 v6, 64, v21
	v_writelane_b32 v98, s0, 4
	s_ashr_i32 s11, s10, 31
	s_or_b32 vcc_lo, vcc_lo, s15
	s_delay_alu instid0(VALU_DEP_2)
	v_dual_ashrrev_i32 v13, 31, v12 :: v_dual_ashrrev_i32 v7, 31, v6
	v_cndmask_b32_e32 v23, v14, v11, vcc_lo
	v_writelane_b32 v98, s1, 5
	s_mul_i32 s0, s2, s11
	s_mul_i32 s1, s3, s10
	v_cmp_eq_u32_e64 s2, 1, v3
	v_dual_lshrrev_b32 v10, 10, v0 :: v_dual_lshrrev_b32 v11, 1, v30
	v_add3_u32 v19, s0, s1, v19
	v_lshlrev_b32_e32 v14, 3, v3
	v_cmp_gt_u32_e64 s0, 4, v30
	s_xor_b32 s1, s2, -1
	v_bitop3_b32 v31, v0, v10, 0x3ff bitop3:0xa8
	v_lshl_add_u32 v3, v11, 3, 0x8000
	v_lshl_or_b32 v41, v11, 9, v14
	v_mul_u32_u24_e32 v42, 0x208, v11
	s_and_b32 s94, s1, s0
	v_dual_lshrrev_b32 v10, 2, v30 :: v_dual_bitop2_b32 v11, 3, v0 bitop3:0x40
	v_cmp_eq_u32_e64 s1, 0, v40
	v_cmp_gt_u32_e64 s3, 2, v2
	s_and_b32 s95, s2, s0
	v_cmp_gt_u32_e64 s2, 16, v30
	v_dual_lshlrev_b32 v14, 3, v10 :: v_dual_lshlrev_b32 v45, 3, v11
	s_and_b32 s96, s1, s3
	v_cmp_eq_u32_e64 s3, 0, v11
	v_mul_u32_u24_e32 v44, 0x208, v10
	v_cmp_ne_u32_e64 s4, 0, v11
	v_cmp_lt_u32_e64 s5, 1, v11
	v_cmp_eq_u32_e64 s6, 2, v11
	s_and_b32 s97, s3, s2
	v_cmp_eq_u32_e64 s3, 1, v11
	v_sub_nc_u32_e32 v16, v44, v14
	s_and_b32 s98, s4, s2
	v_cmp_eq_u32_e64 s4, 3, v11
	v_and_b32_e32 v11, 7, v0
	s_and_b32 s99, s3, s2
	v_cmp_gt_u32_e64 s3, 4, v2
	s_and_b32 s100, s5, s2
	s_and_b32 s102, s4, s2
	v_cmp_eq_u32_e64 s4, 0, v11
	v_cmp_ne_u32_e64 s5, 0, v11
	s_and_b32 s103, s1, s3
	v_cmp_gt_u32_e64 s3, 64, v30
	v_lshl_or_b32 v48, v10, 9, v45
	v_dual_add_nc_u32 v49, v16, v45 :: v_dual_lshrrev_b32 v10, 3, v30
	v_dual_lshlrev_b32 v54, 3, v11 :: v_dual_bitop2_b32 v16, -8, v30 bitop3:0x40
	s_and_b32 s104, s4, s3
	s_and_b32 vcc_hi, s5, s3
	v_cmp_lt_u32_e64 s4, 1, v11
	v_cmp_eq_u32_e64 s5, 2, v11
	v_mul_u32_u24_e32 v53, 0x208, v10
	s_and_b32 s101, s6, s2
	v_cmp_eq_u32_e64 s6, 1, v11
	s_and_b32 s37, s4, s3
	v_cmp_lt_u32_e64 s4, 3, v11
	s_and_b32 s38, s5, s3
	v_cmp_eq_u32_e64 s5, 4, v11
	v_sub_nc_u32_e32 v17, v53, v16
	v_add_nc_u32_e32 v56, 0x8000, v16
	s_and_b32 s41, s4, s3
	v_cmp_lt_u32_e64 s4, 4, v11
	s_and_b32 s42, s5, s3
	v_cmp_eq_u32_e64 s5, 6, v11
	v_lshl_or_b32 v57, v10, 9, v54
	s_and_b32 s36, s6, s3
	v_cmp_lt_u32_e64 s6, 2, v11
	s_and_b32 s43, s4, s3
	v_lshrrev_b32_e32 v10, 4, v30
	v_dual_add_nc_u32 v58, v17, v54 :: v_dual_bitop2_b32 v16, 15, v0 bitop3:0x40
	s_and_b32 s46, s5, s3
	v_cmp_eq_u32_e64 s4, 7, v11
	v_cmp_gt_u32_e64 s5, 8, v2
	s_and_b32 s39, s6, s3
	v_cmp_eq_u32_e64 s6, 5, v11
	v_cmp_eq_u32_e64 s7, 3, v11
	s_and_b32 s47, s4, s3
	s_and_b32 s48, s1, s5
	v_cmp_gt_u32_e64 s4, 0x100, v30
	v_cmp_eq_u32_e64 s5, 0, v16
	s_and_b32 s44, s6, s3
	v_cmp_ne_u32_e64 s6, 0, v16
	s_and_b32 s40, s7, s3
	v_cmp_lt_u32_e64 s7, 5, v11
	s_and_b32 s5, s5, s4
	v_dual_lshlrev_b32 v11, 3, v10 :: v_dual_lshlrev_b32 v61, 3, v16
	v_writelane_b32 v98, s5, 6
	v_cmp_eq_u32_e64 s5, 1, v16
	s_and_b32 s6, s6, s4
	s_and_b32 s45, s7, s3
	v_cmp_lt_u32_e64 s7, 1, v16
	v_writelane_b32 v98, s6, 7
	s_and_b32 s5, s5, s4
	v_cmp_eq_u32_e64 s6, 2, v16
	v_mul_u32_u24_e32 v60, 0x208, v10
	v_cmp_lt_u32_e64 s8, 2, v16
	v_writelane_b32 v98, s5, 8
	s_and_b32 s5, s7, s4
	s_and_b32 s6, s6, s4
	v_cmp_eq_u32_e64 s7, 4, v16
	v_sub_nc_u32_e32 v17, v60, v11
	v_writelane_b32 v98, s5, 9
	v_cmp_eq_u32_e64 s5, 3, v16
	s_and_b32 s54, s8, s4
	v_cmp_eq_u32_e64 s8, 5, v16
	s_and_b32 s57, s7, s4
	v_writelane_b32 v98, s6, 10
	v_cmp_lt_u32_e64 s6, 3, v16
	s_and_b32 s55, s5, s4
	v_cmp_lt_u32_e64 s5, 4, v16
	v_cmp_lt_u32_e64 s7, 6, v16
	v_add_nc_u32_e32 v64, v17, v61
	s_and_b32 s56, s6, s4
	v_cmp_lt_u32_e64 s6, 5, v16
	s_and_b32 s58, s5, s4
	v_cmp_eq_u32_e64 s5, 6, v16
	v_add_nc_u32_e32 v17, v24, v1
	v_lshl_add_u32 v26, v24, 6, v2
	s_and_b32 s62, s6, s4
	v_cmp_eq_u32_e64 s6, 7, v16
	s_and_b32 s63, s5, s4
	v_cmp_eq_u32_e64 s5, 8, v16
	v_add_nc_u32_e32 v1, v25, v1
	s_and_b32 s61, s8, s4
	s_and_b32 s13, s6, s4
	v_cmp_lt_u32_e64 s6, 8, v16
	s_and_b32 s25, s5, s4
	v_cmp_lt_u32_e64 s5, 9, v16
	v_cmp_lt_u32_e64 s8, 7, v16
	s_and_b32 s12, s7, s4
	s_and_b32 s27, s6, s4
	v_cmp_lt_u32_e64 s6, 10, v16
	s_and_b32 s31, s5, s4
	v_cmp_eq_u32_e64 s5, 11, v16
	v_cmp_eq_u32_e64 s7, 9, v16
	s_xor_b32 s93, vcc_lo, -1
	v_dual_cndmask_b32 v26, v26, v17 :: v_dual_add_nc_u32 v47, 0x8000, v14
	s_and_b32 s24, s6, s4
	v_cmp_eq_u32_e64 s6, 12, v16
	s_and_b32 s26, s5, s4
	v_cmp_eq_u32_e64 s5, 13, v16
	v_cndmask_b32_e32 v27, v27, v1, vcc_lo
	v_cmp_gt_u32_e32 vcc_lo, 16, v2
	s_and_b32 s23, s8, s4
	v_cmp_eq_u32_e64 s8, 10, v16
	s_and_b32 s29, s7, s4
	v_cmp_lt_u32_e64 s7, 11, v16
	v_add_nc_u32_e32 v62, 0x8000, v11
	v_lshl_or_b32 v63, v10, 9, v61
	s_and_b32 s30, s6, s4
	v_cmp_lt_u32_e64 s6, 13, v16
	v_add_nc_u64_e32 v[10:11], s[10:11], v[4:5]
	s_and_b32 s10, s5, s4
	v_cmp_eq_u32_e64 s5, 15, v16
	s_and_b32 s73, s1, vcc_lo
	v_cmp_gt_u32_e32 vcc_lo, 32, v2
	s_and_b32 s34, s8, s4
	v_cmp_lt_u32_e64 s8, 12, v16
	s_and_b32 s28, s7, s4
	v_cmp_eq_u32_e64 s7, 14, v16
	s_and_b32 s70, s14, s15
	s_and_b32 s11, s6, s4
	;; [unrolled: 1-line block ×3, first 2 shown]
	s_xor_b32 s5, s70, -1
	s_and_b32 s6, s1, vcc_lo
	v_cmp_gt_i32_e32 vcc_lo, s9, v2
	s_and_b32 s33, s8, s4
	s_and_b32 s92, s7, s4
	v_lshrrev_b32_e32 v1, 5, v30
	v_writelane_b32 v98, s6, 11
	s_and_b32 s71, s1, s5
	s_cmp_gt_i32 s89, 0
	v_mul_u64_e32 v[8:9], s[64:65], v[12:13]
	s_cselect_b32 s88, -1, 0
	s_and_b32 s5, s1, vcc_lo
	v_dual_lshlrev_b32 v66, 3, v1 :: v_dual_lshlrev_b32 v67, 9, v1
	v_mul_u64_e32 v[0:1], s[74:75], v[12:13]
	v_add_nc_u32_e32 v13, 0x50, v21
	v_writelane_b32 v98, s5, 12
	v_cmp_gt_i32_e64 s5, s82, v12
	v_cmp_gt_i32_e32 vcc_lo, s82, v6
	v_add_nc_u32_e32 v28, 0x60, v21
	v_add_nc_u32_e32 v21, 0x70, v21
	v_cmp_ne_u32_e64 s16, v2, v20
	v_cmp_ne_u32_e64 s17, v2, v24
	s_and_b32 s6, vcc_lo, s5
	v_cmp_gt_i32_e32 vcc_lo, s82, v13
	v_writelane_b32 v98, s6, 13
	v_cmp_ne_u32_e64 s18, v2, v25
	v_cmp_gt_u32_e64 s35, 0xf0, v30
	v_cmp_gt_u32_e64 s50, 0x3e0, v30
	s_and_b32 s6, vcc_lo, s5
	v_cmp_gt_i32_e32 vcc_lo, s82, v28
	v_writelane_b32 v98, s6, 14
	v_mad_u32_u24 v46, 0x1f8, v2, v43
	v_mul_i32_i24_e32 v14, 0xfffffe08, v2
	v_mul_u32_u24_e32 v15, 0x1f8, v2
	s_and_b32 s6, vcc_lo, s5
	v_cmp_gt_i32_e32 vcc_lo, s82, v21
	v_writelane_b32 v98, s6, 15
	v_mad_i32_i24 v50, 0xfffffe08, v2, v46
	v_mul_lo_u32 v14, v14, 6
	v_mul_u64_e32 v[10:11], s[74:75], v[10:11]
	s_and_b32 s6, vcc_lo, s5
	v_cmp_le_i32_e32 vcc_lo, s9, v40
	v_writelane_b32 v98, s6, 16
	v_cmp_le_u32_e64 s6, v2, v40
	v_mad_u32_u24 v51, 0x1f8, v2, v50
	v_dual_lshlrev_b32 v76, 3, v27 :: v_dual_lshlrev_b32 v21, 3, v40
	s_or_b32 s7, vcc_lo, s14
	v_cmp_le_i32_e32 vcc_lo, s9, v20
	s_or_b32 s7, s7, s6
	v_mad_i32_i24 v52, 0xfffffe08, v2, v51
	v_writelane_b32 v98, s7, 17
	v_cmp_le_u32_e64 s7, v2, v20
	s_or_b32 s8, vcc_lo, s14
	v_cmp_le_i32_e32 vcc_lo, s9, v24
	v_mad_u32_u24 v55, 0x1f8, v2, v52
	v_mad_u32 v14, v15, 7, v14
	s_or_b32 s8, s8, s7
	v_mul_u32_u24_e32 v15, 0x1f0, v2
	v_writelane_b32 v98, s8, 18
	v_cmp_le_u32_e64 s8, v2, v24
	s_or_b32 s15, vcc_lo, s14
	v_cmp_le_i32_e32 vcc_lo, s9, v25
	v_mad_i32_i24 v59, 0xfffffe08, v2, v55
	v_mad_nc_u64_u32 v[12:13], s64, v40, v[18:19]
	s_or_b32 s9, s15, s8
	v_mad_nc_u64_u32 v[16:17], s64, v24, v[18:19]
	v_writelane_b32 v98, s9, 19
	v_cmp_le_u32_e64 s9, v2, v25
	s_or_b32 s15, vcc_lo, s14
	v_mad_u32_u24 v68, 0x1f8, v2, v59
	v_dual_sub_nc_u32 v29, v14, v15 :: v_dual_lshlrev_b32 v72, 3, v22
	s_or_b32 s15, s15, s9
	v_mad_nc_u64_u32 v[14:15], s64, v20, v[18:19]
	v_writelane_b32 v98, s15, 20
	v_cmp_ne_u32_e64 s15, v2, v40
	v_mad_i32_i24 v69, 0xfffffe08, v2, v68
	v_mad_nc_u64_u32 v[18:19], s64, v25, v[18:19]
	v_or_b32_e32 v79, 0xa000, v21
	v_mul_u32_u24_e32 v81, 0x208, v65
	v_writelane_b32 v98, s15, 21
	s_or_b32 s15, s14, s15
	v_mad_u32_u24 v70, 0x1f8, v2, v69
	v_or_b32_e32 v32, v20, v2
	v_dual_add_nc_u32 v90, v79, v43 :: v_dual_bitop2_b32 v33, v24, v2 bitop3:0x54
	v_writelane_b32 v98, s15, 22
	s_or_b32 s15, s14, s16
	v_mad_i32_i24 v71, 0xfffffe08, v2, v70
	v_mad_u32 v13, s65, v40, v13
	v_mad_u32 v15, s65, v20, v15
	v_writelane_b32 v98, s16, 23
	v_mad_u32 v17, s65, v24, v17
	v_mad_u32_u24 v74, 0x1f8, v2, v71
	v_mad_u32 v19, s65, v25, v19
	v_or_b32_e32 v34, v25, v2
	v_writelane_b32 v98, s15, 24
	s_or_b32 s15, s14, s17
	s_or_b32 s14, s14, s18
	v_mad_i32_i24 v77, 0xfffffe08, v2, v74
	v_cmp_lt_u32_e32 vcc_lo, 0x3ff, v30
	v_writelane_b32 v98, s17, 25
	v_dual_lshlrev_b32 v73, 3, v23 :: v_dual_lshlrev_b32 v75, 3, v26
	s_delay_alu instid0(VALU_DEP_4)
	v_mad_u32_u24 v78, 0x1f8, v2, v77
	v_add_nc_u32_e32 v82, 0x8000, v66
	v_writelane_b32 v98, s15, 26
	v_lshl_or_b32 v83, v65, 3, v67
	v_lshl_add_u32 v84, v4, 3, 0xa000
	v_add_nc_u32_e32 v80, v78, v21
	v_lshlrev_b32_e32 v21, 9, v65
	v_writelane_b32 v98, s18, 27
	v_lshl_add_u32 v85, v30, 3, 0x8000
	v_add_nc_u32_e32 v86, 0x8000, v43
	v_add_nc_u32_e32 v88, 0x7800, v29
	v_sub_nc_u32_e32 v21, v81, v21
	v_writelane_b32 v98, s14, 28
	v_lshl_add_u32 v89, v40, 9, v71
	v_subrev_nc_u32_e32 v91, 63, v2
	v_cmp_eq_u32_e64 s14, 0, v31
	v_add_nc_u32_e32 v87, 0x4100, v21
	v_writelane_b32 v98, s35, 29
	v_cmp_gt_u32_e64 s35, 0xe0, v30
	v_mov_b64_e32 v[20:21], 0
	v_cmp_gt_u32_e64 s15, 2, v30
	v_cmp_gt_u32_e64 s16, 12, v30
	;; [unrolled: 1-line block ×3, first 2 shown]
	v_writelane_b32 v98, s35, 30
	v_cmp_gt_u32_e64 s35, 0xd0, v30
	v_cmp_gt_u32_e64 s18, 56, v30
	;; [unrolled: 1-line block ×5, first 2 shown]
	v_writelane_b32 v98, s35, 31
	v_cmp_gt_u32_e64 s35, 0xc0, v30
	v_cmp_gt_u32_e64 s22, 24, v30
	v_cmp_eq_u32_e64 s59, 0, v4
	v_cmp_gt_u32_e64 s60, 64, v4
	s_add_co_i32 s49, s49, 1
	v_writelane_b32 v97, s35, 0
	v_cmp_gt_u32_e64 s35, 0xb0, v30
	s_xor_b32 s64, vcc_lo, -1
                                        ; implicit-def: $vgpr22_vgpr23
                                        ; implicit-def: $vgpr24_vgpr25
                                        ; implicit-def: $vgpr26_vgpr27
                                        ; implicit-def: $vgpr28_vgpr29
	v_writelane_b32 v97, s35, 1
	v_cmp_gt_u32_e64 s35, 0xa0, v30
	s_delay_alu instid0(VALU_DEP_1) | instskip(SKIP_1) | instid1(VALU_DEP_1)
	v_writelane_b32 v97, s35, 2
	v_cmp_gt_u32_e64 s35, 0x90, v30
	v_writelane_b32 v97, s35, 3
	v_cmp_gt_u32_e64 s35, 0x80, v30
	s_delay_alu instid0(VALU_DEP_1) | instskip(SKIP_1) | instid1(VALU_DEP_1)
	v_writelane_b32 v97, s35, 4
	v_cmp_gt_u32_e64 s35, 0x70, v30
	;; [unrolled: 5-line block ×3, first 2 shown]
	v_writelane_b32 v97, s35, 7
	v_cmp_gt_u32_e64 s35, 0x400, v30
	v_writelane_b32 v97, s50, 8
	v_cmp_gt_u32_e64 s50, 0x3c0, v30
	s_delay_alu instid0(VALU_DEP_1) | instskip(SKIP_1) | instid1(VALU_DEP_1)
	v_writelane_b32 v97, s50, 9
	v_cmp_gt_u32_e64 s50, 0x3a0, v30
	v_writelane_b32 v97, s50, 10
	v_cmp_gt_u32_e64 s50, 0x380, v30
	s_delay_alu instid0(VALU_DEP_1) | instskip(SKIP_1) | instid1(VALU_DEP_1)
	;; [unrolled: 5-line block ×13, first 2 shown]
	v_writelane_b32 v96, s50, 1
	v_cmp_gt_u32_e64 s50, 64, v34
	v_writelane_b32 v96, s50, 2
	s_branch .LBB36_3
.LBB36_2:                               ;   in Loop: Header=BB36_3 Depth=1
	s_wait_xcnt 0x0
	s_or_b32 exec_lo, exec_lo, s50
	v_readlane_b32 s50, v98, 0
	s_add_co_i32 s80, s80, 0x10000
	global_wb scope:SCOPE_DEV
	s_wait_storecnt 0x0
	global_inv scope:SCOPE_DEV
	s_cmp_lt_u32 s80, s50
	s_cbranch_scc0 .LBB36_1149
.LBB36_3:                               ; =>This Loop Header: Depth=1
                                        ;     Child Loop BB36_553 Depth 2
                                        ;     Child Loop BB36_1002 Depth 2
                                        ;       Child Loop BB36_1004 Depth 3
                                        ;     Child Loop BB36_1039 Depth 2
	global_load_b64 v[32:33], v5, s[68:69]
	v_readlane_b32 s52, v98, 2
	v_readlane_b32 s53, v98, 3
	s_mul_u64 s[50:51], s[66:67], s[80:81]
	s_delay_alu instid0(SALU_CYCLE_1) | instskip(NEXT) | instid1(SALU_CYCLE_1)
	s_lshl_b64 s[50:51], s[50:51], 3
	s_add_nc_u64 s[84:85], s[52:53], s[50:51]
	v_readlane_b32 s50, v98, 1
	v_lshl_add_u64 v[30:31], v[8:9], 3, s[84:85]
	s_and_not1_b32 vcc_lo, exec_lo, s50
	s_cbranch_vccnz .LBB36_13
; %bb.4:                                ;   in Loop: Header=BB36_3 Depth=1
	v_mov_b64_e32 v[24:25], 0
	v_mov_b64_e32 v[22:23], 0
	v_lshl_add_u64 v[34:35], v[6:7], 3, v[30:31]
	s_wait_loadcnt 0x0
	s_barrier_signal -1
	s_barrier_wait -1
	s_wait_xcnt 0x0
	s_mov_b32 s50, exec_lo
	v_readlane_b32 s51, v98, 13
	s_and_b32 s51, s50, s51
	s_delay_alu instid0(SALU_CYCLE_1)
	s_mov_b32 exec_lo, s51
	s_cbranch_execz .LBB36_6
; %bb.5:                                ;   in Loop: Header=BB36_3 Depth=1
	global_load_b64 v[22:23], v[34:35], off
.LBB36_6:                               ;   in Loop: Header=BB36_3 Depth=1
	s_wait_xcnt 0x0
	s_or_b32 exec_lo, exec_lo, s50
	s_wait_loadcnt 0x0
	s_barrier_signal -1
	s_barrier_wait -1
	s_mov_b32 s50, exec_lo
	v_readlane_b32 s51, v98, 14
	s_and_b32 s51, s50, s51
	s_delay_alu instid0(SALU_CYCLE_1)
	s_mov_b32 exec_lo, s51
	s_cbranch_execz .LBB36_8
; %bb.7:                                ;   in Loop: Header=BB36_3 Depth=1
	global_load_b64 v[24:25], v[34:35], off offset:128
.LBB36_8:                               ;   in Loop: Header=BB36_3 Depth=1
	s_wait_xcnt 0x0
	s_or_b32 exec_lo, exec_lo, s50
	v_mov_b64_e32 v[28:29], 0
	v_mov_b64_e32 v[26:27], 0
	s_wait_loadcnt 0x0
	s_barrier_signal -1
	s_barrier_wait -1
	s_mov_b32 s50, exec_lo
	v_readlane_b32 s51, v98, 15
	s_and_b32 s51, s50, s51
	s_delay_alu instid0(SALU_CYCLE_1)
	s_mov_b32 exec_lo, s51
	s_cbranch_execz .LBB36_10
; %bb.9:                                ;   in Loop: Header=BB36_3 Depth=1
	global_load_b64 v[26:27], v[34:35], off offset:256
.LBB36_10:                              ;   in Loop: Header=BB36_3 Depth=1
	s_wait_xcnt 0x0
	s_or_b32 exec_lo, exec_lo, s50
	s_wait_loadcnt 0x0
	s_barrier_signal -1
	s_barrier_wait -1
	s_mov_b32 s50, exec_lo
	v_readlane_b32 s51, v98, 16
	s_and_b32 s51, s50, s51
	s_delay_alu instid0(SALU_CYCLE_1)
	s_mov_b32 exec_lo, s51
	s_cbranch_execz .LBB36_12
; %bb.11:                               ;   in Loop: Header=BB36_3 Depth=1
	global_load_b64 v[28:29], v[34:35], off offset:384
.LBB36_12:                              ;   in Loop: Header=BB36_3 Depth=1
	s_wait_xcnt 0x0
	s_or_b32 exec_lo, exec_lo, s50
.LBB36_13:                              ;   in Loop: Header=BB36_3 Depth=1
	s_delay_alu instid0(SALU_CYCLE_1)
	s_and_not1_b32 vcc_lo, exec_lo, s91
	s_mov_b32 s50, -1
	s_cbranch_vccnz .LBB36_24
; %bb.14:                               ;   in Loop: Header=BB36_3 Depth=1
	s_wait_xcnt 0x0
	s_and_saveexec_b32 s50, s6
	s_delay_alu instid0(SALU_CYCLE_1)
	s_xor_b32 s65, exec_lo, s50
	s_cbranch_execnz .LBB36_1061
; %bb.15:                               ;   in Loop: Header=BB36_3 Depth=1
	s_and_not1_saveexec_b32 s50, s65
	s_cbranch_execnz .LBB36_1068
.LBB36_16:                              ;   in Loop: Header=BB36_3 Depth=1
	s_or_b32 exec_lo, exec_lo, s50
	s_and_saveexec_b32 s50, s7
	s_delay_alu instid0(SALU_CYCLE_1)
	s_xor_b32 s65, exec_lo, s50
	s_cbranch_execnz .LBB36_1069
.LBB36_17:                              ;   in Loop: Header=BB36_3 Depth=1
	s_and_not1_saveexec_b32 s50, s65
	s_cbranch_execnz .LBB36_1076
.LBB36_18:                              ;   in Loop: Header=BB36_3 Depth=1
	s_or_b32 exec_lo, exec_lo, s50
	s_and_saveexec_b32 s50, s8
	s_delay_alu instid0(SALU_CYCLE_1)
	s_xor_b32 s65, exec_lo, s50
	s_cbranch_execnz .LBB36_1077
.LBB36_19:                              ;   in Loop: Header=BB36_3 Depth=1
	s_and_not1_saveexec_b32 s50, s65
	s_cbranch_execnz .LBB36_1084
.LBB36_20:                              ;   in Loop: Header=BB36_3 Depth=1
	s_or_b32 exec_lo, exec_lo, s50
	s_and_saveexec_b32 s50, s9
	s_delay_alu instid0(SALU_CYCLE_1)
	s_xor_b32 s65, exec_lo, s50
	s_cbranch_execnz .LBB36_1085
.LBB36_21:                              ;   in Loop: Header=BB36_3 Depth=1
	s_and_not1_saveexec_b32 s50, s65
	s_cbranch_execz .LBB36_23
.LBB36_22:                              ;   in Loop: Header=BB36_3 Depth=1
	v_lshl_add_u64 v[34:35], v[18:19], 3, s[84:85]
	global_load_b64 v[34:35], v[34:35], off
	s_wait_loadcnt 0x0
	v_xor_b32_e32 v35, 0x80000000, v35
	ds_store_b64 v76, v[34:35]
.LBB36_23:                              ;   in Loop: Header=BB36_3 Depth=1
	s_or_b32 exec_lo, exec_lo, s50
	s_mov_b32 s50, 0
.LBB36_24:                              ;   in Loop: Header=BB36_3 Depth=1
	s_delay_alu instid0(SALU_CYCLE_1)
	s_and_b32 vcc_lo, exec_lo, s50
	s_cbranch_vccz .LBB36_66
; %bb.25:                               ;   in Loop: Header=BB36_3 Depth=1
	s_wait_xcnt 0x0
	s_mov_b32 s50, exec_lo
	v_readlane_b32 s51, v98, 17
	s_and_b32 s51, s50, s51
	s_delay_alu instid0(SALU_CYCLE_1)
	s_xor_b32 s65, s51, s50
	s_mov_b32 exec_lo, s51
	s_cbranch_execz .LBB36_33
; %bb.26:                               ;   in Loop: Header=BB36_3 Depth=1
	s_mov_b32 s50, exec_lo
	v_readlane_b32 s51, v98, 22
	s_and_b32 s51, s50, s51
	s_delay_alu instid0(SALU_CYCLE_1)
	s_xor_b32 s50, s51, s50
	s_mov_b32 exec_lo, s51
	s_cbranch_execz .LBB36_30
; %bb.27:                               ;   in Loop: Header=BB36_3 Depth=1
	s_mov_b32 s51, exec_lo
	v_readlane_b32 s52, v97, 31
	s_and_b32 s52, s51, s52
	s_delay_alu instid0(SALU_CYCLE_1)
	s_mov_b32 exec_lo, s52
; %bb.28:                               ;   in Loop: Header=BB36_3 Depth=1
	ds_store_b64 v80, v[20:21]
; %bb.29:                               ;   in Loop: Header=BB36_3 Depth=1
	s_or_b32 exec_lo, exec_lo, s51
.LBB36_30:                              ;   in Loop: Header=BB36_3 Depth=1
	s_and_not1_saveexec_b32 s50, s50
	s_cbranch_execz .LBB36_32
; %bb.31:                               ;   in Loop: Header=BB36_3 Depth=1
	v_lshl_add_u64 v[34:35], v[12:13], 3, s[84:85]
	global_load_b64 v[34:35], v[34:35], off
	s_wait_loadcnt 0x0
	v_div_scale_f64 v[36:37], null, v[34:35], v[34:35], 1.0
	s_delay_alu instid0(VALU_DEP_1) | instskip(SKIP_1) | instid1(TRANS32_DEP_1)
	v_rcp_f64_e32 v[38:39], v[36:37]
	v_nop
	v_fma_f64 v[92:93], -v[36:37], v[38:39], 1.0
	s_delay_alu instid0(VALU_DEP_1) | instskip(NEXT) | instid1(VALU_DEP_1)
	v_fmac_f64_e32 v[38:39], v[38:39], v[92:93]
	v_fma_f64 v[92:93], -v[36:37], v[38:39], 1.0
	s_delay_alu instid0(VALU_DEP_1) | instskip(SKIP_1) | instid1(VALU_DEP_1)
	v_fmac_f64_e32 v[38:39], v[38:39], v[92:93]
	v_div_scale_f64 v[92:93], vcc_lo, 1.0, v[34:35], 1.0
	v_mul_f64_e32 v[94:95], v[92:93], v[38:39]
	s_delay_alu instid0(VALU_DEP_1) | instskip(NEXT) | instid1(VALU_DEP_1)
	v_fma_f64 v[36:37], -v[36:37], v[94:95], v[92:93]
	v_div_fmas_f64 v[36:37], v[36:37], v[38:39], v[94:95]
	s_delay_alu instid0(VALU_DEP_1)
	v_div_fixup_f64 v[34:35], v[36:37], v[34:35], 1.0
	ds_store_b64 v80, v[34:35]
.LBB36_32:                              ;   in Loop: Header=BB36_3 Depth=1
	s_or_b32 exec_lo, exec_lo, s50
.LBB36_33:                              ;   in Loop: Header=BB36_3 Depth=1
	s_and_not1_saveexec_b32 s50, s65
	s_cbranch_execz .LBB36_35
; %bb.34:                               ;   in Loop: Header=BB36_3 Depth=1
	v_lshl_add_u64 v[34:35], v[12:13], 3, s[84:85]
	global_load_b64 v[34:35], v[34:35], off
	s_wait_loadcnt 0x0
	v_xor_b32_e32 v35, 0x80000000, v35
	ds_store_b64 v80, v[34:35]
.LBB36_35:                              ;   in Loop: Header=BB36_3 Depth=1
	s_or_b32 exec_lo, exec_lo, s50
	s_delay_alu instid0(SALU_CYCLE_1) | instskip(SKIP_2) | instid1(SALU_CYCLE_1)
	s_mov_b32 s50, exec_lo
	v_readlane_b32 s51, v98, 18
	s_and_b32 s51, s50, s51
	s_xor_b32 s65, s51, s50
	s_mov_b32 exec_lo, s51
	s_cbranch_execz .LBB36_43
; %bb.36:                               ;   in Loop: Header=BB36_3 Depth=1
	s_mov_b32 s50, exec_lo
	v_readlane_b32 s51, v98, 24
	s_and_b32 s51, s50, s51
	s_delay_alu instid0(SALU_CYCLE_1)
	s_xor_b32 s50, s51, s50
	s_mov_b32 exec_lo, s51
	s_cbranch_execz .LBB36_40
; %bb.37:                               ;   in Loop: Header=BB36_3 Depth=1
	s_mov_b32 s51, exec_lo
	v_readlane_b32 s52, v96, 0
	s_and_b32 s52, s51, s52
	s_delay_alu instid0(SALU_CYCLE_1)
	s_mov_b32 exec_lo, s52
; %bb.38:                               ;   in Loop: Header=BB36_3 Depth=1
	ds_store_b64 v73, v[20:21]
; %bb.39:                               ;   in Loop: Header=BB36_3 Depth=1
	s_or_b32 exec_lo, exec_lo, s51
.LBB36_40:                              ;   in Loop: Header=BB36_3 Depth=1
	s_and_not1_saveexec_b32 s50, s50
	s_cbranch_execz .LBB36_42
; %bb.41:                               ;   in Loop: Header=BB36_3 Depth=1
	v_lshl_add_u64 v[34:35], v[14:15], 3, s[84:85]
	global_load_b64 v[34:35], v[34:35], off
	s_wait_loadcnt 0x0
	v_div_scale_f64 v[36:37], null, v[34:35], v[34:35], 1.0
	s_delay_alu instid0(VALU_DEP_1) | instskip(SKIP_1) | instid1(TRANS32_DEP_1)
	v_rcp_f64_e32 v[38:39], v[36:37]
	v_nop
	v_fma_f64 v[92:93], -v[36:37], v[38:39], 1.0
	s_delay_alu instid0(VALU_DEP_1) | instskip(NEXT) | instid1(VALU_DEP_1)
	v_fmac_f64_e32 v[38:39], v[38:39], v[92:93]
	v_fma_f64 v[92:93], -v[36:37], v[38:39], 1.0
	s_delay_alu instid0(VALU_DEP_1) | instskip(SKIP_1) | instid1(VALU_DEP_1)
	v_fmac_f64_e32 v[38:39], v[38:39], v[92:93]
	v_div_scale_f64 v[92:93], vcc_lo, 1.0, v[34:35], 1.0
	v_mul_f64_e32 v[94:95], v[92:93], v[38:39]
	s_delay_alu instid0(VALU_DEP_1) | instskip(NEXT) | instid1(VALU_DEP_1)
	v_fma_f64 v[36:37], -v[36:37], v[94:95], v[92:93]
	v_div_fmas_f64 v[36:37], v[36:37], v[38:39], v[94:95]
	s_delay_alu instid0(VALU_DEP_1)
	v_div_fixup_f64 v[34:35], v[36:37], v[34:35], 1.0
	ds_store_b64 v73, v[34:35]
.LBB36_42:                              ;   in Loop: Header=BB36_3 Depth=1
	s_or_b32 exec_lo, exec_lo, s50
.LBB36_43:                              ;   in Loop: Header=BB36_3 Depth=1
	s_and_not1_saveexec_b32 s50, s65
	s_cbranch_execz .LBB36_45
; %bb.44:                               ;   in Loop: Header=BB36_3 Depth=1
	v_lshl_add_u64 v[34:35], v[14:15], 3, s[84:85]
	global_load_b64 v[34:35], v[34:35], off
	s_wait_loadcnt 0x0
	v_xor_b32_e32 v35, 0x80000000, v35
	ds_store_b64 v73, v[34:35]
.LBB36_45:                              ;   in Loop: Header=BB36_3 Depth=1
	s_or_b32 exec_lo, exec_lo, s50
	s_delay_alu instid0(SALU_CYCLE_1) | instskip(SKIP_2) | instid1(SALU_CYCLE_1)
	s_mov_b32 s50, exec_lo
	v_readlane_b32 s51, v98, 19
	s_and_b32 s51, s50, s51
	;; [unrolled: 63-line block ×3, first 2 shown]
	s_xor_b32 s65, s51, s50
	s_mov_b32 exec_lo, s51
	s_cbranch_execz .LBB36_63
; %bb.56:                               ;   in Loop: Header=BB36_3 Depth=1
	s_mov_b32 s50, exec_lo
	v_readlane_b32 s51, v98, 28
	s_and_b32 s51, s50, s51
	s_delay_alu instid0(SALU_CYCLE_1)
	s_xor_b32 s50, s51, s50
	s_mov_b32 exec_lo, s51
	s_cbranch_execz .LBB36_60
; %bb.57:                               ;   in Loop: Header=BB36_3 Depth=1
	s_mov_b32 s51, exec_lo
	v_readlane_b32 s52, v96, 2
	s_and_b32 s52, s51, s52
	s_delay_alu instid0(SALU_CYCLE_1)
	s_mov_b32 exec_lo, s52
; %bb.58:                               ;   in Loop: Header=BB36_3 Depth=1
	ds_store_b64 v76, v[20:21]
; %bb.59:                               ;   in Loop: Header=BB36_3 Depth=1
	s_or_b32 exec_lo, exec_lo, s51
.LBB36_60:                              ;   in Loop: Header=BB36_3 Depth=1
	s_and_not1_saveexec_b32 s50, s50
	s_cbranch_execz .LBB36_62
; %bb.61:                               ;   in Loop: Header=BB36_3 Depth=1
	v_lshl_add_u64 v[34:35], v[18:19], 3, s[84:85]
	global_load_b64 v[34:35], v[34:35], off
	s_wait_loadcnt 0x0
	v_div_scale_f64 v[36:37], null, v[34:35], v[34:35], 1.0
	s_delay_alu instid0(VALU_DEP_1) | instskip(SKIP_1) | instid1(TRANS32_DEP_1)
	v_rcp_f64_e32 v[38:39], v[36:37]
	v_nop
	v_fma_f64 v[92:93], -v[36:37], v[38:39], 1.0
	s_delay_alu instid0(VALU_DEP_1) | instskip(NEXT) | instid1(VALU_DEP_1)
	v_fmac_f64_e32 v[38:39], v[38:39], v[92:93]
	v_fma_f64 v[92:93], -v[36:37], v[38:39], 1.0
	s_delay_alu instid0(VALU_DEP_1) | instskip(SKIP_1) | instid1(VALU_DEP_1)
	v_fmac_f64_e32 v[38:39], v[38:39], v[92:93]
	v_div_scale_f64 v[92:93], vcc_lo, 1.0, v[34:35], 1.0
	v_mul_f64_e32 v[94:95], v[92:93], v[38:39]
	s_delay_alu instid0(VALU_DEP_1) | instskip(NEXT) | instid1(VALU_DEP_1)
	v_fma_f64 v[36:37], -v[36:37], v[94:95], v[92:93]
	v_div_fmas_f64 v[36:37], v[36:37], v[38:39], v[94:95]
	s_delay_alu instid0(VALU_DEP_1)
	v_div_fixup_f64 v[34:35], v[36:37], v[34:35], 1.0
	ds_store_b64 v76, v[34:35]
.LBB36_62:                              ;   in Loop: Header=BB36_3 Depth=1
	s_or_b32 exec_lo, exec_lo, s50
.LBB36_63:                              ;   in Loop: Header=BB36_3 Depth=1
	s_and_not1_saveexec_b32 s50, s65
	s_cbranch_execz .LBB36_65
; %bb.64:                               ;   in Loop: Header=BB36_3 Depth=1
	v_lshl_add_u64 v[34:35], v[18:19], 3, s[84:85]
	global_load_b64 v[34:35], v[34:35], off
	s_wait_loadcnt 0x0
	v_xor_b32_e32 v35, 0x80000000, v35
	ds_store_b64 v76, v[34:35]
.LBB36_65:                              ;   in Loop: Header=BB36_3 Depth=1
	s_or_b32 exec_lo, exec_lo, s50
.LBB36_66:                              ;   in Loop: Header=BB36_3 Depth=1
	s_delay_alu instid0(SALU_CYCLE_1)
	s_and_not1_b32 vcc_lo, exec_lo, s93
	s_wait_loadcnt_dscnt 0x0
	s_barrier_signal -1
	s_barrier_wait -1
	s_cbranch_vccnz .LBB36_996
; %bb.67:                               ;   in Loop: Header=BB36_3 Depth=1
	s_and_saveexec_b32 s50, s14
	s_cbranch_execz .LBB36_69
; %bb.68:                               ;   in Loop: Header=BB36_3 Depth=1
	ds_load_b128 v[34:37], v5
	ds_load_b64 v[38:39], v5 offset:520
	s_wait_dscnt 0x0
	v_mul_f64_e32 v[34:35], v[34:35], v[38:39]
	s_delay_alu instid0(VALU_DEP_1)
	v_mul_f64_e32 v[34:35], v[36:37], v[34:35]
	ds_store_2addr_b64 v5, v[34:35], v[34:35] offset0:1 offset1:64
.LBB36_69:                              ;   in Loop: Header=BB36_3 Depth=1
	s_or_b32 exec_lo, exec_lo, s50
	v_mov_b64_e32 v[34:35], 0
	s_wait_dscnt 0x0
	s_barrier_signal -1
	s_barrier_wait -1
	s_and_saveexec_b32 s50, s0
	s_cbranch_execz .LBB36_73
; %bb.70:                               ;   in Loop: Header=BB36_3 Depth=1
	ds_load_b64 v[34:35], v41 offset:16
	ds_load_b64 v[36:37], v42
	s_wait_dscnt 0x0
	v_fma_f64 v[34:35], v[34:35], v[36:37], 0
	s_and_saveexec_b32 s51, s15
	s_cbranch_execz .LBB36_72
; %bb.71:                               ;   in Loop: Header=BB36_3 Depth=1
	ds_load_b64 v[36:37], v43 offset:528
	ds_load_b64 v[38:39], v5 offset:8
	s_wait_dscnt 0x0
	v_fmac_f64_e32 v[34:35], v[36:37], v[38:39]
.LBB36_72:                              ;   in Loop: Header=BB36_3 Depth=1
	s_or_b32 exec_lo, exec_lo, s51
	s_delay_alu instid0(VALU_DEP_1)
	v_xor_b32_e32 v35, 0x80000000, v35
.LBB36_73:                              ;   in Loop: Header=BB36_3 Depth=1
	s_or_b32 exec_lo, exec_lo, s50
	s_and_saveexec_b32 s50, s94
	s_cbranch_execz .LBB36_75
; %bb.74:                               ;   in Loop: Header=BB36_3 Depth=1
	ds_load_b64 v[36:37], v5 offset:1040
	s_wait_dscnt 0x0
	v_mul_f64_e32 v[34:35], v[34:35], v[36:37]
	ds_store_b64 v3, v[34:35]
.LBB36_75:                              ;   in Loop: Header=BB36_3 Depth=1
	s_or_b32 exec_lo, exec_lo, s50
	s_wait_dscnt 0x0
	s_barrier_signal -1
	s_barrier_wait -1
	s_and_saveexec_b32 s50, s95
	s_cbranch_execz .LBB36_77
; %bb.76:                               ;   in Loop: Header=BB36_3 Depth=1
	ds_load_b64 v[36:37], v5 offset:1048
	ds_load_b64 v[38:39], v3
	s_wait_dscnt 0x0
	v_fmac_f64_e32 v[34:35], v[36:37], v[38:39]
.LBB36_77:                              ;   in Loop: Header=BB36_3 Depth=1
	s_or_b32 exec_lo, exec_lo, s50
	s_barrier_signal -1
	s_barrier_wait -1
	s_and_saveexec_b32 s50, s95
	s_cbranch_execz .LBB36_79
; %bb.78:                               ;   in Loop: Header=BB36_3 Depth=1
	ds_load_b64 v[36:37], v5 offset:1560
	s_wait_dscnt 0x0
	v_mul_f64_e32 v[34:35], v[34:35], v[36:37]
	ds_store_b64 v3, v[34:35]
.LBB36_79:                              ;   in Loop: Header=BB36_3 Depth=1
	s_or_b32 exec_lo, exec_lo, s50
	s_wait_dscnt 0x0
	s_barrier_signal -1
	s_barrier_wait -1
	s_barrier_signal -1
	s_barrier_wait -1
	s_and_saveexec_b32 s50, s0
; %bb.80:                               ;   in Loop: Header=BB36_3 Depth=1
	s_delay_alu instid0(VALU_DEP_1)
	v_xor_b32_e32 v35, 0x80000000, v35
	ds_store_b64 v41, v[34:35] offset:16
; %bb.81:                               ;   in Loop: Header=BB36_3 Depth=1
	s_or_b32 exec_lo, exec_lo, s50
	s_wait_dscnt 0x0
	s_barrier_signal -1
	s_barrier_wait -1
	s_barrier_signal -1
	s_barrier_wait -1
	s_and_saveexec_b32 s50, s96
	s_cbranch_execz .LBB36_83
; %bb.82:                               ;   in Loop: Header=BB36_3 Depth=1
	ds_load_b64 v[34:35], v46 offset:16
	s_wait_dscnt 0x0
	ds_store_b64 v43, v[34:35] offset:1024
	ds_load_b64 v[34:35], v46 offset:24
	s_wait_dscnt 0x0
	ds_store_b64 v43, v[34:35] offset:1536
.LBB36_83:                              ;   in Loop: Header=BB36_3 Depth=1
	s_or_b32 exec_lo, exec_lo, s50
	s_wait_dscnt 0x0
	s_barrier_signal -1
	s_barrier_wait -1
	s_and_saveexec_b32 s50, s14
	s_cbranch_execz .LBB36_85
; %bb.84:                               ;   in Loop: Header=BB36_3 Depth=1
	ds_load_b128 v[34:37], v5 offset:1040
	ds_load_b64 v[38:39], v5 offset:1560
	s_wait_dscnt 0x0
	v_mul_f64_e32 v[34:35], v[34:35], v[38:39]
	s_delay_alu instid0(VALU_DEP_1)
	v_mul_f64_e32 v[34:35], v[36:37], v[34:35]
	ds_store_2addr_b64 v5, v[34:35], v[34:35] offset0:131 offset1:194
.LBB36_85:                              ;   in Loop: Header=BB36_3 Depth=1
	s_or_b32 exec_lo, exec_lo, s50
	v_mov_b64_e32 v[34:35], 0
	s_wait_dscnt 0x0
	s_barrier_signal -1
	s_barrier_wait -1
	s_and_saveexec_b32 s65, s2
	s_cbranch_execz .LBB36_91
; %bb.86:                               ;   in Loop: Header=BB36_3 Depth=1
	ds_load_b64 v[34:35], v48 offset:32
	ds_load_b64 v[36:37], v44
	s_wait_dscnt 0x0
	v_fma_f64 v[34:35], v[34:35], v[36:37], 0
	s_and_saveexec_b32 s50, s16
	s_cbranch_execnz .LBB36_1099
; %bb.87:                               ;   in Loop: Header=BB36_3 Depth=1
	s_or_b32 exec_lo, exec_lo, s50
	s_and_saveexec_b32 s50, s17
	s_cbranch_execnz .LBB36_1100
.LBB36_88:                              ;   in Loop: Header=BB36_3 Depth=1
	s_or_b32 exec_lo, exec_lo, s50
	s_and_saveexec_b32 s50, s0
	s_cbranch_execz .LBB36_90
.LBB36_89:                              ;   in Loop: Header=BB36_3 Depth=1
	ds_load_b64 v[36:37], v50 offset:1568
	ds_load_b64 v[38:39], v5 offset:24
	s_wait_dscnt 0x0
	v_fmac_f64_e32 v[34:35], v[36:37], v[38:39]
.LBB36_90:                              ;   in Loop: Header=BB36_3 Depth=1
	s_or_b32 exec_lo, exec_lo, s50
	s_delay_alu instid0(VALU_DEP_1)
	v_xor_b32_e32 v35, 0x80000000, v35
.LBB36_91:                              ;   in Loop: Header=BB36_3 Depth=1
	s_or_b32 exec_lo, exec_lo, s65
	s_and_saveexec_b32 s50, s97
	s_cbranch_execz .LBB36_93
; %bb.92:                               ;   in Loop: Header=BB36_3 Depth=1
	ds_load_b64 v[36:37], v5 offset:2080
	s_wait_dscnt 0x0
	v_mul_f64_e32 v[34:35], v[34:35], v[36:37]
	ds_store_b64 v47, v[34:35]
.LBB36_93:                              ;   in Loop: Header=BB36_3 Depth=1
	s_or_b32 exec_lo, exec_lo, s50
	s_wait_dscnt 0x0
	s_barrier_signal -1
	s_barrier_wait -1
	s_and_saveexec_b32 s50, s98
	s_cbranch_execz .LBB36_95
; %bb.94:                               ;   in Loop: Header=BB36_3 Depth=1
	ds_load_b64 v[36:37], v45 offset:2080
	ds_load_b64 v[38:39], v47
	s_wait_dscnt 0x0
	v_fmac_f64_e32 v[34:35], v[36:37], v[38:39]
.LBB36_95:                              ;   in Loop: Header=BB36_3 Depth=1
	s_or_b32 exec_lo, exec_lo, s50
	s_barrier_signal -1
	s_barrier_wait -1
	s_and_saveexec_b32 s50, s99
	s_cbranch_execz .LBB36_97
; %bb.96:                               ;   in Loop: Header=BB36_3 Depth=1
	ds_load_b64 v[36:37], v5 offset:2600
	s_wait_dscnt 0x0
	v_mul_f64_e32 v[34:35], v[34:35], v[36:37]
	ds_store_b64 v47, v[34:35]
.LBB36_97:                              ;   in Loop: Header=BB36_3 Depth=1
	s_or_b32 exec_lo, exec_lo, s50
	s_wait_dscnt 0x0
	s_barrier_signal -1
	s_barrier_wait -1
	s_and_saveexec_b32 s50, s100
	s_cbranch_execz .LBB36_99
; %bb.98:                               ;   in Loop: Header=BB36_3 Depth=1
	ds_load_b64 v[36:37], v45 offset:2592
	ds_load_b64 v[38:39], v47
	s_wait_dscnt 0x0
	v_fmac_f64_e32 v[34:35], v[36:37], v[38:39]
.LBB36_99:                              ;   in Loop: Header=BB36_3 Depth=1
	s_or_b32 exec_lo, exec_lo, s50
	s_barrier_signal -1
	s_barrier_wait -1
	s_and_saveexec_b32 s50, s101
	s_cbranch_execz .LBB36_101
; %bb.100:                              ;   in Loop: Header=BB36_3 Depth=1
	ds_load_b64 v[36:37], v5 offset:3120
	s_wait_dscnt 0x0
	v_mul_f64_e32 v[34:35], v[34:35], v[36:37]
	ds_store_b64 v47, v[34:35]
.LBB36_101:                             ;   in Loop: Header=BB36_3 Depth=1
	s_or_b32 exec_lo, exec_lo, s50
	s_wait_dscnt 0x0
	s_barrier_signal -1
	s_barrier_wait -1
	s_and_saveexec_b32 s50, s102
	s_cbranch_execz .LBB36_103
; %bb.102:                              ;   in Loop: Header=BB36_3 Depth=1
	ds_load_b64 v[36:37], v5 offset:3128
	ds_load_b64 v[38:39], v47
	s_wait_dscnt 0x0
	v_fmac_f64_e32 v[34:35], v[36:37], v[38:39]
.LBB36_103:                             ;   in Loop: Header=BB36_3 Depth=1
	s_or_b32 exec_lo, exec_lo, s50
	s_barrier_signal -1
	s_barrier_wait -1
	s_and_saveexec_b32 s50, s102
	s_cbranch_execz .LBB36_105
; %bb.104:                              ;   in Loop: Header=BB36_3 Depth=1
	ds_load_b64 v[36:37], v5 offset:3640
	s_wait_dscnt 0x0
	v_mul_f64_e32 v[34:35], v[34:35], v[36:37]
	ds_store_b64 v47, v[34:35]
.LBB36_105:                             ;   in Loop: Header=BB36_3 Depth=1
	s_or_b32 exec_lo, exec_lo, s50
	s_wait_dscnt 0x0
	s_barrier_signal -1
	s_barrier_wait -1
	s_barrier_signal -1
	s_barrier_wait -1
	s_and_saveexec_b32 s50, s2
; %bb.106:                              ;   in Loop: Header=BB36_3 Depth=1
	s_delay_alu instid0(VALU_DEP_1)
	v_xor_b32_e32 v35, 0x80000000, v35
	ds_store_b64 v48, v[34:35] offset:32
; %bb.107:                              ;   in Loop: Header=BB36_3 Depth=1
	s_or_b32 exec_lo, exec_lo, s50
	s_wait_dscnt 0x0
	s_barrier_signal -1
	s_barrier_wait -1
	s_barrier_signal -1
	s_barrier_wait -1
	s_and_saveexec_b32 s50, s103
	s_cbranch_execz .LBB36_109
; %bb.108:                              ;   in Loop: Header=BB36_3 Depth=1
	ds_load_b64 v[34:35], v51 offset:32
	s_wait_dscnt 0x0
	ds_store_b64 v52, v[34:35] offset:2048
	ds_load_b64 v[34:35], v51 offset:40
	s_wait_dscnt 0x0
	ds_store_b64 v52, v[34:35] offset:2560
	;; [unrolled: 3-line block ×4, first 2 shown]
.LBB36_109:                             ;   in Loop: Header=BB36_3 Depth=1
	s_or_b32 exec_lo, exec_lo, s50
	s_wait_dscnt 0x0
	s_barrier_signal -1
	s_barrier_wait -1
	s_and_saveexec_b32 s50, s14
	s_cbranch_execz .LBB36_111
; %bb.110:                              ;   in Loop: Header=BB36_3 Depth=1
	ds_load_b128 v[34:37], v5 offset:2080
	ds_load_b64 v[38:39], v5 offset:2600
	s_wait_dscnt 0x0
	v_mul_f64_e32 v[34:35], v[34:35], v[38:39]
	s_delay_alu instid0(VALU_DEP_1)
	v_mul_f64_e32 v[34:35], v[36:37], v[34:35]
	v_add_nc_u32_e64 v36, 0x800, 0
	ds_store_2addr_b64 v36, v[34:35], v[34:35] offset0:5 offset1:68
.LBB36_111:                             ;   in Loop: Header=BB36_3 Depth=1
	s_or_b32 exec_lo, exec_lo, s50
	v_mov_b64_e32 v[34:35], 0
	s_wait_dscnt 0x0
	s_barrier_signal -1
	s_barrier_wait -1
	s_and_saveexec_b32 s50, s0
	s_cbranch_execz .LBB36_115
; %bb.112:                              ;   in Loop: Header=BB36_3 Depth=1
	ds_load_b64 v[34:35], v41 offset:2096
	ds_load_b64 v[36:37], v42 offset:2080
	s_wait_dscnt 0x0
	v_fma_f64 v[34:35], v[34:35], v[36:37], 0
	s_and_saveexec_b32 s51, s15
	s_cbranch_execz .LBB36_114
; %bb.113:                              ;   in Loop: Header=BB36_3 Depth=1
	ds_load_b64 v[36:37], v52 offset:2608
	ds_load_b64 v[38:39], v5 offset:2088
	s_wait_dscnt 0x0
	v_fmac_f64_e32 v[34:35], v[36:37], v[38:39]
.LBB36_114:                             ;   in Loop: Header=BB36_3 Depth=1
	s_or_b32 exec_lo, exec_lo, s51
	s_delay_alu instid0(VALU_DEP_1)
	v_xor_b32_e32 v35, 0x80000000, v35
.LBB36_115:                             ;   in Loop: Header=BB36_3 Depth=1
	s_or_b32 exec_lo, exec_lo, s50
	s_and_saveexec_b32 s50, s94
	s_cbranch_execz .LBB36_117
; %bb.116:                              ;   in Loop: Header=BB36_3 Depth=1
	ds_load_b64 v[36:37], v5 offset:3120
	s_wait_dscnt 0x0
	v_mul_f64_e32 v[34:35], v[34:35], v[36:37]
	ds_store_b64 v3, v[34:35]
.LBB36_117:                             ;   in Loop: Header=BB36_3 Depth=1
	s_or_b32 exec_lo, exec_lo, s50
	s_wait_dscnt 0x0
	s_barrier_signal -1
	s_barrier_wait -1
	s_and_saveexec_b32 s50, s95
	s_cbranch_execz .LBB36_119
; %bb.118:                              ;   in Loop: Header=BB36_3 Depth=1
	ds_load_b64 v[36:37], v5 offset:3128
	ds_load_b64 v[38:39], v3
	s_wait_dscnt 0x0
	v_fmac_f64_e32 v[34:35], v[36:37], v[38:39]
.LBB36_119:                             ;   in Loop: Header=BB36_3 Depth=1
	s_or_b32 exec_lo, exec_lo, s50
	s_barrier_signal -1
	s_barrier_wait -1
	s_and_saveexec_b32 s50, s95
	s_cbranch_execz .LBB36_121
; %bb.120:                              ;   in Loop: Header=BB36_3 Depth=1
	ds_load_b64 v[36:37], v5 offset:3640
	s_wait_dscnt 0x0
	v_mul_f64_e32 v[34:35], v[34:35], v[36:37]
	ds_store_b64 v3, v[34:35]
.LBB36_121:                             ;   in Loop: Header=BB36_3 Depth=1
	s_or_b32 exec_lo, exec_lo, s50
	s_wait_dscnt 0x0
	s_barrier_signal -1
	s_barrier_wait -1
	s_barrier_signal -1
	s_barrier_wait -1
	s_and_saveexec_b32 s50, s0
; %bb.122:                              ;   in Loop: Header=BB36_3 Depth=1
	s_delay_alu instid0(VALU_DEP_1)
	v_xor_b32_e32 v35, 0x80000000, v35
	ds_store_b64 v41, v[34:35] offset:2096
; %bb.123:                              ;   in Loop: Header=BB36_3 Depth=1
	s_or_b32 exec_lo, exec_lo, s50
	s_wait_dscnt 0x0
	s_barrier_signal -1
	s_barrier_wait -1
	s_barrier_signal -1
	s_barrier_wait -1
	s_and_saveexec_b32 s50, s96
	s_cbranch_execz .LBB36_125
; %bb.124:                              ;   in Loop: Header=BB36_3 Depth=1
	ds_load_b64 v[34:35], v55 offset:2096
	s_wait_dscnt 0x0
	ds_store_b64 v52, v[34:35] offset:3104
	ds_load_b64 v[34:35], v55 offset:2104
	s_wait_dscnt 0x0
	ds_store_b64 v52, v[34:35] offset:3616
.LBB36_125:                             ;   in Loop: Header=BB36_3 Depth=1
	s_or_b32 exec_lo, exec_lo, s50
	s_wait_dscnt 0x0
	s_barrier_signal -1
	s_barrier_wait -1
	s_and_saveexec_b32 s50, s14
	s_cbranch_execz .LBB36_127
; %bb.126:                              ;   in Loop: Header=BB36_3 Depth=1
	ds_load_b128 v[34:37], v5 offset:3120
	ds_load_b64 v[38:39], v5 offset:3640
	s_wait_dscnt 0x0
	v_mul_f64_e32 v[34:35], v[34:35], v[38:39]
	s_delay_alu instid0(VALU_DEP_1)
	v_mul_f64_e32 v[34:35], v[36:37], v[34:35]
	v_add_nc_u32_e64 v36, 0x800, 0
	ds_store_2addr_b64 v36, v[34:35], v[34:35] offset0:135 offset1:198
.LBB36_127:                             ;   in Loop: Header=BB36_3 Depth=1
	s_or_b32 exec_lo, exec_lo, s50
	v_mov_b64_e32 v[34:35], 0
	s_wait_dscnt 0x0
	s_barrier_signal -1
	s_barrier_wait -1
	s_and_saveexec_b32 s65, s3
	s_cbranch_execz .LBB36_137
; %bb.128:                              ;   in Loop: Header=BB36_3 Depth=1
	ds_load_b64 v[34:35], v57 offset:64
	ds_load_b64 v[36:37], v53
	s_wait_dscnt 0x0
	v_fma_f64 v[34:35], v[34:35], v[36:37], 0
	s_and_saveexec_b32 s50, s18
	s_cbranch_execnz .LBB36_1101
; %bb.129:                              ;   in Loop: Header=BB36_3 Depth=1
	s_or_b32 exec_lo, exec_lo, s50
	s_and_saveexec_b32 s50, s19
	s_cbranch_execnz .LBB36_1102
.LBB36_130:                             ;   in Loop: Header=BB36_3 Depth=1
	s_or_b32 exec_lo, exec_lo, s50
	s_and_saveexec_b32 s50, s20
	s_cbranch_execnz .LBB36_1103
.LBB36_131:                             ;   in Loop: Header=BB36_3 Depth=1
	s_or_b32 exec_lo, exec_lo, s50
	s_and_saveexec_b32 s50, s21
	s_cbranch_execnz .LBB36_1104
.LBB36_132:                             ;   in Loop: Header=BB36_3 Depth=1
	s_or_b32 exec_lo, exec_lo, s50
	s_and_saveexec_b32 s50, s22
	s_cbranch_execnz .LBB36_1105
.LBB36_133:                             ;   in Loop: Header=BB36_3 Depth=1
	s_or_b32 exec_lo, exec_lo, s50
	s_and_saveexec_b32 s50, s2
	s_cbranch_execnz .LBB36_1106
.LBB36_134:                             ;   in Loop: Header=BB36_3 Depth=1
	s_or_b32 exec_lo, exec_lo, s50
	s_and_saveexec_b32 s50, s17
	s_cbranch_execz .LBB36_136
.LBB36_135:                             ;   in Loop: Header=BB36_3 Depth=1
	ds_load_b64 v[36:37], v59 offset:3648
	ds_load_b64 v[38:39], v5 offset:56
	s_wait_dscnt 0x0
	v_fmac_f64_e32 v[34:35], v[36:37], v[38:39]
.LBB36_136:                             ;   in Loop: Header=BB36_3 Depth=1
	s_or_b32 exec_lo, exec_lo, s50
	s_delay_alu instid0(VALU_DEP_1)
	v_xor_b32_e32 v35, 0x80000000, v35
.LBB36_137:                             ;   in Loop: Header=BB36_3 Depth=1
	s_or_b32 exec_lo, exec_lo, s65
	s_and_saveexec_b32 s50, s104
	s_cbranch_execz .LBB36_139
; %bb.138:                              ;   in Loop: Header=BB36_3 Depth=1
	ds_load_b64 v[36:37], v5 offset:4160
	s_wait_dscnt 0x0
	v_mul_f64_e32 v[34:35], v[34:35], v[36:37]
	ds_store_b64 v56, v[34:35]
.LBB36_139:                             ;   in Loop: Header=BB36_3 Depth=1
	s_or_b32 exec_lo, exec_lo, s50
	s_wait_dscnt 0x0
	s_barrier_signal -1
	s_barrier_wait -1
	s_and_saveexec_b32 s50, vcc_hi
	s_cbranch_execz .LBB36_141
; %bb.140:                              ;   in Loop: Header=BB36_3 Depth=1
	ds_load_b64 v[36:37], v54 offset:4160
	ds_load_b64 v[38:39], v56
	s_wait_dscnt 0x0
	v_fmac_f64_e32 v[34:35], v[36:37], v[38:39]
.LBB36_141:                             ;   in Loop: Header=BB36_3 Depth=1
	s_or_b32 exec_lo, exec_lo, s50
	s_barrier_signal -1
	s_barrier_wait -1
	s_and_saveexec_b32 s50, s36
	s_cbranch_execz .LBB36_143
; %bb.142:                              ;   in Loop: Header=BB36_3 Depth=1
	ds_load_b64 v[36:37], v5 offset:4680
	s_wait_dscnt 0x0
	v_mul_f64_e32 v[34:35], v[34:35], v[36:37]
	ds_store_b64 v56, v[34:35]
.LBB36_143:                             ;   in Loop: Header=BB36_3 Depth=1
	s_or_b32 exec_lo, exec_lo, s50
	s_wait_dscnt 0x0
	s_barrier_signal -1
	s_barrier_wait -1
	s_and_saveexec_b32 s50, s37
	s_cbranch_execz .LBB36_145
; %bb.144:                              ;   in Loop: Header=BB36_3 Depth=1
	ds_load_b64 v[36:37], v54 offset:4672
	ds_load_b64 v[38:39], v56
	s_wait_dscnt 0x0
	v_fmac_f64_e32 v[34:35], v[36:37], v[38:39]
.LBB36_145:                             ;   in Loop: Header=BB36_3 Depth=1
	s_or_b32 exec_lo, exec_lo, s50
	s_barrier_signal -1
	s_barrier_wait -1
	s_and_saveexec_b32 s50, s38
	s_cbranch_execz .LBB36_147
; %bb.146:                              ;   in Loop: Header=BB36_3 Depth=1
	ds_load_b64 v[36:37], v5 offset:5200
	s_wait_dscnt 0x0
	v_mul_f64_e32 v[34:35], v[34:35], v[36:37]
	ds_store_b64 v56, v[34:35]
.LBB36_147:                             ;   in Loop: Header=BB36_3 Depth=1
	s_or_b32 exec_lo, exec_lo, s50
	s_wait_dscnt 0x0
	s_barrier_signal -1
	s_barrier_wait -1
	s_and_saveexec_b32 s50, s39
	s_cbranch_execz .LBB36_149
; %bb.148:                              ;   in Loop: Header=BB36_3 Depth=1
	ds_load_b64 v[36:37], v54 offset:5184
	ds_load_b64 v[38:39], v56
	s_wait_dscnt 0x0
	v_fmac_f64_e32 v[34:35], v[36:37], v[38:39]
.LBB36_149:                             ;   in Loop: Header=BB36_3 Depth=1
	s_or_b32 exec_lo, exec_lo, s50
	s_barrier_signal -1
	s_barrier_wait -1
	s_and_saveexec_b32 s50, s40
	s_cbranch_execz .LBB36_151
; %bb.150:                              ;   in Loop: Header=BB36_3 Depth=1
	ds_load_b64 v[36:37], v5 offset:5720
	s_wait_dscnt 0x0
	v_mul_f64_e32 v[34:35], v[34:35], v[36:37]
	ds_store_b64 v56, v[34:35]
.LBB36_151:                             ;   in Loop: Header=BB36_3 Depth=1
	s_or_b32 exec_lo, exec_lo, s50
	s_wait_dscnt 0x0
	s_barrier_signal -1
	s_barrier_wait -1
	s_and_saveexec_b32 s50, s41
	s_cbranch_execz .LBB36_153
; %bb.152:                              ;   in Loop: Header=BB36_3 Depth=1
	ds_load_b64 v[36:37], v54 offset:5696
	ds_load_b64 v[38:39], v56
	s_wait_dscnt 0x0
	v_fmac_f64_e32 v[34:35], v[36:37], v[38:39]
.LBB36_153:                             ;   in Loop: Header=BB36_3 Depth=1
	s_or_b32 exec_lo, exec_lo, s50
	s_barrier_signal -1
	s_barrier_wait -1
	s_and_saveexec_b32 s50, s42
	s_cbranch_execz .LBB36_155
; %bb.154:                              ;   in Loop: Header=BB36_3 Depth=1
	ds_load_b64 v[36:37], v5 offset:6240
	s_wait_dscnt 0x0
	v_mul_f64_e32 v[34:35], v[34:35], v[36:37]
	ds_store_b64 v56, v[34:35]
.LBB36_155:                             ;   in Loop: Header=BB36_3 Depth=1
	s_or_b32 exec_lo, exec_lo, s50
	s_wait_dscnt 0x0
	s_barrier_signal -1
	s_barrier_wait -1
	s_and_saveexec_b32 s50, s43
	s_cbranch_execz .LBB36_157
; %bb.156:                              ;   in Loop: Header=BB36_3 Depth=1
	ds_load_b64 v[36:37], v54 offset:6208
	ds_load_b64 v[38:39], v56
	s_wait_dscnt 0x0
	v_fmac_f64_e32 v[34:35], v[36:37], v[38:39]
.LBB36_157:                             ;   in Loop: Header=BB36_3 Depth=1
	s_or_b32 exec_lo, exec_lo, s50
	s_barrier_signal -1
	s_barrier_wait -1
	s_and_saveexec_b32 s50, s44
	s_cbranch_execz .LBB36_159
; %bb.158:                              ;   in Loop: Header=BB36_3 Depth=1
	ds_load_b64 v[36:37], v5 offset:6760
	s_wait_dscnt 0x0
	v_mul_f64_e32 v[34:35], v[34:35], v[36:37]
	ds_store_b64 v56, v[34:35]
.LBB36_159:                             ;   in Loop: Header=BB36_3 Depth=1
	s_or_b32 exec_lo, exec_lo, s50
	s_wait_dscnt 0x0
	s_barrier_signal -1
	s_barrier_wait -1
	s_and_saveexec_b32 s50, s45
	s_cbranch_execz .LBB36_161
; %bb.160:                              ;   in Loop: Header=BB36_3 Depth=1
	ds_load_b64 v[36:37], v54 offset:6720
	ds_load_b64 v[38:39], v56
	s_wait_dscnt 0x0
	v_fmac_f64_e32 v[34:35], v[36:37], v[38:39]
.LBB36_161:                             ;   in Loop: Header=BB36_3 Depth=1
	s_or_b32 exec_lo, exec_lo, s50
	s_barrier_signal -1
	s_barrier_wait -1
	s_and_saveexec_b32 s50, s46
	s_cbranch_execz .LBB36_163
; %bb.162:                              ;   in Loop: Header=BB36_3 Depth=1
	ds_load_b64 v[36:37], v5 offset:7280
	s_wait_dscnt 0x0
	v_mul_f64_e32 v[34:35], v[34:35], v[36:37]
	ds_store_b64 v56, v[34:35]
.LBB36_163:                             ;   in Loop: Header=BB36_3 Depth=1
	s_or_b32 exec_lo, exec_lo, s50
	s_wait_dscnt 0x0
	s_barrier_signal -1
	s_barrier_wait -1
	s_and_saveexec_b32 s50, s47
	s_cbranch_execz .LBB36_165
; %bb.164:                              ;   in Loop: Header=BB36_3 Depth=1
	ds_load_b64 v[36:37], v5 offset:7288
	ds_load_b64 v[38:39], v56
	s_wait_dscnt 0x0
	v_fmac_f64_e32 v[34:35], v[36:37], v[38:39]
.LBB36_165:                             ;   in Loop: Header=BB36_3 Depth=1
	s_or_b32 exec_lo, exec_lo, s50
	s_barrier_signal -1
	s_barrier_wait -1
	s_and_saveexec_b32 s50, s47
	s_cbranch_execz .LBB36_167
; %bb.166:                              ;   in Loop: Header=BB36_3 Depth=1
	ds_load_b64 v[36:37], v5 offset:7800
	s_wait_dscnt 0x0
	v_mul_f64_e32 v[34:35], v[34:35], v[36:37]
	ds_store_b64 v56, v[34:35]
.LBB36_167:                             ;   in Loop: Header=BB36_3 Depth=1
	s_or_b32 exec_lo, exec_lo, s50
	s_wait_dscnt 0x0
	s_barrier_signal -1
	s_barrier_wait -1
	s_barrier_signal -1
	s_barrier_wait -1
	s_and_saveexec_b32 s50, s3
; %bb.168:                              ;   in Loop: Header=BB36_3 Depth=1
	s_delay_alu instid0(VALU_DEP_1)
	v_xor_b32_e32 v35, 0x80000000, v35
	ds_store_b64 v57, v[34:35] offset:64
; %bb.169:                              ;   in Loop: Header=BB36_3 Depth=1
	s_or_b32 exec_lo, exec_lo, s50
	s_wait_dscnt 0x0
	s_barrier_signal -1
	s_barrier_wait -1
	s_barrier_signal -1
	s_barrier_wait -1
	s_and_saveexec_b32 s50, s48
	s_cbranch_execz .LBB36_171
; %bb.170:                              ;   in Loop: Header=BB36_3 Depth=1
	ds_load_b64 v[34:35], v68 offset:64
	s_wait_dscnt 0x0
	ds_store_b64 v69, v[34:35] offset:4096
	ds_load_b64 v[34:35], v68 offset:72
	s_wait_dscnt 0x0
	ds_store_b64 v69, v[34:35] offset:4608
	;; [unrolled: 3-line block ×8, first 2 shown]
.LBB36_171:                             ;   in Loop: Header=BB36_3 Depth=1
	s_or_b32 exec_lo, exec_lo, s50
	s_wait_dscnt 0x0
	s_barrier_signal -1
	s_barrier_wait -1
	s_and_saveexec_b32 s50, s14
	s_cbranch_execz .LBB36_173
; %bb.172:                              ;   in Loop: Header=BB36_3 Depth=1
	ds_load_b128 v[34:37], v5 offset:4160
	ds_load_b64 v[38:39], v5 offset:4680
	s_wait_dscnt 0x0
	v_mul_f64_e32 v[34:35], v[34:35], v[38:39]
	s_delay_alu instid0(VALU_DEP_1)
	v_mul_f64_e32 v[34:35], v[36:37], v[34:35]
	v_add_nc_u32_e64 v36, 0x1000, 0
	ds_store_2addr_b64 v36, v[34:35], v[34:35] offset0:9 offset1:72
.LBB36_173:                             ;   in Loop: Header=BB36_3 Depth=1
	s_or_b32 exec_lo, exec_lo, s50
	v_mov_b64_e32 v[34:35], 0
	s_wait_dscnt 0x0
	s_barrier_signal -1
	s_barrier_wait -1
	s_and_saveexec_b32 s50, s0
	s_cbranch_execz .LBB36_177
; %bb.174:                              ;   in Loop: Header=BB36_3 Depth=1
	ds_load_b64 v[34:35], v41 offset:4176
	ds_load_b64 v[36:37], v42 offset:4160
	s_wait_dscnt 0x0
	v_fma_f64 v[34:35], v[34:35], v[36:37], 0
	s_and_saveexec_b32 s51, s15
	s_cbranch_execz .LBB36_176
; %bb.175:                              ;   in Loop: Header=BB36_3 Depth=1
	ds_load_b64 v[36:37], v69 offset:4688
	ds_load_b64 v[38:39], v5 offset:4168
	s_wait_dscnt 0x0
	v_fmac_f64_e32 v[34:35], v[36:37], v[38:39]
.LBB36_176:                             ;   in Loop: Header=BB36_3 Depth=1
	s_or_b32 exec_lo, exec_lo, s51
	s_delay_alu instid0(VALU_DEP_1)
	v_xor_b32_e32 v35, 0x80000000, v35
.LBB36_177:                             ;   in Loop: Header=BB36_3 Depth=1
	s_or_b32 exec_lo, exec_lo, s50
	s_and_saveexec_b32 s50, s94
	s_cbranch_execz .LBB36_179
; %bb.178:                              ;   in Loop: Header=BB36_3 Depth=1
	ds_load_b64 v[36:37], v5 offset:5200
	s_wait_dscnt 0x0
	v_mul_f64_e32 v[34:35], v[34:35], v[36:37]
	ds_store_b64 v3, v[34:35]
.LBB36_179:                             ;   in Loop: Header=BB36_3 Depth=1
	s_or_b32 exec_lo, exec_lo, s50
	s_wait_dscnt 0x0
	s_barrier_signal -1
	s_barrier_wait -1
	s_and_saveexec_b32 s50, s95
	s_cbranch_execz .LBB36_181
; %bb.180:                              ;   in Loop: Header=BB36_3 Depth=1
	ds_load_b64 v[36:37], v5 offset:5208
	ds_load_b64 v[38:39], v3
	s_wait_dscnt 0x0
	v_fmac_f64_e32 v[34:35], v[36:37], v[38:39]
.LBB36_181:                             ;   in Loop: Header=BB36_3 Depth=1
	s_or_b32 exec_lo, exec_lo, s50
	s_barrier_signal -1
	s_barrier_wait -1
	s_and_saveexec_b32 s50, s95
	s_cbranch_execz .LBB36_183
; %bb.182:                              ;   in Loop: Header=BB36_3 Depth=1
	ds_load_b64 v[36:37], v5 offset:5720
	s_wait_dscnt 0x0
	v_mul_f64_e32 v[34:35], v[34:35], v[36:37]
	ds_store_b64 v3, v[34:35]
.LBB36_183:                             ;   in Loop: Header=BB36_3 Depth=1
	s_or_b32 exec_lo, exec_lo, s50
	s_wait_dscnt 0x0
	s_barrier_signal -1
	s_barrier_wait -1
	s_barrier_signal -1
	s_barrier_wait -1
	s_and_saveexec_b32 s50, s0
; %bb.184:                              ;   in Loop: Header=BB36_3 Depth=1
	s_delay_alu instid0(VALU_DEP_1)
	v_xor_b32_e32 v35, 0x80000000, v35
	ds_store_b64 v41, v[34:35] offset:4176
; %bb.185:                              ;   in Loop: Header=BB36_3 Depth=1
	s_or_b32 exec_lo, exec_lo, s50
	s_wait_dscnt 0x0
	s_barrier_signal -1
	s_barrier_wait -1
	s_barrier_signal -1
	s_barrier_wait -1
	s_and_saveexec_b32 s50, s96
	s_cbranch_execz .LBB36_187
; %bb.186:                              ;   in Loop: Header=BB36_3 Depth=1
	ds_load_b64 v[34:35], v70 offset:4176
	s_wait_dscnt 0x0
	ds_store_b64 v69, v[34:35] offset:5184
	ds_load_b64 v[34:35], v70 offset:4184
	s_wait_dscnt 0x0
	ds_store_b64 v69, v[34:35] offset:5696
.LBB36_187:                             ;   in Loop: Header=BB36_3 Depth=1
	s_or_b32 exec_lo, exec_lo, s50
	s_wait_dscnt 0x0
	s_barrier_signal -1
	s_barrier_wait -1
	s_and_saveexec_b32 s50, s14
	s_cbranch_execz .LBB36_189
; %bb.188:                              ;   in Loop: Header=BB36_3 Depth=1
	ds_load_b128 v[34:37], v5 offset:5200
	ds_load_b64 v[38:39], v5 offset:5720
	s_wait_dscnt 0x0
	v_mul_f64_e32 v[34:35], v[34:35], v[38:39]
	s_delay_alu instid0(VALU_DEP_1)
	v_mul_f64_e32 v[34:35], v[36:37], v[34:35]
	v_add_nc_u32_e64 v36, 0x1000, 0
	ds_store_2addr_b64 v36, v[34:35], v[34:35] offset0:139 offset1:202
.LBB36_189:                             ;   in Loop: Header=BB36_3 Depth=1
	s_or_b32 exec_lo, exec_lo, s50
	v_mov_b64_e32 v[34:35], 0
	s_wait_dscnt 0x0
	s_barrier_signal -1
	s_barrier_wait -1
	s_and_saveexec_b32 s65, s2
	s_cbranch_execz .LBB36_195
; %bb.190:                              ;   in Loop: Header=BB36_3 Depth=1
	ds_load_b64 v[34:35], v48 offset:4192
	ds_load_b64 v[36:37], v44 offset:4160
	s_wait_dscnt 0x0
	v_fma_f64 v[34:35], v[34:35], v[36:37], 0
	s_and_saveexec_b32 s50, s16
	s_cbranch_execnz .LBB36_1107
; %bb.191:                              ;   in Loop: Header=BB36_3 Depth=1
	s_or_b32 exec_lo, exec_lo, s50
	s_and_saveexec_b32 s50, s17
	s_cbranch_execnz .LBB36_1108
.LBB36_192:                             ;   in Loop: Header=BB36_3 Depth=1
	s_or_b32 exec_lo, exec_lo, s50
	s_and_saveexec_b32 s50, s0
	s_cbranch_execz .LBB36_194
.LBB36_193:                             ;   in Loop: Header=BB36_3 Depth=1
	ds_load_b64 v[36:37], v71 offset:5728
	ds_load_b64 v[38:39], v5 offset:4184
	s_wait_dscnt 0x0
	v_fmac_f64_e32 v[34:35], v[36:37], v[38:39]
.LBB36_194:                             ;   in Loop: Header=BB36_3 Depth=1
	s_or_b32 exec_lo, exec_lo, s50
	s_delay_alu instid0(VALU_DEP_1)
	v_xor_b32_e32 v35, 0x80000000, v35
.LBB36_195:                             ;   in Loop: Header=BB36_3 Depth=1
	s_or_b32 exec_lo, exec_lo, s65
	s_and_saveexec_b32 s50, s97
	s_cbranch_execz .LBB36_197
; %bb.196:                              ;   in Loop: Header=BB36_3 Depth=1
	ds_load_b64 v[36:37], v5 offset:6240
	s_wait_dscnt 0x0
	v_mul_f64_e32 v[34:35], v[34:35], v[36:37]
	ds_store_b64 v47, v[34:35]
.LBB36_197:                             ;   in Loop: Header=BB36_3 Depth=1
	s_or_b32 exec_lo, exec_lo, s50
	s_wait_dscnt 0x0
	s_barrier_signal -1
	s_barrier_wait -1
	s_and_saveexec_b32 s50, s98
	s_cbranch_execz .LBB36_199
; %bb.198:                              ;   in Loop: Header=BB36_3 Depth=1
	ds_load_b64 v[36:37], v45 offset:6240
	ds_load_b64 v[38:39], v47
	s_wait_dscnt 0x0
	v_fmac_f64_e32 v[34:35], v[36:37], v[38:39]
.LBB36_199:                             ;   in Loop: Header=BB36_3 Depth=1
	s_or_b32 exec_lo, exec_lo, s50
	s_barrier_signal -1
	s_barrier_wait -1
	s_and_saveexec_b32 s50, s99
	s_cbranch_execz .LBB36_201
; %bb.200:                              ;   in Loop: Header=BB36_3 Depth=1
	ds_load_b64 v[36:37], v5 offset:6760
	s_wait_dscnt 0x0
	v_mul_f64_e32 v[34:35], v[34:35], v[36:37]
	ds_store_b64 v47, v[34:35]
.LBB36_201:                             ;   in Loop: Header=BB36_3 Depth=1
	s_or_b32 exec_lo, exec_lo, s50
	s_wait_dscnt 0x0
	s_barrier_signal -1
	s_barrier_wait -1
	s_and_saveexec_b32 s50, s100
	s_cbranch_execz .LBB36_203
; %bb.202:                              ;   in Loop: Header=BB36_3 Depth=1
	ds_load_b64 v[36:37], v45 offset:6752
	ds_load_b64 v[38:39], v47
	s_wait_dscnt 0x0
	v_fmac_f64_e32 v[34:35], v[36:37], v[38:39]
.LBB36_203:                             ;   in Loop: Header=BB36_3 Depth=1
	s_or_b32 exec_lo, exec_lo, s50
	s_barrier_signal -1
	s_barrier_wait -1
	;; [unrolled: 23-line block ×3, first 2 shown]
	s_and_saveexec_b32 s50, s102
	s_cbranch_execz .LBB36_209
; %bb.208:                              ;   in Loop: Header=BB36_3 Depth=1
	ds_load_b64 v[36:37], v5 offset:7800
	s_wait_dscnt 0x0
	v_mul_f64_e32 v[34:35], v[34:35], v[36:37]
	ds_store_b64 v47, v[34:35]
.LBB36_209:                             ;   in Loop: Header=BB36_3 Depth=1
	s_or_b32 exec_lo, exec_lo, s50
	s_wait_dscnt 0x0
	s_barrier_signal -1
	s_barrier_wait -1
	s_barrier_signal -1
	s_barrier_wait -1
	s_and_saveexec_b32 s50, s2
; %bb.210:                              ;   in Loop: Header=BB36_3 Depth=1
	s_delay_alu instid0(VALU_DEP_1)
	v_xor_b32_e32 v35, 0x80000000, v35
	ds_store_b64 v48, v[34:35] offset:4192
; %bb.211:                              ;   in Loop: Header=BB36_3 Depth=1
	s_or_b32 exec_lo, exec_lo, s50
	s_wait_dscnt 0x0
	s_barrier_signal -1
	s_barrier_wait -1
	s_barrier_signal -1
	s_barrier_wait -1
	s_and_saveexec_b32 s50, s103
	s_cbranch_execz .LBB36_213
; %bb.212:                              ;   in Loop: Header=BB36_3 Depth=1
	ds_load_b64 v[34:35], v74 offset:4192
	s_wait_dscnt 0x0
	ds_store_b64 v77, v[34:35] offset:6208
	ds_load_b64 v[34:35], v74 offset:4200
	s_wait_dscnt 0x0
	ds_store_b64 v77, v[34:35] offset:6720
	;; [unrolled: 3-line block ×4, first 2 shown]
.LBB36_213:                             ;   in Loop: Header=BB36_3 Depth=1
	s_or_b32 exec_lo, exec_lo, s50
	s_wait_dscnt 0x0
	s_barrier_signal -1
	s_barrier_wait -1
	s_and_saveexec_b32 s50, s14
	s_cbranch_execz .LBB36_215
; %bb.214:                              ;   in Loop: Header=BB36_3 Depth=1
	ds_load_b128 v[34:37], v5 offset:6240
	ds_load_b64 v[38:39], v5 offset:6760
	s_wait_dscnt 0x0
	v_mul_f64_e32 v[34:35], v[34:35], v[38:39]
	s_delay_alu instid0(VALU_DEP_1)
	v_mul_f64_e32 v[34:35], v[36:37], v[34:35]
	v_add_nc_u32_e64 v36, 0x1800, 0
	ds_store_2addr_b64 v36, v[34:35], v[34:35] offset0:13 offset1:76
.LBB36_215:                             ;   in Loop: Header=BB36_3 Depth=1
	s_or_b32 exec_lo, exec_lo, s50
	v_mov_b64_e32 v[34:35], 0
	s_wait_dscnt 0x0
	s_barrier_signal -1
	s_barrier_wait -1
	s_and_saveexec_b32 s50, s0
	s_cbranch_execz .LBB36_219
; %bb.216:                              ;   in Loop: Header=BB36_3 Depth=1
	ds_load_b64 v[34:35], v41 offset:6256
	ds_load_b64 v[36:37], v42 offset:6240
	s_wait_dscnt 0x0
	v_fma_f64 v[34:35], v[34:35], v[36:37], 0
	s_and_saveexec_b32 s51, s15
	s_cbranch_execz .LBB36_218
; %bb.217:                              ;   in Loop: Header=BB36_3 Depth=1
	ds_load_b64 v[36:37], v77 offset:6768
	ds_load_b64 v[38:39], v5 offset:6248
	s_wait_dscnt 0x0
	v_fmac_f64_e32 v[34:35], v[36:37], v[38:39]
.LBB36_218:                             ;   in Loop: Header=BB36_3 Depth=1
	s_or_b32 exec_lo, exec_lo, s51
	s_delay_alu instid0(VALU_DEP_1)
	v_xor_b32_e32 v35, 0x80000000, v35
.LBB36_219:                             ;   in Loop: Header=BB36_3 Depth=1
	s_or_b32 exec_lo, exec_lo, s50
	s_and_saveexec_b32 s50, s94
	s_cbranch_execz .LBB36_221
; %bb.220:                              ;   in Loop: Header=BB36_3 Depth=1
	ds_load_b64 v[36:37], v5 offset:7280
	s_wait_dscnt 0x0
	v_mul_f64_e32 v[34:35], v[34:35], v[36:37]
	ds_store_b64 v3, v[34:35]
.LBB36_221:                             ;   in Loop: Header=BB36_3 Depth=1
	s_or_b32 exec_lo, exec_lo, s50
	s_wait_dscnt 0x0
	s_barrier_signal -1
	s_barrier_wait -1
	s_and_saveexec_b32 s50, s95
	s_cbranch_execz .LBB36_223
; %bb.222:                              ;   in Loop: Header=BB36_3 Depth=1
	ds_load_b64 v[36:37], v5 offset:7288
	ds_load_b64 v[38:39], v3
	s_wait_dscnt 0x0
	v_fmac_f64_e32 v[34:35], v[36:37], v[38:39]
.LBB36_223:                             ;   in Loop: Header=BB36_3 Depth=1
	s_or_b32 exec_lo, exec_lo, s50
	s_barrier_signal -1
	s_barrier_wait -1
	s_and_saveexec_b32 s50, s95
	s_cbranch_execz .LBB36_225
; %bb.224:                              ;   in Loop: Header=BB36_3 Depth=1
	ds_load_b64 v[36:37], v5 offset:7800
	s_wait_dscnt 0x0
	v_mul_f64_e32 v[34:35], v[34:35], v[36:37]
	ds_store_b64 v3, v[34:35]
.LBB36_225:                             ;   in Loop: Header=BB36_3 Depth=1
	s_or_b32 exec_lo, exec_lo, s50
	s_wait_dscnt 0x0
	s_barrier_signal -1
	s_barrier_wait -1
	s_barrier_signal -1
	s_barrier_wait -1
	s_and_saveexec_b32 s50, s0
; %bb.226:                              ;   in Loop: Header=BB36_3 Depth=1
	s_delay_alu instid0(VALU_DEP_1)
	v_xor_b32_e32 v35, 0x80000000, v35
	ds_store_b64 v41, v[34:35] offset:6256
; %bb.227:                              ;   in Loop: Header=BB36_3 Depth=1
	s_or_b32 exec_lo, exec_lo, s50
	s_wait_dscnt 0x0
	s_barrier_signal -1
	s_barrier_wait -1
	s_barrier_signal -1
	s_barrier_wait -1
	s_and_saveexec_b32 s50, s96
	s_cbranch_execz .LBB36_229
; %bb.228:                              ;   in Loop: Header=BB36_3 Depth=1
	ds_load_b64 v[34:35], v78 offset:6256
	s_wait_dscnt 0x0
	ds_store_b64 v77, v[34:35] offset:7264
	ds_load_b64 v[34:35], v78 offset:6264
	s_wait_dscnt 0x0
	ds_store_b64 v77, v[34:35] offset:7776
.LBB36_229:                             ;   in Loop: Header=BB36_3 Depth=1
	s_or_b32 exec_lo, exec_lo, s50
	s_wait_dscnt 0x0
	s_barrier_signal -1
	s_barrier_wait -1
	s_and_saveexec_b32 s50, s14
	s_cbranch_execz .LBB36_231
; %bb.230:                              ;   in Loop: Header=BB36_3 Depth=1
	ds_load_b128 v[34:37], v5 offset:7280
	ds_load_b64 v[38:39], v5 offset:7800
	s_wait_dscnt 0x0
	v_mul_f64_e32 v[34:35], v[34:35], v[38:39]
	s_delay_alu instid0(VALU_DEP_1)
	v_mul_f64_e32 v[34:35], v[36:37], v[34:35]
	v_add_nc_u32_e64 v36, 0x1800, 0
	ds_store_2addr_b64 v36, v[34:35], v[34:35] offset0:143 offset1:206
.LBB36_231:                             ;   in Loop: Header=BB36_3 Depth=1
	s_or_b32 exec_lo, exec_lo, s50
	v_mov_b64_e32 v[34:35], 0
	s_wait_dscnt 0x0
	s_barrier_signal -1
	s_barrier_wait -1
	s_and_saveexec_b32 s84, s4
	s_cbranch_execz .LBB36_259
; %bb.232:                              ;   in Loop: Header=BB36_3 Depth=1
	ds_load_b64 v[34:35], v63 offset:128
	ds_load_b64 v[36:37], v60
	s_wait_dscnt 0x0
	v_fma_f64 v[34:35], v[34:35], v[36:37], 0
	s_mov_b32 s50, exec_lo
	v_readlane_b32 s51, v98, 29
	s_and_b32 s51, s50, s51
	s_delay_alu instid0(SALU_CYCLE_1)
	s_mov_b32 exec_lo, s51
	s_cbranch_execz .LBB36_234
; %bb.233:                              ;   in Loop: Header=BB36_3 Depth=1
	ds_load_b64 v[36:37], v64 offset:640
	ds_load_b64 v[38:39], v60 offset:8
	s_wait_dscnt 0x0
	v_fmac_f64_e32 v[34:35], v[36:37], v[38:39]
.LBB36_234:                             ;   in Loop: Header=BB36_3 Depth=1
	s_or_b32 exec_lo, exec_lo, s50
	s_delay_alu instid0(SALU_CYCLE_1) | instskip(SKIP_2) | instid1(SALU_CYCLE_1)
	s_mov_b32 s50, exec_lo
	v_readlane_b32 s51, v98, 30
	s_and_b32 s51, s50, s51
	s_mov_b32 exec_lo, s51
	s_cbranch_execz .LBB36_236
; %bb.235:                              ;   in Loop: Header=BB36_3 Depth=1
	ds_load_b64 v[36:37], v64 offset:1152
	ds_load_b64 v[38:39], v60 offset:16
	s_wait_dscnt 0x0
	v_fmac_f64_e32 v[34:35], v[36:37], v[38:39]
.LBB36_236:                             ;   in Loop: Header=BB36_3 Depth=1
	s_or_b32 exec_lo, exec_lo, s50
	s_delay_alu instid0(SALU_CYCLE_1) | instskip(SKIP_2) | instid1(SALU_CYCLE_1)
	s_mov_b32 s50, exec_lo
	v_readlane_b32 s51, v98, 31
	s_and_b32 s51, s50, s51
	;; [unrolled: 13-line block ×10, first 2 shown]
	s_mov_b32 exec_lo, s51
	s_cbranch_execnz .LBB36_1109
; %bb.253:                              ;   in Loop: Header=BB36_3 Depth=1
	s_or_b32 exec_lo, exec_lo, s50
	s_and_saveexec_b32 s50, s3
	s_cbranch_execnz .LBB36_1110
.LBB36_254:                             ;   in Loop: Header=BB36_3 Depth=1
	s_or_b32 exec_lo, exec_lo, s50
	s_and_saveexec_b32 s50, s19
	s_cbranch_execnz .LBB36_1111
.LBB36_255:                             ;   in Loop: Header=BB36_3 Depth=1
	s_or_b32 exec_lo, exec_lo, s50
	s_and_saveexec_b32 s50, s21
	s_cbranch_execnz .LBB36_1112
.LBB36_256:                             ;   in Loop: Header=BB36_3 Depth=1
	s_or_b32 exec_lo, exec_lo, s50
	s_and_saveexec_b32 s50, s2
	s_cbranch_execz .LBB36_258
.LBB36_257:                             ;   in Loop: Header=BB36_3 Depth=1
	ds_load_b64 v[36:37], v43 offset:7808
	ds_load_b64 v[38:39], v5 offset:120
	s_wait_dscnt 0x0
	v_fmac_f64_e32 v[34:35], v[36:37], v[38:39]
.LBB36_258:                             ;   in Loop: Header=BB36_3 Depth=1
	s_or_b32 exec_lo, exec_lo, s50
	s_delay_alu instid0(VALU_DEP_1)
	v_xor_b32_e32 v35, 0x80000000, v35
.LBB36_259:                             ;   in Loop: Header=BB36_3 Depth=1
	s_or_b32 exec_lo, exec_lo, s84
	s_delay_alu instid0(SALU_CYCLE_1) | instskip(SKIP_2) | instid1(SALU_CYCLE_1)
	s_mov_b32 s50, exec_lo
	v_readlane_b32 s51, v98, 6
	s_and_b32 s51, s50, s51
	s_mov_b32 exec_lo, s51
	s_cbranch_execz .LBB36_261
; %bb.260:                              ;   in Loop: Header=BB36_3 Depth=1
	ds_load_b64 v[36:37], v5 offset:8320
	s_wait_dscnt 0x0
	v_mul_f64_e32 v[34:35], v[34:35], v[36:37]
	ds_store_b64 v62, v[34:35]
.LBB36_261:                             ;   in Loop: Header=BB36_3 Depth=1
	s_or_b32 exec_lo, exec_lo, s50
	s_wait_dscnt 0x0
	s_barrier_signal -1
	s_barrier_wait -1
	s_mov_b32 s50, exec_lo
	v_readlane_b32 s51, v98, 7
	s_and_b32 s51, s50, s51
	s_delay_alu instid0(SALU_CYCLE_1)
	s_mov_b32 exec_lo, s51
	s_cbranch_execz .LBB36_263
; %bb.262:                              ;   in Loop: Header=BB36_3 Depth=1
	ds_load_b64 v[36:37], v61 offset:8320
	ds_load_b64 v[38:39], v62
	s_wait_dscnt 0x0
	v_fmac_f64_e32 v[34:35], v[36:37], v[38:39]
.LBB36_263:                             ;   in Loop: Header=BB36_3 Depth=1
	s_or_b32 exec_lo, exec_lo, s50
	s_barrier_signal -1
	s_barrier_wait -1
	s_mov_b32 s50, exec_lo
	v_readlane_b32 s51, v98, 8
	s_and_b32 s51, s50, s51
	s_delay_alu instid0(SALU_CYCLE_1)
	s_mov_b32 exec_lo, s51
	s_cbranch_execz .LBB36_265
; %bb.264:                              ;   in Loop: Header=BB36_3 Depth=1
	ds_load_b64 v[36:37], v5 offset:8840
	s_wait_dscnt 0x0
	v_mul_f64_e32 v[34:35], v[34:35], v[36:37]
	ds_store_b64 v62, v[34:35]
.LBB36_265:                             ;   in Loop: Header=BB36_3 Depth=1
	s_or_b32 exec_lo, exec_lo, s50
	s_wait_dscnt 0x0
	s_barrier_signal -1
	s_barrier_wait -1
	s_mov_b32 s50, exec_lo
	v_readlane_b32 s51, v98, 9
	s_and_b32 s51, s50, s51
	s_delay_alu instid0(SALU_CYCLE_1)
	s_mov_b32 exec_lo, s51
	s_cbranch_execz .LBB36_267
; %bb.266:                              ;   in Loop: Header=BB36_3 Depth=1
	ds_load_b64 v[36:37], v61 offset:8832
	ds_load_b64 v[38:39], v62
	s_wait_dscnt 0x0
	v_fmac_f64_e32 v[34:35], v[36:37], v[38:39]
.LBB36_267:                             ;   in Loop: Header=BB36_3 Depth=1
	s_or_b32 exec_lo, exec_lo, s50
	s_barrier_signal -1
	s_barrier_wait -1
	s_mov_b32 s50, exec_lo
	v_readlane_b32 s51, v98, 10
	s_and_b32 s51, s50, s51
	s_delay_alu instid0(SALU_CYCLE_1)
	s_mov_b32 exec_lo, s51
	s_cbranch_execz .LBB36_269
; %bb.268:                              ;   in Loop: Header=BB36_3 Depth=1
	ds_load_b64 v[36:37], v5 offset:9360
	s_wait_dscnt 0x0
	v_mul_f64_e32 v[34:35], v[34:35], v[36:37]
	ds_store_b64 v62, v[34:35]
.LBB36_269:                             ;   in Loop: Header=BB36_3 Depth=1
	s_or_b32 exec_lo, exec_lo, s50
	s_wait_dscnt 0x0
	s_barrier_signal -1
	s_barrier_wait -1
	s_and_saveexec_b32 s50, s54
	s_cbranch_execz .LBB36_271
; %bb.270:                              ;   in Loop: Header=BB36_3 Depth=1
	ds_load_b64 v[36:37], v61 offset:9344
	ds_load_b64 v[38:39], v62
	s_wait_dscnt 0x0
	v_fmac_f64_e32 v[34:35], v[36:37], v[38:39]
.LBB36_271:                             ;   in Loop: Header=BB36_3 Depth=1
	s_or_b32 exec_lo, exec_lo, s50
	s_barrier_signal -1
	s_barrier_wait -1
	s_and_saveexec_b32 s50, s55
	s_cbranch_execz .LBB36_273
; %bb.272:                              ;   in Loop: Header=BB36_3 Depth=1
	ds_load_b64 v[36:37], v5 offset:9880
	s_wait_dscnt 0x0
	v_mul_f64_e32 v[34:35], v[34:35], v[36:37]
	ds_store_b64 v62, v[34:35]
.LBB36_273:                             ;   in Loop: Header=BB36_3 Depth=1
	s_or_b32 exec_lo, exec_lo, s50
	s_wait_dscnt 0x0
	s_barrier_signal -1
	s_barrier_wait -1
	s_and_saveexec_b32 s50, s56
	s_cbranch_execz .LBB36_275
; %bb.274:                              ;   in Loop: Header=BB36_3 Depth=1
	ds_load_b64 v[36:37], v61 offset:9856
	ds_load_b64 v[38:39], v62
	s_wait_dscnt 0x0
	v_fmac_f64_e32 v[34:35], v[36:37], v[38:39]
.LBB36_275:                             ;   in Loop: Header=BB36_3 Depth=1
	s_or_b32 exec_lo, exec_lo, s50
	s_barrier_signal -1
	s_barrier_wait -1
	s_and_saveexec_b32 s50, s57
	;; [unrolled: 23-line block ×13, first 2 shown]
	s_cbranch_execz .LBB36_321
; %bb.320:                              ;   in Loop: Header=BB36_3 Depth=1
	ds_load_b64 v[36:37], v5 offset:16120
	s_wait_dscnt 0x0
	v_mul_f64_e32 v[34:35], v[34:35], v[36:37]
	ds_store_b64 v62, v[34:35]
.LBB36_321:                             ;   in Loop: Header=BB36_3 Depth=1
	s_or_b32 exec_lo, exec_lo, s50
	s_wait_dscnt 0x0
	s_barrier_signal -1
	s_barrier_wait -1
	s_barrier_signal -1
	s_barrier_wait -1
	s_and_saveexec_b32 s50, s4
; %bb.322:                              ;   in Loop: Header=BB36_3 Depth=1
	s_delay_alu instid0(VALU_DEP_1)
	v_xor_b32_e32 v35, 0x80000000, v35
	ds_store_b64 v63, v[34:35] offset:128
; %bb.323:                              ;   in Loop: Header=BB36_3 Depth=1
	s_or_b32 exec_lo, exec_lo, s50
	s_wait_dscnt 0x0
	s_barrier_signal -1
	s_barrier_wait -1
	s_barrier_signal -1
	s_barrier_wait -1
	s_and_saveexec_b32 s50, s73
	s_cbranch_execz .LBB36_325
; %bb.324:                              ;   in Loop: Header=BB36_3 Depth=1
	ds_load_b64 v[34:35], v46 offset:128
	s_wait_dscnt 0x0
	ds_store_b64 v50, v[34:35] offset:8192
	ds_load_b64 v[34:35], v46 offset:136
	s_wait_dscnt 0x0
	ds_store_b64 v50, v[34:35] offset:8704
	;; [unrolled: 3-line block ×16, first 2 shown]
.LBB36_325:                             ;   in Loop: Header=BB36_3 Depth=1
	s_or_b32 exec_lo, exec_lo, s50
	s_wait_dscnt 0x0
	s_barrier_signal -1
	s_barrier_wait -1
	s_and_saveexec_b32 s50, s14
	s_cbranch_execz .LBB36_327
; %bb.326:                              ;   in Loop: Header=BB36_3 Depth=1
	ds_load_b128 v[34:37], v5 offset:8320
	ds_load_b64 v[38:39], v5 offset:8840
	s_wait_dscnt 0x0
	v_mul_f64_e32 v[34:35], v[34:35], v[38:39]
	s_delay_alu instid0(VALU_DEP_1)
	v_mul_f64_e32 v[34:35], v[36:37], v[34:35]
	v_add_nc_u32_e64 v36, 0x2000, 0
	ds_store_2addr_b64 v36, v[34:35], v[34:35] offset0:17 offset1:80
.LBB36_327:                             ;   in Loop: Header=BB36_3 Depth=1
	s_or_b32 exec_lo, exec_lo, s50
	v_mov_b64_e32 v[34:35], 0
	s_wait_dscnt 0x0
	s_barrier_signal -1
	s_barrier_wait -1
	s_and_saveexec_b32 s50, s0
	s_cbranch_execz .LBB36_331
; %bb.328:                              ;   in Loop: Header=BB36_3 Depth=1
	ds_load_b64 v[34:35], v41 offset:8336
	ds_load_b64 v[36:37], v42 offset:8320
	s_wait_dscnt 0x0
	v_fma_f64 v[34:35], v[34:35], v[36:37], 0
	s_and_saveexec_b32 s51, s15
	s_cbranch_execz .LBB36_330
; %bb.329:                              ;   in Loop: Header=BB36_3 Depth=1
	ds_load_b64 v[36:37], v43 offset:8848
	ds_load_b64 v[38:39], v5 offset:8328
	s_wait_dscnt 0x0
	v_fmac_f64_e32 v[34:35], v[36:37], v[38:39]
.LBB36_330:                             ;   in Loop: Header=BB36_3 Depth=1
	s_or_b32 exec_lo, exec_lo, s51
	s_delay_alu instid0(VALU_DEP_1)
	v_xor_b32_e32 v35, 0x80000000, v35
.LBB36_331:                             ;   in Loop: Header=BB36_3 Depth=1
	s_or_b32 exec_lo, exec_lo, s50
	s_and_saveexec_b32 s50, s94
	s_cbranch_execz .LBB36_333
; %bb.332:                              ;   in Loop: Header=BB36_3 Depth=1
	ds_load_b64 v[36:37], v5 offset:9360
	s_wait_dscnt 0x0
	v_mul_f64_e32 v[34:35], v[34:35], v[36:37]
	ds_store_b64 v3, v[34:35]
.LBB36_333:                             ;   in Loop: Header=BB36_3 Depth=1
	s_or_b32 exec_lo, exec_lo, s50
	s_wait_dscnt 0x0
	s_barrier_signal -1
	s_barrier_wait -1
	s_and_saveexec_b32 s50, s95
	s_cbranch_execz .LBB36_335
; %bb.334:                              ;   in Loop: Header=BB36_3 Depth=1
	ds_load_b64 v[36:37], v5 offset:9368
	ds_load_b64 v[38:39], v3
	s_wait_dscnt 0x0
	v_fmac_f64_e32 v[34:35], v[36:37], v[38:39]
.LBB36_335:                             ;   in Loop: Header=BB36_3 Depth=1
	s_or_b32 exec_lo, exec_lo, s50
	s_barrier_signal -1
	s_barrier_wait -1
	s_and_saveexec_b32 s50, s95
	s_cbranch_execz .LBB36_337
; %bb.336:                              ;   in Loop: Header=BB36_3 Depth=1
	ds_load_b64 v[36:37], v5 offset:9880
	s_wait_dscnt 0x0
	v_mul_f64_e32 v[34:35], v[34:35], v[36:37]
	ds_store_b64 v3, v[34:35]
.LBB36_337:                             ;   in Loop: Header=BB36_3 Depth=1
	s_or_b32 exec_lo, exec_lo, s50
	s_wait_dscnt 0x0
	s_barrier_signal -1
	s_barrier_wait -1
	s_barrier_signal -1
	s_barrier_wait -1
	s_and_saveexec_b32 s50, s0
; %bb.338:                              ;   in Loop: Header=BB36_3 Depth=1
	s_delay_alu instid0(VALU_DEP_1)
	v_xor_b32_e32 v35, 0x80000000, v35
	ds_store_b64 v41, v[34:35] offset:8336
; %bb.339:                              ;   in Loop: Header=BB36_3 Depth=1
	s_or_b32 exec_lo, exec_lo, s50
	s_wait_dscnt 0x0
	s_barrier_signal -1
	s_barrier_wait -1
	s_barrier_signal -1
	s_barrier_wait -1
	s_and_saveexec_b32 s50, s96
	s_cbranch_execz .LBB36_341
; %bb.340:                              ;   in Loop: Header=BB36_3 Depth=1
	ds_load_b64 v[34:35], v46 offset:8336
	s_wait_dscnt 0x0
	ds_store_b64 v43, v[34:35] offset:9344
	ds_load_b64 v[34:35], v46 offset:8344
	s_wait_dscnt 0x0
	ds_store_b64 v43, v[34:35] offset:9856
.LBB36_341:                             ;   in Loop: Header=BB36_3 Depth=1
	s_or_b32 exec_lo, exec_lo, s50
	s_wait_dscnt 0x0
	s_barrier_signal -1
	s_barrier_wait -1
	s_and_saveexec_b32 s50, s14
	s_cbranch_execz .LBB36_343
; %bb.342:                              ;   in Loop: Header=BB36_3 Depth=1
	ds_load_b128 v[34:37], v5 offset:9360
	ds_load_b64 v[38:39], v5 offset:9880
	s_wait_dscnt 0x0
	v_mul_f64_e32 v[34:35], v[34:35], v[38:39]
	s_delay_alu instid0(VALU_DEP_1)
	v_mul_f64_e32 v[34:35], v[36:37], v[34:35]
	v_add_nc_u32_e64 v36, 0x2000, 0
	ds_store_2addr_b64 v36, v[34:35], v[34:35] offset0:147 offset1:210
.LBB36_343:                             ;   in Loop: Header=BB36_3 Depth=1
	s_or_b32 exec_lo, exec_lo, s50
	v_mov_b64_e32 v[34:35], 0
	s_wait_dscnt 0x0
	s_barrier_signal -1
	s_barrier_wait -1
	s_and_saveexec_b32 s65, s2
	s_cbranch_execz .LBB36_349
; %bb.344:                              ;   in Loop: Header=BB36_3 Depth=1
	ds_load_b64 v[34:35], v48 offset:8352
	ds_load_b64 v[36:37], v44 offset:8320
	s_wait_dscnt 0x0
	v_fma_f64 v[34:35], v[34:35], v[36:37], 0
	s_and_saveexec_b32 s50, s16
	s_cbranch_execnz .LBB36_1113
; %bb.345:                              ;   in Loop: Header=BB36_3 Depth=1
	s_or_b32 exec_lo, exec_lo, s50
	s_and_saveexec_b32 s50, s17
	s_cbranch_execnz .LBB36_1114
.LBB36_346:                             ;   in Loop: Header=BB36_3 Depth=1
	s_or_b32 exec_lo, exec_lo, s50
	s_and_saveexec_b32 s50, s0
	s_cbranch_execz .LBB36_348
.LBB36_347:                             ;   in Loop: Header=BB36_3 Depth=1
	ds_load_b64 v[36:37], v50 offset:9888
	ds_load_b64 v[38:39], v5 offset:8344
	s_wait_dscnt 0x0
	v_fmac_f64_e32 v[34:35], v[36:37], v[38:39]
.LBB36_348:                             ;   in Loop: Header=BB36_3 Depth=1
	s_or_b32 exec_lo, exec_lo, s50
	s_delay_alu instid0(VALU_DEP_1)
	v_xor_b32_e32 v35, 0x80000000, v35
.LBB36_349:                             ;   in Loop: Header=BB36_3 Depth=1
	s_or_b32 exec_lo, exec_lo, s65
	s_and_saveexec_b32 s50, s97
	s_cbranch_execz .LBB36_351
; %bb.350:                              ;   in Loop: Header=BB36_3 Depth=1
	ds_load_b64 v[36:37], v5 offset:10400
	s_wait_dscnt 0x0
	v_mul_f64_e32 v[34:35], v[34:35], v[36:37]
	ds_store_b64 v47, v[34:35]
.LBB36_351:                             ;   in Loop: Header=BB36_3 Depth=1
	s_or_b32 exec_lo, exec_lo, s50
	s_wait_dscnt 0x0
	s_barrier_signal -1
	s_barrier_wait -1
	s_and_saveexec_b32 s50, s98
	s_cbranch_execz .LBB36_353
; %bb.352:                              ;   in Loop: Header=BB36_3 Depth=1
	ds_load_b64 v[36:37], v45 offset:10400
	ds_load_b64 v[38:39], v47
	s_wait_dscnt 0x0
	v_fmac_f64_e32 v[34:35], v[36:37], v[38:39]
.LBB36_353:                             ;   in Loop: Header=BB36_3 Depth=1
	s_or_b32 exec_lo, exec_lo, s50
	s_barrier_signal -1
	s_barrier_wait -1
	s_and_saveexec_b32 s50, s99
	s_cbranch_execz .LBB36_355
; %bb.354:                              ;   in Loop: Header=BB36_3 Depth=1
	ds_load_b64 v[36:37], v5 offset:10920
	s_wait_dscnt 0x0
	v_mul_f64_e32 v[34:35], v[34:35], v[36:37]
	ds_store_b64 v47, v[34:35]
.LBB36_355:                             ;   in Loop: Header=BB36_3 Depth=1
	s_or_b32 exec_lo, exec_lo, s50
	s_wait_dscnt 0x0
	s_barrier_signal -1
	s_barrier_wait -1
	s_and_saveexec_b32 s50, s100
	s_cbranch_execz .LBB36_357
; %bb.356:                              ;   in Loop: Header=BB36_3 Depth=1
	ds_load_b64 v[36:37], v45 offset:10912
	ds_load_b64 v[38:39], v47
	s_wait_dscnt 0x0
	v_fmac_f64_e32 v[34:35], v[36:37], v[38:39]
.LBB36_357:                             ;   in Loop: Header=BB36_3 Depth=1
	s_or_b32 exec_lo, exec_lo, s50
	s_barrier_signal -1
	s_barrier_wait -1
	;; [unrolled: 23-line block ×3, first 2 shown]
	s_and_saveexec_b32 s50, s102
	s_cbranch_execz .LBB36_363
; %bb.362:                              ;   in Loop: Header=BB36_3 Depth=1
	ds_load_b64 v[36:37], v5 offset:11960
	s_wait_dscnt 0x0
	v_mul_f64_e32 v[34:35], v[34:35], v[36:37]
	ds_store_b64 v47, v[34:35]
.LBB36_363:                             ;   in Loop: Header=BB36_3 Depth=1
	s_or_b32 exec_lo, exec_lo, s50
	s_wait_dscnt 0x0
	s_barrier_signal -1
	s_barrier_wait -1
	s_barrier_signal -1
	s_barrier_wait -1
	s_and_saveexec_b32 s50, s2
; %bb.364:                              ;   in Loop: Header=BB36_3 Depth=1
	s_delay_alu instid0(VALU_DEP_1)
	v_xor_b32_e32 v35, 0x80000000, v35
	ds_store_b64 v48, v[34:35] offset:8352
; %bb.365:                              ;   in Loop: Header=BB36_3 Depth=1
	s_or_b32 exec_lo, exec_lo, s50
	s_wait_dscnt 0x0
	s_barrier_signal -1
	s_barrier_wait -1
	s_barrier_signal -1
	s_barrier_wait -1
	s_and_saveexec_b32 s50, s103
	s_cbranch_execz .LBB36_367
; %bb.366:                              ;   in Loop: Header=BB36_3 Depth=1
	ds_load_b64 v[34:35], v51 offset:8352
	s_wait_dscnt 0x0
	ds_store_b64 v52, v[34:35] offset:10368
	ds_load_b64 v[34:35], v51 offset:8360
	s_wait_dscnt 0x0
	ds_store_b64 v52, v[34:35] offset:10880
	;; [unrolled: 3-line block ×4, first 2 shown]
.LBB36_367:                             ;   in Loop: Header=BB36_3 Depth=1
	s_or_b32 exec_lo, exec_lo, s50
	s_wait_dscnt 0x0
	s_barrier_signal -1
	s_barrier_wait -1
	s_and_saveexec_b32 s50, s14
	s_cbranch_execz .LBB36_369
; %bb.368:                              ;   in Loop: Header=BB36_3 Depth=1
	ds_load_b128 v[34:37], v5 offset:10400
	ds_load_b64 v[38:39], v5 offset:10920
	s_wait_dscnt 0x0
	v_mul_f64_e32 v[34:35], v[34:35], v[38:39]
	s_delay_alu instid0(VALU_DEP_1)
	v_mul_f64_e32 v[34:35], v[36:37], v[34:35]
	v_add_nc_u32_e64 v36, 0x2800, 0
	ds_store_2addr_b64 v36, v[34:35], v[34:35] offset0:21 offset1:84
.LBB36_369:                             ;   in Loop: Header=BB36_3 Depth=1
	s_or_b32 exec_lo, exec_lo, s50
	v_mov_b64_e32 v[34:35], 0
	s_wait_dscnt 0x0
	s_barrier_signal -1
	s_barrier_wait -1
	s_and_saveexec_b32 s50, s0
	s_cbranch_execz .LBB36_373
; %bb.370:                              ;   in Loop: Header=BB36_3 Depth=1
	ds_load_b64 v[34:35], v41 offset:10416
	ds_load_b64 v[36:37], v42 offset:10400
	s_wait_dscnt 0x0
	v_fma_f64 v[34:35], v[34:35], v[36:37], 0
	s_and_saveexec_b32 s51, s15
	s_cbranch_execz .LBB36_372
; %bb.371:                              ;   in Loop: Header=BB36_3 Depth=1
	ds_load_b64 v[36:37], v52 offset:10928
	ds_load_b64 v[38:39], v5 offset:10408
	s_wait_dscnt 0x0
	v_fmac_f64_e32 v[34:35], v[36:37], v[38:39]
.LBB36_372:                             ;   in Loop: Header=BB36_3 Depth=1
	s_or_b32 exec_lo, exec_lo, s51
	s_delay_alu instid0(VALU_DEP_1)
	v_xor_b32_e32 v35, 0x80000000, v35
.LBB36_373:                             ;   in Loop: Header=BB36_3 Depth=1
	s_or_b32 exec_lo, exec_lo, s50
	s_and_saveexec_b32 s50, s94
	s_cbranch_execz .LBB36_375
; %bb.374:                              ;   in Loop: Header=BB36_3 Depth=1
	ds_load_b64 v[36:37], v5 offset:11440
	s_wait_dscnt 0x0
	v_mul_f64_e32 v[34:35], v[34:35], v[36:37]
	ds_store_b64 v3, v[34:35]
.LBB36_375:                             ;   in Loop: Header=BB36_3 Depth=1
	s_or_b32 exec_lo, exec_lo, s50
	s_wait_dscnt 0x0
	s_barrier_signal -1
	s_barrier_wait -1
	s_and_saveexec_b32 s50, s95
	s_cbranch_execz .LBB36_377
; %bb.376:                              ;   in Loop: Header=BB36_3 Depth=1
	ds_load_b64 v[36:37], v5 offset:11448
	ds_load_b64 v[38:39], v3
	s_wait_dscnt 0x0
	v_fmac_f64_e32 v[34:35], v[36:37], v[38:39]
.LBB36_377:                             ;   in Loop: Header=BB36_3 Depth=1
	s_or_b32 exec_lo, exec_lo, s50
	s_barrier_signal -1
	s_barrier_wait -1
	s_and_saveexec_b32 s50, s95
	s_cbranch_execz .LBB36_379
; %bb.378:                              ;   in Loop: Header=BB36_3 Depth=1
	ds_load_b64 v[36:37], v5 offset:11960
	s_wait_dscnt 0x0
	v_mul_f64_e32 v[34:35], v[34:35], v[36:37]
	ds_store_b64 v3, v[34:35]
.LBB36_379:                             ;   in Loop: Header=BB36_3 Depth=1
	s_or_b32 exec_lo, exec_lo, s50
	s_wait_dscnt 0x0
	s_barrier_signal -1
	s_barrier_wait -1
	s_barrier_signal -1
	s_barrier_wait -1
	s_and_saveexec_b32 s50, s0
; %bb.380:                              ;   in Loop: Header=BB36_3 Depth=1
	s_delay_alu instid0(VALU_DEP_1)
	v_xor_b32_e32 v35, 0x80000000, v35
	ds_store_b64 v41, v[34:35] offset:10416
; %bb.381:                              ;   in Loop: Header=BB36_3 Depth=1
	s_or_b32 exec_lo, exec_lo, s50
	s_wait_dscnt 0x0
	s_barrier_signal -1
	s_barrier_wait -1
	s_barrier_signal -1
	s_barrier_wait -1
	s_and_saveexec_b32 s50, s96
	s_cbranch_execz .LBB36_383
; %bb.382:                              ;   in Loop: Header=BB36_3 Depth=1
	ds_load_b64 v[34:35], v55 offset:10416
	s_wait_dscnt 0x0
	ds_store_b64 v52, v[34:35] offset:11424
	ds_load_b64 v[34:35], v55 offset:10424
	s_wait_dscnt 0x0
	ds_store_b64 v52, v[34:35] offset:11936
.LBB36_383:                             ;   in Loop: Header=BB36_3 Depth=1
	s_or_b32 exec_lo, exec_lo, s50
	s_wait_dscnt 0x0
	s_barrier_signal -1
	s_barrier_wait -1
	s_and_saveexec_b32 s50, s14
	s_cbranch_execz .LBB36_385
; %bb.384:                              ;   in Loop: Header=BB36_3 Depth=1
	ds_load_b128 v[34:37], v5 offset:11440
	ds_load_b64 v[38:39], v5 offset:11960
	s_wait_dscnt 0x0
	v_mul_f64_e32 v[34:35], v[34:35], v[38:39]
	s_delay_alu instid0(VALU_DEP_1)
	v_mul_f64_e32 v[34:35], v[36:37], v[34:35]
	v_add_nc_u32_e64 v36, 0x2800, 0
	ds_store_2addr_b64 v36, v[34:35], v[34:35] offset0:151 offset1:214
.LBB36_385:                             ;   in Loop: Header=BB36_3 Depth=1
	s_or_b32 exec_lo, exec_lo, s50
	v_mov_b64_e32 v[34:35], 0
	s_wait_dscnt 0x0
	s_barrier_signal -1
	s_barrier_wait -1
	s_and_saveexec_b32 s65, s3
	s_cbranch_execz .LBB36_395
; %bb.386:                              ;   in Loop: Header=BB36_3 Depth=1
	ds_load_b64 v[34:35], v57 offset:8384
	ds_load_b64 v[36:37], v53 offset:8320
	s_wait_dscnt 0x0
	v_fma_f64 v[34:35], v[34:35], v[36:37], 0
	s_and_saveexec_b32 s50, s18
	s_cbranch_execnz .LBB36_1115
; %bb.387:                              ;   in Loop: Header=BB36_3 Depth=1
	s_or_b32 exec_lo, exec_lo, s50
	s_and_saveexec_b32 s50, s19
	s_cbranch_execnz .LBB36_1116
.LBB36_388:                             ;   in Loop: Header=BB36_3 Depth=1
	s_or_b32 exec_lo, exec_lo, s50
	s_and_saveexec_b32 s50, s20
	s_cbranch_execnz .LBB36_1117
.LBB36_389:                             ;   in Loop: Header=BB36_3 Depth=1
	s_or_b32 exec_lo, exec_lo, s50
	s_and_saveexec_b32 s50, s21
	s_cbranch_execnz .LBB36_1118
.LBB36_390:                             ;   in Loop: Header=BB36_3 Depth=1
	s_or_b32 exec_lo, exec_lo, s50
	s_and_saveexec_b32 s50, s22
	s_cbranch_execnz .LBB36_1119
.LBB36_391:                             ;   in Loop: Header=BB36_3 Depth=1
	s_or_b32 exec_lo, exec_lo, s50
	s_and_saveexec_b32 s50, s2
	s_cbranch_execnz .LBB36_1120
.LBB36_392:                             ;   in Loop: Header=BB36_3 Depth=1
	s_or_b32 exec_lo, exec_lo, s50
	s_and_saveexec_b32 s50, s17
	s_cbranch_execz .LBB36_394
.LBB36_393:                             ;   in Loop: Header=BB36_3 Depth=1
	ds_load_b64 v[36:37], v59 offset:11968
	ds_load_b64 v[38:39], v5 offset:8376
	s_wait_dscnt 0x0
	v_fmac_f64_e32 v[34:35], v[36:37], v[38:39]
.LBB36_394:                             ;   in Loop: Header=BB36_3 Depth=1
	s_or_b32 exec_lo, exec_lo, s50
	s_delay_alu instid0(VALU_DEP_1)
	v_xor_b32_e32 v35, 0x80000000, v35
.LBB36_395:                             ;   in Loop: Header=BB36_3 Depth=1
	s_or_b32 exec_lo, exec_lo, s65
	s_and_saveexec_b32 s50, s104
	s_cbranch_execz .LBB36_397
; %bb.396:                              ;   in Loop: Header=BB36_3 Depth=1
	ds_load_b64 v[36:37], v5 offset:12480
	s_wait_dscnt 0x0
	v_mul_f64_e32 v[34:35], v[34:35], v[36:37]
	ds_store_b64 v56, v[34:35]
.LBB36_397:                             ;   in Loop: Header=BB36_3 Depth=1
	s_or_b32 exec_lo, exec_lo, s50
	s_wait_dscnt 0x0
	s_barrier_signal -1
	s_barrier_wait -1
	s_and_saveexec_b32 s50, vcc_hi
	s_cbranch_execz .LBB36_399
; %bb.398:                              ;   in Loop: Header=BB36_3 Depth=1
	ds_load_b64 v[36:37], v54 offset:12480
	ds_load_b64 v[38:39], v56
	s_wait_dscnt 0x0
	v_fmac_f64_e32 v[34:35], v[36:37], v[38:39]
.LBB36_399:                             ;   in Loop: Header=BB36_3 Depth=1
	s_or_b32 exec_lo, exec_lo, s50
	s_barrier_signal -1
	s_barrier_wait -1
	s_and_saveexec_b32 s50, s36
	s_cbranch_execz .LBB36_401
; %bb.400:                              ;   in Loop: Header=BB36_3 Depth=1
	ds_load_b64 v[36:37], v5 offset:13000
	s_wait_dscnt 0x0
	v_mul_f64_e32 v[34:35], v[34:35], v[36:37]
	ds_store_b64 v56, v[34:35]
.LBB36_401:                             ;   in Loop: Header=BB36_3 Depth=1
	s_or_b32 exec_lo, exec_lo, s50
	s_wait_dscnt 0x0
	s_barrier_signal -1
	s_barrier_wait -1
	s_and_saveexec_b32 s50, s37
	s_cbranch_execz .LBB36_403
; %bb.402:                              ;   in Loop: Header=BB36_3 Depth=1
	ds_load_b64 v[36:37], v54 offset:12992
	ds_load_b64 v[38:39], v56
	s_wait_dscnt 0x0
	v_fmac_f64_e32 v[34:35], v[36:37], v[38:39]
.LBB36_403:                             ;   in Loop: Header=BB36_3 Depth=1
	s_or_b32 exec_lo, exec_lo, s50
	s_barrier_signal -1
	s_barrier_wait -1
	s_and_saveexec_b32 s50, s38
	s_cbranch_execz .LBB36_405
; %bb.404:                              ;   in Loop: Header=BB36_3 Depth=1
	ds_load_b64 v[36:37], v5 offset:13520
	s_wait_dscnt 0x0
	v_mul_f64_e32 v[34:35], v[34:35], v[36:37]
	ds_store_b64 v56, v[34:35]
.LBB36_405:                             ;   in Loop: Header=BB36_3 Depth=1
	s_or_b32 exec_lo, exec_lo, s50
	s_wait_dscnt 0x0
	s_barrier_signal -1
	s_barrier_wait -1
	s_and_saveexec_b32 s50, s39
	;; [unrolled: 23-line block ×6, first 2 shown]
	s_cbranch_execz .LBB36_423
; %bb.422:                              ;   in Loop: Header=BB36_3 Depth=1
	ds_load_b64 v[36:37], v5 offset:15608
	ds_load_b64 v[38:39], v56
	s_wait_dscnt 0x0
	v_fmac_f64_e32 v[34:35], v[36:37], v[38:39]
.LBB36_423:                             ;   in Loop: Header=BB36_3 Depth=1
	s_or_b32 exec_lo, exec_lo, s50
	s_barrier_signal -1
	s_barrier_wait -1
	s_and_saveexec_b32 s50, s47
	s_cbranch_execz .LBB36_425
; %bb.424:                              ;   in Loop: Header=BB36_3 Depth=1
	ds_load_b64 v[36:37], v5 offset:16120
	s_wait_dscnt 0x0
	v_mul_f64_e32 v[34:35], v[34:35], v[36:37]
	ds_store_b64 v56, v[34:35]
.LBB36_425:                             ;   in Loop: Header=BB36_3 Depth=1
	s_or_b32 exec_lo, exec_lo, s50
	s_wait_dscnt 0x0
	s_barrier_signal -1
	s_barrier_wait -1
	s_barrier_signal -1
	s_barrier_wait -1
	s_and_saveexec_b32 s50, s3
; %bb.426:                              ;   in Loop: Header=BB36_3 Depth=1
	s_delay_alu instid0(VALU_DEP_1)
	v_xor_b32_e32 v35, 0x80000000, v35
	ds_store_b64 v57, v[34:35] offset:8384
; %bb.427:                              ;   in Loop: Header=BB36_3 Depth=1
	s_or_b32 exec_lo, exec_lo, s50
	s_wait_dscnt 0x0
	s_barrier_signal -1
	s_barrier_wait -1
	s_barrier_signal -1
	s_barrier_wait -1
	s_and_saveexec_b32 s50, s48
	s_cbranch_execz .LBB36_429
; %bb.428:                              ;   in Loop: Header=BB36_3 Depth=1
	ds_load_b64 v[34:35], v68 offset:8384
	s_wait_dscnt 0x0
	ds_store_b64 v69, v[34:35] offset:12416
	ds_load_b64 v[34:35], v68 offset:8392
	s_wait_dscnt 0x0
	ds_store_b64 v69, v[34:35] offset:12928
	;; [unrolled: 3-line block ×8, first 2 shown]
.LBB36_429:                             ;   in Loop: Header=BB36_3 Depth=1
	s_or_b32 exec_lo, exec_lo, s50
	s_wait_dscnt 0x0
	s_barrier_signal -1
	s_barrier_wait -1
	s_and_saveexec_b32 s50, s14
	s_cbranch_execz .LBB36_431
; %bb.430:                              ;   in Loop: Header=BB36_3 Depth=1
	ds_load_b128 v[34:37], v5 offset:12480
	ds_load_b64 v[38:39], v5 offset:13000
	s_wait_dscnt 0x0
	v_mul_f64_e32 v[34:35], v[34:35], v[38:39]
	s_delay_alu instid0(VALU_DEP_1)
	v_mul_f64_e32 v[34:35], v[36:37], v[34:35]
	v_add_nc_u32_e64 v36, 0x3000, 0
	ds_store_2addr_b64 v36, v[34:35], v[34:35] offset0:25 offset1:88
.LBB36_431:                             ;   in Loop: Header=BB36_3 Depth=1
	s_or_b32 exec_lo, exec_lo, s50
	v_mov_b64_e32 v[34:35], 0
	s_wait_dscnt 0x0
	s_barrier_signal -1
	s_barrier_wait -1
	s_and_saveexec_b32 s50, s0
	s_cbranch_execz .LBB36_435
; %bb.432:                              ;   in Loop: Header=BB36_3 Depth=1
	ds_load_b64 v[34:35], v41 offset:12496
	ds_load_b64 v[36:37], v42 offset:12480
	s_wait_dscnt 0x0
	v_fma_f64 v[34:35], v[34:35], v[36:37], 0
	s_and_saveexec_b32 s51, s15
	s_cbranch_execz .LBB36_434
; %bb.433:                              ;   in Loop: Header=BB36_3 Depth=1
	ds_load_b64 v[36:37], v69 offset:13008
	ds_load_b64 v[38:39], v5 offset:12488
	s_wait_dscnt 0x0
	v_fmac_f64_e32 v[34:35], v[36:37], v[38:39]
.LBB36_434:                             ;   in Loop: Header=BB36_3 Depth=1
	s_or_b32 exec_lo, exec_lo, s51
	s_delay_alu instid0(VALU_DEP_1)
	v_xor_b32_e32 v35, 0x80000000, v35
.LBB36_435:                             ;   in Loop: Header=BB36_3 Depth=1
	s_or_b32 exec_lo, exec_lo, s50
	s_and_saveexec_b32 s50, s94
	s_cbranch_execz .LBB36_437
; %bb.436:                              ;   in Loop: Header=BB36_3 Depth=1
	ds_load_b64 v[36:37], v5 offset:13520
	s_wait_dscnt 0x0
	v_mul_f64_e32 v[34:35], v[34:35], v[36:37]
	ds_store_b64 v3, v[34:35]
.LBB36_437:                             ;   in Loop: Header=BB36_3 Depth=1
	s_or_b32 exec_lo, exec_lo, s50
	s_wait_dscnt 0x0
	s_barrier_signal -1
	s_barrier_wait -1
	s_and_saveexec_b32 s50, s95
	s_cbranch_execz .LBB36_439
; %bb.438:                              ;   in Loop: Header=BB36_3 Depth=1
	ds_load_b64 v[36:37], v5 offset:13528
	ds_load_b64 v[38:39], v3
	s_wait_dscnt 0x0
	v_fmac_f64_e32 v[34:35], v[36:37], v[38:39]
.LBB36_439:                             ;   in Loop: Header=BB36_3 Depth=1
	s_or_b32 exec_lo, exec_lo, s50
	s_barrier_signal -1
	s_barrier_wait -1
	s_and_saveexec_b32 s50, s95
	s_cbranch_execz .LBB36_441
; %bb.440:                              ;   in Loop: Header=BB36_3 Depth=1
	ds_load_b64 v[36:37], v5 offset:14040
	s_wait_dscnt 0x0
	v_mul_f64_e32 v[34:35], v[34:35], v[36:37]
	ds_store_b64 v3, v[34:35]
.LBB36_441:                             ;   in Loop: Header=BB36_3 Depth=1
	s_or_b32 exec_lo, exec_lo, s50
	s_wait_dscnt 0x0
	s_barrier_signal -1
	s_barrier_wait -1
	s_barrier_signal -1
	s_barrier_wait -1
	s_and_saveexec_b32 s50, s0
; %bb.442:                              ;   in Loop: Header=BB36_3 Depth=1
	s_delay_alu instid0(VALU_DEP_1)
	v_xor_b32_e32 v35, 0x80000000, v35
	ds_store_b64 v41, v[34:35] offset:12496
; %bb.443:                              ;   in Loop: Header=BB36_3 Depth=1
	s_or_b32 exec_lo, exec_lo, s50
	s_wait_dscnt 0x0
	s_barrier_signal -1
	s_barrier_wait -1
	s_barrier_signal -1
	s_barrier_wait -1
	s_and_saveexec_b32 s50, s96
	s_cbranch_execz .LBB36_445
; %bb.444:                              ;   in Loop: Header=BB36_3 Depth=1
	ds_load_b64 v[34:35], v70 offset:12496
	s_wait_dscnt 0x0
	ds_store_b64 v69, v[34:35] offset:13504
	ds_load_b64 v[34:35], v70 offset:12504
	s_wait_dscnt 0x0
	ds_store_b64 v69, v[34:35] offset:14016
.LBB36_445:                             ;   in Loop: Header=BB36_3 Depth=1
	s_or_b32 exec_lo, exec_lo, s50
	s_wait_dscnt 0x0
	s_barrier_signal -1
	s_barrier_wait -1
	s_and_saveexec_b32 s50, s14
	s_cbranch_execz .LBB36_447
; %bb.446:                              ;   in Loop: Header=BB36_3 Depth=1
	ds_load_b128 v[34:37], v5 offset:13520
	ds_load_b64 v[38:39], v5 offset:14040
	s_wait_dscnt 0x0
	v_mul_f64_e32 v[34:35], v[34:35], v[38:39]
	s_delay_alu instid0(VALU_DEP_1)
	v_mul_f64_e32 v[34:35], v[36:37], v[34:35]
	v_add_nc_u32_e64 v36, 0x3000, 0
	ds_store_2addr_b64 v36, v[34:35], v[34:35] offset0:155 offset1:218
.LBB36_447:                             ;   in Loop: Header=BB36_3 Depth=1
	s_or_b32 exec_lo, exec_lo, s50
	v_mov_b64_e32 v[34:35], 0
	s_wait_dscnt 0x0
	s_barrier_signal -1
	s_barrier_wait -1
	s_and_saveexec_b32 s65, s2
	s_cbranch_execz .LBB36_453
; %bb.448:                              ;   in Loop: Header=BB36_3 Depth=1
	ds_load_b64 v[34:35], v48 offset:12512
	ds_load_b64 v[36:37], v44 offset:12480
	s_wait_dscnt 0x0
	v_fma_f64 v[34:35], v[34:35], v[36:37], 0
	s_and_saveexec_b32 s50, s16
	s_cbranch_execnz .LBB36_1121
; %bb.449:                              ;   in Loop: Header=BB36_3 Depth=1
	s_or_b32 exec_lo, exec_lo, s50
	s_and_saveexec_b32 s50, s17
	s_cbranch_execnz .LBB36_1122
.LBB36_450:                             ;   in Loop: Header=BB36_3 Depth=1
	s_or_b32 exec_lo, exec_lo, s50
	s_and_saveexec_b32 s50, s0
	s_cbranch_execz .LBB36_452
.LBB36_451:                             ;   in Loop: Header=BB36_3 Depth=1
	ds_load_b64 v[36:37], v71 offset:14048
	ds_load_b64 v[38:39], v5 offset:12504
	s_wait_dscnt 0x0
	v_fmac_f64_e32 v[34:35], v[36:37], v[38:39]
.LBB36_452:                             ;   in Loop: Header=BB36_3 Depth=1
	s_or_b32 exec_lo, exec_lo, s50
	s_delay_alu instid0(VALU_DEP_1)
	v_xor_b32_e32 v35, 0x80000000, v35
.LBB36_453:                             ;   in Loop: Header=BB36_3 Depth=1
	s_or_b32 exec_lo, exec_lo, s65
	s_and_saveexec_b32 s50, s97
	s_cbranch_execz .LBB36_455
; %bb.454:                              ;   in Loop: Header=BB36_3 Depth=1
	ds_load_b64 v[36:37], v5 offset:14560
	s_wait_dscnt 0x0
	v_mul_f64_e32 v[34:35], v[34:35], v[36:37]
	ds_store_b64 v47, v[34:35]
.LBB36_455:                             ;   in Loop: Header=BB36_3 Depth=1
	s_or_b32 exec_lo, exec_lo, s50
	s_wait_dscnt 0x0
	s_barrier_signal -1
	s_barrier_wait -1
	s_and_saveexec_b32 s50, s98
	s_cbranch_execz .LBB36_457
; %bb.456:                              ;   in Loop: Header=BB36_3 Depth=1
	ds_load_b64 v[36:37], v45 offset:14560
	ds_load_b64 v[38:39], v47
	s_wait_dscnt 0x0
	v_fmac_f64_e32 v[34:35], v[36:37], v[38:39]
.LBB36_457:                             ;   in Loop: Header=BB36_3 Depth=1
	s_or_b32 exec_lo, exec_lo, s50
	s_barrier_signal -1
	s_barrier_wait -1
	s_and_saveexec_b32 s50, s99
	s_cbranch_execz .LBB36_459
; %bb.458:                              ;   in Loop: Header=BB36_3 Depth=1
	ds_load_b64 v[36:37], v5 offset:15080
	s_wait_dscnt 0x0
	v_mul_f64_e32 v[34:35], v[34:35], v[36:37]
	ds_store_b64 v47, v[34:35]
.LBB36_459:                             ;   in Loop: Header=BB36_3 Depth=1
	s_or_b32 exec_lo, exec_lo, s50
	s_wait_dscnt 0x0
	s_barrier_signal -1
	s_barrier_wait -1
	s_and_saveexec_b32 s50, s100
	s_cbranch_execz .LBB36_461
; %bb.460:                              ;   in Loop: Header=BB36_3 Depth=1
	ds_load_b64 v[36:37], v45 offset:15072
	ds_load_b64 v[38:39], v47
	s_wait_dscnt 0x0
	v_fmac_f64_e32 v[34:35], v[36:37], v[38:39]
.LBB36_461:                             ;   in Loop: Header=BB36_3 Depth=1
	s_or_b32 exec_lo, exec_lo, s50
	s_barrier_signal -1
	s_barrier_wait -1
	;; [unrolled: 23-line block ×3, first 2 shown]
	s_and_saveexec_b32 s50, s102
	s_cbranch_execz .LBB36_467
; %bb.466:                              ;   in Loop: Header=BB36_3 Depth=1
	ds_load_b64 v[36:37], v5 offset:16120
	s_wait_dscnt 0x0
	v_mul_f64_e32 v[34:35], v[34:35], v[36:37]
	ds_store_b64 v47, v[34:35]
.LBB36_467:                             ;   in Loop: Header=BB36_3 Depth=1
	s_or_b32 exec_lo, exec_lo, s50
	s_wait_dscnt 0x0
	s_barrier_signal -1
	s_barrier_wait -1
	s_barrier_signal -1
	s_barrier_wait -1
	s_and_saveexec_b32 s50, s2
; %bb.468:                              ;   in Loop: Header=BB36_3 Depth=1
	s_delay_alu instid0(VALU_DEP_1)
	v_xor_b32_e32 v35, 0x80000000, v35
	ds_store_b64 v48, v[34:35] offset:12512
; %bb.469:                              ;   in Loop: Header=BB36_3 Depth=1
	s_or_b32 exec_lo, exec_lo, s50
	s_wait_dscnt 0x0
	s_barrier_signal -1
	s_barrier_wait -1
	s_barrier_signal -1
	s_barrier_wait -1
	s_and_saveexec_b32 s50, s103
	s_cbranch_execz .LBB36_471
; %bb.470:                              ;   in Loop: Header=BB36_3 Depth=1
	ds_load_b64 v[34:35], v74 offset:12512
	s_wait_dscnt 0x0
	ds_store_b64 v77, v[34:35] offset:14528
	ds_load_b64 v[34:35], v74 offset:12520
	s_wait_dscnt 0x0
	ds_store_b64 v77, v[34:35] offset:15040
	;; [unrolled: 3-line block ×4, first 2 shown]
.LBB36_471:                             ;   in Loop: Header=BB36_3 Depth=1
	s_or_b32 exec_lo, exec_lo, s50
	s_wait_dscnt 0x0
	s_barrier_signal -1
	s_barrier_wait -1
	s_and_saveexec_b32 s50, s14
	s_cbranch_execz .LBB36_473
; %bb.472:                              ;   in Loop: Header=BB36_3 Depth=1
	ds_load_b128 v[34:37], v5 offset:14560
	ds_load_b64 v[38:39], v5 offset:15080
	s_wait_dscnt 0x0
	v_mul_f64_e32 v[34:35], v[34:35], v[38:39]
	s_delay_alu instid0(VALU_DEP_1)
	v_mul_f64_e32 v[34:35], v[36:37], v[34:35]
	v_add_nc_u32_e64 v36, 0x3800, 0
	ds_store_2addr_b64 v36, v[34:35], v[34:35] offset0:29 offset1:92
.LBB36_473:                             ;   in Loop: Header=BB36_3 Depth=1
	s_or_b32 exec_lo, exec_lo, s50
	v_mov_b64_e32 v[34:35], 0
	s_wait_dscnt 0x0
	s_barrier_signal -1
	s_barrier_wait -1
	s_and_saveexec_b32 s50, s0
	s_cbranch_execz .LBB36_477
; %bb.474:                              ;   in Loop: Header=BB36_3 Depth=1
	ds_load_b64 v[34:35], v41 offset:14576
	ds_load_b64 v[36:37], v42 offset:14560
	s_wait_dscnt 0x0
	v_fma_f64 v[34:35], v[34:35], v[36:37], 0
	s_and_saveexec_b32 s51, s15
	s_cbranch_execz .LBB36_476
; %bb.475:                              ;   in Loop: Header=BB36_3 Depth=1
	ds_load_b64 v[36:37], v77 offset:15088
	ds_load_b64 v[38:39], v5 offset:14568
	s_wait_dscnt 0x0
	v_fmac_f64_e32 v[34:35], v[36:37], v[38:39]
.LBB36_476:                             ;   in Loop: Header=BB36_3 Depth=1
	s_or_b32 exec_lo, exec_lo, s51
	s_delay_alu instid0(VALU_DEP_1)
	v_xor_b32_e32 v35, 0x80000000, v35
.LBB36_477:                             ;   in Loop: Header=BB36_3 Depth=1
	s_or_b32 exec_lo, exec_lo, s50
	s_and_saveexec_b32 s50, s94
	s_cbranch_execz .LBB36_479
; %bb.478:                              ;   in Loop: Header=BB36_3 Depth=1
	ds_load_b64 v[36:37], v5 offset:15600
	s_wait_dscnt 0x0
	v_mul_f64_e32 v[34:35], v[34:35], v[36:37]
	ds_store_b64 v3, v[34:35]
.LBB36_479:                             ;   in Loop: Header=BB36_3 Depth=1
	s_or_b32 exec_lo, exec_lo, s50
	s_wait_dscnt 0x0
	s_barrier_signal -1
	s_barrier_wait -1
	s_and_saveexec_b32 s50, s95
	s_cbranch_execz .LBB36_481
; %bb.480:                              ;   in Loop: Header=BB36_3 Depth=1
	ds_load_b64 v[36:37], v5 offset:15608
	ds_load_b64 v[38:39], v3
	s_wait_dscnt 0x0
	v_fmac_f64_e32 v[34:35], v[36:37], v[38:39]
.LBB36_481:                             ;   in Loop: Header=BB36_3 Depth=1
	s_or_b32 exec_lo, exec_lo, s50
	s_barrier_signal -1
	s_barrier_wait -1
	s_and_saveexec_b32 s50, s95
	s_cbranch_execz .LBB36_483
; %bb.482:                              ;   in Loop: Header=BB36_3 Depth=1
	ds_load_b64 v[36:37], v5 offset:16120
	s_wait_dscnt 0x0
	v_mul_f64_e32 v[34:35], v[34:35], v[36:37]
	ds_store_b64 v3, v[34:35]
.LBB36_483:                             ;   in Loop: Header=BB36_3 Depth=1
	s_or_b32 exec_lo, exec_lo, s50
	s_wait_dscnt 0x0
	s_barrier_signal -1
	s_barrier_wait -1
	s_barrier_signal -1
	s_barrier_wait -1
	s_and_saveexec_b32 s50, s0
; %bb.484:                              ;   in Loop: Header=BB36_3 Depth=1
	s_delay_alu instid0(VALU_DEP_1)
	v_xor_b32_e32 v35, 0x80000000, v35
	ds_store_b64 v41, v[34:35] offset:14576
; %bb.485:                              ;   in Loop: Header=BB36_3 Depth=1
	s_or_b32 exec_lo, exec_lo, s50
	s_wait_dscnt 0x0
	s_barrier_signal -1
	s_barrier_wait -1
	s_barrier_signal -1
	s_barrier_wait -1
	s_and_saveexec_b32 s50, s96
	s_cbranch_execz .LBB36_487
; %bb.486:                              ;   in Loop: Header=BB36_3 Depth=1
	ds_load_b64 v[34:35], v78 offset:14576
	s_wait_dscnt 0x0
	ds_store_b64 v77, v[34:35] offset:15584
	ds_load_b64 v[34:35], v78 offset:14584
	s_wait_dscnt 0x0
	ds_store_b64 v77, v[34:35] offset:16096
.LBB36_487:                             ;   in Loop: Header=BB36_3 Depth=1
	s_or_b32 exec_lo, exec_lo, s50
	s_wait_dscnt 0x0
	s_barrier_signal -1
	s_barrier_wait -1
	s_and_saveexec_b32 s50, s14
	s_cbranch_execz .LBB36_489
; %bb.488:                              ;   in Loop: Header=BB36_3 Depth=1
	ds_load_b128 v[34:37], v5 offset:15600
	ds_load_b64 v[38:39], v5 offset:16120
	s_wait_dscnt 0x0
	v_mul_f64_e32 v[34:35], v[34:35], v[38:39]
	s_delay_alu instid0(VALU_DEP_1)
	v_mul_f64_e32 v[34:35], v[36:37], v[34:35]
	v_add_nc_u32_e64 v36, 0x3800, 0
	ds_store_2addr_b64 v36, v[34:35], v[34:35] offset0:159 offset1:222
.LBB36_489:                             ;   in Loop: Header=BB36_3 Depth=1
	s_or_b32 exec_lo, exec_lo, s50
	v_mov_b64_e32 v[34:35], 0
	s_wait_dscnt 0x0
	s_barrier_signal -1
	s_barrier_wait -1
	s_and_saveexec_b32 s84, s35
	s_cbranch_execz .LBB36_551
; %bb.490:                              ;   in Loop: Header=BB36_3 Depth=1
	v_add_nc_u32_e32 v36, v67, v66
	ds_load_b64 v[34:35], v83 offset:256
	ds_load_b64 v[38:39], v36
	s_wait_dscnt 0x0
	v_fma_f64 v[34:35], v[34:35], v[38:39], 0
	s_mov_b32 s50, exec_lo
	v_readlane_b32 s51, v97, 8
	s_and_b32 s51, s50, s51
	s_delay_alu instid0(SALU_CYCLE_1)
	s_mov_b32 exec_lo, s51
	s_cbranch_execz .LBB36_492
; %bb.491:                              ;   in Loop: Header=BB36_3 Depth=1
	ds_load_b64 v[38:39], v83 offset:768
	ds_load_b64 v[92:93], v36 offset:8
	s_wait_dscnt 0x0
	v_fmac_f64_e32 v[34:35], v[38:39], v[92:93]
.LBB36_492:                             ;   in Loop: Header=BB36_3 Depth=1
	s_or_b32 exec_lo, exec_lo, s50
	s_delay_alu instid0(SALU_CYCLE_1) | instskip(SKIP_2) | instid1(SALU_CYCLE_1)
	s_mov_b32 s50, exec_lo
	v_readlane_b32 s51, v97, 9
	s_and_b32 s51, s50, s51
	s_mov_b32 exec_lo, s51
	s_cbranch_execz .LBB36_494
; %bb.493:                              ;   in Loop: Header=BB36_3 Depth=1
	ds_load_b64 v[38:39], v83 offset:1280
	ds_load_b64 v[92:93], v36 offset:16
	s_wait_dscnt 0x0
	v_fmac_f64_e32 v[34:35], v[38:39], v[92:93]
.LBB36_494:                             ;   in Loop: Header=BB36_3 Depth=1
	s_or_b32 exec_lo, exec_lo, s50
	s_delay_alu instid0(SALU_CYCLE_1) | instskip(SKIP_2) | instid1(SALU_CYCLE_1)
	s_mov_b32 s50, exec_lo
	v_readlane_b32 s51, v97, 10
	s_and_b32 s51, s50, s51
	s_mov_b32 exec_lo, s51
	s_cbranch_execz .LBB36_496
; %bb.495:                              ;   in Loop: Header=BB36_3 Depth=1
	ds_load_b64 v[38:39], v83 offset:1792
	ds_load_b64 v[92:93], v36 offset:24
	s_wait_dscnt 0x0
	v_fmac_f64_e32 v[34:35], v[38:39], v[92:93]
.LBB36_496:                             ;   in Loop: Header=BB36_3 Depth=1
	s_or_b32 exec_lo, exec_lo, s50
	s_delay_alu instid0(SALU_CYCLE_1) | instskip(SKIP_2) | instid1(SALU_CYCLE_1)
	s_mov_b32 s50, exec_lo
	v_readlane_b32 s51, v97, 11
	s_and_b32 s51, s50, s51
	s_mov_b32 exec_lo, s51
	s_cbranch_execz .LBB36_498
; %bb.497:                              ;   in Loop: Header=BB36_3 Depth=1
	ds_load_b64 v[38:39], v83 offset:2304
	ds_load_b64 v[92:93], v36 offset:32
	s_wait_dscnt 0x0
	v_fmac_f64_e32 v[34:35], v[38:39], v[92:93]
.LBB36_498:                             ;   in Loop: Header=BB36_3 Depth=1
	s_or_b32 exec_lo, exec_lo, s50
	s_delay_alu instid0(SALU_CYCLE_1) | instskip(SKIP_2) | instid1(SALU_CYCLE_1)
	s_mov_b32 s50, exec_lo
	v_readlane_b32 s51, v97, 12
	s_and_b32 s51, s50, s51
	s_mov_b32 exec_lo, s51
	s_cbranch_execz .LBB36_500
; %bb.499:                              ;   in Loop: Header=BB36_3 Depth=1
	ds_load_b64 v[38:39], v83 offset:2816
	ds_load_b64 v[92:93], v36 offset:40
	s_wait_dscnt 0x0
	v_fmac_f64_e32 v[34:35], v[38:39], v[92:93]
.LBB36_500:                             ;   in Loop: Header=BB36_3 Depth=1
	s_or_b32 exec_lo, exec_lo, s50
	s_delay_alu instid0(SALU_CYCLE_1) | instskip(SKIP_2) | instid1(SALU_CYCLE_1)
	s_mov_b32 s50, exec_lo
	v_readlane_b32 s51, v97, 13
	s_and_b32 s51, s50, s51
	s_mov_b32 exec_lo, s51
	s_cbranch_execz .LBB36_502
; %bb.501:                              ;   in Loop: Header=BB36_3 Depth=1
	ds_load_b64 v[38:39], v83 offset:3328
	ds_load_b64 v[92:93], v36 offset:48
	s_wait_dscnt 0x0
	v_fmac_f64_e32 v[34:35], v[38:39], v[92:93]
.LBB36_502:                             ;   in Loop: Header=BB36_3 Depth=1
	s_or_b32 exec_lo, exec_lo, s50
	s_delay_alu instid0(SALU_CYCLE_1) | instskip(SKIP_2) | instid1(SALU_CYCLE_1)
	s_mov_b32 s50, exec_lo
	v_readlane_b32 s51, v97, 14
	s_and_b32 s51, s50, s51
	s_mov_b32 exec_lo, s51
	s_cbranch_execz .LBB36_504
; %bb.503:                              ;   in Loop: Header=BB36_3 Depth=1
	ds_load_b64 v[38:39], v83 offset:3840
	ds_load_b64 v[92:93], v36 offset:56
	s_wait_dscnt 0x0
	v_fmac_f64_e32 v[34:35], v[38:39], v[92:93]
.LBB36_504:                             ;   in Loop: Header=BB36_3 Depth=1
	s_or_b32 exec_lo, exec_lo, s50
	s_delay_alu instid0(SALU_CYCLE_1) | instskip(SKIP_2) | instid1(SALU_CYCLE_1)
	s_mov_b32 s50, exec_lo
	v_readlane_b32 s51, v97, 15
	s_and_b32 s51, s50, s51
	s_mov_b32 exec_lo, s51
	s_cbranch_execz .LBB36_506
; %bb.505:                              ;   in Loop: Header=BB36_3 Depth=1
	ds_load_b64 v[38:39], v83 offset:4352
	ds_load_b64 v[92:93], v36 offset:64
	s_wait_dscnt 0x0
	v_fmac_f64_e32 v[34:35], v[38:39], v[92:93]
.LBB36_506:                             ;   in Loop: Header=BB36_3 Depth=1
	s_or_b32 exec_lo, exec_lo, s50
	s_delay_alu instid0(SALU_CYCLE_1) | instskip(SKIP_2) | instid1(SALU_CYCLE_1)
	s_mov_b32 s50, exec_lo
	v_readlane_b32 s51, v97, 16
	s_and_b32 s51, s50, s51
	s_mov_b32 exec_lo, s51
	s_cbranch_execz .LBB36_508
; %bb.507:                              ;   in Loop: Header=BB36_3 Depth=1
	ds_load_b64 v[38:39], v83 offset:4864
	ds_load_b64 v[92:93], v36 offset:72
	s_wait_dscnt 0x0
	v_fmac_f64_e32 v[34:35], v[38:39], v[92:93]
.LBB36_508:                             ;   in Loop: Header=BB36_3 Depth=1
	s_or_b32 exec_lo, exec_lo, s50
	s_delay_alu instid0(SALU_CYCLE_1) | instskip(SKIP_2) | instid1(SALU_CYCLE_1)
	s_mov_b32 s50, exec_lo
	v_readlane_b32 s51, v97, 17
	s_and_b32 s51, s50, s51
	s_mov_b32 exec_lo, s51
	s_cbranch_execz .LBB36_510
; %bb.509:                              ;   in Loop: Header=BB36_3 Depth=1
	ds_load_b64 v[38:39], v83 offset:5376
	ds_load_b64 v[92:93], v36 offset:80
	s_wait_dscnt 0x0
	v_fmac_f64_e32 v[34:35], v[38:39], v[92:93]
.LBB36_510:                             ;   in Loop: Header=BB36_3 Depth=1
	s_or_b32 exec_lo, exec_lo, s50
	s_delay_alu instid0(SALU_CYCLE_1) | instskip(SKIP_2) | instid1(SALU_CYCLE_1)
	s_mov_b32 s50, exec_lo
	v_readlane_b32 s51, v97, 18
	s_and_b32 s51, s50, s51
	s_mov_b32 exec_lo, s51
	s_cbranch_execz .LBB36_512
; %bb.511:                              ;   in Loop: Header=BB36_3 Depth=1
	ds_load_b64 v[38:39], v83 offset:5888
	ds_load_b64 v[92:93], v36 offset:88
	s_wait_dscnt 0x0
	v_fmac_f64_e32 v[34:35], v[38:39], v[92:93]
.LBB36_512:                             ;   in Loop: Header=BB36_3 Depth=1
	s_or_b32 exec_lo, exec_lo, s50
	s_delay_alu instid0(SALU_CYCLE_1) | instskip(SKIP_2) | instid1(SALU_CYCLE_1)
	s_mov_b32 s50, exec_lo
	v_readlane_b32 s51, v97, 19
	s_and_b32 s51, s50, s51
	s_mov_b32 exec_lo, s51
	s_cbranch_execz .LBB36_514
; %bb.513:                              ;   in Loop: Header=BB36_3 Depth=1
	ds_load_b64 v[38:39], v83 offset:6400
	ds_load_b64 v[92:93], v36 offset:96
	s_wait_dscnt 0x0
	v_fmac_f64_e32 v[34:35], v[38:39], v[92:93]
.LBB36_514:                             ;   in Loop: Header=BB36_3 Depth=1
	s_or_b32 exec_lo, exec_lo, s50
	s_delay_alu instid0(SALU_CYCLE_1) | instskip(SKIP_2) | instid1(SALU_CYCLE_1)
	s_mov_b32 s50, exec_lo
	v_readlane_b32 s51, v97, 20
	s_and_b32 s51, s50, s51
	s_mov_b32 exec_lo, s51
	s_cbranch_execz .LBB36_516
; %bb.515:                              ;   in Loop: Header=BB36_3 Depth=1
	ds_load_b64 v[38:39], v83 offset:6912
	ds_load_b64 v[92:93], v36 offset:104
	s_wait_dscnt 0x0
	v_fmac_f64_e32 v[34:35], v[38:39], v[92:93]
.LBB36_516:                             ;   in Loop: Header=BB36_3 Depth=1
	s_or_b32 exec_lo, exec_lo, s50
	s_delay_alu instid0(SALU_CYCLE_1) | instskip(SKIP_2) | instid1(SALU_CYCLE_1)
	s_mov_b32 s50, exec_lo
	v_readlane_b32 s51, v97, 21
	s_and_b32 s51, s50, s51
	s_mov_b32 exec_lo, s51
	s_cbranch_execz .LBB36_518
; %bb.517:                              ;   in Loop: Header=BB36_3 Depth=1
	ds_load_b64 v[38:39], v83 offset:7424
	ds_load_b64 v[92:93], v36 offset:112
	s_wait_dscnt 0x0
	v_fmac_f64_e32 v[34:35], v[38:39], v[92:93]
.LBB36_518:                             ;   in Loop: Header=BB36_3 Depth=1
	s_or_b32 exec_lo, exec_lo, s50
	s_delay_alu instid0(SALU_CYCLE_1) | instskip(SKIP_2) | instid1(SALU_CYCLE_1)
	s_mov_b32 s50, exec_lo
	v_readlane_b32 s51, v97, 22
	s_and_b32 s51, s50, s51
	s_mov_b32 exec_lo, s51
	s_cbranch_execz .LBB36_520
; %bb.519:                              ;   in Loop: Header=BB36_3 Depth=1
	ds_load_b64 v[38:39], v83 offset:7936
	ds_load_b64 v[92:93], v36 offset:120
	s_wait_dscnt 0x0
	v_fmac_f64_e32 v[34:35], v[38:39], v[92:93]
.LBB36_520:                             ;   in Loop: Header=BB36_3 Depth=1
	s_or_b32 exec_lo, exec_lo, s50
	s_delay_alu instid0(SALU_CYCLE_1) | instskip(SKIP_2) | instid1(SALU_CYCLE_1)
	s_mov_b32 s50, exec_lo
	v_readlane_b32 s51, v97, 23
	s_and_b32 s51, s50, s51
	s_mov_b32 exec_lo, s51
	s_cbranch_execz .LBB36_522
; %bb.521:                              ;   in Loop: Header=BB36_3 Depth=1
	ds_load_b64 v[38:39], v83 offset:8448
	ds_load_b64 v[92:93], v36 offset:128
	s_wait_dscnt 0x0
	v_fmac_f64_e32 v[34:35], v[38:39], v[92:93]
.LBB36_522:                             ;   in Loop: Header=BB36_3 Depth=1
	s_or_b32 exec_lo, exec_lo, s50
	s_delay_alu instid0(SALU_CYCLE_1) | instskip(SKIP_2) | instid1(SALU_CYCLE_1)
	s_mov_b32 s50, exec_lo
	v_readlane_b32 s51, v97, 24
	s_and_b32 s51, s50, s51
	s_mov_b32 exec_lo, s51
	s_cbranch_execz .LBB36_524
; %bb.523:                              ;   in Loop: Header=BB36_3 Depth=1
	ds_load_b64 v[38:39], v83 offset:8960
	ds_load_b64 v[92:93], v36 offset:136
	s_wait_dscnt 0x0
	v_fmac_f64_e32 v[34:35], v[38:39], v[92:93]
.LBB36_524:                             ;   in Loop: Header=BB36_3 Depth=1
	s_or_b32 exec_lo, exec_lo, s50
	s_delay_alu instid0(SALU_CYCLE_1) | instskip(SKIP_2) | instid1(SALU_CYCLE_1)
	s_mov_b32 s50, exec_lo
	v_readlane_b32 s51, v97, 25
	s_and_b32 s51, s50, s51
	s_mov_b32 exec_lo, s51
	s_cbranch_execz .LBB36_526
; %bb.525:                              ;   in Loop: Header=BB36_3 Depth=1
	ds_load_b64 v[38:39], v83 offset:9472
	ds_load_b64 v[92:93], v36 offset:144
	s_wait_dscnt 0x0
	v_fmac_f64_e32 v[34:35], v[38:39], v[92:93]
.LBB36_526:                             ;   in Loop: Header=BB36_3 Depth=1
	s_or_b32 exec_lo, exec_lo, s50
	s_delay_alu instid0(SALU_CYCLE_1) | instskip(SKIP_2) | instid1(SALU_CYCLE_1)
	s_mov_b32 s50, exec_lo
	v_readlane_b32 s51, v97, 26
	s_and_b32 s51, s50, s51
	s_mov_b32 exec_lo, s51
	s_cbranch_execz .LBB36_528
; %bb.527:                              ;   in Loop: Header=BB36_3 Depth=1
	ds_load_b64 v[38:39], v83 offset:9984
	ds_load_b64 v[92:93], v36 offset:152
	s_wait_dscnt 0x0
	v_fmac_f64_e32 v[34:35], v[38:39], v[92:93]
.LBB36_528:                             ;   in Loop: Header=BB36_3 Depth=1
	s_or_b32 exec_lo, exec_lo, s50
	s_delay_alu instid0(SALU_CYCLE_1) | instskip(SKIP_2) | instid1(SALU_CYCLE_1)
	s_mov_b32 s50, exec_lo
	v_readlane_b32 s51, v97, 27
	s_and_b32 s51, s50, s51
	s_mov_b32 exec_lo, s51
	s_cbranch_execz .LBB36_530
; %bb.529:                              ;   in Loop: Header=BB36_3 Depth=1
	ds_load_b64 v[38:39], v83 offset:10496
	ds_load_b64 v[92:93], v36 offset:160
	s_wait_dscnt 0x0
	v_fmac_f64_e32 v[34:35], v[38:39], v[92:93]
.LBB36_530:                             ;   in Loop: Header=BB36_3 Depth=1
	s_or_b32 exec_lo, exec_lo, s50
	s_delay_alu instid0(SALU_CYCLE_1) | instskip(SKIP_2) | instid1(SALU_CYCLE_1)
	s_mov_b32 s50, exec_lo
	v_readlane_b32 s51, v97, 28
	s_and_b32 s51, s50, s51
	s_mov_b32 exec_lo, s51
	s_cbranch_execz .LBB36_532
; %bb.531:                              ;   in Loop: Header=BB36_3 Depth=1
	ds_load_b64 v[38:39], v83 offset:11008
	ds_load_b64 v[92:93], v36 offset:168
	s_wait_dscnt 0x0
	v_fmac_f64_e32 v[34:35], v[38:39], v[92:93]
.LBB36_532:                             ;   in Loop: Header=BB36_3 Depth=1
	s_or_b32 exec_lo, exec_lo, s50
	s_delay_alu instid0(SALU_CYCLE_1) | instskip(SKIP_2) | instid1(SALU_CYCLE_1)
	s_mov_b32 s50, exec_lo
	v_readlane_b32 s51, v97, 29
	s_and_b32 s51, s50, s51
	s_mov_b32 exec_lo, s51
	s_cbranch_execz .LBB36_534
; %bb.533:                              ;   in Loop: Header=BB36_3 Depth=1
	ds_load_b64 v[38:39], v83 offset:11520
	ds_load_b64 v[92:93], v36 offset:176
	s_wait_dscnt 0x0
	v_fmac_f64_e32 v[34:35], v[38:39], v[92:93]
.LBB36_534:                             ;   in Loop: Header=BB36_3 Depth=1
	s_or_b32 exec_lo, exec_lo, s50
	s_delay_alu instid0(SALU_CYCLE_1) | instskip(SKIP_2) | instid1(SALU_CYCLE_1)
	s_mov_b32 s50, exec_lo
	v_readlane_b32 s51, v97, 30
	s_and_b32 s51, s50, s51
	s_mov_b32 exec_lo, s51
	s_cbranch_execz .LBB36_536
; %bb.535:                              ;   in Loop: Header=BB36_3 Depth=1
	ds_load_b64 v[38:39], v83 offset:12032
	ds_load_b64 v[92:93], v36 offset:184
	s_wait_dscnt 0x0
	v_fmac_f64_e32 v[34:35], v[38:39], v[92:93]
.LBB36_536:                             ;   in Loop: Header=BB36_3 Depth=1
	s_or_b32 exec_lo, exec_lo, s50
	s_and_saveexec_b32 s50, s4
	s_cbranch_execz .LBB36_538
; %bb.537:                              ;   in Loop: Header=BB36_3 Depth=1
	ds_load_b64 v[38:39], v83 offset:12544
	ds_load_b64 v[92:93], v36 offset:192
	s_wait_dscnt 0x0
	v_fmac_f64_e32 v[34:35], v[38:39], v[92:93]
.LBB36_538:                             ;   in Loop: Header=BB36_3 Depth=1
	s_or_b32 exec_lo, exec_lo, s50
	s_delay_alu instid0(SALU_CYCLE_1) | instskip(SKIP_2) | instid1(SALU_CYCLE_1)
	s_mov_b32 s50, exec_lo
	v_readlane_b32 s51, v98, 30
	s_and_b32 s51, s50, s51
	s_mov_b32 exec_lo, s51
	s_cbranch_execz .LBB36_540
; %bb.539:                              ;   in Loop: Header=BB36_3 Depth=1
	ds_load_b64 v[38:39], v83 offset:13056
	ds_load_b64 v[92:93], v36 offset:200
	s_wait_dscnt 0x0
	v_fmac_f64_e32 v[34:35], v[38:39], v[92:93]
.LBB36_540:                             ;   in Loop: Header=BB36_3 Depth=1
	s_or_b32 exec_lo, exec_lo, s50
	s_delay_alu instid0(SALU_CYCLE_1) | instskip(SKIP_2) | instid1(SALU_CYCLE_1)
	s_mov_b32 s50, exec_lo
	v_readlane_b32 s51, v97, 0
	s_and_b32 s51, s50, s51
	s_mov_b32 exec_lo, s51
	;; [unrolled: 13-line block ×5, first 2 shown]
	s_cbranch_execnz .LBB36_1123
; %bb.547:                              ;   in Loop: Header=BB36_3 Depth=1
	s_or_b32 exec_lo, exec_lo, s50
	s_and_saveexec_b32 s50, s3
	s_cbranch_execnz .LBB36_1124
.LBB36_548:                             ;   in Loop: Header=BB36_3 Depth=1
	s_or_b32 exec_lo, exec_lo, s50
	s_and_saveexec_b32 s50, s21
	s_cbranch_execz .LBB36_550
.LBB36_549:                             ;   in Loop: Header=BB36_3 Depth=1
	ds_load_b64 v[36:37], v43 offset:16128
	ds_load_b64 v[38:39], v5 offset:248
	s_wait_dscnt 0x0
	v_fmac_f64_e32 v[34:35], v[36:37], v[38:39]
.LBB36_550:                             ;   in Loop: Header=BB36_3 Depth=1
	s_or_b32 exec_lo, exec_lo, s50
	s_delay_alu instid0(VALU_DEP_1)
	v_xor_b32_e32 v35, 0x80000000, v35
.LBB36_551:                             ;   in Loop: Header=BB36_3 Depth=1
	s_or_b32 exec_lo, exec_lo, s84
	v_dual_mov_b32 v36, v65 :: v_dual_mov_b32 v37, v87
	s_mov_b32 s65, 0
	s_branch .LBB36_553
.LBB36_552:                             ;   in Loop: Header=BB36_553 Depth=2
	s_or_b32 exec_lo, exec_lo, s50
	v_add_nc_u32_e32 v37, 0x800, v37
	v_add_nc_u32_e32 v36, -4, v36
	s_add_co_i32 s65, s65, 4
	s_delay_alu instid0(SALU_CYCLE_1)
	s_cmp_eq_u32 s65, 32
	s_barrier_signal -1
	s_barrier_wait -1
	s_cbranch_scc1 .LBB36_569
.LBB36_553:                             ;   Parent Loop BB36_3 Depth=1
                                        ; =>  This Inner Loop Header: Depth=2
	s_delay_alu instid0(VALU_DEP_1) | instskip(SKIP_1) | instid1(SALU_CYCLE_1)
	v_cmp_eq_u32_e32 vcc_lo, 0, v36
	s_and_b32 s51, s64, vcc_lo
	s_and_saveexec_b32 s50, s51
	s_cbranch_execz .LBB36_555
; %bb.554:                              ;   in Loop: Header=BB36_553 Depth=2
	ds_load_b64 v[38:39], v81 offset:16640
	s_wait_dscnt 0x0
	v_mul_f64_e32 v[34:35], v[34:35], v[38:39]
	ds_store_b64 v82, v[34:35]
.LBB36_555:                             ;   in Loop: Header=BB36_553 Depth=2
	s_or_b32 exec_lo, exec_lo, s50
	v_cmp_lt_u32_e32 vcc_lo, s65, v65
	s_wait_dscnt 0x0
	s_barrier_signal -1
	s_barrier_wait -1
	s_and_b32 s51, s64, vcc_lo
	s_delay_alu instid0(SALU_CYCLE_1)
	s_and_saveexec_b32 s50, s51
	s_cbranch_execz .LBB36_557
; %bb.556:                              ;   in Loop: Header=BB36_553 Depth=2
	ds_load_b64 v[38:39], v37
	ds_load_b64 v[92:93], v82
	s_wait_dscnt 0x0
	v_fmac_f64_e32 v[34:35], v[38:39], v[92:93]
.LBB36_557:                             ;   in Loop: Header=BB36_553 Depth=2
	s_or_b32 exec_lo, exec_lo, s50
	s_or_b32 s50, s65, 1
	s_delay_alu instid0(SALU_CYCLE_1) | instskip(SKIP_3) | instid1(SALU_CYCLE_1)
	v_cmp_eq_u32_e32 vcc_lo, s50, v65
	s_barrier_signal -1
	s_barrier_wait -1
	s_and_b32 s52, s64, vcc_lo
	s_and_saveexec_b32 s51, s52
	s_cbranch_execz .LBB36_559
; %bb.558:                              ;   in Loop: Header=BB36_553 Depth=2
	ds_load_b64 v[38:39], v81 offset:16640
	s_wait_dscnt 0x0
	v_mul_f64_e32 v[34:35], v[34:35], v[38:39]
	ds_store_b64 v82, v[34:35]
.LBB36_559:                             ;   in Loop: Header=BB36_553 Depth=2
	s_or_b32 exec_lo, exec_lo, s51
	v_cmp_lt_u32_e32 vcc_lo, s50, v65
	s_wait_dscnt 0x0
	s_barrier_signal -1
	s_barrier_wait -1
	s_and_b32 s51, s64, vcc_lo
	s_delay_alu instid0(SALU_CYCLE_1)
	s_and_saveexec_b32 s50, s51
	s_cbranch_execz .LBB36_561
; %bb.560:                              ;   in Loop: Header=BB36_553 Depth=2
	ds_load_b64 v[38:39], v37 offset:512
	ds_load_b64 v[92:93], v82
	s_wait_dscnt 0x0
	v_fmac_f64_e32 v[34:35], v[38:39], v[92:93]
.LBB36_561:                             ;   in Loop: Header=BB36_553 Depth=2
	s_or_b32 exec_lo, exec_lo, s50
	s_or_b32 s50, s65, 2
	s_delay_alu instid0(SALU_CYCLE_1) | instskip(SKIP_3) | instid1(SALU_CYCLE_1)
	v_cmp_eq_u32_e32 vcc_lo, s50, v65
	s_barrier_signal -1
	s_barrier_wait -1
	s_and_b32 s52, s64, vcc_lo
	s_and_saveexec_b32 s51, s52
	s_cbranch_execz .LBB36_563
; %bb.562:                              ;   in Loop: Header=BB36_553 Depth=2
	ds_load_b64 v[38:39], v81 offset:16640
	s_wait_dscnt 0x0
	v_mul_f64_e32 v[34:35], v[34:35], v[38:39]
	ds_store_b64 v82, v[34:35]
.LBB36_563:                             ;   in Loop: Header=BB36_553 Depth=2
	s_or_b32 exec_lo, exec_lo, s51
	v_cmp_lt_u32_e32 vcc_lo, s50, v65
	s_wait_dscnt 0x0
	s_barrier_signal -1
	s_barrier_wait -1
	s_and_b32 s51, s64, vcc_lo
	s_delay_alu instid0(SALU_CYCLE_1)
	s_and_saveexec_b32 s50, s51
	s_cbranch_execz .LBB36_565
; %bb.564:                              ;   in Loop: Header=BB36_553 Depth=2
	ds_load_b64 v[38:39], v37 offset:1024
	ds_load_b64 v[92:93], v82
	s_wait_dscnt 0x0
	v_fmac_f64_e32 v[34:35], v[38:39], v[92:93]
.LBB36_565:                             ;   in Loop: Header=BB36_553 Depth=2
	s_or_b32 exec_lo, exec_lo, s50
	s_or_b32 s50, s65, 3
	s_delay_alu instid0(SALU_CYCLE_1) | instskip(SKIP_3) | instid1(SALU_CYCLE_1)
	v_cmp_eq_u32_e32 vcc_lo, s50, v65
	s_barrier_signal -1
	s_barrier_wait -1
	s_and_b32 s52, s64, vcc_lo
	s_and_saveexec_b32 s51, s52
	s_cbranch_execz .LBB36_567
; %bb.566:                              ;   in Loop: Header=BB36_553 Depth=2
	ds_load_b64 v[38:39], v81 offset:16640
	s_wait_dscnt 0x0
	v_mul_f64_e32 v[34:35], v[34:35], v[38:39]
	ds_store_b64 v82, v[34:35]
.LBB36_567:                             ;   in Loop: Header=BB36_553 Depth=2
	s_or_b32 exec_lo, exec_lo, s51
	v_cmp_lt_u32_e32 vcc_lo, s50, v65
	s_wait_dscnt 0x0
	s_barrier_signal -1
	s_barrier_wait -1
	s_and_b32 s51, s64, vcc_lo
	s_delay_alu instid0(SALU_CYCLE_1)
	s_and_saveexec_b32 s50, s51
	s_cbranch_execz .LBB36_552
; %bb.568:                              ;   in Loop: Header=BB36_553 Depth=2
	ds_load_b64 v[38:39], v37 offset:1536
	ds_load_b64 v[92:93], v82
	s_wait_dscnt 0x0
	v_fmac_f64_e32 v[34:35], v[38:39], v[92:93]
	s_branch .LBB36_552
.LBB36_569:                             ;   in Loop: Header=BB36_3 Depth=1
	s_and_saveexec_b32 s50, s35
; %bb.570:                              ;   in Loop: Header=BB36_3 Depth=1
	s_delay_alu instid0(VALU_DEP_3)
	v_xor_b32_e32 v35, 0x80000000, v35
	ds_store_b64 v83, v[34:35] offset:256
; %bb.571:                              ;   in Loop: Header=BB36_3 Depth=1
	s_or_b32 exec_lo, exec_lo, s50
	s_wait_dscnt 0x0
	s_barrier_signal -1
	s_barrier_wait -1
	s_barrier_signal -1
	s_barrier_wait -1
	s_mov_b32 s65, exec_lo
	v_readlane_b32 s50, v98, 11
	s_and_b32 s50, s65, s50
	s_delay_alu instid0(SALU_CYCLE_1)
	s_mov_b32 exec_lo, s50
	s_cbranch_execz .LBB36_573
; %bb.572:                              ;   in Loop: Header=BB36_3 Depth=1
	ds_load_b64 v[34:35], v46 offset:256
	s_wait_dscnt 0x0
	ds_store_b64 v50, v[34:35] offset:16384
	ds_load_b64 v[34:35], v46 offset:264
	s_wait_dscnt 0x0
	ds_store_b64 v50, v[34:35] offset:16896
	;; [unrolled: 3-line block ×32, first 2 shown]
.LBB36_573:                             ;   in Loop: Header=BB36_3 Depth=1
	s_or_b32 exec_lo, exec_lo, s65
	s_wait_dscnt 0x0
	s_barrier_signal -1
	s_barrier_wait -1
	s_and_saveexec_b32 s50, s14
	s_cbranch_execz .LBB36_575
; %bb.574:                              ;   in Loop: Header=BB36_3 Depth=1
	ds_load_b128 v[34:37], v5 offset:16640
	ds_load_b64 v[38:39], v5 offset:17160
	s_wait_dscnt 0x0
	v_mul_f64_e32 v[34:35], v[34:35], v[38:39]
	s_delay_alu instid0(VALU_DEP_1)
	v_mul_f64_e32 v[34:35], v[36:37], v[34:35]
	v_add_nc_u32_e64 v36, 0x4000, 0
	ds_store_2addr_b64 v36, v[34:35], v[34:35] offset0:33 offset1:96
.LBB36_575:                             ;   in Loop: Header=BB36_3 Depth=1
	s_or_b32 exec_lo, exec_lo, s50
	v_mov_b64_e32 v[34:35], 0
	s_wait_dscnt 0x0
	s_barrier_signal -1
	s_barrier_wait -1
	s_and_saveexec_b32 s50, s0
	s_cbranch_execz .LBB36_579
; %bb.576:                              ;   in Loop: Header=BB36_3 Depth=1
	ds_load_b64 v[34:35], v41 offset:16656
	ds_load_b64 v[36:37], v42 offset:16640
	s_wait_dscnt 0x0
	v_fma_f64 v[34:35], v[34:35], v[36:37], 0
	s_and_saveexec_b32 s51, s15
	s_cbranch_execz .LBB36_578
; %bb.577:                              ;   in Loop: Header=BB36_3 Depth=1
	ds_load_b64 v[36:37], v43 offset:17168
	ds_load_b64 v[38:39], v5 offset:16648
	s_wait_dscnt 0x0
	v_fmac_f64_e32 v[34:35], v[36:37], v[38:39]
.LBB36_578:                             ;   in Loop: Header=BB36_3 Depth=1
	s_or_b32 exec_lo, exec_lo, s51
	s_delay_alu instid0(VALU_DEP_1)
	v_xor_b32_e32 v35, 0x80000000, v35
.LBB36_579:                             ;   in Loop: Header=BB36_3 Depth=1
	s_or_b32 exec_lo, exec_lo, s50
	s_and_saveexec_b32 s50, s94
	s_cbranch_execz .LBB36_581
; %bb.580:                              ;   in Loop: Header=BB36_3 Depth=1
	ds_load_b64 v[36:37], v5 offset:17680
	s_wait_dscnt 0x0
	v_mul_f64_e32 v[34:35], v[34:35], v[36:37]
	ds_store_b64 v3, v[34:35]
.LBB36_581:                             ;   in Loop: Header=BB36_3 Depth=1
	s_or_b32 exec_lo, exec_lo, s50
	s_wait_dscnt 0x0
	s_barrier_signal -1
	s_barrier_wait -1
	s_and_saveexec_b32 s50, s95
	s_cbranch_execz .LBB36_583
; %bb.582:                              ;   in Loop: Header=BB36_3 Depth=1
	ds_load_b64 v[36:37], v5 offset:17688
	ds_load_b64 v[38:39], v3
	s_wait_dscnt 0x0
	v_fmac_f64_e32 v[34:35], v[36:37], v[38:39]
.LBB36_583:                             ;   in Loop: Header=BB36_3 Depth=1
	s_or_b32 exec_lo, exec_lo, s50
	s_barrier_signal -1
	s_barrier_wait -1
	s_and_saveexec_b32 s50, s95
	s_cbranch_execz .LBB36_585
; %bb.584:                              ;   in Loop: Header=BB36_3 Depth=1
	ds_load_b64 v[36:37], v5 offset:18200
	s_wait_dscnt 0x0
	v_mul_f64_e32 v[34:35], v[34:35], v[36:37]
	ds_store_b64 v3, v[34:35]
.LBB36_585:                             ;   in Loop: Header=BB36_3 Depth=1
	s_or_b32 exec_lo, exec_lo, s50
	s_wait_dscnt 0x0
	s_barrier_signal -1
	s_barrier_wait -1
	s_barrier_signal -1
	s_barrier_wait -1
	s_and_saveexec_b32 s50, s0
; %bb.586:                              ;   in Loop: Header=BB36_3 Depth=1
	s_delay_alu instid0(VALU_DEP_1)
	v_xor_b32_e32 v35, 0x80000000, v35
	ds_store_b64 v41, v[34:35] offset:16656
; %bb.587:                              ;   in Loop: Header=BB36_3 Depth=1
	s_or_b32 exec_lo, exec_lo, s50
	s_wait_dscnt 0x0
	s_barrier_signal -1
	s_barrier_wait -1
	s_barrier_signal -1
	s_barrier_wait -1
	s_and_saveexec_b32 s50, s96
	s_cbranch_execz .LBB36_589
; %bb.588:                              ;   in Loop: Header=BB36_3 Depth=1
	ds_load_b64 v[34:35], v46 offset:16656
	s_wait_dscnt 0x0
	ds_store_b64 v43, v[34:35] offset:17664
	ds_load_b64 v[34:35], v46 offset:16664
	s_wait_dscnt 0x0
	ds_store_b64 v43, v[34:35] offset:18176
.LBB36_589:                             ;   in Loop: Header=BB36_3 Depth=1
	s_or_b32 exec_lo, exec_lo, s50
	s_wait_dscnt 0x0
	s_barrier_signal -1
	s_barrier_wait -1
	s_and_saveexec_b32 s50, s14
	s_cbranch_execz .LBB36_591
; %bb.590:                              ;   in Loop: Header=BB36_3 Depth=1
	ds_load_b128 v[34:37], v5 offset:17680
	ds_load_b64 v[38:39], v5 offset:18200
	s_wait_dscnt 0x0
	v_mul_f64_e32 v[34:35], v[34:35], v[38:39]
	s_delay_alu instid0(VALU_DEP_1)
	v_mul_f64_e32 v[34:35], v[36:37], v[34:35]
	v_add_nc_u32_e64 v36, 0x4000, 0
	ds_store_2addr_b64 v36, v[34:35], v[34:35] offset0:163 offset1:226
.LBB36_591:                             ;   in Loop: Header=BB36_3 Depth=1
	s_or_b32 exec_lo, exec_lo, s50
	v_mov_b64_e32 v[34:35], 0
	s_wait_dscnt 0x0
	s_barrier_signal -1
	s_barrier_wait -1
	s_and_saveexec_b32 s65, s2
	s_cbranch_execz .LBB36_597
; %bb.592:                              ;   in Loop: Header=BB36_3 Depth=1
	ds_load_b64 v[34:35], v48 offset:16672
	ds_load_b64 v[36:37], v44 offset:16640
	s_wait_dscnt 0x0
	v_fma_f64 v[34:35], v[34:35], v[36:37], 0
	s_and_saveexec_b32 s50, s16
	s_cbranch_execnz .LBB36_1125
; %bb.593:                              ;   in Loop: Header=BB36_3 Depth=1
	s_or_b32 exec_lo, exec_lo, s50
	s_and_saveexec_b32 s50, s17
	s_cbranch_execnz .LBB36_1126
.LBB36_594:                             ;   in Loop: Header=BB36_3 Depth=1
	s_or_b32 exec_lo, exec_lo, s50
	s_and_saveexec_b32 s50, s0
	s_cbranch_execz .LBB36_596
.LBB36_595:                             ;   in Loop: Header=BB36_3 Depth=1
	ds_load_b64 v[36:37], v50 offset:18208
	ds_load_b64 v[38:39], v5 offset:16664
	s_wait_dscnt 0x0
	v_fmac_f64_e32 v[34:35], v[36:37], v[38:39]
.LBB36_596:                             ;   in Loop: Header=BB36_3 Depth=1
	s_or_b32 exec_lo, exec_lo, s50
	s_delay_alu instid0(VALU_DEP_1)
	v_xor_b32_e32 v35, 0x80000000, v35
.LBB36_597:                             ;   in Loop: Header=BB36_3 Depth=1
	s_or_b32 exec_lo, exec_lo, s65
	s_and_saveexec_b32 s50, s97
	s_cbranch_execz .LBB36_599
; %bb.598:                              ;   in Loop: Header=BB36_3 Depth=1
	ds_load_b64 v[36:37], v5 offset:18720
	s_wait_dscnt 0x0
	v_mul_f64_e32 v[34:35], v[34:35], v[36:37]
	ds_store_b64 v47, v[34:35]
.LBB36_599:                             ;   in Loop: Header=BB36_3 Depth=1
	s_or_b32 exec_lo, exec_lo, s50
	s_wait_dscnt 0x0
	s_barrier_signal -1
	s_barrier_wait -1
	s_and_saveexec_b32 s50, s98
	s_cbranch_execz .LBB36_601
; %bb.600:                              ;   in Loop: Header=BB36_3 Depth=1
	ds_load_b64 v[36:37], v45 offset:18720
	ds_load_b64 v[38:39], v47
	s_wait_dscnt 0x0
	v_fmac_f64_e32 v[34:35], v[36:37], v[38:39]
.LBB36_601:                             ;   in Loop: Header=BB36_3 Depth=1
	s_or_b32 exec_lo, exec_lo, s50
	s_barrier_signal -1
	s_barrier_wait -1
	s_and_saveexec_b32 s50, s99
	s_cbranch_execz .LBB36_603
; %bb.602:                              ;   in Loop: Header=BB36_3 Depth=1
	ds_load_b64 v[36:37], v5 offset:19240
	s_wait_dscnt 0x0
	v_mul_f64_e32 v[34:35], v[34:35], v[36:37]
	ds_store_b64 v47, v[34:35]
.LBB36_603:                             ;   in Loop: Header=BB36_3 Depth=1
	s_or_b32 exec_lo, exec_lo, s50
	s_wait_dscnt 0x0
	s_barrier_signal -1
	s_barrier_wait -1
	s_and_saveexec_b32 s50, s100
	s_cbranch_execz .LBB36_605
; %bb.604:                              ;   in Loop: Header=BB36_3 Depth=1
	ds_load_b64 v[36:37], v45 offset:19232
	ds_load_b64 v[38:39], v47
	s_wait_dscnt 0x0
	v_fmac_f64_e32 v[34:35], v[36:37], v[38:39]
.LBB36_605:                             ;   in Loop: Header=BB36_3 Depth=1
	s_or_b32 exec_lo, exec_lo, s50
	s_barrier_signal -1
	s_barrier_wait -1
	;; [unrolled: 23-line block ×3, first 2 shown]
	s_and_saveexec_b32 s50, s102
	s_cbranch_execz .LBB36_611
; %bb.610:                              ;   in Loop: Header=BB36_3 Depth=1
	ds_load_b64 v[36:37], v5 offset:20280
	s_wait_dscnt 0x0
	v_mul_f64_e32 v[34:35], v[34:35], v[36:37]
	ds_store_b64 v47, v[34:35]
.LBB36_611:                             ;   in Loop: Header=BB36_3 Depth=1
	s_or_b32 exec_lo, exec_lo, s50
	s_wait_dscnt 0x0
	s_barrier_signal -1
	s_barrier_wait -1
	s_barrier_signal -1
	s_barrier_wait -1
	s_and_saveexec_b32 s50, s2
; %bb.612:                              ;   in Loop: Header=BB36_3 Depth=1
	s_delay_alu instid0(VALU_DEP_1)
	v_xor_b32_e32 v35, 0x80000000, v35
	ds_store_b64 v48, v[34:35] offset:16672
; %bb.613:                              ;   in Loop: Header=BB36_3 Depth=1
	s_or_b32 exec_lo, exec_lo, s50
	s_wait_dscnt 0x0
	s_barrier_signal -1
	s_barrier_wait -1
	s_barrier_signal -1
	s_barrier_wait -1
	s_and_saveexec_b32 s50, s103
	s_cbranch_execz .LBB36_615
; %bb.614:                              ;   in Loop: Header=BB36_3 Depth=1
	ds_load_b64 v[34:35], v51 offset:16672
	s_wait_dscnt 0x0
	ds_store_b64 v52, v[34:35] offset:18688
	ds_load_b64 v[34:35], v51 offset:16680
	s_wait_dscnt 0x0
	ds_store_b64 v52, v[34:35] offset:19200
	;; [unrolled: 3-line block ×4, first 2 shown]
.LBB36_615:                             ;   in Loop: Header=BB36_3 Depth=1
	s_or_b32 exec_lo, exec_lo, s50
	s_wait_dscnt 0x0
	s_barrier_signal -1
	s_barrier_wait -1
	s_and_saveexec_b32 s50, s14
	s_cbranch_execz .LBB36_617
; %bb.616:                              ;   in Loop: Header=BB36_3 Depth=1
	ds_load_b128 v[34:37], v5 offset:18720
	ds_load_b64 v[38:39], v5 offset:19240
	s_wait_dscnt 0x0
	v_mul_f64_e32 v[34:35], v[34:35], v[38:39]
	s_delay_alu instid0(VALU_DEP_1)
	v_mul_f64_e32 v[34:35], v[36:37], v[34:35]
	v_add_nc_u32_e64 v36, 0x4800, 0
	ds_store_2addr_b64 v36, v[34:35], v[34:35] offset0:37 offset1:100
.LBB36_617:                             ;   in Loop: Header=BB36_3 Depth=1
	s_or_b32 exec_lo, exec_lo, s50
	v_mov_b64_e32 v[34:35], 0
	s_wait_dscnt 0x0
	s_barrier_signal -1
	s_barrier_wait -1
	s_and_saveexec_b32 s50, s0
	s_cbranch_execz .LBB36_621
; %bb.618:                              ;   in Loop: Header=BB36_3 Depth=1
	ds_load_b64 v[34:35], v41 offset:18736
	ds_load_b64 v[36:37], v42 offset:18720
	s_wait_dscnt 0x0
	v_fma_f64 v[34:35], v[34:35], v[36:37], 0
	s_and_saveexec_b32 s51, s15
	s_cbranch_execz .LBB36_620
; %bb.619:                              ;   in Loop: Header=BB36_3 Depth=1
	ds_load_b64 v[36:37], v52 offset:19248
	ds_load_b64 v[38:39], v5 offset:18728
	s_wait_dscnt 0x0
	v_fmac_f64_e32 v[34:35], v[36:37], v[38:39]
.LBB36_620:                             ;   in Loop: Header=BB36_3 Depth=1
	s_or_b32 exec_lo, exec_lo, s51
	s_delay_alu instid0(VALU_DEP_1)
	v_xor_b32_e32 v35, 0x80000000, v35
.LBB36_621:                             ;   in Loop: Header=BB36_3 Depth=1
	s_or_b32 exec_lo, exec_lo, s50
	s_and_saveexec_b32 s50, s94
	s_cbranch_execz .LBB36_623
; %bb.622:                              ;   in Loop: Header=BB36_3 Depth=1
	ds_load_b64 v[36:37], v5 offset:19760
	s_wait_dscnt 0x0
	v_mul_f64_e32 v[34:35], v[34:35], v[36:37]
	ds_store_b64 v3, v[34:35]
.LBB36_623:                             ;   in Loop: Header=BB36_3 Depth=1
	s_or_b32 exec_lo, exec_lo, s50
	s_wait_dscnt 0x0
	s_barrier_signal -1
	s_barrier_wait -1
	s_and_saveexec_b32 s50, s95
	s_cbranch_execz .LBB36_625
; %bb.624:                              ;   in Loop: Header=BB36_3 Depth=1
	ds_load_b64 v[36:37], v5 offset:19768
	ds_load_b64 v[38:39], v3
	s_wait_dscnt 0x0
	v_fmac_f64_e32 v[34:35], v[36:37], v[38:39]
.LBB36_625:                             ;   in Loop: Header=BB36_3 Depth=1
	s_or_b32 exec_lo, exec_lo, s50
	s_barrier_signal -1
	s_barrier_wait -1
	s_and_saveexec_b32 s50, s95
	s_cbranch_execz .LBB36_627
; %bb.626:                              ;   in Loop: Header=BB36_3 Depth=1
	ds_load_b64 v[36:37], v5 offset:20280
	s_wait_dscnt 0x0
	v_mul_f64_e32 v[34:35], v[34:35], v[36:37]
	ds_store_b64 v3, v[34:35]
.LBB36_627:                             ;   in Loop: Header=BB36_3 Depth=1
	s_or_b32 exec_lo, exec_lo, s50
	s_wait_dscnt 0x0
	s_barrier_signal -1
	s_barrier_wait -1
	s_barrier_signal -1
	s_barrier_wait -1
	s_and_saveexec_b32 s50, s0
; %bb.628:                              ;   in Loop: Header=BB36_3 Depth=1
	s_delay_alu instid0(VALU_DEP_1)
	v_xor_b32_e32 v35, 0x80000000, v35
	ds_store_b64 v41, v[34:35] offset:18736
; %bb.629:                              ;   in Loop: Header=BB36_3 Depth=1
	s_or_b32 exec_lo, exec_lo, s50
	s_wait_dscnt 0x0
	s_barrier_signal -1
	s_barrier_wait -1
	s_barrier_signal -1
	s_barrier_wait -1
	s_and_saveexec_b32 s50, s96
	s_cbranch_execz .LBB36_631
; %bb.630:                              ;   in Loop: Header=BB36_3 Depth=1
	ds_load_b64 v[34:35], v55 offset:18736
	s_wait_dscnt 0x0
	ds_store_b64 v52, v[34:35] offset:19744
	ds_load_b64 v[34:35], v55 offset:18744
	s_wait_dscnt 0x0
	ds_store_b64 v52, v[34:35] offset:20256
.LBB36_631:                             ;   in Loop: Header=BB36_3 Depth=1
	s_or_b32 exec_lo, exec_lo, s50
	s_wait_dscnt 0x0
	s_barrier_signal -1
	s_barrier_wait -1
	s_and_saveexec_b32 s50, s14
	s_cbranch_execz .LBB36_633
; %bb.632:                              ;   in Loop: Header=BB36_3 Depth=1
	ds_load_b128 v[34:37], v5 offset:19760
	ds_load_b64 v[38:39], v5 offset:20280
	s_wait_dscnt 0x0
	v_mul_f64_e32 v[34:35], v[34:35], v[38:39]
	s_delay_alu instid0(VALU_DEP_1)
	v_mul_f64_e32 v[34:35], v[36:37], v[34:35]
	v_add_nc_u32_e64 v36, 0x4800, 0
	ds_store_2addr_b64 v36, v[34:35], v[34:35] offset0:167 offset1:230
.LBB36_633:                             ;   in Loop: Header=BB36_3 Depth=1
	s_or_b32 exec_lo, exec_lo, s50
	v_mov_b64_e32 v[34:35], 0
	s_wait_dscnt 0x0
	s_barrier_signal -1
	s_barrier_wait -1
	s_and_saveexec_b32 s65, s3
	s_cbranch_execz .LBB36_643
; %bb.634:                              ;   in Loop: Header=BB36_3 Depth=1
	ds_load_b64 v[34:35], v57 offset:16704
	ds_load_b64 v[36:37], v53 offset:16640
	s_wait_dscnt 0x0
	v_fma_f64 v[34:35], v[34:35], v[36:37], 0
	s_and_saveexec_b32 s50, s18
	s_cbranch_execnz .LBB36_1127
; %bb.635:                              ;   in Loop: Header=BB36_3 Depth=1
	s_or_b32 exec_lo, exec_lo, s50
	s_and_saveexec_b32 s50, s19
	s_cbranch_execnz .LBB36_1128
.LBB36_636:                             ;   in Loop: Header=BB36_3 Depth=1
	s_or_b32 exec_lo, exec_lo, s50
	s_and_saveexec_b32 s50, s20
	s_cbranch_execnz .LBB36_1129
.LBB36_637:                             ;   in Loop: Header=BB36_3 Depth=1
	s_or_b32 exec_lo, exec_lo, s50
	s_and_saveexec_b32 s50, s21
	s_cbranch_execnz .LBB36_1130
.LBB36_638:                             ;   in Loop: Header=BB36_3 Depth=1
	s_or_b32 exec_lo, exec_lo, s50
	s_and_saveexec_b32 s50, s22
	s_cbranch_execnz .LBB36_1131
.LBB36_639:                             ;   in Loop: Header=BB36_3 Depth=1
	s_or_b32 exec_lo, exec_lo, s50
	s_and_saveexec_b32 s50, s2
	s_cbranch_execnz .LBB36_1132
.LBB36_640:                             ;   in Loop: Header=BB36_3 Depth=1
	s_or_b32 exec_lo, exec_lo, s50
	s_and_saveexec_b32 s50, s17
	s_cbranch_execz .LBB36_642
.LBB36_641:                             ;   in Loop: Header=BB36_3 Depth=1
	ds_load_b64 v[36:37], v59 offset:20288
	ds_load_b64 v[38:39], v5 offset:16696
	s_wait_dscnt 0x0
	v_fmac_f64_e32 v[34:35], v[36:37], v[38:39]
.LBB36_642:                             ;   in Loop: Header=BB36_3 Depth=1
	s_or_b32 exec_lo, exec_lo, s50
	s_delay_alu instid0(VALU_DEP_1)
	v_xor_b32_e32 v35, 0x80000000, v35
.LBB36_643:                             ;   in Loop: Header=BB36_3 Depth=1
	s_or_b32 exec_lo, exec_lo, s65
	s_and_saveexec_b32 s50, s104
	s_cbranch_execz .LBB36_645
; %bb.644:                              ;   in Loop: Header=BB36_3 Depth=1
	ds_load_b64 v[36:37], v5 offset:20800
	s_wait_dscnt 0x0
	v_mul_f64_e32 v[34:35], v[34:35], v[36:37]
	ds_store_b64 v56, v[34:35]
.LBB36_645:                             ;   in Loop: Header=BB36_3 Depth=1
	s_or_b32 exec_lo, exec_lo, s50
	s_wait_dscnt 0x0
	s_barrier_signal -1
	s_barrier_wait -1
	s_and_saveexec_b32 s50, vcc_hi
	s_cbranch_execz .LBB36_647
; %bb.646:                              ;   in Loop: Header=BB36_3 Depth=1
	ds_load_b64 v[36:37], v54 offset:20800
	ds_load_b64 v[38:39], v56
	s_wait_dscnt 0x0
	v_fmac_f64_e32 v[34:35], v[36:37], v[38:39]
.LBB36_647:                             ;   in Loop: Header=BB36_3 Depth=1
	s_or_b32 exec_lo, exec_lo, s50
	s_barrier_signal -1
	s_barrier_wait -1
	s_and_saveexec_b32 s50, s36
	s_cbranch_execz .LBB36_649
; %bb.648:                              ;   in Loop: Header=BB36_3 Depth=1
	ds_load_b64 v[36:37], v5 offset:21320
	s_wait_dscnt 0x0
	v_mul_f64_e32 v[34:35], v[34:35], v[36:37]
	ds_store_b64 v56, v[34:35]
.LBB36_649:                             ;   in Loop: Header=BB36_3 Depth=1
	s_or_b32 exec_lo, exec_lo, s50
	s_wait_dscnt 0x0
	s_barrier_signal -1
	s_barrier_wait -1
	s_and_saveexec_b32 s50, s37
	s_cbranch_execz .LBB36_651
; %bb.650:                              ;   in Loop: Header=BB36_3 Depth=1
	ds_load_b64 v[36:37], v54 offset:21312
	ds_load_b64 v[38:39], v56
	s_wait_dscnt 0x0
	v_fmac_f64_e32 v[34:35], v[36:37], v[38:39]
.LBB36_651:                             ;   in Loop: Header=BB36_3 Depth=1
	s_or_b32 exec_lo, exec_lo, s50
	s_barrier_signal -1
	s_barrier_wait -1
	s_and_saveexec_b32 s50, s38
	s_cbranch_execz .LBB36_653
; %bb.652:                              ;   in Loop: Header=BB36_3 Depth=1
	ds_load_b64 v[36:37], v5 offset:21840
	s_wait_dscnt 0x0
	v_mul_f64_e32 v[34:35], v[34:35], v[36:37]
	ds_store_b64 v56, v[34:35]
.LBB36_653:                             ;   in Loop: Header=BB36_3 Depth=1
	s_or_b32 exec_lo, exec_lo, s50
	s_wait_dscnt 0x0
	s_barrier_signal -1
	s_barrier_wait -1
	s_and_saveexec_b32 s50, s39
	;; [unrolled: 23-line block ×6, first 2 shown]
	s_cbranch_execz .LBB36_671
; %bb.670:                              ;   in Loop: Header=BB36_3 Depth=1
	ds_load_b64 v[36:37], v5 offset:23928
	ds_load_b64 v[38:39], v56
	s_wait_dscnt 0x0
	v_fmac_f64_e32 v[34:35], v[36:37], v[38:39]
.LBB36_671:                             ;   in Loop: Header=BB36_3 Depth=1
	s_or_b32 exec_lo, exec_lo, s50
	s_barrier_signal -1
	s_barrier_wait -1
	s_and_saveexec_b32 s50, s47
	s_cbranch_execz .LBB36_673
; %bb.672:                              ;   in Loop: Header=BB36_3 Depth=1
	ds_load_b64 v[36:37], v5 offset:24440
	s_wait_dscnt 0x0
	v_mul_f64_e32 v[34:35], v[34:35], v[36:37]
	ds_store_b64 v56, v[34:35]
.LBB36_673:                             ;   in Loop: Header=BB36_3 Depth=1
	s_or_b32 exec_lo, exec_lo, s50
	s_wait_dscnt 0x0
	s_barrier_signal -1
	s_barrier_wait -1
	s_barrier_signal -1
	s_barrier_wait -1
	s_and_saveexec_b32 s50, s3
; %bb.674:                              ;   in Loop: Header=BB36_3 Depth=1
	s_delay_alu instid0(VALU_DEP_1)
	v_xor_b32_e32 v35, 0x80000000, v35
	ds_store_b64 v57, v[34:35] offset:16704
; %bb.675:                              ;   in Loop: Header=BB36_3 Depth=1
	s_or_b32 exec_lo, exec_lo, s50
	s_wait_dscnt 0x0
	s_barrier_signal -1
	s_barrier_wait -1
	s_barrier_signal -1
	s_barrier_wait -1
	s_and_saveexec_b32 s50, s48
	s_cbranch_execz .LBB36_677
; %bb.676:                              ;   in Loop: Header=BB36_3 Depth=1
	ds_load_b64 v[34:35], v68 offset:16704
	s_wait_dscnt 0x0
	ds_store_b64 v69, v[34:35] offset:20736
	ds_load_b64 v[34:35], v68 offset:16712
	s_wait_dscnt 0x0
	ds_store_b64 v69, v[34:35] offset:21248
	;; [unrolled: 3-line block ×8, first 2 shown]
.LBB36_677:                             ;   in Loop: Header=BB36_3 Depth=1
	s_or_b32 exec_lo, exec_lo, s50
	s_wait_dscnt 0x0
	s_barrier_signal -1
	s_barrier_wait -1
	s_and_saveexec_b32 s50, s14
	s_cbranch_execz .LBB36_679
; %bb.678:                              ;   in Loop: Header=BB36_3 Depth=1
	ds_load_b128 v[34:37], v5 offset:20800
	ds_load_b64 v[38:39], v5 offset:21320
	s_wait_dscnt 0x0
	v_mul_f64_e32 v[34:35], v[34:35], v[38:39]
	s_delay_alu instid0(VALU_DEP_1)
	v_mul_f64_e32 v[34:35], v[36:37], v[34:35]
	v_add_nc_u32_e64 v36, 0x5000, 0
	ds_store_2addr_b64 v36, v[34:35], v[34:35] offset0:41 offset1:104
.LBB36_679:                             ;   in Loop: Header=BB36_3 Depth=1
	s_or_b32 exec_lo, exec_lo, s50
	v_mov_b64_e32 v[34:35], 0
	s_wait_dscnt 0x0
	s_barrier_signal -1
	s_barrier_wait -1
	s_and_saveexec_b32 s50, s0
	s_cbranch_execz .LBB36_683
; %bb.680:                              ;   in Loop: Header=BB36_3 Depth=1
	ds_load_b64 v[34:35], v41 offset:20816
	ds_load_b64 v[36:37], v42 offset:20800
	s_wait_dscnt 0x0
	v_fma_f64 v[34:35], v[34:35], v[36:37], 0
	s_and_saveexec_b32 s51, s15
	s_cbranch_execz .LBB36_682
; %bb.681:                              ;   in Loop: Header=BB36_3 Depth=1
	ds_load_b64 v[36:37], v69 offset:21328
	ds_load_b64 v[38:39], v5 offset:20808
	s_wait_dscnt 0x0
	v_fmac_f64_e32 v[34:35], v[36:37], v[38:39]
.LBB36_682:                             ;   in Loop: Header=BB36_3 Depth=1
	s_or_b32 exec_lo, exec_lo, s51
	s_delay_alu instid0(VALU_DEP_1)
	v_xor_b32_e32 v35, 0x80000000, v35
.LBB36_683:                             ;   in Loop: Header=BB36_3 Depth=1
	s_or_b32 exec_lo, exec_lo, s50
	s_and_saveexec_b32 s50, s94
	s_cbranch_execz .LBB36_685
; %bb.684:                              ;   in Loop: Header=BB36_3 Depth=1
	ds_load_b64 v[36:37], v5 offset:21840
	s_wait_dscnt 0x0
	v_mul_f64_e32 v[34:35], v[34:35], v[36:37]
	ds_store_b64 v3, v[34:35]
.LBB36_685:                             ;   in Loop: Header=BB36_3 Depth=1
	s_or_b32 exec_lo, exec_lo, s50
	s_wait_dscnt 0x0
	s_barrier_signal -1
	s_barrier_wait -1
	s_and_saveexec_b32 s50, s95
	s_cbranch_execz .LBB36_687
; %bb.686:                              ;   in Loop: Header=BB36_3 Depth=1
	ds_load_b64 v[36:37], v5 offset:21848
	ds_load_b64 v[38:39], v3
	s_wait_dscnt 0x0
	v_fmac_f64_e32 v[34:35], v[36:37], v[38:39]
.LBB36_687:                             ;   in Loop: Header=BB36_3 Depth=1
	s_or_b32 exec_lo, exec_lo, s50
	s_barrier_signal -1
	s_barrier_wait -1
	s_and_saveexec_b32 s50, s95
	s_cbranch_execz .LBB36_689
; %bb.688:                              ;   in Loop: Header=BB36_3 Depth=1
	ds_load_b64 v[36:37], v5 offset:22360
	s_wait_dscnt 0x0
	v_mul_f64_e32 v[34:35], v[34:35], v[36:37]
	ds_store_b64 v3, v[34:35]
.LBB36_689:                             ;   in Loop: Header=BB36_3 Depth=1
	s_or_b32 exec_lo, exec_lo, s50
	s_wait_dscnt 0x0
	s_barrier_signal -1
	s_barrier_wait -1
	s_barrier_signal -1
	s_barrier_wait -1
	s_and_saveexec_b32 s50, s0
; %bb.690:                              ;   in Loop: Header=BB36_3 Depth=1
	s_delay_alu instid0(VALU_DEP_1)
	v_xor_b32_e32 v35, 0x80000000, v35
	ds_store_b64 v41, v[34:35] offset:20816
; %bb.691:                              ;   in Loop: Header=BB36_3 Depth=1
	s_or_b32 exec_lo, exec_lo, s50
	s_wait_dscnt 0x0
	s_barrier_signal -1
	s_barrier_wait -1
	s_barrier_signal -1
	s_barrier_wait -1
	s_and_saveexec_b32 s50, s96
	s_cbranch_execz .LBB36_693
; %bb.692:                              ;   in Loop: Header=BB36_3 Depth=1
	ds_load_b64 v[34:35], v70 offset:20816
	s_wait_dscnt 0x0
	ds_store_b64 v69, v[34:35] offset:21824
	ds_load_b64 v[34:35], v70 offset:20824
	s_wait_dscnt 0x0
	ds_store_b64 v69, v[34:35] offset:22336
.LBB36_693:                             ;   in Loop: Header=BB36_3 Depth=1
	s_or_b32 exec_lo, exec_lo, s50
	s_wait_dscnt 0x0
	s_barrier_signal -1
	s_barrier_wait -1
	s_and_saveexec_b32 s50, s14
	s_cbranch_execz .LBB36_695
; %bb.694:                              ;   in Loop: Header=BB36_3 Depth=1
	ds_load_b128 v[34:37], v5 offset:21840
	ds_load_b64 v[38:39], v5 offset:22360
	s_wait_dscnt 0x0
	v_mul_f64_e32 v[34:35], v[34:35], v[38:39]
	s_delay_alu instid0(VALU_DEP_1)
	v_mul_f64_e32 v[34:35], v[36:37], v[34:35]
	v_add_nc_u32_e64 v36, 0x5000, 0
	ds_store_2addr_b64 v36, v[34:35], v[34:35] offset0:171 offset1:234
.LBB36_695:                             ;   in Loop: Header=BB36_3 Depth=1
	s_or_b32 exec_lo, exec_lo, s50
	v_mov_b64_e32 v[34:35], 0
	s_wait_dscnt 0x0
	s_barrier_signal -1
	s_barrier_wait -1
	s_and_saveexec_b32 s65, s2
	s_cbranch_execz .LBB36_701
; %bb.696:                              ;   in Loop: Header=BB36_3 Depth=1
	ds_load_b64 v[34:35], v48 offset:20832
	ds_load_b64 v[36:37], v44 offset:20800
	s_wait_dscnt 0x0
	v_fma_f64 v[34:35], v[34:35], v[36:37], 0
	s_and_saveexec_b32 s50, s16
	s_cbranch_execnz .LBB36_1133
; %bb.697:                              ;   in Loop: Header=BB36_3 Depth=1
	s_or_b32 exec_lo, exec_lo, s50
	s_and_saveexec_b32 s50, s17
	s_cbranch_execnz .LBB36_1134
.LBB36_698:                             ;   in Loop: Header=BB36_3 Depth=1
	s_or_b32 exec_lo, exec_lo, s50
	s_and_saveexec_b32 s50, s0
	s_cbranch_execz .LBB36_700
.LBB36_699:                             ;   in Loop: Header=BB36_3 Depth=1
	ds_load_b64 v[36:37], v71 offset:22368
	ds_load_b64 v[38:39], v5 offset:20824
	s_wait_dscnt 0x0
	v_fmac_f64_e32 v[34:35], v[36:37], v[38:39]
.LBB36_700:                             ;   in Loop: Header=BB36_3 Depth=1
	s_or_b32 exec_lo, exec_lo, s50
	s_delay_alu instid0(VALU_DEP_1)
	v_xor_b32_e32 v35, 0x80000000, v35
.LBB36_701:                             ;   in Loop: Header=BB36_3 Depth=1
	s_or_b32 exec_lo, exec_lo, s65
	s_and_saveexec_b32 s50, s97
	s_cbranch_execz .LBB36_703
; %bb.702:                              ;   in Loop: Header=BB36_3 Depth=1
	ds_load_b64 v[36:37], v5 offset:22880
	s_wait_dscnt 0x0
	v_mul_f64_e32 v[34:35], v[34:35], v[36:37]
	ds_store_b64 v47, v[34:35]
.LBB36_703:                             ;   in Loop: Header=BB36_3 Depth=1
	s_or_b32 exec_lo, exec_lo, s50
	s_wait_dscnt 0x0
	s_barrier_signal -1
	s_barrier_wait -1
	s_and_saveexec_b32 s50, s98
	s_cbranch_execz .LBB36_705
; %bb.704:                              ;   in Loop: Header=BB36_3 Depth=1
	ds_load_b64 v[36:37], v45 offset:22880
	ds_load_b64 v[38:39], v47
	s_wait_dscnt 0x0
	v_fmac_f64_e32 v[34:35], v[36:37], v[38:39]
.LBB36_705:                             ;   in Loop: Header=BB36_3 Depth=1
	s_or_b32 exec_lo, exec_lo, s50
	s_barrier_signal -1
	s_barrier_wait -1
	s_and_saveexec_b32 s50, s99
	s_cbranch_execz .LBB36_707
; %bb.706:                              ;   in Loop: Header=BB36_3 Depth=1
	ds_load_b64 v[36:37], v5 offset:23400
	s_wait_dscnt 0x0
	v_mul_f64_e32 v[34:35], v[34:35], v[36:37]
	ds_store_b64 v47, v[34:35]
.LBB36_707:                             ;   in Loop: Header=BB36_3 Depth=1
	s_or_b32 exec_lo, exec_lo, s50
	s_wait_dscnt 0x0
	s_barrier_signal -1
	s_barrier_wait -1
	s_and_saveexec_b32 s50, s100
	s_cbranch_execz .LBB36_709
; %bb.708:                              ;   in Loop: Header=BB36_3 Depth=1
	ds_load_b64 v[36:37], v45 offset:23392
	ds_load_b64 v[38:39], v47
	s_wait_dscnt 0x0
	v_fmac_f64_e32 v[34:35], v[36:37], v[38:39]
.LBB36_709:                             ;   in Loop: Header=BB36_3 Depth=1
	s_or_b32 exec_lo, exec_lo, s50
	s_barrier_signal -1
	s_barrier_wait -1
	;; [unrolled: 23-line block ×3, first 2 shown]
	s_and_saveexec_b32 s50, s102
	s_cbranch_execz .LBB36_715
; %bb.714:                              ;   in Loop: Header=BB36_3 Depth=1
	ds_load_b64 v[36:37], v5 offset:24440
	s_wait_dscnt 0x0
	v_mul_f64_e32 v[34:35], v[34:35], v[36:37]
	ds_store_b64 v47, v[34:35]
.LBB36_715:                             ;   in Loop: Header=BB36_3 Depth=1
	s_or_b32 exec_lo, exec_lo, s50
	s_wait_dscnt 0x0
	s_barrier_signal -1
	s_barrier_wait -1
	s_barrier_signal -1
	s_barrier_wait -1
	s_and_saveexec_b32 s50, s2
; %bb.716:                              ;   in Loop: Header=BB36_3 Depth=1
	s_delay_alu instid0(VALU_DEP_1)
	v_xor_b32_e32 v35, 0x80000000, v35
	ds_store_b64 v48, v[34:35] offset:20832
; %bb.717:                              ;   in Loop: Header=BB36_3 Depth=1
	s_or_b32 exec_lo, exec_lo, s50
	s_wait_dscnt 0x0
	s_barrier_signal -1
	s_barrier_wait -1
	s_barrier_signal -1
	s_barrier_wait -1
	s_and_saveexec_b32 s50, s103
	s_cbranch_execz .LBB36_719
; %bb.718:                              ;   in Loop: Header=BB36_3 Depth=1
	ds_load_b64 v[34:35], v74 offset:20832
	s_wait_dscnt 0x0
	ds_store_b64 v77, v[34:35] offset:22848
	ds_load_b64 v[34:35], v74 offset:20840
	s_wait_dscnt 0x0
	ds_store_b64 v77, v[34:35] offset:23360
	;; [unrolled: 3-line block ×4, first 2 shown]
.LBB36_719:                             ;   in Loop: Header=BB36_3 Depth=1
	s_or_b32 exec_lo, exec_lo, s50
	s_wait_dscnt 0x0
	s_barrier_signal -1
	s_barrier_wait -1
	s_and_saveexec_b32 s50, s14
	s_cbranch_execz .LBB36_721
; %bb.720:                              ;   in Loop: Header=BB36_3 Depth=1
	ds_load_b128 v[34:37], v5 offset:22880
	ds_load_b64 v[38:39], v5 offset:23400
	s_wait_dscnt 0x0
	v_mul_f64_e32 v[34:35], v[34:35], v[38:39]
	s_delay_alu instid0(VALU_DEP_1)
	v_mul_f64_e32 v[34:35], v[36:37], v[34:35]
	v_add_nc_u32_e64 v36, 0x5800, 0
	ds_store_2addr_b64 v36, v[34:35], v[34:35] offset0:45 offset1:108
.LBB36_721:                             ;   in Loop: Header=BB36_3 Depth=1
	s_or_b32 exec_lo, exec_lo, s50
	v_mov_b64_e32 v[34:35], 0
	s_wait_dscnt 0x0
	s_barrier_signal -1
	s_barrier_wait -1
	s_and_saveexec_b32 s50, s0
	s_cbranch_execz .LBB36_725
; %bb.722:                              ;   in Loop: Header=BB36_3 Depth=1
	ds_load_b64 v[34:35], v41 offset:22896
	ds_load_b64 v[36:37], v42 offset:22880
	s_wait_dscnt 0x0
	v_fma_f64 v[34:35], v[34:35], v[36:37], 0
	s_and_saveexec_b32 s51, s15
	s_cbranch_execz .LBB36_724
; %bb.723:                              ;   in Loop: Header=BB36_3 Depth=1
	ds_load_b64 v[36:37], v77 offset:23408
	ds_load_b64 v[38:39], v5 offset:22888
	s_wait_dscnt 0x0
	v_fmac_f64_e32 v[34:35], v[36:37], v[38:39]
.LBB36_724:                             ;   in Loop: Header=BB36_3 Depth=1
	s_or_b32 exec_lo, exec_lo, s51
	s_delay_alu instid0(VALU_DEP_1)
	v_xor_b32_e32 v35, 0x80000000, v35
.LBB36_725:                             ;   in Loop: Header=BB36_3 Depth=1
	s_or_b32 exec_lo, exec_lo, s50
	s_and_saveexec_b32 s50, s94
	s_cbranch_execz .LBB36_727
; %bb.726:                              ;   in Loop: Header=BB36_3 Depth=1
	ds_load_b64 v[36:37], v5 offset:23920
	s_wait_dscnt 0x0
	v_mul_f64_e32 v[34:35], v[34:35], v[36:37]
	ds_store_b64 v3, v[34:35]
.LBB36_727:                             ;   in Loop: Header=BB36_3 Depth=1
	s_or_b32 exec_lo, exec_lo, s50
	s_wait_dscnt 0x0
	s_barrier_signal -1
	s_barrier_wait -1
	s_and_saveexec_b32 s50, s95
	s_cbranch_execz .LBB36_729
; %bb.728:                              ;   in Loop: Header=BB36_3 Depth=1
	ds_load_b64 v[36:37], v5 offset:23928
	ds_load_b64 v[38:39], v3
	s_wait_dscnt 0x0
	v_fmac_f64_e32 v[34:35], v[36:37], v[38:39]
.LBB36_729:                             ;   in Loop: Header=BB36_3 Depth=1
	s_or_b32 exec_lo, exec_lo, s50
	s_barrier_signal -1
	s_barrier_wait -1
	s_and_saveexec_b32 s50, s95
	s_cbranch_execz .LBB36_731
; %bb.730:                              ;   in Loop: Header=BB36_3 Depth=1
	ds_load_b64 v[36:37], v5 offset:24440
	s_wait_dscnt 0x0
	v_mul_f64_e32 v[34:35], v[34:35], v[36:37]
	ds_store_b64 v3, v[34:35]
.LBB36_731:                             ;   in Loop: Header=BB36_3 Depth=1
	s_or_b32 exec_lo, exec_lo, s50
	s_wait_dscnt 0x0
	s_barrier_signal -1
	s_barrier_wait -1
	s_barrier_signal -1
	s_barrier_wait -1
	s_and_saveexec_b32 s50, s0
; %bb.732:                              ;   in Loop: Header=BB36_3 Depth=1
	s_delay_alu instid0(VALU_DEP_1)
	v_xor_b32_e32 v35, 0x80000000, v35
	ds_store_b64 v41, v[34:35] offset:22896
; %bb.733:                              ;   in Loop: Header=BB36_3 Depth=1
	s_or_b32 exec_lo, exec_lo, s50
	s_wait_dscnt 0x0
	s_barrier_signal -1
	s_barrier_wait -1
	s_barrier_signal -1
	s_barrier_wait -1
	s_and_saveexec_b32 s50, s96
	s_cbranch_execz .LBB36_735
; %bb.734:                              ;   in Loop: Header=BB36_3 Depth=1
	ds_load_b64 v[34:35], v78 offset:22896
	s_wait_dscnt 0x0
	ds_store_b64 v77, v[34:35] offset:23904
	ds_load_b64 v[34:35], v78 offset:22904
	s_wait_dscnt 0x0
	ds_store_b64 v77, v[34:35] offset:24416
.LBB36_735:                             ;   in Loop: Header=BB36_3 Depth=1
	s_or_b32 exec_lo, exec_lo, s50
	s_wait_dscnt 0x0
	s_barrier_signal -1
	s_barrier_wait -1
	s_and_saveexec_b32 s50, s14
	s_cbranch_execz .LBB36_737
; %bb.736:                              ;   in Loop: Header=BB36_3 Depth=1
	ds_load_b128 v[34:37], v5 offset:23920
	ds_load_b64 v[38:39], v5 offset:24440
	s_wait_dscnt 0x0
	v_mul_f64_e32 v[34:35], v[34:35], v[38:39]
	s_delay_alu instid0(VALU_DEP_1)
	v_mul_f64_e32 v[34:35], v[36:37], v[34:35]
	v_add_nc_u32_e64 v36, 0x5800, 0
	ds_store_2addr_b64 v36, v[34:35], v[34:35] offset0:175 offset1:238
.LBB36_737:                             ;   in Loop: Header=BB36_3 Depth=1
	s_or_b32 exec_lo, exec_lo, s50
	v_mov_b64_e32 v[34:35], 0
	s_wait_dscnt 0x0
	s_barrier_signal -1
	s_barrier_wait -1
	s_and_saveexec_b32 s84, s4
	s_cbranch_execz .LBB36_765
; %bb.738:                              ;   in Loop: Header=BB36_3 Depth=1
	ds_load_b64 v[34:35], v63 offset:16768
	ds_load_b64 v[36:37], v60 offset:16640
	s_wait_dscnt 0x0
	v_fma_f64 v[34:35], v[34:35], v[36:37], 0
	s_mov_b32 s50, exec_lo
	v_readlane_b32 s51, v98, 29
	s_and_b32 s51, s50, s51
	s_delay_alu instid0(SALU_CYCLE_1)
	s_mov_b32 exec_lo, s51
	s_cbranch_execz .LBB36_740
; %bb.739:                              ;   in Loop: Header=BB36_3 Depth=1
	ds_load_b64 v[36:37], v64 offset:17280
	ds_load_b64 v[38:39], v60 offset:16648
	s_wait_dscnt 0x0
	v_fmac_f64_e32 v[34:35], v[36:37], v[38:39]
.LBB36_740:                             ;   in Loop: Header=BB36_3 Depth=1
	s_or_b32 exec_lo, exec_lo, s50
	s_delay_alu instid0(SALU_CYCLE_1) | instskip(SKIP_2) | instid1(SALU_CYCLE_1)
	s_mov_b32 s50, exec_lo
	v_readlane_b32 s51, v98, 30
	s_and_b32 s51, s50, s51
	s_mov_b32 exec_lo, s51
	s_cbranch_execz .LBB36_742
; %bb.741:                              ;   in Loop: Header=BB36_3 Depth=1
	ds_load_b64 v[36:37], v64 offset:17792
	ds_load_b64 v[38:39], v60 offset:16656
	s_wait_dscnt 0x0
	v_fmac_f64_e32 v[34:35], v[36:37], v[38:39]
.LBB36_742:                             ;   in Loop: Header=BB36_3 Depth=1
	s_or_b32 exec_lo, exec_lo, s50
	s_delay_alu instid0(SALU_CYCLE_1) | instskip(SKIP_2) | instid1(SALU_CYCLE_1)
	s_mov_b32 s50, exec_lo
	v_readlane_b32 s51, v98, 31
	s_and_b32 s51, s50, s51
	;; [unrolled: 13-line block ×10, first 2 shown]
	s_mov_b32 exec_lo, s51
	s_cbranch_execnz .LBB36_1135
; %bb.759:                              ;   in Loop: Header=BB36_3 Depth=1
	s_or_b32 exec_lo, exec_lo, s50
	s_and_saveexec_b32 s50, s3
	s_cbranch_execnz .LBB36_1136
.LBB36_760:                             ;   in Loop: Header=BB36_3 Depth=1
	s_or_b32 exec_lo, exec_lo, s50
	s_and_saveexec_b32 s50, s19
	s_cbranch_execnz .LBB36_1137
.LBB36_761:                             ;   in Loop: Header=BB36_3 Depth=1
	s_or_b32 exec_lo, exec_lo, s50
	s_and_saveexec_b32 s50, s21
	s_cbranch_execnz .LBB36_1138
.LBB36_762:                             ;   in Loop: Header=BB36_3 Depth=1
	s_or_b32 exec_lo, exec_lo, s50
	s_and_saveexec_b32 s50, s2
	s_cbranch_execz .LBB36_764
.LBB36_763:                             ;   in Loop: Header=BB36_3 Depth=1
	ds_load_b64 v[36:37], v43 offset:24448
	ds_load_b64 v[38:39], v5 offset:16760
	s_wait_dscnt 0x0
	v_fmac_f64_e32 v[34:35], v[36:37], v[38:39]
.LBB36_764:                             ;   in Loop: Header=BB36_3 Depth=1
	s_or_b32 exec_lo, exec_lo, s50
	s_delay_alu instid0(VALU_DEP_1)
	v_xor_b32_e32 v35, 0x80000000, v35
.LBB36_765:                             ;   in Loop: Header=BB36_3 Depth=1
	s_or_b32 exec_lo, exec_lo, s84
	s_delay_alu instid0(SALU_CYCLE_1) | instskip(SKIP_2) | instid1(SALU_CYCLE_1)
	s_mov_b32 s50, exec_lo
	v_readlane_b32 s51, v98, 6
	s_and_b32 s51, s50, s51
	s_mov_b32 exec_lo, s51
	s_cbranch_execz .LBB36_767
; %bb.766:                              ;   in Loop: Header=BB36_3 Depth=1
	ds_load_b64 v[36:37], v5 offset:24960
	s_wait_dscnt 0x0
	v_mul_f64_e32 v[34:35], v[34:35], v[36:37]
	ds_store_b64 v62, v[34:35]
.LBB36_767:                             ;   in Loop: Header=BB36_3 Depth=1
	s_or_b32 exec_lo, exec_lo, s50
	s_wait_dscnt 0x0
	s_barrier_signal -1
	s_barrier_wait -1
	s_mov_b32 s50, exec_lo
	v_readlane_b32 s51, v98, 7
	s_and_b32 s51, s50, s51
	s_delay_alu instid0(SALU_CYCLE_1)
	s_mov_b32 exec_lo, s51
	s_cbranch_execz .LBB36_769
; %bb.768:                              ;   in Loop: Header=BB36_3 Depth=1
	ds_load_b64 v[36:37], v61 offset:24960
	ds_load_b64 v[38:39], v62
	s_wait_dscnt 0x0
	v_fmac_f64_e32 v[34:35], v[36:37], v[38:39]
.LBB36_769:                             ;   in Loop: Header=BB36_3 Depth=1
	s_or_b32 exec_lo, exec_lo, s50
	s_barrier_signal -1
	s_barrier_wait -1
	s_mov_b32 s50, exec_lo
	v_readlane_b32 s51, v98, 8
	s_and_b32 s51, s50, s51
	s_delay_alu instid0(SALU_CYCLE_1)
	s_mov_b32 exec_lo, s51
	s_cbranch_execz .LBB36_771
; %bb.770:                              ;   in Loop: Header=BB36_3 Depth=1
	ds_load_b64 v[36:37], v5 offset:25480
	s_wait_dscnt 0x0
	v_mul_f64_e32 v[34:35], v[34:35], v[36:37]
	ds_store_b64 v62, v[34:35]
.LBB36_771:                             ;   in Loop: Header=BB36_3 Depth=1
	s_or_b32 exec_lo, exec_lo, s50
	s_wait_dscnt 0x0
	s_barrier_signal -1
	s_barrier_wait -1
	s_mov_b32 s50, exec_lo
	v_readlane_b32 s51, v98, 9
	s_and_b32 s51, s50, s51
	s_delay_alu instid0(SALU_CYCLE_1)
	s_mov_b32 exec_lo, s51
	s_cbranch_execz .LBB36_773
; %bb.772:                              ;   in Loop: Header=BB36_3 Depth=1
	ds_load_b64 v[36:37], v61 offset:25472
	ds_load_b64 v[38:39], v62
	s_wait_dscnt 0x0
	v_fmac_f64_e32 v[34:35], v[36:37], v[38:39]
.LBB36_773:                             ;   in Loop: Header=BB36_3 Depth=1
	s_or_b32 exec_lo, exec_lo, s50
	s_barrier_signal -1
	s_barrier_wait -1
	s_mov_b32 s50, exec_lo
	v_readlane_b32 s51, v98, 10
	s_and_b32 s51, s50, s51
	s_delay_alu instid0(SALU_CYCLE_1)
	s_mov_b32 exec_lo, s51
	s_cbranch_execz .LBB36_775
; %bb.774:                              ;   in Loop: Header=BB36_3 Depth=1
	ds_load_b64 v[36:37], v5 offset:26000
	s_wait_dscnt 0x0
	v_mul_f64_e32 v[34:35], v[34:35], v[36:37]
	ds_store_b64 v62, v[34:35]
.LBB36_775:                             ;   in Loop: Header=BB36_3 Depth=1
	s_or_b32 exec_lo, exec_lo, s50
	s_wait_dscnt 0x0
	s_barrier_signal -1
	s_barrier_wait -1
	s_and_saveexec_b32 s50, s54
	s_cbranch_execz .LBB36_777
; %bb.776:                              ;   in Loop: Header=BB36_3 Depth=1
	ds_load_b64 v[36:37], v61 offset:25984
	ds_load_b64 v[38:39], v62
	s_wait_dscnt 0x0
	v_fmac_f64_e32 v[34:35], v[36:37], v[38:39]
.LBB36_777:                             ;   in Loop: Header=BB36_3 Depth=1
	s_or_b32 exec_lo, exec_lo, s50
	s_barrier_signal -1
	s_barrier_wait -1
	s_and_saveexec_b32 s50, s55
	s_cbranch_execz .LBB36_779
; %bb.778:                              ;   in Loop: Header=BB36_3 Depth=1
	ds_load_b64 v[36:37], v5 offset:26520
	s_wait_dscnt 0x0
	v_mul_f64_e32 v[34:35], v[34:35], v[36:37]
	ds_store_b64 v62, v[34:35]
.LBB36_779:                             ;   in Loop: Header=BB36_3 Depth=1
	s_or_b32 exec_lo, exec_lo, s50
	s_wait_dscnt 0x0
	s_barrier_signal -1
	s_barrier_wait -1
	s_and_saveexec_b32 s50, s56
	s_cbranch_execz .LBB36_781
; %bb.780:                              ;   in Loop: Header=BB36_3 Depth=1
	ds_load_b64 v[36:37], v61 offset:26496
	ds_load_b64 v[38:39], v62
	s_wait_dscnt 0x0
	v_fmac_f64_e32 v[34:35], v[36:37], v[38:39]
.LBB36_781:                             ;   in Loop: Header=BB36_3 Depth=1
	s_or_b32 exec_lo, exec_lo, s50
	s_barrier_signal -1
	s_barrier_wait -1
	s_and_saveexec_b32 s50, s57
	;; [unrolled: 23-line block ×13, first 2 shown]
	s_cbranch_execz .LBB36_827
; %bb.826:                              ;   in Loop: Header=BB36_3 Depth=1
	ds_load_b64 v[36:37], v5 offset:32760
	s_wait_dscnt 0x0
	v_mul_f64_e32 v[34:35], v[34:35], v[36:37]
	ds_store_b64 v62, v[34:35]
.LBB36_827:                             ;   in Loop: Header=BB36_3 Depth=1
	s_or_b32 exec_lo, exec_lo, s50
	s_wait_dscnt 0x0
	s_barrier_signal -1
	s_barrier_wait -1
	s_barrier_signal -1
	s_barrier_wait -1
	s_and_saveexec_b32 s50, s4
; %bb.828:                              ;   in Loop: Header=BB36_3 Depth=1
	s_delay_alu instid0(VALU_DEP_1)
	v_xor_b32_e32 v35, 0x80000000, v35
	ds_store_b64 v63, v[34:35] offset:16768
; %bb.829:                              ;   in Loop: Header=BB36_3 Depth=1
	s_or_b32 exec_lo, exec_lo, s50
	s_wait_dscnt 0x0
	s_barrier_signal -1
	s_barrier_wait -1
	s_barrier_signal -1
	s_barrier_wait -1
	s_and_saveexec_b32 s50, s73
	s_cbranch_execz .LBB36_831
; %bb.830:                              ;   in Loop: Header=BB36_3 Depth=1
	ds_load_b64 v[34:35], v46 offset:16768
	s_wait_dscnt 0x0
	ds_store_b64 v50, v[34:35] offset:24832
	ds_load_b64 v[34:35], v46 offset:16776
	s_wait_dscnt 0x0
	ds_store_b64 v50, v[34:35] offset:25344
	;; [unrolled: 3-line block ×16, first 2 shown]
.LBB36_831:                             ;   in Loop: Header=BB36_3 Depth=1
	s_or_b32 exec_lo, exec_lo, s50
	s_wait_dscnt 0x0
	s_barrier_signal -1
	s_barrier_wait -1
	s_and_saveexec_b32 s50, s14
	s_cbranch_execz .LBB36_833
; %bb.832:                              ;   in Loop: Header=BB36_3 Depth=1
	ds_load_b128 v[34:37], v5 offset:24960
	ds_load_b64 v[38:39], v5 offset:25480
	s_wait_dscnt 0x0
	v_mul_f64_e32 v[34:35], v[34:35], v[38:39]
	s_delay_alu instid0(VALU_DEP_1)
	v_mul_f64_e32 v[34:35], v[36:37], v[34:35]
	v_add_nc_u32_e64 v36, 0x6000, 0
	ds_store_2addr_b64 v36, v[34:35], v[34:35] offset0:49 offset1:112
.LBB36_833:                             ;   in Loop: Header=BB36_3 Depth=1
	s_or_b32 exec_lo, exec_lo, s50
	v_mov_b64_e32 v[34:35], 0
	s_wait_dscnt 0x0
	s_barrier_signal -1
	s_barrier_wait -1
	s_and_saveexec_b32 s50, s0
	s_cbranch_execz .LBB36_837
; %bb.834:                              ;   in Loop: Header=BB36_3 Depth=1
	ds_load_b64 v[34:35], v41 offset:24976
	ds_load_b64 v[36:37], v42 offset:24960
	s_wait_dscnt 0x0
	v_fma_f64 v[34:35], v[34:35], v[36:37], 0
	s_and_saveexec_b32 s51, s15
	s_cbranch_execz .LBB36_836
; %bb.835:                              ;   in Loop: Header=BB36_3 Depth=1
	ds_load_b64 v[36:37], v43 offset:25488
	ds_load_b64 v[38:39], v5 offset:24968
	s_wait_dscnt 0x0
	v_fmac_f64_e32 v[34:35], v[36:37], v[38:39]
.LBB36_836:                             ;   in Loop: Header=BB36_3 Depth=1
	s_or_b32 exec_lo, exec_lo, s51
	s_delay_alu instid0(VALU_DEP_1)
	v_xor_b32_e32 v35, 0x80000000, v35
.LBB36_837:                             ;   in Loop: Header=BB36_3 Depth=1
	s_or_b32 exec_lo, exec_lo, s50
	s_and_saveexec_b32 s50, s94
	s_cbranch_execz .LBB36_839
; %bb.838:                              ;   in Loop: Header=BB36_3 Depth=1
	ds_load_b64 v[36:37], v5 offset:26000
	s_wait_dscnt 0x0
	v_mul_f64_e32 v[34:35], v[34:35], v[36:37]
	ds_store_b64 v3, v[34:35]
.LBB36_839:                             ;   in Loop: Header=BB36_3 Depth=1
	s_or_b32 exec_lo, exec_lo, s50
	s_wait_dscnt 0x0
	s_barrier_signal -1
	s_barrier_wait -1
	s_and_saveexec_b32 s50, s95
	s_cbranch_execz .LBB36_841
; %bb.840:                              ;   in Loop: Header=BB36_3 Depth=1
	ds_load_b64 v[36:37], v5 offset:26008
	ds_load_b64 v[38:39], v3
	s_wait_dscnt 0x0
	v_fmac_f64_e32 v[34:35], v[36:37], v[38:39]
.LBB36_841:                             ;   in Loop: Header=BB36_3 Depth=1
	s_or_b32 exec_lo, exec_lo, s50
	s_barrier_signal -1
	s_barrier_wait -1
	s_and_saveexec_b32 s50, s95
	s_cbranch_execz .LBB36_843
; %bb.842:                              ;   in Loop: Header=BB36_3 Depth=1
	ds_load_b64 v[36:37], v5 offset:26520
	s_wait_dscnt 0x0
	v_mul_f64_e32 v[34:35], v[34:35], v[36:37]
	ds_store_b64 v3, v[34:35]
.LBB36_843:                             ;   in Loop: Header=BB36_3 Depth=1
	s_or_b32 exec_lo, exec_lo, s50
	s_wait_dscnt 0x0
	s_barrier_signal -1
	s_barrier_wait -1
	s_barrier_signal -1
	s_barrier_wait -1
	s_and_saveexec_b32 s50, s0
; %bb.844:                              ;   in Loop: Header=BB36_3 Depth=1
	s_delay_alu instid0(VALU_DEP_1)
	v_xor_b32_e32 v35, 0x80000000, v35
	ds_store_b64 v41, v[34:35] offset:24976
; %bb.845:                              ;   in Loop: Header=BB36_3 Depth=1
	s_or_b32 exec_lo, exec_lo, s50
	s_wait_dscnt 0x0
	s_barrier_signal -1
	s_barrier_wait -1
	s_barrier_signal -1
	s_barrier_wait -1
	s_and_saveexec_b32 s50, s96
	s_cbranch_execz .LBB36_847
; %bb.846:                              ;   in Loop: Header=BB36_3 Depth=1
	ds_load_b64 v[34:35], v46 offset:24976
	s_wait_dscnt 0x0
	ds_store_b64 v43, v[34:35] offset:25984
	ds_load_b64 v[34:35], v46 offset:24984
	s_wait_dscnt 0x0
	ds_store_b64 v43, v[34:35] offset:26496
.LBB36_847:                             ;   in Loop: Header=BB36_3 Depth=1
	s_or_b32 exec_lo, exec_lo, s50
	s_wait_dscnt 0x0
	s_barrier_signal -1
	s_barrier_wait -1
	s_and_saveexec_b32 s50, s14
	s_cbranch_execz .LBB36_849
; %bb.848:                              ;   in Loop: Header=BB36_3 Depth=1
	ds_load_b128 v[34:37], v5 offset:26000
	ds_load_b64 v[38:39], v5 offset:26520
	s_wait_dscnt 0x0
	v_mul_f64_e32 v[34:35], v[34:35], v[38:39]
	s_delay_alu instid0(VALU_DEP_1)
	v_mul_f64_e32 v[34:35], v[36:37], v[34:35]
	v_add_nc_u32_e64 v36, 0x6000, 0
	ds_store_2addr_b64 v36, v[34:35], v[34:35] offset0:179 offset1:242
.LBB36_849:                             ;   in Loop: Header=BB36_3 Depth=1
	s_or_b32 exec_lo, exec_lo, s50
	v_mov_b64_e32 v[34:35], 0
	s_wait_dscnt 0x0
	s_barrier_signal -1
	s_barrier_wait -1
	s_and_saveexec_b32 s65, s2
	s_cbranch_execz .LBB36_855
; %bb.850:                              ;   in Loop: Header=BB36_3 Depth=1
	ds_load_b64 v[34:35], v48 offset:24992
	ds_load_b64 v[36:37], v44 offset:24960
	s_wait_dscnt 0x0
	v_fma_f64 v[34:35], v[34:35], v[36:37], 0
	s_and_saveexec_b32 s50, s16
	s_cbranch_execnz .LBB36_1139
; %bb.851:                              ;   in Loop: Header=BB36_3 Depth=1
	s_or_b32 exec_lo, exec_lo, s50
	s_and_saveexec_b32 s50, s17
	s_cbranch_execnz .LBB36_1140
.LBB36_852:                             ;   in Loop: Header=BB36_3 Depth=1
	s_or_b32 exec_lo, exec_lo, s50
	s_and_saveexec_b32 s50, s0
	s_cbranch_execz .LBB36_854
.LBB36_853:                             ;   in Loop: Header=BB36_3 Depth=1
	ds_load_b64 v[36:37], v50 offset:26528
	ds_load_b64 v[38:39], v5 offset:24984
	s_wait_dscnt 0x0
	v_fmac_f64_e32 v[34:35], v[36:37], v[38:39]
.LBB36_854:                             ;   in Loop: Header=BB36_3 Depth=1
	s_or_b32 exec_lo, exec_lo, s50
	s_delay_alu instid0(VALU_DEP_1)
	v_xor_b32_e32 v35, 0x80000000, v35
.LBB36_855:                             ;   in Loop: Header=BB36_3 Depth=1
	s_or_b32 exec_lo, exec_lo, s65
	s_and_saveexec_b32 s50, s97
	s_cbranch_execz .LBB36_857
; %bb.856:                              ;   in Loop: Header=BB36_3 Depth=1
	ds_load_b64 v[36:37], v5 offset:27040
	s_wait_dscnt 0x0
	v_mul_f64_e32 v[34:35], v[34:35], v[36:37]
	ds_store_b64 v47, v[34:35]
.LBB36_857:                             ;   in Loop: Header=BB36_3 Depth=1
	s_or_b32 exec_lo, exec_lo, s50
	s_wait_dscnt 0x0
	s_barrier_signal -1
	s_barrier_wait -1
	s_and_saveexec_b32 s50, s98
	s_cbranch_execz .LBB36_859
; %bb.858:                              ;   in Loop: Header=BB36_3 Depth=1
	ds_load_b64 v[36:37], v45 offset:27040
	ds_load_b64 v[38:39], v47
	s_wait_dscnt 0x0
	v_fmac_f64_e32 v[34:35], v[36:37], v[38:39]
.LBB36_859:                             ;   in Loop: Header=BB36_3 Depth=1
	s_or_b32 exec_lo, exec_lo, s50
	s_barrier_signal -1
	s_barrier_wait -1
	s_and_saveexec_b32 s50, s99
	s_cbranch_execz .LBB36_861
; %bb.860:                              ;   in Loop: Header=BB36_3 Depth=1
	ds_load_b64 v[36:37], v5 offset:27560
	s_wait_dscnt 0x0
	v_mul_f64_e32 v[34:35], v[34:35], v[36:37]
	ds_store_b64 v47, v[34:35]
.LBB36_861:                             ;   in Loop: Header=BB36_3 Depth=1
	s_or_b32 exec_lo, exec_lo, s50
	s_wait_dscnt 0x0
	s_barrier_signal -1
	s_barrier_wait -1
	s_and_saveexec_b32 s50, s100
	s_cbranch_execz .LBB36_863
; %bb.862:                              ;   in Loop: Header=BB36_3 Depth=1
	ds_load_b64 v[36:37], v45 offset:27552
	ds_load_b64 v[38:39], v47
	s_wait_dscnt 0x0
	v_fmac_f64_e32 v[34:35], v[36:37], v[38:39]
.LBB36_863:                             ;   in Loop: Header=BB36_3 Depth=1
	s_or_b32 exec_lo, exec_lo, s50
	s_barrier_signal -1
	s_barrier_wait -1
	s_and_saveexec_b32 s50, s101
	s_cbranch_execz .LBB36_865
; %bb.864:                              ;   in Loop: Header=BB36_3 Depth=1
	ds_load_b64 v[36:37], v5 offset:28080
	s_wait_dscnt 0x0
	v_mul_f64_e32 v[34:35], v[34:35], v[36:37]
	ds_store_b64 v47, v[34:35]
.LBB36_865:                             ;   in Loop: Header=BB36_3 Depth=1
	s_or_b32 exec_lo, exec_lo, s50
	s_wait_dscnt 0x0
	s_barrier_signal -1
	s_barrier_wait -1
	s_and_saveexec_b32 s50, s102
	s_cbranch_execz .LBB36_867
; %bb.866:                              ;   in Loop: Header=BB36_3 Depth=1
	ds_load_b64 v[36:37], v5 offset:28088
	ds_load_b64 v[38:39], v47
	s_wait_dscnt 0x0
	v_fmac_f64_e32 v[34:35], v[36:37], v[38:39]
.LBB36_867:                             ;   in Loop: Header=BB36_3 Depth=1
	s_or_b32 exec_lo, exec_lo, s50
	s_barrier_signal -1
	s_barrier_wait -1
	s_and_saveexec_b32 s50, s102
	s_cbranch_execz .LBB36_869
; %bb.868:                              ;   in Loop: Header=BB36_3 Depth=1
	ds_load_b64 v[36:37], v5 offset:28600
	s_wait_dscnt 0x0
	v_mul_f64_e32 v[34:35], v[34:35], v[36:37]
	ds_store_b64 v47, v[34:35]
.LBB36_869:                             ;   in Loop: Header=BB36_3 Depth=1
	s_or_b32 exec_lo, exec_lo, s50
	s_wait_dscnt 0x0
	s_barrier_signal -1
	s_barrier_wait -1
	s_barrier_signal -1
	s_barrier_wait -1
	s_and_saveexec_b32 s50, s2
; %bb.870:                              ;   in Loop: Header=BB36_3 Depth=1
	s_delay_alu instid0(VALU_DEP_1)
	v_xor_b32_e32 v35, 0x80000000, v35
	ds_store_b64 v48, v[34:35] offset:24992
; %bb.871:                              ;   in Loop: Header=BB36_3 Depth=1
	s_or_b32 exec_lo, exec_lo, s50
	s_wait_dscnt 0x0
	s_barrier_signal -1
	s_barrier_wait -1
	s_barrier_signal -1
	s_barrier_wait -1
	s_and_saveexec_b32 s50, s103
	s_cbranch_execz .LBB36_873
; %bb.872:                              ;   in Loop: Header=BB36_3 Depth=1
	ds_load_b64 v[34:35], v51 offset:24992
	s_wait_dscnt 0x0
	ds_store_b64 v52, v[34:35] offset:27008
	ds_load_b64 v[34:35], v51 offset:25000
	s_wait_dscnt 0x0
	ds_store_b64 v52, v[34:35] offset:27520
	;; [unrolled: 3-line block ×4, first 2 shown]
.LBB36_873:                             ;   in Loop: Header=BB36_3 Depth=1
	s_or_b32 exec_lo, exec_lo, s50
	s_wait_dscnt 0x0
	s_barrier_signal -1
	s_barrier_wait -1
	s_and_saveexec_b32 s50, s14
	s_cbranch_execz .LBB36_875
; %bb.874:                              ;   in Loop: Header=BB36_3 Depth=1
	ds_load_b128 v[34:37], v5 offset:27040
	ds_load_b64 v[38:39], v5 offset:27560
	s_wait_dscnt 0x0
	v_mul_f64_e32 v[34:35], v[34:35], v[38:39]
	s_delay_alu instid0(VALU_DEP_1)
	v_mul_f64_e32 v[34:35], v[36:37], v[34:35]
	v_add_nc_u32_e64 v36, 0x6800, 0
	ds_store_2addr_b64 v36, v[34:35], v[34:35] offset0:53 offset1:116
.LBB36_875:                             ;   in Loop: Header=BB36_3 Depth=1
	s_or_b32 exec_lo, exec_lo, s50
	v_mov_b64_e32 v[34:35], 0
	s_wait_dscnt 0x0
	s_barrier_signal -1
	s_barrier_wait -1
	s_and_saveexec_b32 s50, s0
	s_cbranch_execz .LBB36_879
; %bb.876:                              ;   in Loop: Header=BB36_3 Depth=1
	ds_load_b64 v[34:35], v41 offset:27056
	ds_load_b64 v[36:37], v42 offset:27040
	s_wait_dscnt 0x0
	v_fma_f64 v[34:35], v[34:35], v[36:37], 0
	s_and_saveexec_b32 s51, s15
	s_cbranch_execz .LBB36_878
; %bb.877:                              ;   in Loop: Header=BB36_3 Depth=1
	ds_load_b64 v[36:37], v52 offset:27568
	ds_load_b64 v[38:39], v5 offset:27048
	s_wait_dscnt 0x0
	v_fmac_f64_e32 v[34:35], v[36:37], v[38:39]
.LBB36_878:                             ;   in Loop: Header=BB36_3 Depth=1
	s_or_b32 exec_lo, exec_lo, s51
	s_delay_alu instid0(VALU_DEP_1)
	v_xor_b32_e32 v35, 0x80000000, v35
.LBB36_879:                             ;   in Loop: Header=BB36_3 Depth=1
	s_or_b32 exec_lo, exec_lo, s50
	s_and_saveexec_b32 s50, s94
	s_cbranch_execz .LBB36_881
; %bb.880:                              ;   in Loop: Header=BB36_3 Depth=1
	ds_load_b64 v[36:37], v5 offset:28080
	s_wait_dscnt 0x0
	v_mul_f64_e32 v[34:35], v[34:35], v[36:37]
	ds_store_b64 v3, v[34:35]
.LBB36_881:                             ;   in Loop: Header=BB36_3 Depth=1
	s_or_b32 exec_lo, exec_lo, s50
	s_wait_dscnt 0x0
	s_barrier_signal -1
	s_barrier_wait -1
	s_and_saveexec_b32 s50, s95
	s_cbranch_execz .LBB36_883
; %bb.882:                              ;   in Loop: Header=BB36_3 Depth=1
	ds_load_b64 v[36:37], v5 offset:28088
	ds_load_b64 v[38:39], v3
	s_wait_dscnt 0x0
	v_fmac_f64_e32 v[34:35], v[36:37], v[38:39]
.LBB36_883:                             ;   in Loop: Header=BB36_3 Depth=1
	s_or_b32 exec_lo, exec_lo, s50
	s_barrier_signal -1
	s_barrier_wait -1
	s_and_saveexec_b32 s50, s95
	s_cbranch_execz .LBB36_885
; %bb.884:                              ;   in Loop: Header=BB36_3 Depth=1
	ds_load_b64 v[36:37], v5 offset:28600
	s_wait_dscnt 0x0
	v_mul_f64_e32 v[34:35], v[34:35], v[36:37]
	ds_store_b64 v3, v[34:35]
.LBB36_885:                             ;   in Loop: Header=BB36_3 Depth=1
	s_or_b32 exec_lo, exec_lo, s50
	s_wait_dscnt 0x0
	s_barrier_signal -1
	s_barrier_wait -1
	s_barrier_signal -1
	s_barrier_wait -1
	s_and_saveexec_b32 s50, s0
; %bb.886:                              ;   in Loop: Header=BB36_3 Depth=1
	s_delay_alu instid0(VALU_DEP_1)
	v_xor_b32_e32 v35, 0x80000000, v35
	ds_store_b64 v41, v[34:35] offset:27056
; %bb.887:                              ;   in Loop: Header=BB36_3 Depth=1
	s_or_b32 exec_lo, exec_lo, s50
	s_wait_dscnt 0x0
	s_barrier_signal -1
	s_barrier_wait -1
	s_barrier_signal -1
	s_barrier_wait -1
	s_and_saveexec_b32 s50, s96
	s_cbranch_execz .LBB36_889
; %bb.888:                              ;   in Loop: Header=BB36_3 Depth=1
	ds_load_b64 v[34:35], v55 offset:27056
	s_wait_dscnt 0x0
	ds_store_b64 v52, v[34:35] offset:28064
	ds_load_b64 v[34:35], v55 offset:27064
	s_wait_dscnt 0x0
	ds_store_b64 v52, v[34:35] offset:28576
.LBB36_889:                             ;   in Loop: Header=BB36_3 Depth=1
	s_or_b32 exec_lo, exec_lo, s50
	s_wait_dscnt 0x0
	s_barrier_signal -1
	s_barrier_wait -1
	s_and_saveexec_b32 s50, s14
	s_cbranch_execz .LBB36_891
; %bb.890:                              ;   in Loop: Header=BB36_3 Depth=1
	ds_load_b128 v[34:37], v5 offset:28080
	ds_load_b64 v[38:39], v5 offset:28600
	s_wait_dscnt 0x0
	v_mul_f64_e32 v[34:35], v[34:35], v[38:39]
	s_delay_alu instid0(VALU_DEP_1)
	v_mul_f64_e32 v[34:35], v[36:37], v[34:35]
	v_add_nc_u32_e64 v36, 0x6800, 0
	ds_store_2addr_b64 v36, v[34:35], v[34:35] offset0:183 offset1:246
.LBB36_891:                             ;   in Loop: Header=BB36_3 Depth=1
	s_or_b32 exec_lo, exec_lo, s50
	v_mov_b64_e32 v[34:35], 0
	s_wait_dscnt 0x0
	s_barrier_signal -1
	s_barrier_wait -1
	s_and_saveexec_b32 s65, s3
	s_cbranch_execz .LBB36_901
; %bb.892:                              ;   in Loop: Header=BB36_3 Depth=1
	ds_load_b64 v[34:35], v57 offset:25024
	ds_load_b64 v[36:37], v53 offset:24960
	s_wait_dscnt 0x0
	v_fma_f64 v[34:35], v[34:35], v[36:37], 0
	s_and_saveexec_b32 s50, s18
	s_cbranch_execnz .LBB36_1141
; %bb.893:                              ;   in Loop: Header=BB36_3 Depth=1
	s_or_b32 exec_lo, exec_lo, s50
	s_and_saveexec_b32 s50, s19
	s_cbranch_execnz .LBB36_1142
.LBB36_894:                             ;   in Loop: Header=BB36_3 Depth=1
	s_or_b32 exec_lo, exec_lo, s50
	s_and_saveexec_b32 s50, s20
	s_cbranch_execnz .LBB36_1143
.LBB36_895:                             ;   in Loop: Header=BB36_3 Depth=1
	s_or_b32 exec_lo, exec_lo, s50
	s_and_saveexec_b32 s50, s21
	s_cbranch_execnz .LBB36_1144
.LBB36_896:                             ;   in Loop: Header=BB36_3 Depth=1
	s_or_b32 exec_lo, exec_lo, s50
	s_and_saveexec_b32 s50, s22
	s_cbranch_execnz .LBB36_1145
.LBB36_897:                             ;   in Loop: Header=BB36_3 Depth=1
	s_or_b32 exec_lo, exec_lo, s50
	s_and_saveexec_b32 s50, s2
	s_cbranch_execnz .LBB36_1146
.LBB36_898:                             ;   in Loop: Header=BB36_3 Depth=1
	s_or_b32 exec_lo, exec_lo, s50
	s_and_saveexec_b32 s50, s17
	s_cbranch_execz .LBB36_900
.LBB36_899:                             ;   in Loop: Header=BB36_3 Depth=1
	ds_load_b64 v[36:37], v59 offset:28608
	ds_load_b64 v[38:39], v5 offset:25016
	s_wait_dscnt 0x0
	v_fmac_f64_e32 v[34:35], v[36:37], v[38:39]
.LBB36_900:                             ;   in Loop: Header=BB36_3 Depth=1
	s_or_b32 exec_lo, exec_lo, s50
	s_delay_alu instid0(VALU_DEP_1)
	v_xor_b32_e32 v35, 0x80000000, v35
.LBB36_901:                             ;   in Loop: Header=BB36_3 Depth=1
	s_or_b32 exec_lo, exec_lo, s65
	s_and_saveexec_b32 s50, s104
	s_cbranch_execz .LBB36_903
; %bb.902:                              ;   in Loop: Header=BB36_3 Depth=1
	ds_load_b64 v[36:37], v5 offset:29120
	s_wait_dscnt 0x0
	v_mul_f64_e32 v[34:35], v[34:35], v[36:37]
	ds_store_b64 v56, v[34:35]
.LBB36_903:                             ;   in Loop: Header=BB36_3 Depth=1
	s_or_b32 exec_lo, exec_lo, s50
	s_wait_dscnt 0x0
	s_barrier_signal -1
	s_barrier_wait -1
	s_and_saveexec_b32 s50, vcc_hi
	s_cbranch_execz .LBB36_905
; %bb.904:                              ;   in Loop: Header=BB36_3 Depth=1
	ds_load_b64 v[36:37], v54 offset:29120
	ds_load_b64 v[38:39], v56
	s_wait_dscnt 0x0
	v_fmac_f64_e32 v[34:35], v[36:37], v[38:39]
.LBB36_905:                             ;   in Loop: Header=BB36_3 Depth=1
	s_or_b32 exec_lo, exec_lo, s50
	s_barrier_signal -1
	s_barrier_wait -1
	s_and_saveexec_b32 s50, s36
	s_cbranch_execz .LBB36_907
; %bb.906:                              ;   in Loop: Header=BB36_3 Depth=1
	ds_load_b64 v[36:37], v5 offset:29640
	s_wait_dscnt 0x0
	v_mul_f64_e32 v[34:35], v[34:35], v[36:37]
	ds_store_b64 v56, v[34:35]
.LBB36_907:                             ;   in Loop: Header=BB36_3 Depth=1
	s_or_b32 exec_lo, exec_lo, s50
	s_wait_dscnt 0x0
	s_barrier_signal -1
	s_barrier_wait -1
	s_and_saveexec_b32 s50, s37
	s_cbranch_execz .LBB36_909
; %bb.908:                              ;   in Loop: Header=BB36_3 Depth=1
	ds_load_b64 v[36:37], v54 offset:29632
	ds_load_b64 v[38:39], v56
	s_wait_dscnt 0x0
	v_fmac_f64_e32 v[34:35], v[36:37], v[38:39]
.LBB36_909:                             ;   in Loop: Header=BB36_3 Depth=1
	s_or_b32 exec_lo, exec_lo, s50
	s_barrier_signal -1
	s_barrier_wait -1
	s_and_saveexec_b32 s50, s38
	s_cbranch_execz .LBB36_911
; %bb.910:                              ;   in Loop: Header=BB36_3 Depth=1
	ds_load_b64 v[36:37], v5 offset:30160
	s_wait_dscnt 0x0
	v_mul_f64_e32 v[34:35], v[34:35], v[36:37]
	ds_store_b64 v56, v[34:35]
.LBB36_911:                             ;   in Loop: Header=BB36_3 Depth=1
	s_or_b32 exec_lo, exec_lo, s50
	s_wait_dscnt 0x0
	s_barrier_signal -1
	s_barrier_wait -1
	s_and_saveexec_b32 s50, s39
	;; [unrolled: 23-line block ×6, first 2 shown]
	s_cbranch_execz .LBB36_929
; %bb.928:                              ;   in Loop: Header=BB36_3 Depth=1
	ds_load_b64 v[36:37], v5 offset:32248
	ds_load_b64 v[38:39], v56
	s_wait_dscnt 0x0
	v_fmac_f64_e32 v[34:35], v[36:37], v[38:39]
.LBB36_929:                             ;   in Loop: Header=BB36_3 Depth=1
	s_or_b32 exec_lo, exec_lo, s50
	s_barrier_signal -1
	s_barrier_wait -1
	s_and_saveexec_b32 s50, s47
	s_cbranch_execz .LBB36_931
; %bb.930:                              ;   in Loop: Header=BB36_3 Depth=1
	ds_load_b64 v[36:37], v5 offset:32760
	s_wait_dscnt 0x0
	v_mul_f64_e32 v[34:35], v[34:35], v[36:37]
	ds_store_b64 v56, v[34:35]
.LBB36_931:                             ;   in Loop: Header=BB36_3 Depth=1
	s_or_b32 exec_lo, exec_lo, s50
	s_wait_dscnt 0x0
	s_barrier_signal -1
	s_barrier_wait -1
	s_barrier_signal -1
	s_barrier_wait -1
	s_and_saveexec_b32 s50, s3
; %bb.932:                              ;   in Loop: Header=BB36_3 Depth=1
	s_delay_alu instid0(VALU_DEP_1)
	v_xor_b32_e32 v35, 0x80000000, v35
	ds_store_b64 v57, v[34:35] offset:25024
; %bb.933:                              ;   in Loop: Header=BB36_3 Depth=1
	s_or_b32 exec_lo, exec_lo, s50
	s_wait_dscnt 0x0
	s_barrier_signal -1
	s_barrier_wait -1
	s_barrier_signal -1
	s_barrier_wait -1
	s_and_saveexec_b32 s50, s48
	s_cbranch_execz .LBB36_935
; %bb.934:                              ;   in Loop: Header=BB36_3 Depth=1
	ds_load_b64 v[34:35], v68 offset:25024
	s_wait_dscnt 0x0
	ds_store_b64 v69, v[34:35] offset:29056
	ds_load_b64 v[34:35], v68 offset:25032
	s_wait_dscnt 0x0
	ds_store_b64 v69, v[34:35] offset:29568
	;; [unrolled: 3-line block ×8, first 2 shown]
.LBB36_935:                             ;   in Loop: Header=BB36_3 Depth=1
	s_or_b32 exec_lo, exec_lo, s50
	s_wait_dscnt 0x0
	s_barrier_signal -1
	s_barrier_wait -1
	s_and_saveexec_b32 s50, s14
	s_cbranch_execz .LBB36_937
; %bb.936:                              ;   in Loop: Header=BB36_3 Depth=1
	ds_load_b128 v[34:37], v5 offset:29120
	ds_load_b64 v[38:39], v5 offset:29640
	s_wait_dscnt 0x0
	v_mul_f64_e32 v[34:35], v[34:35], v[38:39]
	s_delay_alu instid0(VALU_DEP_1)
	v_mul_f64_e32 v[34:35], v[36:37], v[34:35]
	v_add_nc_u32_e64 v36, 0x7000, 0
	ds_store_2addr_b64 v36, v[34:35], v[34:35] offset0:57 offset1:120
.LBB36_937:                             ;   in Loop: Header=BB36_3 Depth=1
	s_or_b32 exec_lo, exec_lo, s50
	v_mov_b64_e32 v[34:35], 0
	s_wait_dscnt 0x0
	s_barrier_signal -1
	s_barrier_wait -1
	s_and_saveexec_b32 s50, s0
	s_cbranch_execz .LBB36_941
; %bb.938:                              ;   in Loop: Header=BB36_3 Depth=1
	ds_load_b64 v[34:35], v41 offset:29136
	ds_load_b64 v[36:37], v42 offset:29120
	s_wait_dscnt 0x0
	v_fma_f64 v[34:35], v[34:35], v[36:37], 0
	s_and_saveexec_b32 s51, s15
	s_cbranch_execz .LBB36_940
; %bb.939:                              ;   in Loop: Header=BB36_3 Depth=1
	ds_load_b64 v[36:37], v69 offset:29648
	ds_load_b64 v[38:39], v5 offset:29128
	s_wait_dscnt 0x0
	v_fmac_f64_e32 v[34:35], v[36:37], v[38:39]
.LBB36_940:                             ;   in Loop: Header=BB36_3 Depth=1
	s_or_b32 exec_lo, exec_lo, s51
	s_delay_alu instid0(VALU_DEP_1)
	v_xor_b32_e32 v35, 0x80000000, v35
.LBB36_941:                             ;   in Loop: Header=BB36_3 Depth=1
	s_or_b32 exec_lo, exec_lo, s50
	s_and_saveexec_b32 s50, s94
	s_cbranch_execz .LBB36_943
; %bb.942:                              ;   in Loop: Header=BB36_3 Depth=1
	ds_load_b64 v[36:37], v5 offset:30160
	s_wait_dscnt 0x0
	v_mul_f64_e32 v[34:35], v[34:35], v[36:37]
	ds_store_b64 v3, v[34:35]
.LBB36_943:                             ;   in Loop: Header=BB36_3 Depth=1
	s_or_b32 exec_lo, exec_lo, s50
	s_wait_dscnt 0x0
	s_barrier_signal -1
	s_barrier_wait -1
	s_and_saveexec_b32 s50, s95
	s_cbranch_execz .LBB36_945
; %bb.944:                              ;   in Loop: Header=BB36_3 Depth=1
	ds_load_b64 v[36:37], v5 offset:30168
	ds_load_b64 v[38:39], v3
	s_wait_dscnt 0x0
	v_fmac_f64_e32 v[34:35], v[36:37], v[38:39]
.LBB36_945:                             ;   in Loop: Header=BB36_3 Depth=1
	s_or_b32 exec_lo, exec_lo, s50
	s_barrier_signal -1
	s_barrier_wait -1
	s_and_saveexec_b32 s50, s95
	s_cbranch_execz .LBB36_947
; %bb.946:                              ;   in Loop: Header=BB36_3 Depth=1
	ds_load_b64 v[36:37], v5 offset:30680
	s_wait_dscnt 0x0
	v_mul_f64_e32 v[34:35], v[34:35], v[36:37]
	ds_store_b64 v3, v[34:35]
.LBB36_947:                             ;   in Loop: Header=BB36_3 Depth=1
	s_or_b32 exec_lo, exec_lo, s50
	s_wait_dscnt 0x0
	s_barrier_signal -1
	s_barrier_wait -1
	s_barrier_signal -1
	s_barrier_wait -1
	s_and_saveexec_b32 s50, s0
; %bb.948:                              ;   in Loop: Header=BB36_3 Depth=1
	s_delay_alu instid0(VALU_DEP_1)
	v_xor_b32_e32 v35, 0x80000000, v35
	ds_store_b64 v41, v[34:35] offset:29136
; %bb.949:                              ;   in Loop: Header=BB36_3 Depth=1
	s_or_b32 exec_lo, exec_lo, s50
	s_wait_dscnt 0x0
	s_barrier_signal -1
	s_barrier_wait -1
	s_barrier_signal -1
	s_barrier_wait -1
	s_and_saveexec_b32 s50, s96
	s_cbranch_execz .LBB36_951
; %bb.950:                              ;   in Loop: Header=BB36_3 Depth=1
	ds_load_b64 v[34:35], v70 offset:29136
	s_wait_dscnt 0x0
	ds_store_b64 v69, v[34:35] offset:30144
	ds_load_b64 v[34:35], v70 offset:29144
	s_wait_dscnt 0x0
	ds_store_b64 v69, v[34:35] offset:30656
.LBB36_951:                             ;   in Loop: Header=BB36_3 Depth=1
	s_or_b32 exec_lo, exec_lo, s50
	s_wait_dscnt 0x0
	s_barrier_signal -1
	s_barrier_wait -1
	s_and_saveexec_b32 s50, s14
	s_cbranch_execz .LBB36_953
; %bb.952:                              ;   in Loop: Header=BB36_3 Depth=1
	ds_load_b128 v[34:37], v5 offset:30160
	ds_load_b64 v[38:39], v5 offset:30680
	s_wait_dscnt 0x0
	v_mul_f64_e32 v[34:35], v[34:35], v[38:39]
	s_delay_alu instid0(VALU_DEP_1)
	v_mul_f64_e32 v[34:35], v[36:37], v[34:35]
	v_add_nc_u32_e64 v36, 0x7000, 0
	ds_store_2addr_b64 v36, v[34:35], v[34:35] offset0:187 offset1:250
.LBB36_953:                             ;   in Loop: Header=BB36_3 Depth=1
	s_or_b32 exec_lo, exec_lo, s50
	v_mov_b64_e32 v[34:35], 0
	s_wait_dscnt 0x0
	s_barrier_signal -1
	s_barrier_wait -1
	s_and_saveexec_b32 s65, s2
	s_cbranch_execz .LBB36_959
; %bb.954:                              ;   in Loop: Header=BB36_3 Depth=1
	ds_load_b64 v[34:35], v48 offset:29152
	ds_load_b64 v[36:37], v44 offset:29120
	s_wait_dscnt 0x0
	v_fma_f64 v[34:35], v[34:35], v[36:37], 0
	s_and_saveexec_b32 s50, s16
	s_cbranch_execnz .LBB36_1147
; %bb.955:                              ;   in Loop: Header=BB36_3 Depth=1
	s_or_b32 exec_lo, exec_lo, s50
	s_and_saveexec_b32 s50, s17
	s_cbranch_execnz .LBB36_1148
.LBB36_956:                             ;   in Loop: Header=BB36_3 Depth=1
	s_or_b32 exec_lo, exec_lo, s50
	s_and_saveexec_b32 s50, s0
	s_cbranch_execz .LBB36_958
.LBB36_957:                             ;   in Loop: Header=BB36_3 Depth=1
	ds_load_b64 v[36:37], v71 offset:30688
	ds_load_b64 v[38:39], v5 offset:29144
	s_wait_dscnt 0x0
	v_fmac_f64_e32 v[34:35], v[36:37], v[38:39]
.LBB36_958:                             ;   in Loop: Header=BB36_3 Depth=1
	s_or_b32 exec_lo, exec_lo, s50
	s_delay_alu instid0(VALU_DEP_1)
	v_xor_b32_e32 v35, 0x80000000, v35
.LBB36_959:                             ;   in Loop: Header=BB36_3 Depth=1
	s_or_b32 exec_lo, exec_lo, s65
	s_and_saveexec_b32 s50, s97
	s_cbranch_execz .LBB36_961
; %bb.960:                              ;   in Loop: Header=BB36_3 Depth=1
	ds_load_b64 v[36:37], v5 offset:31200
	s_wait_dscnt 0x0
	v_mul_f64_e32 v[34:35], v[34:35], v[36:37]
	ds_store_b64 v47, v[34:35]
.LBB36_961:                             ;   in Loop: Header=BB36_3 Depth=1
	s_or_b32 exec_lo, exec_lo, s50
	s_wait_dscnt 0x0
	s_barrier_signal -1
	s_barrier_wait -1
	s_and_saveexec_b32 s50, s98
	s_cbranch_execz .LBB36_963
; %bb.962:                              ;   in Loop: Header=BB36_3 Depth=1
	ds_load_b64 v[36:37], v45 offset:31200
	ds_load_b64 v[38:39], v47
	s_wait_dscnt 0x0
	v_fmac_f64_e32 v[34:35], v[36:37], v[38:39]
.LBB36_963:                             ;   in Loop: Header=BB36_3 Depth=1
	s_or_b32 exec_lo, exec_lo, s50
	s_barrier_signal -1
	s_barrier_wait -1
	s_and_saveexec_b32 s50, s99
	s_cbranch_execz .LBB36_965
; %bb.964:                              ;   in Loop: Header=BB36_3 Depth=1
	ds_load_b64 v[36:37], v5 offset:31720
	s_wait_dscnt 0x0
	v_mul_f64_e32 v[34:35], v[34:35], v[36:37]
	ds_store_b64 v47, v[34:35]
.LBB36_965:                             ;   in Loop: Header=BB36_3 Depth=1
	s_or_b32 exec_lo, exec_lo, s50
	s_wait_dscnt 0x0
	s_barrier_signal -1
	s_barrier_wait -1
	s_and_saveexec_b32 s50, s100
	s_cbranch_execz .LBB36_967
; %bb.966:                              ;   in Loop: Header=BB36_3 Depth=1
	ds_load_b64 v[36:37], v45 offset:31712
	ds_load_b64 v[38:39], v47
	s_wait_dscnt 0x0
	v_fmac_f64_e32 v[34:35], v[36:37], v[38:39]
.LBB36_967:                             ;   in Loop: Header=BB36_3 Depth=1
	s_or_b32 exec_lo, exec_lo, s50
	s_barrier_signal -1
	s_barrier_wait -1
	;; [unrolled: 23-line block ×3, first 2 shown]
	s_and_saveexec_b32 s50, s102
	s_cbranch_execz .LBB36_973
; %bb.972:                              ;   in Loop: Header=BB36_3 Depth=1
	ds_load_b64 v[36:37], v5 offset:32760
	s_wait_dscnt 0x0
	v_mul_f64_e32 v[34:35], v[34:35], v[36:37]
	ds_store_b64 v47, v[34:35]
.LBB36_973:                             ;   in Loop: Header=BB36_3 Depth=1
	s_or_b32 exec_lo, exec_lo, s50
	s_wait_dscnt 0x0
	s_barrier_signal -1
	s_barrier_wait -1
	s_barrier_signal -1
	s_barrier_wait -1
	s_and_saveexec_b32 s50, s2
; %bb.974:                              ;   in Loop: Header=BB36_3 Depth=1
	s_delay_alu instid0(VALU_DEP_1)
	v_xor_b32_e32 v35, 0x80000000, v35
	ds_store_b64 v48, v[34:35] offset:29152
; %bb.975:                              ;   in Loop: Header=BB36_3 Depth=1
	s_or_b32 exec_lo, exec_lo, s50
	s_wait_dscnt 0x0
	s_barrier_signal -1
	s_barrier_wait -1
	s_barrier_signal -1
	s_barrier_wait -1
	s_and_saveexec_b32 s50, s103
	s_cbranch_execz .LBB36_977
; %bb.976:                              ;   in Loop: Header=BB36_3 Depth=1
	ds_load_b64 v[34:35], v74 offset:29152
	s_wait_dscnt 0x0
	ds_store_b64 v77, v[34:35] offset:31168
	ds_load_b64 v[34:35], v74 offset:29160
	s_wait_dscnt 0x0
	ds_store_b64 v77, v[34:35] offset:31680
	;; [unrolled: 3-line block ×4, first 2 shown]
.LBB36_977:                             ;   in Loop: Header=BB36_3 Depth=1
	s_or_b32 exec_lo, exec_lo, s50
	s_wait_dscnt 0x0
	s_barrier_signal -1
	s_barrier_wait -1
	s_and_saveexec_b32 s50, s14
	s_cbranch_execz .LBB36_979
; %bb.978:                              ;   in Loop: Header=BB36_3 Depth=1
	ds_load_b128 v[34:37], v5 offset:31200
	ds_load_b64 v[38:39], v5 offset:31720
	s_wait_dscnt 0x0
	v_mul_f64_e32 v[34:35], v[34:35], v[38:39]
	s_delay_alu instid0(VALU_DEP_1)
	v_mul_f64_e32 v[34:35], v[36:37], v[34:35]
	v_add_nc_u32_e64 v36, 0x7800, 0
	ds_store_2addr_b64 v36, v[34:35], v[34:35] offset0:61 offset1:124
.LBB36_979:                             ;   in Loop: Header=BB36_3 Depth=1
	s_or_b32 exec_lo, exec_lo, s50
	v_mov_b64_e32 v[34:35], 0
	s_wait_dscnt 0x0
	s_barrier_signal -1
	s_barrier_wait -1
	s_and_saveexec_b32 s50, s0
	s_cbranch_execz .LBB36_983
; %bb.980:                              ;   in Loop: Header=BB36_3 Depth=1
	ds_load_b64 v[34:35], v41 offset:31216
	ds_load_b64 v[36:37], v42 offset:31200
	s_wait_dscnt 0x0
	v_fma_f64 v[34:35], v[34:35], v[36:37], 0
	s_and_saveexec_b32 s51, s15
	s_cbranch_execz .LBB36_982
; %bb.981:                              ;   in Loop: Header=BB36_3 Depth=1
	ds_load_b64 v[36:37], v77 offset:31728
	ds_load_b64 v[38:39], v5 offset:31208
	s_wait_dscnt 0x0
	v_fmac_f64_e32 v[34:35], v[36:37], v[38:39]
.LBB36_982:                             ;   in Loop: Header=BB36_3 Depth=1
	s_or_b32 exec_lo, exec_lo, s51
	s_delay_alu instid0(VALU_DEP_1)
	v_xor_b32_e32 v35, 0x80000000, v35
.LBB36_983:                             ;   in Loop: Header=BB36_3 Depth=1
	s_or_b32 exec_lo, exec_lo, s50
	s_and_saveexec_b32 s50, s94
	s_cbranch_execz .LBB36_985
; %bb.984:                              ;   in Loop: Header=BB36_3 Depth=1
	ds_load_b64 v[36:37], v5 offset:32240
	s_wait_dscnt 0x0
	v_mul_f64_e32 v[34:35], v[34:35], v[36:37]
	ds_store_b64 v3, v[34:35]
.LBB36_985:                             ;   in Loop: Header=BB36_3 Depth=1
	s_or_b32 exec_lo, exec_lo, s50
	s_wait_dscnt 0x0
	s_barrier_signal -1
	s_barrier_wait -1
	s_and_saveexec_b32 s50, s95
	s_cbranch_execz .LBB36_987
; %bb.986:                              ;   in Loop: Header=BB36_3 Depth=1
	ds_load_b64 v[36:37], v5 offset:32248
	ds_load_b64 v[38:39], v3
	s_wait_dscnt 0x0
	v_fmac_f64_e32 v[34:35], v[36:37], v[38:39]
.LBB36_987:                             ;   in Loop: Header=BB36_3 Depth=1
	s_or_b32 exec_lo, exec_lo, s50
	s_barrier_signal -1
	s_barrier_wait -1
	s_and_saveexec_b32 s50, s95
	s_cbranch_execz .LBB36_989
; %bb.988:                              ;   in Loop: Header=BB36_3 Depth=1
	ds_load_b64 v[36:37], v5 offset:32760
	s_wait_dscnt 0x0
	v_mul_f64_e32 v[34:35], v[34:35], v[36:37]
	ds_store_b64 v3, v[34:35]
.LBB36_989:                             ;   in Loop: Header=BB36_3 Depth=1
	s_or_b32 exec_lo, exec_lo, s50
	s_wait_dscnt 0x0
	s_barrier_signal -1
	s_barrier_wait -1
	s_barrier_signal -1
	s_barrier_wait -1
	s_and_saveexec_b32 s50, s0
; %bb.990:                              ;   in Loop: Header=BB36_3 Depth=1
	s_delay_alu instid0(VALU_DEP_1)
	v_xor_b32_e32 v35, 0x80000000, v35
	ds_store_b64 v41, v[34:35] offset:31216
; %bb.991:                              ;   in Loop: Header=BB36_3 Depth=1
	s_or_b32 exec_lo, exec_lo, s50
	s_wait_dscnt 0x0
	s_barrier_signal -1
	s_barrier_wait -1
	s_barrier_signal -1
	s_barrier_wait -1
	s_and_saveexec_b32 s50, s96
	s_cbranch_execz .LBB36_993
; %bb.992:                              ;   in Loop: Header=BB36_3 Depth=1
	ds_load_b64 v[34:35], v78 offset:31216
	s_wait_dscnt 0x0
	ds_store_b64 v77, v[34:35] offset:32224
	ds_load_b64 v[34:35], v78 offset:31224
	s_wait_dscnt 0x0
	ds_store_b64 v77, v[34:35] offset:32736
.LBB36_993:                             ;   in Loop: Header=BB36_3 Depth=1
	s_or_b32 exec_lo, exec_lo, s50
	s_wait_dscnt 0x0
	s_barrier_signal -1
	s_barrier_wait -1
	s_and_saveexec_b32 s50, s14
	s_cbranch_execz .LBB36_995
; %bb.994:                              ;   in Loop: Header=BB36_3 Depth=1
	ds_load_b128 v[34:37], v5 offset:32240
	ds_load_b64 v[38:39], v5 offset:32760
	s_wait_dscnt 0x0
	v_mul_f64_e32 v[34:35], v[34:35], v[38:39]
	s_delay_alu instid0(VALU_DEP_1)
	v_mul_f64_e32 v[34:35], v[36:37], v[34:35]
	v_add_nc_u32_e64 v36, 0x7800, 0
	ds_store_2addr_b64 v36, v[34:35], v[34:35] offset0:191 offset1:254
.LBB36_995:                             ;   in Loop: Header=BB36_3 Depth=1
	s_or_b32 exec_lo, exec_lo, s50
.LBB36_996:                             ;   in Loop: Header=BB36_3 Depth=1
	v_readlane_b32 s52, v98, 4
	v_mov_b64_e32 v[34:35], 0
	v_readlane_b32 s53, v98, 5
	s_mul_u64 s[50:51], s[76:77], s[80:81]
	s_wait_dscnt 0x0
	s_lshl_b64 s[50:51], s[50:51], 3
	s_barrier_signal -1
	s_add_nc_u64 s[84:85], s[52:53], s[50:51]
	s_barrier_wait -1
	s_and_saveexec_b32 s50, s71
	s_cbranch_execz .LBB36_998
; %bb.997:                              ;   in Loop: Header=BB36_3 Depth=1
	v_lshl_add_u64 v[34:35], v[0:1], 3, s[84:85]
	global_load_b64 v[34:35], v[34:35], off
	s_wait_loadcnt 0x0
	v_mul_f64_e64 v[34:35], v[34:35], -v[32:33]
.LBB36_998:                             ;   in Loop: Header=BB36_3 Depth=1
	s_or_b32 exec_lo, exec_lo, s50
	s_delay_alu instid0(SALU_CYCLE_1)
	s_and_not1_b32 vcc_lo, exec_lo, s88
	s_cbranch_vccnz .LBB36_1024
; %bb.999:                              ;   in Loop: Header=BB36_3 Depth=1
	v_mov_b32_e32 v92, -1
	s_lshl_b64 s[50:51], s[80:81], 2
	s_mov_b32 s65, 0
	s_add_nc_u64 s[86:87], s[78:79], s[50:51]
	s_branch .LBB36_1002
.LBB36_1000:                            ;   in Loop: Header=BB36_1002 Depth=2
	s_wait_xcnt 0x0
	ds_load_b64 v[32:33], v79 offset:384
	s_wait_loadcnt_dscnt 0x0
	v_fmac_f64_e32 v[34:35], v[36:37], v[32:33]
.LBB36_1001:                            ;   in Loop: Header=BB36_1002 Depth=2
	s_or_b32 exec_lo, exec_lo, s50
	s_add_co_i32 s65, s65, 1
	s_delay_alu instid0(SALU_CYCLE_1)
	s_cmp_eq_u32 s65, s89
	s_cbranch_scc1 .LBB36_1024
.LBB36_1002:                            ;   Parent Loop BB36_3 Depth=1
                                        ; =>  This Loop Header: Depth=2
                                        ;       Child Loop BB36_1004 Depth 3
	v_cmp_gt_i32_e32 vcc_lo, s65, v92
	s_and_b32 s51, s59, vcc_lo
	s_delay_alu instid0(SALU_CYCLE_1)
	s_and_saveexec_b32 s50, s51
	s_cbranch_execz .LBB36_1005
; %bb.1003:                             ;   in Loop: Header=BB36_1002 Depth=2
	global_load_b32 v92, v5, s[86:87]
	s_wait_loadcnt 0x0
	v_cmp_le_i32_e32 vcc_lo, s65, v92
	s_cbranch_vccnz .LBB36_1005
.LBB36_1004:                            ;   Parent Loop BB36_3 Depth=1
                                        ;     Parent Loop BB36_1002 Depth=2
                                        ; =>    This Inner Loop Header: Depth=3
	global_wb scope:SCOPE_DEV
	s_wait_storecnt 0x0
	global_inv scope:SCOPE_DEV
	global_load_b32 v92, v5, s[86:87]
	s_wait_loadcnt 0x0
	v_cmp_gt_i32_e32 vcc_lo, s65, v92
	s_cbranch_vccnz .LBB36_1004
.LBB36_1005:                            ;   in Loop: Header=BB36_1002 Depth=2
	s_or_b32 exec_lo, exec_lo, s50
	s_sub_co_i32 s50, s90, s65
	global_wb scope:SCOPE_DEV
	s_wait_storecnt 0x0
	global_inv scope:SCOPE_DEV
	s_lshl_b32 s51, s50, 6
	s_wait_loadcnt 0x0
	s_barrier_signal -1
	s_barrier_wait -1
	s_and_saveexec_b32 s52, s60
	s_cbranch_execz .LBB36_1009
; %bb.1006:                             ;   in Loop: Header=BB36_1002 Depth=2
	s_ashr_i32 s53, s51, 31
	v_mov_b64_e32 v[36:37], 0
	v_dual_mov_b32 v33, s53 :: v_dual_bitop2_b32 v32, s51, v4 bitop3:0x54
	s_mov_b32 s53, exec_lo
	s_delay_alu instid0(VALU_DEP_1)
	v_cmpx_gt_i64_e64 s[82:83], v[32:33]
	s_cbranch_execz .LBB36_1008
; %bb.1007:                             ;   in Loop: Header=BB36_1002 Depth=2
	v_mul_u64_e32 v[32:33], s[74:75], v[32:33]
	s_delay_alu instid0(VALU_DEP_1)
	v_lshl_add_u64 v[32:33], v[32:33], 3, s[84:85]
	global_load_b64 v[36:37], v[32:33], off
.LBB36_1008:                            ;   in Loop: Header=BB36_1002 Depth=2
	s_wait_xcnt 0x0
	s_or_b32 exec_lo, exec_lo, s53
	s_wait_loadcnt 0x0
	ds_store_b64 v84, v[36:37]
.LBB36_1009:                            ;   in Loop: Header=BB36_1002 Depth=2
	s_or_b32 exec_lo, exec_lo, s52
	v_add_nc_u32_e32 v36, s51, v40
	s_cmp_lg_u32 s50, s49
	s_wait_dscnt 0x0
	s_cselect_b32 s51, -1, 0
	s_barrier_signal -1
	v_ashrrev_i32_e32 v37, 31, v36
	v_cmp_gt_i32_e32 vcc_lo, s82, v36
	s_barrier_wait -1
	s_delay_alu instid0(VALU_DEP_2) | instskip(SKIP_2) | instid1(SALU_CYCLE_1)
	v_lshl_add_u64 v[32:33], v[36:37], 3, v[30:31]
	v_cndmask_b32_e64 v37, 0, 1, s51
	s_and_b32 s52, vcc_lo, s5
	s_and_saveexec_b32 s50, s52
	s_cbranch_execz .LBB36_1013
; %bb.1010:                             ;   in Loop: Header=BB36_1002 Depth=2
	v_mov_b64_e32 v[38:39], v[22:23]
	s_and_not1_b32 vcc_lo, exec_lo, s51
	s_cbranch_vccnz .LBB36_1012
; %bb.1011:                             ;   in Loop: Header=BB36_1002 Depth=2
	global_load_b64 v[38:39], v[32:33], off
.LBB36_1012:                            ;   in Loop: Header=BB36_1002 Depth=2
	ds_load_b64 v[94:95], v79
	s_wait_loadcnt_dscnt 0x0
	v_fmac_f64_e32 v[34:35], v[38:39], v[94:95]
.LBB36_1013:                            ;   in Loop: Header=BB36_1002 Depth=2
	s_or_b32 exec_lo, exec_lo, s50
	v_add_nc_u32_e32 v38, 16, v36
	s_delay_alu instid0(VALU_DEP_1) | instskip(SKIP_1) | instid1(SALU_CYCLE_1)
	v_cmp_gt_i32_e32 vcc_lo, s82, v38
	s_and_b32 s51, vcc_lo, s5
	s_and_saveexec_b32 s50, s51
	s_cbranch_execz .LBB36_1017
; %bb.1014:                             ;   in Loop: Header=BB36_1002 Depth=2
	v_cmp_ne_u32_e32 vcc_lo, 1, v37
	v_mov_b64_e32 v[38:39], v[24:25]
	s_cbranch_vccnz .LBB36_1016
; %bb.1015:                             ;   in Loop: Header=BB36_1002 Depth=2
	global_load_b64 v[38:39], v[32:33], off offset:128
.LBB36_1016:                            ;   in Loop: Header=BB36_1002 Depth=2
	ds_load_b64 v[94:95], v79 offset:128
	s_wait_loadcnt_dscnt 0x0
	v_fmac_f64_e32 v[34:35], v[38:39], v[94:95]
.LBB36_1017:                            ;   in Loop: Header=BB36_1002 Depth=2
	s_or_b32 exec_lo, exec_lo, s50
	v_add_nc_u32_e32 v38, 32, v36
	s_delay_alu instid0(VALU_DEP_1) | instskip(SKIP_1) | instid1(SALU_CYCLE_1)
	v_cmp_gt_i32_e32 vcc_lo, s82, v38
	s_and_b32 s51, vcc_lo, s5
	s_and_saveexec_b32 s50, s51
	s_cbranch_execz .LBB36_1021
; %bb.1018:                             ;   in Loop: Header=BB36_1002 Depth=2
	v_cmp_ne_u32_e32 vcc_lo, 1, v37
	v_mov_b64_e32 v[38:39], v[26:27]
	s_cbranch_vccnz .LBB36_1020
; %bb.1019:                             ;   in Loop: Header=BB36_1002 Depth=2
	global_load_b64 v[38:39], v[32:33], off offset:256
.LBB36_1020:                            ;   in Loop: Header=BB36_1002 Depth=2
	ds_load_b64 v[94:95], v79 offset:256
	s_wait_loadcnt_dscnt 0x0
	v_fmac_f64_e32 v[34:35], v[38:39], v[94:95]
.LBB36_1021:                            ;   in Loop: Header=BB36_1002 Depth=2
	s_or_b32 exec_lo, exec_lo, s50
	v_add_nc_u32_e32 v36, 48, v36
	s_delay_alu instid0(VALU_DEP_1) | instskip(SKIP_1) | instid1(SALU_CYCLE_1)
	v_cmp_gt_i32_e32 vcc_lo, s82, v36
	s_and_b32 s51, vcc_lo, s5
	s_and_saveexec_b32 s50, s51
	s_cbranch_execz .LBB36_1001
; %bb.1022:                             ;   in Loop: Header=BB36_1002 Depth=2
	v_cmp_ne_u32_e32 vcc_lo, 1, v37
	v_mov_b64_e32 v[36:37], v[28:29]
	s_cbranch_vccnz .LBB36_1000
; %bb.1023:                             ;   in Loop: Header=BB36_1002 Depth=2
	global_load_b64 v[36:37], v[32:33], off offset:384
	s_branch .LBB36_1000
.LBB36_1024:                            ;   in Loop: Header=BB36_3 Depth=1
	ds_store_b64 v85, v[34:35]
	s_wait_dscnt 0x0
	s_barrier_signal -1
	s_barrier_wait -1
	s_and_saveexec_b32 s65, s1
	s_cbranch_execz .LBB36_1026
; %bb.1025:                             ;   in Loop: Header=BB36_3 Depth=1
	ds_load_2addr_stride64_b64 v[30:33], v86 offset0:1 offset1:2
	ds_load_2addr_stride64_b64 v[36:39], v86 offset0:3 offset1:4
	s_wait_dscnt 0x1
	v_add_f64_e32 v[30:31], v[34:35], v[30:31]
	s_delay_alu instid0(VALU_DEP_1) | instskip(SKIP_1) | instid1(VALU_DEP_1)
	v_add_f64_e32 v[30:31], v[30:31], v[32:33]
	s_wait_dscnt 0x0
	v_add_f64_e32 v[30:31], v[30:31], v[36:37]
	s_delay_alu instid0(VALU_DEP_1) | instskip(SKIP_4) | instid1(VALU_DEP_1)
	v_add_f64_e32 v[38:39], v[30:31], v[38:39]
	ds_load_2addr_stride64_b64 v[30:33], v86 offset0:5 offset1:6
	ds_load_2addr_stride64_b64 v[34:37], v86 offset0:7 offset1:8
	s_wait_dscnt 0x1
	v_add_f64_e32 v[30:31], v[38:39], v[30:31]
	v_add_f64_e32 v[30:31], v[30:31], v[32:33]
	s_wait_dscnt 0x0
	s_delay_alu instid0(VALU_DEP_1) | instskip(NEXT) | instid1(VALU_DEP_1)
	v_add_f64_e32 v[30:31], v[30:31], v[34:35]
	v_add_f64_e32 v[38:39], v[30:31], v[36:37]
	ds_load_2addr_stride64_b64 v[30:33], v86 offset0:9 offset1:10
	ds_load_2addr_stride64_b64 v[34:37], v86 offset0:11 offset1:12
	s_wait_dscnt 0x1
	v_add_f64_e32 v[30:31], v[38:39], v[30:31]
	s_delay_alu instid0(VALU_DEP_1) | instskip(SKIP_1) | instid1(VALU_DEP_1)
	v_add_f64_e32 v[30:31], v[30:31], v[32:33]
	s_wait_dscnt 0x0
	v_add_f64_e32 v[30:31], v[30:31], v[34:35]
	s_delay_alu instid0(VALU_DEP_1) | instskip(SKIP_4) | instid1(VALU_DEP_1)
	v_add_f64_e32 v[34:35], v[30:31], v[36:37]
	ds_load_2addr_stride64_b64 v[30:33], v86 offset0:13 offset1:14
	ds_load_b64 v[36:37], v86 offset:7680
	s_wait_dscnt 0x1
	v_add_f64_e32 v[30:31], v[34:35], v[30:31]
	v_add_f64_e32 v[30:31], v[30:31], v[32:33]
	s_wait_dscnt 0x0
	s_delay_alu instid0(VALU_DEP_1) | instskip(NEXT) | instid1(VALU_DEP_1)
	v_add_f64_e32 v[30:31], v[30:31], v[36:37]
	v_xor_b32_e32 v31, 0x80000000, v31
	s_delay_alu instid0(VALU_DEP_2) | instskip(NEXT) | instid1(VALU_DEP_2)
	v_cndmask_b32_e64 v34, v30, 0, s70
	v_cndmask_b32_e64 v35, v31, 0, s70
.LBB36_1026:                            ;   in Loop: Header=BB36_3 Depth=1
	s_or_b32 exec_lo, exec_lo, s65
	s_delay_alu instid0(SALU_CYCLE_1)
	s_and_not1_b32 vcc_lo, exec_lo, s93
	s_cbranch_vccnz .LBB36_1036
; %bb.1027:                             ;   in Loop: Header=BB36_3 Depth=1
	s_and_saveexec_b32 s50, s1
; %bb.1028:                             ;   in Loop: Header=BB36_3 Depth=1
	ds_store_b64 v90, v[34:35]
; %bb.1029:                             ;   in Loop: Header=BB36_3 Depth=1
	s_or_b32 exec_lo, exec_lo, s50
	v_mov_b64_e32 v[30:31], 0
	s_wait_dscnt 0x0
	s_barrier_signal -1
	s_barrier_wait -1
	s_and_saveexec_b32 s50, s6
	s_cbranch_execnz .LBB36_1092
; %bb.1030:                             ;   in Loop: Header=BB36_3 Depth=1
	s_or_b32 exec_lo, exec_lo, s50
	s_and_saveexec_b32 s50, s7
	s_cbranch_execnz .LBB36_1093
.LBB36_1031:                            ;   in Loop: Header=BB36_3 Depth=1
	s_or_b32 exec_lo, exec_lo, s50
	s_and_saveexec_b32 s50, s8
	s_cbranch_execnz .LBB36_1094
.LBB36_1032:                            ;   in Loop: Header=BB36_3 Depth=1
	s_or_b32 exec_lo, exec_lo, s50
	s_and_saveexec_b32 s50, s9
	s_cbranch_execz .LBB36_1034
.LBB36_1033:                            ;   in Loop: Header=BB36_3 Depth=1
	ds_load_b64 v[32:33], v89 offset:24576
	ds_load_b64 v[36:37], v79 offset:384
	s_wait_dscnt 0x0
	v_fmac_f64_e32 v[30:31], v[32:33], v[36:37]
.LBB36_1034:                            ;   in Loop: Header=BB36_3 Depth=1
	s_or_b32 exec_lo, exec_lo, s50
	s_mov_b32 s65, 0
	s_mov_b32 s86, 0
	ds_store_b64 v85, v[30:31]
	s_wait_dscnt 0x0
	s_barrier_signal -1
	s_barrier_wait -1
                                        ; implicit-def: $vgpr32_vgpr33
	s_and_saveexec_b32 s87, s1
	s_cbranch_execz .LBB36_1095
; %bb.1035:                             ;   in Loop: Header=BB36_3 Depth=1
	ds_load_2addr_stride64_b64 v[36:39], v86 offset0:1 offset1:2
	ds_load_2addr_stride64_b64 v[92:95], v86 offset0:3 offset1:4
	s_mov_b32 s86, exec_lo
	s_wait_dscnt 0x1
	v_add_f64_e32 v[30:31], v[30:31], v[36:37]
	s_delay_alu instid0(VALU_DEP_1) | instskip(SKIP_1) | instid1(VALU_DEP_1)
	v_add_f64_e32 v[30:31], v[38:39], v[30:31]
	s_wait_dscnt 0x0
	v_add_f64_e32 v[30:31], v[92:93], v[30:31]
	s_delay_alu instid0(VALU_DEP_1) | instskip(SKIP_4) | instid1(VALU_DEP_1)
	v_add_f64_e32 v[92:93], v[94:95], v[30:31]
	ds_load_2addr_stride64_b64 v[30:33], v86 offset0:5 offset1:6
	ds_load_2addr_stride64_b64 v[36:39], v86 offset0:7 offset1:8
	s_wait_dscnt 0x1
	v_add_f64_e32 v[30:31], v[30:31], v[92:93]
	v_add_f64_e32 v[30:31], v[32:33], v[30:31]
	s_wait_dscnt 0x0
	s_delay_alu instid0(VALU_DEP_1) | instskip(NEXT) | instid1(VALU_DEP_1)
	v_add_f64_e32 v[30:31], v[36:37], v[30:31]
	v_add_f64_e32 v[92:93], v[38:39], v[30:31]
	ds_load_2addr_stride64_b64 v[30:33], v86 offset0:9 offset1:10
	ds_load_2addr_stride64_b64 v[36:39], v86 offset0:11 offset1:12
	s_wait_dscnt 0x1
	v_add_f64_e32 v[30:31], v[30:31], v[92:93]
	s_delay_alu instid0(VALU_DEP_1) | instskip(SKIP_1) | instid1(VALU_DEP_1)
	v_add_f64_e32 v[30:31], v[32:33], v[30:31]
	s_wait_dscnt 0x0
	v_add_f64_e32 v[30:31], v[36:37], v[30:31]
	s_delay_alu instid0(VALU_DEP_1) | instskip(SKIP_4) | instid1(VALU_DEP_1)
	v_add_f64_e32 v[36:37], v[38:39], v[30:31]
	ds_load_2addr_stride64_b64 v[30:33], v86 offset0:13 offset1:14
	ds_load_b64 v[38:39], v86 offset:7680
	s_wait_dscnt 0x1
	v_add_f64_e32 v[30:31], v[30:31], v[36:37]
	v_add_f64_e32 v[30:31], v[32:33], v[30:31]
	s_wait_dscnt 0x0
	s_delay_alu instid0(VALU_DEP_1) | instskip(SKIP_1) | instid1(SALU_CYCLE_1)
	v_add_f64_e32 v[32:33], v[38:39], v[30:31]
	s_or_b32 exec_lo, exec_lo, s87
	s_and_b32 vcc_lo, exec_lo, s65
	s_cbranch_vccnz .LBB36_1037
	s_branch .LBB36_1096
.LBB36_1036:                            ;   in Loop: Header=BB36_3 Depth=1
	s_mov_b32 s86, 0
                                        ; implicit-def: $vgpr32_vgpr33
	s_cbranch_execz .LBB36_1096
.LBB36_1037:                            ;   in Loop: Header=BB36_3 Depth=1
	v_dual_mov_b32 v30, v91 :: v_dual_mov_b32 v31, v88
	s_mov_b32 s65, 63
	s_branch .LBB36_1039
.LBB36_1038:                            ;   in Loop: Header=BB36_1039 Depth=2
	s_or_b32 exec_lo, exec_lo, s50
	v_add_nc_u32_e32 v31, 0xfffff800, v31
	v_add_nc_u32_e32 v30, 4, v30
	s_add_co_i32 s65, s65, -4
	s_cmp_lg_u32 s87, 0
	s_barrier_signal -1
	s_barrier_wait -1
	s_cbranch_scc0 .LBB36_1055
.LBB36_1039:                            ;   Parent Loop BB36_3 Depth=1
                                        ; =>  This Inner Loop Header: Depth=2
	s_delay_alu instid0(VALU_DEP_1) | instskip(SKIP_2) | instid1(SALU_CYCLE_1)
	v_cmp_eq_u32_e32 vcc_lo, 0, v30
	v_add_nc_u32_e32 v32, v78, v43
	s_and_b32 s51, s1, vcc_lo
	s_and_saveexec_b32 s50, s51
	s_cbranch_execz .LBB36_1041
; %bb.1040:                             ;   in Loop: Header=BB36_1039 Depth=2
	ds_load_b64 v[36:37], v32
	s_wait_dscnt 0x0
	v_mul_f64_e32 v[34:35], v[34:35], v[36:37]
	ds_store_b64 v5, v[34:35] offset:41472
.LBB36_1041:                            ;   in Loop: Header=BB36_1039 Depth=2
	s_or_b32 exec_lo, exec_lo, s50
	v_cmp_gt_u32_e32 vcc_lo, s65, v2
	s_wait_dscnt 0x0
	s_barrier_signal -1
	s_barrier_wait -1
	s_and_b32 s51, s1, vcc_lo
	s_delay_alu instid0(SALU_CYCLE_1)
	s_and_saveexec_b32 s50, s51
	s_cbranch_execz .LBB36_1043
; %bb.1042:                             ;   in Loop: Header=BB36_1039 Depth=2
	ds_load_b64 v[36:37], v31 offset:1536
	ds_load_b64 v[38:39], v5 offset:41472
	s_wait_dscnt 0x0
	v_fmac_f64_e32 v[34:35], v[36:37], v[38:39]
.LBB36_1043:                            ;   in Loop: Header=BB36_1039 Depth=2
	s_or_b32 exec_lo, exec_lo, s50
	s_add_co_i32 s50, s65, -1
	s_delay_alu instid0(SALU_CYCLE_1) | instskip(SKIP_3) | instid1(SALU_CYCLE_1)
	v_cmp_eq_u32_e32 vcc_lo, s50, v2
	s_barrier_signal -1
	s_barrier_wait -1
	s_and_b32 s52, s1, vcc_lo
	s_and_saveexec_b32 s51, s52
	s_cbranch_execz .LBB36_1045
; %bb.1044:                             ;   in Loop: Header=BB36_1039 Depth=2
	ds_load_b64 v[36:37], v32
	s_wait_dscnt 0x0
	v_mul_f64_e32 v[34:35], v[34:35], v[36:37]
	ds_store_b64 v5, v[34:35] offset:41472
.LBB36_1045:                            ;   in Loop: Header=BB36_1039 Depth=2
	s_or_b32 exec_lo, exec_lo, s51
	v_cmp_gt_u32_e32 vcc_lo, s50, v2
	s_wait_dscnt 0x0
	s_barrier_signal -1
	s_barrier_wait -1
	s_and_b32 s51, s1, vcc_lo
	s_delay_alu instid0(SALU_CYCLE_1)
	s_and_saveexec_b32 s50, s51
	s_cbranch_execz .LBB36_1047
; %bb.1046:                             ;   in Loop: Header=BB36_1039 Depth=2
	ds_load_b64 v[36:37], v31 offset:1024
	ds_load_b64 v[38:39], v5 offset:41472
	s_wait_dscnt 0x0
	v_fmac_f64_e32 v[34:35], v[36:37], v[38:39]
.LBB36_1047:                            ;   in Loop: Header=BB36_1039 Depth=2
	s_or_b32 exec_lo, exec_lo, s50
	s_add_co_i32 s50, s65, -2
	s_delay_alu instid0(SALU_CYCLE_1) | instskip(SKIP_3) | instid1(SALU_CYCLE_1)
	v_cmp_eq_u32_e32 vcc_lo, s50, v2
	s_barrier_signal -1
	s_barrier_wait -1
	;; [unrolled: 30-line block ×3, first 2 shown]
	s_and_b32 s51, s1, vcc_lo
	s_and_saveexec_b32 s50, s51
	s_cbranch_execz .LBB36_1053
; %bb.1052:                             ;   in Loop: Header=BB36_1039 Depth=2
	ds_load_b64 v[32:33], v32
	s_wait_dscnt 0x0
	v_mul_f64_e32 v[34:35], v[34:35], v[32:33]
	ds_store_b64 v5, v[34:35] offset:41472
.LBB36_1053:                            ;   in Loop: Header=BB36_1039 Depth=2
	s_or_b32 exec_lo, exec_lo, s50
	v_cmp_gt_u32_e32 vcc_lo, s87, v2
	s_wait_dscnt 0x0
	s_barrier_signal -1
	s_barrier_wait -1
	s_and_b32 s51, s1, vcc_lo
	s_delay_alu instid0(SALU_CYCLE_1)
	s_and_saveexec_b32 s50, s51
	s_cbranch_execz .LBB36_1038
; %bb.1054:                             ;   in Loop: Header=BB36_1039 Depth=2
	ds_load_b64 v[32:33], v31
	ds_load_b64 v[36:37], v5 offset:41472
	s_wait_dscnt 0x0
	v_fmac_f64_e32 v[34:35], v[32:33], v[36:37]
	s_branch .LBB36_1038
.LBB36_1055:                            ;   in Loop: Header=BB36_3 Depth=1
	s_and_b32 vcc_lo, exec_lo, s91
	s_mov_b32 s50, -1
	s_cbranch_vccnz .LBB36_1097
; %bb.1056:                             ;   in Loop: Header=BB36_3 Depth=1
	s_and_not1_b32 vcc_lo, exec_lo, s50
	s_cbranch_vccz .LBB36_1098
.LBB36_1057:                            ;   in Loop: Header=BB36_3 Depth=1
	s_and_saveexec_b32 s50, s86
	s_cbranch_execz .LBB36_1059
.LBB36_1058:                            ;   in Loop: Header=BB36_3 Depth=1
	v_lshl_add_u64 v[30:31], v[10:11], 3, s[84:85]
	global_store_b64 v[30:31], v[34:35], off
.LBB36_1059:                            ;   in Loop: Header=BB36_3 Depth=1
	s_wait_xcnt 0x0
	s_or_b32 exec_lo, exec_lo, s50
	global_wb scope:SCOPE_DEV
	s_wait_storecnt 0x0
	global_inv scope:SCOPE_DEV
	s_wait_loadcnt 0x0
	s_barrier_signal -1
	s_barrier_wait -1
	s_and_saveexec_b32 s50, s59
	s_cbranch_execz .LBB36_2
; %bb.1060:                             ;   in Loop: Header=BB36_3 Depth=1
	s_lshl_b64 s[52:53], s[80:81], 2
	s_delay_alu instid0(SALU_CYCLE_1)
	s_add_nc_u64 s[52:53], s[78:79], s[52:53]
	global_load_b32 v30, v5, s[52:53]
	s_wait_loadcnt 0x0
	v_add_nc_u32_e32 v30, 1, v30
	global_store_b32 v5, v30, s[52:53]
	s_branch .LBB36_2
.LBB36_1061:                            ;   in Loop: Header=BB36_3 Depth=1
	s_mov_b32 s50, exec_lo
	v_readlane_b32 s51, v98, 21
	s_and_b32 s51, s50, s51
	s_delay_alu instid0(SALU_CYCLE_1)
	s_xor_b32 s50, s51, s50
	s_mov_b32 exec_lo, s51
	s_cbranch_execz .LBB36_1065
; %bb.1062:                             ;   in Loop: Header=BB36_3 Depth=1
	s_mov_b32 s51, exec_lo
	v_readlane_b32 s52, v97, 31
	s_and_b32 s52, s51, s52
	s_delay_alu instid0(SALU_CYCLE_1)
	s_mov_b32 exec_lo, s52
; %bb.1063:                             ;   in Loop: Header=BB36_3 Depth=1
	ds_store_b64 v72, v[20:21]
; %bb.1064:                             ;   in Loop: Header=BB36_3 Depth=1
	s_or_b32 exec_lo, exec_lo, s51
.LBB36_1065:                            ;   in Loop: Header=BB36_3 Depth=1
	s_and_not1_saveexec_b32 s50, s50
	s_cbranch_execz .LBB36_1067
; %bb.1066:                             ;   in Loop: Header=BB36_3 Depth=1
	v_lshl_add_u64 v[34:35], v[12:13], 3, s[84:85]
	global_load_b64 v[34:35], v[34:35], off
	s_wait_loadcnt 0x0
	v_div_scale_f64 v[36:37], null, v[34:35], v[34:35], 1.0
	s_delay_alu instid0(VALU_DEP_1) | instskip(SKIP_1) | instid1(TRANS32_DEP_1)
	v_rcp_f64_e32 v[38:39], v[36:37]
	v_nop
	v_fma_f64 v[92:93], -v[36:37], v[38:39], 1.0
	s_delay_alu instid0(VALU_DEP_1) | instskip(NEXT) | instid1(VALU_DEP_1)
	v_fmac_f64_e32 v[38:39], v[38:39], v[92:93]
	v_fma_f64 v[92:93], -v[36:37], v[38:39], 1.0
	s_delay_alu instid0(VALU_DEP_1) | instskip(SKIP_1) | instid1(VALU_DEP_1)
	v_fmac_f64_e32 v[38:39], v[38:39], v[92:93]
	v_div_scale_f64 v[92:93], vcc_lo, 1.0, v[34:35], 1.0
	v_mul_f64_e32 v[94:95], v[92:93], v[38:39]
	s_delay_alu instid0(VALU_DEP_1) | instskip(NEXT) | instid1(VALU_DEP_1)
	v_fma_f64 v[36:37], -v[36:37], v[94:95], v[92:93]
	v_div_fmas_f64 v[36:37], v[36:37], v[38:39], v[94:95]
	s_delay_alu instid0(VALU_DEP_1)
	v_div_fixup_f64 v[34:35], v[36:37], v[34:35], 1.0
	ds_store_b64 v72, v[34:35]
.LBB36_1067:                            ;   in Loop: Header=BB36_3 Depth=1
	s_or_b32 exec_lo, exec_lo, s50
	s_and_not1_saveexec_b32 s50, s65
	s_cbranch_execz .LBB36_16
.LBB36_1068:                            ;   in Loop: Header=BB36_3 Depth=1
	v_lshl_add_u64 v[34:35], v[12:13], 3, s[84:85]
	global_load_b64 v[34:35], v[34:35], off
	s_wait_loadcnt 0x0
	v_xor_b32_e32 v35, 0x80000000, v35
	ds_store_b64 v72, v[34:35]
	s_or_b32 exec_lo, exec_lo, s50
	s_and_saveexec_b32 s50, s7
	s_delay_alu instid0(SALU_CYCLE_1)
	s_xor_b32 s65, exec_lo, s50
	s_cbranch_execz .LBB36_17
.LBB36_1069:                            ;   in Loop: Header=BB36_3 Depth=1
	s_mov_b32 s50, exec_lo
	v_readlane_b32 s51, v98, 23
	s_and_b32 s51, s50, s51
	s_delay_alu instid0(SALU_CYCLE_1)
	s_xor_b32 s50, s51, s50
	s_mov_b32 exec_lo, s51
	s_cbranch_execz .LBB36_1073
; %bb.1070:                             ;   in Loop: Header=BB36_3 Depth=1
	s_mov_b32 s51, exec_lo
	v_readlane_b32 s52, v96, 0
	s_and_b32 s52, s51, s52
	s_delay_alu instid0(SALU_CYCLE_1)
	s_mov_b32 exec_lo, s52
; %bb.1071:                             ;   in Loop: Header=BB36_3 Depth=1
	ds_store_b64 v73, v[20:21]
; %bb.1072:                             ;   in Loop: Header=BB36_3 Depth=1
	s_or_b32 exec_lo, exec_lo, s51
.LBB36_1073:                            ;   in Loop: Header=BB36_3 Depth=1
	s_and_not1_saveexec_b32 s50, s50
	s_cbranch_execz .LBB36_1075
; %bb.1074:                             ;   in Loop: Header=BB36_3 Depth=1
	v_lshl_add_u64 v[34:35], v[14:15], 3, s[84:85]
	global_load_b64 v[34:35], v[34:35], off
	s_wait_loadcnt 0x0
	v_div_scale_f64 v[36:37], null, v[34:35], v[34:35], 1.0
	s_delay_alu instid0(VALU_DEP_1) | instskip(SKIP_1) | instid1(TRANS32_DEP_1)
	v_rcp_f64_e32 v[38:39], v[36:37]
	v_nop
	v_fma_f64 v[92:93], -v[36:37], v[38:39], 1.0
	s_delay_alu instid0(VALU_DEP_1) | instskip(NEXT) | instid1(VALU_DEP_1)
	v_fmac_f64_e32 v[38:39], v[38:39], v[92:93]
	v_fma_f64 v[92:93], -v[36:37], v[38:39], 1.0
	s_delay_alu instid0(VALU_DEP_1) | instskip(SKIP_1) | instid1(VALU_DEP_1)
	v_fmac_f64_e32 v[38:39], v[38:39], v[92:93]
	v_div_scale_f64 v[92:93], vcc_lo, 1.0, v[34:35], 1.0
	v_mul_f64_e32 v[94:95], v[92:93], v[38:39]
	s_delay_alu instid0(VALU_DEP_1) | instskip(NEXT) | instid1(VALU_DEP_1)
	v_fma_f64 v[36:37], -v[36:37], v[94:95], v[92:93]
	v_div_fmas_f64 v[36:37], v[36:37], v[38:39], v[94:95]
	s_delay_alu instid0(VALU_DEP_1)
	v_div_fixup_f64 v[34:35], v[36:37], v[34:35], 1.0
	ds_store_b64 v73, v[34:35]
.LBB36_1075:                            ;   in Loop: Header=BB36_3 Depth=1
	s_or_b32 exec_lo, exec_lo, s50
	s_and_not1_saveexec_b32 s50, s65
	s_cbranch_execz .LBB36_18
.LBB36_1076:                            ;   in Loop: Header=BB36_3 Depth=1
	v_lshl_add_u64 v[34:35], v[14:15], 3, s[84:85]
	global_load_b64 v[34:35], v[34:35], off
	s_wait_loadcnt 0x0
	v_xor_b32_e32 v35, 0x80000000, v35
	ds_store_b64 v73, v[34:35]
	s_or_b32 exec_lo, exec_lo, s50
	s_and_saveexec_b32 s50, s8
	s_delay_alu instid0(SALU_CYCLE_1)
	s_xor_b32 s65, exec_lo, s50
	s_cbranch_execz .LBB36_19
.LBB36_1077:                            ;   in Loop: Header=BB36_3 Depth=1
	s_mov_b32 s50, exec_lo
	v_readlane_b32 s51, v98, 25
	s_and_b32 s51, s50, s51
	s_delay_alu instid0(SALU_CYCLE_1)
	s_xor_b32 s50, s51, s50
	s_mov_b32 exec_lo, s51
	s_cbranch_execz .LBB36_1081
; %bb.1078:                             ;   in Loop: Header=BB36_3 Depth=1
	s_mov_b32 s51, exec_lo
	v_readlane_b32 s52, v96, 1
	s_and_b32 s52, s51, s52
	s_delay_alu instid0(SALU_CYCLE_1)
	s_mov_b32 exec_lo, s52
; %bb.1079:                             ;   in Loop: Header=BB36_3 Depth=1
	ds_store_b64 v75, v[20:21]
; %bb.1080:                             ;   in Loop: Header=BB36_3 Depth=1
	s_or_b32 exec_lo, exec_lo, s51
.LBB36_1081:                            ;   in Loop: Header=BB36_3 Depth=1
	s_and_not1_saveexec_b32 s50, s50
	s_cbranch_execz .LBB36_1083
; %bb.1082:                             ;   in Loop: Header=BB36_3 Depth=1
	v_lshl_add_u64 v[34:35], v[16:17], 3, s[84:85]
	global_load_b64 v[34:35], v[34:35], off
	s_wait_loadcnt 0x0
	v_div_scale_f64 v[36:37], null, v[34:35], v[34:35], 1.0
	s_delay_alu instid0(VALU_DEP_1) | instskip(SKIP_1) | instid1(TRANS32_DEP_1)
	v_rcp_f64_e32 v[38:39], v[36:37]
	v_nop
	v_fma_f64 v[92:93], -v[36:37], v[38:39], 1.0
	s_delay_alu instid0(VALU_DEP_1) | instskip(NEXT) | instid1(VALU_DEP_1)
	v_fmac_f64_e32 v[38:39], v[38:39], v[92:93]
	v_fma_f64 v[92:93], -v[36:37], v[38:39], 1.0
	s_delay_alu instid0(VALU_DEP_1) | instskip(SKIP_1) | instid1(VALU_DEP_1)
	v_fmac_f64_e32 v[38:39], v[38:39], v[92:93]
	v_div_scale_f64 v[92:93], vcc_lo, 1.0, v[34:35], 1.0
	v_mul_f64_e32 v[94:95], v[92:93], v[38:39]
	s_delay_alu instid0(VALU_DEP_1) | instskip(NEXT) | instid1(VALU_DEP_1)
	v_fma_f64 v[36:37], -v[36:37], v[94:95], v[92:93]
	v_div_fmas_f64 v[36:37], v[36:37], v[38:39], v[94:95]
	s_delay_alu instid0(VALU_DEP_1)
	v_div_fixup_f64 v[34:35], v[36:37], v[34:35], 1.0
	ds_store_b64 v75, v[34:35]
.LBB36_1083:                            ;   in Loop: Header=BB36_3 Depth=1
	s_or_b32 exec_lo, exec_lo, s50
	s_and_not1_saveexec_b32 s50, s65
	s_cbranch_execz .LBB36_20
.LBB36_1084:                            ;   in Loop: Header=BB36_3 Depth=1
	v_lshl_add_u64 v[34:35], v[16:17], 3, s[84:85]
	global_load_b64 v[34:35], v[34:35], off
	s_wait_loadcnt 0x0
	v_xor_b32_e32 v35, 0x80000000, v35
	ds_store_b64 v75, v[34:35]
	s_or_b32 exec_lo, exec_lo, s50
	s_and_saveexec_b32 s50, s9
	s_delay_alu instid0(SALU_CYCLE_1)
	s_xor_b32 s65, exec_lo, s50
	s_cbranch_execz .LBB36_21
.LBB36_1085:                            ;   in Loop: Header=BB36_3 Depth=1
	s_mov_b32 s50, exec_lo
	v_readlane_b32 s51, v98, 27
	s_and_b32 s51, s50, s51
	s_delay_alu instid0(SALU_CYCLE_1)
	s_xor_b32 s50, s51, s50
	s_mov_b32 exec_lo, s51
	s_cbranch_execz .LBB36_1089
; %bb.1086:                             ;   in Loop: Header=BB36_3 Depth=1
	s_mov_b32 s51, exec_lo
	v_readlane_b32 s52, v96, 2
	s_and_b32 s52, s51, s52
	s_delay_alu instid0(SALU_CYCLE_1)
	s_mov_b32 exec_lo, s52
; %bb.1087:                             ;   in Loop: Header=BB36_3 Depth=1
	ds_store_b64 v76, v[20:21]
; %bb.1088:                             ;   in Loop: Header=BB36_3 Depth=1
	s_or_b32 exec_lo, exec_lo, s51
.LBB36_1089:                            ;   in Loop: Header=BB36_3 Depth=1
	s_and_not1_saveexec_b32 s50, s50
	s_cbranch_execz .LBB36_1091
; %bb.1090:                             ;   in Loop: Header=BB36_3 Depth=1
	v_lshl_add_u64 v[34:35], v[18:19], 3, s[84:85]
	global_load_b64 v[34:35], v[34:35], off
	s_wait_loadcnt 0x0
	v_div_scale_f64 v[36:37], null, v[34:35], v[34:35], 1.0
	s_delay_alu instid0(VALU_DEP_1) | instskip(SKIP_1) | instid1(TRANS32_DEP_1)
	v_rcp_f64_e32 v[38:39], v[36:37]
	v_nop
	v_fma_f64 v[92:93], -v[36:37], v[38:39], 1.0
	s_delay_alu instid0(VALU_DEP_1) | instskip(NEXT) | instid1(VALU_DEP_1)
	v_fmac_f64_e32 v[38:39], v[38:39], v[92:93]
	v_fma_f64 v[92:93], -v[36:37], v[38:39], 1.0
	s_delay_alu instid0(VALU_DEP_1) | instskip(SKIP_1) | instid1(VALU_DEP_1)
	v_fmac_f64_e32 v[38:39], v[38:39], v[92:93]
	v_div_scale_f64 v[92:93], vcc_lo, 1.0, v[34:35], 1.0
	v_mul_f64_e32 v[94:95], v[92:93], v[38:39]
	s_delay_alu instid0(VALU_DEP_1) | instskip(NEXT) | instid1(VALU_DEP_1)
	v_fma_f64 v[36:37], -v[36:37], v[94:95], v[92:93]
	v_div_fmas_f64 v[36:37], v[36:37], v[38:39], v[94:95]
	s_delay_alu instid0(VALU_DEP_1)
	v_div_fixup_f64 v[34:35], v[36:37], v[34:35], 1.0
	ds_store_b64 v76, v[34:35]
.LBB36_1091:                            ;   in Loop: Header=BB36_3 Depth=1
	s_or_b32 exec_lo, exec_lo, s50
	s_and_not1_saveexec_b32 s50, s65
	s_cbranch_execnz .LBB36_22
	s_branch .LBB36_23
.LBB36_1092:                            ;   in Loop: Header=BB36_3 Depth=1
	ds_load_b64 v[30:31], v89
	ds_load_b64 v[32:33], v79
	s_wait_dscnt 0x0
	v_fma_f64 v[30:31], v[30:31], v[32:33], 0
	s_or_b32 exec_lo, exec_lo, s50
	s_and_saveexec_b32 s50, s7
	s_cbranch_execz .LBB36_1031
.LBB36_1093:                            ;   in Loop: Header=BB36_3 Depth=1
	ds_load_b64 v[32:33], v89 offset:8192
	ds_load_b64 v[36:37], v79 offset:128
	s_wait_dscnt 0x0
	v_fmac_f64_e32 v[30:31], v[32:33], v[36:37]
	s_or_b32 exec_lo, exec_lo, s50
	s_and_saveexec_b32 s50, s8
	s_cbranch_execz .LBB36_1032
.LBB36_1094:                            ;   in Loop: Header=BB36_3 Depth=1
	ds_load_b64 v[32:33], v89 offset:16384
	ds_load_b64 v[36:37], v79 offset:256
	s_wait_dscnt 0x0
	v_fmac_f64_e32 v[30:31], v[32:33], v[36:37]
	s_or_b32 exec_lo, exec_lo, s50
	s_and_saveexec_b32 s50, s9
	s_cbranch_execnz .LBB36_1033
	s_branch .LBB36_1034
.LBB36_1095:                            ;   in Loop: Header=BB36_3 Depth=1
	s_or_b32 exec_lo, exec_lo, s87
	s_delay_alu instid0(SALU_CYCLE_1)
	s_and_b32 vcc_lo, exec_lo, s65
	s_cbranch_vccnz .LBB36_1037
.LBB36_1096:                            ;   in Loop: Header=BB36_3 Depth=1
	s_delay_alu instid0(VALU_DEP_1)
	v_mov_b64_e32 v[34:35], v[32:33]
	s_and_saveexec_b32 s50, s86
	s_cbranch_execnz .LBB36_1058
	s_branch .LBB36_1059
.LBB36_1097:                            ;   in Loop: Header=BB36_3 Depth=1
	s_and_not1_b32 s51, s86, exec_lo
	s_and_b32 s52, s1, exec_lo
	s_delay_alu instid0(SALU_CYCLE_1)
	s_or_b32 s86, s51, s52
	s_cbranch_execnz .LBB36_1057
.LBB36_1098:                            ;   in Loop: Header=BB36_3 Depth=1
	v_readlane_b32 s51, v98, 12
	s_and_not1_b32 s50, s86, exec_lo
	s_and_b32 s51, s51, exec_lo
	s_delay_alu instid0(SALU_CYCLE_1) | instskip(NEXT) | instid1(SALU_CYCLE_1)
	s_or_b32 s86, s50, s51
	s_and_saveexec_b32 s50, s86
	s_cbranch_execnz .LBB36_1058
	s_branch .LBB36_1059
.LBB36_1099:                            ;   in Loop: Header=BB36_3 Depth=1
	ds_load_b64 v[36:37], v49 offset:544
	ds_load_b64 v[38:39], v44 offset:8
	s_wait_dscnt 0x0
	v_fmac_f64_e32 v[34:35], v[36:37], v[38:39]
	s_or_b32 exec_lo, exec_lo, s50
	s_and_saveexec_b32 s50, s17
	s_cbranch_execz .LBB36_88
.LBB36_1100:                            ;   in Loop: Header=BB36_3 Depth=1
	ds_load_b64 v[36:37], v48 offset:1056
	ds_load_b64 v[38:39], v44 offset:16
	s_wait_dscnt 0x0
	v_fmac_f64_e32 v[34:35], v[36:37], v[38:39]
	s_or_b32 exec_lo, exec_lo, s50
	s_and_saveexec_b32 s50, s0
	s_cbranch_execnz .LBB36_89
	s_branch .LBB36_90
.LBB36_1101:                            ;   in Loop: Header=BB36_3 Depth=1
	ds_load_b64 v[36:37], v58 offset:576
	ds_load_b64 v[38:39], v53 offset:8
	s_wait_dscnt 0x0
	v_fmac_f64_e32 v[34:35], v[36:37], v[38:39]
	s_or_b32 exec_lo, exec_lo, s50
	s_and_saveexec_b32 s50, s19
	s_cbranch_execz .LBB36_130
.LBB36_1102:                            ;   in Loop: Header=BB36_3 Depth=1
	ds_load_b64 v[36:37], v58 offset:1088
	ds_load_b64 v[38:39], v53 offset:16
	s_wait_dscnt 0x0
	v_fmac_f64_e32 v[34:35], v[36:37], v[38:39]
	s_or_b32 exec_lo, exec_lo, s50
	s_and_saveexec_b32 s50, s20
	s_cbranch_execz .LBB36_131
.LBB36_1103:                            ;   in Loop: Header=BB36_3 Depth=1
	ds_load_b64 v[36:37], v58 offset:1600
	ds_load_b64 v[38:39], v53 offset:24
	s_wait_dscnt 0x0
	v_fmac_f64_e32 v[34:35], v[36:37], v[38:39]
	s_or_b32 exec_lo, exec_lo, s50
	s_and_saveexec_b32 s50, s21
	s_cbranch_execz .LBB36_132
.LBB36_1104:                            ;   in Loop: Header=BB36_3 Depth=1
	ds_load_b64 v[36:37], v57 offset:2112
	ds_load_b64 v[38:39], v53 offset:32
	s_wait_dscnt 0x0
	v_fmac_f64_e32 v[34:35], v[36:37], v[38:39]
	s_or_b32 exec_lo, exec_lo, s50
	s_and_saveexec_b32 s50, s22
	s_cbranch_execz .LBB36_133
.LBB36_1105:                            ;   in Loop: Header=BB36_3 Depth=1
	ds_load_b64 v[36:37], v58 offset:2624
	ds_load_b64 v[38:39], v53 offset:40
	s_wait_dscnt 0x0
	v_fmac_f64_e32 v[34:35], v[36:37], v[38:39]
	s_or_b32 exec_lo, exec_lo, s50
	s_and_saveexec_b32 s50, s2
	s_cbranch_execz .LBB36_134
.LBB36_1106:                            ;   in Loop: Header=BB36_3 Depth=1
	ds_load_b64 v[36:37], v57 offset:3136
	ds_load_b64 v[38:39], v53 offset:48
	s_wait_dscnt 0x0
	v_fmac_f64_e32 v[34:35], v[36:37], v[38:39]
	s_or_b32 exec_lo, exec_lo, s50
	s_and_saveexec_b32 s50, s17
	s_cbranch_execnz .LBB36_135
	s_branch .LBB36_136
.LBB36_1107:                            ;   in Loop: Header=BB36_3 Depth=1
	ds_load_b64 v[36:37], v49 offset:4704
	ds_load_b64 v[38:39], v44 offset:4168
	s_wait_dscnt 0x0
	v_fmac_f64_e32 v[34:35], v[36:37], v[38:39]
	s_or_b32 exec_lo, exec_lo, s50
	s_and_saveexec_b32 s50, s17
	s_cbranch_execz .LBB36_192
.LBB36_1108:                            ;   in Loop: Header=BB36_3 Depth=1
	ds_load_b64 v[36:37], v48 offset:5216
	ds_load_b64 v[38:39], v44 offset:4176
	s_wait_dscnt 0x0
	v_fmac_f64_e32 v[34:35], v[36:37], v[38:39]
	s_or_b32 exec_lo, exec_lo, s50
	s_and_saveexec_b32 s50, s0
	s_cbranch_execnz .LBB36_193
	s_branch .LBB36_194
.LBB36_1109:                            ;   in Loop: Header=BB36_3 Depth=1
	ds_load_b64 v[36:37], v64 offset:5760
	ds_load_b64 v[38:39], v60 offset:88
	s_wait_dscnt 0x0
	v_fmac_f64_e32 v[34:35], v[36:37], v[38:39]
	s_or_b32 exec_lo, exec_lo, s50
	s_and_saveexec_b32 s50, s3
	s_cbranch_execz .LBB36_254
.LBB36_1110:                            ;   in Loop: Header=BB36_3 Depth=1
	ds_load_b64 v[36:37], v63 offset:6272
	ds_load_b64 v[38:39], v60 offset:96
	s_wait_dscnt 0x0
	v_fmac_f64_e32 v[34:35], v[36:37], v[38:39]
	s_or_b32 exec_lo, exec_lo, s50
	s_and_saveexec_b32 s50, s19
	s_cbranch_execz .LBB36_255
.LBB36_1111:                            ;   in Loop: Header=BB36_3 Depth=1
	ds_load_b64 v[36:37], v64 offset:6784
	ds_load_b64 v[38:39], v60 offset:104
	s_wait_dscnt 0x0
	v_fmac_f64_e32 v[34:35], v[36:37], v[38:39]
	s_or_b32 exec_lo, exec_lo, s50
	s_and_saveexec_b32 s50, s21
	s_cbranch_execz .LBB36_256
.LBB36_1112:                            ;   in Loop: Header=BB36_3 Depth=1
	ds_load_b64 v[36:37], v63 offset:7296
	ds_load_b64 v[38:39], v60 offset:112
	s_wait_dscnt 0x0
	v_fmac_f64_e32 v[34:35], v[36:37], v[38:39]
	s_or_b32 exec_lo, exec_lo, s50
	s_and_saveexec_b32 s50, s2
	s_cbranch_execnz .LBB36_257
	s_branch .LBB36_258
.LBB36_1113:                            ;   in Loop: Header=BB36_3 Depth=1
	ds_load_b64 v[36:37], v49 offset:8864
	ds_load_b64 v[38:39], v44 offset:8328
	s_wait_dscnt 0x0
	v_fmac_f64_e32 v[34:35], v[36:37], v[38:39]
	s_or_b32 exec_lo, exec_lo, s50
	s_and_saveexec_b32 s50, s17
	s_cbranch_execz .LBB36_346
.LBB36_1114:                            ;   in Loop: Header=BB36_3 Depth=1
	ds_load_b64 v[36:37], v48 offset:9376
	ds_load_b64 v[38:39], v44 offset:8336
	s_wait_dscnt 0x0
	v_fmac_f64_e32 v[34:35], v[36:37], v[38:39]
	s_or_b32 exec_lo, exec_lo, s50
	s_and_saveexec_b32 s50, s0
	s_cbranch_execnz .LBB36_347
	s_branch .LBB36_348
.LBB36_1115:                            ;   in Loop: Header=BB36_3 Depth=1
	ds_load_b64 v[36:37], v58 offset:8896
	ds_load_b64 v[38:39], v53 offset:8328
	s_wait_dscnt 0x0
	v_fmac_f64_e32 v[34:35], v[36:37], v[38:39]
	s_or_b32 exec_lo, exec_lo, s50
	s_and_saveexec_b32 s50, s19
	s_cbranch_execz .LBB36_388
.LBB36_1116:                            ;   in Loop: Header=BB36_3 Depth=1
	ds_load_b64 v[36:37], v58 offset:9408
	ds_load_b64 v[38:39], v53 offset:8336
	s_wait_dscnt 0x0
	v_fmac_f64_e32 v[34:35], v[36:37], v[38:39]
	s_or_b32 exec_lo, exec_lo, s50
	s_and_saveexec_b32 s50, s20
	s_cbranch_execz .LBB36_389
.LBB36_1117:                            ;   in Loop: Header=BB36_3 Depth=1
	ds_load_b64 v[36:37], v58 offset:9920
	ds_load_b64 v[38:39], v53 offset:8344
	s_wait_dscnt 0x0
	v_fmac_f64_e32 v[34:35], v[36:37], v[38:39]
	s_or_b32 exec_lo, exec_lo, s50
	s_and_saveexec_b32 s50, s21
	s_cbranch_execz .LBB36_390
.LBB36_1118:                            ;   in Loop: Header=BB36_3 Depth=1
	ds_load_b64 v[36:37], v57 offset:10432
	ds_load_b64 v[38:39], v53 offset:8352
	s_wait_dscnt 0x0
	v_fmac_f64_e32 v[34:35], v[36:37], v[38:39]
	s_or_b32 exec_lo, exec_lo, s50
	s_and_saveexec_b32 s50, s22
	s_cbranch_execz .LBB36_391
.LBB36_1119:                            ;   in Loop: Header=BB36_3 Depth=1
	ds_load_b64 v[36:37], v58 offset:10944
	ds_load_b64 v[38:39], v53 offset:8360
	s_wait_dscnt 0x0
	v_fmac_f64_e32 v[34:35], v[36:37], v[38:39]
	s_or_b32 exec_lo, exec_lo, s50
	s_and_saveexec_b32 s50, s2
	s_cbranch_execz .LBB36_392
.LBB36_1120:                            ;   in Loop: Header=BB36_3 Depth=1
	ds_load_b64 v[36:37], v57 offset:11456
	ds_load_b64 v[38:39], v53 offset:8368
	s_wait_dscnt 0x0
	v_fmac_f64_e32 v[34:35], v[36:37], v[38:39]
	s_or_b32 exec_lo, exec_lo, s50
	s_and_saveexec_b32 s50, s17
	s_cbranch_execnz .LBB36_393
	s_branch .LBB36_394
.LBB36_1121:                            ;   in Loop: Header=BB36_3 Depth=1
	ds_load_b64 v[36:37], v49 offset:13024
	ds_load_b64 v[38:39], v44 offset:12488
	s_wait_dscnt 0x0
	v_fmac_f64_e32 v[34:35], v[36:37], v[38:39]
	s_or_b32 exec_lo, exec_lo, s50
	s_and_saveexec_b32 s50, s17
	s_cbranch_execz .LBB36_450
.LBB36_1122:                            ;   in Loop: Header=BB36_3 Depth=1
	ds_load_b64 v[36:37], v48 offset:13536
	ds_load_b64 v[38:39], v44 offset:12496
	s_wait_dscnt 0x0
	v_fmac_f64_e32 v[34:35], v[36:37], v[38:39]
	s_or_b32 exec_lo, exec_lo, s50
	s_and_saveexec_b32 s50, s0
	s_cbranch_execnz .LBB36_451
	s_branch .LBB36_452
.LBB36_1123:                            ;   in Loop: Header=BB36_3 Depth=1
	ds_load_b64 v[38:39], v83 offset:15104
	ds_load_b64 v[92:93], v36 offset:232
	s_wait_dscnt 0x0
	v_fmac_f64_e32 v[34:35], v[38:39], v[92:93]
	s_or_b32 exec_lo, exec_lo, s50
	s_and_saveexec_b32 s50, s3
	s_cbranch_execz .LBB36_548
.LBB36_1124:                            ;   in Loop: Header=BB36_3 Depth=1
	ds_load_b64 v[38:39], v83 offset:15616
	ds_load_b64 v[36:37], v36 offset:240
	s_wait_dscnt 0x0
	v_fmac_f64_e32 v[34:35], v[38:39], v[36:37]
	s_or_b32 exec_lo, exec_lo, s50
	s_and_saveexec_b32 s50, s21
	s_cbranch_execnz .LBB36_549
	s_branch .LBB36_550
.LBB36_1125:                            ;   in Loop: Header=BB36_3 Depth=1
	ds_load_b64 v[36:37], v49 offset:17184
	ds_load_b64 v[38:39], v44 offset:16648
	s_wait_dscnt 0x0
	v_fmac_f64_e32 v[34:35], v[36:37], v[38:39]
	s_or_b32 exec_lo, exec_lo, s50
	s_and_saveexec_b32 s50, s17
	s_cbranch_execz .LBB36_594
.LBB36_1126:                            ;   in Loop: Header=BB36_3 Depth=1
	ds_load_b64 v[36:37], v48 offset:17696
	ds_load_b64 v[38:39], v44 offset:16656
	s_wait_dscnt 0x0
	v_fmac_f64_e32 v[34:35], v[36:37], v[38:39]
	s_or_b32 exec_lo, exec_lo, s50
	s_and_saveexec_b32 s50, s0
	s_cbranch_execnz .LBB36_595
	s_branch .LBB36_596
.LBB36_1127:                            ;   in Loop: Header=BB36_3 Depth=1
	ds_load_b64 v[36:37], v58 offset:17216
	ds_load_b64 v[38:39], v53 offset:16648
	s_wait_dscnt 0x0
	v_fmac_f64_e32 v[34:35], v[36:37], v[38:39]
	s_or_b32 exec_lo, exec_lo, s50
	s_and_saveexec_b32 s50, s19
	s_cbranch_execz .LBB36_636
.LBB36_1128:                            ;   in Loop: Header=BB36_3 Depth=1
	ds_load_b64 v[36:37], v58 offset:17728
	ds_load_b64 v[38:39], v53 offset:16656
	s_wait_dscnt 0x0
	v_fmac_f64_e32 v[34:35], v[36:37], v[38:39]
	s_or_b32 exec_lo, exec_lo, s50
	s_and_saveexec_b32 s50, s20
	s_cbranch_execz .LBB36_637
.LBB36_1129:                            ;   in Loop: Header=BB36_3 Depth=1
	ds_load_b64 v[36:37], v58 offset:18240
	ds_load_b64 v[38:39], v53 offset:16664
	s_wait_dscnt 0x0
	v_fmac_f64_e32 v[34:35], v[36:37], v[38:39]
	s_or_b32 exec_lo, exec_lo, s50
	s_and_saveexec_b32 s50, s21
	s_cbranch_execz .LBB36_638
.LBB36_1130:                            ;   in Loop: Header=BB36_3 Depth=1
	ds_load_b64 v[36:37], v57 offset:18752
	ds_load_b64 v[38:39], v53 offset:16672
	s_wait_dscnt 0x0
	v_fmac_f64_e32 v[34:35], v[36:37], v[38:39]
	s_or_b32 exec_lo, exec_lo, s50
	s_and_saveexec_b32 s50, s22
	s_cbranch_execz .LBB36_639
.LBB36_1131:                            ;   in Loop: Header=BB36_3 Depth=1
	ds_load_b64 v[36:37], v58 offset:19264
	ds_load_b64 v[38:39], v53 offset:16680
	s_wait_dscnt 0x0
	v_fmac_f64_e32 v[34:35], v[36:37], v[38:39]
	s_or_b32 exec_lo, exec_lo, s50
	s_and_saveexec_b32 s50, s2
	s_cbranch_execz .LBB36_640
.LBB36_1132:                            ;   in Loop: Header=BB36_3 Depth=1
	ds_load_b64 v[36:37], v57 offset:19776
	ds_load_b64 v[38:39], v53 offset:16688
	s_wait_dscnt 0x0
	v_fmac_f64_e32 v[34:35], v[36:37], v[38:39]
	s_or_b32 exec_lo, exec_lo, s50
	s_and_saveexec_b32 s50, s17
	s_cbranch_execnz .LBB36_641
	s_branch .LBB36_642
.LBB36_1133:                            ;   in Loop: Header=BB36_3 Depth=1
	ds_load_b64 v[36:37], v49 offset:21344
	ds_load_b64 v[38:39], v44 offset:20808
	s_wait_dscnt 0x0
	v_fmac_f64_e32 v[34:35], v[36:37], v[38:39]
	s_or_b32 exec_lo, exec_lo, s50
	s_and_saveexec_b32 s50, s17
	s_cbranch_execz .LBB36_698
.LBB36_1134:                            ;   in Loop: Header=BB36_3 Depth=1
	ds_load_b64 v[36:37], v48 offset:21856
	ds_load_b64 v[38:39], v44 offset:20816
	s_wait_dscnt 0x0
	v_fmac_f64_e32 v[34:35], v[36:37], v[38:39]
	s_or_b32 exec_lo, exec_lo, s50
	s_and_saveexec_b32 s50, s0
	s_cbranch_execnz .LBB36_699
	s_branch .LBB36_700
.LBB36_1135:                            ;   in Loop: Header=BB36_3 Depth=1
	ds_load_b64 v[36:37], v64 offset:22400
	ds_load_b64 v[38:39], v60 offset:16728
	s_wait_dscnt 0x0
	v_fmac_f64_e32 v[34:35], v[36:37], v[38:39]
	s_or_b32 exec_lo, exec_lo, s50
	s_and_saveexec_b32 s50, s3
	s_cbranch_execz .LBB36_760
.LBB36_1136:                            ;   in Loop: Header=BB36_3 Depth=1
	ds_load_b64 v[36:37], v63 offset:22912
	ds_load_b64 v[38:39], v60 offset:16736
	s_wait_dscnt 0x0
	v_fmac_f64_e32 v[34:35], v[36:37], v[38:39]
	s_or_b32 exec_lo, exec_lo, s50
	s_and_saveexec_b32 s50, s19
	s_cbranch_execz .LBB36_761
.LBB36_1137:                            ;   in Loop: Header=BB36_3 Depth=1
	ds_load_b64 v[36:37], v64 offset:23424
	ds_load_b64 v[38:39], v60 offset:16744
	s_wait_dscnt 0x0
	v_fmac_f64_e32 v[34:35], v[36:37], v[38:39]
	s_or_b32 exec_lo, exec_lo, s50
	s_and_saveexec_b32 s50, s21
	s_cbranch_execz .LBB36_762
.LBB36_1138:                            ;   in Loop: Header=BB36_3 Depth=1
	ds_load_b64 v[36:37], v63 offset:23936
	ds_load_b64 v[38:39], v60 offset:16752
	s_wait_dscnt 0x0
	v_fmac_f64_e32 v[34:35], v[36:37], v[38:39]
	s_or_b32 exec_lo, exec_lo, s50
	s_and_saveexec_b32 s50, s2
	s_cbranch_execnz .LBB36_763
	s_branch .LBB36_764
.LBB36_1139:                            ;   in Loop: Header=BB36_3 Depth=1
	ds_load_b64 v[36:37], v49 offset:25504
	ds_load_b64 v[38:39], v44 offset:24968
	s_wait_dscnt 0x0
	v_fmac_f64_e32 v[34:35], v[36:37], v[38:39]
	s_or_b32 exec_lo, exec_lo, s50
	s_and_saveexec_b32 s50, s17
	s_cbranch_execz .LBB36_852
.LBB36_1140:                            ;   in Loop: Header=BB36_3 Depth=1
	ds_load_b64 v[36:37], v48 offset:26016
	ds_load_b64 v[38:39], v44 offset:24976
	s_wait_dscnt 0x0
	v_fmac_f64_e32 v[34:35], v[36:37], v[38:39]
	s_or_b32 exec_lo, exec_lo, s50
	s_and_saveexec_b32 s50, s0
	s_cbranch_execnz .LBB36_853
	s_branch .LBB36_854
.LBB36_1141:                            ;   in Loop: Header=BB36_3 Depth=1
	ds_load_b64 v[36:37], v58 offset:25536
	ds_load_b64 v[38:39], v53 offset:24968
	s_wait_dscnt 0x0
	v_fmac_f64_e32 v[34:35], v[36:37], v[38:39]
	s_or_b32 exec_lo, exec_lo, s50
	s_and_saveexec_b32 s50, s19
	s_cbranch_execz .LBB36_894
.LBB36_1142:                            ;   in Loop: Header=BB36_3 Depth=1
	ds_load_b64 v[36:37], v58 offset:26048
	ds_load_b64 v[38:39], v53 offset:24976
	s_wait_dscnt 0x0
	v_fmac_f64_e32 v[34:35], v[36:37], v[38:39]
	s_or_b32 exec_lo, exec_lo, s50
	s_and_saveexec_b32 s50, s20
	s_cbranch_execz .LBB36_895
.LBB36_1143:                            ;   in Loop: Header=BB36_3 Depth=1
	ds_load_b64 v[36:37], v58 offset:26560
	ds_load_b64 v[38:39], v53 offset:24984
	s_wait_dscnt 0x0
	v_fmac_f64_e32 v[34:35], v[36:37], v[38:39]
	s_or_b32 exec_lo, exec_lo, s50
	s_and_saveexec_b32 s50, s21
	s_cbranch_execz .LBB36_896
.LBB36_1144:                            ;   in Loop: Header=BB36_3 Depth=1
	ds_load_b64 v[36:37], v57 offset:27072
	ds_load_b64 v[38:39], v53 offset:24992
	s_wait_dscnt 0x0
	v_fmac_f64_e32 v[34:35], v[36:37], v[38:39]
	s_or_b32 exec_lo, exec_lo, s50
	s_and_saveexec_b32 s50, s22
	s_cbranch_execz .LBB36_897
.LBB36_1145:                            ;   in Loop: Header=BB36_3 Depth=1
	ds_load_b64 v[36:37], v58 offset:27584
	ds_load_b64 v[38:39], v53 offset:25000
	s_wait_dscnt 0x0
	v_fmac_f64_e32 v[34:35], v[36:37], v[38:39]
	s_or_b32 exec_lo, exec_lo, s50
	s_and_saveexec_b32 s50, s2
	s_cbranch_execz .LBB36_898
.LBB36_1146:                            ;   in Loop: Header=BB36_3 Depth=1
	ds_load_b64 v[36:37], v57 offset:28096
	ds_load_b64 v[38:39], v53 offset:25008
	s_wait_dscnt 0x0
	v_fmac_f64_e32 v[34:35], v[36:37], v[38:39]
	s_or_b32 exec_lo, exec_lo, s50
	s_and_saveexec_b32 s50, s17
	s_cbranch_execnz .LBB36_899
	s_branch .LBB36_900
.LBB36_1147:                            ;   in Loop: Header=BB36_3 Depth=1
	ds_load_b64 v[36:37], v49 offset:29664
	ds_load_b64 v[38:39], v44 offset:29128
	s_wait_dscnt 0x0
	v_fmac_f64_e32 v[34:35], v[36:37], v[38:39]
	s_or_b32 exec_lo, exec_lo, s50
	s_and_saveexec_b32 s50, s17
	s_cbranch_execz .LBB36_956
.LBB36_1148:                            ;   in Loop: Header=BB36_3 Depth=1
	ds_load_b64 v[36:37], v48 offset:30176
	ds_load_b64 v[38:39], v44 offset:29136
	s_wait_dscnt 0x0
	v_fmac_f64_e32 v[34:35], v[36:37], v[38:39]
	s_or_b32 exec_lo, exec_lo, s50
	s_and_saveexec_b32 s50, s0
	s_cbranch_execnz .LBB36_957
	s_branch .LBB36_958
.LBB36_1149:
	s_endpgm
	.section	.rodata,"a",@progbits
	.p2align	6, 0x0
	.amdhsa_kernel _ZL19rocblas_trsv_deviceILi64ELi16ELb1ELb1ELb1ELb0EdPKdS1_PdEviT7_lllT6_T8_lllPii
		.amdhsa_group_segment_fixed_size 41480
		.amdhsa_private_segment_fixed_size 0
		.amdhsa_kernarg_size 352
		.amdhsa_user_sgpr_count 2
		.amdhsa_user_sgpr_dispatch_ptr 0
		.amdhsa_user_sgpr_queue_ptr 0
		.amdhsa_user_sgpr_kernarg_segment_ptr 1
		.amdhsa_user_sgpr_dispatch_id 0
		.amdhsa_user_sgpr_kernarg_preload_length 0
		.amdhsa_user_sgpr_kernarg_preload_offset 0
		.amdhsa_user_sgpr_private_segment_size 0
		.amdhsa_wavefront_size32 1
		.amdhsa_uses_dynamic_stack 0
		.amdhsa_enable_private_segment 0
		.amdhsa_system_sgpr_workgroup_id_x 1
		.amdhsa_system_sgpr_workgroup_id_y 0
		.amdhsa_system_sgpr_workgroup_id_z 1
		.amdhsa_system_sgpr_workgroup_info 0
		.amdhsa_system_vgpr_workitem_id 1
		.amdhsa_next_free_vgpr 99
		.amdhsa_next_free_sgpr 105
		.amdhsa_named_barrier_count 0
		.amdhsa_reserve_vcc 1
		.amdhsa_float_round_mode_32 0
		.amdhsa_float_round_mode_16_64 0
		.amdhsa_float_denorm_mode_32 3
		.amdhsa_float_denorm_mode_16_64 3
		.amdhsa_fp16_overflow 0
		.amdhsa_memory_ordered 1
		.amdhsa_forward_progress 1
		.amdhsa_inst_pref_size 255
		.amdhsa_round_robin_scheduling 0
		.amdhsa_exception_fp_ieee_invalid_op 0
		.amdhsa_exception_fp_denorm_src 0
		.amdhsa_exception_fp_ieee_div_zero 0
		.amdhsa_exception_fp_ieee_overflow 0
		.amdhsa_exception_fp_ieee_underflow 0
		.amdhsa_exception_fp_ieee_inexact 0
		.amdhsa_exception_int_div_zero 0
	.end_amdhsa_kernel
	.section	.text._ZL19rocblas_trsv_deviceILi64ELi16ELb1ELb1ELb1ELb0EdPKdS1_PdEviT7_lllT6_T8_lllPii,"axG",@progbits,_ZL19rocblas_trsv_deviceILi64ELi16ELb1ELb1ELb1ELb0EdPKdS1_PdEviT7_lllT6_T8_lllPii,comdat
.Lfunc_end36:
	.size	_ZL19rocblas_trsv_deviceILi64ELi16ELb1ELb1ELb1ELb0EdPKdS1_PdEviT7_lllT6_T8_lllPii, .Lfunc_end36-_ZL19rocblas_trsv_deviceILi64ELi16ELb1ELb1ELb1ELb0EdPKdS1_PdEviT7_lllT6_T8_lllPii
                                        ; -- End function
	.set _ZL19rocblas_trsv_deviceILi64ELi16ELb1ELb1ELb1ELb0EdPKdS1_PdEviT7_lllT6_T8_lllPii.num_vgpr, 99
	.set _ZL19rocblas_trsv_deviceILi64ELi16ELb1ELb1ELb1ELb0EdPKdS1_PdEviT7_lllT6_T8_lllPii.num_agpr, 0
	.set _ZL19rocblas_trsv_deviceILi64ELi16ELb1ELb1ELb1ELb0EdPKdS1_PdEviT7_lllT6_T8_lllPii.numbered_sgpr, 105
	.set _ZL19rocblas_trsv_deviceILi64ELi16ELb1ELb1ELb1ELb0EdPKdS1_PdEviT7_lllT6_T8_lllPii.num_named_barrier, 0
	.set _ZL19rocblas_trsv_deviceILi64ELi16ELb1ELb1ELb1ELb0EdPKdS1_PdEviT7_lllT6_T8_lllPii.private_seg_size, 0
	.set _ZL19rocblas_trsv_deviceILi64ELi16ELb1ELb1ELb1ELb0EdPKdS1_PdEviT7_lllT6_T8_lllPii.uses_vcc, 1
	.set _ZL19rocblas_trsv_deviceILi64ELi16ELb1ELb1ELb1ELb0EdPKdS1_PdEviT7_lllT6_T8_lllPii.uses_flat_scratch, 0
	.set _ZL19rocblas_trsv_deviceILi64ELi16ELb1ELb1ELb1ELb0EdPKdS1_PdEviT7_lllT6_T8_lllPii.has_dyn_sized_stack, 0
	.set _ZL19rocblas_trsv_deviceILi64ELi16ELb1ELb1ELb1ELb0EdPKdS1_PdEviT7_lllT6_T8_lllPii.has_recursion, 0
	.set _ZL19rocblas_trsv_deviceILi64ELi16ELb1ELb1ELb1ELb0EdPKdS1_PdEviT7_lllT6_T8_lllPii.has_indirect_call, 0
	.section	.AMDGPU.csdata,"",@progbits
; Kernel info:
; codeLenInByte = 35608
; TotalNumSgprs: 107
; NumVgprs: 99
; ScratchSize: 0
; MemoryBound: 0
; FloatMode: 240
; IeeeMode: 1
; LDSByteSize: 41480 bytes/workgroup (compile time only)
; SGPRBlocks: 0
; VGPRBlocks: 6
; NumSGPRsForWavesPerEU: 107
; NumVGPRsForWavesPerEU: 99
; NamedBarCnt: 0
; Occupancy: 9
; WaveLimiterHint : 0
; COMPUTE_PGM_RSRC2:SCRATCH_EN: 0
; COMPUTE_PGM_RSRC2:USER_SGPR: 2
; COMPUTE_PGM_RSRC2:TRAP_HANDLER: 0
; COMPUTE_PGM_RSRC2:TGID_X_EN: 1
; COMPUTE_PGM_RSRC2:TGID_Y_EN: 0
; COMPUTE_PGM_RSRC2:TGID_Z_EN: 1
; COMPUTE_PGM_RSRC2:TIDIG_COMP_CNT: 1
	.section	.text._ZL19rocblas_trsv_deviceILi64ELi16ELb0ELb0ELb0ELb1EddPKdPdEviT7_lllT6_T8_lllPii,"axG",@progbits,_ZL19rocblas_trsv_deviceILi64ELi16ELb0ELb0ELb0ELb1EddPKdPdEviT7_lllT6_T8_lllPii,comdat
	.globl	_ZL19rocblas_trsv_deviceILi64ELi16ELb0ELb0ELb0ELb1EddPKdPdEviT7_lllT6_T8_lllPii ; -- Begin function _ZL19rocblas_trsv_deviceILi64ELi16ELb0ELb0ELb0ELb1EddPKdPdEviT7_lllT6_T8_lllPii
	.p2align	8
	.type	_ZL19rocblas_trsv_deviceILi64ELi16ELb0ELb0ELb0ELb1EddPKdPdEviT7_lllT6_T8_lllPii,@function
_ZL19rocblas_trsv_deviceILi64ELi16ELb0ELb0ELb0ELb1EddPKdPdEviT7_lllT6_T8_lllPii: ; @_ZL19rocblas_trsv_deviceILi64ELi16ELb0ELb0ELb0ELb1EddPKdPdEviT7_lllT6_T8_lllPii
; %bb.0:
	s_load_b32 s6, s[0:1], 0x58
	s_bfe_u32 s2, ttmp6, 0x40014
	s_lshr_b32 s3, ttmp7, 16
	s_add_co_i32 s2, s2, 1
	s_bfe_u32 s5, ttmp6, 0x40008
	s_mul_i32 s2, s3, s2
	s_getreg_b32 s4, hwreg(HW_REG_IB_STS2, 6, 4)
	s_add_co_i32 s5, s5, s2
	s_cmp_eq_u32 s4, 0
	s_mov_b32 s85, 0
	s_cselect_b32 s84, s3, s5
                                        ; implicit-def: $vgpr86 : SGPR spill to VGPR lane
	s_wait_kmcnt 0x0
	s_cmp_ge_u32 s84, s6
	v_writelane_b32 v86, s6, 0
	s_cbranch_scc1 .LBB37_1055
; %bb.1:
	s_clause 0x3
	s_load_b512 s[64:79], s[0:1], 0x8
	s_load_b32 s2, s[0:1], 0x6c
	s_load_b32 s100, s[0:1], 0x60
	;; [unrolled: 1-line block ×3, first 2 shown]
	s_bfe_u32 s5, ttmp6, 0x4000c
	s_and_b32 s3, ttmp6, 15
	s_add_co_i32 s5, s5, 1
	s_load_b128 s[80:83], s[0:1], 0x48
	s_mul_i32 s5, ttmp9, s5
	v_bfe_u32 v2, v0, 10, 10
	s_add_co_i32 s3, s3, s5
	v_and_b32_e32 v4, 0x3ff, v0
	v_dual_mov_b32 v7, 0 :: v_dual_bitop2_b32 v1, 1, v0 bitop3:0x40
	s_delay_alu instid0(VALU_DEP_3) | instskip(NEXT) | instid1(VALU_DEP_3)
	v_dual_add_nc_u32 v40, 32, v2 :: v_dual_bitop2_b32 v28, 7, v0 bitop3:0x40
	v_lshl_add_u32 v42, v2, 6, v4
	v_dual_add_nc_u32 v36, 48, v2 :: v_dual_bitop2_b32 v29, 15, v0 bitop3:0x40
	s_delay_alu instid0(VALU_DEP_4)
	v_cmp_eq_u32_e32 vcc_lo, 1, v1
	s_wait_kmcnt 0x0
	s_lshl_b64 s[12:13], s[66:67], 3
	s_lshl_b64 s[10:11], s[76:77], 3
	s_cmp_eq_u32 s4, 0
	v_cmp_gt_u32_e64 s5, 6, v28
	s_cselect_b32 s99, ttmp9, s3
	s_add_co_i32 s0, s86, -1
	s_ashr_i32 s87, s86, 31
	s_and_b32 s1, s2, 0xffff
	s_ashr_i32 s2, s0, 31
	s_lshr_b32 s3, s87, 26
	s_lshr_b32 s2, s2, 26
	s_add_co_i32 s3, s86, s3
	s_add_co_i32 s100, s100, -1
	s_add_co_i32 s0, s0, s2
	s_and_not1_b32 s3, s3, 63
	s_sub_co_i32 s18, s100, s99
	s_ashr_i32 s0, s0, 6
	s_sub_co_i32 s29, s86, s3
	s_cmp_eq_u32 s0, s18
	v_mad_u32_u24 v6, v2, s1, v4
	s_cselect_b32 s0, -1, 0
	s_cmp_lg_u32 s29, 0
	v_cmp_eq_u32_e64 s6, 5, v28
	s_cselect_b32 s2, -1, 0
	v_cmp_le_i32_e64 s8, s29, v4
	s_and_b32 s21, s2, s0
	s_add_nc_u64 s[2:3], s[68:69], 1
	s_xor_b32 s101, s21, -1
	s_cmp_lg_u32 s99, 0
	v_cmp_gt_u32_e64 s0, 4, v42
	s_cselect_b32 s4, -1, 0
	s_lshl_b32 s16, s18, 6
	s_delay_alu instid0(SALU_CYCLE_1)
	v_dual_add_nc_u32 v30, s16, v2 :: v_dual_bitop2_b32 v17, 3, v0 bitop3:0x40
	s_ashr_i32 s17, s16, 31
	s_cmp_gt_i32 s99, 4
	s_mul_u64 s[14:15], s[2:3], s[16:17]
	s_cselect_b32 s1, -1, 0
	v_cmp_eq_u32_e64 s2, 0, v1
	s_and_b32 s103, s1, s101
	v_cmp_gt_u32_e64 s1, 16, v42
	v_cmp_eq_u32_e64 s3, 3, v17
	v_writelane_b32 v86, s4, 1
	v_cmp_ne_u32_e64 s4, 3, v17
	s_and_b32 s104, vcc_lo, s0
	s_and_b32 vcc_hi, s2, s0
	v_cmp_eq_u32_e32 vcc_lo, 2, v17
	s_and_b32 s31, s3, s1
	v_cmp_gt_u32_e64 s2, 2, v17
	v_cmp_eq_u32_e64 s3, 1, v17
	s_and_b32 s33, s4, s1
	v_cmp_eq_u32_e64 s4, 0, v17
	s_and_b32 s34, vcc_lo, s1
	s_and_b32 s35, s2, s1
	s_and_b32 s36, s3, s1
	v_cmp_gt_u32_e64 s2, 64, v42
	v_cmp_eq_u32_e32 vcc_lo, 7, v28
	v_cmp_ne_u32_e64 s3, 7, v28
	s_and_b32 s37, s4, s1
	v_cmp_eq_u32_e64 s4, 6, v28
	s_and_b32 s41, s5, s2
	s_and_b32 s38, vcc_lo, s2
	s_and_b32 s39, s3, s2
	v_cmp_gt_u32_e32 vcc_lo, 5, v28
	v_cmp_eq_u32_e64 s3, 4, v28
	s_and_b32 s40, s4, s2
	v_cmp_gt_u32_e64 s4, 4, v28
	v_cmp_eq_u32_e64 s5, 3, v28
	s_and_b32 s43, vcc_lo, s2
	s_and_b32 s44, s3, s2
	v_cmp_eq_u32_e32 vcc_lo, 2, v28
	v_cmp_gt_u32_e64 s3, 2, v28
	s_and_b32 s45, s4, s2
	v_cmp_eq_u32_e64 s4, 1, v28
	s_and_b32 s46, s5, s2
	s_and_b32 s48, vcc_lo, s2
	s_and_b32 s49, s3, s2
	v_cmp_gt_u32_e64 s3, 0x100, v42
	v_cmp_eq_u32_e32 vcc_lo, 15, v29
	v_cmp_eq_u32_e64 s5, 0, v28
	s_and_b32 s50, s4, s2
	v_cmp_ne_u32_e64 s4, 15, v29
	s_and_b32 s42, s6, s2
	s_and_b32 s7, vcc_lo, s3
	v_cmp_gt_u32_e64 s6, 3, v28
	v_writelane_b32 v86, s7, 2
	s_and_b32 s51, s5, s2
	v_cmp_eq_u32_e64 s5, 14, v29
	s_and_b32 s4, s4, s3
	s_and_b32 s47, s6, s2
	v_writelane_b32 v86, s4, 3
	v_cmp_gt_u32_e64 s6, 14, v29
	s_and_b32 s4, s5, s3
	v_cmp_eq_u32_e32 vcc_lo, 13, v29
	s_and_b32 s21, s8, s21
	v_writelane_b32 v86, s4, 4
	s_and_b32 s4, s6, s3
	v_cmp_eq_u32_e64 s6, 11, v29
	s_and_b32 s5, vcc_lo, s3
	v_cmp_eq_u32_e32 vcc_lo, 12, v29
	v_writelane_b32 v86, s4, 5
	v_cmp_gt_u32_e64 s4, 13, v29
	v_dual_add_nc_u32 v8, s16, v4 :: v_dual_add_nc_u32 v38, 16, v2
	s_and_b32 s7, vcc_lo, s3
	v_writelane_b32 v86, s5, 6
	s_and_b32 s4, s4, s3
	v_cmp_gt_u32_e64 s5, 12, v29
	v_cmp_eq_u32_e32 vcc_lo, 10, v29
	v_add_nc_u64_e32 v[24:25], s[16:17], v[6:7]
	v_writelane_b32 v86, s4, 7
	v_cmp_gt_u32_e64 s4, 11, v29
	s_and_b32 s5, s5, s3
	v_dual_lshrrev_b32 v31, 1, v42 :: v_dual_lshrrev_b32 v33, 2, v42
	v_writelane_b32 v86, s7, 8
	s_and_b32 s4, s4, s3
	s_and_b32 s7, vcc_lo, s3
	v_cmp_eq_u32_e32 vcc_lo, 8, v29
	v_dual_add_nc_u32 v26, 64, v30 :: v_dual_lshlrev_b32 v32, 9, v31
	v_writelane_b32 v86, s5, 9
	s_and_b32 s5, s6, s3
	s_and_b32 s62, vcc_lo, s3
	v_cmp_eq_u32_e32 vcc_lo, 7, v29
	v_cmp_gt_u32_e64 s6, 9, v29
	v_writelane_b32 v86, s5, 10
	v_cmp_eq_u32_e64 s5, 9, v29
	v_dual_mov_b32 v41, v7 :: v_dual_add_nc_u32 v74, 0x50, v30
	s_and_b32 s9, vcc_lo, s3
	v_writelane_b32 v86, s4, 11
	v_cmp_gt_u32_e64 s4, 10, v29
	s_and_b32 s60, s5, s3
	v_cmp_gt_u32_e64 s5, 7, v29
	v_cmp_eq_u32_e32 vcc_lo, 5, v29
	v_writelane_b32 v86, s7, 12
	s_and_b32 s4, s4, s3
	s_and_b32 s61, s6, s3
	v_cmp_eq_u32_e64 s6, 6, v29
	s_and_b32 s20, s5, s3
	v_writelane_b32 v86, s4, 13
	v_cmp_gt_u32_e64 s4, 8, v29
	v_cmp_eq_u32_e64 s5, 4, v29
	s_and_b32 s26, vcc_lo, s3
	v_cmp_eq_u32_e32 vcc_lo, 3, v29
	s_and_b32 s22, s6, s3
	s_and_b32 s63, s4, s3
	v_cmp_gt_u32_e64 s4, 6, v29
	v_cmp_gt_u32_e64 s6, 4, v29
	s_and_b32 s98, s5, s3
	s_and_b32 s52, vcc_lo, s3
	v_cmp_eq_u32_e32 vcc_lo, 2, v29
	s_and_b32 s24, s4, s3
	v_cmp_gt_u32_e64 s4, 5, v29
	v_cmp_gt_u32_e64 s5, 2, v29
	s_and_b32 s102, s6, s3
	v_cmp_eq_u32_e64 s6, 1, v29
	v_cmp_eq_u32_e64 s7, 0, v29
	s_and_b32 s28, s4, s3
	v_cmp_gt_u32_e64 s4, 3, v29
	s_and_b32 s54, vcc_lo, s3
	s_and_b32 s19, s5, s3
	s_xor_b32 s5, s21, -1
	v_cmp_le_i32_e32 vcc_lo, s29, v2
	s_and_b32 s53, s4, s3
	v_cmp_eq_u32_e64 s4, 0, v2
	s_and_b32 s23, s6, s3
	s_and_b32 s7, s7, s3
	v_cmp_le_i32_e64 s6, s29, v36
	s_add_nc_u64 s[74:75], s[74:75], s[10:11]
	s_and_b32 s25, s4, s5
	s_cmp_gt_i32 s99, 0
	v_cmp_le_i32_e64 s5, s29, v38
	s_cselect_b32 s27, -1, 0
	s_or_b32 s16, vcc_lo, s8
	v_cmp_le_i32_e32 vcc_lo, s29, v40
	v_add_nc_u32_e32 v75, 0x60, v30
	s_or_b32 s17, s5, s8
	v_cmp_gt_i32_e64 s5, s86, v8
	v_dual_lshlrev_b32 v60, 3, v1 :: v_dual_lshlrev_b32 v64, 3, v28
	s_or_b32 s30, vcc_lo, s8
	v_cmp_gt_i32_e32 vcc_lo, s29, v4
	s_or_b32 s8, s6, s8
	v_cmp_gt_i32_e64 s6, s86, v26
	v_dual_lshlrev_b32 v62, 3, v17 :: v_dual_sub_nc_u32 v63, v60, v32
	s_and_b32 s10, s4, vcc_lo
	v_cmp_gt_i32_e32 vcc_lo, s86, v74
	v_writelane_b32 v86, s10, 14
	s_and_b32 s6, s5, s6
	v_add_nc_u32_e32 v17, 0x70, v30
                                        ; implicit-def: $vgpr85 : SGPR spill to VGPR lane
	v_dual_ashrrev_i32 v27, 31, v26 :: v_dual_lshrrev_b32 v34, 10, v0
	v_writelane_b32 v86, s6, 15
	s_and_b32 s6, s5, vcc_lo
	v_cmp_gt_i32_e32 vcc_lo, s86, v75
	v_ashrrev_i32_e32 v9, 31, v8
	v_mul_u64_e32 v[10:11], s[68:69], v[26:27]
	v_writelane_b32 v86, s6, 16
	v_dual_sub_nc_u32 v5, 0, v32 :: v_dual_lshlrev_b32 v3, 6, v42
	s_and_b32 s6, s5, vcc_lo
	v_cmp_gt_i32_e32 vcc_lo, s86, v17
	v_writelane_b32 v86, s6, 17
	v_dual_lshlrev_b32 v27, 9, v33 :: v_dual_lshrrev_b32 v43, 5, v42
	v_dual_lshrrev_b32 v35, 4, v42 :: v_dual_lshlrev_b32 v46, 3, v4
	s_and_b32 s6, s5, vcc_lo
	s_delay_alu instid0(VALU_DEP_2)
	v_sub_nc_u32_e32 v47, 0, v27
	v_writelane_b32 v86, s6, 18
	v_cmp_le_u32_e64 s6, v2, v4
	v_and_b32_e32 v44, 0xfffffe00, v3
	v_lshlrev_b32_e32 v73, 9, v43
	v_dual_mov_b32 v39, v7 :: v_dual_add_nc_u32 v56, 0x8000, v46
	s_delay_alu instid0(VALU_DEP_4) | instskip(SKIP_1) | instid1(VALU_DEP_3)
	v_writelane_b32 v86, s6, 19
	s_or_b32 s6, s16, s6
	v_dual_sub_nc_u32 v49, 0, v44 :: v_dual_sub_nc_u32 v52, 0, v73
	v_mov_b32_e32 v3, v7
	v_writelane_b32 v86, s6, 20
	v_cmp_le_u32_e64 s6, v38, v4
	v_dual_mov_b32 v37, v7 :: v_dual_bitop2_b32 v79, v38, v4 bitop3:0x54
	v_dual_lshlrev_b32 v45, 9, v35 :: v_dual_bitop2_b32 v48, 31, v0 bitop3:0x40
	s_delay_alu instid0(VALU_DEP_3)
	v_writelane_b32 v86, s6, 21
	s_or_b32 s6, s17, s6
	v_mul_u64_e32 v[12:13], s[78:79], v[8:9]
	v_mul_u64_e32 v[14:15], s[68:69], v[2:3]
	;; [unrolled: 1-line block ×3, first 2 shown]
	v_writelane_b32 v86, s6, 22
	v_cmp_le_u32_e64 s6, v40, v4
	v_mul_u64_e32 v[20:21], s[68:69], v[40:41]
	v_mul_u64_e32 v[22:23], s[68:69], v[36:37]
	v_bitop3_b32 v39, v0, v34, 0x3ff bitop3:0xa8
	v_mul_u64_e32 v[0:1], s[78:79], v[24:25]
	v_writelane_b32 v86, s6, 23
	s_or_b32 s6, s30, s6
                                        ; implicit-def: $vgpr84 : SGPR spill to VGPR lane
	v_lshl_add_u32 v54, v2, 3, 0xa000
	v_or_b32_e32 v80, v40, v4
	v_and_b32_e32 v68, 0x1fff8, v42
	v_writelane_b32 v86, s6, 24
	v_cmp_le_u32_e64 s6, v36, v4
	v_dual_add_nc_u32 v58, v54, v46 :: v_dual_sub_nc_u32 v50, 0, v45
	v_lshlrev_b32_e32 v51, 3, v48
	v_dual_lshlrev_b32 v16, 3, v4 :: v_dual_bitop2_b32 v37, v36, v4 bitop3:0x54
	s_delay_alu instid0(VALU_DEP_4)
	v_writelane_b32 v86, s6, 25
	s_or_b32 s6, s8, s6
	v_cmp_gt_u32_e64 s8, 0xf0, v42
	v_dual_lshlrev_b32 v66, 3, v29 :: v_dual_sub_nc_u32 v67, v62, v27
	v_writelane_b32 v86, s6, 26
	v_mov_b64_e32 v[24:25], 0
	v_mov_b64_e32 v[26:27], 1.0
	v_cmp_lt_u32_e32 vcc_lo, 0x3ff, v42
	v_lshl_add_u32 v53, v6, 3, 0xa000
	v_writelane_b32 v86, s8, 27
	v_cmp_gt_u32_e64 s8, 0xe0, v42
	v_lshl_add_u32 v55, v42, 3, 0x8000
	v_lshl_add_u32 v57, v2, 9, v46
	;; [unrolled: 1-line block ×4, first 2 shown]
	v_writelane_b32 v86, s8, 28
	v_cmp_gt_u32_e64 s8, 0xd0, v42
	s_add_nc_u64 s[66:67], s[64:65], s[12:13]
	v_lshl_add_u32 v61, v31, 3, 0x8000
	v_lshl_add_u32 v65, v33, 3, 0x8000
	v_dual_mov_b32 v17, v7 :: v_dual_add_nc_u32 v68, 0x8000, v68
	v_writelane_b32 v86, s8, 29
	v_cmp_gt_u32_e64 s8, 0xc0, v42
	v_dual_sub_nc_u32 v69, v64, v44 :: v_dual_sub_nc_u32 v71, v66, v45
	v_lshl_add_u32 v70, v35, 3, 0x8000
	v_lshl_add_u32 v72, v43, 3, 0x8000
	s_delay_alu instid0(VALU_DEP_4)
	v_writelane_b32 v86, s8, 30
	v_cmp_gt_u32_e64 s8, 0xb0, v42
	v_sub_nc_u32_e32 v73, v51, v73
	s_add_co_i32 s64, s18, 1
	v_lshl_add_u32 v74, v36, 9, v46
	v_or_b32_e32 v75, 0x3800, v51
	v_writelane_b32 v86, s8, 31
	v_cmp_gt_u32_e64 s8, 0xa0, v42
	v_subrev_nc_u32_e32 v76, 31, v48
	v_add_nc_u32_e32 v77, 0x7800, v46
	s_lshl_b64 s[76:77], s[14:15], 3
	v_subrev_nc_u32_e32 v78, 63, v4
	v_writelane_b32 v85, s8, 0
	v_cmp_gt_u32_e64 s8, 0x90, v42
	v_cmp_eq_u32_e64 s10, 0, v39
	v_cmp_gt_u32_e64 s11, 2, v42
	v_cmp_gt_u32_e64 s12, 12, v42
	;; [unrolled: 1-line block ×3, first 2 shown]
	v_writelane_b32 v85, s8, 1
	v_cmp_gt_u32_e64 s8, 0x80, v42
	v_cmp_gt_u32_e64 s14, 56, v42
	;; [unrolled: 1-line block ×5, first 2 shown]
	v_writelane_b32 v85, s8, 2
	v_cmp_gt_u32_e64 s8, 0x70, v42
	v_cmp_gt_u32_e64 s18, 24, v42
	;; [unrolled: 1-line block ×3, first 2 shown]
	v_cmp_eq_u32_e64 s55, 0, v6
	v_cmp_gt_u32_e64 s56, 64, v6
	v_writelane_b32 v85, s8, 3
	v_cmp_gt_u32_e64 s8, 0x60, v42
	s_xor_b32 s6, vcc_lo, -1
	s_lshl_b64 s[88:89], s[68:69], 7
	s_lshl_b64 s[90:91], s[68:69], 8
	s_mul_u64 s[92:93], s[68:69], 0x180
	v_writelane_b32 v85, s8, 4
	v_cmp_gt_u32_e64 s8, 0x50, v42
                                        ; implicit-def: $vgpr28_vgpr29
                                        ; implicit-def: $vgpr30_vgpr31
                                        ; implicit-def: $vgpr32_vgpr33
                                        ; implicit-def: $vgpr34_vgpr35
	s_delay_alu instid0(VALU_DEP_1) | instskip(SKIP_1) | instid1(VALU_DEP_1)
	v_writelane_b32 v85, s8, 5
	v_cmp_gt_u32_e64 s8, 0x3e0, v42
	v_writelane_b32 v85, s8, 6
	v_cmp_gt_u32_e64 s8, 0x3c0, v42
	s_delay_alu instid0(VALU_DEP_1) | instskip(SKIP_1) | instid1(VALU_DEP_1)
	v_writelane_b32 v85, s8, 7
	v_cmp_gt_u32_e64 s8, 0x3a0, v42
	v_writelane_b32 v85, s8, 8
	v_cmp_gt_u32_e64 s8, 0x380, v42
	;; [unrolled: 5-line block ×11, first 2 shown]
	s_delay_alu instid0(VALU_DEP_1) | instskip(SKIP_1) | instid1(VALU_DEP_1)
	v_writelane_b32 v85, s8, 27
	v_cmp_gt_u32_e64 s8, 0x120, v42
	v_writelane_b32 v85, s8, 28
	v_cmp_le_u32_e64 s8, v4, v2
	s_delay_alu instid0(VALU_DEP_1) | instskip(SKIP_1) | instid1(VALU_DEP_1)
	v_writelane_b32 v85, s8, 29
	v_cmp_le_u32_e64 s8, v4, v38
	v_writelane_b32 v85, s8, 30
	v_cmp_le_u32_e64 s8, v4, v40
	s_delay_alu instid0(VALU_DEP_1) | instskip(SKIP_1) | instid1(VALU_DEP_1)
	v_writelane_b32 v85, s8, 31
	v_cmp_le_u32_e64 s8, v4, v36
	v_writelane_b32 v84, s8, 0
	v_cmp_gt_u32_e64 s8, 64, v39
	s_delay_alu instid0(VALU_DEP_1) | instskip(SKIP_1) | instid1(VALU_DEP_1)
	v_writelane_b32 v84, s8, 1
	v_cmp_gt_u32_e64 s8, 64, v79
	v_writelane_b32 v84, s8, 2
	v_cmp_gt_u32_e64 s8, 64, v80
	s_delay_alu instid0(VALU_DEP_1) | instskip(SKIP_1) | instid1(VALU_DEP_1)
	v_writelane_b32 v84, s8, 3
	v_cmp_gt_u32_e64 s8, 64, v37
	v_writelane_b32 v84, s8, 4
	s_branch .LBB37_3
.LBB37_2:                               ;   in Loop: Header=BB37_3 Depth=1
	s_wait_xcnt 0x0
	s_or_b32 exec_lo, exec_lo, s8
	v_readlane_b32 s8, v86, 0
	s_add_co_i32 s84, s84, 0x10000
	global_wb scope:SCOPE_DEV
	s_wait_storecnt 0x0
	global_inv scope:SCOPE_DEV
	s_cmp_lt_u32 s84, s8
	s_cbranch_scc0 .LBB37_1055
.LBB37_3:                               ; =>This Loop Header: Depth=1
                                        ;     Child Loop BB37_518 Depth 2
                                        ;     Child Loop BB37_935 Depth 2
                                        ;       Child Loop BB37_937 Depth 3
                                        ;     Child Loop BB37_975 Depth 2
	v_readlane_b32 s8, v86, 1
	s_mul_u64 s[94:95], s[70:71], s[84:85]
	s_delay_alu instid0(SALU_CYCLE_1) | instskip(NEXT) | instid1(SALU_CYCLE_1)
	s_lshl_b64 s[94:95], s[94:95], 3
	s_add_nc_u64 s[94:95], s[66:67], s[94:95]
	s_and_not1_b32 vcc_lo, exec_lo, s8
	s_cbranch_vccnz .LBB37_13
; %bb.4:                                ;   in Loop: Header=BB37_3 Depth=1
	v_lshl_add_u64 v[32:33], v[10:11], 3, s[94:95]
	v_mov_b64_e32 v[30:31], 0
	v_mov_b64_e32 v[28:29], 0
	s_barrier_signal -1
	s_delay_alu instid0(VALU_DEP_3) | instskip(SKIP_4) | instid1(SALU_CYCLE_1)
	v_lshl_add_u64 v[36:37], v[8:9], 3, v[32:33]
	s_barrier_wait -1
	s_mov_b32 s8, exec_lo
	v_readlane_b32 s29, v86, 15
	s_and_b32 s29, s8, s29
	s_mov_b32 exec_lo, s29
	s_cbranch_execz .LBB37_6
; %bb.5:                                ;   in Loop: Header=BB37_3 Depth=1
	global_load_b64 v[28:29], v[36:37], off
.LBB37_6:                               ;   in Loop: Header=BB37_3 Depth=1
	s_wait_xcnt 0x0
	s_or_b32 exec_lo, exec_lo, s8
	s_wait_loadcnt 0x0
	s_barrier_signal -1
	s_barrier_wait -1
	s_mov_b32 s8, exec_lo
	v_readlane_b32 s29, v86, 16
	s_and_b32 s29, s8, s29
	s_delay_alu instid0(SALU_CYCLE_1)
	s_mov_b32 exec_lo, s29
	s_cbranch_execz .LBB37_8
; %bb.7:                                ;   in Loop: Header=BB37_3 Depth=1
	v_add_nc_u64_e32 v[30:31], s[88:89], v[36:37]
	global_load_b64 v[30:31], v[30:31], off
.LBB37_8:                               ;   in Loop: Header=BB37_3 Depth=1
	s_wait_xcnt 0x0
	s_or_b32 exec_lo, exec_lo, s8
	v_mov_b64_e32 v[34:35], 0
	v_mov_b64_e32 v[32:33], 0
	s_wait_loadcnt 0x0
	s_barrier_signal -1
	s_barrier_wait -1
	s_mov_b32 s8, exec_lo
	v_readlane_b32 s29, v86, 17
	s_and_b32 s29, s8, s29
	s_delay_alu instid0(SALU_CYCLE_1)
	s_mov_b32 exec_lo, s29
	s_cbranch_execz .LBB37_10
; %bb.9:                                ;   in Loop: Header=BB37_3 Depth=1
	v_add_nc_u64_e32 v[32:33], s[90:91], v[36:37]
	global_load_b64 v[32:33], v[32:33], off
.LBB37_10:                              ;   in Loop: Header=BB37_3 Depth=1
	s_wait_xcnt 0x0
	s_or_b32 exec_lo, exec_lo, s8
	s_wait_loadcnt 0x0
	s_barrier_signal -1
	s_barrier_wait -1
	s_mov_b32 s8, exec_lo
	v_readlane_b32 s29, v86, 18
	s_and_b32 s29, s8, s29
	s_delay_alu instid0(SALU_CYCLE_1)
	s_mov_b32 exec_lo, s29
	s_cbranch_execz .LBB37_12
; %bb.11:                               ;   in Loop: Header=BB37_3 Depth=1
	v_add_nc_u64_e32 v[34:35], s[92:93], v[36:37]
	global_load_b64 v[34:35], v[34:35], off
.LBB37_12:                              ;   in Loop: Header=BB37_3 Depth=1
	s_wait_xcnt 0x0
	s_or_b32 exec_lo, exec_lo, s8
.LBB37_13:                              ;   in Loop: Header=BB37_3 Depth=1
	s_add_nc_u64 s[96:97], s[94:95], s[76:77]
	s_and_not1_b32 vcc_lo, exec_lo, s101
	v_add_nc_u64_e32 v[36:37], s[96:97], v[16:17]
	s_mov_b32 s8, -1
	s_cbranch_vccnz .LBB37_37
; %bb.14:                               ;   in Loop: Header=BB37_3 Depth=1
	s_mov_b32 s8, 0
	s_mov_b32 s29, exec_lo
	v_readlane_b32 s57, v86, 19
	s_and_b32 s57, s29, s57
	s_delay_alu instid0(SALU_CYCLE_1)
	s_xor_b32 s29, s57, s29
	s_mov_b32 exec_lo, s57
	s_cbranch_execnz .LBB37_997
; %bb.15:                               ;   in Loop: Header=BB37_3 Depth=1
	s_or_saveexec_b32 s29, s29
	v_mov_b64_e32 v[38:39], 0
	s_xor_b32 exec_lo, exec_lo, s29
	s_cbranch_execnz .LBB37_998
.LBB37_16:                              ;   in Loop: Header=BB37_3 Depth=1
	s_or_b32 exec_lo, exec_lo, s29
	s_and_saveexec_b32 s29, s8
.LBB37_17:                              ;   in Loop: Header=BB37_3 Depth=1
	ds_store_b64 v57, v[38:39]
.LBB37_18:                              ;   in Loop: Header=BB37_3 Depth=1
	s_or_b32 exec_lo, exec_lo, s29
	s_delay_alu instid0(SALU_CYCLE_1) | instskip(SKIP_2) | instid1(SALU_CYCLE_1)
	s_mov_b32 s8, exec_lo
	v_readlane_b32 s29, v86, 21
	s_and_b32 s29, s8, s29
	s_xor_b32 s8, s29, s8
	s_mov_b32 exec_lo, s29
	s_cbranch_execz .LBB37_22
; %bb.19:                               ;   in Loop: Header=BB37_3 Depth=1
	s_mov_b32 s29, exec_lo
	v_readlane_b32 s57, v84, 2
	s_and_b32 s57, s29, s57
	s_delay_alu instid0(SALU_CYCLE_1)
	s_mov_b32 exec_lo, s57
; %bb.20:                               ;   in Loop: Header=BB37_3 Depth=1
	ds_store_b64 v3, v[24:25]
; %bb.21:                               ;   in Loop: Header=BB37_3 Depth=1
	s_or_b32 exec_lo, exec_lo, s29
.LBB37_22:                              ;   in Loop: Header=BB37_3 Depth=1
	s_and_not1_saveexec_b32 s8, s8
	s_cbranch_execz .LBB37_24
; %bb.23:                               ;   in Loop: Header=BB37_3 Depth=1
	v_lshl_add_u64 v[38:39], v[18:19], 3, v[36:37]
	global_load_b64 v[38:39], v[38:39], off
	s_wait_loadcnt 0x0
	v_xor_b32_e32 v39, 0x80000000, v39
	ds_store_b64 v3, v[38:39]
.LBB37_24:                              ;   in Loop: Header=BB37_3 Depth=1
	s_or_b32 exec_lo, exec_lo, s8
	s_delay_alu instid0(SALU_CYCLE_1) | instskip(SKIP_2) | instid1(SALU_CYCLE_1)
	s_mov_b32 s8, exec_lo
	v_readlane_b32 s29, v86, 23
	s_and_b32 s29, s8, s29
	s_xor_b32 s8, s29, s8
	s_mov_b32 exec_lo, s29
	s_cbranch_execz .LBB37_28
; %bb.25:                               ;   in Loop: Header=BB37_3 Depth=1
	s_mov_b32 s29, exec_lo
	v_readlane_b32 s57, v84, 3
	s_and_b32 s57, s29, s57
	s_delay_alu instid0(SALU_CYCLE_1)
	s_mov_b32 exec_lo, s57
; %bb.26:                               ;   in Loop: Header=BB37_3 Depth=1
	ds_store_b64 v59, v[24:25]
; %bb.27:                               ;   in Loop: Header=BB37_3 Depth=1
	s_or_b32 exec_lo, exec_lo, s29
.LBB37_28:                              ;   in Loop: Header=BB37_3 Depth=1
	s_and_not1_saveexec_b32 s8, s8
	s_cbranch_execz .LBB37_30
; %bb.29:                               ;   in Loop: Header=BB37_3 Depth=1
	v_lshl_add_u64 v[38:39], v[20:21], 3, v[36:37]
	global_load_b64 v[38:39], v[38:39], off
	s_wait_loadcnt 0x0
	v_xor_b32_e32 v39, 0x80000000, v39
	ds_store_b64 v59, v[38:39]
.LBB37_30:                              ;   in Loop: Header=BB37_3 Depth=1
	;; [unrolled: 28-line block ×3, first 2 shown]
	s_or_b32 exec_lo, exec_lo, s8
	s_mov_b32 s8, 0
.LBB37_37:                              ;   in Loop: Header=BB37_3 Depth=1
	s_delay_alu instid0(SALU_CYCLE_1)
	s_and_b32 vcc_lo, exec_lo, s8
	s_cbranch_vccz .LBB37_61
; %bb.38:                               ;   in Loop: Header=BB37_3 Depth=1
	s_mov_b32 s8, 0
	s_mov_b32 s29, exec_lo
	v_readlane_b32 s57, v86, 20
	s_and_b32 s57, s29, s57
	s_delay_alu instid0(SALU_CYCLE_1)
	s_xor_b32 s29, s57, s29
	s_mov_b32 exec_lo, s57
	s_cbranch_execnz .LBB37_999
; %bb.39:                               ;   in Loop: Header=BB37_3 Depth=1
	s_or_saveexec_b32 s29, s29
	v_mov_b64_e32 v[38:39], 0
	s_xor_b32 exec_lo, exec_lo, s29
	s_cbranch_execnz .LBB37_1000
.LBB37_40:                              ;   in Loop: Header=BB37_3 Depth=1
	s_or_b32 exec_lo, exec_lo, s29
	s_and_saveexec_b32 s29, s8
.LBB37_41:                              ;   in Loop: Header=BB37_3 Depth=1
	ds_store_b64 v57, v[38:39]
.LBB37_42:                              ;   in Loop: Header=BB37_3 Depth=1
	s_or_b32 exec_lo, exec_lo, s29
	s_delay_alu instid0(SALU_CYCLE_1) | instskip(SKIP_2) | instid1(SALU_CYCLE_1)
	s_mov_b32 s8, exec_lo
	v_readlane_b32 s29, v86, 22
	s_and_b32 s29, s8, s29
	s_xor_b32 s8, s29, s8
	s_mov_b32 exec_lo, s29
	s_cbranch_execz .LBB37_46
; %bb.43:                               ;   in Loop: Header=BB37_3 Depth=1
	s_mov_b32 s29, exec_lo
	v_readlane_b32 s57, v84, 2
	s_and_b32 s57, s29, s57
	s_delay_alu instid0(SALU_CYCLE_1)
	s_mov_b32 exec_lo, s57
; %bb.44:                               ;   in Loop: Header=BB37_3 Depth=1
	ds_store_b64 v3, v[24:25]
; %bb.45:                               ;   in Loop: Header=BB37_3 Depth=1
	s_or_b32 exec_lo, exec_lo, s29
.LBB37_46:                              ;   in Loop: Header=BB37_3 Depth=1
	s_and_not1_saveexec_b32 s8, s8
	s_cbranch_execz .LBB37_48
; %bb.47:                               ;   in Loop: Header=BB37_3 Depth=1
	v_lshl_add_u64 v[38:39], v[18:19], 3, v[36:37]
	global_load_b64 v[38:39], v[38:39], off
	s_wait_loadcnt 0x0
	v_xor_b32_e32 v39, 0x80000000, v39
	ds_store_b64 v3, v[38:39]
.LBB37_48:                              ;   in Loop: Header=BB37_3 Depth=1
	s_or_b32 exec_lo, exec_lo, s8
	s_delay_alu instid0(SALU_CYCLE_1) | instskip(SKIP_2) | instid1(SALU_CYCLE_1)
	s_mov_b32 s8, exec_lo
	v_readlane_b32 s29, v86, 24
	s_and_b32 s29, s8, s29
	s_xor_b32 s8, s29, s8
	s_mov_b32 exec_lo, s29
	s_cbranch_execz .LBB37_52
; %bb.49:                               ;   in Loop: Header=BB37_3 Depth=1
	s_mov_b32 s29, exec_lo
	v_readlane_b32 s57, v84, 3
	s_and_b32 s57, s29, s57
	s_delay_alu instid0(SALU_CYCLE_1)
	s_mov_b32 exec_lo, s57
; %bb.50:                               ;   in Loop: Header=BB37_3 Depth=1
	ds_store_b64 v59, v[24:25]
; %bb.51:                               ;   in Loop: Header=BB37_3 Depth=1
	s_or_b32 exec_lo, exec_lo, s29
.LBB37_52:                              ;   in Loop: Header=BB37_3 Depth=1
	s_and_not1_saveexec_b32 s8, s8
	s_cbranch_execz .LBB37_54
; %bb.53:                               ;   in Loop: Header=BB37_3 Depth=1
	v_lshl_add_u64 v[38:39], v[20:21], 3, v[36:37]
	global_load_b64 v[38:39], v[38:39], off
	s_wait_loadcnt 0x0
	v_xor_b32_e32 v39, 0x80000000, v39
	ds_store_b64 v59, v[38:39]
.LBB37_54:                              ;   in Loop: Header=BB37_3 Depth=1
	s_or_b32 exec_lo, exec_lo, s8
	s_delay_alu instid0(SALU_CYCLE_1) | instskip(SKIP_2) | instid1(SALU_CYCLE_1)
	s_mov_b32 s8, exec_lo
	v_readlane_b32 s29, v86, 26
	s_and_b32 s29, s8, s29
	s_xor_b32 s8, s29, s8
	s_mov_b32 exec_lo, s29
	s_cbranch_execz .LBB37_58
; %bb.55:                               ;   in Loop: Header=BB37_3 Depth=1
	s_mov_b32 s29, exec_lo
	v_readlane_b32 s57, v84, 4
	s_and_b32 s57, s29, s57
	s_delay_alu instid0(SALU_CYCLE_1)
	s_mov_b32 exec_lo, s57
; %bb.56:                               ;   in Loop: Header=BB37_3 Depth=1
	ds_store_b64 v74, v[24:25]
; %bb.57:                               ;   in Loop: Header=BB37_3 Depth=1
	s_or_b32 exec_lo, exec_lo, s29
                                        ; implicit-def: $vgpr36_vgpr37
.LBB37_58:                              ;   in Loop: Header=BB37_3 Depth=1
	s_and_not1_saveexec_b32 s8, s8
	s_cbranch_execz .LBB37_60
; %bb.59:                               ;   in Loop: Header=BB37_3 Depth=1
	v_lshl_add_u64 v[36:37], v[22:23], 3, v[36:37]
	global_load_b64 v[36:37], v[36:37], off
	s_wait_loadcnt 0x0
	v_xor_b32_e32 v37, 0x80000000, v37
	ds_store_b64 v74, v[36:37]
.LBB37_60:                              ;   in Loop: Header=BB37_3 Depth=1
	s_or_b32 exec_lo, exec_lo, s8
.LBB37_61:                              ;   in Loop: Header=BB37_3 Depth=1
	s_delay_alu instid0(SALU_CYCLE_1)
	s_and_not1_b32 vcc_lo, exec_lo, s103
	s_wait_loadcnt_dscnt 0x0
	s_barrier_signal -1
	s_barrier_wait -1
	s_cbranch_vccnz .LBB37_929
; %bb.62:                               ;   in Loop: Header=BB37_3 Depth=1
	s_and_saveexec_b32 s8, s10
; %bb.63:                               ;   in Loop: Header=BB37_3 Depth=1
	v_add_nc_u32_e64 v36, 0x7800, 0
	ds_store_2addr_b64 v36, v[26:27], v[26:27] offset0:190 offset1:255
; %bb.64:                               ;   in Loop: Header=BB37_3 Depth=1
	s_or_b32 exec_lo, exec_lo, s8
	v_mov_b64_e32 v[36:37], 0
	s_wait_dscnt 0x0
	s_barrier_signal -1
	s_barrier_wait -1
	global_wb scope:SCOPE_DEV
	s_wait_storecnt 0x0
	global_inv scope:SCOPE_DEV
	s_and_saveexec_b32 s8, s0
	s_cbranch_execz .LBB37_68
; %bb.65:                               ;   in Loop: Header=BB37_3 Depth=1
	ds_load_b64 v[36:37], v60 offset:32224
	ds_load_b64 v[38:39], v5 offset:32752
	s_wait_dscnt 0x0
	v_fma_f64 v[36:37], v[36:37], v[38:39], 0
	s_and_saveexec_b32 s29, s11
	s_cbranch_execz .LBB37_67
; %bb.66:                               ;   in Loop: Header=BB37_3 Depth=1
	ds_load_b64 v[38:39], v46 offset:32736
	ds_load_b64 v[40:41], v7 offset:32760
	s_wait_dscnt 0x0
	v_fmac_f64_e32 v[36:37], v[38:39], v[40:41]
.LBB37_67:                              ;   in Loop: Header=BB37_3 Depth=1
	s_or_b32 exec_lo, exec_lo, s29
.LBB37_68:                              ;   in Loop: Header=BB37_3 Depth=1
	s_delay_alu instid0(SALU_CYCLE_1)
	s_or_b32 exec_lo, exec_lo, s8
	s_and_saveexec_b32 s8, s104
; %bb.69:                               ;   in Loop: Header=BB37_3 Depth=1
	s_delay_alu instid0(VALU_DEP_1) | instskip(NEXT) | instid1(VALU_DEP_2)
	v_xor_b32_e32 v39, 0x80000000, v37
	v_mov_b32_e32 v38, v36
	ds_store_b64 v61, v[38:39]
; %bb.70:                               ;   in Loop: Header=BB37_3 Depth=1
	s_or_b32 exec_lo, exec_lo, s8
	s_wait_loadcnt_dscnt 0x0
	s_barrier_signal -1
	s_barrier_wait -1
	s_and_saveexec_b32 s8, vcc_hi
	s_cbranch_execz .LBB37_72
; %bb.71:                               ;   in Loop: Header=BB37_3 Depth=1
	ds_load_b64 v[38:39], v7 offset:31712
	ds_load_b64 v[40:41], v61
	s_wait_dscnt 0x0
	v_fma_f64 v[36:37], -v[38:39], v[40:41], v[36:37]
.LBB37_72:                              ;   in Loop: Header=BB37_3 Depth=1
	s_or_b32 exec_lo, exec_lo, s8
	s_barrier_signal -1
	s_barrier_wait -1
	s_and_saveexec_b32 s8, vcc_hi
; %bb.73:                               ;   in Loop: Header=BB37_3 Depth=1
	s_delay_alu instid0(VALU_DEP_1) | instskip(NEXT) | instid1(VALU_DEP_2)
	v_xor_b32_e32 v39, 0x80000000, v37
	v_mov_b32_e32 v38, v36
	ds_store_b64 v61, v[38:39]
; %bb.74:                               ;   in Loop: Header=BB37_3 Depth=1
	s_or_b32 exec_lo, exec_lo, s8
	s_wait_dscnt 0x0
	s_barrier_signal -1
	s_barrier_wait -1
	s_barrier_signal -1
	s_barrier_wait -1
	s_and_saveexec_b32 s8, s0
; %bb.75:                               ;   in Loop: Header=BB37_3 Depth=1
	ds_store_b64 v63, v[36:37] offset:32736
; %bb.76:                               ;   in Loop: Header=BB37_3 Depth=1
	s_or_b32 exec_lo, exec_lo, s8
	s_wait_dscnt 0x0
	s_barrier_signal -1
	s_barrier_wait -1
	s_barrier_signal -1
	s_barrier_wait -1
	s_and_saveexec_b32 s8, s10
; %bb.77:                               ;   in Loop: Header=BB37_3 Depth=1
	v_add_nc_u32_e64 v36, 0x7800, 0
	ds_store_2addr_b64 v36, v[26:27], v[26:27] offset0:60 offset1:125
; %bb.78:                               ;   in Loop: Header=BB37_3 Depth=1
	s_or_b32 exec_lo, exec_lo, s8
	v_mov_b64_e32 v[36:37], 0
	s_wait_dscnt 0x0
	s_barrier_signal -1
	s_barrier_wait -1
	global_wb scope:SCOPE_DEV
	s_wait_storecnt 0x0
	global_inv scope:SCOPE_DEV
	s_and_saveexec_b32 s8, s1
	s_cbranch_execz .LBB37_84
; %bb.79:                               ;   in Loop: Header=BB37_3 Depth=1
	ds_load_b64 v[36:37], v62 offset:31168
	ds_load_b64 v[38:39], v47 offset:32736
	s_wait_dscnt 0x0
	v_fma_f64 v[36:37], v[36:37], v[38:39], 0
	s_and_saveexec_b32 s29, s12
	s_cbranch_execnz .LBB37_1005
; %bb.80:                               ;   in Loop: Header=BB37_3 Depth=1
	s_or_b32 exec_lo, exec_lo, s29
	s_and_saveexec_b32 s29, s13
	s_cbranch_execnz .LBB37_1006
.LBB37_81:                              ;   in Loop: Header=BB37_3 Depth=1
	s_or_b32 exec_lo, exec_lo, s29
	s_and_saveexec_b32 s29, s0
	s_cbranch_execz .LBB37_83
.LBB37_82:                              ;   in Loop: Header=BB37_3 Depth=1
	ds_load_b64 v[38:39], v46 offset:32704
	ds_load_b64 v[40:41], v7 offset:32760
	s_wait_dscnt 0x0
	v_fmac_f64_e32 v[36:37], v[38:39], v[40:41]
.LBB37_83:                              ;   in Loop: Header=BB37_3 Depth=1
	s_or_b32 exec_lo, exec_lo, s29
.LBB37_84:                              ;   in Loop: Header=BB37_3 Depth=1
	s_delay_alu instid0(SALU_CYCLE_1)
	s_or_b32 exec_lo, exec_lo, s8
	s_and_saveexec_b32 s8, s31
; %bb.85:                               ;   in Loop: Header=BB37_3 Depth=1
	s_delay_alu instid0(VALU_DEP_1) | instskip(NEXT) | instid1(VALU_DEP_2)
	v_xor_b32_e32 v39, 0x80000000, v37
	v_mov_b32_e32 v38, v36
	ds_store_b64 v65, v[38:39]
; %bb.86:                               ;   in Loop: Header=BB37_3 Depth=1
	s_or_b32 exec_lo, exec_lo, s8
	s_wait_loadcnt_dscnt 0x0
	s_barrier_signal -1
	s_barrier_wait -1
	s_and_saveexec_b32 s8, s33
	s_cbranch_execz .LBB37_88
; %bb.87:                               ;   in Loop: Header=BB37_3 Depth=1
	ds_load_b64 v[38:39], v62 offset:30656
	ds_load_b64 v[40:41], v65
	s_wait_dscnt 0x0
	v_fma_f64 v[36:37], -v[38:39], v[40:41], v[36:37]
.LBB37_88:                              ;   in Loop: Header=BB37_3 Depth=1
	s_or_b32 exec_lo, exec_lo, s8
	s_barrier_signal -1
	s_barrier_wait -1
	s_and_saveexec_b32 s8, s34
; %bb.89:                               ;   in Loop: Header=BB37_3 Depth=1
	s_delay_alu instid0(VALU_DEP_1) | instskip(NEXT) | instid1(VALU_DEP_2)
	v_xor_b32_e32 v39, 0x80000000, v37
	v_mov_b32_e32 v38, v36
	ds_store_b64 v65, v[38:39]
; %bb.90:                               ;   in Loop: Header=BB37_3 Depth=1
	s_or_b32 exec_lo, exec_lo, s8
	s_wait_dscnt 0x0
	s_barrier_signal -1
	s_barrier_wait -1
	s_and_saveexec_b32 s8, s35
	s_cbranch_execz .LBB37_92
; %bb.91:                               ;   in Loop: Header=BB37_3 Depth=1
	ds_load_b64 v[38:39], v62 offset:30144
	ds_load_b64 v[40:41], v65
	s_wait_dscnt 0x0
	v_fma_f64 v[36:37], -v[38:39], v[40:41], v[36:37]
.LBB37_92:                              ;   in Loop: Header=BB37_3 Depth=1
	s_or_b32 exec_lo, exec_lo, s8
	s_barrier_signal -1
	s_barrier_wait -1
	s_and_saveexec_b32 s8, s36
; %bb.93:                               ;   in Loop: Header=BB37_3 Depth=1
	s_delay_alu instid0(VALU_DEP_1) | instskip(NEXT) | instid1(VALU_DEP_2)
	v_xor_b32_e32 v39, 0x80000000, v37
	v_mov_b32_e32 v38, v36
	ds_store_b64 v65, v[38:39]
; %bb.94:                               ;   in Loop: Header=BB37_3 Depth=1
	s_or_b32 exec_lo, exec_lo, s8
	s_wait_dscnt 0x0
	;; [unrolled: 22-line block ×3, first 2 shown]
	s_barrier_signal -1
	s_barrier_wait -1
	s_barrier_signal -1
	s_barrier_wait -1
	s_and_saveexec_b32 s8, s1
; %bb.99:                               ;   in Loop: Header=BB37_3 Depth=1
	ds_store_b64 v67, v[36:37] offset:32704
; %bb.100:                              ;   in Loop: Header=BB37_3 Depth=1
	s_or_b32 exec_lo, exec_lo, s8
	s_wait_dscnt 0x0
	s_barrier_signal -1
	s_barrier_wait -1
	s_barrier_signal -1
	s_barrier_wait -1
	s_and_saveexec_b32 s8, s10
; %bb.101:                              ;   in Loop: Header=BB37_3 Depth=1
	v_add_nc_u32_e64 v36, 0x7000, 0
	ds_store_2addr_b64 v36, v[26:27], v[26:27] offset0:186 offset1:251
; %bb.102:                              ;   in Loop: Header=BB37_3 Depth=1
	s_or_b32 exec_lo, exec_lo, s8
	v_mov_b64_e32 v[36:37], 0
	s_wait_dscnt 0x0
	s_barrier_signal -1
	s_barrier_wait -1
	global_wb scope:SCOPE_DEV
	s_wait_storecnt 0x0
	global_inv scope:SCOPE_DEV
	s_and_saveexec_b32 s8, s0
	s_cbranch_execz .LBB37_106
; %bb.103:                              ;   in Loop: Header=BB37_3 Depth=1
	ds_load_b64 v[36:37], v60 offset:30144
	ds_load_b64 v[38:39], v5 offset:30672
	s_wait_dscnt 0x0
	v_fma_f64 v[36:37], v[36:37], v[38:39], 0
	s_and_saveexec_b32 s29, s11
	s_cbranch_execz .LBB37_105
; %bb.104:                              ;   in Loop: Header=BB37_3 Depth=1
	ds_load_b64 v[38:39], v46 offset:30656
	ds_load_b64 v[40:41], v7 offset:30680
	s_wait_dscnt 0x0
	v_fmac_f64_e32 v[36:37], v[38:39], v[40:41]
.LBB37_105:                             ;   in Loop: Header=BB37_3 Depth=1
	s_or_b32 exec_lo, exec_lo, s29
.LBB37_106:                             ;   in Loop: Header=BB37_3 Depth=1
	s_delay_alu instid0(SALU_CYCLE_1)
	s_or_b32 exec_lo, exec_lo, s8
	s_and_saveexec_b32 s8, s104
; %bb.107:                              ;   in Loop: Header=BB37_3 Depth=1
	s_delay_alu instid0(VALU_DEP_1) | instskip(NEXT) | instid1(VALU_DEP_2)
	v_xor_b32_e32 v39, 0x80000000, v37
	v_mov_b32_e32 v38, v36
	ds_store_b64 v61, v[38:39]
; %bb.108:                              ;   in Loop: Header=BB37_3 Depth=1
	s_or_b32 exec_lo, exec_lo, s8
	s_wait_loadcnt_dscnt 0x0
	s_barrier_signal -1
	s_barrier_wait -1
	s_and_saveexec_b32 s8, vcc_hi
	s_cbranch_execz .LBB37_110
; %bb.109:                              ;   in Loop: Header=BB37_3 Depth=1
	ds_load_b64 v[38:39], v7 offset:29632
	ds_load_b64 v[40:41], v61
	s_wait_dscnt 0x0
	v_fma_f64 v[36:37], -v[38:39], v[40:41], v[36:37]
.LBB37_110:                             ;   in Loop: Header=BB37_3 Depth=1
	s_or_b32 exec_lo, exec_lo, s8
	s_barrier_signal -1
	s_barrier_wait -1
	s_and_saveexec_b32 s8, vcc_hi
; %bb.111:                              ;   in Loop: Header=BB37_3 Depth=1
	s_delay_alu instid0(VALU_DEP_1) | instskip(NEXT) | instid1(VALU_DEP_2)
	v_xor_b32_e32 v39, 0x80000000, v37
	v_mov_b32_e32 v38, v36
	ds_store_b64 v61, v[38:39]
; %bb.112:                              ;   in Loop: Header=BB37_3 Depth=1
	s_or_b32 exec_lo, exec_lo, s8
	s_wait_dscnt 0x0
	s_barrier_signal -1
	s_barrier_wait -1
	s_barrier_signal -1
	s_barrier_wait -1
	s_and_saveexec_b32 s8, s0
; %bb.113:                              ;   in Loop: Header=BB37_3 Depth=1
	ds_store_b64 v63, v[36:37] offset:30656
; %bb.114:                              ;   in Loop: Header=BB37_3 Depth=1
	s_or_b32 exec_lo, exec_lo, s8
	s_wait_dscnt 0x0
	s_barrier_signal -1
	s_barrier_wait -1
	s_barrier_signal -1
	s_barrier_wait -1
	s_and_saveexec_b32 s8, s10
; %bb.115:                              ;   in Loop: Header=BB37_3 Depth=1
	v_add_nc_u32_e64 v36, 0x7000, 0
	ds_store_2addr_b64 v36, v[26:27], v[26:27] offset0:56 offset1:121
; %bb.116:                              ;   in Loop: Header=BB37_3 Depth=1
	s_or_b32 exec_lo, exec_lo, s8
	v_mov_b64_e32 v[36:37], 0
	s_wait_dscnt 0x0
	s_barrier_signal -1
	s_barrier_wait -1
	global_wb scope:SCOPE_DEV
	s_wait_storecnt 0x0
	global_inv scope:SCOPE_DEV
	s_and_saveexec_b32 s8, s2
	s_cbranch_execz .LBB37_126
; %bb.117:                              ;   in Loop: Header=BB37_3 Depth=1
	ds_load_b64 v[36:37], v64 offset:29056
	ds_load_b64 v[38:39], v49 offset:32704
	s_wait_dscnt 0x0
	v_fma_f64 v[36:37], v[36:37], v[38:39], 0
	s_and_saveexec_b32 s29, s14
	s_cbranch_execnz .LBB37_1007
; %bb.118:                              ;   in Loop: Header=BB37_3 Depth=1
	s_or_b32 exec_lo, exec_lo, s29
	s_and_saveexec_b32 s29, s15
	s_cbranch_execnz .LBB37_1008
.LBB37_119:                             ;   in Loop: Header=BB37_3 Depth=1
	s_or_b32 exec_lo, exec_lo, s29
	s_and_saveexec_b32 s29, s16
	s_cbranch_execnz .LBB37_1009
.LBB37_120:                             ;   in Loop: Header=BB37_3 Depth=1
	s_or_b32 exec_lo, exec_lo, s29
	s_and_saveexec_b32 s29, s17
	s_cbranch_execnz .LBB37_1010
.LBB37_121:                             ;   in Loop: Header=BB37_3 Depth=1
	s_or_b32 exec_lo, exec_lo, s29
	s_and_saveexec_b32 s29, s18
	s_cbranch_execnz .LBB37_1011
.LBB37_122:                             ;   in Loop: Header=BB37_3 Depth=1
	s_or_b32 exec_lo, exec_lo, s29
	s_and_saveexec_b32 s29, s1
	s_cbranch_execnz .LBB37_1012
.LBB37_123:                             ;   in Loop: Header=BB37_3 Depth=1
	s_or_b32 exec_lo, exec_lo, s29
	s_and_saveexec_b32 s29, s13
	s_cbranch_execz .LBB37_125
.LBB37_124:                             ;   in Loop: Header=BB37_3 Depth=1
	ds_load_b64 v[38:39], v46 offset:32640
	ds_load_b64 v[40:41], v7 offset:32760
	s_wait_dscnt 0x0
	v_fmac_f64_e32 v[36:37], v[38:39], v[40:41]
.LBB37_125:                             ;   in Loop: Header=BB37_3 Depth=1
	s_or_b32 exec_lo, exec_lo, s29
.LBB37_126:                             ;   in Loop: Header=BB37_3 Depth=1
	s_delay_alu instid0(SALU_CYCLE_1)
	s_or_b32 exec_lo, exec_lo, s8
	s_and_saveexec_b32 s8, s38
; %bb.127:                              ;   in Loop: Header=BB37_3 Depth=1
	s_delay_alu instid0(VALU_DEP_1) | instskip(NEXT) | instid1(VALU_DEP_2)
	v_xor_b32_e32 v39, 0x80000000, v37
	v_mov_b32_e32 v38, v36
	ds_store_b64 v68, v[38:39]
; %bb.128:                              ;   in Loop: Header=BB37_3 Depth=1
	s_or_b32 exec_lo, exec_lo, s8
	s_wait_loadcnt_dscnt 0x0
	s_barrier_signal -1
	s_barrier_wait -1
	s_and_saveexec_b32 s8, s39
	s_cbranch_execz .LBB37_130
; %bb.129:                              ;   in Loop: Header=BB37_3 Depth=1
	ds_load_b64 v[38:39], v64 offset:28544
	ds_load_b64 v[40:41], v68
	s_wait_dscnt 0x0
	v_fma_f64 v[36:37], -v[38:39], v[40:41], v[36:37]
.LBB37_130:                             ;   in Loop: Header=BB37_3 Depth=1
	s_or_b32 exec_lo, exec_lo, s8
	s_barrier_signal -1
	s_barrier_wait -1
	s_and_saveexec_b32 s8, s40
; %bb.131:                              ;   in Loop: Header=BB37_3 Depth=1
	s_delay_alu instid0(VALU_DEP_1) | instskip(NEXT) | instid1(VALU_DEP_2)
	v_xor_b32_e32 v39, 0x80000000, v37
	v_mov_b32_e32 v38, v36
	ds_store_b64 v68, v[38:39]
; %bb.132:                              ;   in Loop: Header=BB37_3 Depth=1
	s_or_b32 exec_lo, exec_lo, s8
	s_wait_dscnt 0x0
	s_barrier_signal -1
	s_barrier_wait -1
	s_and_saveexec_b32 s8, s41
	s_cbranch_execz .LBB37_134
; %bb.133:                              ;   in Loop: Header=BB37_3 Depth=1
	ds_load_b64 v[38:39], v64 offset:28032
	ds_load_b64 v[40:41], v68
	s_wait_dscnt 0x0
	v_fma_f64 v[36:37], -v[38:39], v[40:41], v[36:37]
.LBB37_134:                             ;   in Loop: Header=BB37_3 Depth=1
	s_or_b32 exec_lo, exec_lo, s8
	s_barrier_signal -1
	s_barrier_wait -1
	s_and_saveexec_b32 s8, s42
; %bb.135:                              ;   in Loop: Header=BB37_3 Depth=1
	s_delay_alu instid0(VALU_DEP_1) | instskip(NEXT) | instid1(VALU_DEP_2)
	v_xor_b32_e32 v39, 0x80000000, v37
	v_mov_b32_e32 v38, v36
	ds_store_b64 v68, v[38:39]
; %bb.136:                              ;   in Loop: Header=BB37_3 Depth=1
	s_or_b32 exec_lo, exec_lo, s8
	s_wait_dscnt 0x0
	;; [unrolled: 22-line block ×7, first 2 shown]
	s_barrier_signal -1
	s_barrier_wait -1
	s_barrier_signal -1
	s_barrier_wait -1
	s_and_saveexec_b32 s8, s2
; %bb.157:                              ;   in Loop: Header=BB37_3 Depth=1
	ds_store_b64 v69, v[36:37] offset:32640
; %bb.158:                              ;   in Loop: Header=BB37_3 Depth=1
	s_or_b32 exec_lo, exec_lo, s8
	s_wait_dscnt 0x0
	s_barrier_signal -1
	s_barrier_wait -1
	s_barrier_signal -1
	s_barrier_wait -1
	s_and_saveexec_b32 s8, s10
; %bb.159:                              ;   in Loop: Header=BB37_3 Depth=1
	v_add_nc_u32_e64 v36, 0x6800, 0
	ds_store_2addr_b64 v36, v[26:27], v[26:27] offset0:182 offset1:247
; %bb.160:                              ;   in Loop: Header=BB37_3 Depth=1
	s_or_b32 exec_lo, exec_lo, s8
	v_mov_b64_e32 v[36:37], 0
	s_wait_dscnt 0x0
	s_barrier_signal -1
	s_barrier_wait -1
	global_wb scope:SCOPE_DEV
	s_wait_storecnt 0x0
	global_inv scope:SCOPE_DEV
	s_and_saveexec_b32 s8, s0
	s_cbranch_execz .LBB37_164
; %bb.161:                              ;   in Loop: Header=BB37_3 Depth=1
	ds_load_b64 v[36:37], v60 offset:28064
	ds_load_b64 v[38:39], v5 offset:28592
	s_wait_dscnt 0x0
	v_fma_f64 v[36:37], v[36:37], v[38:39], 0
	s_and_saveexec_b32 s29, s11
	s_cbranch_execz .LBB37_163
; %bb.162:                              ;   in Loop: Header=BB37_3 Depth=1
	ds_load_b64 v[38:39], v46 offset:28576
	ds_load_b64 v[40:41], v7 offset:28600
	s_wait_dscnt 0x0
	v_fmac_f64_e32 v[36:37], v[38:39], v[40:41]
.LBB37_163:                             ;   in Loop: Header=BB37_3 Depth=1
	s_or_b32 exec_lo, exec_lo, s29
.LBB37_164:                             ;   in Loop: Header=BB37_3 Depth=1
	s_delay_alu instid0(SALU_CYCLE_1)
	s_or_b32 exec_lo, exec_lo, s8
	s_and_saveexec_b32 s8, s104
; %bb.165:                              ;   in Loop: Header=BB37_3 Depth=1
	s_delay_alu instid0(VALU_DEP_1) | instskip(NEXT) | instid1(VALU_DEP_2)
	v_xor_b32_e32 v39, 0x80000000, v37
	v_mov_b32_e32 v38, v36
	ds_store_b64 v61, v[38:39]
; %bb.166:                              ;   in Loop: Header=BB37_3 Depth=1
	s_or_b32 exec_lo, exec_lo, s8
	s_wait_loadcnt_dscnt 0x0
	s_barrier_signal -1
	s_barrier_wait -1
	s_and_saveexec_b32 s8, vcc_hi
	s_cbranch_execz .LBB37_168
; %bb.167:                              ;   in Loop: Header=BB37_3 Depth=1
	ds_load_b64 v[38:39], v7 offset:27552
	ds_load_b64 v[40:41], v61
	s_wait_dscnt 0x0
	v_fma_f64 v[36:37], -v[38:39], v[40:41], v[36:37]
.LBB37_168:                             ;   in Loop: Header=BB37_3 Depth=1
	s_or_b32 exec_lo, exec_lo, s8
	s_barrier_signal -1
	s_barrier_wait -1
	s_and_saveexec_b32 s8, vcc_hi
; %bb.169:                              ;   in Loop: Header=BB37_3 Depth=1
	s_delay_alu instid0(VALU_DEP_1) | instskip(NEXT) | instid1(VALU_DEP_2)
	v_xor_b32_e32 v39, 0x80000000, v37
	v_mov_b32_e32 v38, v36
	ds_store_b64 v61, v[38:39]
; %bb.170:                              ;   in Loop: Header=BB37_3 Depth=1
	s_or_b32 exec_lo, exec_lo, s8
	s_wait_dscnt 0x0
	s_barrier_signal -1
	s_barrier_wait -1
	s_barrier_signal -1
	s_barrier_wait -1
	s_and_saveexec_b32 s8, s0
; %bb.171:                              ;   in Loop: Header=BB37_3 Depth=1
	ds_store_b64 v63, v[36:37] offset:28576
; %bb.172:                              ;   in Loop: Header=BB37_3 Depth=1
	s_or_b32 exec_lo, exec_lo, s8
	s_wait_dscnt 0x0
	s_barrier_signal -1
	s_barrier_wait -1
	s_barrier_signal -1
	s_barrier_wait -1
	s_and_saveexec_b32 s8, s10
; %bb.173:                              ;   in Loop: Header=BB37_3 Depth=1
	v_add_nc_u32_e64 v36, 0x6800, 0
	ds_store_2addr_b64 v36, v[26:27], v[26:27] offset0:52 offset1:117
; %bb.174:                              ;   in Loop: Header=BB37_3 Depth=1
	s_or_b32 exec_lo, exec_lo, s8
	v_mov_b64_e32 v[36:37], 0
	s_wait_dscnt 0x0
	s_barrier_signal -1
	s_barrier_wait -1
	global_wb scope:SCOPE_DEV
	s_wait_storecnt 0x0
	global_inv scope:SCOPE_DEV
	s_and_saveexec_b32 s8, s1
	s_cbranch_execz .LBB37_180
; %bb.175:                              ;   in Loop: Header=BB37_3 Depth=1
	ds_load_b64 v[36:37], v62 offset:27008
	ds_load_b64 v[38:39], v47 offset:28576
	s_wait_dscnt 0x0
	v_fma_f64 v[36:37], v[36:37], v[38:39], 0
	s_and_saveexec_b32 s29, s12
	s_cbranch_execnz .LBB37_1013
; %bb.176:                              ;   in Loop: Header=BB37_3 Depth=1
	s_or_b32 exec_lo, exec_lo, s29
	s_and_saveexec_b32 s29, s13
	s_cbranch_execnz .LBB37_1014
.LBB37_177:                             ;   in Loop: Header=BB37_3 Depth=1
	s_or_b32 exec_lo, exec_lo, s29
	s_and_saveexec_b32 s29, s0
	s_cbranch_execz .LBB37_179
.LBB37_178:                             ;   in Loop: Header=BB37_3 Depth=1
	ds_load_b64 v[38:39], v46 offset:28544
	ds_load_b64 v[40:41], v7 offset:28600
	s_wait_dscnt 0x0
	v_fmac_f64_e32 v[36:37], v[38:39], v[40:41]
.LBB37_179:                             ;   in Loop: Header=BB37_3 Depth=1
	s_or_b32 exec_lo, exec_lo, s29
.LBB37_180:                             ;   in Loop: Header=BB37_3 Depth=1
	s_delay_alu instid0(SALU_CYCLE_1)
	s_or_b32 exec_lo, exec_lo, s8
	s_and_saveexec_b32 s8, s31
; %bb.181:                              ;   in Loop: Header=BB37_3 Depth=1
	s_delay_alu instid0(VALU_DEP_1) | instskip(NEXT) | instid1(VALU_DEP_2)
	v_xor_b32_e32 v39, 0x80000000, v37
	v_mov_b32_e32 v38, v36
	ds_store_b64 v65, v[38:39]
; %bb.182:                              ;   in Loop: Header=BB37_3 Depth=1
	s_or_b32 exec_lo, exec_lo, s8
	s_wait_loadcnt_dscnt 0x0
	s_barrier_signal -1
	s_barrier_wait -1
	s_and_saveexec_b32 s8, s33
	s_cbranch_execz .LBB37_184
; %bb.183:                              ;   in Loop: Header=BB37_3 Depth=1
	ds_load_b64 v[38:39], v62 offset:26496
	ds_load_b64 v[40:41], v65
	s_wait_dscnt 0x0
	v_fma_f64 v[36:37], -v[38:39], v[40:41], v[36:37]
.LBB37_184:                             ;   in Loop: Header=BB37_3 Depth=1
	s_or_b32 exec_lo, exec_lo, s8
	s_barrier_signal -1
	s_barrier_wait -1
	s_and_saveexec_b32 s8, s34
; %bb.185:                              ;   in Loop: Header=BB37_3 Depth=1
	s_delay_alu instid0(VALU_DEP_1) | instskip(NEXT) | instid1(VALU_DEP_2)
	v_xor_b32_e32 v39, 0x80000000, v37
	v_mov_b32_e32 v38, v36
	ds_store_b64 v65, v[38:39]
; %bb.186:                              ;   in Loop: Header=BB37_3 Depth=1
	s_or_b32 exec_lo, exec_lo, s8
	s_wait_dscnt 0x0
	s_barrier_signal -1
	s_barrier_wait -1
	s_and_saveexec_b32 s8, s35
	s_cbranch_execz .LBB37_188
; %bb.187:                              ;   in Loop: Header=BB37_3 Depth=1
	ds_load_b64 v[38:39], v62 offset:25984
	ds_load_b64 v[40:41], v65
	s_wait_dscnt 0x0
	v_fma_f64 v[36:37], -v[38:39], v[40:41], v[36:37]
.LBB37_188:                             ;   in Loop: Header=BB37_3 Depth=1
	s_or_b32 exec_lo, exec_lo, s8
	s_barrier_signal -1
	s_barrier_wait -1
	s_and_saveexec_b32 s8, s36
; %bb.189:                              ;   in Loop: Header=BB37_3 Depth=1
	s_delay_alu instid0(VALU_DEP_1) | instskip(NEXT) | instid1(VALU_DEP_2)
	v_xor_b32_e32 v39, 0x80000000, v37
	v_mov_b32_e32 v38, v36
	ds_store_b64 v65, v[38:39]
; %bb.190:                              ;   in Loop: Header=BB37_3 Depth=1
	s_or_b32 exec_lo, exec_lo, s8
	s_wait_dscnt 0x0
	;; [unrolled: 22-line block ×3, first 2 shown]
	s_barrier_signal -1
	s_barrier_wait -1
	s_barrier_signal -1
	s_barrier_wait -1
	s_and_saveexec_b32 s8, s1
; %bb.195:                              ;   in Loop: Header=BB37_3 Depth=1
	ds_store_b64 v67, v[36:37] offset:28544
; %bb.196:                              ;   in Loop: Header=BB37_3 Depth=1
	s_or_b32 exec_lo, exec_lo, s8
	s_wait_dscnt 0x0
	s_barrier_signal -1
	s_barrier_wait -1
	s_barrier_signal -1
	s_barrier_wait -1
	s_and_saveexec_b32 s8, s10
; %bb.197:                              ;   in Loop: Header=BB37_3 Depth=1
	v_add_nc_u32_e64 v36, 0x6000, 0
	ds_store_2addr_b64 v36, v[26:27], v[26:27] offset0:178 offset1:243
; %bb.198:                              ;   in Loop: Header=BB37_3 Depth=1
	s_or_b32 exec_lo, exec_lo, s8
	v_mov_b64_e32 v[36:37], 0
	s_wait_dscnt 0x0
	s_barrier_signal -1
	s_barrier_wait -1
	global_wb scope:SCOPE_DEV
	s_wait_storecnt 0x0
	global_inv scope:SCOPE_DEV
	s_and_saveexec_b32 s8, s0
	s_cbranch_execz .LBB37_202
; %bb.199:                              ;   in Loop: Header=BB37_3 Depth=1
	ds_load_b64 v[36:37], v60 offset:25984
	ds_load_b64 v[38:39], v5 offset:26512
	s_wait_dscnt 0x0
	v_fma_f64 v[36:37], v[36:37], v[38:39], 0
	s_and_saveexec_b32 s29, s11
	s_cbranch_execz .LBB37_201
; %bb.200:                              ;   in Loop: Header=BB37_3 Depth=1
	ds_load_b64 v[38:39], v46 offset:26496
	ds_load_b64 v[40:41], v7 offset:26520
	s_wait_dscnt 0x0
	v_fmac_f64_e32 v[36:37], v[38:39], v[40:41]
.LBB37_201:                             ;   in Loop: Header=BB37_3 Depth=1
	s_or_b32 exec_lo, exec_lo, s29
.LBB37_202:                             ;   in Loop: Header=BB37_3 Depth=1
	s_delay_alu instid0(SALU_CYCLE_1)
	s_or_b32 exec_lo, exec_lo, s8
	s_and_saveexec_b32 s8, s104
; %bb.203:                              ;   in Loop: Header=BB37_3 Depth=1
	s_delay_alu instid0(VALU_DEP_1) | instskip(NEXT) | instid1(VALU_DEP_2)
	v_xor_b32_e32 v39, 0x80000000, v37
	v_mov_b32_e32 v38, v36
	ds_store_b64 v61, v[38:39]
; %bb.204:                              ;   in Loop: Header=BB37_3 Depth=1
	s_or_b32 exec_lo, exec_lo, s8
	s_wait_loadcnt_dscnt 0x0
	s_barrier_signal -1
	s_barrier_wait -1
	s_and_saveexec_b32 s8, vcc_hi
	s_cbranch_execz .LBB37_206
; %bb.205:                              ;   in Loop: Header=BB37_3 Depth=1
	ds_load_b64 v[38:39], v7 offset:25472
	ds_load_b64 v[40:41], v61
	s_wait_dscnt 0x0
	v_fma_f64 v[36:37], -v[38:39], v[40:41], v[36:37]
.LBB37_206:                             ;   in Loop: Header=BB37_3 Depth=1
	s_or_b32 exec_lo, exec_lo, s8
	s_barrier_signal -1
	s_barrier_wait -1
	s_and_saveexec_b32 s8, vcc_hi
; %bb.207:                              ;   in Loop: Header=BB37_3 Depth=1
	s_delay_alu instid0(VALU_DEP_1) | instskip(NEXT) | instid1(VALU_DEP_2)
	v_xor_b32_e32 v39, 0x80000000, v37
	v_mov_b32_e32 v38, v36
	ds_store_b64 v61, v[38:39]
; %bb.208:                              ;   in Loop: Header=BB37_3 Depth=1
	s_or_b32 exec_lo, exec_lo, s8
	s_wait_dscnt 0x0
	s_barrier_signal -1
	s_barrier_wait -1
	s_barrier_signal -1
	s_barrier_wait -1
	s_and_saveexec_b32 s8, s0
; %bb.209:                              ;   in Loop: Header=BB37_3 Depth=1
	ds_store_b64 v63, v[36:37] offset:26496
; %bb.210:                              ;   in Loop: Header=BB37_3 Depth=1
	s_or_b32 exec_lo, exec_lo, s8
	s_wait_dscnt 0x0
	s_barrier_signal -1
	s_barrier_wait -1
	s_barrier_signal -1
	s_barrier_wait -1
	s_and_saveexec_b32 s8, s10
; %bb.211:                              ;   in Loop: Header=BB37_3 Depth=1
	v_add_nc_u32_e64 v36, 0x6000, 0
	ds_store_2addr_b64 v36, v[26:27], v[26:27] offset0:48 offset1:113
; %bb.212:                              ;   in Loop: Header=BB37_3 Depth=1
	s_or_b32 exec_lo, exec_lo, s8
	v_mov_b64_e32 v[36:37], 0
	s_wait_dscnt 0x0
	s_barrier_signal -1
	s_barrier_wait -1
	global_wb scope:SCOPE_DEV
	s_wait_storecnt 0x0
	global_inv scope:SCOPE_DEV
	s_and_saveexec_b32 s8, s3
	s_cbranch_execz .LBB37_240
; %bb.213:                              ;   in Loop: Header=BB37_3 Depth=1
	ds_load_b64 v[36:37], v66 offset:24832
	ds_load_b64 v[38:39], v50 offset:32640
	s_wait_dscnt 0x0
	v_fma_f64 v[36:37], v[36:37], v[38:39], 0
	s_mov_b32 s29, exec_lo
	v_readlane_b32 s57, v86, 27
	s_and_b32 s57, s29, s57
	s_delay_alu instid0(SALU_CYCLE_1)
	s_mov_b32 exec_lo, s57
	s_cbranch_execz .LBB37_215
; %bb.214:                              ;   in Loop: Header=BB37_3 Depth=1
	ds_load_b64 v[38:39], v66 offset:25344
	ds_load_b64 v[40:41], v50 offset:32648
	s_wait_dscnt 0x0
	v_fmac_f64_e32 v[36:37], v[38:39], v[40:41]
.LBB37_215:                             ;   in Loop: Header=BB37_3 Depth=1
	s_or_b32 exec_lo, exec_lo, s29
	s_delay_alu instid0(SALU_CYCLE_1) | instskip(SKIP_2) | instid1(SALU_CYCLE_1)
	s_mov_b32 s29, exec_lo
	v_readlane_b32 s57, v86, 28
	s_and_b32 s57, s29, s57
	s_mov_b32 exec_lo, s57
	s_cbranch_execz .LBB37_217
; %bb.216:                              ;   in Loop: Header=BB37_3 Depth=1
	ds_load_b64 v[38:39], v66 offset:25856
	ds_load_b64 v[40:41], v50 offset:32656
	s_wait_dscnt 0x0
	v_fmac_f64_e32 v[36:37], v[38:39], v[40:41]
.LBB37_217:                             ;   in Loop: Header=BB37_3 Depth=1
	s_or_b32 exec_lo, exec_lo, s29
	s_delay_alu instid0(SALU_CYCLE_1) | instskip(SKIP_2) | instid1(SALU_CYCLE_1)
	s_mov_b32 s29, exec_lo
	v_readlane_b32 s57, v86, 29
	s_and_b32 s57, s29, s57
	;; [unrolled: 13-line block ×10, first 2 shown]
	s_mov_b32 exec_lo, s57
	s_cbranch_execnz .LBB37_1015
; %bb.234:                              ;   in Loop: Header=BB37_3 Depth=1
	s_or_b32 exec_lo, exec_lo, s29
	s_and_saveexec_b32 s29, s2
	s_cbranch_execnz .LBB37_1016
.LBB37_235:                             ;   in Loop: Header=BB37_3 Depth=1
	s_or_b32 exec_lo, exec_lo, s29
	s_and_saveexec_b32 s29, s15
	s_cbranch_execnz .LBB37_1017
.LBB37_236:                             ;   in Loop: Header=BB37_3 Depth=1
	s_or_b32 exec_lo, exec_lo, s29
	s_and_saveexec_b32 s29, s17
	s_cbranch_execnz .LBB37_1018
.LBB37_237:                             ;   in Loop: Header=BB37_3 Depth=1
	s_or_b32 exec_lo, exec_lo, s29
	s_and_saveexec_b32 s29, s1
	s_cbranch_execz .LBB37_239
.LBB37_238:                             ;   in Loop: Header=BB37_3 Depth=1
	ds_load_b64 v[38:39], v46 offset:32512
	ds_load_b64 v[40:41], v7 offset:32760
	s_wait_dscnt 0x0
	v_fmac_f64_e32 v[36:37], v[38:39], v[40:41]
.LBB37_239:                             ;   in Loop: Header=BB37_3 Depth=1
	s_or_b32 exec_lo, exec_lo, s29
.LBB37_240:                             ;   in Loop: Header=BB37_3 Depth=1
	s_delay_alu instid0(SALU_CYCLE_1) | instskip(NEXT) | instid1(SALU_CYCLE_1)
	s_or_b32 exec_lo, exec_lo, s8
	s_mov_b32 s8, exec_lo
	v_readlane_b32 s29, v86, 2
	s_and_b32 s29, s8, s29
	s_delay_alu instid0(SALU_CYCLE_1)
	s_mov_b32 exec_lo, s29
; %bb.241:                              ;   in Loop: Header=BB37_3 Depth=1
	v_xor_b32_e32 v39, 0x80000000, v37
	v_mov_b32_e32 v38, v36
	ds_store_b64 v70, v[38:39]
; %bb.242:                              ;   in Loop: Header=BB37_3 Depth=1
	s_or_b32 exec_lo, exec_lo, s8
	s_wait_loadcnt_dscnt 0x0
	s_barrier_signal -1
	s_barrier_wait -1
	s_mov_b32 s8, exec_lo
	v_readlane_b32 s29, v86, 3
	s_and_b32 s29, s8, s29
	s_delay_alu instid0(SALU_CYCLE_1)
	s_mov_b32 exec_lo, s29
	s_cbranch_execz .LBB37_244
; %bb.243:                              ;   in Loop: Header=BB37_3 Depth=1
	ds_load_b64 v[38:39], v66 offset:24320
	ds_load_b64 v[40:41], v70
	s_wait_dscnt 0x0
	v_fma_f64 v[36:37], -v[38:39], v[40:41], v[36:37]
.LBB37_244:                             ;   in Loop: Header=BB37_3 Depth=1
	s_or_b32 exec_lo, exec_lo, s8
	s_barrier_signal -1
	s_barrier_wait -1
	s_mov_b32 s8, exec_lo
	v_readlane_b32 s29, v86, 4
	s_and_b32 s29, s8, s29
	s_delay_alu instid0(SALU_CYCLE_1)
	s_mov_b32 exec_lo, s29
; %bb.245:                              ;   in Loop: Header=BB37_3 Depth=1
	v_xor_b32_e32 v39, 0x80000000, v37
	v_mov_b32_e32 v38, v36
	ds_store_b64 v70, v[38:39]
; %bb.246:                              ;   in Loop: Header=BB37_3 Depth=1
	s_or_b32 exec_lo, exec_lo, s8
	s_wait_dscnt 0x0
	s_barrier_signal -1
	s_barrier_wait -1
	s_mov_b32 s8, exec_lo
	v_readlane_b32 s29, v86, 5
	s_and_b32 s29, s8, s29
	s_delay_alu instid0(SALU_CYCLE_1)
	s_mov_b32 exec_lo, s29
	s_cbranch_execz .LBB37_248
; %bb.247:                              ;   in Loop: Header=BB37_3 Depth=1
	ds_load_b64 v[38:39], v66 offset:23808
	ds_load_b64 v[40:41], v70
	s_wait_dscnt 0x0
	v_fma_f64 v[36:37], -v[38:39], v[40:41], v[36:37]
.LBB37_248:                             ;   in Loop: Header=BB37_3 Depth=1
	s_or_b32 exec_lo, exec_lo, s8
	s_barrier_signal -1
	s_barrier_wait -1
	s_mov_b32 s8, exec_lo
	v_readlane_b32 s29, v86, 6
	s_and_b32 s29, s8, s29
	s_delay_alu instid0(SALU_CYCLE_1)
	s_mov_b32 exec_lo, s29
; %bb.249:                              ;   in Loop: Header=BB37_3 Depth=1
	v_xor_b32_e32 v39, 0x80000000, v37
	v_mov_b32_e32 v38, v36
	ds_store_b64 v70, v[38:39]
; %bb.250:                              ;   in Loop: Header=BB37_3 Depth=1
	s_or_b32 exec_lo, exec_lo, s8
	s_wait_dscnt 0x0
	;; [unrolled: 29-line block ×5, first 2 shown]
	s_barrier_signal -1
	s_barrier_wait -1
	s_mov_b32 s8, exec_lo
	v_readlane_b32 s29, v86, 13
	s_and_b32 s29, s8, s29
	s_delay_alu instid0(SALU_CYCLE_1)
	s_mov_b32 exec_lo, s29
	s_cbranch_execz .LBB37_264
; %bb.263:                              ;   in Loop: Header=BB37_3 Depth=1
	ds_load_b64 v[38:39], v66 offset:21760
	ds_load_b64 v[40:41], v70
	s_wait_dscnt 0x0
	v_fma_f64 v[36:37], -v[38:39], v[40:41], v[36:37]
.LBB37_264:                             ;   in Loop: Header=BB37_3 Depth=1
	s_or_b32 exec_lo, exec_lo, s8
	s_barrier_signal -1
	s_barrier_wait -1
	s_and_saveexec_b32 s8, s60
; %bb.265:                              ;   in Loop: Header=BB37_3 Depth=1
	s_delay_alu instid0(VALU_DEP_1) | instskip(NEXT) | instid1(VALU_DEP_2)
	v_xor_b32_e32 v39, 0x80000000, v37
	v_mov_b32_e32 v38, v36
	ds_store_b64 v70, v[38:39]
; %bb.266:                              ;   in Loop: Header=BB37_3 Depth=1
	s_or_b32 exec_lo, exec_lo, s8
	s_wait_dscnt 0x0
	s_barrier_signal -1
	s_barrier_wait -1
	s_and_saveexec_b32 s8, s61
	s_cbranch_execz .LBB37_268
; %bb.267:                              ;   in Loop: Header=BB37_3 Depth=1
	ds_load_b64 v[38:39], v66 offset:21248
	ds_load_b64 v[40:41], v70
	s_wait_dscnt 0x0
	v_fma_f64 v[36:37], -v[38:39], v[40:41], v[36:37]
.LBB37_268:                             ;   in Loop: Header=BB37_3 Depth=1
	s_or_b32 exec_lo, exec_lo, s8
	s_barrier_signal -1
	s_barrier_wait -1
	s_and_saveexec_b32 s8, s62
; %bb.269:                              ;   in Loop: Header=BB37_3 Depth=1
	s_delay_alu instid0(VALU_DEP_1) | instskip(NEXT) | instid1(VALU_DEP_2)
	v_xor_b32_e32 v39, 0x80000000, v37
	v_mov_b32_e32 v38, v36
	ds_store_b64 v70, v[38:39]
; %bb.270:                              ;   in Loop: Header=BB37_3 Depth=1
	s_or_b32 exec_lo, exec_lo, s8
	s_wait_dscnt 0x0
	s_barrier_signal -1
	s_barrier_wait -1
	s_and_saveexec_b32 s8, s63
	s_cbranch_execz .LBB37_272
; %bb.271:                              ;   in Loop: Header=BB37_3 Depth=1
	ds_load_b64 v[38:39], v66 offset:20736
	ds_load_b64 v[40:41], v70
	s_wait_dscnt 0x0
	v_fma_f64 v[36:37], -v[38:39], v[40:41], v[36:37]
.LBB37_272:                             ;   in Loop: Header=BB37_3 Depth=1
	s_or_b32 exec_lo, exec_lo, s8
	s_barrier_signal -1
	s_barrier_wait -1
	s_and_saveexec_b32 s8, s9
; %bb.273:                              ;   in Loop: Header=BB37_3 Depth=1
	s_delay_alu instid0(VALU_DEP_1) | instskip(NEXT) | instid1(VALU_DEP_2)
	v_xor_b32_e32 v39, 0x80000000, v37
	v_mov_b32_e32 v38, v36
	ds_store_b64 v70, v[38:39]
; %bb.274:                              ;   in Loop: Header=BB37_3 Depth=1
	s_or_b32 exec_lo, exec_lo, s8
	s_wait_dscnt 0x0
	s_barrier_signal -1
	s_barrier_wait -1
	s_and_saveexec_b32 s8, s20
	s_cbranch_execz .LBB37_276
; %bb.275:                              ;   in Loop: Header=BB37_3 Depth=1
	ds_load_b64 v[38:39], v66 offset:20224
	ds_load_b64 v[40:41], v70
	s_wait_dscnt 0x0
	v_fma_f64 v[36:37], -v[38:39], v[40:41], v[36:37]
.LBB37_276:                             ;   in Loop: Header=BB37_3 Depth=1
	s_or_b32 exec_lo, exec_lo, s8
	s_barrier_signal -1
	s_barrier_wait -1
	s_and_saveexec_b32 s8, s22
; %bb.277:                              ;   in Loop: Header=BB37_3 Depth=1
	s_delay_alu instid0(VALU_DEP_1) | instskip(NEXT) | instid1(VALU_DEP_2)
	v_xor_b32_e32 v39, 0x80000000, v37
	v_mov_b32_e32 v38, v36
	ds_store_b64 v70, v[38:39]
; %bb.278:                              ;   in Loop: Header=BB37_3 Depth=1
	s_or_b32 exec_lo, exec_lo, s8
	s_wait_dscnt 0x0
	s_barrier_signal -1
	s_barrier_wait -1
	s_and_saveexec_b32 s8, s24
	s_cbranch_execz .LBB37_280
; %bb.279:                              ;   in Loop: Header=BB37_3 Depth=1
	ds_load_b64 v[38:39], v66 offset:19712
	ds_load_b64 v[40:41], v70
	s_wait_dscnt 0x0
	v_fma_f64 v[36:37], -v[38:39], v[40:41], v[36:37]
.LBB37_280:                             ;   in Loop: Header=BB37_3 Depth=1
	s_or_b32 exec_lo, exec_lo, s8
	s_barrier_signal -1
	s_barrier_wait -1
	s_and_saveexec_b32 s8, s26
; %bb.281:                              ;   in Loop: Header=BB37_3 Depth=1
	s_delay_alu instid0(VALU_DEP_1) | instskip(NEXT) | instid1(VALU_DEP_2)
	v_xor_b32_e32 v39, 0x80000000, v37
	v_mov_b32_e32 v38, v36
	ds_store_b64 v70, v[38:39]
; %bb.282:                              ;   in Loop: Header=BB37_3 Depth=1
	s_or_b32 exec_lo, exec_lo, s8
	s_wait_dscnt 0x0
	s_barrier_signal -1
	s_barrier_wait -1
	s_and_saveexec_b32 s8, s28
	s_cbranch_execz .LBB37_284
; %bb.283:                              ;   in Loop: Header=BB37_3 Depth=1
	ds_load_b64 v[38:39], v66 offset:19200
	ds_load_b64 v[40:41], v70
	s_wait_dscnt 0x0
	v_fma_f64 v[36:37], -v[38:39], v[40:41], v[36:37]
.LBB37_284:                             ;   in Loop: Header=BB37_3 Depth=1
	s_or_b32 exec_lo, exec_lo, s8
	s_barrier_signal -1
	s_barrier_wait -1
	s_and_saveexec_b32 s8, s98
; %bb.285:                              ;   in Loop: Header=BB37_3 Depth=1
	s_delay_alu instid0(VALU_DEP_1) | instskip(NEXT) | instid1(VALU_DEP_2)
	v_xor_b32_e32 v39, 0x80000000, v37
	v_mov_b32_e32 v38, v36
	ds_store_b64 v70, v[38:39]
; %bb.286:                              ;   in Loop: Header=BB37_3 Depth=1
	s_or_b32 exec_lo, exec_lo, s8
	s_wait_dscnt 0x0
	s_barrier_signal -1
	s_barrier_wait -1
	s_and_saveexec_b32 s8, s102
	s_cbranch_execz .LBB37_288
; %bb.287:                              ;   in Loop: Header=BB37_3 Depth=1
	ds_load_b64 v[38:39], v66 offset:18688
	ds_load_b64 v[40:41], v70
	s_wait_dscnt 0x0
	v_fma_f64 v[36:37], -v[38:39], v[40:41], v[36:37]
.LBB37_288:                             ;   in Loop: Header=BB37_3 Depth=1
	s_or_b32 exec_lo, exec_lo, s8
	s_barrier_signal -1
	s_barrier_wait -1
	s_and_saveexec_b32 s8, s52
; %bb.289:                              ;   in Loop: Header=BB37_3 Depth=1
	s_delay_alu instid0(VALU_DEP_1) | instskip(NEXT) | instid1(VALU_DEP_2)
	v_xor_b32_e32 v39, 0x80000000, v37
	v_mov_b32_e32 v38, v36
	ds_store_b64 v70, v[38:39]
; %bb.290:                              ;   in Loop: Header=BB37_3 Depth=1
	s_or_b32 exec_lo, exec_lo, s8
	s_wait_dscnt 0x0
	s_barrier_signal -1
	s_barrier_wait -1
	s_and_saveexec_b32 s8, s53
	s_cbranch_execz .LBB37_292
; %bb.291:                              ;   in Loop: Header=BB37_3 Depth=1
	ds_load_b64 v[38:39], v66 offset:18176
	ds_load_b64 v[40:41], v70
	s_wait_dscnt 0x0
	v_fma_f64 v[36:37], -v[38:39], v[40:41], v[36:37]
.LBB37_292:                             ;   in Loop: Header=BB37_3 Depth=1
	s_or_b32 exec_lo, exec_lo, s8
	s_barrier_signal -1
	s_barrier_wait -1
	s_and_saveexec_b32 s8, s54
; %bb.293:                              ;   in Loop: Header=BB37_3 Depth=1
	s_delay_alu instid0(VALU_DEP_1) | instskip(NEXT) | instid1(VALU_DEP_2)
	v_xor_b32_e32 v39, 0x80000000, v37
	v_mov_b32_e32 v38, v36
	ds_store_b64 v70, v[38:39]
; %bb.294:                              ;   in Loop: Header=BB37_3 Depth=1
	s_or_b32 exec_lo, exec_lo, s8
	s_wait_dscnt 0x0
	s_barrier_signal -1
	s_barrier_wait -1
	s_and_saveexec_b32 s8, s19
	s_cbranch_execz .LBB37_296
; %bb.295:                              ;   in Loop: Header=BB37_3 Depth=1
	ds_load_b64 v[38:39], v66 offset:17664
	ds_load_b64 v[40:41], v70
	s_wait_dscnt 0x0
	v_fma_f64 v[36:37], -v[38:39], v[40:41], v[36:37]
.LBB37_296:                             ;   in Loop: Header=BB37_3 Depth=1
	s_or_b32 exec_lo, exec_lo, s8
	s_barrier_signal -1
	s_barrier_wait -1
	s_and_saveexec_b32 s8, s23
; %bb.297:                              ;   in Loop: Header=BB37_3 Depth=1
	s_delay_alu instid0(VALU_DEP_1) | instskip(NEXT) | instid1(VALU_DEP_2)
	v_xor_b32_e32 v39, 0x80000000, v37
	v_mov_b32_e32 v38, v36
	ds_store_b64 v70, v[38:39]
; %bb.298:                              ;   in Loop: Header=BB37_3 Depth=1
	s_or_b32 exec_lo, exec_lo, s8
	s_wait_dscnt 0x0
	s_barrier_signal -1
	s_barrier_wait -1
	s_and_saveexec_b32 s8, s7
	s_cbranch_execz .LBB37_300
; %bb.299:                              ;   in Loop: Header=BB37_3 Depth=1
	ds_load_b64 v[38:39], v7 offset:17152
	ds_load_b64 v[40:41], v70
	s_wait_dscnt 0x0
	v_fma_f64 v[36:37], -v[38:39], v[40:41], v[36:37]
.LBB37_300:                             ;   in Loop: Header=BB37_3 Depth=1
	s_or_b32 exec_lo, exec_lo, s8
	s_barrier_signal -1
	s_barrier_wait -1
	s_and_saveexec_b32 s8, s7
; %bb.301:                              ;   in Loop: Header=BB37_3 Depth=1
	s_delay_alu instid0(VALU_DEP_1) | instskip(NEXT) | instid1(VALU_DEP_2)
	v_xor_b32_e32 v39, 0x80000000, v37
	v_mov_b32_e32 v38, v36
	ds_store_b64 v70, v[38:39]
; %bb.302:                              ;   in Loop: Header=BB37_3 Depth=1
	s_or_b32 exec_lo, exec_lo, s8
	s_wait_dscnt 0x0
	s_barrier_signal -1
	s_barrier_wait -1
	s_barrier_signal -1
	s_barrier_wait -1
	s_and_saveexec_b32 s8, s3
; %bb.303:                              ;   in Loop: Header=BB37_3 Depth=1
	ds_store_b64 v71, v[36:37] offset:32512
; %bb.304:                              ;   in Loop: Header=BB37_3 Depth=1
	s_or_b32 exec_lo, exec_lo, s8
	s_wait_dscnt 0x0
	s_barrier_signal -1
	s_barrier_wait -1
	s_barrier_signal -1
	s_barrier_wait -1
	s_and_saveexec_b32 s8, s10
; %bb.305:                              ;   in Loop: Header=BB37_3 Depth=1
	v_add_nc_u32_e64 v36, 0x5800, 0
	ds_store_2addr_b64 v36, v[26:27], v[26:27] offset0:174 offset1:239
; %bb.306:                              ;   in Loop: Header=BB37_3 Depth=1
	s_or_b32 exec_lo, exec_lo, s8
	v_mov_b64_e32 v[36:37], 0
	s_wait_dscnt 0x0
	s_barrier_signal -1
	s_barrier_wait -1
	global_wb scope:SCOPE_DEV
	s_wait_storecnt 0x0
	global_inv scope:SCOPE_DEV
	s_and_saveexec_b32 s8, s0
	s_cbranch_execz .LBB37_310
; %bb.307:                              ;   in Loop: Header=BB37_3 Depth=1
	ds_load_b64 v[36:37], v60 offset:23904
	ds_load_b64 v[38:39], v5 offset:24432
	s_wait_dscnt 0x0
	v_fma_f64 v[36:37], v[36:37], v[38:39], 0
	s_and_saveexec_b32 s29, s11
	s_cbranch_execz .LBB37_309
; %bb.308:                              ;   in Loop: Header=BB37_3 Depth=1
	ds_load_b64 v[38:39], v46 offset:24416
	ds_load_b64 v[40:41], v7 offset:24440
	s_wait_dscnt 0x0
	v_fmac_f64_e32 v[36:37], v[38:39], v[40:41]
.LBB37_309:                             ;   in Loop: Header=BB37_3 Depth=1
	s_or_b32 exec_lo, exec_lo, s29
.LBB37_310:                             ;   in Loop: Header=BB37_3 Depth=1
	s_delay_alu instid0(SALU_CYCLE_1)
	s_or_b32 exec_lo, exec_lo, s8
	s_and_saveexec_b32 s8, s104
; %bb.311:                              ;   in Loop: Header=BB37_3 Depth=1
	s_delay_alu instid0(VALU_DEP_1) | instskip(NEXT) | instid1(VALU_DEP_2)
	v_xor_b32_e32 v39, 0x80000000, v37
	v_mov_b32_e32 v38, v36
	ds_store_b64 v61, v[38:39]
; %bb.312:                              ;   in Loop: Header=BB37_3 Depth=1
	s_or_b32 exec_lo, exec_lo, s8
	s_wait_loadcnt_dscnt 0x0
	s_barrier_signal -1
	s_barrier_wait -1
	s_and_saveexec_b32 s8, vcc_hi
	s_cbranch_execz .LBB37_314
; %bb.313:                              ;   in Loop: Header=BB37_3 Depth=1
	ds_load_b64 v[38:39], v7 offset:23392
	ds_load_b64 v[40:41], v61
	s_wait_dscnt 0x0
	v_fma_f64 v[36:37], -v[38:39], v[40:41], v[36:37]
.LBB37_314:                             ;   in Loop: Header=BB37_3 Depth=1
	s_or_b32 exec_lo, exec_lo, s8
	s_barrier_signal -1
	s_barrier_wait -1
	s_and_saveexec_b32 s8, vcc_hi
; %bb.315:                              ;   in Loop: Header=BB37_3 Depth=1
	s_delay_alu instid0(VALU_DEP_1) | instskip(NEXT) | instid1(VALU_DEP_2)
	v_xor_b32_e32 v39, 0x80000000, v37
	v_mov_b32_e32 v38, v36
	ds_store_b64 v61, v[38:39]
; %bb.316:                              ;   in Loop: Header=BB37_3 Depth=1
	s_or_b32 exec_lo, exec_lo, s8
	s_wait_dscnt 0x0
	s_barrier_signal -1
	s_barrier_wait -1
	s_barrier_signal -1
	s_barrier_wait -1
	s_and_saveexec_b32 s8, s0
; %bb.317:                              ;   in Loop: Header=BB37_3 Depth=1
	ds_store_b64 v63, v[36:37] offset:24416
; %bb.318:                              ;   in Loop: Header=BB37_3 Depth=1
	s_or_b32 exec_lo, exec_lo, s8
	s_wait_dscnt 0x0
	s_barrier_signal -1
	s_barrier_wait -1
	s_barrier_signal -1
	s_barrier_wait -1
	s_and_saveexec_b32 s8, s10
; %bb.319:                              ;   in Loop: Header=BB37_3 Depth=1
	v_add_nc_u32_e64 v36, 0x5800, 0
	ds_store_2addr_b64 v36, v[26:27], v[26:27] offset0:44 offset1:109
; %bb.320:                              ;   in Loop: Header=BB37_3 Depth=1
	s_or_b32 exec_lo, exec_lo, s8
	v_mov_b64_e32 v[36:37], 0
	s_wait_dscnt 0x0
	s_barrier_signal -1
	s_barrier_wait -1
	global_wb scope:SCOPE_DEV
	s_wait_storecnt 0x0
	global_inv scope:SCOPE_DEV
	s_and_saveexec_b32 s8, s1
	s_cbranch_execz .LBB37_326
; %bb.321:                              ;   in Loop: Header=BB37_3 Depth=1
	ds_load_b64 v[36:37], v62 offset:22848
	ds_load_b64 v[38:39], v47 offset:24416
	s_wait_dscnt 0x0
	v_fma_f64 v[36:37], v[36:37], v[38:39], 0
	s_and_saveexec_b32 s29, s12
	s_cbranch_execnz .LBB37_1019
; %bb.322:                              ;   in Loop: Header=BB37_3 Depth=1
	s_or_b32 exec_lo, exec_lo, s29
	s_and_saveexec_b32 s29, s13
	s_cbranch_execnz .LBB37_1020
.LBB37_323:                             ;   in Loop: Header=BB37_3 Depth=1
	s_or_b32 exec_lo, exec_lo, s29
	s_and_saveexec_b32 s29, s0
	s_cbranch_execz .LBB37_325
.LBB37_324:                             ;   in Loop: Header=BB37_3 Depth=1
	ds_load_b64 v[38:39], v46 offset:24384
	ds_load_b64 v[40:41], v7 offset:24440
	s_wait_dscnt 0x0
	v_fmac_f64_e32 v[36:37], v[38:39], v[40:41]
.LBB37_325:                             ;   in Loop: Header=BB37_3 Depth=1
	s_or_b32 exec_lo, exec_lo, s29
.LBB37_326:                             ;   in Loop: Header=BB37_3 Depth=1
	s_delay_alu instid0(SALU_CYCLE_1)
	s_or_b32 exec_lo, exec_lo, s8
	s_and_saveexec_b32 s8, s31
; %bb.327:                              ;   in Loop: Header=BB37_3 Depth=1
	s_delay_alu instid0(VALU_DEP_1) | instskip(NEXT) | instid1(VALU_DEP_2)
	v_xor_b32_e32 v39, 0x80000000, v37
	v_mov_b32_e32 v38, v36
	ds_store_b64 v65, v[38:39]
; %bb.328:                              ;   in Loop: Header=BB37_3 Depth=1
	s_or_b32 exec_lo, exec_lo, s8
	s_wait_loadcnt_dscnt 0x0
	s_barrier_signal -1
	s_barrier_wait -1
	s_and_saveexec_b32 s8, s33
	s_cbranch_execz .LBB37_330
; %bb.329:                              ;   in Loop: Header=BB37_3 Depth=1
	ds_load_b64 v[38:39], v62 offset:22336
	ds_load_b64 v[40:41], v65
	s_wait_dscnt 0x0
	v_fma_f64 v[36:37], -v[38:39], v[40:41], v[36:37]
.LBB37_330:                             ;   in Loop: Header=BB37_3 Depth=1
	s_or_b32 exec_lo, exec_lo, s8
	s_barrier_signal -1
	s_barrier_wait -1
	s_and_saveexec_b32 s8, s34
; %bb.331:                              ;   in Loop: Header=BB37_3 Depth=1
	s_delay_alu instid0(VALU_DEP_1) | instskip(NEXT) | instid1(VALU_DEP_2)
	v_xor_b32_e32 v39, 0x80000000, v37
	v_mov_b32_e32 v38, v36
	ds_store_b64 v65, v[38:39]
; %bb.332:                              ;   in Loop: Header=BB37_3 Depth=1
	s_or_b32 exec_lo, exec_lo, s8
	s_wait_dscnt 0x0
	s_barrier_signal -1
	s_barrier_wait -1
	s_and_saveexec_b32 s8, s35
	s_cbranch_execz .LBB37_334
; %bb.333:                              ;   in Loop: Header=BB37_3 Depth=1
	ds_load_b64 v[38:39], v62 offset:21824
	ds_load_b64 v[40:41], v65
	s_wait_dscnt 0x0
	v_fma_f64 v[36:37], -v[38:39], v[40:41], v[36:37]
.LBB37_334:                             ;   in Loop: Header=BB37_3 Depth=1
	s_or_b32 exec_lo, exec_lo, s8
	s_barrier_signal -1
	s_barrier_wait -1
	s_and_saveexec_b32 s8, s36
; %bb.335:                              ;   in Loop: Header=BB37_3 Depth=1
	s_delay_alu instid0(VALU_DEP_1) | instskip(NEXT) | instid1(VALU_DEP_2)
	v_xor_b32_e32 v39, 0x80000000, v37
	v_mov_b32_e32 v38, v36
	ds_store_b64 v65, v[38:39]
; %bb.336:                              ;   in Loop: Header=BB37_3 Depth=1
	s_or_b32 exec_lo, exec_lo, s8
	s_wait_dscnt 0x0
	;; [unrolled: 22-line block ×3, first 2 shown]
	s_barrier_signal -1
	s_barrier_wait -1
	s_barrier_signal -1
	s_barrier_wait -1
	s_and_saveexec_b32 s8, s1
; %bb.341:                              ;   in Loop: Header=BB37_3 Depth=1
	ds_store_b64 v67, v[36:37] offset:24384
; %bb.342:                              ;   in Loop: Header=BB37_3 Depth=1
	s_or_b32 exec_lo, exec_lo, s8
	s_wait_dscnt 0x0
	s_barrier_signal -1
	s_barrier_wait -1
	s_barrier_signal -1
	s_barrier_wait -1
	s_and_saveexec_b32 s8, s10
; %bb.343:                              ;   in Loop: Header=BB37_3 Depth=1
	v_add_nc_u32_e64 v36, 0x5000, 0
	ds_store_2addr_b64 v36, v[26:27], v[26:27] offset0:170 offset1:235
; %bb.344:                              ;   in Loop: Header=BB37_3 Depth=1
	s_or_b32 exec_lo, exec_lo, s8
	v_mov_b64_e32 v[36:37], 0
	s_wait_dscnt 0x0
	s_barrier_signal -1
	s_barrier_wait -1
	global_wb scope:SCOPE_DEV
	s_wait_storecnt 0x0
	global_inv scope:SCOPE_DEV
	s_and_saveexec_b32 s8, s0
	s_cbranch_execz .LBB37_348
; %bb.345:                              ;   in Loop: Header=BB37_3 Depth=1
	ds_load_b64 v[36:37], v60 offset:21824
	ds_load_b64 v[38:39], v5 offset:22352
	s_wait_dscnt 0x0
	v_fma_f64 v[36:37], v[36:37], v[38:39], 0
	s_and_saveexec_b32 s29, s11
	s_cbranch_execz .LBB37_347
; %bb.346:                              ;   in Loop: Header=BB37_3 Depth=1
	ds_load_b64 v[38:39], v46 offset:22336
	ds_load_b64 v[40:41], v7 offset:22360
	s_wait_dscnt 0x0
	v_fmac_f64_e32 v[36:37], v[38:39], v[40:41]
.LBB37_347:                             ;   in Loop: Header=BB37_3 Depth=1
	s_or_b32 exec_lo, exec_lo, s29
.LBB37_348:                             ;   in Loop: Header=BB37_3 Depth=1
	s_delay_alu instid0(SALU_CYCLE_1)
	s_or_b32 exec_lo, exec_lo, s8
	s_and_saveexec_b32 s8, s104
; %bb.349:                              ;   in Loop: Header=BB37_3 Depth=1
	s_delay_alu instid0(VALU_DEP_1) | instskip(NEXT) | instid1(VALU_DEP_2)
	v_xor_b32_e32 v39, 0x80000000, v37
	v_mov_b32_e32 v38, v36
	ds_store_b64 v61, v[38:39]
; %bb.350:                              ;   in Loop: Header=BB37_3 Depth=1
	s_or_b32 exec_lo, exec_lo, s8
	s_wait_loadcnt_dscnt 0x0
	s_barrier_signal -1
	s_barrier_wait -1
	s_and_saveexec_b32 s8, vcc_hi
	s_cbranch_execz .LBB37_352
; %bb.351:                              ;   in Loop: Header=BB37_3 Depth=1
	ds_load_b64 v[38:39], v7 offset:21312
	ds_load_b64 v[40:41], v61
	s_wait_dscnt 0x0
	v_fma_f64 v[36:37], -v[38:39], v[40:41], v[36:37]
.LBB37_352:                             ;   in Loop: Header=BB37_3 Depth=1
	s_or_b32 exec_lo, exec_lo, s8
	s_barrier_signal -1
	s_barrier_wait -1
	s_and_saveexec_b32 s8, vcc_hi
; %bb.353:                              ;   in Loop: Header=BB37_3 Depth=1
	s_delay_alu instid0(VALU_DEP_1) | instskip(NEXT) | instid1(VALU_DEP_2)
	v_xor_b32_e32 v39, 0x80000000, v37
	v_mov_b32_e32 v38, v36
	ds_store_b64 v61, v[38:39]
; %bb.354:                              ;   in Loop: Header=BB37_3 Depth=1
	s_or_b32 exec_lo, exec_lo, s8
	s_wait_dscnt 0x0
	s_barrier_signal -1
	s_barrier_wait -1
	s_barrier_signal -1
	s_barrier_wait -1
	s_and_saveexec_b32 s8, s0
; %bb.355:                              ;   in Loop: Header=BB37_3 Depth=1
	ds_store_b64 v63, v[36:37] offset:22336
; %bb.356:                              ;   in Loop: Header=BB37_3 Depth=1
	s_or_b32 exec_lo, exec_lo, s8
	s_wait_dscnt 0x0
	s_barrier_signal -1
	s_barrier_wait -1
	s_barrier_signal -1
	s_barrier_wait -1
	s_and_saveexec_b32 s8, s10
; %bb.357:                              ;   in Loop: Header=BB37_3 Depth=1
	v_add_nc_u32_e64 v36, 0x5000, 0
	ds_store_2addr_b64 v36, v[26:27], v[26:27] offset0:40 offset1:105
; %bb.358:                              ;   in Loop: Header=BB37_3 Depth=1
	s_or_b32 exec_lo, exec_lo, s8
	v_mov_b64_e32 v[36:37], 0
	s_wait_dscnt 0x0
	s_barrier_signal -1
	s_barrier_wait -1
	global_wb scope:SCOPE_DEV
	s_wait_storecnt 0x0
	global_inv scope:SCOPE_DEV
	s_and_saveexec_b32 s8, s2
	s_cbranch_execz .LBB37_368
; %bb.359:                              ;   in Loop: Header=BB37_3 Depth=1
	ds_load_b64 v[36:37], v64 offset:20736
	ds_load_b64 v[38:39], v49 offset:24384
	s_wait_dscnt 0x0
	v_fma_f64 v[36:37], v[36:37], v[38:39], 0
	s_and_saveexec_b32 s29, s14
	s_cbranch_execnz .LBB37_1021
; %bb.360:                              ;   in Loop: Header=BB37_3 Depth=1
	s_or_b32 exec_lo, exec_lo, s29
	s_and_saveexec_b32 s29, s15
	s_cbranch_execnz .LBB37_1022
.LBB37_361:                             ;   in Loop: Header=BB37_3 Depth=1
	s_or_b32 exec_lo, exec_lo, s29
	s_and_saveexec_b32 s29, s16
	s_cbranch_execnz .LBB37_1023
.LBB37_362:                             ;   in Loop: Header=BB37_3 Depth=1
	s_or_b32 exec_lo, exec_lo, s29
	s_and_saveexec_b32 s29, s17
	s_cbranch_execnz .LBB37_1024
.LBB37_363:                             ;   in Loop: Header=BB37_3 Depth=1
	s_or_b32 exec_lo, exec_lo, s29
	s_and_saveexec_b32 s29, s18
	s_cbranch_execnz .LBB37_1025
.LBB37_364:                             ;   in Loop: Header=BB37_3 Depth=1
	s_or_b32 exec_lo, exec_lo, s29
	s_and_saveexec_b32 s29, s1
	s_cbranch_execnz .LBB37_1026
.LBB37_365:                             ;   in Loop: Header=BB37_3 Depth=1
	s_or_b32 exec_lo, exec_lo, s29
	s_and_saveexec_b32 s29, s13
	s_cbranch_execz .LBB37_367
.LBB37_366:                             ;   in Loop: Header=BB37_3 Depth=1
	ds_load_b64 v[38:39], v46 offset:24320
	ds_load_b64 v[40:41], v7 offset:24440
	s_wait_dscnt 0x0
	v_fmac_f64_e32 v[36:37], v[38:39], v[40:41]
.LBB37_367:                             ;   in Loop: Header=BB37_3 Depth=1
	s_or_b32 exec_lo, exec_lo, s29
.LBB37_368:                             ;   in Loop: Header=BB37_3 Depth=1
	s_delay_alu instid0(SALU_CYCLE_1)
	s_or_b32 exec_lo, exec_lo, s8
	s_and_saveexec_b32 s8, s38
; %bb.369:                              ;   in Loop: Header=BB37_3 Depth=1
	s_delay_alu instid0(VALU_DEP_1) | instskip(NEXT) | instid1(VALU_DEP_2)
	v_xor_b32_e32 v39, 0x80000000, v37
	v_mov_b32_e32 v38, v36
	ds_store_b64 v68, v[38:39]
; %bb.370:                              ;   in Loop: Header=BB37_3 Depth=1
	s_or_b32 exec_lo, exec_lo, s8
	s_wait_loadcnt_dscnt 0x0
	s_barrier_signal -1
	s_barrier_wait -1
	s_and_saveexec_b32 s8, s39
	s_cbranch_execz .LBB37_372
; %bb.371:                              ;   in Loop: Header=BB37_3 Depth=1
	ds_load_b64 v[38:39], v64 offset:20224
	ds_load_b64 v[40:41], v68
	s_wait_dscnt 0x0
	v_fma_f64 v[36:37], -v[38:39], v[40:41], v[36:37]
.LBB37_372:                             ;   in Loop: Header=BB37_3 Depth=1
	s_or_b32 exec_lo, exec_lo, s8
	s_barrier_signal -1
	s_barrier_wait -1
	s_and_saveexec_b32 s8, s40
; %bb.373:                              ;   in Loop: Header=BB37_3 Depth=1
	s_delay_alu instid0(VALU_DEP_1) | instskip(NEXT) | instid1(VALU_DEP_2)
	v_xor_b32_e32 v39, 0x80000000, v37
	v_mov_b32_e32 v38, v36
	ds_store_b64 v68, v[38:39]
; %bb.374:                              ;   in Loop: Header=BB37_3 Depth=1
	s_or_b32 exec_lo, exec_lo, s8
	s_wait_dscnt 0x0
	s_barrier_signal -1
	s_barrier_wait -1
	s_and_saveexec_b32 s8, s41
	s_cbranch_execz .LBB37_376
; %bb.375:                              ;   in Loop: Header=BB37_3 Depth=1
	ds_load_b64 v[38:39], v64 offset:19712
	ds_load_b64 v[40:41], v68
	s_wait_dscnt 0x0
	v_fma_f64 v[36:37], -v[38:39], v[40:41], v[36:37]
.LBB37_376:                             ;   in Loop: Header=BB37_3 Depth=1
	s_or_b32 exec_lo, exec_lo, s8
	s_barrier_signal -1
	s_barrier_wait -1
	s_and_saveexec_b32 s8, s42
; %bb.377:                              ;   in Loop: Header=BB37_3 Depth=1
	s_delay_alu instid0(VALU_DEP_1) | instskip(NEXT) | instid1(VALU_DEP_2)
	v_xor_b32_e32 v39, 0x80000000, v37
	v_mov_b32_e32 v38, v36
	ds_store_b64 v68, v[38:39]
; %bb.378:                              ;   in Loop: Header=BB37_3 Depth=1
	s_or_b32 exec_lo, exec_lo, s8
	s_wait_dscnt 0x0
	;; [unrolled: 22-line block ×7, first 2 shown]
	s_barrier_signal -1
	s_barrier_wait -1
	s_barrier_signal -1
	s_barrier_wait -1
	s_and_saveexec_b32 s8, s2
; %bb.399:                              ;   in Loop: Header=BB37_3 Depth=1
	ds_store_b64 v69, v[36:37] offset:24320
; %bb.400:                              ;   in Loop: Header=BB37_3 Depth=1
	s_or_b32 exec_lo, exec_lo, s8
	s_wait_dscnt 0x0
	s_barrier_signal -1
	s_barrier_wait -1
	s_barrier_signal -1
	s_barrier_wait -1
	s_and_saveexec_b32 s8, s10
; %bb.401:                              ;   in Loop: Header=BB37_3 Depth=1
	v_add_nc_u32_e64 v36, 0x4800, 0
	ds_store_2addr_b64 v36, v[26:27], v[26:27] offset0:166 offset1:231
; %bb.402:                              ;   in Loop: Header=BB37_3 Depth=1
	s_or_b32 exec_lo, exec_lo, s8
	v_mov_b64_e32 v[36:37], 0
	s_wait_dscnt 0x0
	s_barrier_signal -1
	s_barrier_wait -1
	global_wb scope:SCOPE_DEV
	s_wait_storecnt 0x0
	global_inv scope:SCOPE_DEV
	s_and_saveexec_b32 s8, s0
	s_cbranch_execz .LBB37_406
; %bb.403:                              ;   in Loop: Header=BB37_3 Depth=1
	ds_load_b64 v[36:37], v60 offset:19744
	ds_load_b64 v[38:39], v5 offset:20272
	s_wait_dscnt 0x0
	v_fma_f64 v[36:37], v[36:37], v[38:39], 0
	s_and_saveexec_b32 s29, s11
	s_cbranch_execz .LBB37_405
; %bb.404:                              ;   in Loop: Header=BB37_3 Depth=1
	ds_load_b64 v[38:39], v46 offset:20256
	ds_load_b64 v[40:41], v7 offset:20280
	s_wait_dscnt 0x0
	v_fmac_f64_e32 v[36:37], v[38:39], v[40:41]
.LBB37_405:                             ;   in Loop: Header=BB37_3 Depth=1
	s_or_b32 exec_lo, exec_lo, s29
.LBB37_406:                             ;   in Loop: Header=BB37_3 Depth=1
	s_delay_alu instid0(SALU_CYCLE_1)
	s_or_b32 exec_lo, exec_lo, s8
	s_and_saveexec_b32 s8, s104
; %bb.407:                              ;   in Loop: Header=BB37_3 Depth=1
	s_delay_alu instid0(VALU_DEP_1) | instskip(NEXT) | instid1(VALU_DEP_2)
	v_xor_b32_e32 v39, 0x80000000, v37
	v_mov_b32_e32 v38, v36
	ds_store_b64 v61, v[38:39]
; %bb.408:                              ;   in Loop: Header=BB37_3 Depth=1
	s_or_b32 exec_lo, exec_lo, s8
	s_wait_loadcnt_dscnt 0x0
	s_barrier_signal -1
	s_barrier_wait -1
	s_and_saveexec_b32 s8, vcc_hi
	s_cbranch_execz .LBB37_410
; %bb.409:                              ;   in Loop: Header=BB37_3 Depth=1
	ds_load_b64 v[38:39], v7 offset:19232
	ds_load_b64 v[40:41], v61
	s_wait_dscnt 0x0
	v_fma_f64 v[36:37], -v[38:39], v[40:41], v[36:37]
.LBB37_410:                             ;   in Loop: Header=BB37_3 Depth=1
	s_or_b32 exec_lo, exec_lo, s8
	s_barrier_signal -1
	s_barrier_wait -1
	s_and_saveexec_b32 s8, vcc_hi
; %bb.411:                              ;   in Loop: Header=BB37_3 Depth=1
	s_delay_alu instid0(VALU_DEP_1) | instskip(NEXT) | instid1(VALU_DEP_2)
	v_xor_b32_e32 v39, 0x80000000, v37
	v_mov_b32_e32 v38, v36
	ds_store_b64 v61, v[38:39]
; %bb.412:                              ;   in Loop: Header=BB37_3 Depth=1
	s_or_b32 exec_lo, exec_lo, s8
	s_wait_dscnt 0x0
	s_barrier_signal -1
	s_barrier_wait -1
	s_barrier_signal -1
	s_barrier_wait -1
	s_and_saveexec_b32 s8, s0
; %bb.413:                              ;   in Loop: Header=BB37_3 Depth=1
	ds_store_b64 v63, v[36:37] offset:20256
; %bb.414:                              ;   in Loop: Header=BB37_3 Depth=1
	s_or_b32 exec_lo, exec_lo, s8
	s_wait_dscnt 0x0
	s_barrier_signal -1
	s_barrier_wait -1
	s_barrier_signal -1
	s_barrier_wait -1
	s_and_saveexec_b32 s8, s10
; %bb.415:                              ;   in Loop: Header=BB37_3 Depth=1
	v_add_nc_u32_e64 v36, 0x4800, 0
	ds_store_2addr_b64 v36, v[26:27], v[26:27] offset0:36 offset1:101
; %bb.416:                              ;   in Loop: Header=BB37_3 Depth=1
	s_or_b32 exec_lo, exec_lo, s8
	v_mov_b64_e32 v[36:37], 0
	s_wait_dscnt 0x0
	s_barrier_signal -1
	s_barrier_wait -1
	global_wb scope:SCOPE_DEV
	s_wait_storecnt 0x0
	global_inv scope:SCOPE_DEV
	s_and_saveexec_b32 s8, s1
	s_cbranch_execz .LBB37_422
; %bb.417:                              ;   in Loop: Header=BB37_3 Depth=1
	ds_load_b64 v[36:37], v62 offset:18688
	ds_load_b64 v[38:39], v47 offset:20256
	s_wait_dscnt 0x0
	v_fma_f64 v[36:37], v[36:37], v[38:39], 0
	s_and_saveexec_b32 s29, s12
	s_cbranch_execnz .LBB37_1027
; %bb.418:                              ;   in Loop: Header=BB37_3 Depth=1
	s_or_b32 exec_lo, exec_lo, s29
	s_and_saveexec_b32 s29, s13
	s_cbranch_execnz .LBB37_1028
.LBB37_419:                             ;   in Loop: Header=BB37_3 Depth=1
	s_or_b32 exec_lo, exec_lo, s29
	s_and_saveexec_b32 s29, s0
	s_cbranch_execz .LBB37_421
.LBB37_420:                             ;   in Loop: Header=BB37_3 Depth=1
	ds_load_b64 v[38:39], v46 offset:20224
	ds_load_b64 v[40:41], v7 offset:20280
	s_wait_dscnt 0x0
	v_fmac_f64_e32 v[36:37], v[38:39], v[40:41]
.LBB37_421:                             ;   in Loop: Header=BB37_3 Depth=1
	s_or_b32 exec_lo, exec_lo, s29
.LBB37_422:                             ;   in Loop: Header=BB37_3 Depth=1
	s_delay_alu instid0(SALU_CYCLE_1)
	s_or_b32 exec_lo, exec_lo, s8
	s_and_saveexec_b32 s8, s31
; %bb.423:                              ;   in Loop: Header=BB37_3 Depth=1
	s_delay_alu instid0(VALU_DEP_1) | instskip(NEXT) | instid1(VALU_DEP_2)
	v_xor_b32_e32 v39, 0x80000000, v37
	v_mov_b32_e32 v38, v36
	ds_store_b64 v65, v[38:39]
; %bb.424:                              ;   in Loop: Header=BB37_3 Depth=1
	s_or_b32 exec_lo, exec_lo, s8
	s_wait_loadcnt_dscnt 0x0
	s_barrier_signal -1
	s_barrier_wait -1
	s_and_saveexec_b32 s8, s33
	s_cbranch_execz .LBB37_426
; %bb.425:                              ;   in Loop: Header=BB37_3 Depth=1
	ds_load_b64 v[38:39], v62 offset:18176
	ds_load_b64 v[40:41], v65
	s_wait_dscnt 0x0
	v_fma_f64 v[36:37], -v[38:39], v[40:41], v[36:37]
.LBB37_426:                             ;   in Loop: Header=BB37_3 Depth=1
	s_or_b32 exec_lo, exec_lo, s8
	s_barrier_signal -1
	s_barrier_wait -1
	s_and_saveexec_b32 s8, s34
; %bb.427:                              ;   in Loop: Header=BB37_3 Depth=1
	s_delay_alu instid0(VALU_DEP_1) | instskip(NEXT) | instid1(VALU_DEP_2)
	v_xor_b32_e32 v39, 0x80000000, v37
	v_mov_b32_e32 v38, v36
	ds_store_b64 v65, v[38:39]
; %bb.428:                              ;   in Loop: Header=BB37_3 Depth=1
	s_or_b32 exec_lo, exec_lo, s8
	s_wait_dscnt 0x0
	s_barrier_signal -1
	s_barrier_wait -1
	s_and_saveexec_b32 s8, s35
	s_cbranch_execz .LBB37_430
; %bb.429:                              ;   in Loop: Header=BB37_3 Depth=1
	ds_load_b64 v[38:39], v62 offset:17664
	ds_load_b64 v[40:41], v65
	s_wait_dscnt 0x0
	v_fma_f64 v[36:37], -v[38:39], v[40:41], v[36:37]
.LBB37_430:                             ;   in Loop: Header=BB37_3 Depth=1
	s_or_b32 exec_lo, exec_lo, s8
	s_barrier_signal -1
	s_barrier_wait -1
	s_and_saveexec_b32 s8, s36
; %bb.431:                              ;   in Loop: Header=BB37_3 Depth=1
	s_delay_alu instid0(VALU_DEP_1) | instskip(NEXT) | instid1(VALU_DEP_2)
	v_xor_b32_e32 v39, 0x80000000, v37
	v_mov_b32_e32 v38, v36
	ds_store_b64 v65, v[38:39]
; %bb.432:                              ;   in Loop: Header=BB37_3 Depth=1
	s_or_b32 exec_lo, exec_lo, s8
	s_wait_dscnt 0x0
	;; [unrolled: 22-line block ×3, first 2 shown]
	s_barrier_signal -1
	s_barrier_wait -1
	s_barrier_signal -1
	s_barrier_wait -1
	s_and_saveexec_b32 s8, s1
; %bb.437:                              ;   in Loop: Header=BB37_3 Depth=1
	ds_store_b64 v67, v[36:37] offset:20224
; %bb.438:                              ;   in Loop: Header=BB37_3 Depth=1
	s_or_b32 exec_lo, exec_lo, s8
	s_wait_dscnt 0x0
	s_barrier_signal -1
	s_barrier_wait -1
	s_barrier_signal -1
	s_barrier_wait -1
	s_and_saveexec_b32 s8, s10
; %bb.439:                              ;   in Loop: Header=BB37_3 Depth=1
	v_add_nc_u32_e64 v36, 0x4000, 0
	ds_store_2addr_b64 v36, v[26:27], v[26:27] offset0:162 offset1:227
; %bb.440:                              ;   in Loop: Header=BB37_3 Depth=1
	s_or_b32 exec_lo, exec_lo, s8
	v_mov_b64_e32 v[36:37], 0
	s_wait_dscnt 0x0
	s_barrier_signal -1
	s_barrier_wait -1
	global_wb scope:SCOPE_DEV
	s_wait_storecnt 0x0
	global_inv scope:SCOPE_DEV
	s_and_saveexec_b32 s8, s0
	s_cbranch_execz .LBB37_444
; %bb.441:                              ;   in Loop: Header=BB37_3 Depth=1
	ds_load_b64 v[36:37], v60 offset:17664
	ds_load_b64 v[38:39], v5 offset:18192
	s_wait_dscnt 0x0
	v_fma_f64 v[36:37], v[36:37], v[38:39], 0
	s_and_saveexec_b32 s29, s11
	s_cbranch_execz .LBB37_443
; %bb.442:                              ;   in Loop: Header=BB37_3 Depth=1
	ds_load_b64 v[38:39], v46 offset:18176
	ds_load_b64 v[40:41], v7 offset:18200
	s_wait_dscnt 0x0
	v_fmac_f64_e32 v[36:37], v[38:39], v[40:41]
.LBB37_443:                             ;   in Loop: Header=BB37_3 Depth=1
	s_or_b32 exec_lo, exec_lo, s29
.LBB37_444:                             ;   in Loop: Header=BB37_3 Depth=1
	s_delay_alu instid0(SALU_CYCLE_1)
	s_or_b32 exec_lo, exec_lo, s8
	s_and_saveexec_b32 s8, s104
; %bb.445:                              ;   in Loop: Header=BB37_3 Depth=1
	s_delay_alu instid0(VALU_DEP_1) | instskip(NEXT) | instid1(VALU_DEP_2)
	v_xor_b32_e32 v39, 0x80000000, v37
	v_mov_b32_e32 v38, v36
	ds_store_b64 v61, v[38:39]
; %bb.446:                              ;   in Loop: Header=BB37_3 Depth=1
	s_or_b32 exec_lo, exec_lo, s8
	s_wait_loadcnt_dscnt 0x0
	s_barrier_signal -1
	s_barrier_wait -1
	s_and_saveexec_b32 s8, vcc_hi
	s_cbranch_execz .LBB37_448
; %bb.447:                              ;   in Loop: Header=BB37_3 Depth=1
	ds_load_b64 v[38:39], v7 offset:17152
	ds_load_b64 v[40:41], v61
	s_wait_dscnt 0x0
	v_fma_f64 v[36:37], -v[38:39], v[40:41], v[36:37]
.LBB37_448:                             ;   in Loop: Header=BB37_3 Depth=1
	s_or_b32 exec_lo, exec_lo, s8
	s_barrier_signal -1
	s_barrier_wait -1
	s_and_saveexec_b32 s8, vcc_hi
; %bb.449:                              ;   in Loop: Header=BB37_3 Depth=1
	s_delay_alu instid0(VALU_DEP_1) | instskip(NEXT) | instid1(VALU_DEP_2)
	v_xor_b32_e32 v39, 0x80000000, v37
	v_mov_b32_e32 v38, v36
	ds_store_b64 v61, v[38:39]
; %bb.450:                              ;   in Loop: Header=BB37_3 Depth=1
	s_or_b32 exec_lo, exec_lo, s8
	s_wait_dscnt 0x0
	s_barrier_signal -1
	s_barrier_wait -1
	s_barrier_signal -1
	s_barrier_wait -1
	s_and_saveexec_b32 s8, s0
; %bb.451:                              ;   in Loop: Header=BB37_3 Depth=1
	ds_store_b64 v63, v[36:37] offset:18176
; %bb.452:                              ;   in Loop: Header=BB37_3 Depth=1
	s_or_b32 exec_lo, exec_lo, s8
	s_wait_dscnt 0x0
	s_barrier_signal -1
	s_barrier_wait -1
	s_barrier_signal -1
	s_barrier_wait -1
	s_and_saveexec_b32 s8, s10
; %bb.453:                              ;   in Loop: Header=BB37_3 Depth=1
	v_add_nc_u32_e64 v36, 0x4000, 0
	ds_store_2addr_b64 v36, v[26:27], v[26:27] offset0:32 offset1:97
; %bb.454:                              ;   in Loop: Header=BB37_3 Depth=1
	s_or_b32 exec_lo, exec_lo, s8
	v_mov_b64_e32 v[36:37], 0
	s_wait_dscnt 0x0
	s_barrier_signal -1
	s_barrier_wait -1
	global_wb scope:SCOPE_DEV
	s_wait_storecnt 0x0
	global_inv scope:SCOPE_DEV
	s_and_saveexec_b32 s96, s30
	s_cbranch_execz .LBB37_516
; %bb.455:                              ;   in Loop: Header=BB37_3 Depth=1
	ds_load_b64 v[36:37], v51 offset:16384
	ds_load_b64 v[38:39], v52 offset:32512
	s_wait_dscnt 0x0
	v_fma_f64 v[36:37], v[36:37], v[38:39], 0
	s_mov_b32 s8, exec_lo
	v_readlane_b32 s29, v85, 6
	s_and_b32 s29, s8, s29
	s_delay_alu instid0(SALU_CYCLE_1)
	s_mov_b32 exec_lo, s29
	s_cbranch_execz .LBB37_457
; %bb.456:                              ;   in Loop: Header=BB37_3 Depth=1
	ds_load_b64 v[38:39], v51 offset:16896
	ds_load_b64 v[40:41], v52 offset:32520
	s_wait_dscnt 0x0
	v_fmac_f64_e32 v[36:37], v[38:39], v[40:41]
.LBB37_457:                             ;   in Loop: Header=BB37_3 Depth=1
	s_or_b32 exec_lo, exec_lo, s8
	s_delay_alu instid0(SALU_CYCLE_1) | instskip(SKIP_2) | instid1(SALU_CYCLE_1)
	s_mov_b32 s8, exec_lo
	v_readlane_b32 s29, v85, 7
	s_and_b32 s29, s8, s29
	s_mov_b32 exec_lo, s29
	s_cbranch_execz .LBB37_459
; %bb.458:                              ;   in Loop: Header=BB37_3 Depth=1
	ds_load_b64 v[38:39], v51 offset:17408
	ds_load_b64 v[40:41], v52 offset:32528
	s_wait_dscnt 0x0
	v_fmac_f64_e32 v[36:37], v[38:39], v[40:41]
.LBB37_459:                             ;   in Loop: Header=BB37_3 Depth=1
	s_or_b32 exec_lo, exec_lo, s8
	s_delay_alu instid0(SALU_CYCLE_1) | instskip(SKIP_2) | instid1(SALU_CYCLE_1)
	s_mov_b32 s8, exec_lo
	v_readlane_b32 s29, v85, 8
	s_and_b32 s29, s8, s29
	;; [unrolled: 13-line block ×22, first 2 shown]
	s_mov_b32 exec_lo, s29
	s_cbranch_execz .LBB37_501
; %bb.500:                              ;   in Loop: Header=BB37_3 Depth=1
	ds_load_b64 v[38:39], v51 offset:28160
	ds_load_b64 v[40:41], v52 offset:32696
	s_wait_dscnt 0x0
	v_fmac_f64_e32 v[36:37], v[38:39], v[40:41]
.LBB37_501:                             ;   in Loop: Header=BB37_3 Depth=1
	s_or_b32 exec_lo, exec_lo, s8
	s_and_saveexec_b32 s8, s3
	s_cbranch_execz .LBB37_503
; %bb.502:                              ;   in Loop: Header=BB37_3 Depth=1
	ds_load_b64 v[38:39], v51 offset:28672
	ds_load_b64 v[40:41], v52 offset:32704
	s_wait_dscnt 0x0
	v_fmac_f64_e32 v[36:37], v[38:39], v[40:41]
.LBB37_503:                             ;   in Loop: Header=BB37_3 Depth=1
	s_or_b32 exec_lo, exec_lo, s8
	s_delay_alu instid0(SALU_CYCLE_1) | instskip(SKIP_2) | instid1(SALU_CYCLE_1)
	s_mov_b32 s8, exec_lo
	v_readlane_b32 s29, v86, 28
	s_and_b32 s29, s8, s29
	s_mov_b32 exec_lo, s29
	s_cbranch_execz .LBB37_505
; %bb.504:                              ;   in Loop: Header=BB37_3 Depth=1
	ds_load_b64 v[38:39], v51 offset:29184
	ds_load_b64 v[40:41], v52 offset:32712
	s_wait_dscnt 0x0
	v_fmac_f64_e32 v[36:37], v[38:39], v[40:41]
.LBB37_505:                             ;   in Loop: Header=BB37_3 Depth=1
	s_or_b32 exec_lo, exec_lo, s8
	s_delay_alu instid0(SALU_CYCLE_1) | instskip(SKIP_2) | instid1(SALU_CYCLE_1)
	s_mov_b32 s8, exec_lo
	v_readlane_b32 s29, v86, 30
	s_and_b32 s29, s8, s29
	s_mov_b32 exec_lo, s29
	;; [unrolled: 13-line block ×5, first 2 shown]
	s_cbranch_execnz .LBB37_1029
; %bb.512:                              ;   in Loop: Header=BB37_3 Depth=1
	s_or_b32 exec_lo, exec_lo, s8
	s_and_saveexec_b32 s8, s2
	s_cbranch_execnz .LBB37_1030
.LBB37_513:                             ;   in Loop: Header=BB37_3 Depth=1
	s_or_b32 exec_lo, exec_lo, s8
	s_and_saveexec_b32 s8, s17
	s_delay_alu instid0(SALU_CYCLE_1)
	s_xor_b32 s8, exec_lo, s8
	s_cbranch_execz .LBB37_515
.LBB37_514:                             ;   in Loop: Header=BB37_3 Depth=1
	ds_load_b64 v[38:39], v46 offset:32256
	ds_load_b64 v[40:41], v7 offset:32760
	s_wait_dscnt 0x0
	v_fmac_f64_e32 v[36:37], v[38:39], v[40:41]
.LBB37_515:                             ;   in Loop: Header=BB37_3 Depth=1
	s_or_b32 exec_lo, exec_lo, s8
.LBB37_516:                             ;   in Loop: Header=BB37_3 Depth=1
	s_delay_alu instid0(SALU_CYCLE_1)
	s_or_b32 exec_lo, exec_lo, s96
	v_dual_mov_b32 v38, v76 :: v_dual_mov_b32 v39, v75
	s_mov_b32 s8, 31
	s_branch .LBB37_518
.LBB37_517:                             ;   in Loop: Header=BB37_518 Depth=2
	s_or_b32 exec_lo, exec_lo, s29
	v_add_nc_u32_e32 v39, 0xfffff800, v39
	v_add_nc_u32_e32 v38, 4, v38
	s_add_co_i32 s8, s8, -4
	s_cmp_eq_u32 s65, 0
	s_barrier_signal -1
	s_barrier_wait -1
	s_cbranch_scc1 .LBB37_534
.LBB37_518:                             ;   Parent Loop BB37_3 Depth=1
                                        ; =>  This Inner Loop Header: Depth=2
	s_delay_alu instid0(VALU_DEP_1) | instskip(SKIP_1) | instid1(SALU_CYCLE_1)
	v_cmp_eq_u32_e32 vcc_lo, 0, v38
	s_and_b32 s57, s6, vcc_lo
	s_and_saveexec_b32 s29, s57
; %bb.519:                              ;   in Loop: Header=BB37_518 Depth=2
	s_delay_alu instid0(VALU_DEP_3) | instskip(NEXT) | instid1(VALU_DEP_4)
	v_xor_b32_e32 v41, 0x80000000, v37
	v_mov_b32_e32 v40, v36
	ds_store_b64 v72, v[40:41]
; %bb.520:                              ;   in Loop: Header=BB37_518 Depth=2
	s_or_b32 exec_lo, exec_lo, s29
	v_cmp_gt_u32_e32 vcc_lo, s8, v48
	s_wait_loadcnt_dscnt 0x0
	s_barrier_signal -1
	s_barrier_wait -1
	s_and_b32 s57, s6, vcc_lo
	s_delay_alu instid0(SALU_CYCLE_1)
	s_and_saveexec_b32 s29, s57
	s_cbranch_execz .LBB37_522
; %bb.521:                              ;   in Loop: Header=BB37_518 Depth=2
	ds_load_b64 v[40:41], v39 offset:1536
	ds_load_b64 v[42:43], v72
	s_wait_dscnt 0x0
	v_fma_f64 v[36:37], -v[40:41], v[42:43], v[36:37]
.LBB37_522:                             ;   in Loop: Header=BB37_518 Depth=2
	s_or_b32 exec_lo, exec_lo, s29
	s_add_co_i32 s29, s8, -1
	s_delay_alu instid0(SALU_CYCLE_1) | instskip(SKIP_3) | instid1(SALU_CYCLE_1)
	v_cmp_eq_u32_e32 vcc_lo, s29, v48
	s_barrier_signal -1
	s_barrier_wait -1
	s_and_b32 s58, s6, vcc_lo
	s_and_saveexec_b32 s57, s58
; %bb.523:                              ;   in Loop: Header=BB37_518 Depth=2
	s_delay_alu instid0(VALU_DEP_2) | instskip(NEXT) | instid1(VALU_DEP_3)
	v_xor_b32_e32 v41, 0x80000000, v37
	v_mov_b32_e32 v40, v36
	ds_store_b64 v72, v[40:41]
; %bb.524:                              ;   in Loop: Header=BB37_518 Depth=2
	s_or_b32 exec_lo, exec_lo, s57
	v_cmp_gt_u32_e32 vcc_lo, s29, v48
	s_wait_dscnt 0x0
	s_barrier_signal -1
	s_barrier_wait -1
	s_and_b32 s57, s6, vcc_lo
	s_delay_alu instid0(SALU_CYCLE_1)
	s_and_saveexec_b32 s29, s57
	s_cbranch_execz .LBB37_526
; %bb.525:                              ;   in Loop: Header=BB37_518 Depth=2
	ds_load_b64 v[40:41], v39 offset:1024
	ds_load_b64 v[42:43], v72
	s_wait_dscnt 0x0
	v_fma_f64 v[36:37], -v[40:41], v[42:43], v[36:37]
.LBB37_526:                             ;   in Loop: Header=BB37_518 Depth=2
	s_or_b32 exec_lo, exec_lo, s29
	s_add_co_i32 s29, s8, -2
	s_delay_alu instid0(SALU_CYCLE_1) | instskip(SKIP_3) | instid1(SALU_CYCLE_1)
	v_cmp_eq_u32_e32 vcc_lo, s29, v48
	s_barrier_signal -1
	s_barrier_wait -1
	s_and_b32 s58, s6, vcc_lo
	s_and_saveexec_b32 s57, s58
; %bb.527:                              ;   in Loop: Header=BB37_518 Depth=2
	s_delay_alu instid0(VALU_DEP_2) | instskip(NEXT) | instid1(VALU_DEP_3)
	v_xor_b32_e32 v41, 0x80000000, v37
	v_mov_b32_e32 v40, v36
	ds_store_b64 v72, v[40:41]
; %bb.528:                              ;   in Loop: Header=BB37_518 Depth=2
	s_or_b32 exec_lo, exec_lo, s57
	v_cmp_gt_u32_e32 vcc_lo, s29, v48
	s_wait_dscnt 0x0
	;; [unrolled: 29-line block ×3, first 2 shown]
	s_barrier_signal -1
	s_barrier_wait -1
	s_and_b32 s57, s6, vcc_lo
	s_delay_alu instid0(SALU_CYCLE_1)
	s_and_saveexec_b32 s29, s57
	s_cbranch_execz .LBB37_517
; %bb.533:                              ;   in Loop: Header=BB37_518 Depth=2
	ds_load_b64 v[40:41], v39
	ds_load_b64 v[42:43], v72
	s_wait_dscnt 0x0
	v_fma_f64 v[36:37], -v[40:41], v[42:43], v[36:37]
	s_branch .LBB37_517
.LBB37_534:                             ;   in Loop: Header=BB37_3 Depth=1
	s_and_saveexec_b32 s8, s30
; %bb.535:                              ;   in Loop: Header=BB37_3 Depth=1
	ds_store_b64 v73, v[36:37] offset:32256
; %bb.536:                              ;   in Loop: Header=BB37_3 Depth=1
	s_or_b32 exec_lo, exec_lo, s8
	s_wait_dscnt 0x0
	s_barrier_signal -1
	s_barrier_wait -1
	s_barrier_signal -1
	s_barrier_wait -1
	s_and_saveexec_b32 s8, s10
; %bb.537:                              ;   in Loop: Header=BB37_3 Depth=1
	v_add_nc_u32_e64 v36, 0x3800, 0
	ds_store_2addr_b64 v36, v[26:27], v[26:27] offset0:158 offset1:223
; %bb.538:                              ;   in Loop: Header=BB37_3 Depth=1
	s_or_b32 exec_lo, exec_lo, s8
	v_mov_b64_e32 v[36:37], 0
	s_wait_dscnt 0x0
	s_barrier_signal -1
	s_barrier_wait -1
	global_wb scope:SCOPE_DEV
	s_wait_storecnt 0x0
	global_inv scope:SCOPE_DEV
	s_and_saveexec_b32 s8, s0
	s_cbranch_execz .LBB37_542
; %bb.539:                              ;   in Loop: Header=BB37_3 Depth=1
	ds_load_b64 v[36:37], v60 offset:15584
	ds_load_b64 v[38:39], v5 offset:16112
	s_wait_dscnt 0x0
	v_fma_f64 v[36:37], v[36:37], v[38:39], 0
	s_and_saveexec_b32 s29, s11
	s_cbranch_execz .LBB37_541
; %bb.540:                              ;   in Loop: Header=BB37_3 Depth=1
	ds_load_b64 v[38:39], v46 offset:16096
	ds_load_b64 v[40:41], v7 offset:16120
	s_wait_dscnt 0x0
	v_fmac_f64_e32 v[36:37], v[38:39], v[40:41]
.LBB37_541:                             ;   in Loop: Header=BB37_3 Depth=1
	s_or_b32 exec_lo, exec_lo, s29
.LBB37_542:                             ;   in Loop: Header=BB37_3 Depth=1
	s_delay_alu instid0(SALU_CYCLE_1)
	s_or_b32 exec_lo, exec_lo, s8
	s_and_saveexec_b32 s8, s104
; %bb.543:                              ;   in Loop: Header=BB37_3 Depth=1
	s_delay_alu instid0(VALU_DEP_1) | instskip(NEXT) | instid1(VALU_DEP_2)
	v_xor_b32_e32 v39, 0x80000000, v37
	v_mov_b32_e32 v38, v36
	ds_store_b64 v61, v[38:39]
; %bb.544:                              ;   in Loop: Header=BB37_3 Depth=1
	s_or_b32 exec_lo, exec_lo, s8
	s_wait_loadcnt_dscnt 0x0
	s_barrier_signal -1
	s_barrier_wait -1
	s_and_saveexec_b32 s8, vcc_hi
	s_cbranch_execz .LBB37_546
; %bb.545:                              ;   in Loop: Header=BB37_3 Depth=1
	ds_load_b64 v[38:39], v7 offset:15072
	ds_load_b64 v[40:41], v61
	s_wait_dscnt 0x0
	v_fma_f64 v[36:37], -v[38:39], v[40:41], v[36:37]
.LBB37_546:                             ;   in Loop: Header=BB37_3 Depth=1
	s_or_b32 exec_lo, exec_lo, s8
	s_barrier_signal -1
	s_barrier_wait -1
	s_and_saveexec_b32 s8, vcc_hi
; %bb.547:                              ;   in Loop: Header=BB37_3 Depth=1
	s_delay_alu instid0(VALU_DEP_1) | instskip(NEXT) | instid1(VALU_DEP_2)
	v_xor_b32_e32 v39, 0x80000000, v37
	v_mov_b32_e32 v38, v36
	ds_store_b64 v61, v[38:39]
; %bb.548:                              ;   in Loop: Header=BB37_3 Depth=1
	s_or_b32 exec_lo, exec_lo, s8
	s_wait_dscnt 0x0
	s_barrier_signal -1
	s_barrier_wait -1
	s_barrier_signal -1
	s_barrier_wait -1
	s_and_saveexec_b32 s8, s0
; %bb.549:                              ;   in Loop: Header=BB37_3 Depth=1
	ds_store_b64 v63, v[36:37] offset:16096
; %bb.550:                              ;   in Loop: Header=BB37_3 Depth=1
	s_or_b32 exec_lo, exec_lo, s8
	s_wait_dscnt 0x0
	s_barrier_signal -1
	s_barrier_wait -1
	s_barrier_signal -1
	s_barrier_wait -1
	s_and_saveexec_b32 s8, s10
; %bb.551:                              ;   in Loop: Header=BB37_3 Depth=1
	v_add_nc_u32_e64 v36, 0x3800, 0
	ds_store_2addr_b64 v36, v[26:27], v[26:27] offset0:28 offset1:93
; %bb.552:                              ;   in Loop: Header=BB37_3 Depth=1
	s_or_b32 exec_lo, exec_lo, s8
	v_mov_b64_e32 v[36:37], 0
	s_wait_dscnt 0x0
	s_barrier_signal -1
	s_barrier_wait -1
	global_wb scope:SCOPE_DEV
	s_wait_storecnt 0x0
	global_inv scope:SCOPE_DEV
	s_and_saveexec_b32 s8, s1
	s_cbranch_execz .LBB37_558
; %bb.553:                              ;   in Loop: Header=BB37_3 Depth=1
	ds_load_b64 v[36:37], v62 offset:14528
	ds_load_b64 v[38:39], v47 offset:16096
	s_wait_dscnt 0x0
	v_fma_f64 v[36:37], v[36:37], v[38:39], 0
	s_and_saveexec_b32 s29, s12
	s_cbranch_execnz .LBB37_1031
; %bb.554:                              ;   in Loop: Header=BB37_3 Depth=1
	s_or_b32 exec_lo, exec_lo, s29
	s_and_saveexec_b32 s29, s13
	s_cbranch_execnz .LBB37_1032
.LBB37_555:                             ;   in Loop: Header=BB37_3 Depth=1
	s_or_b32 exec_lo, exec_lo, s29
	s_and_saveexec_b32 s29, s0
	s_cbranch_execz .LBB37_557
.LBB37_556:                             ;   in Loop: Header=BB37_3 Depth=1
	ds_load_b64 v[38:39], v46 offset:16064
	ds_load_b64 v[40:41], v7 offset:16120
	s_wait_dscnt 0x0
	v_fmac_f64_e32 v[36:37], v[38:39], v[40:41]
.LBB37_557:                             ;   in Loop: Header=BB37_3 Depth=1
	s_or_b32 exec_lo, exec_lo, s29
.LBB37_558:                             ;   in Loop: Header=BB37_3 Depth=1
	s_delay_alu instid0(SALU_CYCLE_1)
	s_or_b32 exec_lo, exec_lo, s8
	s_and_saveexec_b32 s8, s31
; %bb.559:                              ;   in Loop: Header=BB37_3 Depth=1
	s_delay_alu instid0(VALU_DEP_1) | instskip(NEXT) | instid1(VALU_DEP_2)
	v_xor_b32_e32 v39, 0x80000000, v37
	v_mov_b32_e32 v38, v36
	ds_store_b64 v65, v[38:39]
; %bb.560:                              ;   in Loop: Header=BB37_3 Depth=1
	s_or_b32 exec_lo, exec_lo, s8
	s_wait_loadcnt_dscnt 0x0
	s_barrier_signal -1
	s_barrier_wait -1
	s_and_saveexec_b32 s8, s33
	s_cbranch_execz .LBB37_562
; %bb.561:                              ;   in Loop: Header=BB37_3 Depth=1
	ds_load_b64 v[38:39], v62 offset:14016
	ds_load_b64 v[40:41], v65
	s_wait_dscnt 0x0
	v_fma_f64 v[36:37], -v[38:39], v[40:41], v[36:37]
.LBB37_562:                             ;   in Loop: Header=BB37_3 Depth=1
	s_or_b32 exec_lo, exec_lo, s8
	s_barrier_signal -1
	s_barrier_wait -1
	s_and_saveexec_b32 s8, s34
; %bb.563:                              ;   in Loop: Header=BB37_3 Depth=1
	s_delay_alu instid0(VALU_DEP_1) | instskip(NEXT) | instid1(VALU_DEP_2)
	v_xor_b32_e32 v39, 0x80000000, v37
	v_mov_b32_e32 v38, v36
	ds_store_b64 v65, v[38:39]
; %bb.564:                              ;   in Loop: Header=BB37_3 Depth=1
	s_or_b32 exec_lo, exec_lo, s8
	s_wait_dscnt 0x0
	s_barrier_signal -1
	s_barrier_wait -1
	s_and_saveexec_b32 s8, s35
	s_cbranch_execz .LBB37_566
; %bb.565:                              ;   in Loop: Header=BB37_3 Depth=1
	ds_load_b64 v[38:39], v62 offset:13504
	ds_load_b64 v[40:41], v65
	s_wait_dscnt 0x0
	v_fma_f64 v[36:37], -v[38:39], v[40:41], v[36:37]
.LBB37_566:                             ;   in Loop: Header=BB37_3 Depth=1
	s_or_b32 exec_lo, exec_lo, s8
	s_barrier_signal -1
	s_barrier_wait -1
	s_and_saveexec_b32 s8, s36
; %bb.567:                              ;   in Loop: Header=BB37_3 Depth=1
	s_delay_alu instid0(VALU_DEP_1) | instskip(NEXT) | instid1(VALU_DEP_2)
	v_xor_b32_e32 v39, 0x80000000, v37
	v_mov_b32_e32 v38, v36
	ds_store_b64 v65, v[38:39]
; %bb.568:                              ;   in Loop: Header=BB37_3 Depth=1
	s_or_b32 exec_lo, exec_lo, s8
	s_wait_dscnt 0x0
	;; [unrolled: 22-line block ×3, first 2 shown]
	s_barrier_signal -1
	s_barrier_wait -1
	s_barrier_signal -1
	s_barrier_wait -1
	s_and_saveexec_b32 s8, s1
; %bb.573:                              ;   in Loop: Header=BB37_3 Depth=1
	ds_store_b64 v67, v[36:37] offset:16064
; %bb.574:                              ;   in Loop: Header=BB37_3 Depth=1
	s_or_b32 exec_lo, exec_lo, s8
	s_wait_dscnt 0x0
	s_barrier_signal -1
	s_barrier_wait -1
	s_barrier_signal -1
	s_barrier_wait -1
	s_and_saveexec_b32 s8, s10
; %bb.575:                              ;   in Loop: Header=BB37_3 Depth=1
	v_add_nc_u32_e64 v36, 0x3000, 0
	ds_store_2addr_b64 v36, v[26:27], v[26:27] offset0:154 offset1:219
; %bb.576:                              ;   in Loop: Header=BB37_3 Depth=1
	s_or_b32 exec_lo, exec_lo, s8
	v_mov_b64_e32 v[36:37], 0
	s_wait_dscnt 0x0
	s_barrier_signal -1
	s_barrier_wait -1
	global_wb scope:SCOPE_DEV
	s_wait_storecnt 0x0
	global_inv scope:SCOPE_DEV
	s_and_saveexec_b32 s8, s0
	s_cbranch_execz .LBB37_580
; %bb.577:                              ;   in Loop: Header=BB37_3 Depth=1
	ds_load_b64 v[36:37], v60 offset:13504
	ds_load_b64 v[38:39], v5 offset:14032
	s_wait_dscnt 0x0
	v_fma_f64 v[36:37], v[36:37], v[38:39], 0
	s_and_saveexec_b32 s29, s11
	s_cbranch_execz .LBB37_579
; %bb.578:                              ;   in Loop: Header=BB37_3 Depth=1
	ds_load_b64 v[38:39], v46 offset:14016
	ds_load_b64 v[40:41], v7 offset:14040
	s_wait_dscnt 0x0
	v_fmac_f64_e32 v[36:37], v[38:39], v[40:41]
.LBB37_579:                             ;   in Loop: Header=BB37_3 Depth=1
	s_or_b32 exec_lo, exec_lo, s29
.LBB37_580:                             ;   in Loop: Header=BB37_3 Depth=1
	s_delay_alu instid0(SALU_CYCLE_1)
	s_or_b32 exec_lo, exec_lo, s8
	s_and_saveexec_b32 s8, s104
; %bb.581:                              ;   in Loop: Header=BB37_3 Depth=1
	s_delay_alu instid0(VALU_DEP_1) | instskip(NEXT) | instid1(VALU_DEP_2)
	v_xor_b32_e32 v39, 0x80000000, v37
	v_mov_b32_e32 v38, v36
	ds_store_b64 v61, v[38:39]
; %bb.582:                              ;   in Loop: Header=BB37_3 Depth=1
	s_or_b32 exec_lo, exec_lo, s8
	s_wait_loadcnt_dscnt 0x0
	s_barrier_signal -1
	s_barrier_wait -1
	s_and_saveexec_b32 s8, vcc_hi
	s_cbranch_execz .LBB37_584
; %bb.583:                              ;   in Loop: Header=BB37_3 Depth=1
	ds_load_b64 v[38:39], v7 offset:12992
	ds_load_b64 v[40:41], v61
	s_wait_dscnt 0x0
	v_fma_f64 v[36:37], -v[38:39], v[40:41], v[36:37]
.LBB37_584:                             ;   in Loop: Header=BB37_3 Depth=1
	s_or_b32 exec_lo, exec_lo, s8
	s_barrier_signal -1
	s_barrier_wait -1
	s_and_saveexec_b32 s8, vcc_hi
; %bb.585:                              ;   in Loop: Header=BB37_3 Depth=1
	s_delay_alu instid0(VALU_DEP_1) | instskip(NEXT) | instid1(VALU_DEP_2)
	v_xor_b32_e32 v39, 0x80000000, v37
	v_mov_b32_e32 v38, v36
	ds_store_b64 v61, v[38:39]
; %bb.586:                              ;   in Loop: Header=BB37_3 Depth=1
	s_or_b32 exec_lo, exec_lo, s8
	s_wait_dscnt 0x0
	s_barrier_signal -1
	s_barrier_wait -1
	s_barrier_signal -1
	s_barrier_wait -1
	s_and_saveexec_b32 s8, s0
; %bb.587:                              ;   in Loop: Header=BB37_3 Depth=1
	ds_store_b64 v63, v[36:37] offset:14016
; %bb.588:                              ;   in Loop: Header=BB37_3 Depth=1
	s_or_b32 exec_lo, exec_lo, s8
	s_wait_dscnt 0x0
	s_barrier_signal -1
	s_barrier_wait -1
	s_barrier_signal -1
	s_barrier_wait -1
	s_and_saveexec_b32 s8, s10
; %bb.589:                              ;   in Loop: Header=BB37_3 Depth=1
	v_add_nc_u32_e64 v36, 0x3000, 0
	ds_store_2addr_b64 v36, v[26:27], v[26:27] offset0:24 offset1:89
; %bb.590:                              ;   in Loop: Header=BB37_3 Depth=1
	s_or_b32 exec_lo, exec_lo, s8
	v_mov_b64_e32 v[36:37], 0
	s_wait_dscnt 0x0
	s_barrier_signal -1
	s_barrier_wait -1
	global_wb scope:SCOPE_DEV
	s_wait_storecnt 0x0
	global_inv scope:SCOPE_DEV
	s_and_saveexec_b32 s8, s2
	s_cbranch_execz .LBB37_600
; %bb.591:                              ;   in Loop: Header=BB37_3 Depth=1
	ds_load_b64 v[36:37], v64 offset:12416
	ds_load_b64 v[38:39], v49 offset:16064
	s_wait_dscnt 0x0
	v_fma_f64 v[36:37], v[36:37], v[38:39], 0
	s_and_saveexec_b32 s29, s14
	s_cbranch_execnz .LBB37_1033
; %bb.592:                              ;   in Loop: Header=BB37_3 Depth=1
	s_or_b32 exec_lo, exec_lo, s29
	s_and_saveexec_b32 s29, s15
	s_cbranch_execnz .LBB37_1034
.LBB37_593:                             ;   in Loop: Header=BB37_3 Depth=1
	s_or_b32 exec_lo, exec_lo, s29
	s_and_saveexec_b32 s29, s16
	s_cbranch_execnz .LBB37_1035
.LBB37_594:                             ;   in Loop: Header=BB37_3 Depth=1
	s_or_b32 exec_lo, exec_lo, s29
	s_and_saveexec_b32 s29, s17
	s_cbranch_execnz .LBB37_1036
.LBB37_595:                             ;   in Loop: Header=BB37_3 Depth=1
	s_or_b32 exec_lo, exec_lo, s29
	s_and_saveexec_b32 s29, s18
	s_cbranch_execnz .LBB37_1037
.LBB37_596:                             ;   in Loop: Header=BB37_3 Depth=1
	s_or_b32 exec_lo, exec_lo, s29
	s_and_saveexec_b32 s29, s1
	s_cbranch_execnz .LBB37_1038
.LBB37_597:                             ;   in Loop: Header=BB37_3 Depth=1
	s_or_b32 exec_lo, exec_lo, s29
	s_and_saveexec_b32 s29, s13
	s_cbranch_execz .LBB37_599
.LBB37_598:                             ;   in Loop: Header=BB37_3 Depth=1
	ds_load_b64 v[38:39], v46 offset:16000
	ds_load_b64 v[40:41], v7 offset:16120
	s_wait_dscnt 0x0
	v_fmac_f64_e32 v[36:37], v[38:39], v[40:41]
.LBB37_599:                             ;   in Loop: Header=BB37_3 Depth=1
	s_or_b32 exec_lo, exec_lo, s29
.LBB37_600:                             ;   in Loop: Header=BB37_3 Depth=1
	s_delay_alu instid0(SALU_CYCLE_1)
	s_or_b32 exec_lo, exec_lo, s8
	s_and_saveexec_b32 s8, s38
; %bb.601:                              ;   in Loop: Header=BB37_3 Depth=1
	s_delay_alu instid0(VALU_DEP_1) | instskip(NEXT) | instid1(VALU_DEP_2)
	v_xor_b32_e32 v39, 0x80000000, v37
	v_mov_b32_e32 v38, v36
	ds_store_b64 v68, v[38:39]
; %bb.602:                              ;   in Loop: Header=BB37_3 Depth=1
	s_or_b32 exec_lo, exec_lo, s8
	s_wait_loadcnt_dscnt 0x0
	s_barrier_signal -1
	s_barrier_wait -1
	s_and_saveexec_b32 s8, s39
	s_cbranch_execz .LBB37_604
; %bb.603:                              ;   in Loop: Header=BB37_3 Depth=1
	ds_load_b64 v[38:39], v64 offset:11904
	ds_load_b64 v[40:41], v68
	s_wait_dscnt 0x0
	v_fma_f64 v[36:37], -v[38:39], v[40:41], v[36:37]
.LBB37_604:                             ;   in Loop: Header=BB37_3 Depth=1
	s_or_b32 exec_lo, exec_lo, s8
	s_barrier_signal -1
	s_barrier_wait -1
	s_and_saveexec_b32 s8, s40
; %bb.605:                              ;   in Loop: Header=BB37_3 Depth=1
	s_delay_alu instid0(VALU_DEP_1) | instskip(NEXT) | instid1(VALU_DEP_2)
	v_xor_b32_e32 v39, 0x80000000, v37
	v_mov_b32_e32 v38, v36
	ds_store_b64 v68, v[38:39]
; %bb.606:                              ;   in Loop: Header=BB37_3 Depth=1
	s_or_b32 exec_lo, exec_lo, s8
	s_wait_dscnt 0x0
	s_barrier_signal -1
	s_barrier_wait -1
	s_and_saveexec_b32 s8, s41
	s_cbranch_execz .LBB37_608
; %bb.607:                              ;   in Loop: Header=BB37_3 Depth=1
	ds_load_b64 v[38:39], v64 offset:11392
	ds_load_b64 v[40:41], v68
	s_wait_dscnt 0x0
	v_fma_f64 v[36:37], -v[38:39], v[40:41], v[36:37]
.LBB37_608:                             ;   in Loop: Header=BB37_3 Depth=1
	s_or_b32 exec_lo, exec_lo, s8
	s_barrier_signal -1
	s_barrier_wait -1
	s_and_saveexec_b32 s8, s42
; %bb.609:                              ;   in Loop: Header=BB37_3 Depth=1
	s_delay_alu instid0(VALU_DEP_1) | instskip(NEXT) | instid1(VALU_DEP_2)
	v_xor_b32_e32 v39, 0x80000000, v37
	v_mov_b32_e32 v38, v36
	ds_store_b64 v68, v[38:39]
; %bb.610:                              ;   in Loop: Header=BB37_3 Depth=1
	s_or_b32 exec_lo, exec_lo, s8
	s_wait_dscnt 0x0
	;; [unrolled: 22-line block ×7, first 2 shown]
	s_barrier_signal -1
	s_barrier_wait -1
	s_barrier_signal -1
	s_barrier_wait -1
	s_and_saveexec_b32 s8, s2
; %bb.631:                              ;   in Loop: Header=BB37_3 Depth=1
	ds_store_b64 v69, v[36:37] offset:16000
; %bb.632:                              ;   in Loop: Header=BB37_3 Depth=1
	s_or_b32 exec_lo, exec_lo, s8
	s_wait_dscnt 0x0
	s_barrier_signal -1
	s_barrier_wait -1
	s_barrier_signal -1
	s_barrier_wait -1
	s_and_saveexec_b32 s8, s10
; %bb.633:                              ;   in Loop: Header=BB37_3 Depth=1
	v_add_nc_u32_e64 v36, 0x2800, 0
	ds_store_2addr_b64 v36, v[26:27], v[26:27] offset0:150 offset1:215
; %bb.634:                              ;   in Loop: Header=BB37_3 Depth=1
	s_or_b32 exec_lo, exec_lo, s8
	v_mov_b64_e32 v[36:37], 0
	s_wait_dscnt 0x0
	s_barrier_signal -1
	s_barrier_wait -1
	global_wb scope:SCOPE_DEV
	s_wait_storecnt 0x0
	global_inv scope:SCOPE_DEV
	s_and_saveexec_b32 s8, s0
	s_cbranch_execz .LBB37_638
; %bb.635:                              ;   in Loop: Header=BB37_3 Depth=1
	ds_load_b64 v[36:37], v60 offset:11424
	ds_load_b64 v[38:39], v5 offset:11952
	s_wait_dscnt 0x0
	v_fma_f64 v[36:37], v[36:37], v[38:39], 0
	s_and_saveexec_b32 s29, s11
	s_cbranch_execz .LBB37_637
; %bb.636:                              ;   in Loop: Header=BB37_3 Depth=1
	ds_load_b64 v[38:39], v46 offset:11936
	ds_load_b64 v[40:41], v7 offset:11960
	s_wait_dscnt 0x0
	v_fmac_f64_e32 v[36:37], v[38:39], v[40:41]
.LBB37_637:                             ;   in Loop: Header=BB37_3 Depth=1
	s_or_b32 exec_lo, exec_lo, s29
.LBB37_638:                             ;   in Loop: Header=BB37_3 Depth=1
	s_delay_alu instid0(SALU_CYCLE_1)
	s_or_b32 exec_lo, exec_lo, s8
	s_and_saveexec_b32 s8, s104
; %bb.639:                              ;   in Loop: Header=BB37_3 Depth=1
	s_delay_alu instid0(VALU_DEP_1) | instskip(NEXT) | instid1(VALU_DEP_2)
	v_xor_b32_e32 v39, 0x80000000, v37
	v_mov_b32_e32 v38, v36
	ds_store_b64 v61, v[38:39]
; %bb.640:                              ;   in Loop: Header=BB37_3 Depth=1
	s_or_b32 exec_lo, exec_lo, s8
	s_wait_loadcnt_dscnt 0x0
	s_barrier_signal -1
	s_barrier_wait -1
	s_and_saveexec_b32 s8, vcc_hi
	s_cbranch_execz .LBB37_642
; %bb.641:                              ;   in Loop: Header=BB37_3 Depth=1
	ds_load_b64 v[38:39], v7 offset:10912
	ds_load_b64 v[40:41], v61
	s_wait_dscnt 0x0
	v_fma_f64 v[36:37], -v[38:39], v[40:41], v[36:37]
.LBB37_642:                             ;   in Loop: Header=BB37_3 Depth=1
	s_or_b32 exec_lo, exec_lo, s8
	s_barrier_signal -1
	s_barrier_wait -1
	s_and_saveexec_b32 s8, vcc_hi
; %bb.643:                              ;   in Loop: Header=BB37_3 Depth=1
	s_delay_alu instid0(VALU_DEP_1) | instskip(NEXT) | instid1(VALU_DEP_2)
	v_xor_b32_e32 v39, 0x80000000, v37
	v_mov_b32_e32 v38, v36
	ds_store_b64 v61, v[38:39]
; %bb.644:                              ;   in Loop: Header=BB37_3 Depth=1
	s_or_b32 exec_lo, exec_lo, s8
	s_wait_dscnt 0x0
	s_barrier_signal -1
	s_barrier_wait -1
	s_barrier_signal -1
	s_barrier_wait -1
	s_and_saveexec_b32 s8, s0
; %bb.645:                              ;   in Loop: Header=BB37_3 Depth=1
	ds_store_b64 v63, v[36:37] offset:11936
; %bb.646:                              ;   in Loop: Header=BB37_3 Depth=1
	s_or_b32 exec_lo, exec_lo, s8
	s_wait_dscnt 0x0
	s_barrier_signal -1
	s_barrier_wait -1
	s_barrier_signal -1
	s_barrier_wait -1
	s_and_saveexec_b32 s8, s10
; %bb.647:                              ;   in Loop: Header=BB37_3 Depth=1
	v_add_nc_u32_e64 v36, 0x2800, 0
	ds_store_2addr_b64 v36, v[26:27], v[26:27] offset0:20 offset1:85
; %bb.648:                              ;   in Loop: Header=BB37_3 Depth=1
	s_or_b32 exec_lo, exec_lo, s8
	v_mov_b64_e32 v[36:37], 0
	s_wait_dscnt 0x0
	s_barrier_signal -1
	s_barrier_wait -1
	global_wb scope:SCOPE_DEV
	s_wait_storecnt 0x0
	global_inv scope:SCOPE_DEV
	s_and_saveexec_b32 s8, s1
	s_cbranch_execz .LBB37_654
; %bb.649:                              ;   in Loop: Header=BB37_3 Depth=1
	ds_load_b64 v[36:37], v62 offset:10368
	ds_load_b64 v[38:39], v47 offset:11936
	s_wait_dscnt 0x0
	v_fma_f64 v[36:37], v[36:37], v[38:39], 0
	s_and_saveexec_b32 s29, s12
	s_cbranch_execnz .LBB37_1039
; %bb.650:                              ;   in Loop: Header=BB37_3 Depth=1
	s_or_b32 exec_lo, exec_lo, s29
	s_and_saveexec_b32 s29, s13
	s_cbranch_execnz .LBB37_1040
.LBB37_651:                             ;   in Loop: Header=BB37_3 Depth=1
	s_or_b32 exec_lo, exec_lo, s29
	s_and_saveexec_b32 s29, s0
	s_cbranch_execz .LBB37_653
.LBB37_652:                             ;   in Loop: Header=BB37_3 Depth=1
	ds_load_b64 v[38:39], v46 offset:11904
	ds_load_b64 v[40:41], v7 offset:11960
	s_wait_dscnt 0x0
	v_fmac_f64_e32 v[36:37], v[38:39], v[40:41]
.LBB37_653:                             ;   in Loop: Header=BB37_3 Depth=1
	s_or_b32 exec_lo, exec_lo, s29
.LBB37_654:                             ;   in Loop: Header=BB37_3 Depth=1
	s_delay_alu instid0(SALU_CYCLE_1)
	s_or_b32 exec_lo, exec_lo, s8
	s_and_saveexec_b32 s8, s31
; %bb.655:                              ;   in Loop: Header=BB37_3 Depth=1
	s_delay_alu instid0(VALU_DEP_1) | instskip(NEXT) | instid1(VALU_DEP_2)
	v_xor_b32_e32 v39, 0x80000000, v37
	v_mov_b32_e32 v38, v36
	ds_store_b64 v65, v[38:39]
; %bb.656:                              ;   in Loop: Header=BB37_3 Depth=1
	s_or_b32 exec_lo, exec_lo, s8
	s_wait_loadcnt_dscnt 0x0
	s_barrier_signal -1
	s_barrier_wait -1
	s_and_saveexec_b32 s8, s33
	s_cbranch_execz .LBB37_658
; %bb.657:                              ;   in Loop: Header=BB37_3 Depth=1
	ds_load_b64 v[38:39], v62 offset:9856
	ds_load_b64 v[40:41], v65
	s_wait_dscnt 0x0
	v_fma_f64 v[36:37], -v[38:39], v[40:41], v[36:37]
.LBB37_658:                             ;   in Loop: Header=BB37_3 Depth=1
	s_or_b32 exec_lo, exec_lo, s8
	s_barrier_signal -1
	s_barrier_wait -1
	s_and_saveexec_b32 s8, s34
; %bb.659:                              ;   in Loop: Header=BB37_3 Depth=1
	s_delay_alu instid0(VALU_DEP_1) | instskip(NEXT) | instid1(VALU_DEP_2)
	v_xor_b32_e32 v39, 0x80000000, v37
	v_mov_b32_e32 v38, v36
	ds_store_b64 v65, v[38:39]
; %bb.660:                              ;   in Loop: Header=BB37_3 Depth=1
	s_or_b32 exec_lo, exec_lo, s8
	s_wait_dscnt 0x0
	s_barrier_signal -1
	s_barrier_wait -1
	s_and_saveexec_b32 s8, s35
	s_cbranch_execz .LBB37_662
; %bb.661:                              ;   in Loop: Header=BB37_3 Depth=1
	ds_load_b64 v[38:39], v62 offset:9344
	ds_load_b64 v[40:41], v65
	s_wait_dscnt 0x0
	v_fma_f64 v[36:37], -v[38:39], v[40:41], v[36:37]
.LBB37_662:                             ;   in Loop: Header=BB37_3 Depth=1
	s_or_b32 exec_lo, exec_lo, s8
	s_barrier_signal -1
	s_barrier_wait -1
	s_and_saveexec_b32 s8, s36
; %bb.663:                              ;   in Loop: Header=BB37_3 Depth=1
	s_delay_alu instid0(VALU_DEP_1) | instskip(NEXT) | instid1(VALU_DEP_2)
	v_xor_b32_e32 v39, 0x80000000, v37
	v_mov_b32_e32 v38, v36
	ds_store_b64 v65, v[38:39]
; %bb.664:                              ;   in Loop: Header=BB37_3 Depth=1
	s_or_b32 exec_lo, exec_lo, s8
	s_wait_dscnt 0x0
	;; [unrolled: 22-line block ×3, first 2 shown]
	s_barrier_signal -1
	s_barrier_wait -1
	s_barrier_signal -1
	s_barrier_wait -1
	s_and_saveexec_b32 s8, s1
; %bb.669:                              ;   in Loop: Header=BB37_3 Depth=1
	ds_store_b64 v67, v[36:37] offset:11904
; %bb.670:                              ;   in Loop: Header=BB37_3 Depth=1
	s_or_b32 exec_lo, exec_lo, s8
	s_wait_dscnt 0x0
	s_barrier_signal -1
	s_barrier_wait -1
	s_barrier_signal -1
	s_barrier_wait -1
	s_and_saveexec_b32 s8, s10
; %bb.671:                              ;   in Loop: Header=BB37_3 Depth=1
	v_add_nc_u32_e64 v36, 0x2000, 0
	ds_store_2addr_b64 v36, v[26:27], v[26:27] offset0:146 offset1:211
; %bb.672:                              ;   in Loop: Header=BB37_3 Depth=1
	s_or_b32 exec_lo, exec_lo, s8
	v_mov_b64_e32 v[36:37], 0
	s_wait_dscnt 0x0
	s_barrier_signal -1
	s_barrier_wait -1
	global_wb scope:SCOPE_DEV
	s_wait_storecnt 0x0
	global_inv scope:SCOPE_DEV
	s_and_saveexec_b32 s8, s0
	s_cbranch_execz .LBB37_676
; %bb.673:                              ;   in Loop: Header=BB37_3 Depth=1
	ds_load_b64 v[36:37], v60 offset:9344
	ds_load_b64 v[38:39], v5 offset:9872
	s_wait_dscnt 0x0
	v_fma_f64 v[36:37], v[36:37], v[38:39], 0
	s_and_saveexec_b32 s29, s11
	s_cbranch_execz .LBB37_675
; %bb.674:                              ;   in Loop: Header=BB37_3 Depth=1
	ds_load_b64 v[38:39], v46 offset:9856
	ds_load_b64 v[40:41], v7 offset:9880
	s_wait_dscnt 0x0
	v_fmac_f64_e32 v[36:37], v[38:39], v[40:41]
.LBB37_675:                             ;   in Loop: Header=BB37_3 Depth=1
	s_or_b32 exec_lo, exec_lo, s29
.LBB37_676:                             ;   in Loop: Header=BB37_3 Depth=1
	s_delay_alu instid0(SALU_CYCLE_1)
	s_or_b32 exec_lo, exec_lo, s8
	s_and_saveexec_b32 s8, s104
; %bb.677:                              ;   in Loop: Header=BB37_3 Depth=1
	s_delay_alu instid0(VALU_DEP_1) | instskip(NEXT) | instid1(VALU_DEP_2)
	v_xor_b32_e32 v39, 0x80000000, v37
	v_mov_b32_e32 v38, v36
	ds_store_b64 v61, v[38:39]
; %bb.678:                              ;   in Loop: Header=BB37_3 Depth=1
	s_or_b32 exec_lo, exec_lo, s8
	s_wait_loadcnt_dscnt 0x0
	s_barrier_signal -1
	s_barrier_wait -1
	s_and_saveexec_b32 s8, vcc_hi
	s_cbranch_execz .LBB37_680
; %bb.679:                              ;   in Loop: Header=BB37_3 Depth=1
	ds_load_b64 v[38:39], v7 offset:8832
	ds_load_b64 v[40:41], v61
	s_wait_dscnt 0x0
	v_fma_f64 v[36:37], -v[38:39], v[40:41], v[36:37]
.LBB37_680:                             ;   in Loop: Header=BB37_3 Depth=1
	s_or_b32 exec_lo, exec_lo, s8
	s_barrier_signal -1
	s_barrier_wait -1
	s_and_saveexec_b32 s8, vcc_hi
; %bb.681:                              ;   in Loop: Header=BB37_3 Depth=1
	s_delay_alu instid0(VALU_DEP_1) | instskip(NEXT) | instid1(VALU_DEP_2)
	v_xor_b32_e32 v39, 0x80000000, v37
	v_mov_b32_e32 v38, v36
	ds_store_b64 v61, v[38:39]
; %bb.682:                              ;   in Loop: Header=BB37_3 Depth=1
	s_or_b32 exec_lo, exec_lo, s8
	s_wait_dscnt 0x0
	s_barrier_signal -1
	s_barrier_wait -1
	s_barrier_signal -1
	s_barrier_wait -1
	s_and_saveexec_b32 s8, s0
; %bb.683:                              ;   in Loop: Header=BB37_3 Depth=1
	ds_store_b64 v63, v[36:37] offset:9856
; %bb.684:                              ;   in Loop: Header=BB37_3 Depth=1
	s_or_b32 exec_lo, exec_lo, s8
	s_wait_dscnt 0x0
	s_barrier_signal -1
	s_barrier_wait -1
	s_barrier_signal -1
	s_barrier_wait -1
	s_and_saveexec_b32 s8, s10
; %bb.685:                              ;   in Loop: Header=BB37_3 Depth=1
	v_add_nc_u32_e64 v36, 0x2000, 0
	ds_store_2addr_b64 v36, v[26:27], v[26:27] offset0:16 offset1:81
; %bb.686:                              ;   in Loop: Header=BB37_3 Depth=1
	s_or_b32 exec_lo, exec_lo, s8
	v_mov_b64_e32 v[36:37], 0
	s_wait_dscnt 0x0
	s_barrier_signal -1
	s_barrier_wait -1
	global_wb scope:SCOPE_DEV
	s_wait_storecnt 0x0
	global_inv scope:SCOPE_DEV
	s_and_saveexec_b32 s8, s3
	s_cbranch_execz .LBB37_714
; %bb.687:                              ;   in Loop: Header=BB37_3 Depth=1
	ds_load_b64 v[36:37], v66 offset:8192
	ds_load_b64 v[38:39], v50 offset:16000
	s_wait_dscnt 0x0
	v_fma_f64 v[36:37], v[36:37], v[38:39], 0
	s_mov_b32 s29, exec_lo
	v_readlane_b32 s57, v86, 27
	s_and_b32 s57, s29, s57
	s_delay_alu instid0(SALU_CYCLE_1)
	s_mov_b32 exec_lo, s57
	s_cbranch_execz .LBB37_689
; %bb.688:                              ;   in Loop: Header=BB37_3 Depth=1
	ds_load_b64 v[38:39], v66 offset:8704
	ds_load_b64 v[40:41], v50 offset:16008
	s_wait_dscnt 0x0
	v_fmac_f64_e32 v[36:37], v[38:39], v[40:41]
.LBB37_689:                             ;   in Loop: Header=BB37_3 Depth=1
	s_or_b32 exec_lo, exec_lo, s29
	s_delay_alu instid0(SALU_CYCLE_1) | instskip(SKIP_2) | instid1(SALU_CYCLE_1)
	s_mov_b32 s29, exec_lo
	v_readlane_b32 s57, v86, 28
	s_and_b32 s57, s29, s57
	s_mov_b32 exec_lo, s57
	s_cbranch_execz .LBB37_691
; %bb.690:                              ;   in Loop: Header=BB37_3 Depth=1
	ds_load_b64 v[38:39], v66 offset:9216
	ds_load_b64 v[40:41], v50 offset:16016
	s_wait_dscnt 0x0
	v_fmac_f64_e32 v[36:37], v[38:39], v[40:41]
.LBB37_691:                             ;   in Loop: Header=BB37_3 Depth=1
	s_or_b32 exec_lo, exec_lo, s29
	s_delay_alu instid0(SALU_CYCLE_1) | instskip(SKIP_2) | instid1(SALU_CYCLE_1)
	s_mov_b32 s29, exec_lo
	v_readlane_b32 s57, v86, 29
	s_and_b32 s57, s29, s57
	;; [unrolled: 13-line block ×10, first 2 shown]
	s_mov_b32 exec_lo, s57
	s_cbranch_execnz .LBB37_1041
; %bb.708:                              ;   in Loop: Header=BB37_3 Depth=1
	s_or_b32 exec_lo, exec_lo, s29
	s_and_saveexec_b32 s29, s2
	s_cbranch_execnz .LBB37_1042
.LBB37_709:                             ;   in Loop: Header=BB37_3 Depth=1
	s_or_b32 exec_lo, exec_lo, s29
	s_and_saveexec_b32 s29, s15
	s_cbranch_execnz .LBB37_1043
.LBB37_710:                             ;   in Loop: Header=BB37_3 Depth=1
	s_or_b32 exec_lo, exec_lo, s29
	s_and_saveexec_b32 s29, s17
	s_cbranch_execnz .LBB37_1044
.LBB37_711:                             ;   in Loop: Header=BB37_3 Depth=1
	s_or_b32 exec_lo, exec_lo, s29
	s_and_saveexec_b32 s29, s1
	s_cbranch_execz .LBB37_713
.LBB37_712:                             ;   in Loop: Header=BB37_3 Depth=1
	ds_load_b64 v[38:39], v46 offset:15872
	ds_load_b64 v[40:41], v7 offset:16120
	s_wait_dscnt 0x0
	v_fmac_f64_e32 v[36:37], v[38:39], v[40:41]
.LBB37_713:                             ;   in Loop: Header=BB37_3 Depth=1
	s_or_b32 exec_lo, exec_lo, s29
.LBB37_714:                             ;   in Loop: Header=BB37_3 Depth=1
	s_delay_alu instid0(SALU_CYCLE_1) | instskip(NEXT) | instid1(SALU_CYCLE_1)
	s_or_b32 exec_lo, exec_lo, s8
	s_mov_b32 s8, exec_lo
	v_readlane_b32 s29, v86, 2
	s_and_b32 s29, s8, s29
	s_delay_alu instid0(SALU_CYCLE_1)
	s_mov_b32 exec_lo, s29
; %bb.715:                              ;   in Loop: Header=BB37_3 Depth=1
	v_xor_b32_e32 v39, 0x80000000, v37
	v_mov_b32_e32 v38, v36
	ds_store_b64 v70, v[38:39]
; %bb.716:                              ;   in Loop: Header=BB37_3 Depth=1
	s_or_b32 exec_lo, exec_lo, s8
	s_wait_loadcnt_dscnt 0x0
	s_barrier_signal -1
	s_barrier_wait -1
	s_mov_b32 s8, exec_lo
	v_readlane_b32 s29, v86, 3
	s_and_b32 s29, s8, s29
	s_delay_alu instid0(SALU_CYCLE_1)
	s_mov_b32 exec_lo, s29
	s_cbranch_execz .LBB37_718
; %bb.717:                              ;   in Loop: Header=BB37_3 Depth=1
	ds_load_b64 v[38:39], v66 offset:7680
	ds_load_b64 v[40:41], v70
	s_wait_dscnt 0x0
	v_fma_f64 v[36:37], -v[38:39], v[40:41], v[36:37]
.LBB37_718:                             ;   in Loop: Header=BB37_3 Depth=1
	s_or_b32 exec_lo, exec_lo, s8
	s_barrier_signal -1
	s_barrier_wait -1
	s_mov_b32 s8, exec_lo
	v_readlane_b32 s29, v86, 4
	s_and_b32 s29, s8, s29
	s_delay_alu instid0(SALU_CYCLE_1)
	s_mov_b32 exec_lo, s29
; %bb.719:                              ;   in Loop: Header=BB37_3 Depth=1
	v_xor_b32_e32 v39, 0x80000000, v37
	v_mov_b32_e32 v38, v36
	ds_store_b64 v70, v[38:39]
; %bb.720:                              ;   in Loop: Header=BB37_3 Depth=1
	s_or_b32 exec_lo, exec_lo, s8
	s_wait_dscnt 0x0
	s_barrier_signal -1
	s_barrier_wait -1
	s_mov_b32 s8, exec_lo
	v_readlane_b32 s29, v86, 5
	s_and_b32 s29, s8, s29
	s_delay_alu instid0(SALU_CYCLE_1)
	s_mov_b32 exec_lo, s29
	s_cbranch_execz .LBB37_722
; %bb.721:                              ;   in Loop: Header=BB37_3 Depth=1
	ds_load_b64 v[38:39], v66 offset:7168
	ds_load_b64 v[40:41], v70
	s_wait_dscnt 0x0
	v_fma_f64 v[36:37], -v[38:39], v[40:41], v[36:37]
.LBB37_722:                             ;   in Loop: Header=BB37_3 Depth=1
	s_or_b32 exec_lo, exec_lo, s8
	s_barrier_signal -1
	s_barrier_wait -1
	s_mov_b32 s8, exec_lo
	v_readlane_b32 s29, v86, 6
	s_and_b32 s29, s8, s29
	s_delay_alu instid0(SALU_CYCLE_1)
	s_mov_b32 exec_lo, s29
; %bb.723:                              ;   in Loop: Header=BB37_3 Depth=1
	v_xor_b32_e32 v39, 0x80000000, v37
	v_mov_b32_e32 v38, v36
	ds_store_b64 v70, v[38:39]
; %bb.724:                              ;   in Loop: Header=BB37_3 Depth=1
	s_or_b32 exec_lo, exec_lo, s8
	s_wait_dscnt 0x0
	;; [unrolled: 29-line block ×5, first 2 shown]
	s_barrier_signal -1
	s_barrier_wait -1
	s_mov_b32 s8, exec_lo
	v_readlane_b32 s29, v86, 13
	s_and_b32 s29, s8, s29
	s_delay_alu instid0(SALU_CYCLE_1)
	s_mov_b32 exec_lo, s29
	s_cbranch_execz .LBB37_738
; %bb.737:                              ;   in Loop: Header=BB37_3 Depth=1
	ds_load_b64 v[38:39], v66 offset:5120
	ds_load_b64 v[40:41], v70
	s_wait_dscnt 0x0
	v_fma_f64 v[36:37], -v[38:39], v[40:41], v[36:37]
.LBB37_738:                             ;   in Loop: Header=BB37_3 Depth=1
	s_or_b32 exec_lo, exec_lo, s8
	s_barrier_signal -1
	s_barrier_wait -1
	s_and_saveexec_b32 s8, s60
; %bb.739:                              ;   in Loop: Header=BB37_3 Depth=1
	s_delay_alu instid0(VALU_DEP_1) | instskip(NEXT) | instid1(VALU_DEP_2)
	v_xor_b32_e32 v39, 0x80000000, v37
	v_mov_b32_e32 v38, v36
	ds_store_b64 v70, v[38:39]
; %bb.740:                              ;   in Loop: Header=BB37_3 Depth=1
	s_or_b32 exec_lo, exec_lo, s8
	s_wait_dscnt 0x0
	s_barrier_signal -1
	s_barrier_wait -1
	s_and_saveexec_b32 s8, s61
	s_cbranch_execz .LBB37_742
; %bb.741:                              ;   in Loop: Header=BB37_3 Depth=1
	ds_load_b64 v[38:39], v66 offset:4608
	ds_load_b64 v[40:41], v70
	s_wait_dscnt 0x0
	v_fma_f64 v[36:37], -v[38:39], v[40:41], v[36:37]
.LBB37_742:                             ;   in Loop: Header=BB37_3 Depth=1
	s_or_b32 exec_lo, exec_lo, s8
	s_barrier_signal -1
	s_barrier_wait -1
	s_and_saveexec_b32 s8, s62
; %bb.743:                              ;   in Loop: Header=BB37_3 Depth=1
	s_delay_alu instid0(VALU_DEP_1) | instskip(NEXT) | instid1(VALU_DEP_2)
	v_xor_b32_e32 v39, 0x80000000, v37
	v_mov_b32_e32 v38, v36
	ds_store_b64 v70, v[38:39]
; %bb.744:                              ;   in Loop: Header=BB37_3 Depth=1
	s_or_b32 exec_lo, exec_lo, s8
	s_wait_dscnt 0x0
	s_barrier_signal -1
	s_barrier_wait -1
	s_and_saveexec_b32 s8, s63
	s_cbranch_execz .LBB37_746
; %bb.745:                              ;   in Loop: Header=BB37_3 Depth=1
	ds_load_b64 v[38:39], v66 offset:4096
	ds_load_b64 v[40:41], v70
	s_wait_dscnt 0x0
	v_fma_f64 v[36:37], -v[38:39], v[40:41], v[36:37]
.LBB37_746:                             ;   in Loop: Header=BB37_3 Depth=1
	s_or_b32 exec_lo, exec_lo, s8
	s_barrier_signal -1
	s_barrier_wait -1
	s_and_saveexec_b32 s8, s9
; %bb.747:                              ;   in Loop: Header=BB37_3 Depth=1
	s_delay_alu instid0(VALU_DEP_1) | instskip(NEXT) | instid1(VALU_DEP_2)
	v_xor_b32_e32 v39, 0x80000000, v37
	v_mov_b32_e32 v38, v36
	ds_store_b64 v70, v[38:39]
; %bb.748:                              ;   in Loop: Header=BB37_3 Depth=1
	s_or_b32 exec_lo, exec_lo, s8
	s_wait_dscnt 0x0
	s_barrier_signal -1
	s_barrier_wait -1
	s_and_saveexec_b32 s8, s20
	s_cbranch_execz .LBB37_750
; %bb.749:                              ;   in Loop: Header=BB37_3 Depth=1
	ds_load_b64 v[38:39], v66 offset:3584
	ds_load_b64 v[40:41], v70
	s_wait_dscnt 0x0
	v_fma_f64 v[36:37], -v[38:39], v[40:41], v[36:37]
.LBB37_750:                             ;   in Loop: Header=BB37_3 Depth=1
	s_or_b32 exec_lo, exec_lo, s8
	s_barrier_signal -1
	s_barrier_wait -1
	s_and_saveexec_b32 s8, s22
; %bb.751:                              ;   in Loop: Header=BB37_3 Depth=1
	s_delay_alu instid0(VALU_DEP_1) | instskip(NEXT) | instid1(VALU_DEP_2)
	v_xor_b32_e32 v39, 0x80000000, v37
	v_mov_b32_e32 v38, v36
	ds_store_b64 v70, v[38:39]
; %bb.752:                              ;   in Loop: Header=BB37_3 Depth=1
	s_or_b32 exec_lo, exec_lo, s8
	s_wait_dscnt 0x0
	s_barrier_signal -1
	s_barrier_wait -1
	s_and_saveexec_b32 s8, s24
	s_cbranch_execz .LBB37_754
; %bb.753:                              ;   in Loop: Header=BB37_3 Depth=1
	ds_load_b64 v[38:39], v66 offset:3072
	ds_load_b64 v[40:41], v70
	s_wait_dscnt 0x0
	v_fma_f64 v[36:37], -v[38:39], v[40:41], v[36:37]
.LBB37_754:                             ;   in Loop: Header=BB37_3 Depth=1
	s_or_b32 exec_lo, exec_lo, s8
	s_barrier_signal -1
	s_barrier_wait -1
	s_and_saveexec_b32 s8, s26
; %bb.755:                              ;   in Loop: Header=BB37_3 Depth=1
	s_delay_alu instid0(VALU_DEP_1) | instskip(NEXT) | instid1(VALU_DEP_2)
	v_xor_b32_e32 v39, 0x80000000, v37
	v_mov_b32_e32 v38, v36
	ds_store_b64 v70, v[38:39]
; %bb.756:                              ;   in Loop: Header=BB37_3 Depth=1
	s_or_b32 exec_lo, exec_lo, s8
	s_wait_dscnt 0x0
	s_barrier_signal -1
	s_barrier_wait -1
	s_and_saveexec_b32 s8, s28
	s_cbranch_execz .LBB37_758
; %bb.757:                              ;   in Loop: Header=BB37_3 Depth=1
	ds_load_b64 v[38:39], v66 offset:2560
	ds_load_b64 v[40:41], v70
	s_wait_dscnt 0x0
	v_fma_f64 v[36:37], -v[38:39], v[40:41], v[36:37]
.LBB37_758:                             ;   in Loop: Header=BB37_3 Depth=1
	s_or_b32 exec_lo, exec_lo, s8
	s_barrier_signal -1
	s_barrier_wait -1
	s_and_saveexec_b32 s8, s98
; %bb.759:                              ;   in Loop: Header=BB37_3 Depth=1
	s_delay_alu instid0(VALU_DEP_1) | instskip(NEXT) | instid1(VALU_DEP_2)
	v_xor_b32_e32 v39, 0x80000000, v37
	v_mov_b32_e32 v38, v36
	ds_store_b64 v70, v[38:39]
; %bb.760:                              ;   in Loop: Header=BB37_3 Depth=1
	s_or_b32 exec_lo, exec_lo, s8
	s_wait_dscnt 0x0
	s_barrier_signal -1
	s_barrier_wait -1
	s_and_saveexec_b32 s8, s102
	s_cbranch_execz .LBB37_762
; %bb.761:                              ;   in Loop: Header=BB37_3 Depth=1
	ds_load_b64 v[38:39], v66 offset:2048
	ds_load_b64 v[40:41], v70
	s_wait_dscnt 0x0
	v_fma_f64 v[36:37], -v[38:39], v[40:41], v[36:37]
.LBB37_762:                             ;   in Loop: Header=BB37_3 Depth=1
	s_or_b32 exec_lo, exec_lo, s8
	s_barrier_signal -1
	s_barrier_wait -1
	s_and_saveexec_b32 s8, s52
; %bb.763:                              ;   in Loop: Header=BB37_3 Depth=1
	s_delay_alu instid0(VALU_DEP_1) | instskip(NEXT) | instid1(VALU_DEP_2)
	v_xor_b32_e32 v39, 0x80000000, v37
	v_mov_b32_e32 v38, v36
	ds_store_b64 v70, v[38:39]
; %bb.764:                              ;   in Loop: Header=BB37_3 Depth=1
	s_or_b32 exec_lo, exec_lo, s8
	s_wait_dscnt 0x0
	s_barrier_signal -1
	s_barrier_wait -1
	s_and_saveexec_b32 s8, s53
	s_cbranch_execz .LBB37_766
; %bb.765:                              ;   in Loop: Header=BB37_3 Depth=1
	ds_load_b64 v[38:39], v66 offset:1536
	ds_load_b64 v[40:41], v70
	s_wait_dscnt 0x0
	v_fma_f64 v[36:37], -v[38:39], v[40:41], v[36:37]
.LBB37_766:                             ;   in Loop: Header=BB37_3 Depth=1
	s_or_b32 exec_lo, exec_lo, s8
	s_barrier_signal -1
	s_barrier_wait -1
	s_and_saveexec_b32 s8, s54
; %bb.767:                              ;   in Loop: Header=BB37_3 Depth=1
	s_delay_alu instid0(VALU_DEP_1) | instskip(NEXT) | instid1(VALU_DEP_2)
	v_xor_b32_e32 v39, 0x80000000, v37
	v_mov_b32_e32 v38, v36
	ds_store_b64 v70, v[38:39]
; %bb.768:                              ;   in Loop: Header=BB37_3 Depth=1
	s_or_b32 exec_lo, exec_lo, s8
	s_wait_dscnt 0x0
	s_barrier_signal -1
	s_barrier_wait -1
	s_and_saveexec_b32 s8, s19
	s_cbranch_execz .LBB37_770
; %bb.769:                              ;   in Loop: Header=BB37_3 Depth=1
	ds_load_b64 v[38:39], v66 offset:1024
	ds_load_b64 v[40:41], v70
	s_wait_dscnt 0x0
	v_fma_f64 v[36:37], -v[38:39], v[40:41], v[36:37]
.LBB37_770:                             ;   in Loop: Header=BB37_3 Depth=1
	s_or_b32 exec_lo, exec_lo, s8
	s_barrier_signal -1
	s_barrier_wait -1
	s_and_saveexec_b32 s8, s23
; %bb.771:                              ;   in Loop: Header=BB37_3 Depth=1
	s_delay_alu instid0(VALU_DEP_1) | instskip(NEXT) | instid1(VALU_DEP_2)
	v_xor_b32_e32 v39, 0x80000000, v37
	v_mov_b32_e32 v38, v36
	ds_store_b64 v70, v[38:39]
; %bb.772:                              ;   in Loop: Header=BB37_3 Depth=1
	s_or_b32 exec_lo, exec_lo, s8
	s_wait_dscnt 0x0
	s_barrier_signal -1
	s_barrier_wait -1
	s_and_saveexec_b32 s8, s7
	s_cbranch_execz .LBB37_774
; %bb.773:                              ;   in Loop: Header=BB37_3 Depth=1
	ds_load_b64 v[38:39], v7 offset:512
	ds_load_b64 v[40:41], v70
	s_wait_dscnt 0x0
	v_fma_f64 v[36:37], -v[38:39], v[40:41], v[36:37]
.LBB37_774:                             ;   in Loop: Header=BB37_3 Depth=1
	s_or_b32 exec_lo, exec_lo, s8
	s_barrier_signal -1
	s_barrier_wait -1
	s_and_saveexec_b32 s8, s7
; %bb.775:                              ;   in Loop: Header=BB37_3 Depth=1
	s_delay_alu instid0(VALU_DEP_1) | instskip(NEXT) | instid1(VALU_DEP_2)
	v_xor_b32_e32 v39, 0x80000000, v37
	v_mov_b32_e32 v38, v36
	ds_store_b64 v70, v[38:39]
; %bb.776:                              ;   in Loop: Header=BB37_3 Depth=1
	s_or_b32 exec_lo, exec_lo, s8
	s_wait_dscnt 0x0
	s_barrier_signal -1
	s_barrier_wait -1
	s_barrier_signal -1
	s_barrier_wait -1
	s_and_saveexec_b32 s8, s3
; %bb.777:                              ;   in Loop: Header=BB37_3 Depth=1
	ds_store_b64 v71, v[36:37] offset:15872
; %bb.778:                              ;   in Loop: Header=BB37_3 Depth=1
	s_or_b32 exec_lo, exec_lo, s8
	s_wait_dscnt 0x0
	s_barrier_signal -1
	s_barrier_wait -1
	s_barrier_signal -1
	s_barrier_wait -1
	s_and_saveexec_b32 s8, s10
; %bb.779:                              ;   in Loop: Header=BB37_3 Depth=1
	v_add_nc_u32_e64 v36, 0x1800, 0
	ds_store_2addr_b64 v36, v[26:27], v[26:27] offset0:142 offset1:207
; %bb.780:                              ;   in Loop: Header=BB37_3 Depth=1
	s_or_b32 exec_lo, exec_lo, s8
	v_mov_b64_e32 v[36:37], 0
	s_wait_dscnt 0x0
	s_barrier_signal -1
	s_barrier_wait -1
	global_wb scope:SCOPE_DEV
	s_wait_storecnt 0x0
	global_inv scope:SCOPE_DEV
	s_and_saveexec_b32 s8, s0
	s_cbranch_execz .LBB37_784
; %bb.781:                              ;   in Loop: Header=BB37_3 Depth=1
	ds_load_b64 v[36:37], v60 offset:7264
	ds_load_b64 v[38:39], v5 offset:7792
	s_wait_dscnt 0x0
	v_fma_f64 v[36:37], v[36:37], v[38:39], 0
	s_and_saveexec_b32 s29, s11
	s_cbranch_execz .LBB37_783
; %bb.782:                              ;   in Loop: Header=BB37_3 Depth=1
	ds_load_b64 v[38:39], v46 offset:7776
	ds_load_b64 v[40:41], v7 offset:7800
	s_wait_dscnt 0x0
	v_fmac_f64_e32 v[36:37], v[38:39], v[40:41]
.LBB37_783:                             ;   in Loop: Header=BB37_3 Depth=1
	s_or_b32 exec_lo, exec_lo, s29
.LBB37_784:                             ;   in Loop: Header=BB37_3 Depth=1
	s_delay_alu instid0(SALU_CYCLE_1)
	s_or_b32 exec_lo, exec_lo, s8
	s_and_saveexec_b32 s8, s104
; %bb.785:                              ;   in Loop: Header=BB37_3 Depth=1
	s_delay_alu instid0(VALU_DEP_1) | instskip(NEXT) | instid1(VALU_DEP_2)
	v_xor_b32_e32 v39, 0x80000000, v37
	v_mov_b32_e32 v38, v36
	ds_store_b64 v61, v[38:39]
; %bb.786:                              ;   in Loop: Header=BB37_3 Depth=1
	s_or_b32 exec_lo, exec_lo, s8
	s_wait_loadcnt_dscnt 0x0
	s_barrier_signal -1
	s_barrier_wait -1
	s_and_saveexec_b32 s8, vcc_hi
	s_cbranch_execz .LBB37_788
; %bb.787:                              ;   in Loop: Header=BB37_3 Depth=1
	ds_load_b64 v[38:39], v7 offset:6752
	ds_load_b64 v[40:41], v61
	s_wait_dscnt 0x0
	v_fma_f64 v[36:37], -v[38:39], v[40:41], v[36:37]
.LBB37_788:                             ;   in Loop: Header=BB37_3 Depth=1
	s_or_b32 exec_lo, exec_lo, s8
	s_barrier_signal -1
	s_barrier_wait -1
	s_and_saveexec_b32 s8, vcc_hi
; %bb.789:                              ;   in Loop: Header=BB37_3 Depth=1
	s_delay_alu instid0(VALU_DEP_1) | instskip(NEXT) | instid1(VALU_DEP_2)
	v_xor_b32_e32 v39, 0x80000000, v37
	v_mov_b32_e32 v38, v36
	ds_store_b64 v61, v[38:39]
; %bb.790:                              ;   in Loop: Header=BB37_3 Depth=1
	s_or_b32 exec_lo, exec_lo, s8
	s_wait_dscnt 0x0
	s_barrier_signal -1
	s_barrier_wait -1
	s_barrier_signal -1
	s_barrier_wait -1
	s_and_saveexec_b32 s8, s0
; %bb.791:                              ;   in Loop: Header=BB37_3 Depth=1
	ds_store_b64 v63, v[36:37] offset:7776
; %bb.792:                              ;   in Loop: Header=BB37_3 Depth=1
	s_or_b32 exec_lo, exec_lo, s8
	s_wait_dscnt 0x0
	s_barrier_signal -1
	s_barrier_wait -1
	s_barrier_signal -1
	s_barrier_wait -1
	s_and_saveexec_b32 s8, s10
; %bb.793:                              ;   in Loop: Header=BB37_3 Depth=1
	v_add_nc_u32_e64 v36, 0x1800, 0
	ds_store_2addr_b64 v36, v[26:27], v[26:27] offset0:12 offset1:77
; %bb.794:                              ;   in Loop: Header=BB37_3 Depth=1
	s_or_b32 exec_lo, exec_lo, s8
	v_mov_b64_e32 v[36:37], 0
	s_wait_dscnt 0x0
	s_barrier_signal -1
	s_barrier_wait -1
	global_wb scope:SCOPE_DEV
	s_wait_storecnt 0x0
	global_inv scope:SCOPE_DEV
	s_and_saveexec_b32 s8, s1
	s_cbranch_execz .LBB37_800
; %bb.795:                              ;   in Loop: Header=BB37_3 Depth=1
	ds_load_b64 v[36:37], v62 offset:6208
	ds_load_b64 v[38:39], v47 offset:7776
	s_wait_dscnt 0x0
	v_fma_f64 v[36:37], v[36:37], v[38:39], 0
	s_and_saveexec_b32 s29, s12
	s_cbranch_execnz .LBB37_1045
; %bb.796:                              ;   in Loop: Header=BB37_3 Depth=1
	s_or_b32 exec_lo, exec_lo, s29
	s_and_saveexec_b32 s29, s13
	s_cbranch_execnz .LBB37_1046
.LBB37_797:                             ;   in Loop: Header=BB37_3 Depth=1
	s_or_b32 exec_lo, exec_lo, s29
	s_and_saveexec_b32 s29, s0
	s_cbranch_execz .LBB37_799
.LBB37_798:                             ;   in Loop: Header=BB37_3 Depth=1
	ds_load_b64 v[38:39], v46 offset:7744
	ds_load_b64 v[40:41], v7 offset:7800
	s_wait_dscnt 0x0
	v_fmac_f64_e32 v[36:37], v[38:39], v[40:41]
.LBB37_799:                             ;   in Loop: Header=BB37_3 Depth=1
	s_or_b32 exec_lo, exec_lo, s29
.LBB37_800:                             ;   in Loop: Header=BB37_3 Depth=1
	s_delay_alu instid0(SALU_CYCLE_1)
	s_or_b32 exec_lo, exec_lo, s8
	s_and_saveexec_b32 s8, s31
; %bb.801:                              ;   in Loop: Header=BB37_3 Depth=1
	s_delay_alu instid0(VALU_DEP_1) | instskip(NEXT) | instid1(VALU_DEP_2)
	v_xor_b32_e32 v39, 0x80000000, v37
	v_mov_b32_e32 v38, v36
	ds_store_b64 v65, v[38:39]
; %bb.802:                              ;   in Loop: Header=BB37_3 Depth=1
	s_or_b32 exec_lo, exec_lo, s8
	s_wait_loadcnt_dscnt 0x0
	s_barrier_signal -1
	s_barrier_wait -1
	s_and_saveexec_b32 s8, s33
	s_cbranch_execz .LBB37_804
; %bb.803:                              ;   in Loop: Header=BB37_3 Depth=1
	ds_load_b64 v[38:39], v62 offset:5696
	ds_load_b64 v[40:41], v65
	s_wait_dscnt 0x0
	v_fma_f64 v[36:37], -v[38:39], v[40:41], v[36:37]
.LBB37_804:                             ;   in Loop: Header=BB37_3 Depth=1
	s_or_b32 exec_lo, exec_lo, s8
	s_barrier_signal -1
	s_barrier_wait -1
	s_and_saveexec_b32 s8, s34
; %bb.805:                              ;   in Loop: Header=BB37_3 Depth=1
	s_delay_alu instid0(VALU_DEP_1) | instskip(NEXT) | instid1(VALU_DEP_2)
	v_xor_b32_e32 v39, 0x80000000, v37
	v_mov_b32_e32 v38, v36
	ds_store_b64 v65, v[38:39]
; %bb.806:                              ;   in Loop: Header=BB37_3 Depth=1
	s_or_b32 exec_lo, exec_lo, s8
	s_wait_dscnt 0x0
	s_barrier_signal -1
	s_barrier_wait -1
	s_and_saveexec_b32 s8, s35
	s_cbranch_execz .LBB37_808
; %bb.807:                              ;   in Loop: Header=BB37_3 Depth=1
	ds_load_b64 v[38:39], v62 offset:5184
	ds_load_b64 v[40:41], v65
	s_wait_dscnt 0x0
	v_fma_f64 v[36:37], -v[38:39], v[40:41], v[36:37]
.LBB37_808:                             ;   in Loop: Header=BB37_3 Depth=1
	s_or_b32 exec_lo, exec_lo, s8
	s_barrier_signal -1
	s_barrier_wait -1
	s_and_saveexec_b32 s8, s36
; %bb.809:                              ;   in Loop: Header=BB37_3 Depth=1
	s_delay_alu instid0(VALU_DEP_1) | instskip(NEXT) | instid1(VALU_DEP_2)
	v_xor_b32_e32 v39, 0x80000000, v37
	v_mov_b32_e32 v38, v36
	ds_store_b64 v65, v[38:39]
; %bb.810:                              ;   in Loop: Header=BB37_3 Depth=1
	s_or_b32 exec_lo, exec_lo, s8
	s_wait_dscnt 0x0
	s_barrier_signal -1
	s_barrier_wait -1
	s_and_saveexec_b32 s8, s37
	s_cbranch_execz .LBB37_812
; %bb.811:                              ;   in Loop: Header=BB37_3 Depth=1
	ds_load_b64 v[38:39], v7 offset:4672
	ds_load_b64 v[40:41], v65
	s_wait_dscnt 0x0
	v_fma_f64 v[36:37], -v[38:39], v[40:41], v[36:37]
.LBB37_812:                             ;   in Loop: Header=BB37_3 Depth=1
	s_or_b32 exec_lo, exec_lo, s8
	s_barrier_signal -1
	s_barrier_wait -1
	s_and_saveexec_b32 s8, s37
; %bb.813:                              ;   in Loop: Header=BB37_3 Depth=1
	s_delay_alu instid0(VALU_DEP_1) | instskip(NEXT) | instid1(VALU_DEP_2)
	v_xor_b32_e32 v39, 0x80000000, v37
	v_mov_b32_e32 v38, v36
	ds_store_b64 v65, v[38:39]
; %bb.814:                              ;   in Loop: Header=BB37_3 Depth=1
	s_or_b32 exec_lo, exec_lo, s8
	s_wait_dscnt 0x0
	s_barrier_signal -1
	s_barrier_wait -1
	s_barrier_signal -1
	s_barrier_wait -1
	s_and_saveexec_b32 s8, s1
; %bb.815:                              ;   in Loop: Header=BB37_3 Depth=1
	ds_store_b64 v67, v[36:37] offset:7744
; %bb.816:                              ;   in Loop: Header=BB37_3 Depth=1
	s_or_b32 exec_lo, exec_lo, s8
	s_wait_dscnt 0x0
	s_barrier_signal -1
	s_barrier_wait -1
	s_barrier_signal -1
	s_barrier_wait -1
	s_and_saveexec_b32 s8, s10
; %bb.817:                              ;   in Loop: Header=BB37_3 Depth=1
	v_add_nc_u32_e64 v36, 0x1000, 0
	ds_store_2addr_b64 v36, v[26:27], v[26:27] offset0:138 offset1:203
; %bb.818:                              ;   in Loop: Header=BB37_3 Depth=1
	s_or_b32 exec_lo, exec_lo, s8
	v_mov_b64_e32 v[36:37], 0
	s_wait_dscnt 0x0
	s_barrier_signal -1
	s_barrier_wait -1
	global_wb scope:SCOPE_DEV
	s_wait_storecnt 0x0
	global_inv scope:SCOPE_DEV
	s_and_saveexec_b32 s8, s0
	s_cbranch_execz .LBB37_822
; %bb.819:                              ;   in Loop: Header=BB37_3 Depth=1
	ds_load_b64 v[36:37], v60 offset:5184
	ds_load_b64 v[38:39], v5 offset:5712
	s_wait_dscnt 0x0
	v_fma_f64 v[36:37], v[36:37], v[38:39], 0
	s_and_saveexec_b32 s29, s11
	s_cbranch_execz .LBB37_821
; %bb.820:                              ;   in Loop: Header=BB37_3 Depth=1
	ds_load_b64 v[38:39], v46 offset:5696
	ds_load_b64 v[40:41], v7 offset:5720
	s_wait_dscnt 0x0
	v_fmac_f64_e32 v[36:37], v[38:39], v[40:41]
.LBB37_821:                             ;   in Loop: Header=BB37_3 Depth=1
	s_or_b32 exec_lo, exec_lo, s29
.LBB37_822:                             ;   in Loop: Header=BB37_3 Depth=1
	s_delay_alu instid0(SALU_CYCLE_1)
	s_or_b32 exec_lo, exec_lo, s8
	s_and_saveexec_b32 s8, s104
; %bb.823:                              ;   in Loop: Header=BB37_3 Depth=1
	s_delay_alu instid0(VALU_DEP_1) | instskip(NEXT) | instid1(VALU_DEP_2)
	v_xor_b32_e32 v39, 0x80000000, v37
	v_mov_b32_e32 v38, v36
	ds_store_b64 v61, v[38:39]
; %bb.824:                              ;   in Loop: Header=BB37_3 Depth=1
	s_or_b32 exec_lo, exec_lo, s8
	s_wait_loadcnt_dscnt 0x0
	s_barrier_signal -1
	s_barrier_wait -1
	s_and_saveexec_b32 s8, vcc_hi
	s_cbranch_execz .LBB37_826
; %bb.825:                              ;   in Loop: Header=BB37_3 Depth=1
	ds_load_b64 v[38:39], v7 offset:4672
	ds_load_b64 v[40:41], v61
	s_wait_dscnt 0x0
	v_fma_f64 v[36:37], -v[38:39], v[40:41], v[36:37]
.LBB37_826:                             ;   in Loop: Header=BB37_3 Depth=1
	s_or_b32 exec_lo, exec_lo, s8
	s_barrier_signal -1
	s_barrier_wait -1
	s_and_saveexec_b32 s8, vcc_hi
; %bb.827:                              ;   in Loop: Header=BB37_3 Depth=1
	s_delay_alu instid0(VALU_DEP_1) | instskip(NEXT) | instid1(VALU_DEP_2)
	v_xor_b32_e32 v39, 0x80000000, v37
	v_mov_b32_e32 v38, v36
	ds_store_b64 v61, v[38:39]
; %bb.828:                              ;   in Loop: Header=BB37_3 Depth=1
	s_or_b32 exec_lo, exec_lo, s8
	s_wait_dscnt 0x0
	s_barrier_signal -1
	s_barrier_wait -1
	s_barrier_signal -1
	s_barrier_wait -1
	s_and_saveexec_b32 s8, s0
; %bb.829:                              ;   in Loop: Header=BB37_3 Depth=1
	ds_store_b64 v63, v[36:37] offset:5696
; %bb.830:                              ;   in Loop: Header=BB37_3 Depth=1
	s_or_b32 exec_lo, exec_lo, s8
	s_wait_dscnt 0x0
	s_barrier_signal -1
	s_barrier_wait -1
	s_barrier_signal -1
	s_barrier_wait -1
	s_and_saveexec_b32 s8, s10
; %bb.831:                              ;   in Loop: Header=BB37_3 Depth=1
	v_add_nc_u32_e64 v36, 0x1000, 0
	ds_store_2addr_b64 v36, v[26:27], v[26:27] offset0:8 offset1:73
; %bb.832:                              ;   in Loop: Header=BB37_3 Depth=1
	s_or_b32 exec_lo, exec_lo, s8
	v_mov_b64_e32 v[36:37], 0
	s_wait_dscnt 0x0
	s_barrier_signal -1
	s_barrier_wait -1
	global_wb scope:SCOPE_DEV
	s_wait_storecnt 0x0
	global_inv scope:SCOPE_DEV
	s_and_saveexec_b32 s8, s2
	s_cbranch_execz .LBB37_842
; %bb.833:                              ;   in Loop: Header=BB37_3 Depth=1
	ds_load_b64 v[36:37], v64 offset:4096
	ds_load_b64 v[38:39], v49 offset:7744
	s_wait_dscnt 0x0
	v_fma_f64 v[36:37], v[36:37], v[38:39], 0
	s_and_saveexec_b32 s29, s14
	s_cbranch_execnz .LBB37_1047
; %bb.834:                              ;   in Loop: Header=BB37_3 Depth=1
	s_or_b32 exec_lo, exec_lo, s29
	s_and_saveexec_b32 s29, s15
	s_cbranch_execnz .LBB37_1048
.LBB37_835:                             ;   in Loop: Header=BB37_3 Depth=1
	s_or_b32 exec_lo, exec_lo, s29
	s_and_saveexec_b32 s29, s16
	s_cbranch_execnz .LBB37_1049
.LBB37_836:                             ;   in Loop: Header=BB37_3 Depth=1
	s_or_b32 exec_lo, exec_lo, s29
	s_and_saveexec_b32 s29, s17
	s_cbranch_execnz .LBB37_1050
.LBB37_837:                             ;   in Loop: Header=BB37_3 Depth=1
	s_or_b32 exec_lo, exec_lo, s29
	s_and_saveexec_b32 s29, s18
	s_cbranch_execnz .LBB37_1051
.LBB37_838:                             ;   in Loop: Header=BB37_3 Depth=1
	s_or_b32 exec_lo, exec_lo, s29
	s_and_saveexec_b32 s29, s1
	s_cbranch_execnz .LBB37_1052
.LBB37_839:                             ;   in Loop: Header=BB37_3 Depth=1
	s_or_b32 exec_lo, exec_lo, s29
	s_and_saveexec_b32 s29, s13
	s_cbranch_execz .LBB37_841
.LBB37_840:                             ;   in Loop: Header=BB37_3 Depth=1
	ds_load_b64 v[38:39], v46 offset:7680
	ds_load_b64 v[40:41], v7 offset:7800
	s_wait_dscnt 0x0
	v_fmac_f64_e32 v[36:37], v[38:39], v[40:41]
.LBB37_841:                             ;   in Loop: Header=BB37_3 Depth=1
	s_or_b32 exec_lo, exec_lo, s29
.LBB37_842:                             ;   in Loop: Header=BB37_3 Depth=1
	s_delay_alu instid0(SALU_CYCLE_1)
	s_or_b32 exec_lo, exec_lo, s8
	s_and_saveexec_b32 s8, s38
; %bb.843:                              ;   in Loop: Header=BB37_3 Depth=1
	s_delay_alu instid0(VALU_DEP_1) | instskip(NEXT) | instid1(VALU_DEP_2)
	v_xor_b32_e32 v39, 0x80000000, v37
	v_mov_b32_e32 v38, v36
	ds_store_b64 v68, v[38:39]
; %bb.844:                              ;   in Loop: Header=BB37_3 Depth=1
	s_or_b32 exec_lo, exec_lo, s8
	s_wait_loadcnt_dscnt 0x0
	s_barrier_signal -1
	s_barrier_wait -1
	s_and_saveexec_b32 s8, s39
	s_cbranch_execz .LBB37_846
; %bb.845:                              ;   in Loop: Header=BB37_3 Depth=1
	ds_load_b64 v[38:39], v64 offset:3584
	ds_load_b64 v[40:41], v68
	s_wait_dscnt 0x0
	v_fma_f64 v[36:37], -v[38:39], v[40:41], v[36:37]
.LBB37_846:                             ;   in Loop: Header=BB37_3 Depth=1
	s_or_b32 exec_lo, exec_lo, s8
	s_barrier_signal -1
	s_barrier_wait -1
	s_and_saveexec_b32 s8, s40
; %bb.847:                              ;   in Loop: Header=BB37_3 Depth=1
	s_delay_alu instid0(VALU_DEP_1) | instskip(NEXT) | instid1(VALU_DEP_2)
	v_xor_b32_e32 v39, 0x80000000, v37
	v_mov_b32_e32 v38, v36
	ds_store_b64 v68, v[38:39]
; %bb.848:                              ;   in Loop: Header=BB37_3 Depth=1
	s_or_b32 exec_lo, exec_lo, s8
	s_wait_dscnt 0x0
	s_barrier_signal -1
	s_barrier_wait -1
	s_and_saveexec_b32 s8, s41
	s_cbranch_execz .LBB37_850
; %bb.849:                              ;   in Loop: Header=BB37_3 Depth=1
	ds_load_b64 v[38:39], v64 offset:3072
	ds_load_b64 v[40:41], v68
	s_wait_dscnt 0x0
	v_fma_f64 v[36:37], -v[38:39], v[40:41], v[36:37]
.LBB37_850:                             ;   in Loop: Header=BB37_3 Depth=1
	s_or_b32 exec_lo, exec_lo, s8
	s_barrier_signal -1
	s_barrier_wait -1
	s_and_saveexec_b32 s8, s42
; %bb.851:                              ;   in Loop: Header=BB37_3 Depth=1
	s_delay_alu instid0(VALU_DEP_1) | instskip(NEXT) | instid1(VALU_DEP_2)
	v_xor_b32_e32 v39, 0x80000000, v37
	v_mov_b32_e32 v38, v36
	ds_store_b64 v68, v[38:39]
; %bb.852:                              ;   in Loop: Header=BB37_3 Depth=1
	s_or_b32 exec_lo, exec_lo, s8
	s_wait_dscnt 0x0
	;; [unrolled: 22-line block ×7, first 2 shown]
	s_barrier_signal -1
	s_barrier_wait -1
	s_barrier_signal -1
	s_barrier_wait -1
	s_and_saveexec_b32 s8, s2
; %bb.873:                              ;   in Loop: Header=BB37_3 Depth=1
	ds_store_b64 v69, v[36:37] offset:7680
; %bb.874:                              ;   in Loop: Header=BB37_3 Depth=1
	s_or_b32 exec_lo, exec_lo, s8
	s_wait_dscnt 0x0
	s_barrier_signal -1
	s_barrier_wait -1
	s_barrier_signal -1
	s_barrier_wait -1
	s_and_saveexec_b32 s8, s10
; %bb.875:                              ;   in Loop: Header=BB37_3 Depth=1
	v_add_nc_u32_e64 v36, 0x800, 0
	ds_store_2addr_b64 v36, v[26:27], v[26:27] offset0:134 offset1:199
; %bb.876:                              ;   in Loop: Header=BB37_3 Depth=1
	s_or_b32 exec_lo, exec_lo, s8
	v_mov_b64_e32 v[36:37], 0
	s_wait_dscnt 0x0
	s_barrier_signal -1
	s_barrier_wait -1
	global_wb scope:SCOPE_DEV
	s_wait_storecnt 0x0
	global_inv scope:SCOPE_DEV
	s_and_saveexec_b32 s8, s0
	s_cbranch_execz .LBB37_880
; %bb.877:                              ;   in Loop: Header=BB37_3 Depth=1
	ds_load_b64 v[36:37], v60 offset:3104
	ds_load_b64 v[38:39], v5 offset:3632
	s_wait_dscnt 0x0
	v_fma_f64 v[36:37], v[36:37], v[38:39], 0
	s_and_saveexec_b32 s29, s11
	s_cbranch_execz .LBB37_879
; %bb.878:                              ;   in Loop: Header=BB37_3 Depth=1
	ds_load_b64 v[38:39], v46 offset:3616
	ds_load_b64 v[40:41], v7 offset:3640
	s_wait_dscnt 0x0
	v_fmac_f64_e32 v[36:37], v[38:39], v[40:41]
.LBB37_879:                             ;   in Loop: Header=BB37_3 Depth=1
	s_or_b32 exec_lo, exec_lo, s29
.LBB37_880:                             ;   in Loop: Header=BB37_3 Depth=1
	s_delay_alu instid0(SALU_CYCLE_1)
	s_or_b32 exec_lo, exec_lo, s8
	s_and_saveexec_b32 s8, s104
; %bb.881:                              ;   in Loop: Header=BB37_3 Depth=1
	s_delay_alu instid0(VALU_DEP_1) | instskip(NEXT) | instid1(VALU_DEP_2)
	v_xor_b32_e32 v39, 0x80000000, v37
	v_mov_b32_e32 v38, v36
	ds_store_b64 v61, v[38:39]
; %bb.882:                              ;   in Loop: Header=BB37_3 Depth=1
	s_or_b32 exec_lo, exec_lo, s8
	s_wait_loadcnt_dscnt 0x0
	s_barrier_signal -1
	s_barrier_wait -1
	s_and_saveexec_b32 s8, vcc_hi
	s_cbranch_execz .LBB37_884
; %bb.883:                              ;   in Loop: Header=BB37_3 Depth=1
	ds_load_b64 v[38:39], v7 offset:2592
	ds_load_b64 v[40:41], v61
	s_wait_dscnt 0x0
	v_fma_f64 v[36:37], -v[38:39], v[40:41], v[36:37]
.LBB37_884:                             ;   in Loop: Header=BB37_3 Depth=1
	s_or_b32 exec_lo, exec_lo, s8
	s_barrier_signal -1
	s_barrier_wait -1
	s_and_saveexec_b32 s8, vcc_hi
; %bb.885:                              ;   in Loop: Header=BB37_3 Depth=1
	s_delay_alu instid0(VALU_DEP_1) | instskip(NEXT) | instid1(VALU_DEP_2)
	v_xor_b32_e32 v39, 0x80000000, v37
	v_mov_b32_e32 v38, v36
	ds_store_b64 v61, v[38:39]
; %bb.886:                              ;   in Loop: Header=BB37_3 Depth=1
	s_or_b32 exec_lo, exec_lo, s8
	s_wait_dscnt 0x0
	s_barrier_signal -1
	s_barrier_wait -1
	s_barrier_signal -1
	s_barrier_wait -1
	s_and_saveexec_b32 s8, s0
; %bb.887:                              ;   in Loop: Header=BB37_3 Depth=1
	ds_store_b64 v63, v[36:37] offset:3616
; %bb.888:                              ;   in Loop: Header=BB37_3 Depth=1
	s_or_b32 exec_lo, exec_lo, s8
	s_wait_dscnt 0x0
	s_barrier_signal -1
	s_barrier_wait -1
	s_barrier_signal -1
	s_barrier_wait -1
	s_and_saveexec_b32 s8, s10
; %bb.889:                              ;   in Loop: Header=BB37_3 Depth=1
	v_add_nc_u32_e64 v36, 0x800, 0
	ds_store_2addr_b64 v36, v[26:27], v[26:27] offset0:4 offset1:69
; %bb.890:                              ;   in Loop: Header=BB37_3 Depth=1
	s_or_b32 exec_lo, exec_lo, s8
	v_mov_b64_e32 v[36:37], 0
	s_wait_dscnt 0x0
	s_barrier_signal -1
	s_barrier_wait -1
	global_wb scope:SCOPE_DEV
	s_wait_storecnt 0x0
	global_inv scope:SCOPE_DEV
	s_and_saveexec_b32 s8, s1
	s_cbranch_execz .LBB37_896
; %bb.891:                              ;   in Loop: Header=BB37_3 Depth=1
	ds_load_b64 v[36:37], v62 offset:2048
	ds_load_b64 v[38:39], v47 offset:3616
	s_wait_dscnt 0x0
	v_fma_f64 v[36:37], v[36:37], v[38:39], 0
	s_and_saveexec_b32 s29, s12
	s_cbranch_execnz .LBB37_1053
; %bb.892:                              ;   in Loop: Header=BB37_3 Depth=1
	s_or_b32 exec_lo, exec_lo, s29
	s_and_saveexec_b32 s29, s13
	s_cbranch_execnz .LBB37_1054
.LBB37_893:                             ;   in Loop: Header=BB37_3 Depth=1
	s_or_b32 exec_lo, exec_lo, s29
	s_and_saveexec_b32 s29, s0
	s_cbranch_execz .LBB37_895
.LBB37_894:                             ;   in Loop: Header=BB37_3 Depth=1
	ds_load_b64 v[38:39], v46 offset:3584
	ds_load_b64 v[40:41], v7 offset:3640
	s_wait_dscnt 0x0
	v_fmac_f64_e32 v[36:37], v[38:39], v[40:41]
.LBB37_895:                             ;   in Loop: Header=BB37_3 Depth=1
	s_or_b32 exec_lo, exec_lo, s29
.LBB37_896:                             ;   in Loop: Header=BB37_3 Depth=1
	s_delay_alu instid0(SALU_CYCLE_1)
	s_or_b32 exec_lo, exec_lo, s8
	s_and_saveexec_b32 s8, s31
; %bb.897:                              ;   in Loop: Header=BB37_3 Depth=1
	s_delay_alu instid0(VALU_DEP_1) | instskip(NEXT) | instid1(VALU_DEP_2)
	v_xor_b32_e32 v39, 0x80000000, v37
	v_mov_b32_e32 v38, v36
	ds_store_b64 v65, v[38:39]
; %bb.898:                              ;   in Loop: Header=BB37_3 Depth=1
	s_or_b32 exec_lo, exec_lo, s8
	s_wait_loadcnt_dscnt 0x0
	s_barrier_signal -1
	s_barrier_wait -1
	s_and_saveexec_b32 s8, s33
	s_cbranch_execz .LBB37_900
; %bb.899:                              ;   in Loop: Header=BB37_3 Depth=1
	ds_load_b64 v[38:39], v62 offset:1536
	ds_load_b64 v[40:41], v65
	s_wait_dscnt 0x0
	v_fma_f64 v[36:37], -v[38:39], v[40:41], v[36:37]
.LBB37_900:                             ;   in Loop: Header=BB37_3 Depth=1
	s_or_b32 exec_lo, exec_lo, s8
	s_barrier_signal -1
	s_barrier_wait -1
	s_and_saveexec_b32 s8, s34
; %bb.901:                              ;   in Loop: Header=BB37_3 Depth=1
	s_delay_alu instid0(VALU_DEP_1) | instskip(NEXT) | instid1(VALU_DEP_2)
	v_xor_b32_e32 v39, 0x80000000, v37
	v_mov_b32_e32 v38, v36
	ds_store_b64 v65, v[38:39]
; %bb.902:                              ;   in Loop: Header=BB37_3 Depth=1
	s_or_b32 exec_lo, exec_lo, s8
	s_wait_dscnt 0x0
	s_barrier_signal -1
	s_barrier_wait -1
	s_and_saveexec_b32 s8, s35
	s_cbranch_execz .LBB37_904
; %bb.903:                              ;   in Loop: Header=BB37_3 Depth=1
	ds_load_b64 v[38:39], v62 offset:1024
	ds_load_b64 v[40:41], v65
	s_wait_dscnt 0x0
	v_fma_f64 v[36:37], -v[38:39], v[40:41], v[36:37]
.LBB37_904:                             ;   in Loop: Header=BB37_3 Depth=1
	s_or_b32 exec_lo, exec_lo, s8
	s_barrier_signal -1
	s_barrier_wait -1
	s_and_saveexec_b32 s8, s36
; %bb.905:                              ;   in Loop: Header=BB37_3 Depth=1
	s_delay_alu instid0(VALU_DEP_1) | instskip(NEXT) | instid1(VALU_DEP_2)
	v_xor_b32_e32 v39, 0x80000000, v37
	v_mov_b32_e32 v38, v36
	ds_store_b64 v65, v[38:39]
; %bb.906:                              ;   in Loop: Header=BB37_3 Depth=1
	s_or_b32 exec_lo, exec_lo, s8
	s_wait_dscnt 0x0
	;; [unrolled: 22-line block ×3, first 2 shown]
	s_barrier_signal -1
	s_barrier_wait -1
	s_barrier_signal -1
	s_barrier_wait -1
	s_and_saveexec_b32 s8, s1
; %bb.911:                              ;   in Loop: Header=BB37_3 Depth=1
	ds_store_b64 v67, v[36:37] offset:3584
; %bb.912:                              ;   in Loop: Header=BB37_3 Depth=1
	s_or_b32 exec_lo, exec_lo, s8
	s_wait_dscnt 0x0
	s_barrier_signal -1
	s_barrier_wait -1
	s_barrier_signal -1
	s_barrier_wait -1
	s_and_saveexec_b32 s8, s10
; %bb.913:                              ;   in Loop: Header=BB37_3 Depth=1
	ds_store_2addr_b64 v7, v[26:27], v[26:27] offset0:130 offset1:195
; %bb.914:                              ;   in Loop: Header=BB37_3 Depth=1
	s_or_b32 exec_lo, exec_lo, s8
	v_mov_b64_e32 v[36:37], 0
	s_wait_dscnt 0x0
	s_barrier_signal -1
	s_barrier_wait -1
	global_wb scope:SCOPE_DEV
	s_wait_storecnt 0x0
	global_inv scope:SCOPE_DEV
	s_and_saveexec_b32 s8, s0
	s_cbranch_execz .LBB37_918
; %bb.915:                              ;   in Loop: Header=BB37_3 Depth=1
	ds_load_b64 v[36:37], v60 offset:1024
	ds_load_b64 v[38:39], v5 offset:1552
	s_wait_dscnt 0x0
	v_fma_f64 v[36:37], v[36:37], v[38:39], 0
	s_and_saveexec_b32 s29, s11
	s_cbranch_execz .LBB37_917
; %bb.916:                              ;   in Loop: Header=BB37_3 Depth=1
	ds_load_b64 v[38:39], v46 offset:1536
	ds_load_b64 v[40:41], v7 offset:1560
	s_wait_dscnt 0x0
	v_fmac_f64_e32 v[36:37], v[38:39], v[40:41]
.LBB37_917:                             ;   in Loop: Header=BB37_3 Depth=1
	s_or_b32 exec_lo, exec_lo, s29
.LBB37_918:                             ;   in Loop: Header=BB37_3 Depth=1
	s_delay_alu instid0(SALU_CYCLE_1)
	s_or_b32 exec_lo, exec_lo, s8
	s_and_saveexec_b32 s8, s104
; %bb.919:                              ;   in Loop: Header=BB37_3 Depth=1
	s_delay_alu instid0(VALU_DEP_1) | instskip(NEXT) | instid1(VALU_DEP_2)
	v_xor_b32_e32 v39, 0x80000000, v37
	v_mov_b32_e32 v38, v36
	ds_store_b64 v61, v[38:39]
; %bb.920:                              ;   in Loop: Header=BB37_3 Depth=1
	s_or_b32 exec_lo, exec_lo, s8
	s_wait_loadcnt_dscnt 0x0
	s_barrier_signal -1
	s_barrier_wait -1
	s_and_saveexec_b32 s8, vcc_hi
	s_cbranch_execz .LBB37_922
; %bb.921:                              ;   in Loop: Header=BB37_3 Depth=1
	ds_load_b64 v[38:39], v7 offset:512
	ds_load_b64 v[40:41], v61
	s_wait_dscnt 0x0
	v_fma_f64 v[36:37], -v[38:39], v[40:41], v[36:37]
.LBB37_922:                             ;   in Loop: Header=BB37_3 Depth=1
	s_or_b32 exec_lo, exec_lo, s8
	s_barrier_signal -1
	s_barrier_wait -1
	s_and_saveexec_b32 s8, vcc_hi
; %bb.923:                              ;   in Loop: Header=BB37_3 Depth=1
	s_delay_alu instid0(VALU_DEP_1) | instskip(NEXT) | instid1(VALU_DEP_2)
	v_xor_b32_e32 v39, 0x80000000, v37
	v_mov_b32_e32 v38, v36
	ds_store_b64 v61, v[38:39]
; %bb.924:                              ;   in Loop: Header=BB37_3 Depth=1
	s_or_b32 exec_lo, exec_lo, s8
	s_wait_dscnt 0x0
	s_barrier_signal -1
	s_barrier_wait -1
	s_barrier_signal -1
	s_barrier_wait -1
	s_and_saveexec_b32 s8, s0
; %bb.925:                              ;   in Loop: Header=BB37_3 Depth=1
	ds_store_b64 v63, v[36:37] offset:1536
; %bb.926:                              ;   in Loop: Header=BB37_3 Depth=1
	s_or_b32 exec_lo, exec_lo, s8
	s_wait_dscnt 0x0
	s_barrier_signal -1
	s_barrier_wait -1
	s_barrier_signal -1
	s_barrier_wait -1
	s_and_saveexec_b32 s8, s10
; %bb.927:                              ;   in Loop: Header=BB37_3 Depth=1
	ds_store_2addr_b64 v7, v[26:27], v[26:27] offset1:65
; %bb.928:                              ;   in Loop: Header=BB37_3 Depth=1
	s_or_b32 exec_lo, exec_lo, s8
.LBB37_929:                             ;   in Loop: Header=BB37_3 Depth=1
	v_mov_b64_e32 v[36:37], 0
	s_mul_u64 s[96:97], s[80:81], s[84:85]
	s_wait_dscnt 0x0
	s_lshl_b64 s[96:97], s[96:97], 3
	s_barrier_signal -1
	s_add_nc_u64 s[96:97], s[74:75], s[96:97]
	s_barrier_wait -1
	s_and_saveexec_b32 s8, s25
	s_cbranch_execz .LBB37_931
; %bb.930:                              ;   in Loop: Header=BB37_3 Depth=1
	v_lshl_add_u64 v[36:37], v[12:13], 3, s[96:97]
	global_load_b64 v[36:37], v[36:37], off
	s_wait_loadcnt 0x0
	v_mul_f64_e64 v[36:37], v[36:37], -s[72:73]
.LBB37_931:                             ;   in Loop: Header=BB37_3 Depth=1
	s_or_b32 exec_lo, exec_lo, s8
	s_delay_alu instid0(SALU_CYCLE_1)
	s_and_not1_b32 vcc_lo, exec_lo, s27
	s_cbranch_vccnz .LBB37_957
; %bb.932:                              ;   in Loop: Header=BB37_3 Depth=1
	v_lshl_add_u64 v[38:39], v[8:9], 3, s[94:95]
	v_mov_b32_e32 v79, -1
	s_lshl_b64 s[58:59], s[84:85], 2
	s_mov_b32 s8, 0
	s_add_nc_u64 s[94:95], s[82:83], s[58:59]
	s_branch .LBB37_935
.LBB37_933:                             ;   in Loop: Header=BB37_935 Depth=2
	s_wait_xcnt 0x0
	ds_load_b64 v[40:41], v54 offset:384
	s_wait_loadcnt_dscnt 0x0
	v_fmac_f64_e32 v[36:37], v[42:43], v[40:41]
.LBB37_934:                             ;   in Loop: Header=BB37_935 Depth=2
	s_or_b32 exec_lo, exec_lo, s29
	s_add_co_i32 s8, s8, 1
	s_delay_alu instid0(SALU_CYCLE_1)
	s_cmp_eq_u32 s8, s99
	s_cbranch_scc1 .LBB37_957
.LBB37_935:                             ;   Parent Loop BB37_3 Depth=1
                                        ; =>  This Loop Header: Depth=2
                                        ;       Child Loop BB37_937 Depth 3
	v_cmp_gt_i32_e32 vcc_lo, s8, v79
	s_and_b32 s57, s55, vcc_lo
	s_delay_alu instid0(SALU_CYCLE_1)
	s_and_saveexec_b32 s29, s57
	s_cbranch_execz .LBB37_938
; %bb.936:                              ;   in Loop: Header=BB37_935 Depth=2
	global_load_b32 v79, v7, s[94:95]
	s_wait_loadcnt 0x0
	v_cmp_le_i32_e32 vcc_lo, s8, v79
	s_cbranch_vccnz .LBB37_938
.LBB37_937:                             ;   Parent Loop BB37_3 Depth=1
                                        ;     Parent Loop BB37_935 Depth=2
                                        ; =>    This Inner Loop Header: Depth=3
	global_wb scope:SCOPE_DEV
	s_wait_storecnt 0x0
	global_inv scope:SCOPE_DEV
	global_load_b32 v79, v7, s[94:95]
	s_wait_loadcnt 0x0
	v_cmp_gt_i32_e32 vcc_lo, s8, v79
	s_cbranch_vccnz .LBB37_937
.LBB37_938:                             ;   in Loop: Header=BB37_935 Depth=2
	s_or_b32 exec_lo, exec_lo, s29
	s_sub_co_i32 s65, s100, s8
	global_wb scope:SCOPE_DEV
	s_wait_storecnt 0x0
	global_inv scope:SCOPE_DEV
	s_lshl_b32 s29, s65, 6
	s_wait_loadcnt 0x0
	s_barrier_signal -1
	s_barrier_wait -1
	s_and_saveexec_b32 s57, s56
	s_cbranch_execz .LBB37_942
; %bb.939:                              ;   in Loop: Header=BB37_935 Depth=2
	s_ashr_i32 s58, s29, 31
	v_mov_b64_e32 v[42:43], 0
	v_dual_mov_b32 v41, s58 :: v_dual_bitop2_b32 v40, s29, v6 bitop3:0x54
	s_mov_b32 s58, exec_lo
	s_delay_alu instid0(VALU_DEP_1)
	v_cmpx_gt_i64_e64 s[86:87], v[40:41]
	s_cbranch_execz .LBB37_941
; %bb.940:                              ;   in Loop: Header=BB37_935 Depth=2
	v_mul_u64_e32 v[40:41], s[78:79], v[40:41]
	s_delay_alu instid0(VALU_DEP_1)
	v_lshl_add_u64 v[40:41], v[40:41], 3, s[96:97]
	global_load_b64 v[42:43], v[40:41], off
.LBB37_941:                             ;   in Loop: Header=BB37_935 Depth=2
	s_wait_xcnt 0x0
	s_or_b32 exec_lo, exec_lo, s58
	s_wait_loadcnt 0x0
	ds_store_b64 v53, v[42:43]
.LBB37_942:                             ;   in Loop: Header=BB37_935 Depth=2
	s_or_b32 exec_lo, exec_lo, s57
	v_add_nc_u32_e32 v42, s29, v2
	s_cmp_lg_u32 s65, s64
	s_wait_dscnt 0x0
	s_cselect_b32 s57, -1, 0
	s_barrier_signal -1
	v_ashrrev_i32_e32 v43, 31, v42
	v_cmp_gt_i32_e32 vcc_lo, s86, v42
	s_barrier_wait -1
	s_delay_alu instid0(VALU_DEP_2) | instskip(SKIP_2) | instid1(VALU_DEP_2)
	v_mul_u64_e32 v[40:41], s[68:69], v[42:43]
	v_cndmask_b32_e64 v43, 0, 1, s57
	s_and_b32 s58, s5, vcc_lo
	v_lshl_add_u64 v[40:41], v[40:41], 3, v[38:39]
	s_and_saveexec_b32 s29, s58
	s_cbranch_execz .LBB37_946
; %bb.943:                              ;   in Loop: Header=BB37_935 Depth=2
	v_mov_b64_e32 v[44:45], v[28:29]
	s_and_not1_b32 vcc_lo, exec_lo, s57
	s_cbranch_vccnz .LBB37_945
; %bb.944:                              ;   in Loop: Header=BB37_935 Depth=2
	global_load_b64 v[44:45], v[40:41], off
.LBB37_945:                             ;   in Loop: Header=BB37_935 Depth=2
	ds_load_b64 v[80:81], v54
	s_wait_loadcnt_dscnt 0x0
	v_fmac_f64_e32 v[36:37], v[44:45], v[80:81]
.LBB37_946:                             ;   in Loop: Header=BB37_935 Depth=2
	s_or_b32 exec_lo, exec_lo, s29
	v_add_nc_u32_e32 v44, 16, v42
	s_delay_alu instid0(VALU_DEP_1) | instskip(SKIP_1) | instid1(SALU_CYCLE_1)
	v_cmp_gt_i32_e32 vcc_lo, s86, v44
	s_and_b32 s57, s5, vcc_lo
	s_and_saveexec_b32 s29, s57
	s_cbranch_execz .LBB37_950
; %bb.947:                              ;   in Loop: Header=BB37_935 Depth=2
	v_cmp_ne_u32_e32 vcc_lo, 1, v43
	v_mov_b64_e32 v[44:45], v[30:31]
	s_cbranch_vccnz .LBB37_949
; %bb.948:                              ;   in Loop: Header=BB37_935 Depth=2
	v_add_nc_u64_e32 v[44:45], s[88:89], v[40:41]
	global_load_b64 v[44:45], v[44:45], off
.LBB37_949:                             ;   in Loop: Header=BB37_935 Depth=2
	ds_load_b64 v[80:81], v54 offset:128
	s_wait_loadcnt_dscnt 0x0
	v_fmac_f64_e32 v[36:37], v[44:45], v[80:81]
.LBB37_950:                             ;   in Loop: Header=BB37_935 Depth=2
	s_or_b32 exec_lo, exec_lo, s29
	v_add_nc_u32_e32 v44, 32, v42
	s_delay_alu instid0(VALU_DEP_1) | instskip(SKIP_1) | instid1(SALU_CYCLE_1)
	v_cmp_gt_i32_e32 vcc_lo, s86, v44
	s_and_b32 s57, s5, vcc_lo
	s_and_saveexec_b32 s29, s57
	s_cbranch_execz .LBB37_954
; %bb.951:                              ;   in Loop: Header=BB37_935 Depth=2
	v_cmp_ne_u32_e32 vcc_lo, 1, v43
	v_mov_b64_e32 v[44:45], v[32:33]
	s_cbranch_vccnz .LBB37_953
; %bb.952:                              ;   in Loop: Header=BB37_935 Depth=2
	v_add_nc_u64_e32 v[44:45], s[90:91], v[40:41]
	global_load_b64 v[44:45], v[44:45], off
.LBB37_953:                             ;   in Loop: Header=BB37_935 Depth=2
	ds_load_b64 v[80:81], v54 offset:256
	s_wait_loadcnt_dscnt 0x0
	v_fmac_f64_e32 v[36:37], v[44:45], v[80:81]
.LBB37_954:                             ;   in Loop: Header=BB37_935 Depth=2
	s_or_b32 exec_lo, exec_lo, s29
	v_add_nc_u32_e32 v42, 48, v42
	s_delay_alu instid0(VALU_DEP_1) | instskip(SKIP_1) | instid1(SALU_CYCLE_1)
	v_cmp_gt_i32_e32 vcc_lo, s86, v42
	s_and_b32 s57, s5, vcc_lo
	s_and_saveexec_b32 s29, s57
	s_cbranch_execz .LBB37_934
; %bb.955:                              ;   in Loop: Header=BB37_935 Depth=2
	v_cmp_ne_u32_e32 vcc_lo, 1, v43
	v_mov_b64_e32 v[42:43], v[34:35]
	s_cbranch_vccnz .LBB37_933
; %bb.956:                              ;   in Loop: Header=BB37_935 Depth=2
	v_add_nc_u64_e32 v[40:41], s[92:93], v[40:41]
	global_load_b64 v[42:43], v[40:41], off
	s_branch .LBB37_933
.LBB37_957:                             ;   in Loop: Header=BB37_3 Depth=1
	ds_store_b64 v55, v[36:37]
	s_wait_dscnt 0x0
	s_barrier_signal -1
	s_barrier_wait -1
	s_and_saveexec_b32 s8, s4
	s_cbranch_execz .LBB37_959
; %bb.958:                              ;   in Loop: Header=BB37_3 Depth=1
	ds_load_2addr_stride64_b64 v[38:41], v56 offset0:1 offset1:2
	ds_load_2addr_stride64_b64 v[42:45], v56 offset0:3 offset1:4
	s_wait_dscnt 0x1
	v_add_f64_e32 v[36:37], v[36:37], v[38:39]
	s_delay_alu instid0(VALU_DEP_1) | instskip(SKIP_1) | instid1(VALU_DEP_1)
	v_add_f64_e32 v[36:37], v[36:37], v[40:41]
	s_wait_dscnt 0x0
	v_add_f64_e32 v[36:37], v[36:37], v[42:43]
	s_delay_alu instid0(VALU_DEP_1) | instskip(SKIP_4) | instid1(VALU_DEP_1)
	v_add_f64_e32 v[44:45], v[36:37], v[44:45]
	ds_load_2addr_stride64_b64 v[36:39], v56 offset0:5 offset1:6
	ds_load_2addr_stride64_b64 v[40:43], v56 offset0:7 offset1:8
	s_wait_dscnt 0x1
	v_add_f64_e32 v[36:37], v[44:45], v[36:37]
	v_add_f64_e32 v[36:37], v[36:37], v[38:39]
	s_wait_dscnt 0x0
	s_delay_alu instid0(VALU_DEP_1) | instskip(NEXT) | instid1(VALU_DEP_1)
	v_add_f64_e32 v[36:37], v[36:37], v[40:41]
	v_add_f64_e32 v[44:45], v[36:37], v[42:43]
	ds_load_2addr_stride64_b64 v[36:39], v56 offset0:9 offset1:10
	ds_load_2addr_stride64_b64 v[40:43], v56 offset0:11 offset1:12
	s_wait_dscnt 0x1
	v_add_f64_e32 v[36:37], v[44:45], v[36:37]
	s_delay_alu instid0(VALU_DEP_1) | instskip(SKIP_1) | instid1(VALU_DEP_1)
	v_add_f64_e32 v[36:37], v[36:37], v[38:39]
	s_wait_dscnt 0x0
	v_add_f64_e32 v[36:37], v[36:37], v[40:41]
	s_delay_alu instid0(VALU_DEP_1) | instskip(SKIP_4) | instid1(VALU_DEP_1)
	v_add_f64_e32 v[40:41], v[36:37], v[42:43]
	ds_load_2addr_stride64_b64 v[36:39], v56 offset0:13 offset1:14
	ds_load_b64 v[42:43], v56 offset:7680
	s_wait_dscnt 0x1
	v_add_f64_e32 v[36:37], v[40:41], v[36:37]
	v_add_f64_e32 v[36:37], v[36:37], v[38:39]
	s_wait_dscnt 0x0
	s_delay_alu instid0(VALU_DEP_1) | instskip(NEXT) | instid1(VALU_DEP_1)
	v_add_f64_e32 v[36:37], v[36:37], v[42:43]
	v_xor_b32_e32 v37, 0x80000000, v37
	s_delay_alu instid0(VALU_DEP_2) | instskip(NEXT) | instid1(VALU_DEP_2)
	v_cndmask_b32_e64 v36, v36, 0, s21
	v_cndmask_b32_e64 v37, v37, 0, s21
.LBB37_959:                             ;   in Loop: Header=BB37_3 Depth=1
	s_or_b32 exec_lo, exec_lo, s8
	s_delay_alu instid0(SALU_CYCLE_1)
	s_and_not1_b32 vcc_lo, exec_lo, s103
	s_cbranch_vccnz .LBB37_972
; %bb.960:                              ;   in Loop: Header=BB37_3 Depth=1
	s_and_saveexec_b32 s8, s4
; %bb.961:                              ;   in Loop: Header=BB37_3 Depth=1
	ds_store_b64 v58, v[36:37]
; %bb.962:                              ;   in Loop: Header=BB37_3 Depth=1
	s_or_b32 exec_lo, exec_lo, s8
	v_mov_b64_e32 v[38:39], 0
	s_wait_dscnt 0x0
	s_barrier_signal -1
	s_barrier_wait -1
	s_mov_b32 s8, exec_lo
	v_readlane_b32 s29, v85, 29
	s_and_b32 s29, s8, s29
	s_delay_alu instid0(SALU_CYCLE_1)
	s_mov_b32 exec_lo, s29
	s_cbranch_execz .LBB37_964
; %bb.963:                              ;   in Loop: Header=BB37_3 Depth=1
	ds_load_b64 v[38:39], v57
	ds_load_b64 v[40:41], v54
	s_wait_dscnt 0x0
	v_fma_f64 v[38:39], v[38:39], v[40:41], 0
.LBB37_964:                             ;   in Loop: Header=BB37_3 Depth=1
	s_or_b32 exec_lo, exec_lo, s8
	s_delay_alu instid0(SALU_CYCLE_1) | instskip(SKIP_2) | instid1(SALU_CYCLE_1)
	s_mov_b32 s8, exec_lo
	v_readlane_b32 s29, v85, 30
	s_and_b32 s29, s8, s29
	s_mov_b32 exec_lo, s29
	s_cbranch_execz .LBB37_966
; %bb.965:                              ;   in Loop: Header=BB37_3 Depth=1
	ds_load_b64 v[40:41], v57 offset:8192
	ds_load_b64 v[42:43], v54 offset:128
	s_wait_dscnt 0x0
	v_fmac_f64_e32 v[38:39], v[40:41], v[42:43]
.LBB37_966:                             ;   in Loop: Header=BB37_3 Depth=1
	s_or_b32 exec_lo, exec_lo, s8
	s_delay_alu instid0(SALU_CYCLE_1) | instskip(SKIP_2) | instid1(SALU_CYCLE_1)
	s_mov_b32 s8, exec_lo
	v_readlane_b32 s29, v85, 31
	s_and_b32 s29, s8, s29
	s_mov_b32 exec_lo, s29
	s_cbranch_execz .LBB37_968
; %bb.967:                              ;   in Loop: Header=BB37_3 Depth=1
	ds_load_b64 v[40:41], v57 offset:16384
	ds_load_b64 v[42:43], v54 offset:256
	s_wait_dscnt 0x0
	v_fmac_f64_e32 v[38:39], v[40:41], v[42:43]
.LBB37_968:                             ;   in Loop: Header=BB37_3 Depth=1
	;; [unrolled: 13-line block ×3, first 2 shown]
	s_or_b32 exec_lo, exec_lo, s8
	s_mov_b32 s8, 0
	s_mov_b32 s94, 0
	ds_store_b64 v55, v[38:39]
	s_wait_dscnt 0x0
	s_barrier_signal -1
	s_barrier_wait -1
                                        ; implicit-def: $vgpr40_vgpr41
	s_and_saveexec_b32 s95, s4
	s_cbranch_execz .LBB37_1001
; %bb.971:                              ;   in Loop: Header=BB37_3 Depth=1
	ds_load_2addr_stride64_b64 v[40:43], v56 offset0:1 offset1:2
	ds_load_2addr_stride64_b64 v[80:83], v56 offset0:3 offset1:4
	s_mov_b32 s94, exec_lo
	s_wait_dscnt 0x1
	v_add_f64_e32 v[38:39], v[38:39], v[40:41]
	s_delay_alu instid0(VALU_DEP_1) | instskip(SKIP_1) | instid1(VALU_DEP_1)
	v_add_f64_e32 v[38:39], v[42:43], v[38:39]
	s_wait_dscnt 0x0
	v_add_f64_e32 v[38:39], v[80:81], v[38:39]
	s_delay_alu instid0(VALU_DEP_1) | instskip(SKIP_4) | instid1(VALU_DEP_1)
	v_add_f64_e32 v[80:81], v[82:83], v[38:39]
	ds_load_2addr_stride64_b64 v[38:41], v56 offset0:5 offset1:6
	ds_load_2addr_stride64_b64 v[42:45], v56 offset0:7 offset1:8
	s_wait_dscnt 0x1
	v_add_f64_e32 v[38:39], v[38:39], v[80:81]
	v_add_f64_e32 v[38:39], v[40:41], v[38:39]
	s_wait_dscnt 0x0
	s_delay_alu instid0(VALU_DEP_1) | instskip(NEXT) | instid1(VALU_DEP_1)
	v_add_f64_e32 v[38:39], v[42:43], v[38:39]
	v_add_f64_e32 v[80:81], v[44:45], v[38:39]
	ds_load_2addr_stride64_b64 v[38:41], v56 offset0:9 offset1:10
	ds_load_2addr_stride64_b64 v[42:45], v56 offset0:11 offset1:12
	s_wait_dscnt 0x1
	v_add_f64_e32 v[38:39], v[38:39], v[80:81]
	s_delay_alu instid0(VALU_DEP_1) | instskip(SKIP_1) | instid1(VALU_DEP_1)
	v_add_f64_e32 v[38:39], v[40:41], v[38:39]
	s_wait_dscnt 0x0
	v_add_f64_e32 v[38:39], v[42:43], v[38:39]
	s_delay_alu instid0(VALU_DEP_1) | instskip(SKIP_4) | instid1(VALU_DEP_1)
	v_add_f64_e32 v[42:43], v[44:45], v[38:39]
	ds_load_2addr_stride64_b64 v[38:41], v56 offset0:13 offset1:14
	ds_load_b64 v[44:45], v56 offset:7680
	s_wait_dscnt 0x1
	v_add_f64_e32 v[38:39], v[38:39], v[42:43]
	v_add_f64_e32 v[38:39], v[40:41], v[38:39]
	s_wait_dscnt 0x0
	s_delay_alu instid0(VALU_DEP_1) | instskip(SKIP_1) | instid1(SALU_CYCLE_1)
	v_add_f64_e32 v[40:41], v[44:45], v[38:39]
	s_or_b32 exec_lo, exec_lo, s95
	s_and_b32 vcc_lo, exec_lo, s8
	s_cbranch_vccnz .LBB37_973
	s_branch .LBB37_1002
.LBB37_972:                             ;   in Loop: Header=BB37_3 Depth=1
	s_mov_b32 s94, 0
                                        ; implicit-def: $vgpr40_vgpr41
	s_cbranch_execz .LBB37_1002
.LBB37_973:                             ;   in Loop: Header=BB37_3 Depth=1
	v_dual_mov_b32 v38, v78 :: v_dual_mov_b32 v39, v77
	s_mov_b32 s8, 63
	s_branch .LBB37_975
.LBB37_974:                             ;   in Loop: Header=BB37_975 Depth=2
	s_or_b32 exec_lo, exec_lo, s29
	v_add_nc_u32_e32 v39, 0xfffff800, v39
	v_add_nc_u32_e32 v38, 4, v38
	s_add_co_i32 s8, s8, -4
	s_cmp_lg_u32 s65, 0
	s_barrier_signal -1
	s_barrier_wait -1
	s_cbranch_scc0 .LBB37_991
.LBB37_975:                             ;   Parent Loop BB37_3 Depth=1
                                        ; =>  This Inner Loop Header: Depth=2
	s_delay_alu instid0(VALU_DEP_1) | instskip(SKIP_1) | instid1(SALU_CYCLE_1)
	v_cmp_eq_u32_e32 vcc_lo, 0, v38
	s_and_b32 s57, s4, vcc_lo
	s_and_saveexec_b32 s29, s57
; %bb.976:                              ;   in Loop: Header=BB37_975 Depth=2
	ds_store_b64 v7, v[36:37] offset:41472
; %bb.977:                              ;   in Loop: Header=BB37_975 Depth=2
	s_or_b32 exec_lo, exec_lo, s29
	v_cmp_gt_u32_e32 vcc_lo, s8, v4
	s_wait_dscnt 0x0
	s_barrier_signal -1
	s_barrier_wait -1
	s_and_b32 s57, s4, vcc_lo
	s_delay_alu instid0(SALU_CYCLE_1)
	s_and_saveexec_b32 s29, s57
	s_cbranch_execz .LBB37_979
; %bb.978:                              ;   in Loop: Header=BB37_975 Depth=2
	ds_load_b64 v[40:41], v39 offset:1536
	ds_load_b64 v[42:43], v7 offset:41472
	s_wait_dscnt 0x0
	v_fmac_f64_e32 v[36:37], v[40:41], v[42:43]
.LBB37_979:                             ;   in Loop: Header=BB37_975 Depth=2
	s_or_b32 exec_lo, exec_lo, s29
	s_add_co_i32 s29, s8, -1
	s_delay_alu instid0(SALU_CYCLE_1) | instskip(SKIP_3) | instid1(SALU_CYCLE_1)
	v_cmp_eq_u32_e32 vcc_lo, s29, v4
	s_barrier_signal -1
	s_barrier_wait -1
	s_and_b32 s58, s4, vcc_lo
	s_and_saveexec_b32 s57, s58
; %bb.980:                              ;   in Loop: Header=BB37_975 Depth=2
	ds_store_b64 v7, v[36:37] offset:41472
; %bb.981:                              ;   in Loop: Header=BB37_975 Depth=2
	s_or_b32 exec_lo, exec_lo, s57
	v_cmp_gt_u32_e32 vcc_lo, s29, v4
	s_wait_dscnt 0x0
	s_barrier_signal -1
	s_barrier_wait -1
	s_and_b32 s57, s4, vcc_lo
	s_delay_alu instid0(SALU_CYCLE_1)
	s_and_saveexec_b32 s29, s57
	s_cbranch_execz .LBB37_983
; %bb.982:                              ;   in Loop: Header=BB37_975 Depth=2
	ds_load_b64 v[40:41], v39 offset:1024
	ds_load_b64 v[42:43], v7 offset:41472
	s_wait_dscnt 0x0
	v_fmac_f64_e32 v[36:37], v[40:41], v[42:43]
.LBB37_983:                             ;   in Loop: Header=BB37_975 Depth=2
	s_or_b32 exec_lo, exec_lo, s29
	s_add_co_i32 s29, s8, -2
	s_delay_alu instid0(SALU_CYCLE_1) | instskip(SKIP_3) | instid1(SALU_CYCLE_1)
	v_cmp_eq_u32_e32 vcc_lo, s29, v4
	s_barrier_signal -1
	s_barrier_wait -1
	;; [unrolled: 26-line block ×3, first 2 shown]
	s_and_b32 s57, s4, vcc_lo
	s_and_saveexec_b32 s29, s57
; %bb.988:                              ;   in Loop: Header=BB37_975 Depth=2
	ds_store_b64 v7, v[36:37] offset:41472
; %bb.989:                              ;   in Loop: Header=BB37_975 Depth=2
	s_or_b32 exec_lo, exec_lo, s29
	v_cmp_gt_u32_e32 vcc_lo, s65, v4
	s_wait_dscnt 0x0
	s_barrier_signal -1
	s_barrier_wait -1
	s_and_b32 s57, s4, vcc_lo
	s_delay_alu instid0(SALU_CYCLE_1)
	s_and_saveexec_b32 s29, s57
	s_cbranch_execz .LBB37_974
; %bb.990:                              ;   in Loop: Header=BB37_975 Depth=2
	ds_load_b64 v[40:41], v39
	ds_load_b64 v[42:43], v7 offset:41472
	s_wait_dscnt 0x0
	v_fmac_f64_e32 v[36:37], v[40:41], v[42:43]
	s_branch .LBB37_974
.LBB37_991:                             ;   in Loop: Header=BB37_3 Depth=1
	s_and_b32 vcc_lo, exec_lo, s101
	s_mov_b32 s8, -1
	s_cbranch_vccnz .LBB37_1003
; %bb.992:                              ;   in Loop: Header=BB37_3 Depth=1
	s_and_not1_b32 vcc_lo, exec_lo, s8
	s_cbranch_vccz .LBB37_1004
.LBB37_993:                             ;   in Loop: Header=BB37_3 Depth=1
	s_and_saveexec_b32 s8, s94
	s_cbranch_execz .LBB37_995
.LBB37_994:                             ;   in Loop: Header=BB37_3 Depth=1
	v_lshl_add_u64 v[38:39], v[0:1], 3, s[96:97]
	global_store_b64 v[38:39], v[36:37], off
.LBB37_995:                             ;   in Loop: Header=BB37_3 Depth=1
	s_wait_xcnt 0x0
	s_or_b32 exec_lo, exec_lo, s8
	global_wb scope:SCOPE_DEV
	s_wait_storecnt 0x0
	global_inv scope:SCOPE_DEV
	s_wait_loadcnt 0x0
	s_barrier_signal -1
	s_barrier_wait -1
	s_and_saveexec_b32 s8, s55
	s_cbranch_execz .LBB37_2
; %bb.996:                              ;   in Loop: Header=BB37_3 Depth=1
	s_lshl_b64 s[58:59], s[84:85], 2
	s_delay_alu instid0(SALU_CYCLE_1)
	s_add_nc_u64 s[58:59], s[82:83], s[58:59]
	global_load_b32 v36, v7, s[58:59]
	s_wait_loadcnt 0x0
	v_add_nc_u32_e32 v36, 1, v36
	global_store_b32 v7, v36, s[58:59]
	s_branch .LBB37_2
.LBB37_997:                             ;   in Loop: Header=BB37_3 Depth=1
	v_readlane_b32 s8, v84, 1
	s_and_b32 s8, s8, exec_lo
	s_or_saveexec_b32 s29, s29
	v_mov_b64_e32 v[38:39], 0
	s_xor_b32 exec_lo, exec_lo, s29
	s_cbranch_execz .LBB37_16
.LBB37_998:                             ;   in Loop: Header=BB37_3 Depth=1
	v_lshl_add_u64 v[38:39], v[14:15], 3, v[36:37]
	s_or_b32 s8, s8, exec_lo
	global_load_b64 v[38:39], v[38:39], off
	s_wait_loadcnt 0x0
	v_xor_b32_e32 v39, 0x80000000, v39
	s_or_b32 exec_lo, exec_lo, s29
	s_and_saveexec_b32 s29, s8
	s_cbranch_execnz .LBB37_17
	s_branch .LBB37_18
.LBB37_999:                             ;   in Loop: Header=BB37_3 Depth=1
	v_readlane_b32 s8, v84, 1
	s_and_b32 s8, s8, exec_lo
	s_or_saveexec_b32 s29, s29
	v_mov_b64_e32 v[38:39], 0
	s_xor_b32 exec_lo, exec_lo, s29
	s_cbranch_execz .LBB37_40
.LBB37_1000:                            ;   in Loop: Header=BB37_3 Depth=1
	v_lshl_add_u64 v[38:39], v[14:15], 3, v[36:37]
	s_or_b32 s8, s8, exec_lo
	global_load_b64 v[38:39], v[38:39], off
	s_wait_loadcnt 0x0
	v_xor_b32_e32 v39, 0x80000000, v39
	s_or_b32 exec_lo, exec_lo, s29
	s_and_saveexec_b32 s29, s8
	s_cbranch_execnz .LBB37_41
	s_branch .LBB37_42
.LBB37_1001:                            ;   in Loop: Header=BB37_3 Depth=1
	s_or_b32 exec_lo, exec_lo, s95
	s_delay_alu instid0(SALU_CYCLE_1)
	s_and_b32 vcc_lo, exec_lo, s8
	s_cbranch_vccnz .LBB37_973
.LBB37_1002:                            ;   in Loop: Header=BB37_3 Depth=1
	s_delay_alu instid0(VALU_DEP_1)
	v_mov_b64_e32 v[36:37], v[40:41]
	s_and_saveexec_b32 s8, s94
	s_cbranch_execnz .LBB37_994
	s_branch .LBB37_995
.LBB37_1003:                            ;   in Loop: Header=BB37_3 Depth=1
	s_and_not1_b32 s29, s94, exec_lo
	s_and_b32 s57, s4, exec_lo
	s_delay_alu instid0(SALU_CYCLE_1)
	s_or_b32 s94, s29, s57
	s_cbranch_execnz .LBB37_993
.LBB37_1004:                            ;   in Loop: Header=BB37_3 Depth=1
	v_readlane_b32 s29, v86, 14
	s_and_not1_b32 s8, s94, exec_lo
	s_and_b32 s29, s29, exec_lo
	s_delay_alu instid0(SALU_CYCLE_1) | instskip(NEXT) | instid1(SALU_CYCLE_1)
	s_or_b32 s94, s8, s29
	s_and_saveexec_b32 s8, s94
	s_cbranch_execnz .LBB37_994
	s_branch .LBB37_995
.LBB37_1005:                            ;   in Loop: Header=BB37_3 Depth=1
	ds_load_b64 v[38:39], v62 offset:31680
	ds_load_b64 v[40:41], v47 offset:32744
	s_wait_dscnt 0x0
	v_fmac_f64_e32 v[36:37], v[38:39], v[40:41]
	s_or_b32 exec_lo, exec_lo, s29
	s_and_saveexec_b32 s29, s13
	s_cbranch_execz .LBB37_81
.LBB37_1006:                            ;   in Loop: Header=BB37_3 Depth=1
	ds_load_b64 v[38:39], v62 offset:32192
	ds_load_b64 v[40:41], v47 offset:32752
	s_wait_dscnt 0x0
	v_fmac_f64_e32 v[36:37], v[38:39], v[40:41]
	s_or_b32 exec_lo, exec_lo, s29
	s_and_saveexec_b32 s29, s0
	s_cbranch_execnz .LBB37_82
	s_branch .LBB37_83
.LBB37_1007:                            ;   in Loop: Header=BB37_3 Depth=1
	ds_load_b64 v[38:39], v64 offset:29568
	ds_load_b64 v[40:41], v49 offset:32712
	s_wait_dscnt 0x0
	v_fmac_f64_e32 v[36:37], v[38:39], v[40:41]
	s_or_b32 exec_lo, exec_lo, s29
	s_and_saveexec_b32 s29, s15
	s_cbranch_execz .LBB37_119
.LBB37_1008:                            ;   in Loop: Header=BB37_3 Depth=1
	ds_load_b64 v[38:39], v64 offset:30080
	ds_load_b64 v[40:41], v49 offset:32720
	s_wait_dscnt 0x0
	v_fmac_f64_e32 v[36:37], v[38:39], v[40:41]
	s_or_b32 exec_lo, exec_lo, s29
	s_and_saveexec_b32 s29, s16
	s_cbranch_execz .LBB37_120
.LBB37_1009:                            ;   in Loop: Header=BB37_3 Depth=1
	ds_load_b64 v[38:39], v64 offset:30592
	ds_load_b64 v[40:41], v49 offset:32728
	s_wait_dscnt 0x0
	v_fmac_f64_e32 v[36:37], v[38:39], v[40:41]
	s_or_b32 exec_lo, exec_lo, s29
	s_and_saveexec_b32 s29, s17
	s_cbranch_execz .LBB37_121
.LBB37_1010:                            ;   in Loop: Header=BB37_3 Depth=1
	ds_load_b64 v[38:39], v64 offset:31104
	ds_load_b64 v[40:41], v49 offset:32736
	s_wait_dscnt 0x0
	v_fmac_f64_e32 v[36:37], v[38:39], v[40:41]
	s_or_b32 exec_lo, exec_lo, s29
	s_and_saveexec_b32 s29, s18
	s_cbranch_execz .LBB37_122
.LBB37_1011:                            ;   in Loop: Header=BB37_3 Depth=1
	ds_load_b64 v[38:39], v64 offset:31616
	ds_load_b64 v[40:41], v49 offset:32744
	s_wait_dscnt 0x0
	v_fmac_f64_e32 v[36:37], v[38:39], v[40:41]
	s_or_b32 exec_lo, exec_lo, s29
	s_and_saveexec_b32 s29, s1
	s_cbranch_execz .LBB37_123
.LBB37_1012:                            ;   in Loop: Header=BB37_3 Depth=1
	ds_load_b64 v[38:39], v64 offset:32128
	ds_load_b64 v[40:41], v49 offset:32752
	s_wait_dscnt 0x0
	v_fmac_f64_e32 v[36:37], v[38:39], v[40:41]
	s_or_b32 exec_lo, exec_lo, s29
	s_and_saveexec_b32 s29, s13
	s_cbranch_execnz .LBB37_124
	s_branch .LBB37_125
.LBB37_1013:                            ;   in Loop: Header=BB37_3 Depth=1
	ds_load_b64 v[38:39], v62 offset:27520
	ds_load_b64 v[40:41], v47 offset:28584
	s_wait_dscnt 0x0
	v_fmac_f64_e32 v[36:37], v[38:39], v[40:41]
	s_or_b32 exec_lo, exec_lo, s29
	s_and_saveexec_b32 s29, s13
	s_cbranch_execz .LBB37_177
.LBB37_1014:                            ;   in Loop: Header=BB37_3 Depth=1
	ds_load_b64 v[38:39], v62 offset:28032
	ds_load_b64 v[40:41], v47 offset:28592
	s_wait_dscnt 0x0
	v_fmac_f64_e32 v[36:37], v[38:39], v[40:41]
	s_or_b32 exec_lo, exec_lo, s29
	s_and_saveexec_b32 s29, s0
	s_cbranch_execnz .LBB37_178
	s_branch .LBB37_179
.LBB37_1015:                            ;   in Loop: Header=BB37_3 Depth=1
	ds_load_b64 v[38:39], v66 offset:30464
	ds_load_b64 v[40:41], v50 offset:32728
	s_wait_dscnt 0x0
	v_fmac_f64_e32 v[36:37], v[38:39], v[40:41]
	s_or_b32 exec_lo, exec_lo, s29
	s_and_saveexec_b32 s29, s2
	s_cbranch_execz .LBB37_235
.LBB37_1016:                            ;   in Loop: Header=BB37_3 Depth=1
	ds_load_b64 v[38:39], v66 offset:30976
	ds_load_b64 v[40:41], v50 offset:32736
	s_wait_dscnt 0x0
	v_fmac_f64_e32 v[36:37], v[38:39], v[40:41]
	s_or_b32 exec_lo, exec_lo, s29
	s_and_saveexec_b32 s29, s15
	s_cbranch_execz .LBB37_236
.LBB37_1017:                            ;   in Loop: Header=BB37_3 Depth=1
	ds_load_b64 v[38:39], v66 offset:31488
	ds_load_b64 v[40:41], v50 offset:32744
	s_wait_dscnt 0x0
	v_fmac_f64_e32 v[36:37], v[38:39], v[40:41]
	s_or_b32 exec_lo, exec_lo, s29
	s_and_saveexec_b32 s29, s17
	s_cbranch_execz .LBB37_237
.LBB37_1018:                            ;   in Loop: Header=BB37_3 Depth=1
	ds_load_b64 v[38:39], v66 offset:32000
	ds_load_b64 v[40:41], v50 offset:32752
	s_wait_dscnt 0x0
	v_fmac_f64_e32 v[36:37], v[38:39], v[40:41]
	s_or_b32 exec_lo, exec_lo, s29
	s_and_saveexec_b32 s29, s1
	s_cbranch_execnz .LBB37_238
	s_branch .LBB37_239
.LBB37_1019:                            ;   in Loop: Header=BB37_3 Depth=1
	ds_load_b64 v[38:39], v62 offset:23360
	ds_load_b64 v[40:41], v47 offset:24424
	s_wait_dscnt 0x0
	v_fmac_f64_e32 v[36:37], v[38:39], v[40:41]
	s_or_b32 exec_lo, exec_lo, s29
	s_and_saveexec_b32 s29, s13
	s_cbranch_execz .LBB37_323
.LBB37_1020:                            ;   in Loop: Header=BB37_3 Depth=1
	ds_load_b64 v[38:39], v62 offset:23872
	ds_load_b64 v[40:41], v47 offset:24432
	s_wait_dscnt 0x0
	v_fmac_f64_e32 v[36:37], v[38:39], v[40:41]
	s_or_b32 exec_lo, exec_lo, s29
	s_and_saveexec_b32 s29, s0
	s_cbranch_execnz .LBB37_324
	s_branch .LBB37_325
.LBB37_1021:                            ;   in Loop: Header=BB37_3 Depth=1
	ds_load_b64 v[38:39], v64 offset:21248
	ds_load_b64 v[40:41], v49 offset:24392
	s_wait_dscnt 0x0
	v_fmac_f64_e32 v[36:37], v[38:39], v[40:41]
	s_or_b32 exec_lo, exec_lo, s29
	s_and_saveexec_b32 s29, s15
	s_cbranch_execz .LBB37_361
.LBB37_1022:                            ;   in Loop: Header=BB37_3 Depth=1
	ds_load_b64 v[38:39], v64 offset:21760
	ds_load_b64 v[40:41], v49 offset:24400
	s_wait_dscnt 0x0
	v_fmac_f64_e32 v[36:37], v[38:39], v[40:41]
	s_or_b32 exec_lo, exec_lo, s29
	s_and_saveexec_b32 s29, s16
	s_cbranch_execz .LBB37_362
.LBB37_1023:                            ;   in Loop: Header=BB37_3 Depth=1
	ds_load_b64 v[38:39], v64 offset:22272
	ds_load_b64 v[40:41], v49 offset:24408
	s_wait_dscnt 0x0
	v_fmac_f64_e32 v[36:37], v[38:39], v[40:41]
	s_or_b32 exec_lo, exec_lo, s29
	s_and_saveexec_b32 s29, s17
	s_cbranch_execz .LBB37_363
.LBB37_1024:                            ;   in Loop: Header=BB37_3 Depth=1
	ds_load_b64 v[38:39], v64 offset:22784
	ds_load_b64 v[40:41], v49 offset:24416
	s_wait_dscnt 0x0
	v_fmac_f64_e32 v[36:37], v[38:39], v[40:41]
	s_or_b32 exec_lo, exec_lo, s29
	s_and_saveexec_b32 s29, s18
	s_cbranch_execz .LBB37_364
.LBB37_1025:                            ;   in Loop: Header=BB37_3 Depth=1
	ds_load_b64 v[38:39], v64 offset:23296
	ds_load_b64 v[40:41], v49 offset:24424
	s_wait_dscnt 0x0
	v_fmac_f64_e32 v[36:37], v[38:39], v[40:41]
	s_or_b32 exec_lo, exec_lo, s29
	s_and_saveexec_b32 s29, s1
	s_cbranch_execz .LBB37_365
.LBB37_1026:                            ;   in Loop: Header=BB37_3 Depth=1
	ds_load_b64 v[38:39], v64 offset:23808
	ds_load_b64 v[40:41], v49 offset:24432
	s_wait_dscnt 0x0
	v_fmac_f64_e32 v[36:37], v[38:39], v[40:41]
	s_or_b32 exec_lo, exec_lo, s29
	s_and_saveexec_b32 s29, s13
	s_cbranch_execnz .LBB37_366
	s_branch .LBB37_367
.LBB37_1027:                            ;   in Loop: Header=BB37_3 Depth=1
	ds_load_b64 v[38:39], v62 offset:19200
	ds_load_b64 v[40:41], v47 offset:20264
	s_wait_dscnt 0x0
	v_fmac_f64_e32 v[36:37], v[38:39], v[40:41]
	s_or_b32 exec_lo, exec_lo, s29
	s_and_saveexec_b32 s29, s13
	s_cbranch_execz .LBB37_419
.LBB37_1028:                            ;   in Loop: Header=BB37_3 Depth=1
	ds_load_b64 v[38:39], v62 offset:19712
	ds_load_b64 v[40:41], v47 offset:20272
	s_wait_dscnt 0x0
	v_fmac_f64_e32 v[36:37], v[38:39], v[40:41]
	s_or_b32 exec_lo, exec_lo, s29
	s_and_saveexec_b32 s29, s0
	s_cbranch_execnz .LBB37_420
	s_branch .LBB37_421
.LBB37_1029:                            ;   in Loop: Header=BB37_3 Depth=1
	ds_load_b64 v[38:39], v51 offset:31232
	ds_load_b64 v[40:41], v52 offset:32744
	s_wait_dscnt 0x0
	v_fmac_f64_e32 v[36:37], v[38:39], v[40:41]
	s_or_b32 exec_lo, exec_lo, s8
	s_and_saveexec_b32 s8, s2
	s_cbranch_execz .LBB37_513
.LBB37_1030:                            ;   in Loop: Header=BB37_3 Depth=1
	ds_load_b64 v[38:39], v51 offset:31744
	ds_load_b64 v[40:41], v52 offset:32752
	s_wait_dscnt 0x0
	v_fmac_f64_e32 v[36:37], v[38:39], v[40:41]
	s_or_b32 exec_lo, exec_lo, s8
	s_and_saveexec_b32 s8, s17
	s_delay_alu instid0(SALU_CYCLE_1)
	s_xor_b32 s8, exec_lo, s8
	s_cbranch_execnz .LBB37_514
	s_branch .LBB37_515
.LBB37_1031:                            ;   in Loop: Header=BB37_3 Depth=1
	ds_load_b64 v[38:39], v62 offset:15040
	ds_load_b64 v[40:41], v47 offset:16104
	s_wait_dscnt 0x0
	v_fmac_f64_e32 v[36:37], v[38:39], v[40:41]
	s_or_b32 exec_lo, exec_lo, s29
	s_and_saveexec_b32 s29, s13
	s_cbranch_execz .LBB37_555
.LBB37_1032:                            ;   in Loop: Header=BB37_3 Depth=1
	ds_load_b64 v[38:39], v62 offset:15552
	ds_load_b64 v[40:41], v47 offset:16112
	s_wait_dscnt 0x0
	v_fmac_f64_e32 v[36:37], v[38:39], v[40:41]
	s_or_b32 exec_lo, exec_lo, s29
	s_and_saveexec_b32 s29, s0
	s_cbranch_execnz .LBB37_556
	s_branch .LBB37_557
.LBB37_1033:                            ;   in Loop: Header=BB37_3 Depth=1
	ds_load_b64 v[38:39], v64 offset:12928
	ds_load_b64 v[40:41], v49 offset:16072
	s_wait_dscnt 0x0
	v_fmac_f64_e32 v[36:37], v[38:39], v[40:41]
	s_or_b32 exec_lo, exec_lo, s29
	s_and_saveexec_b32 s29, s15
	s_cbranch_execz .LBB37_593
.LBB37_1034:                            ;   in Loop: Header=BB37_3 Depth=1
	ds_load_b64 v[38:39], v64 offset:13440
	ds_load_b64 v[40:41], v49 offset:16080
	s_wait_dscnt 0x0
	v_fmac_f64_e32 v[36:37], v[38:39], v[40:41]
	s_or_b32 exec_lo, exec_lo, s29
	s_and_saveexec_b32 s29, s16
	s_cbranch_execz .LBB37_594
.LBB37_1035:                            ;   in Loop: Header=BB37_3 Depth=1
	ds_load_b64 v[38:39], v64 offset:13952
	ds_load_b64 v[40:41], v49 offset:16088
	s_wait_dscnt 0x0
	v_fmac_f64_e32 v[36:37], v[38:39], v[40:41]
	s_or_b32 exec_lo, exec_lo, s29
	s_and_saveexec_b32 s29, s17
	s_cbranch_execz .LBB37_595
.LBB37_1036:                            ;   in Loop: Header=BB37_3 Depth=1
	ds_load_b64 v[38:39], v64 offset:14464
	ds_load_b64 v[40:41], v49 offset:16096
	s_wait_dscnt 0x0
	v_fmac_f64_e32 v[36:37], v[38:39], v[40:41]
	s_or_b32 exec_lo, exec_lo, s29
	s_and_saveexec_b32 s29, s18
	s_cbranch_execz .LBB37_596
.LBB37_1037:                            ;   in Loop: Header=BB37_3 Depth=1
	ds_load_b64 v[38:39], v64 offset:14976
	ds_load_b64 v[40:41], v49 offset:16104
	s_wait_dscnt 0x0
	v_fmac_f64_e32 v[36:37], v[38:39], v[40:41]
	s_or_b32 exec_lo, exec_lo, s29
	s_and_saveexec_b32 s29, s1
	s_cbranch_execz .LBB37_597
.LBB37_1038:                            ;   in Loop: Header=BB37_3 Depth=1
	ds_load_b64 v[38:39], v64 offset:15488
	ds_load_b64 v[40:41], v49 offset:16112
	s_wait_dscnt 0x0
	v_fmac_f64_e32 v[36:37], v[38:39], v[40:41]
	s_or_b32 exec_lo, exec_lo, s29
	s_and_saveexec_b32 s29, s13
	s_cbranch_execnz .LBB37_598
	s_branch .LBB37_599
.LBB37_1039:                            ;   in Loop: Header=BB37_3 Depth=1
	ds_load_b64 v[38:39], v62 offset:10880
	ds_load_b64 v[40:41], v47 offset:11944
	s_wait_dscnt 0x0
	v_fmac_f64_e32 v[36:37], v[38:39], v[40:41]
	s_or_b32 exec_lo, exec_lo, s29
	s_and_saveexec_b32 s29, s13
	s_cbranch_execz .LBB37_651
.LBB37_1040:                            ;   in Loop: Header=BB37_3 Depth=1
	ds_load_b64 v[38:39], v62 offset:11392
	ds_load_b64 v[40:41], v47 offset:11952
	s_wait_dscnt 0x0
	v_fmac_f64_e32 v[36:37], v[38:39], v[40:41]
	s_or_b32 exec_lo, exec_lo, s29
	s_and_saveexec_b32 s29, s0
	s_cbranch_execnz .LBB37_652
	s_branch .LBB37_653
.LBB37_1041:                            ;   in Loop: Header=BB37_3 Depth=1
	ds_load_b64 v[38:39], v66 offset:13824
	ds_load_b64 v[40:41], v50 offset:16088
	s_wait_dscnt 0x0
	v_fmac_f64_e32 v[36:37], v[38:39], v[40:41]
	s_or_b32 exec_lo, exec_lo, s29
	s_and_saveexec_b32 s29, s2
	s_cbranch_execz .LBB37_709
.LBB37_1042:                            ;   in Loop: Header=BB37_3 Depth=1
	ds_load_b64 v[38:39], v66 offset:14336
	ds_load_b64 v[40:41], v50 offset:16096
	s_wait_dscnt 0x0
	v_fmac_f64_e32 v[36:37], v[38:39], v[40:41]
	s_or_b32 exec_lo, exec_lo, s29
	s_and_saveexec_b32 s29, s15
	s_cbranch_execz .LBB37_710
.LBB37_1043:                            ;   in Loop: Header=BB37_3 Depth=1
	ds_load_b64 v[38:39], v66 offset:14848
	ds_load_b64 v[40:41], v50 offset:16104
	s_wait_dscnt 0x0
	v_fmac_f64_e32 v[36:37], v[38:39], v[40:41]
	s_or_b32 exec_lo, exec_lo, s29
	s_and_saveexec_b32 s29, s17
	s_cbranch_execz .LBB37_711
.LBB37_1044:                            ;   in Loop: Header=BB37_3 Depth=1
	ds_load_b64 v[38:39], v66 offset:15360
	ds_load_b64 v[40:41], v50 offset:16112
	s_wait_dscnt 0x0
	v_fmac_f64_e32 v[36:37], v[38:39], v[40:41]
	s_or_b32 exec_lo, exec_lo, s29
	s_and_saveexec_b32 s29, s1
	s_cbranch_execnz .LBB37_712
	s_branch .LBB37_713
.LBB37_1045:                            ;   in Loop: Header=BB37_3 Depth=1
	ds_load_b64 v[38:39], v62 offset:6720
	ds_load_b64 v[40:41], v47 offset:7784
	s_wait_dscnt 0x0
	v_fmac_f64_e32 v[36:37], v[38:39], v[40:41]
	s_or_b32 exec_lo, exec_lo, s29
	s_and_saveexec_b32 s29, s13
	s_cbranch_execz .LBB37_797
.LBB37_1046:                            ;   in Loop: Header=BB37_3 Depth=1
	ds_load_b64 v[38:39], v62 offset:7232
	ds_load_b64 v[40:41], v47 offset:7792
	s_wait_dscnt 0x0
	v_fmac_f64_e32 v[36:37], v[38:39], v[40:41]
	s_or_b32 exec_lo, exec_lo, s29
	s_and_saveexec_b32 s29, s0
	s_cbranch_execnz .LBB37_798
	s_branch .LBB37_799
.LBB37_1047:                            ;   in Loop: Header=BB37_3 Depth=1
	ds_load_b64 v[38:39], v64 offset:4608
	ds_load_b64 v[40:41], v49 offset:7752
	s_wait_dscnt 0x0
	v_fmac_f64_e32 v[36:37], v[38:39], v[40:41]
	s_or_b32 exec_lo, exec_lo, s29
	s_and_saveexec_b32 s29, s15
	s_cbranch_execz .LBB37_835
.LBB37_1048:                            ;   in Loop: Header=BB37_3 Depth=1
	ds_load_b64 v[38:39], v64 offset:5120
	ds_load_b64 v[40:41], v49 offset:7760
	s_wait_dscnt 0x0
	v_fmac_f64_e32 v[36:37], v[38:39], v[40:41]
	s_or_b32 exec_lo, exec_lo, s29
	s_and_saveexec_b32 s29, s16
	s_cbranch_execz .LBB37_836
.LBB37_1049:                            ;   in Loop: Header=BB37_3 Depth=1
	ds_load_b64 v[38:39], v64 offset:5632
	ds_load_b64 v[40:41], v49 offset:7768
	s_wait_dscnt 0x0
	v_fmac_f64_e32 v[36:37], v[38:39], v[40:41]
	s_or_b32 exec_lo, exec_lo, s29
	s_and_saveexec_b32 s29, s17
	s_cbranch_execz .LBB37_837
.LBB37_1050:                            ;   in Loop: Header=BB37_3 Depth=1
	ds_load_b64 v[38:39], v64 offset:6144
	ds_load_b64 v[40:41], v49 offset:7776
	s_wait_dscnt 0x0
	v_fmac_f64_e32 v[36:37], v[38:39], v[40:41]
	s_or_b32 exec_lo, exec_lo, s29
	s_and_saveexec_b32 s29, s18
	s_cbranch_execz .LBB37_838
.LBB37_1051:                            ;   in Loop: Header=BB37_3 Depth=1
	ds_load_b64 v[38:39], v64 offset:6656
	ds_load_b64 v[40:41], v49 offset:7784
	s_wait_dscnt 0x0
	v_fmac_f64_e32 v[36:37], v[38:39], v[40:41]
	s_or_b32 exec_lo, exec_lo, s29
	s_and_saveexec_b32 s29, s1
	s_cbranch_execz .LBB37_839
.LBB37_1052:                            ;   in Loop: Header=BB37_3 Depth=1
	ds_load_b64 v[38:39], v64 offset:7168
	ds_load_b64 v[40:41], v49 offset:7792
	s_wait_dscnt 0x0
	v_fmac_f64_e32 v[36:37], v[38:39], v[40:41]
	s_or_b32 exec_lo, exec_lo, s29
	s_and_saveexec_b32 s29, s13
	s_cbranch_execnz .LBB37_840
	s_branch .LBB37_841
.LBB37_1053:                            ;   in Loop: Header=BB37_3 Depth=1
	ds_load_b64 v[38:39], v62 offset:2560
	ds_load_b64 v[40:41], v47 offset:3624
	s_wait_dscnt 0x0
	v_fmac_f64_e32 v[36:37], v[38:39], v[40:41]
	s_or_b32 exec_lo, exec_lo, s29
	s_and_saveexec_b32 s29, s13
	s_cbranch_execz .LBB37_893
.LBB37_1054:                            ;   in Loop: Header=BB37_3 Depth=1
	ds_load_b64 v[38:39], v62 offset:3072
	ds_load_b64 v[40:41], v47 offset:3632
	s_wait_dscnt 0x0
	v_fmac_f64_e32 v[36:37], v[38:39], v[40:41]
	s_or_b32 exec_lo, exec_lo, s29
	s_and_saveexec_b32 s29, s0
	s_cbranch_execnz .LBB37_894
	s_branch .LBB37_895
.LBB37_1055:
	s_endpgm
	.section	.rodata,"a",@progbits
	.p2align	6, 0x0
	.amdhsa_kernel _ZL19rocblas_trsv_deviceILi64ELi16ELb0ELb0ELb0ELb1EddPKdPdEviT7_lllT6_T8_lllPii
		.amdhsa_group_segment_fixed_size 41480
		.amdhsa_private_segment_fixed_size 0
		.amdhsa_kernarg_size 352
		.amdhsa_user_sgpr_count 2
		.amdhsa_user_sgpr_dispatch_ptr 0
		.amdhsa_user_sgpr_queue_ptr 0
		.amdhsa_user_sgpr_kernarg_segment_ptr 1
		.amdhsa_user_sgpr_dispatch_id 0
		.amdhsa_user_sgpr_kernarg_preload_length 0
		.amdhsa_user_sgpr_kernarg_preload_offset 0
		.amdhsa_user_sgpr_private_segment_size 0
		.amdhsa_wavefront_size32 1
		.amdhsa_uses_dynamic_stack 0
		.amdhsa_enable_private_segment 0
		.amdhsa_system_sgpr_workgroup_id_x 1
		.amdhsa_system_sgpr_workgroup_id_y 0
		.amdhsa_system_sgpr_workgroup_id_z 1
		.amdhsa_system_sgpr_workgroup_info 0
		.amdhsa_system_vgpr_workitem_id 1
		.amdhsa_next_free_vgpr 87
		.amdhsa_next_free_sgpr 105
		.amdhsa_named_barrier_count 0
		.amdhsa_reserve_vcc 1
		.amdhsa_float_round_mode_32 0
		.amdhsa_float_round_mode_16_64 0
		.amdhsa_float_denorm_mode_32 3
		.amdhsa_float_denorm_mode_16_64 3
		.amdhsa_fp16_overflow 0
		.amdhsa_memory_ordered 1
		.amdhsa_forward_progress 1
		.amdhsa_inst_pref_size 227
		.amdhsa_round_robin_scheduling 0
		.amdhsa_exception_fp_ieee_invalid_op 0
		.amdhsa_exception_fp_denorm_src 0
		.amdhsa_exception_fp_ieee_div_zero 0
		.amdhsa_exception_fp_ieee_overflow 0
		.amdhsa_exception_fp_ieee_underflow 0
		.amdhsa_exception_fp_ieee_inexact 0
		.amdhsa_exception_int_div_zero 0
	.end_amdhsa_kernel
	.section	.text._ZL19rocblas_trsv_deviceILi64ELi16ELb0ELb0ELb0ELb1EddPKdPdEviT7_lllT6_T8_lllPii,"axG",@progbits,_ZL19rocblas_trsv_deviceILi64ELi16ELb0ELb0ELb0ELb1EddPKdPdEviT7_lllT6_T8_lllPii,comdat
.Lfunc_end37:
	.size	_ZL19rocblas_trsv_deviceILi64ELi16ELb0ELb0ELb0ELb1EddPKdPdEviT7_lllT6_T8_lllPii, .Lfunc_end37-_ZL19rocblas_trsv_deviceILi64ELi16ELb0ELb0ELb0ELb1EddPKdPdEviT7_lllT6_T8_lllPii
                                        ; -- End function
	.set _ZL19rocblas_trsv_deviceILi64ELi16ELb0ELb0ELb0ELb1EddPKdPdEviT7_lllT6_T8_lllPii.num_vgpr, 87
	.set _ZL19rocblas_trsv_deviceILi64ELi16ELb0ELb0ELb0ELb1EddPKdPdEviT7_lllT6_T8_lllPii.num_agpr, 0
	.set _ZL19rocblas_trsv_deviceILi64ELi16ELb0ELb0ELb0ELb1EddPKdPdEviT7_lllT6_T8_lllPii.numbered_sgpr, 105
	.set _ZL19rocblas_trsv_deviceILi64ELi16ELb0ELb0ELb0ELb1EddPKdPdEviT7_lllT6_T8_lllPii.num_named_barrier, 0
	.set _ZL19rocblas_trsv_deviceILi64ELi16ELb0ELb0ELb0ELb1EddPKdPdEviT7_lllT6_T8_lllPii.private_seg_size, 0
	.set _ZL19rocblas_trsv_deviceILi64ELi16ELb0ELb0ELb0ELb1EddPKdPdEviT7_lllT6_T8_lllPii.uses_vcc, 1
	.set _ZL19rocblas_trsv_deviceILi64ELi16ELb0ELb0ELb0ELb1EddPKdPdEviT7_lllT6_T8_lllPii.uses_flat_scratch, 0
	.set _ZL19rocblas_trsv_deviceILi64ELi16ELb0ELb0ELb0ELb1EddPKdPdEviT7_lllT6_T8_lllPii.has_dyn_sized_stack, 0
	.set _ZL19rocblas_trsv_deviceILi64ELi16ELb0ELb0ELb0ELb1EddPKdPdEviT7_lllT6_T8_lllPii.has_recursion, 0
	.set _ZL19rocblas_trsv_deviceILi64ELi16ELb0ELb0ELb0ELb1EddPKdPdEviT7_lllT6_T8_lllPii.has_indirect_call, 0
	.section	.AMDGPU.csdata,"",@progbits
; Kernel info:
; codeLenInByte = 29056
; TotalNumSgprs: 107
; NumVgprs: 87
; ScratchSize: 0
; MemoryBound: 0
; FloatMode: 240
; IeeeMode: 1
; LDSByteSize: 41480 bytes/workgroup (compile time only)
; SGPRBlocks: 0
; VGPRBlocks: 5
; NumSGPRsForWavesPerEU: 107
; NumVGPRsForWavesPerEU: 87
; NamedBarCnt: 0
; Occupancy: 10
; WaveLimiterHint : 0
; COMPUTE_PGM_RSRC2:SCRATCH_EN: 0
; COMPUTE_PGM_RSRC2:USER_SGPR: 2
; COMPUTE_PGM_RSRC2:TRAP_HANDLER: 0
; COMPUTE_PGM_RSRC2:TGID_X_EN: 1
; COMPUTE_PGM_RSRC2:TGID_Y_EN: 0
; COMPUTE_PGM_RSRC2:TGID_Z_EN: 1
; COMPUTE_PGM_RSRC2:TIDIG_COMP_CNT: 1
	.section	.text._ZL19rocblas_trsv_deviceILi64ELi16ELb0ELb1ELb0ELb1EddPKdPdEviT7_lllT6_T8_lllPii,"axG",@progbits,_ZL19rocblas_trsv_deviceILi64ELi16ELb0ELb1ELb0ELb1EddPKdPdEviT7_lllT6_T8_lllPii,comdat
	.globl	_ZL19rocblas_trsv_deviceILi64ELi16ELb0ELb1ELb0ELb1EddPKdPdEviT7_lllT6_T8_lllPii ; -- Begin function _ZL19rocblas_trsv_deviceILi64ELi16ELb0ELb1ELb0ELb1EddPKdPdEviT7_lllT6_T8_lllPii
	.p2align	8
	.type	_ZL19rocblas_trsv_deviceILi64ELi16ELb0ELb1ELb0ELb1EddPKdPdEviT7_lllT6_T8_lllPii,@function
_ZL19rocblas_trsv_deviceILi64ELi16ELb0ELb1ELb0ELb1EddPKdPdEviT7_lllT6_T8_lllPii: ; @_ZL19rocblas_trsv_deviceILi64ELi16ELb0ELb1ELb0ELb1EddPKdPdEviT7_lllT6_T8_lllPii
; %bb.0:
	s_load_b32 s6, s[0:1], 0x58
	s_bfe_u32 s2, ttmp6, 0x40014
	s_lshr_b32 s3, ttmp7, 16
	s_add_co_i32 s2, s2, 1
	s_bfe_u32 s5, ttmp6, 0x40008
	s_mul_i32 s4, s3, s2
	s_getreg_b32 s2, hwreg(HW_REG_IB_STS2, 6, 4)
	s_add_co_i32 s5, s5, s4
	s_cmp_eq_u32 s2, 0
	s_mov_b32 s77, 0
	s_cselect_b32 s76, s3, s5
                                        ; implicit-def: $vgpr103 : SGPR spill to VGPR lane
	s_wait_kmcnt 0x0
	s_cmp_ge_u32 s76, s6
	v_writelane_b32 v103, s6, 0
	s_cbranch_scc1 .LBB38_1117
; %bb.1:
	s_clause 0x2
	s_load_b512 s[56:71], s[0:1], 0x8
	s_load_b32 s3, s[0:1], 0x6c
	s_load_b32 s85, s[0:1], 0x0
	s_bfe_u32 s5, ttmp6, 0x4000c
	s_and_b32 s4, ttmp6, 15
	s_add_co_i32 s5, s5, 1
	s_load_b128 s[72:75], s[0:1], 0x48
	s_wait_xcnt 0x0
	s_mul_i32 s0, ttmp9, s5
	v_and_b32_e32 v8, 0x3ff, v0
	s_add_co_i32 s4, s4, s0
	v_bfe_u32 v4, v0, 10, 10
	v_dual_mov_b32 v7, 0 :: v_dual_lshrrev_b32 v49, 10, v0
	s_delay_alu instid0(VALU_DEP_3) | instskip(SKIP_1) | instid1(VALU_DEP_4)
	v_lshlrev_b32_e32 v1, 6, v8
                                        ; implicit-def: $vgpr102 : SGPR spill to VGPR lane
	v_lshlrev_b32_e32 v28, 3, v8
	v_lshl_add_u32 v29, v4, 6, v8
	s_delay_alu instid0(VALU_DEP_4)
	v_dual_mov_b32 v11, v7 :: v_dual_add_nc_u32 v2, 16, v4
	v_dual_add_nc_u32 v42, 32, v4 :: v_dual_add_nc_u32 v44, 48, v4
	s_wait_kmcnt 0x0
	s_lshl_b64 s[12:13], s[58:59], 3
	s_lshl_b64 s[14:15], s[68:69], 3
	s_cmp_eq_u32 s2, 0
	v_and_b32_e32 v13, 1, v0
	s_cselect_b32 s86, ttmp9, s4
	s_add_co_i32 s1, s85, -1
	s_ashr_i32 s2, s85, 31
	s_and_b32 s0, s3, 0xffff
	s_ashr_i32 s3, s1, 31
	s_lshr_b32 s2, s2, 26
	s_lshr_b32 s3, s3, 26
	s_add_co_i32 s2, s85, s2
	s_add_co_i32 s1, s1, s3
	s_and_not1_b32 s2, s2, 63
	s_ashr_i32 s1, s1, 6
	s_sub_co_i32 s18, s85, s2
	s_cmp_eq_u32 s1, s86
	v_mad_u32_u24 v10, v4, s0, v8
	s_cselect_b32 s1, -1, 0
	s_cmp_lg_u32 s18, 0
	v_sub_co_u32 v9, s2, s86, 1
	s_cselect_b32 s0, -1, 0
	s_lshl_b32 s16, s86, 6
	s_and_b32 s30, s0, s1
	v_dual_add_nc_u32 v3, v4, v1 :: v_dual_add_nc_u32 v34, s16, v4
	s_xor_b32 s0, s2, -1
	s_xor_b32 s88, s30, -1
	s_cmp_lt_i32 s86, 5
	v_writelane_b32 v103, s0, 1
	s_cselect_b32 vcc_lo, -1, 0
	s_add_nc_u64 s[0:1], s[60:61], 1
	s_ashr_i32 s17, s16, 31
	v_dual_add_nc_u32 v5, v2, v1 :: v_dual_add_nc_u32 v32, s16, v8
	v_lshl_add_u32 v6, v2, 6, v8
	v_cndmask_b32_e32 v38, v29, v3, vcc_lo
	s_mul_u64 s[10:11], s[0:1], s[16:17]
	v_cmp_gt_u32_e64 s0, 4, v29
	v_dual_add_nc_u32 v3, v42, v1 :: v_dual_bitop2_b32 v35, 3, v0 bitop3:0x40
	v_cmp_eq_u32_e64 s2, 1, v13
	v_cmp_eq_u32_e64 s3, 0, v13
	v_cmp_eq_u32_e64 s1, 0, v4
	v_cmp_gt_u32_e64 s4, 2, v8
	v_and_b32_e32 v36, 7, v0
	s_and_b32 s90, s2, s0
	s_and_b32 s91, s3, s0
	v_cmp_gt_u32_e64 s2, 16, v29
	v_add_nc_u32_e32 v1, v44, v1
	v_cmp_eq_u32_e64 s3, 3, v35
	v_cmp_ne_u32_e64 s5, 3, v35
	v_cmp_eq_u32_e64 s6, 2, v35
	s_or_b32 vcc_lo, vcc_lo, s30
	s_and_b32 s92, s1, s4
	v_cndmask_b32_e32 v39, v6, v5, vcc_lo
	s_and_b32 s93, s3, s2
	s_and_b32 s94, s5, s2
	;; [unrolled: 1-line block ×3, first 2 shown]
	v_cmp_eq_u32_e64 s4, 1, v35
	v_cmp_eq_u32_e64 s5, 0, v35
	v_cmp_gt_u32_e64 s6, 4, v8
	v_cmp_gt_u32_e64 s3, 64, v29
	v_add_nc_u32_e32 v6, s16, v10
	v_cmp_ne_u32_e64 s8, 7, v36
	s_and_b32 s97, s4, s2
	s_and_b32 s98, s5, s2
	;; [unrolled: 1-line block ×3, first 2 shown]
	v_cmp_eq_u32_e64 s4, 6, v36
	s_and_b32 s101, s8, s3
	v_cmp_gt_u32_e64 s5, 6, v36
	v_cmp_eq_u32_e64 s6, 5, v36
	v_cmp_eq_u32_e64 s8, 4, v36
	v_cmp_gt_u32_e64 s7, 2, v35
	s_and_b32 s102, s4, s3
	s_and_b32 s103, s5, s3
	s_and_b32 s104, s6, s3
	s_and_b32 s31, s8, s3
	v_cmp_gt_u32_e64 s4, 4, v36
	v_cmp_eq_u32_e64 s5, 3, v36
	v_cmp_gt_u32_e64 s6, 3, v36
	v_cmp_gt_u32_e64 s8, 2, v36
	v_lshl_add_u32 v5, v42, 6, v8
	v_and_b32_e32 v37, 15, v0
	s_and_b32 s96, s7, s2
	v_cmp_eq_u32_e64 s7, 7, v36
	s_and_b32 s33, s4, s3
	s_and_b32 s34, s5, s3
	;; [unrolled: 1-line block ×4, first 2 shown]
	v_cmp_eq_u32_e64 s5, 1, v36
	v_cmp_eq_u32_e64 s6, 0, v36
	v_cmp_gt_u32_e64 s4, 0x100, v29
	v_cndmask_b32_e32 v40, v5, v3, vcc_lo
	v_cmp_eq_u32_e64 s8, 15, v37
	s_and_b32 s100, s7, s3
	v_cmp_gt_u32_e64 s7, 5, v36
	s_and_b32 s38, s5, s3
	v_cmp_ne_u32_e64 s5, 15, v37
	s_and_b32 s39, s6, s3
	s_and_b32 s6, s8, s4
	s_and_b32 vcc_hi, s7, s3
	v_writelane_b32 v103, s6, 2
	v_cmp_eq_u32_e64 s7, 2, v36
	v_cmp_eq_u32_e64 s6, 14, v37
	s_and_b32 s5, s5, s4
	v_cmp_gt_u32_e64 s8, 13, v37
	v_writelane_b32 v103, s5, 3
	s_and_b32 s36, s7, s3
	v_cmp_gt_u32_e64 s7, 8, v8
	v_cmp_gt_u32_e64 s5, 14, v37
	s_and_b32 s6, s6, s4
	v_cmp_le_i32_e64 s9, s18, v8
	v_writelane_b32 v103, s6, 4
	s_and_b32 s40, s1, s7
	v_cmp_eq_u32_e64 s7, 13, v37
	s_and_b32 s5, s5, s4
	v_cmp_eq_u32_e64 s6, 12, v37
	v_writelane_b32 v103, s5, 5
	v_lshl_add_u32 v12, v44, 6, v8
	s_and_b32 s5, s7, s4
	v_cmp_gt_u32_e64 s7, 11, v37
	s_and_b32 s6, s6, s4
	v_writelane_b32 v103, s5, 6
	s_and_b32 s5, s8, s4
	v_cmp_eq_u32_e64 s8, 10, v37
	s_and_b32 s50, s7, s4
	v_cmp_eq_u32_e64 s7, 8, v37
	v_writelane_b32 v103, s5, 7
	v_cmp_gt_u32_e64 s5, 12, v37
	s_and_b32 s51, s8, s4
	v_cmp_gt_u32_e64 s8, 8, v37
	s_and_b32 s19, s7, s4
	v_writelane_b32 v103, s6, 8
	v_cmp_eq_u32_e64 s6, 11, v37
	s_and_b32 s48, s5, s4
	v_cmp_gt_u32_e64 s5, 10, v37
	s_and_b32 s21, s8, s4
	v_cmp_gt_u32_e64 s7, 6, v37
	s_and_b32 s49, s6, s4
	v_cmp_eq_u32_e64 s6, 9, v37
	s_and_b32 s52, s5, s4
	v_cmp_gt_u32_e64 s5, 9, v37
	v_cmp_eq_u32_e64 s8, 5, v37
	s_and_b32 s29, s7, s4
	s_and_b32 s53, s6, s4
	v_cmp_eq_u32_e64 s6, 7, v37
	s_and_b32 s54, s5, s4
	v_cmp_gt_u32_e64 s5, 7, v37
	s_and_b32 s58, s8, s4
	v_cmp_eq_u32_e64 s7, 3, v37
	s_and_b32 s23, s6, s4
	v_cmp_eq_u32_e64 s6, 6, v37
	s_and_b32 s25, s5, s4
	v_cmp_gt_u32_e64 s5, 5, v37
	v_cmp_gt_u32_e64 s8, 3, v37
	s_and_b32 s24, s7, s4
	s_and_b32 s27, s6, s4
	v_cmp_eq_u32_e64 s6, 4, v37
	s_and_b32 s59, s5, s4
	v_cmp_gt_u32_e64 s5, 4, v37
	s_and_b32 s26, s8, s4
	v_cmp_eq_u32_e64 s7, 0, v37
	s_and_b32 s20, s6, s4
	v_cmp_eq_u32_e64 s6, 2, v37
	s_and_b32 s22, s5, s4
	v_cmp_gt_u32_e64 s5, 2, v37
	v_cmp_gt_u32_e64 s8, 16, v8
	s_and_b32 s42, s9, s30
	s_and_b32 s28, s6, s4
	v_cmp_eq_u32_e64 s6, 1, v37
	s_and_b32 s87, s5, s4
	v_cmp_gt_u32_e64 s5, 32, v8
	s_xor_b32 s89, vcc_lo, -1
	v_cndmask_b32_e32 v41, v12, v1, vcc_lo
	s_and_b32 s84, s6, s4
	s_xor_b32 s6, s42, -1
	v_cmp_le_i32_e32 vcc_lo, s18, v42
	s_and_b32 s41, s7, s4
	s_and_b32 s43, s1, s8
	;; [unrolled: 1-line block ×4, first 2 shown]
	s_cmp_gt_i32 s86, 0
	v_add_nc_u64_e32 v[30:31], s[16:17], v[10:11]
	s_cselect_b32 s45, -1, 0
	s_or_b32 s16, vcc_lo, s9
	v_cmp_le_i32_e32 vcc_lo, s18, v44
	v_writelane_b32 v103, s5, 9
	v_cmp_le_i32_e64 s5, s18, v4
	v_subrev_nc_u32_e32 v12, 64, v34
	v_cmp_le_i32_e64 s6, s18, v2
	s_or_b32 s17, vcc_lo, s9
	v_cmp_gt_i32_e32 vcc_lo, s18, v8
	s_or_b32 s7, s5, s9
	v_subrev_nc_u32_e32 v86, 48, v34
	s_or_b32 s8, s6, s9
	v_dual_lshrrev_b32 v1, 1, v29 :: v_dual_ashrrev_i32 v33, 31, v32
	s_and_b32 s5, s1, vcc_lo
	v_cmp_gt_i32_e32 vcc_lo, s85, v12
	v_writelane_b32 v103, s5, 10
	v_cmp_gt_i32_e64 s5, s85, v32
	v_subrev_nc_u32_e32 v87, 32, v34
	v_lshrrev_b32_e32 v46, 2, v29
	v_lshlrev_b32_e32 v47, 9, v1
	v_mul_u64_e32 v[24:25], s[70:71], v[6:7]
	s_and_b32 s6, vcc_lo, s5
	v_cmp_gt_i32_e32 vcc_lo, s85, v86
	v_writelane_b32 v103, s6, 11
	v_lshl_add_u32 v73, v1, 3, 0x8000
	v_dual_mov_b32 v1, 0x3ff00000 :: v_dual_add_nc_u32 v6, -16, v34
	s_and_b32 s6, vcc_lo, s5
	v_cmp_gt_i32_e32 vcc_lo, s85, v87
	v_writelane_b32 v103, s6, 12
	s_add_nc_u64 s[68:69], s[56:57], s[12:13]
	v_cmp_gt_u32_e64 s30, 0xf0, v29
	v_cmp_gt_u32_e64 s46, 0x3e0, v29
	s_and_b32 s6, vcc_lo, s5
	v_cmp_gt_i32_e32 vcc_lo, s85, v6
	v_writelane_b32 v103, s6, 13
	v_dual_lshlrev_b32 v11, 3, v8 :: v_dual_lshlrev_b32 v48, 9, v46
	v_dual_sub_nc_u32 v57, 0, v47 :: v_dual_lshlrev_b32 v3, 6, v29
	s_and_b32 s6, vcc_lo, s5
	s_delay_alu instid0(VALU_DEP_2) | instskip(SKIP_3) | instid1(VALU_DEP_4)
	v_mad_u32_u24 v50, 0x1f8, v8, v11
	v_writelane_b32 v103, s6, 14
	v_cmp_ge_u32_e64 s6, v8, v4
	v_dual_lshrrev_b32 v82, 4, v29 :: v_dual_lshrrev_b32 v84, 5, v29
	v_mad_i32_i24 v51, 0xfffffe08, v8, v50
	v_and_b32_e32 v81, 0xfffffe00, v3
	s_or_b32 s7, s7, s6
	v_mov_b32_e32 v5, v7
	v_writelane_b32 v103, s7, 15
	v_cmp_ge_u32_e64 s7, v8, v2
	v_mad_u32_u24 v52, 0x1f8, v8, v51
	v_dual_lshlrev_b32 v85, 9, v84 :: v_dual_sub_nc_u32 v63, 0, v81
	v_dual_lshlrev_b32 v91, 3, v4 :: v_dual_mov_b32 v3, v7
	s_or_b32 s8, s8, s7
	s_delay_alu instid0(VALU_DEP_3)
	v_mad_i32_i24 v53, 0xfffffe08, v8, v52
	v_writelane_b32 v103, s8, 16
	v_cmp_ge_u32_e64 s8, v8, v42
	v_dual_mov_b32 v43, v7 :: v_dual_sub_nc_u32 v66, 0, v85
	v_mov_b32_e32 v45, v7
	v_mad_u32_u24 v54, 0x1f8, v8, v53
	s_or_b32 s9, s16, s8
	v_mul_u64_e32 v[14:15], s[60:61], v[32:33]
	v_writelane_b32 v103, s9, 17
	v_cmp_ge_u32_e64 s9, v8, v44
	v_mad_i32_i24 v55, 0xfffffe08, v8, v54
	v_mul_u64_e32 v[16:17], s[70:71], v[32:33]
	v_mul_u64_e32 v[18:19], s[60:61], v[2:3]
	;; [unrolled: 1-line block ×3, first 2 shown]
	s_or_b32 s12, s17, s9
	v_mad_u32_u24 v56, 0x1f8, v8, v55
	v_writelane_b32 v103, s12, 18
	v_mul_u64_e32 v[22:23], s[60:61], v[44:45]
	v_mul_u64_e32 v[26:27], s[60:61], v[4:5]
	;; [unrolled: 1-line block ×3, first 2 shown]
	v_mad_i32_i24 v58, 0xfffffe08, v8, v56
	v_writelane_b32 v103, s30, 19
	v_cmp_gt_u32_e64 s30, 0xe0, v29
	v_dual_lshlrev_b32 v83, 9, v82 :: v_dual_bitop2_b32 v61, 31, v0 bitop3:0x40
	s_delay_alu instid0(VALU_DEP_4) | instskip(SKIP_1) | instid1(VALU_DEP_4)
	v_mad_u32_u24 v60, 0x1f8, v8, v58
	v_bitop3_b32 v0, v0, v49, 0x3ff bitop3:0xa8
	v_writelane_b32 v103, s30, 20
	v_cmp_gt_u32_e64 s30, 0xd0, v29
	v_mul_i32_i24_e32 v43, 0xfffffe08, v8
	v_mad_i32_i24 v62, 0xfffffe08, v8, v60
	v_or_b32_e32 v97, v2, v8
	v_dual_lshlrev_b32 v72, 3, v13 :: v_dual_bitop2_b32 v3, v42, v8 bitop3:0x54
	v_writelane_b32 v103, s30, 21
	v_cmp_gt_u32_e64 s30, 0xc0, v29
	v_mad_u32_u24 v67, 0x1f8, v8, v62
	v_mad_u32_u24 v2, 0x1f8, v8, v43
	v_dual_sub_nc_u32 v59, 0, v48 :: v_dual_bitop2_b32 v80, -8, v29 bitop3:0x40
	s_delay_alu instid0(VALU_DEP_4) | instskip(SKIP_4) | instid1(VALU_DEP_4)
	v_writelane_b32 v103, s30, 22
	v_cmp_gt_u32_e64 s30, 0xb0, v29
	v_mad_i32_i24 v68, 0xfffffe08, v8, v67
	v_mad_u32 v95, v2, 7, v11
	v_dual_lshlrev_b32 v64, 3, v61 :: v_dual_sub_nc_u32 v65, 0, v83
	v_writelane_b32 v103, s30, 23
	v_cmp_gt_u32_e64 s30, 0xa0, v29
	v_mad_u32_u24 v69, 0x1f8, v8, v68
	v_or_b32_e32 v70, 0xa000, v91
	v_dual_lshlrev_b32 v74, 3, v35 :: v_dual_bitop2_b32 v98, v44, v8 bitop3:0x54
	s_delay_alu instid0(VALU_DEP_4) | instskip(SKIP_4) | instid1(VALU_DEP_4)
	v_writelane_b32 v103, s30, 24
	v_cmp_gt_u32_e64 s30, 0x90, v29
	v_dual_lshlrev_b32 v76, 3, v36 :: v_dual_lshlrev_b32 v78, 3, v37
	v_mov_b64_e32 v[32:33], 0
	v_mov_b64_e32 v[34:35], 1.0
	v_writelane_b32 v103, s30, 25
	v_cmp_gt_u32_e64 s30, 0x80, v29
	v_cmp_lt_u32_e32 vcc_lo, 0x3ff, v29
	v_lshl_add_u32 v71, v10, 3, 0xa000
	v_lshl_add_u32 v5, v29, 3, 0x8000
	s_add_nc_u64 s[66:67], s[66:67], s[14:15]
	v_writelane_b32 v103, s30, 26
	v_cmp_gt_u32_e64 s30, 0x70, v29
	v_dual_ashrrev_i32 v13, 31, v12 :: v_dual_sub_nc_u32 v75, v72, v47
	v_lshl_add_u32 v77, v46, 3, 0x8000
	v_dual_sub_nc_u32 v79, v74, v48 :: v_dual_sub_nc_u32 v81, v76, v81
	s_delay_alu instid0(VALU_DEP_4) | instskip(SKIP_4) | instid1(VALU_DEP_4)
	v_writelane_b32 v103, s30, 27
	v_cmp_gt_u32_e64 s30, 0x60, v29
	v_add_nc_u32_e32 v80, 0x8000, v80
	v_lshl_add_u32 v82, v82, 3, 0x8000
	v_dual_sub_nc_u32 v83, v78, v83 :: v_dual_sub_nc_u32 v85, v64, v85
	v_writelane_b32 v103, s30, 28
	v_cmp_gt_u32_e64 s30, 0x50, v29
	v_lshl_add_u32 v84, v84, 3, 0x8000
	v_dual_lshlrev_b32 v86, 3, v38 :: v_dual_lshlrev_b32 v87, 3, v39
	v_dual_lshlrev_b32 v88, 3, v40 :: v_dual_lshlrev_b32 v89, 3, v41
	s_delay_alu instid0(VALU_DEP_4)
	v_writelane_b32 v103, s30, 29
	v_add_nc_u32_e32 v90, 0x8000, v11
	v_add_nc_u32_e32 v91, v69, v91
	v_lshl_add_u32 v92, v4, 9, v62
	v_add_nc_u32_e32 v93, v70, v11
	v_writelane_b32 v103, s46, 30
	v_cmp_gt_u32_e64 s46, 0x3c0, v29
	v_or_b32_e32 v94, 0x3800, v64
	s_lshl_b64 s[78:79], s[10:11], 3
	v_subrev_nc_u32_e32 v96, 31, v61
	v_cmp_eq_u32_e64 s10, 0, v0
	v_writelane_b32 v103, s46, 31
	v_cmp_gt_u32_e64 s46, 0x3a0, v29
	v_cmp_gt_u32_e64 s11, 2, v29
	;; [unrolled: 1-line block ×5, first 2 shown]
	v_writelane_b32 v102, s46, 0
	v_cmp_gt_u32_e64 s46, 0x380, v29
	v_cmp_gt_u32_e64 s15, 48, v29
	;; [unrolled: 1-line block ×5, first 2 shown]
	v_writelane_b32 v102, s46, 1
	v_cmp_gt_u32_e64 s46, 0x360, v29
	v_cmp_gt_u32_e64 s30, 0x400, v29
	v_cmp_eq_u32_e64 s55, 0, v10
	v_cmp_gt_u32_e64 s56, 64, v10
	s_xor_b32 s60, vcc_lo, -1
	v_writelane_b32 v102, s46, 2
	v_cmp_gt_u32_e64 s46, 0x340, v29
                                        ; implicit-def: $vgpr36_vgpr37
                                        ; implicit-def: $vgpr38_vgpr39
                                        ; implicit-def: $vgpr40_vgpr41
                                        ; implicit-def: $vgpr42_vgpr43
	s_delay_alu instid0(VALU_DEP_1) | instskip(SKIP_1) | instid1(VALU_DEP_1)
	v_writelane_b32 v102, s46, 3
	v_cmp_gt_u32_e64 s46, 0x320, v29
	v_writelane_b32 v102, s46, 4
	v_cmp_gt_u32_e64 s46, 0x300, v29
	s_delay_alu instid0(VALU_DEP_1) | instskip(SKIP_1) | instid1(VALU_DEP_1)
	v_writelane_b32 v102, s46, 5
	v_cmp_gt_u32_e64 s46, 0x2e0, v29
	v_writelane_b32 v102, s46, 6
	v_cmp_gt_u32_e64 s46, 0x2c0, v29
	;; [unrolled: 5-line block ×10, first 2 shown]
	s_delay_alu instid0(VALU_DEP_1) | instskip(SKIP_1) | instid1(VALU_DEP_1)
	v_writelane_b32 v102, s46, 23
	v_cmp_gt_u32_e64 s46, 64, v98
	v_writelane_b32 v102, s46, 24
	s_branch .LBB38_3
.LBB38_2:                               ;   in Loop: Header=BB38_3 Depth=1
	s_wait_xcnt 0x0
	s_or_b32 exec_lo, exec_lo, s46
	v_readlane_b32 s46, v103, 0
	s_add_co_i32 s76, s76, 0x10000
	global_wb scope:SCOPE_DEV
	s_wait_storecnt 0x0
	global_inv scope:SCOPE_DEV
	s_cmp_lt_u32 s76, s46
	s_cbranch_scc0 .LBB38_1117
.LBB38_3:                               ; =>This Loop Header: Depth=1
                                        ;     Child Loop BB38_537 Depth 2
                                        ;     Child Loop BB38_986 Depth 2
                                        ;       Child Loop BB38_988 Depth 3
                                        ;     Child Loop BB38_1023 Depth 2
	s_mul_u64 s[46:47], s[62:63], s[76:77]
	s_delay_alu instid0(SALU_CYCLE_1) | instskip(NEXT) | instid1(SALU_CYCLE_1)
	s_lshl_b64 s[46:47], s[46:47], 3
	s_add_nc_u64 s[80:81], s[68:69], s[46:47]
	v_readlane_b32 s46, v103, 1
	v_lshl_add_u64 v[44:45], v[14:15], 3, s[80:81]
	s_and_not1_b32 vcc_lo, exec_lo, s46
	s_cbranch_vccnz .LBB38_13
; %bb.4:                                ;   in Loop: Header=BB38_3 Depth=1
	v_mov_b64_e32 v[38:39], 0
	v_mov_b64_e32 v[36:37], 0
	v_lshl_add_u64 v[2:3], v[12:13], 3, v[44:45]
	s_barrier_signal -1
	s_barrier_wait -1
	s_mov_b32 s46, exec_lo
	v_readlane_b32 s47, v103, 11
	s_and_b32 s47, s46, s47
	s_delay_alu instid0(SALU_CYCLE_1)
	s_mov_b32 exec_lo, s47
	s_cbranch_execz .LBB38_6
; %bb.5:                                ;   in Loop: Header=BB38_3 Depth=1
	global_load_b64 v[36:37], v[2:3], off
.LBB38_6:                               ;   in Loop: Header=BB38_3 Depth=1
	s_wait_xcnt 0x0
	s_or_b32 exec_lo, exec_lo, s46
	s_wait_loadcnt 0x0
	s_barrier_signal -1
	s_barrier_wait -1
	s_mov_b32 s46, exec_lo
	v_readlane_b32 s47, v103, 12
	s_and_b32 s47, s46, s47
	s_delay_alu instid0(SALU_CYCLE_1)
	s_mov_b32 exec_lo, s47
	s_cbranch_execz .LBB38_8
; %bb.7:                                ;   in Loop: Header=BB38_3 Depth=1
	global_load_b64 v[38:39], v[2:3], off offset:128
.LBB38_8:                               ;   in Loop: Header=BB38_3 Depth=1
	s_wait_xcnt 0x0
	s_or_b32 exec_lo, exec_lo, s46
	v_mov_b64_e32 v[42:43], 0
	v_mov_b64_e32 v[40:41], 0
	s_wait_loadcnt 0x0
	s_barrier_signal -1
	s_barrier_wait -1
	s_mov_b32 s46, exec_lo
	v_readlane_b32 s47, v103, 13
	s_and_b32 s47, s46, s47
	s_delay_alu instid0(SALU_CYCLE_1)
	s_mov_b32 exec_lo, s47
	s_cbranch_execz .LBB38_10
; %bb.9:                                ;   in Loop: Header=BB38_3 Depth=1
	global_load_b64 v[40:41], v[2:3], off offset:256
.LBB38_10:                              ;   in Loop: Header=BB38_3 Depth=1
	s_wait_xcnt 0x0
	s_or_b32 exec_lo, exec_lo, s46
	s_wait_loadcnt 0x0
	s_barrier_signal -1
	s_barrier_wait -1
	s_mov_b32 s46, exec_lo
	v_readlane_b32 s47, v103, 14
	s_and_b32 s47, s46, s47
	s_delay_alu instid0(SALU_CYCLE_1)
	s_mov_b32 exec_lo, s47
	s_cbranch_execz .LBB38_12
; %bb.11:                               ;   in Loop: Header=BB38_3 Depth=1
	global_load_b64 v[42:43], v[2:3], off offset:384
.LBB38_12:                              ;   in Loop: Header=BB38_3 Depth=1
	s_wait_xcnt 0x0
	s_or_b32 exec_lo, exec_lo, s46
.LBB38_13:                              ;   in Loop: Header=BB38_3 Depth=1
	v_mov_b32_e32 v29, v7
	s_add_nc_u64 s[46:47], s[80:81], s[78:79]
	s_and_not1_b32 vcc_lo, exec_lo, s88
	s_delay_alu instid0(VALU_DEP_1)
	v_add_nc_u64_e32 v[2:3], s[46:47], v[28:29]
	s_mov_b32 s46, -1
	s_cbranch_vccnz .LBB38_24
; %bb.14:                               ;   in Loop: Header=BB38_3 Depth=1
	s_and_saveexec_b32 s46, s6
	s_delay_alu instid0(SALU_CYCLE_1)
	s_xor_b32 s46, exec_lo, s46
	s_cbranch_execnz .LBB38_1044
; %bb.15:                               ;   in Loop: Header=BB38_3 Depth=1
	s_and_not1_saveexec_b32 s46, s46
	s_cbranch_execnz .LBB38_1047
.LBB38_16:                              ;   in Loop: Header=BB38_3 Depth=1
	s_or_b32 exec_lo, exec_lo, s46
	s_and_saveexec_b32 s46, s7
	s_delay_alu instid0(SALU_CYCLE_1)
	s_xor_b32 s46, exec_lo, s46
	s_cbranch_execnz .LBB38_1048
.LBB38_17:                              ;   in Loop: Header=BB38_3 Depth=1
	s_and_not1_saveexec_b32 s46, s46
	s_cbranch_execnz .LBB38_1051
.LBB38_18:                              ;   in Loop: Header=BB38_3 Depth=1
	s_or_b32 exec_lo, exec_lo, s46
	s_and_saveexec_b32 s46, s8
	s_delay_alu instid0(SALU_CYCLE_1)
	s_xor_b32 s46, exec_lo, s46
	s_cbranch_execnz .LBB38_1052
.LBB38_19:                              ;   in Loop: Header=BB38_3 Depth=1
	s_and_not1_saveexec_b32 s46, s46
	s_cbranch_execnz .LBB38_1055
.LBB38_20:                              ;   in Loop: Header=BB38_3 Depth=1
	s_or_b32 exec_lo, exec_lo, s46
	s_and_saveexec_b32 s46, s9
	s_delay_alu instid0(SALU_CYCLE_1)
	s_xor_b32 s46, exec_lo, s46
	s_cbranch_execnz .LBB38_1056
.LBB38_21:                              ;   in Loop: Header=BB38_3 Depth=1
	s_and_not1_saveexec_b32 s46, s46
	s_cbranch_execz .LBB38_23
.LBB38_22:                              ;   in Loop: Header=BB38_3 Depth=1
	v_lshl_add_u64 v[46:47], v[22:23], 3, v[2:3]
	global_load_b64 v[46:47], v[46:47], off
	s_wait_loadcnt 0x0
	v_xor_b32_e32 v47, 0x80000000, v47
	ds_store_b64 v89, v[46:47]
.LBB38_23:                              ;   in Loop: Header=BB38_3 Depth=1
	s_or_b32 exec_lo, exec_lo, s46
	s_mov_b32 s46, 0
.LBB38_24:                              ;   in Loop: Header=BB38_3 Depth=1
	s_delay_alu instid0(SALU_CYCLE_1)
	s_and_b32 vcc_lo, exec_lo, s46
	s_cbranch_vccz .LBB38_50
; %bb.25:                               ;   in Loop: Header=BB38_3 Depth=1
	s_mov_b32 s46, exec_lo
	v_readlane_b32 s47, v103, 15
	s_and_b32 s47, s46, s47
	s_delay_alu instid0(SALU_CYCLE_1)
	s_xor_b32 s46, s47, s46
	s_mov_b32 exec_lo, s47
	s_cbranch_execz .LBB38_29
; %bb.26:                               ;   in Loop: Header=BB38_3 Depth=1
	s_mov_b32 s47, exec_lo
	v_readlane_b32 s57, v102, 21
	s_and_b32 s57, s47, s57
	s_delay_alu instid0(SALU_CYCLE_1)
	s_mov_b32 exec_lo, s57
; %bb.27:                               ;   in Loop: Header=BB38_3 Depth=1
	ds_store_b64 v91, v[32:33]
; %bb.28:                               ;   in Loop: Header=BB38_3 Depth=1
	s_or_b32 exec_lo, exec_lo, s47
.LBB38_29:                              ;   in Loop: Header=BB38_3 Depth=1
	s_and_not1_saveexec_b32 s46, s46
	s_cbranch_execz .LBB38_31
; %bb.30:                               ;   in Loop: Header=BB38_3 Depth=1
	v_lshl_add_u64 v[46:47], v[26:27], 3, v[2:3]
	global_load_b64 v[46:47], v[46:47], off
	s_wait_loadcnt 0x0
	v_xor_b32_e32 v47, 0x80000000, v47
	ds_store_b64 v91, v[46:47]
.LBB38_31:                              ;   in Loop: Header=BB38_3 Depth=1
	s_or_b32 exec_lo, exec_lo, s46
	s_delay_alu instid0(SALU_CYCLE_1) | instskip(SKIP_2) | instid1(SALU_CYCLE_1)
	s_mov_b32 s46, exec_lo
	v_readlane_b32 s47, v103, 16
	s_and_b32 s47, s46, s47
	s_xor_b32 s46, s47, s46
	s_mov_b32 exec_lo, s47
	s_cbranch_execz .LBB38_35
; %bb.32:                               ;   in Loop: Header=BB38_3 Depth=1
	s_mov_b32 s47, exec_lo
	v_readlane_b32 s57, v102, 22
	s_and_b32 s57, s47, s57
	s_delay_alu instid0(SALU_CYCLE_1)
	s_mov_b32 exec_lo, s57
; %bb.33:                               ;   in Loop: Header=BB38_3 Depth=1
	ds_store_b64 v87, v[32:33]
; %bb.34:                               ;   in Loop: Header=BB38_3 Depth=1
	s_or_b32 exec_lo, exec_lo, s47
.LBB38_35:                              ;   in Loop: Header=BB38_3 Depth=1
	s_and_not1_saveexec_b32 s46, s46
	s_cbranch_execz .LBB38_37
; %bb.36:                               ;   in Loop: Header=BB38_3 Depth=1
	v_lshl_add_u64 v[46:47], v[18:19], 3, v[2:3]
	global_load_b64 v[46:47], v[46:47], off
	s_wait_loadcnt 0x0
	v_xor_b32_e32 v47, 0x80000000, v47
	ds_store_b64 v87, v[46:47]
.LBB38_37:                              ;   in Loop: Header=BB38_3 Depth=1
	s_or_b32 exec_lo, exec_lo, s46
	s_delay_alu instid0(SALU_CYCLE_1) | instskip(SKIP_2) | instid1(SALU_CYCLE_1)
	s_mov_b32 s46, exec_lo
	v_readlane_b32 s47, v103, 17
	s_and_b32 s47, s46, s47
	;; [unrolled: 28-line block ×3, first 2 shown]
	s_xor_b32 s46, s47, s46
	s_mov_b32 exec_lo, s47
	s_cbranch_execz .LBB38_47
; %bb.44:                               ;   in Loop: Header=BB38_3 Depth=1
	s_mov_b32 s47, exec_lo
	v_readlane_b32 s57, v102, 24
	s_and_b32 s57, s47, s57
	s_delay_alu instid0(SALU_CYCLE_1)
	s_mov_b32 exec_lo, s57
; %bb.45:                               ;   in Loop: Header=BB38_3 Depth=1
	ds_store_b64 v89, v[32:33]
; %bb.46:                               ;   in Loop: Header=BB38_3 Depth=1
	s_or_b32 exec_lo, exec_lo, s47
                                        ; implicit-def: $vgpr2_vgpr3
.LBB38_47:                              ;   in Loop: Header=BB38_3 Depth=1
	s_and_not1_saveexec_b32 s46, s46
	s_cbranch_execz .LBB38_49
; %bb.48:                               ;   in Loop: Header=BB38_3 Depth=1
	v_lshl_add_u64 v[2:3], v[22:23], 3, v[2:3]
	global_load_b64 v[2:3], v[2:3], off
	s_wait_loadcnt 0x0
	v_xor_b32_e32 v3, 0x80000000, v3
	ds_store_b64 v89, v[2:3]
.LBB38_49:                              ;   in Loop: Header=BB38_3 Depth=1
	s_or_b32 exec_lo, exec_lo, s46
.LBB38_50:                              ;   in Loop: Header=BB38_3 Depth=1
	s_delay_alu instid0(SALU_CYCLE_1)
	s_and_not1_b32 vcc_lo, exec_lo, s89
	s_wait_loadcnt_dscnt 0x0
	s_barrier_signal -1
	s_barrier_wait -1
	s_cbranch_vccnz .LBB38_980
; %bb.51:                               ;   in Loop: Header=BB38_3 Depth=1
	s_and_saveexec_b32 s46, s10
	s_cbranch_execz .LBB38_53
; %bb.52:                               ;   in Loop: Header=BB38_3 Depth=1
	ds_load_b64 v[2:3], v7 offset:32752
	v_mov_b32_e32 v0, v7
	ds_store_b64 v7, v[34:35] offset:32760
	s_wait_dscnt 0x1
	ds_store_b128 v7, v[0:3] offset:32240
.LBB38_53:                              ;   in Loop: Header=BB38_3 Depth=1
	s_or_b32 exec_lo, exec_lo, s46
	v_mov_b64_e32 v[2:3], 0
	s_wait_dscnt 0x0
	s_barrier_signal -1
	s_barrier_wait -1
	global_wb scope:SCOPE_DEV
	s_wait_storecnt 0x0
	global_inv scope:SCOPE_DEV
	s_and_saveexec_b32 s46, s0
	s_cbranch_execz .LBB38_57
; %bb.54:                               ;   in Loop: Header=BB38_3 Depth=1
	ds_load_b64 v[2:3], v72 offset:32224
	ds_load_b64 v[46:47], v57 offset:32752
	s_wait_dscnt 0x0
	v_fma_f64 v[2:3], v[2:3], v[46:47], 0
	s_and_saveexec_b32 s47, s11
	s_cbranch_execz .LBB38_56
; %bb.55:                               ;   in Loop: Header=BB38_3 Depth=1
	ds_load_b64 v[46:47], v11 offset:32736
	ds_load_b64 v[48:49], v7 offset:32760
	s_wait_dscnt 0x0
	v_fmac_f64_e32 v[2:3], v[46:47], v[48:49]
.LBB38_56:                              ;   in Loop: Header=BB38_3 Depth=1
	s_or_b32 exec_lo, exec_lo, s47
.LBB38_57:                              ;   in Loop: Header=BB38_3 Depth=1
	s_delay_alu instid0(SALU_CYCLE_1)
	s_or_b32 exec_lo, exec_lo, s46
	s_and_saveexec_b32 s46, s90
; %bb.58:                               ;   in Loop: Header=BB38_3 Depth=1
	s_delay_alu instid0(VALU_DEP_1) | instskip(NEXT) | instid1(VALU_DEP_2)
	v_xor_b32_e32 v47, 0x80000000, v3
	v_mov_b32_e32 v46, v2
	ds_store_b64 v73, v[46:47]
; %bb.59:                               ;   in Loop: Header=BB38_3 Depth=1
	s_or_b32 exec_lo, exec_lo, s46
	s_wait_loadcnt_dscnt 0x0
	s_barrier_signal -1
	s_barrier_wait -1
	s_and_saveexec_b32 s46, s91
	s_cbranch_execz .LBB38_61
; %bb.60:                               ;   in Loop: Header=BB38_3 Depth=1
	ds_load_b64 v[46:47], v7 offset:31712
	ds_load_b64 v[48:49], v73
	s_wait_dscnt 0x0
	v_fma_f64 v[2:3], -v[46:47], v[48:49], v[2:3]
.LBB38_61:                              ;   in Loop: Header=BB38_3 Depth=1
	s_or_b32 exec_lo, exec_lo, s46
	s_barrier_signal -1
	s_barrier_wait -1
	s_and_saveexec_b32 s46, s91
; %bb.62:                               ;   in Loop: Header=BB38_3 Depth=1
	s_delay_alu instid0(VALU_DEP_1) | instskip(NEXT) | instid1(VALU_DEP_2)
	v_xor_b32_e32 v47, 0x80000000, v3
	v_mov_b32_e32 v46, v2
	ds_store_b64 v73, v[46:47]
; %bb.63:                               ;   in Loop: Header=BB38_3 Depth=1
	s_or_b32 exec_lo, exec_lo, s46
	s_wait_dscnt 0x0
	s_barrier_signal -1
	s_barrier_wait -1
	s_barrier_signal -1
	s_barrier_wait -1
	s_and_saveexec_b32 s46, s0
; %bb.64:                               ;   in Loop: Header=BB38_3 Depth=1
	ds_store_b64 v75, v[2:3] offset:32736
; %bb.65:                               ;   in Loop: Header=BB38_3 Depth=1
	s_or_b32 exec_lo, exec_lo, s46
	s_wait_dscnt 0x0
	s_barrier_signal -1
	s_barrier_wait -1
	s_barrier_signal -1
	s_barrier_wait -1
	s_and_saveexec_b32 s46, s92
	s_cbranch_execz .LBB38_67
; %bb.66:                               ;   in Loop: Header=BB38_3 Depth=1
	ds_load_b64 v[2:3], v50 offset:32224
	s_wait_dscnt 0x0
	ds_store_b64 v11, v[2:3] offset:31216
	ds_load_b64 v[2:3], v50 offset:32232
	s_wait_dscnt 0x0
	ds_store_b64 v11, v[2:3] offset:31728
.LBB38_67:                              ;   in Loop: Header=BB38_3 Depth=1
	s_or_b32 exec_lo, exec_lo, s46
	s_wait_dscnt 0x0
	s_barrier_signal -1
	s_barrier_wait -1
	s_and_saveexec_b32 s46, s10
	s_cbranch_execz .LBB38_69
; %bb.68:                               ;   in Loop: Header=BB38_3 Depth=1
	ds_load_b64 v[2:3], v7 offset:31712
	v_mov_b32_e32 v0, v7
	ds_store_b64 v7, v[34:35] offset:31720
	s_wait_dscnt 0x1
	ds_store_b128 v7, v[0:3] offset:31200
.LBB38_69:                              ;   in Loop: Header=BB38_3 Depth=1
	s_or_b32 exec_lo, exec_lo, s46
	v_mov_b64_e32 v[2:3], 0
	s_wait_dscnt 0x0
	s_barrier_signal -1
	s_barrier_wait -1
	global_wb scope:SCOPE_DEV
	s_wait_storecnt 0x0
	global_inv scope:SCOPE_DEV
	s_and_saveexec_b32 s57, s2
	s_cbranch_execz .LBB38_75
; %bb.70:                               ;   in Loop: Header=BB38_3 Depth=1
	ds_load_b64 v[2:3], v74 offset:31168
	ds_load_b64 v[46:47], v59 offset:32736
	s_wait_dscnt 0x0
	v_fma_f64 v[2:3], v[2:3], v[46:47], 0
	s_and_saveexec_b32 s46, s12
	s_cbranch_execnz .LBB38_1067
; %bb.71:                               ;   in Loop: Header=BB38_3 Depth=1
	s_or_b32 exec_lo, exec_lo, s46
	s_and_saveexec_b32 s46, s13
	s_cbranch_execnz .LBB38_1068
.LBB38_72:                              ;   in Loop: Header=BB38_3 Depth=1
	s_or_b32 exec_lo, exec_lo, s46
	s_and_saveexec_b32 s46, s0
	s_cbranch_execz .LBB38_74
.LBB38_73:                              ;   in Loop: Header=BB38_3 Depth=1
	ds_load_b64 v[46:47], v51 offset:32704
	ds_load_b64 v[48:49], v7 offset:32760
	s_wait_dscnt 0x0
	v_fmac_f64_e32 v[2:3], v[46:47], v[48:49]
.LBB38_74:                              ;   in Loop: Header=BB38_3 Depth=1
	s_or_b32 exec_lo, exec_lo, s46
.LBB38_75:                              ;   in Loop: Header=BB38_3 Depth=1
	s_delay_alu instid0(SALU_CYCLE_1)
	s_or_b32 exec_lo, exec_lo, s57
	s_and_saveexec_b32 s46, s93
; %bb.76:                               ;   in Loop: Header=BB38_3 Depth=1
	s_delay_alu instid0(VALU_DEP_1) | instskip(NEXT) | instid1(VALU_DEP_2)
	v_xor_b32_e32 v47, 0x80000000, v3
	v_mov_b32_e32 v46, v2
	ds_store_b64 v77, v[46:47]
; %bb.77:                               ;   in Loop: Header=BB38_3 Depth=1
	s_or_b32 exec_lo, exec_lo, s46
	s_wait_loadcnt_dscnt 0x0
	s_barrier_signal -1
	s_barrier_wait -1
	s_and_saveexec_b32 s46, s94
	s_cbranch_execz .LBB38_79
; %bb.78:                               ;   in Loop: Header=BB38_3 Depth=1
	ds_load_b64 v[46:47], v74 offset:30656
	ds_load_b64 v[48:49], v77
	s_wait_dscnt 0x0
	v_fma_f64 v[2:3], -v[46:47], v[48:49], v[2:3]
.LBB38_79:                              ;   in Loop: Header=BB38_3 Depth=1
	s_or_b32 exec_lo, exec_lo, s46
	s_barrier_signal -1
	s_barrier_wait -1
	s_and_saveexec_b32 s46, s95
; %bb.80:                               ;   in Loop: Header=BB38_3 Depth=1
	s_delay_alu instid0(VALU_DEP_1) | instskip(NEXT) | instid1(VALU_DEP_2)
	v_xor_b32_e32 v47, 0x80000000, v3
	v_mov_b32_e32 v46, v2
	ds_store_b64 v77, v[46:47]
; %bb.81:                               ;   in Loop: Header=BB38_3 Depth=1
	s_or_b32 exec_lo, exec_lo, s46
	s_wait_dscnt 0x0
	s_barrier_signal -1
	s_barrier_wait -1
	s_and_saveexec_b32 s46, s96
	s_cbranch_execz .LBB38_83
; %bb.82:                               ;   in Loop: Header=BB38_3 Depth=1
	ds_load_b64 v[46:47], v74 offset:30144
	ds_load_b64 v[48:49], v77
	s_wait_dscnt 0x0
	v_fma_f64 v[2:3], -v[46:47], v[48:49], v[2:3]
.LBB38_83:                              ;   in Loop: Header=BB38_3 Depth=1
	s_or_b32 exec_lo, exec_lo, s46
	s_barrier_signal -1
	s_barrier_wait -1
	s_and_saveexec_b32 s46, s97
; %bb.84:                               ;   in Loop: Header=BB38_3 Depth=1
	s_delay_alu instid0(VALU_DEP_1) | instskip(NEXT) | instid1(VALU_DEP_2)
	v_xor_b32_e32 v47, 0x80000000, v3
	v_mov_b32_e32 v46, v2
	ds_store_b64 v77, v[46:47]
; %bb.85:                               ;   in Loop: Header=BB38_3 Depth=1
	s_or_b32 exec_lo, exec_lo, s46
	s_wait_dscnt 0x0
	;; [unrolled: 22-line block ×3, first 2 shown]
	s_barrier_signal -1
	s_barrier_wait -1
	s_barrier_signal -1
	s_barrier_wait -1
	s_and_saveexec_b32 s46, s2
; %bb.90:                               ;   in Loop: Header=BB38_3 Depth=1
	ds_store_b64 v79, v[2:3] offset:32704
; %bb.91:                               ;   in Loop: Header=BB38_3 Depth=1
	s_or_b32 exec_lo, exec_lo, s46
	s_wait_dscnt 0x0
	s_barrier_signal -1
	s_barrier_wait -1
	s_barrier_signal -1
	s_barrier_wait -1
	s_and_saveexec_b32 s46, s99
	s_cbranch_execz .LBB38_93
; %bb.92:                               ;   in Loop: Header=BB38_3 Depth=1
	ds_load_b64 v[2:3], v52 offset:31168
	s_wait_dscnt 0x0
	ds_store_b64 v53, v[2:3] offset:29152
	ds_load_b64 v[2:3], v52 offset:31176
	s_wait_dscnt 0x0
	ds_store_b64 v53, v[2:3] offset:29664
	ds_load_b64 v[2:3], v52 offset:31184
	s_wait_dscnt 0x0
	ds_store_b64 v53, v[2:3] offset:30176
	ds_load_b64 v[2:3], v52 offset:31192
	s_wait_dscnt 0x0
	ds_store_b64 v53, v[2:3] offset:30688
.LBB38_93:                              ;   in Loop: Header=BB38_3 Depth=1
	s_or_b32 exec_lo, exec_lo, s46
	s_wait_dscnt 0x0
	s_barrier_signal -1
	s_barrier_wait -1
	s_and_saveexec_b32 s46, s10
	s_cbranch_execz .LBB38_95
; %bb.94:                               ;   in Loop: Header=BB38_3 Depth=1
	ds_load_b64 v[2:3], v7 offset:30672
	v_mov_b32_e32 v0, v7
	ds_store_b64 v7, v[34:35] offset:30680
	s_wait_dscnt 0x1
	ds_store_b128 v7, v[0:3] offset:30160
.LBB38_95:                              ;   in Loop: Header=BB38_3 Depth=1
	s_or_b32 exec_lo, exec_lo, s46
	v_mov_b64_e32 v[2:3], 0
	s_wait_dscnt 0x0
	s_barrier_signal -1
	s_barrier_wait -1
	global_wb scope:SCOPE_DEV
	s_wait_storecnt 0x0
	global_inv scope:SCOPE_DEV
	s_and_saveexec_b32 s46, s0
	s_cbranch_execz .LBB38_99
; %bb.96:                               ;   in Loop: Header=BB38_3 Depth=1
	ds_load_b64 v[2:3], v72 offset:30144
	ds_load_b64 v[46:47], v57 offset:30672
	s_wait_dscnt 0x0
	v_fma_f64 v[2:3], v[2:3], v[46:47], 0
	s_and_saveexec_b32 s47, s11
	s_cbranch_execz .LBB38_98
; %bb.97:                               ;   in Loop: Header=BB38_3 Depth=1
	ds_load_b64 v[46:47], v53 offset:30656
	ds_load_b64 v[48:49], v7 offset:30680
	s_wait_dscnt 0x0
	v_fmac_f64_e32 v[2:3], v[46:47], v[48:49]
.LBB38_98:                              ;   in Loop: Header=BB38_3 Depth=1
	s_or_b32 exec_lo, exec_lo, s47
.LBB38_99:                              ;   in Loop: Header=BB38_3 Depth=1
	s_delay_alu instid0(SALU_CYCLE_1)
	s_or_b32 exec_lo, exec_lo, s46
	s_and_saveexec_b32 s46, s90
; %bb.100:                              ;   in Loop: Header=BB38_3 Depth=1
	s_delay_alu instid0(VALU_DEP_1) | instskip(NEXT) | instid1(VALU_DEP_2)
	v_xor_b32_e32 v47, 0x80000000, v3
	v_mov_b32_e32 v46, v2
	ds_store_b64 v73, v[46:47]
; %bb.101:                              ;   in Loop: Header=BB38_3 Depth=1
	s_or_b32 exec_lo, exec_lo, s46
	s_wait_loadcnt_dscnt 0x0
	s_barrier_signal -1
	s_barrier_wait -1
	s_and_saveexec_b32 s46, s91
	s_cbranch_execz .LBB38_103
; %bb.102:                              ;   in Loop: Header=BB38_3 Depth=1
	ds_load_b64 v[46:47], v7 offset:29632
	ds_load_b64 v[48:49], v73
	s_wait_dscnt 0x0
	v_fma_f64 v[2:3], -v[46:47], v[48:49], v[2:3]
.LBB38_103:                             ;   in Loop: Header=BB38_3 Depth=1
	s_or_b32 exec_lo, exec_lo, s46
	s_barrier_signal -1
	s_barrier_wait -1
	s_and_saveexec_b32 s46, s91
; %bb.104:                              ;   in Loop: Header=BB38_3 Depth=1
	s_delay_alu instid0(VALU_DEP_1) | instskip(NEXT) | instid1(VALU_DEP_2)
	v_xor_b32_e32 v47, 0x80000000, v3
	v_mov_b32_e32 v46, v2
	ds_store_b64 v73, v[46:47]
; %bb.105:                              ;   in Loop: Header=BB38_3 Depth=1
	s_or_b32 exec_lo, exec_lo, s46
	s_wait_dscnt 0x0
	s_barrier_signal -1
	s_barrier_wait -1
	s_barrier_signal -1
	s_barrier_wait -1
	s_and_saveexec_b32 s46, s0
; %bb.106:                              ;   in Loop: Header=BB38_3 Depth=1
	ds_store_b64 v75, v[2:3] offset:30656
; %bb.107:                              ;   in Loop: Header=BB38_3 Depth=1
	s_or_b32 exec_lo, exec_lo, s46
	s_wait_dscnt 0x0
	s_barrier_signal -1
	s_barrier_wait -1
	s_barrier_signal -1
	s_barrier_wait -1
	s_and_saveexec_b32 s46, s92
	s_cbranch_execz .LBB38_109
; %bb.108:                              ;   in Loop: Header=BB38_3 Depth=1
	ds_load_b64 v[2:3], v54 offset:30144
	s_wait_dscnt 0x0
	ds_store_b64 v53, v[2:3] offset:29136
	ds_load_b64 v[2:3], v54 offset:30152
	s_wait_dscnt 0x0
	ds_store_b64 v53, v[2:3] offset:29648
.LBB38_109:                             ;   in Loop: Header=BB38_3 Depth=1
	s_or_b32 exec_lo, exec_lo, s46
	s_wait_dscnt 0x0
	s_barrier_signal -1
	s_barrier_wait -1
	s_and_saveexec_b32 s46, s10
	s_cbranch_execz .LBB38_111
; %bb.110:                              ;   in Loop: Header=BB38_3 Depth=1
	ds_load_b64 v[2:3], v7 offset:29632
	v_mov_b32_e32 v0, v7
	ds_store_b64 v7, v[34:35] offset:29640
	s_wait_dscnt 0x1
	ds_store_b128 v7, v[0:3] offset:29120
.LBB38_111:                             ;   in Loop: Header=BB38_3 Depth=1
	s_or_b32 exec_lo, exec_lo, s46
	v_mov_b64_e32 v[2:3], 0
	s_wait_dscnt 0x0
	s_barrier_signal -1
	s_barrier_wait -1
	global_wb scope:SCOPE_DEV
	s_wait_storecnt 0x0
	global_inv scope:SCOPE_DEV
	s_and_saveexec_b32 s57, s3
	s_cbranch_execz .LBB38_121
; %bb.112:                              ;   in Loop: Header=BB38_3 Depth=1
	ds_load_b64 v[2:3], v76 offset:29056
	ds_load_b64 v[46:47], v63 offset:32704
	s_wait_dscnt 0x0
	v_fma_f64 v[2:3], v[2:3], v[46:47], 0
	s_and_saveexec_b32 s46, s14
	s_cbranch_execnz .LBB38_1069
; %bb.113:                              ;   in Loop: Header=BB38_3 Depth=1
	s_or_b32 exec_lo, exec_lo, s46
	s_and_saveexec_b32 s46, s15
	s_cbranch_execnz .LBB38_1070
.LBB38_114:                             ;   in Loop: Header=BB38_3 Depth=1
	s_or_b32 exec_lo, exec_lo, s46
	s_and_saveexec_b32 s46, s16
	s_cbranch_execnz .LBB38_1071
.LBB38_115:                             ;   in Loop: Header=BB38_3 Depth=1
	s_or_b32 exec_lo, exec_lo, s46
	s_and_saveexec_b32 s46, s17
	s_cbranch_execnz .LBB38_1072
.LBB38_116:                             ;   in Loop: Header=BB38_3 Depth=1
	s_or_b32 exec_lo, exec_lo, s46
	s_and_saveexec_b32 s46, s18
	s_cbranch_execnz .LBB38_1073
.LBB38_117:                             ;   in Loop: Header=BB38_3 Depth=1
	s_or_b32 exec_lo, exec_lo, s46
	s_and_saveexec_b32 s46, s2
	s_cbranch_execnz .LBB38_1074
.LBB38_118:                             ;   in Loop: Header=BB38_3 Depth=1
	s_or_b32 exec_lo, exec_lo, s46
	s_and_saveexec_b32 s46, s13
	s_cbranch_execz .LBB38_120
.LBB38_119:                             ;   in Loop: Header=BB38_3 Depth=1
	ds_load_b64 v[46:47], v55 offset:32640
	ds_load_b64 v[48:49], v7 offset:32760
	s_wait_dscnt 0x0
	v_fmac_f64_e32 v[2:3], v[46:47], v[48:49]
.LBB38_120:                             ;   in Loop: Header=BB38_3 Depth=1
	s_or_b32 exec_lo, exec_lo, s46
.LBB38_121:                             ;   in Loop: Header=BB38_3 Depth=1
	s_delay_alu instid0(SALU_CYCLE_1)
	s_or_b32 exec_lo, exec_lo, s57
	s_and_saveexec_b32 s46, s100
; %bb.122:                              ;   in Loop: Header=BB38_3 Depth=1
	s_delay_alu instid0(VALU_DEP_1) | instskip(NEXT) | instid1(VALU_DEP_2)
	v_xor_b32_e32 v47, 0x80000000, v3
	v_mov_b32_e32 v46, v2
	ds_store_b64 v80, v[46:47]
; %bb.123:                              ;   in Loop: Header=BB38_3 Depth=1
	s_or_b32 exec_lo, exec_lo, s46
	s_wait_loadcnt_dscnt 0x0
	s_barrier_signal -1
	s_barrier_wait -1
	s_and_saveexec_b32 s46, s101
	s_cbranch_execz .LBB38_125
; %bb.124:                              ;   in Loop: Header=BB38_3 Depth=1
	ds_load_b64 v[46:47], v76 offset:28544
	ds_load_b64 v[48:49], v80
	s_wait_dscnt 0x0
	v_fma_f64 v[2:3], -v[46:47], v[48:49], v[2:3]
.LBB38_125:                             ;   in Loop: Header=BB38_3 Depth=1
	s_or_b32 exec_lo, exec_lo, s46
	s_barrier_signal -1
	s_barrier_wait -1
	s_and_saveexec_b32 s46, s102
; %bb.126:                              ;   in Loop: Header=BB38_3 Depth=1
	s_delay_alu instid0(VALU_DEP_1) | instskip(NEXT) | instid1(VALU_DEP_2)
	v_xor_b32_e32 v47, 0x80000000, v3
	v_mov_b32_e32 v46, v2
	ds_store_b64 v80, v[46:47]
; %bb.127:                              ;   in Loop: Header=BB38_3 Depth=1
	s_or_b32 exec_lo, exec_lo, s46
	s_wait_dscnt 0x0
	s_barrier_signal -1
	s_barrier_wait -1
	s_and_saveexec_b32 s46, s103
	s_cbranch_execz .LBB38_129
; %bb.128:                              ;   in Loop: Header=BB38_3 Depth=1
	ds_load_b64 v[46:47], v76 offset:28032
	ds_load_b64 v[48:49], v80
	s_wait_dscnt 0x0
	v_fma_f64 v[2:3], -v[46:47], v[48:49], v[2:3]
.LBB38_129:                             ;   in Loop: Header=BB38_3 Depth=1
	s_or_b32 exec_lo, exec_lo, s46
	s_barrier_signal -1
	s_barrier_wait -1
	s_and_saveexec_b32 s46, s104
; %bb.130:                              ;   in Loop: Header=BB38_3 Depth=1
	s_delay_alu instid0(VALU_DEP_1) | instskip(NEXT) | instid1(VALU_DEP_2)
	v_xor_b32_e32 v47, 0x80000000, v3
	v_mov_b32_e32 v46, v2
	ds_store_b64 v80, v[46:47]
; %bb.131:                              ;   in Loop: Header=BB38_3 Depth=1
	s_or_b32 exec_lo, exec_lo, s46
	s_wait_dscnt 0x0
	s_barrier_signal -1
	s_barrier_wait -1
	s_and_saveexec_b32 s46, vcc_hi
	s_cbranch_execz .LBB38_133
; %bb.132:                              ;   in Loop: Header=BB38_3 Depth=1
	ds_load_b64 v[46:47], v76 offset:27520
	ds_load_b64 v[48:49], v80
	s_wait_dscnt 0x0
	v_fma_f64 v[2:3], -v[46:47], v[48:49], v[2:3]
.LBB38_133:                             ;   in Loop: Header=BB38_3 Depth=1
	s_or_b32 exec_lo, exec_lo, s46
	s_barrier_signal -1
	s_barrier_wait -1
	s_and_saveexec_b32 s46, s31
; %bb.134:                              ;   in Loop: Header=BB38_3 Depth=1
	s_delay_alu instid0(VALU_DEP_1) | instskip(NEXT) | instid1(VALU_DEP_2)
	v_xor_b32_e32 v47, 0x80000000, v3
	v_mov_b32_e32 v46, v2
	ds_store_b64 v80, v[46:47]
; %bb.135:                              ;   in Loop: Header=BB38_3 Depth=1
	s_or_b32 exec_lo, exec_lo, s46
	s_wait_dscnt 0x0
	s_barrier_signal -1
	s_barrier_wait -1
	s_and_saveexec_b32 s46, s33
	s_cbranch_execz .LBB38_137
; %bb.136:                              ;   in Loop: Header=BB38_3 Depth=1
	ds_load_b64 v[46:47], v76 offset:27008
	ds_load_b64 v[48:49], v80
	s_wait_dscnt 0x0
	v_fma_f64 v[2:3], -v[46:47], v[48:49], v[2:3]
.LBB38_137:                             ;   in Loop: Header=BB38_3 Depth=1
	s_or_b32 exec_lo, exec_lo, s46
	s_barrier_signal -1
	s_barrier_wait -1
	s_and_saveexec_b32 s46, s34
; %bb.138:                              ;   in Loop: Header=BB38_3 Depth=1
	s_delay_alu instid0(VALU_DEP_1) | instskip(NEXT) | instid1(VALU_DEP_2)
	v_xor_b32_e32 v47, 0x80000000, v3
	v_mov_b32_e32 v46, v2
	ds_store_b64 v80, v[46:47]
; %bb.139:                              ;   in Loop: Header=BB38_3 Depth=1
	s_or_b32 exec_lo, exec_lo, s46
	s_wait_dscnt 0x0
	s_barrier_signal -1
	s_barrier_wait -1
	s_and_saveexec_b32 s46, s35
	;; [unrolled: 22-line block ×4, first 2 shown]
	s_cbranch_execz .LBB38_149
; %bb.148:                              ;   in Loop: Header=BB38_3 Depth=1
	ds_load_b64 v[46:47], v7 offset:25472
	ds_load_b64 v[48:49], v80
	s_wait_dscnt 0x0
	v_fma_f64 v[2:3], -v[46:47], v[48:49], v[2:3]
.LBB38_149:                             ;   in Loop: Header=BB38_3 Depth=1
	s_or_b32 exec_lo, exec_lo, s46
	s_barrier_signal -1
	s_barrier_wait -1
	s_and_saveexec_b32 s46, s39
; %bb.150:                              ;   in Loop: Header=BB38_3 Depth=1
	s_delay_alu instid0(VALU_DEP_1) | instskip(NEXT) | instid1(VALU_DEP_2)
	v_xor_b32_e32 v47, 0x80000000, v3
	v_mov_b32_e32 v46, v2
	ds_store_b64 v80, v[46:47]
; %bb.151:                              ;   in Loop: Header=BB38_3 Depth=1
	s_or_b32 exec_lo, exec_lo, s46
	s_wait_dscnt 0x0
	s_barrier_signal -1
	s_barrier_wait -1
	s_barrier_signal -1
	s_barrier_wait -1
	s_and_saveexec_b32 s46, s3
; %bb.152:                              ;   in Loop: Header=BB38_3 Depth=1
	ds_store_b64 v81, v[2:3] offset:32640
; %bb.153:                              ;   in Loop: Header=BB38_3 Depth=1
	s_or_b32 exec_lo, exec_lo, s46
	s_wait_dscnt 0x0
	s_barrier_signal -1
	s_barrier_wait -1
	s_barrier_signal -1
	s_barrier_wait -1
	s_and_saveexec_b32 s46, s40
	s_cbranch_execz .LBB38_155
; %bb.154:                              ;   in Loop: Header=BB38_3 Depth=1
	ds_load_b64 v[2:3], v56 offset:29056
	s_wait_dscnt 0x0
	ds_store_b64 v58, v[2:3] offset:25024
	ds_load_b64 v[2:3], v56 offset:29064
	s_wait_dscnt 0x0
	ds_store_b64 v58, v[2:3] offset:25536
	;; [unrolled: 3-line block ×8, first 2 shown]
.LBB38_155:                             ;   in Loop: Header=BB38_3 Depth=1
	s_or_b32 exec_lo, exec_lo, s46
	s_wait_dscnt 0x0
	s_barrier_signal -1
	s_barrier_wait -1
	s_and_saveexec_b32 s46, s10
	s_cbranch_execz .LBB38_157
; %bb.156:                              ;   in Loop: Header=BB38_3 Depth=1
	ds_load_b64 v[2:3], v7 offset:28592
	v_mov_b32_e32 v0, v7
	ds_store_b64 v7, v[34:35] offset:28600
	s_wait_dscnt 0x1
	ds_store_b128 v7, v[0:3] offset:28080
.LBB38_157:                             ;   in Loop: Header=BB38_3 Depth=1
	s_or_b32 exec_lo, exec_lo, s46
	v_mov_b64_e32 v[2:3], 0
	s_wait_dscnt 0x0
	s_barrier_signal -1
	s_barrier_wait -1
	global_wb scope:SCOPE_DEV
	s_wait_storecnt 0x0
	global_inv scope:SCOPE_DEV
	s_and_saveexec_b32 s46, s0
	s_cbranch_execz .LBB38_161
; %bb.158:                              ;   in Loop: Header=BB38_3 Depth=1
	ds_load_b64 v[2:3], v72 offset:28064
	ds_load_b64 v[46:47], v57 offset:28592
	s_wait_dscnt 0x0
	v_fma_f64 v[2:3], v[2:3], v[46:47], 0
	s_and_saveexec_b32 s47, s11
	s_cbranch_execz .LBB38_160
; %bb.159:                              ;   in Loop: Header=BB38_3 Depth=1
	ds_load_b64 v[46:47], v58 offset:28576
	ds_load_b64 v[48:49], v7 offset:28600
	s_wait_dscnt 0x0
	v_fmac_f64_e32 v[2:3], v[46:47], v[48:49]
.LBB38_160:                             ;   in Loop: Header=BB38_3 Depth=1
	s_or_b32 exec_lo, exec_lo, s47
.LBB38_161:                             ;   in Loop: Header=BB38_3 Depth=1
	s_delay_alu instid0(SALU_CYCLE_1)
	s_or_b32 exec_lo, exec_lo, s46
	s_and_saveexec_b32 s46, s90
; %bb.162:                              ;   in Loop: Header=BB38_3 Depth=1
	s_delay_alu instid0(VALU_DEP_1) | instskip(NEXT) | instid1(VALU_DEP_2)
	v_xor_b32_e32 v47, 0x80000000, v3
	v_mov_b32_e32 v46, v2
	ds_store_b64 v73, v[46:47]
; %bb.163:                              ;   in Loop: Header=BB38_3 Depth=1
	s_or_b32 exec_lo, exec_lo, s46
	s_wait_loadcnt_dscnt 0x0
	s_barrier_signal -1
	s_barrier_wait -1
	s_and_saveexec_b32 s46, s91
	s_cbranch_execz .LBB38_165
; %bb.164:                              ;   in Loop: Header=BB38_3 Depth=1
	ds_load_b64 v[46:47], v7 offset:27552
	ds_load_b64 v[48:49], v73
	s_wait_dscnt 0x0
	v_fma_f64 v[2:3], -v[46:47], v[48:49], v[2:3]
.LBB38_165:                             ;   in Loop: Header=BB38_3 Depth=1
	s_or_b32 exec_lo, exec_lo, s46
	s_barrier_signal -1
	s_barrier_wait -1
	s_and_saveexec_b32 s46, s91
; %bb.166:                              ;   in Loop: Header=BB38_3 Depth=1
	s_delay_alu instid0(VALU_DEP_1) | instskip(NEXT) | instid1(VALU_DEP_2)
	v_xor_b32_e32 v47, 0x80000000, v3
	v_mov_b32_e32 v46, v2
	ds_store_b64 v73, v[46:47]
; %bb.167:                              ;   in Loop: Header=BB38_3 Depth=1
	s_or_b32 exec_lo, exec_lo, s46
	s_wait_dscnt 0x0
	s_barrier_signal -1
	s_barrier_wait -1
	s_barrier_signal -1
	s_barrier_wait -1
	s_and_saveexec_b32 s46, s0
; %bb.168:                              ;   in Loop: Header=BB38_3 Depth=1
	ds_store_b64 v75, v[2:3] offset:28576
; %bb.169:                              ;   in Loop: Header=BB38_3 Depth=1
	s_or_b32 exec_lo, exec_lo, s46
	s_wait_dscnt 0x0
	s_barrier_signal -1
	s_barrier_wait -1
	s_barrier_signal -1
	s_barrier_wait -1
	s_and_saveexec_b32 s46, s92
	s_cbranch_execz .LBB38_171
; %bb.170:                              ;   in Loop: Header=BB38_3 Depth=1
	ds_load_b64 v[2:3], v60 offset:28064
	s_wait_dscnt 0x0
	ds_store_b64 v58, v[2:3] offset:27056
	ds_load_b64 v[2:3], v60 offset:28072
	s_wait_dscnt 0x0
	ds_store_b64 v58, v[2:3] offset:27568
.LBB38_171:                             ;   in Loop: Header=BB38_3 Depth=1
	s_or_b32 exec_lo, exec_lo, s46
	s_wait_dscnt 0x0
	s_barrier_signal -1
	s_barrier_wait -1
	s_and_saveexec_b32 s46, s10
	s_cbranch_execz .LBB38_173
; %bb.172:                              ;   in Loop: Header=BB38_3 Depth=1
	ds_load_b64 v[2:3], v7 offset:27552
	v_mov_b32_e32 v0, v7
	ds_store_b64 v7, v[34:35] offset:27560
	s_wait_dscnt 0x1
	ds_store_b128 v7, v[0:3] offset:27040
.LBB38_173:                             ;   in Loop: Header=BB38_3 Depth=1
	s_or_b32 exec_lo, exec_lo, s46
	v_mov_b64_e32 v[2:3], 0
	s_wait_dscnt 0x0
	s_barrier_signal -1
	s_barrier_wait -1
	global_wb scope:SCOPE_DEV
	s_wait_storecnt 0x0
	global_inv scope:SCOPE_DEV
	s_and_saveexec_b32 s57, s2
	s_cbranch_execz .LBB38_179
; %bb.174:                              ;   in Loop: Header=BB38_3 Depth=1
	ds_load_b64 v[2:3], v74 offset:27008
	ds_load_b64 v[46:47], v59 offset:28576
	s_wait_dscnt 0x0
	v_fma_f64 v[2:3], v[2:3], v[46:47], 0
	s_and_saveexec_b32 s46, s12
	s_cbranch_execnz .LBB38_1075
; %bb.175:                              ;   in Loop: Header=BB38_3 Depth=1
	s_or_b32 exec_lo, exec_lo, s46
	s_and_saveexec_b32 s46, s13
	s_cbranch_execnz .LBB38_1076
.LBB38_176:                             ;   in Loop: Header=BB38_3 Depth=1
	s_or_b32 exec_lo, exec_lo, s46
	s_and_saveexec_b32 s46, s0
	s_cbranch_execz .LBB38_178
.LBB38_177:                             ;   in Loop: Header=BB38_3 Depth=1
	ds_load_b64 v[46:47], v62 offset:28544
	ds_load_b64 v[48:49], v7 offset:28600
	s_wait_dscnt 0x0
	v_fmac_f64_e32 v[2:3], v[46:47], v[48:49]
.LBB38_178:                             ;   in Loop: Header=BB38_3 Depth=1
	s_or_b32 exec_lo, exec_lo, s46
.LBB38_179:                             ;   in Loop: Header=BB38_3 Depth=1
	s_delay_alu instid0(SALU_CYCLE_1)
	s_or_b32 exec_lo, exec_lo, s57
	s_and_saveexec_b32 s46, s93
; %bb.180:                              ;   in Loop: Header=BB38_3 Depth=1
	s_delay_alu instid0(VALU_DEP_1) | instskip(NEXT) | instid1(VALU_DEP_2)
	v_xor_b32_e32 v47, 0x80000000, v3
	v_mov_b32_e32 v46, v2
	ds_store_b64 v77, v[46:47]
; %bb.181:                              ;   in Loop: Header=BB38_3 Depth=1
	s_or_b32 exec_lo, exec_lo, s46
	s_wait_loadcnt_dscnt 0x0
	s_barrier_signal -1
	s_barrier_wait -1
	s_and_saveexec_b32 s46, s94
	s_cbranch_execz .LBB38_183
; %bb.182:                              ;   in Loop: Header=BB38_3 Depth=1
	ds_load_b64 v[46:47], v74 offset:26496
	ds_load_b64 v[48:49], v77
	s_wait_dscnt 0x0
	v_fma_f64 v[2:3], -v[46:47], v[48:49], v[2:3]
.LBB38_183:                             ;   in Loop: Header=BB38_3 Depth=1
	s_or_b32 exec_lo, exec_lo, s46
	s_barrier_signal -1
	s_barrier_wait -1
	s_and_saveexec_b32 s46, s95
; %bb.184:                              ;   in Loop: Header=BB38_3 Depth=1
	s_delay_alu instid0(VALU_DEP_1) | instskip(NEXT) | instid1(VALU_DEP_2)
	v_xor_b32_e32 v47, 0x80000000, v3
	v_mov_b32_e32 v46, v2
	ds_store_b64 v77, v[46:47]
; %bb.185:                              ;   in Loop: Header=BB38_3 Depth=1
	s_or_b32 exec_lo, exec_lo, s46
	s_wait_dscnt 0x0
	s_barrier_signal -1
	s_barrier_wait -1
	s_and_saveexec_b32 s46, s96
	s_cbranch_execz .LBB38_187
; %bb.186:                              ;   in Loop: Header=BB38_3 Depth=1
	ds_load_b64 v[46:47], v74 offset:25984
	ds_load_b64 v[48:49], v77
	s_wait_dscnt 0x0
	v_fma_f64 v[2:3], -v[46:47], v[48:49], v[2:3]
.LBB38_187:                             ;   in Loop: Header=BB38_3 Depth=1
	s_or_b32 exec_lo, exec_lo, s46
	s_barrier_signal -1
	s_barrier_wait -1
	s_and_saveexec_b32 s46, s97
; %bb.188:                              ;   in Loop: Header=BB38_3 Depth=1
	s_delay_alu instid0(VALU_DEP_1) | instskip(NEXT) | instid1(VALU_DEP_2)
	v_xor_b32_e32 v47, 0x80000000, v3
	v_mov_b32_e32 v46, v2
	ds_store_b64 v77, v[46:47]
; %bb.189:                              ;   in Loop: Header=BB38_3 Depth=1
	s_or_b32 exec_lo, exec_lo, s46
	s_wait_dscnt 0x0
	s_barrier_signal -1
	s_barrier_wait -1
	s_and_saveexec_b32 s46, s98
	s_cbranch_execz .LBB38_191
; %bb.190:                              ;   in Loop: Header=BB38_3 Depth=1
	ds_load_b64 v[46:47], v7 offset:25472
	ds_load_b64 v[48:49], v77
	s_wait_dscnt 0x0
	v_fma_f64 v[2:3], -v[46:47], v[48:49], v[2:3]
.LBB38_191:                             ;   in Loop: Header=BB38_3 Depth=1
	s_or_b32 exec_lo, exec_lo, s46
	s_barrier_signal -1
	s_barrier_wait -1
	s_and_saveexec_b32 s46, s98
; %bb.192:                              ;   in Loop: Header=BB38_3 Depth=1
	s_delay_alu instid0(VALU_DEP_1) | instskip(NEXT) | instid1(VALU_DEP_2)
	v_xor_b32_e32 v47, 0x80000000, v3
	v_mov_b32_e32 v46, v2
	ds_store_b64 v77, v[46:47]
; %bb.193:                              ;   in Loop: Header=BB38_3 Depth=1
	s_or_b32 exec_lo, exec_lo, s46
	s_wait_dscnt 0x0
	s_barrier_signal -1
	s_barrier_wait -1
	s_barrier_signal -1
	s_barrier_wait -1
	s_and_saveexec_b32 s46, s2
; %bb.194:                              ;   in Loop: Header=BB38_3 Depth=1
	ds_store_b64 v79, v[2:3] offset:28544
; %bb.195:                              ;   in Loop: Header=BB38_3 Depth=1
	s_or_b32 exec_lo, exec_lo, s46
	s_wait_dscnt 0x0
	s_barrier_signal -1
	s_barrier_wait -1
	s_barrier_signal -1
	s_barrier_wait -1
	s_and_saveexec_b32 s46, s99
	s_cbranch_execz .LBB38_197
; %bb.196:                              ;   in Loop: Header=BB38_3 Depth=1
	ds_load_b64 v[2:3], v67 offset:27008
	s_wait_dscnt 0x0
	ds_store_b64 v68, v[2:3] offset:24992
	ds_load_b64 v[2:3], v67 offset:27016
	s_wait_dscnt 0x0
	ds_store_b64 v68, v[2:3] offset:25504
	;; [unrolled: 3-line block ×4, first 2 shown]
.LBB38_197:                             ;   in Loop: Header=BB38_3 Depth=1
	s_or_b32 exec_lo, exec_lo, s46
	s_wait_dscnt 0x0
	s_barrier_signal -1
	s_barrier_wait -1
	s_and_saveexec_b32 s46, s10
	s_cbranch_execz .LBB38_199
; %bb.198:                              ;   in Loop: Header=BB38_3 Depth=1
	ds_load_b64 v[2:3], v7 offset:26512
	v_mov_b32_e32 v0, v7
	ds_store_b64 v7, v[34:35] offset:26520
	s_wait_dscnt 0x1
	ds_store_b128 v7, v[0:3] offset:26000
.LBB38_199:                             ;   in Loop: Header=BB38_3 Depth=1
	s_or_b32 exec_lo, exec_lo, s46
	v_mov_b64_e32 v[2:3], 0
	s_wait_dscnt 0x0
	s_barrier_signal -1
	s_barrier_wait -1
	global_wb scope:SCOPE_DEV
	s_wait_storecnt 0x0
	global_inv scope:SCOPE_DEV
	s_and_saveexec_b32 s46, s0
	s_cbranch_execz .LBB38_203
; %bb.200:                              ;   in Loop: Header=BB38_3 Depth=1
	ds_load_b64 v[2:3], v72 offset:25984
	ds_load_b64 v[46:47], v57 offset:26512
	s_wait_dscnt 0x0
	v_fma_f64 v[2:3], v[2:3], v[46:47], 0
	s_and_saveexec_b32 s47, s11
	s_cbranch_execz .LBB38_202
; %bb.201:                              ;   in Loop: Header=BB38_3 Depth=1
	ds_load_b64 v[46:47], v68 offset:26496
	ds_load_b64 v[48:49], v7 offset:26520
	s_wait_dscnt 0x0
	v_fmac_f64_e32 v[2:3], v[46:47], v[48:49]
.LBB38_202:                             ;   in Loop: Header=BB38_3 Depth=1
	s_or_b32 exec_lo, exec_lo, s47
.LBB38_203:                             ;   in Loop: Header=BB38_3 Depth=1
	s_delay_alu instid0(SALU_CYCLE_1)
	s_or_b32 exec_lo, exec_lo, s46
	s_and_saveexec_b32 s46, s90
; %bb.204:                              ;   in Loop: Header=BB38_3 Depth=1
	s_delay_alu instid0(VALU_DEP_1) | instskip(NEXT) | instid1(VALU_DEP_2)
	v_xor_b32_e32 v47, 0x80000000, v3
	v_mov_b32_e32 v46, v2
	ds_store_b64 v73, v[46:47]
; %bb.205:                              ;   in Loop: Header=BB38_3 Depth=1
	s_or_b32 exec_lo, exec_lo, s46
	s_wait_loadcnt_dscnt 0x0
	s_barrier_signal -1
	s_barrier_wait -1
	s_and_saveexec_b32 s46, s91
	s_cbranch_execz .LBB38_207
; %bb.206:                              ;   in Loop: Header=BB38_3 Depth=1
	ds_load_b64 v[46:47], v7 offset:25472
	ds_load_b64 v[48:49], v73
	s_wait_dscnt 0x0
	v_fma_f64 v[2:3], -v[46:47], v[48:49], v[2:3]
.LBB38_207:                             ;   in Loop: Header=BB38_3 Depth=1
	s_or_b32 exec_lo, exec_lo, s46
	s_barrier_signal -1
	s_barrier_wait -1
	s_and_saveexec_b32 s46, s91
; %bb.208:                              ;   in Loop: Header=BB38_3 Depth=1
	s_delay_alu instid0(VALU_DEP_1) | instskip(NEXT) | instid1(VALU_DEP_2)
	v_xor_b32_e32 v47, 0x80000000, v3
	v_mov_b32_e32 v46, v2
	ds_store_b64 v73, v[46:47]
; %bb.209:                              ;   in Loop: Header=BB38_3 Depth=1
	s_or_b32 exec_lo, exec_lo, s46
	s_wait_dscnt 0x0
	s_barrier_signal -1
	s_barrier_wait -1
	s_barrier_signal -1
	s_barrier_wait -1
	s_and_saveexec_b32 s46, s0
; %bb.210:                              ;   in Loop: Header=BB38_3 Depth=1
	ds_store_b64 v75, v[2:3] offset:26496
; %bb.211:                              ;   in Loop: Header=BB38_3 Depth=1
	s_or_b32 exec_lo, exec_lo, s46
	s_wait_dscnt 0x0
	s_barrier_signal -1
	s_barrier_wait -1
	s_barrier_signal -1
	s_barrier_wait -1
	s_and_saveexec_b32 s46, s92
	s_cbranch_execz .LBB38_213
; %bb.212:                              ;   in Loop: Header=BB38_3 Depth=1
	ds_load_b64 v[2:3], v69 offset:25984
	s_wait_dscnt 0x0
	ds_store_b64 v68, v[2:3] offset:24976
	ds_load_b64 v[2:3], v69 offset:25992
	s_wait_dscnt 0x0
	ds_store_b64 v68, v[2:3] offset:25488
.LBB38_213:                             ;   in Loop: Header=BB38_3 Depth=1
	s_or_b32 exec_lo, exec_lo, s46
	s_wait_dscnt 0x0
	s_barrier_signal -1
	s_barrier_wait -1
	s_and_saveexec_b32 s46, s10
	s_cbranch_execz .LBB38_215
; %bb.214:                              ;   in Loop: Header=BB38_3 Depth=1
	ds_load_b64 v[2:3], v7 offset:25472
	v_mov_b32_e32 v0, v7
	ds_store_b64 v7, v[34:35] offset:25480
	s_wait_dscnt 0x1
	ds_store_b128 v7, v[0:3] offset:24960
.LBB38_215:                             ;   in Loop: Header=BB38_3 Depth=1
	s_or_b32 exec_lo, exec_lo, s46
	v_mov_b64_e32 v[2:3], 0
	s_wait_dscnt 0x0
	s_barrier_signal -1
	s_barrier_wait -1
	global_wb scope:SCOPE_DEV
	s_wait_storecnt 0x0
	global_inv scope:SCOPE_DEV
	s_and_saveexec_b32 s61, s4
	s_cbranch_execz .LBB38_243
; %bb.216:                              ;   in Loop: Header=BB38_3 Depth=1
	ds_load_b64 v[2:3], v78 offset:24832
	ds_load_b64 v[46:47], v65 offset:32640
	s_wait_dscnt 0x0
	v_fma_f64 v[2:3], v[2:3], v[46:47], 0
	s_mov_b32 s46, exec_lo
	v_readlane_b32 s47, v103, 19
	s_and_b32 s47, s46, s47
	s_delay_alu instid0(SALU_CYCLE_1)
	s_mov_b32 exec_lo, s47
	s_cbranch_execz .LBB38_218
; %bb.217:                              ;   in Loop: Header=BB38_3 Depth=1
	ds_load_b64 v[46:47], v78 offset:25344
	ds_load_b64 v[48:49], v65 offset:32648
	s_wait_dscnt 0x0
	v_fmac_f64_e32 v[2:3], v[46:47], v[48:49]
.LBB38_218:                             ;   in Loop: Header=BB38_3 Depth=1
	s_or_b32 exec_lo, exec_lo, s46
	s_delay_alu instid0(SALU_CYCLE_1) | instskip(SKIP_2) | instid1(SALU_CYCLE_1)
	s_mov_b32 s46, exec_lo
	v_readlane_b32 s47, v103, 20
	s_and_b32 s47, s46, s47
	s_mov_b32 exec_lo, s47
	s_cbranch_execz .LBB38_220
; %bb.219:                              ;   in Loop: Header=BB38_3 Depth=1
	ds_load_b64 v[46:47], v78 offset:25856
	ds_load_b64 v[48:49], v65 offset:32656
	s_wait_dscnt 0x0
	v_fmac_f64_e32 v[2:3], v[46:47], v[48:49]
.LBB38_220:                             ;   in Loop: Header=BB38_3 Depth=1
	s_or_b32 exec_lo, exec_lo, s46
	s_delay_alu instid0(SALU_CYCLE_1) | instskip(SKIP_2) | instid1(SALU_CYCLE_1)
	s_mov_b32 s46, exec_lo
	v_readlane_b32 s47, v103, 21
	s_and_b32 s47, s46, s47
	;; [unrolled: 13-line block ×10, first 2 shown]
	s_mov_b32 exec_lo, s47
	s_cbranch_execnz .LBB38_1077
; %bb.237:                              ;   in Loop: Header=BB38_3 Depth=1
	s_or_b32 exec_lo, exec_lo, s46
	s_and_saveexec_b32 s46, s3
	s_cbranch_execnz .LBB38_1078
.LBB38_238:                             ;   in Loop: Header=BB38_3 Depth=1
	s_or_b32 exec_lo, exec_lo, s46
	s_and_saveexec_b32 s46, s15
	s_cbranch_execnz .LBB38_1079
.LBB38_239:                             ;   in Loop: Header=BB38_3 Depth=1
	s_or_b32 exec_lo, exec_lo, s46
	s_and_saveexec_b32 s46, s17
	s_cbranch_execnz .LBB38_1080
.LBB38_240:                             ;   in Loop: Header=BB38_3 Depth=1
	s_or_b32 exec_lo, exec_lo, s46
	s_and_saveexec_b32 s46, s2
	s_cbranch_execz .LBB38_242
.LBB38_241:                             ;   in Loop: Header=BB38_3 Depth=1
	ds_load_b64 v[46:47], v11 offset:32512
	ds_load_b64 v[48:49], v7 offset:32760
	s_wait_dscnt 0x0
	v_fmac_f64_e32 v[2:3], v[46:47], v[48:49]
.LBB38_242:                             ;   in Loop: Header=BB38_3 Depth=1
	s_or_b32 exec_lo, exec_lo, s46
.LBB38_243:                             ;   in Loop: Header=BB38_3 Depth=1
	s_delay_alu instid0(SALU_CYCLE_1) | instskip(NEXT) | instid1(SALU_CYCLE_1)
	s_or_b32 exec_lo, exec_lo, s61
	s_mov_b32 s46, exec_lo
	v_readlane_b32 s47, v103, 2
	s_and_b32 s47, s46, s47
	s_delay_alu instid0(SALU_CYCLE_1)
	s_mov_b32 exec_lo, s47
; %bb.244:                              ;   in Loop: Header=BB38_3 Depth=1
	v_xor_b32_e32 v47, 0x80000000, v3
	v_mov_b32_e32 v46, v2
	ds_store_b64 v82, v[46:47]
; %bb.245:                              ;   in Loop: Header=BB38_3 Depth=1
	s_or_b32 exec_lo, exec_lo, s46
	s_wait_loadcnt_dscnt 0x0
	s_barrier_signal -1
	s_barrier_wait -1
	s_mov_b32 s46, exec_lo
	v_readlane_b32 s47, v103, 3
	s_and_b32 s47, s46, s47
	s_delay_alu instid0(SALU_CYCLE_1)
	s_mov_b32 exec_lo, s47
	s_cbranch_execz .LBB38_247
; %bb.246:                              ;   in Loop: Header=BB38_3 Depth=1
	ds_load_b64 v[46:47], v78 offset:24320
	ds_load_b64 v[48:49], v82
	s_wait_dscnt 0x0
	v_fma_f64 v[2:3], -v[46:47], v[48:49], v[2:3]
.LBB38_247:                             ;   in Loop: Header=BB38_3 Depth=1
	s_or_b32 exec_lo, exec_lo, s46
	s_barrier_signal -1
	s_barrier_wait -1
	s_mov_b32 s46, exec_lo
	v_readlane_b32 s47, v103, 4
	s_and_b32 s47, s46, s47
	s_delay_alu instid0(SALU_CYCLE_1)
	s_mov_b32 exec_lo, s47
; %bb.248:                              ;   in Loop: Header=BB38_3 Depth=1
	v_xor_b32_e32 v47, 0x80000000, v3
	v_mov_b32_e32 v46, v2
	ds_store_b64 v82, v[46:47]
; %bb.249:                              ;   in Loop: Header=BB38_3 Depth=1
	s_or_b32 exec_lo, exec_lo, s46
	s_wait_dscnt 0x0
	s_barrier_signal -1
	s_barrier_wait -1
	s_mov_b32 s46, exec_lo
	v_readlane_b32 s47, v103, 5
	s_and_b32 s47, s46, s47
	s_delay_alu instid0(SALU_CYCLE_1)
	s_mov_b32 exec_lo, s47
	s_cbranch_execz .LBB38_251
; %bb.250:                              ;   in Loop: Header=BB38_3 Depth=1
	ds_load_b64 v[46:47], v78 offset:23808
	ds_load_b64 v[48:49], v82
	s_wait_dscnt 0x0
	v_fma_f64 v[2:3], -v[46:47], v[48:49], v[2:3]
.LBB38_251:                             ;   in Loop: Header=BB38_3 Depth=1
	s_or_b32 exec_lo, exec_lo, s46
	s_barrier_signal -1
	s_barrier_wait -1
	s_mov_b32 s46, exec_lo
	v_readlane_b32 s47, v103, 6
	s_and_b32 s47, s46, s47
	s_delay_alu instid0(SALU_CYCLE_1)
	s_mov_b32 exec_lo, s47
; %bb.252:                              ;   in Loop: Header=BB38_3 Depth=1
	v_xor_b32_e32 v47, 0x80000000, v3
	v_mov_b32_e32 v46, v2
	ds_store_b64 v82, v[46:47]
; %bb.253:                              ;   in Loop: Header=BB38_3 Depth=1
	s_or_b32 exec_lo, exec_lo, s46
	s_wait_dscnt 0x0
	;; [unrolled: 29-line block ×3, first 2 shown]
	s_barrier_signal -1
	s_barrier_wait -1
	s_and_saveexec_b32 s46, s48
	s_cbranch_execz .LBB38_259
; %bb.258:                              ;   in Loop: Header=BB38_3 Depth=1
	ds_load_b64 v[46:47], v78 offset:22784
	ds_load_b64 v[48:49], v82
	s_wait_dscnt 0x0
	v_fma_f64 v[2:3], -v[46:47], v[48:49], v[2:3]
.LBB38_259:                             ;   in Loop: Header=BB38_3 Depth=1
	s_or_b32 exec_lo, exec_lo, s46
	s_barrier_signal -1
	s_barrier_wait -1
	s_and_saveexec_b32 s46, s49
; %bb.260:                              ;   in Loop: Header=BB38_3 Depth=1
	s_delay_alu instid0(VALU_DEP_1) | instskip(NEXT) | instid1(VALU_DEP_2)
	v_xor_b32_e32 v47, 0x80000000, v3
	v_mov_b32_e32 v46, v2
	ds_store_b64 v82, v[46:47]
; %bb.261:                              ;   in Loop: Header=BB38_3 Depth=1
	s_or_b32 exec_lo, exec_lo, s46
	s_wait_dscnt 0x0
	s_barrier_signal -1
	s_barrier_wait -1
	s_and_saveexec_b32 s46, s50
	s_cbranch_execz .LBB38_263
; %bb.262:                              ;   in Loop: Header=BB38_3 Depth=1
	ds_load_b64 v[46:47], v78 offset:22272
	ds_load_b64 v[48:49], v82
	s_wait_dscnt 0x0
	v_fma_f64 v[2:3], -v[46:47], v[48:49], v[2:3]
.LBB38_263:                             ;   in Loop: Header=BB38_3 Depth=1
	s_or_b32 exec_lo, exec_lo, s46
	s_barrier_signal -1
	s_barrier_wait -1
	s_and_saveexec_b32 s46, s51
; %bb.264:                              ;   in Loop: Header=BB38_3 Depth=1
	s_delay_alu instid0(VALU_DEP_1) | instskip(NEXT) | instid1(VALU_DEP_2)
	v_xor_b32_e32 v47, 0x80000000, v3
	v_mov_b32_e32 v46, v2
	ds_store_b64 v82, v[46:47]
; %bb.265:                              ;   in Loop: Header=BB38_3 Depth=1
	s_or_b32 exec_lo, exec_lo, s46
	s_wait_dscnt 0x0
	;; [unrolled: 22-line block ×12, first 2 shown]
	s_barrier_signal -1
	s_barrier_wait -1
	s_barrier_signal -1
	s_barrier_wait -1
	s_and_saveexec_b32 s46, s4
; %bb.306:                              ;   in Loop: Header=BB38_3 Depth=1
	ds_store_b64 v83, v[2:3] offset:32512
; %bb.307:                              ;   in Loop: Header=BB38_3 Depth=1
	s_or_b32 exec_lo, exec_lo, s46
	s_wait_dscnt 0x0
	s_barrier_signal -1
	s_barrier_wait -1
	s_barrier_signal -1
	s_barrier_wait -1
	s_and_saveexec_b32 s57, s43
	s_cbranch_execz .LBB38_309
; %bb.308:                              ;   in Loop: Header=BB38_3 Depth=1
	ds_load_b64 v[2:3], v50 offset:24832
	s_wait_dscnt 0x0
	ds_store_b64 v51, v[2:3] offset:16768
	ds_load_b64 v[2:3], v50 offset:24840
	s_wait_dscnt 0x0
	ds_store_b64 v51, v[2:3] offset:17280
	ds_load_b64 v[2:3], v50 offset:24848
	s_wait_dscnt 0x0
	ds_store_b64 v51, v[2:3] offset:17792
	ds_load_b64 v[2:3], v50 offset:24856
	s_wait_dscnt 0x0
	ds_store_b64 v51, v[2:3] offset:18304
	ds_load_b64 v[2:3], v50 offset:24864
	s_wait_dscnt 0x0
	ds_store_b64 v51, v[2:3] offset:18816
	ds_load_b64 v[2:3], v50 offset:24872
	s_wait_dscnt 0x0
	ds_store_b64 v51, v[2:3] offset:19328
	ds_load_b64 v[2:3], v50 offset:24880
	s_wait_dscnt 0x0
	ds_store_b64 v51, v[2:3] offset:19840
	ds_load_b64 v[2:3], v50 offset:24888
	s_wait_dscnt 0x0
	ds_store_b64 v51, v[2:3] offset:20352
	ds_load_b64 v[2:3], v50 offset:24896
	s_wait_dscnt 0x0
	ds_store_b64 v51, v[2:3] offset:20864
	ds_load_b64 v[2:3], v50 offset:24904
	s_wait_dscnt 0x0
	ds_store_b64 v51, v[2:3] offset:21376
	ds_load_b64 v[2:3], v50 offset:24912
	s_wait_dscnt 0x0
	ds_store_b64 v51, v[2:3] offset:21888
	ds_load_b64 v[2:3], v50 offset:24920
	s_wait_dscnt 0x0
	ds_store_b64 v51, v[2:3] offset:22400
	ds_load_b64 v[2:3], v50 offset:24928
	s_wait_dscnt 0x0
	ds_store_b64 v51, v[2:3] offset:22912
	ds_load_b64 v[2:3], v50 offset:24936
	s_wait_dscnt 0x0
	ds_store_b64 v51, v[2:3] offset:23424
	ds_load_b64 v[2:3], v50 offset:24944
	s_wait_dscnt 0x0
	ds_store_b64 v51, v[2:3] offset:23936
	ds_load_b64 v[2:3], v50 offset:24952
	s_wait_dscnt 0x0
	ds_store_b64 v51, v[2:3] offset:24448
.LBB38_309:                             ;   in Loop: Header=BB38_3 Depth=1
	s_or_b32 exec_lo, exec_lo, s57
	s_wait_dscnt 0x0
	s_barrier_signal -1
	s_barrier_wait -1
	s_and_saveexec_b32 s46, s10
	s_cbranch_execz .LBB38_311
; %bb.310:                              ;   in Loop: Header=BB38_3 Depth=1
	ds_load_b64 v[2:3], v7 offset:24432
	v_mov_b32_e32 v0, v7
	ds_store_b64 v7, v[34:35] offset:24440
	s_wait_dscnt 0x1
	ds_store_b128 v7, v[0:3] offset:23920
.LBB38_311:                             ;   in Loop: Header=BB38_3 Depth=1
	s_or_b32 exec_lo, exec_lo, s46
	v_mov_b64_e32 v[2:3], 0
	s_wait_dscnt 0x0
	s_barrier_signal -1
	s_barrier_wait -1
	global_wb scope:SCOPE_DEV
	s_wait_storecnt 0x0
	global_inv scope:SCOPE_DEV
	s_and_saveexec_b32 s46, s0
	s_cbranch_execz .LBB38_315
; %bb.312:                              ;   in Loop: Header=BB38_3 Depth=1
	ds_load_b64 v[2:3], v72 offset:23904
	ds_load_b64 v[46:47], v57 offset:24432
	s_wait_dscnt 0x0
	v_fma_f64 v[2:3], v[2:3], v[46:47], 0
	s_and_saveexec_b32 s47, s11
	s_cbranch_execz .LBB38_314
; %bb.313:                              ;   in Loop: Header=BB38_3 Depth=1
	ds_load_b64 v[46:47], v11 offset:24416
	ds_load_b64 v[48:49], v7 offset:24440
	s_wait_dscnt 0x0
	v_fmac_f64_e32 v[2:3], v[46:47], v[48:49]
.LBB38_314:                             ;   in Loop: Header=BB38_3 Depth=1
	s_or_b32 exec_lo, exec_lo, s47
.LBB38_315:                             ;   in Loop: Header=BB38_3 Depth=1
	s_delay_alu instid0(SALU_CYCLE_1)
	s_or_b32 exec_lo, exec_lo, s46
	s_and_saveexec_b32 s46, s90
; %bb.316:                              ;   in Loop: Header=BB38_3 Depth=1
	s_delay_alu instid0(VALU_DEP_1) | instskip(NEXT) | instid1(VALU_DEP_2)
	v_xor_b32_e32 v47, 0x80000000, v3
	v_mov_b32_e32 v46, v2
	ds_store_b64 v73, v[46:47]
; %bb.317:                              ;   in Loop: Header=BB38_3 Depth=1
	s_or_b32 exec_lo, exec_lo, s46
	s_wait_loadcnt_dscnt 0x0
	s_barrier_signal -1
	s_barrier_wait -1
	s_and_saveexec_b32 s46, s91
	s_cbranch_execz .LBB38_319
; %bb.318:                              ;   in Loop: Header=BB38_3 Depth=1
	ds_load_b64 v[46:47], v7 offset:23392
	ds_load_b64 v[48:49], v73
	s_wait_dscnt 0x0
	v_fma_f64 v[2:3], -v[46:47], v[48:49], v[2:3]
.LBB38_319:                             ;   in Loop: Header=BB38_3 Depth=1
	s_or_b32 exec_lo, exec_lo, s46
	s_barrier_signal -1
	s_barrier_wait -1
	s_and_saveexec_b32 s46, s91
; %bb.320:                              ;   in Loop: Header=BB38_3 Depth=1
	s_delay_alu instid0(VALU_DEP_1) | instskip(NEXT) | instid1(VALU_DEP_2)
	v_xor_b32_e32 v47, 0x80000000, v3
	v_mov_b32_e32 v46, v2
	ds_store_b64 v73, v[46:47]
; %bb.321:                              ;   in Loop: Header=BB38_3 Depth=1
	s_or_b32 exec_lo, exec_lo, s46
	s_wait_dscnt 0x0
	s_barrier_signal -1
	s_barrier_wait -1
	s_barrier_signal -1
	s_barrier_wait -1
	s_and_saveexec_b32 s46, s0
; %bb.322:                              ;   in Loop: Header=BB38_3 Depth=1
	ds_store_b64 v75, v[2:3] offset:24416
; %bb.323:                              ;   in Loop: Header=BB38_3 Depth=1
	s_or_b32 exec_lo, exec_lo, s46
	s_wait_dscnt 0x0
	s_barrier_signal -1
	s_barrier_wait -1
	s_barrier_signal -1
	s_barrier_wait -1
	s_and_saveexec_b32 s46, s92
	s_cbranch_execz .LBB38_325
; %bb.324:                              ;   in Loop: Header=BB38_3 Depth=1
	ds_load_b64 v[2:3], v50 offset:23904
	s_wait_dscnt 0x0
	ds_store_b64 v11, v[2:3] offset:22896
	ds_load_b64 v[2:3], v50 offset:23912
	s_wait_dscnt 0x0
	ds_store_b64 v11, v[2:3] offset:23408
.LBB38_325:                             ;   in Loop: Header=BB38_3 Depth=1
	s_or_b32 exec_lo, exec_lo, s46
	s_wait_dscnt 0x0
	s_barrier_signal -1
	s_barrier_wait -1
	s_and_saveexec_b32 s46, s10
	s_cbranch_execz .LBB38_327
; %bb.326:                              ;   in Loop: Header=BB38_3 Depth=1
	ds_load_b64 v[2:3], v7 offset:23392
	v_mov_b32_e32 v0, v7
	ds_store_b64 v7, v[34:35] offset:23400
	s_wait_dscnt 0x1
	ds_store_b128 v7, v[0:3] offset:22880
.LBB38_327:                             ;   in Loop: Header=BB38_3 Depth=1
	s_or_b32 exec_lo, exec_lo, s46
	v_mov_b64_e32 v[2:3], 0
	s_wait_dscnt 0x0
	s_barrier_signal -1
	s_barrier_wait -1
	global_wb scope:SCOPE_DEV
	s_wait_storecnt 0x0
	global_inv scope:SCOPE_DEV
	s_and_saveexec_b32 s57, s2
	s_cbranch_execz .LBB38_333
; %bb.328:                              ;   in Loop: Header=BB38_3 Depth=1
	ds_load_b64 v[2:3], v74 offset:22848
	ds_load_b64 v[46:47], v59 offset:24416
	s_wait_dscnt 0x0
	v_fma_f64 v[2:3], v[2:3], v[46:47], 0
	s_and_saveexec_b32 s46, s12
	s_cbranch_execnz .LBB38_1081
; %bb.329:                              ;   in Loop: Header=BB38_3 Depth=1
	s_or_b32 exec_lo, exec_lo, s46
	s_and_saveexec_b32 s46, s13
	s_cbranch_execnz .LBB38_1082
.LBB38_330:                             ;   in Loop: Header=BB38_3 Depth=1
	s_or_b32 exec_lo, exec_lo, s46
	s_and_saveexec_b32 s46, s0
	s_cbranch_execz .LBB38_332
.LBB38_331:                             ;   in Loop: Header=BB38_3 Depth=1
	ds_load_b64 v[46:47], v51 offset:24384
	ds_load_b64 v[48:49], v7 offset:24440
	s_wait_dscnt 0x0
	v_fmac_f64_e32 v[2:3], v[46:47], v[48:49]
.LBB38_332:                             ;   in Loop: Header=BB38_3 Depth=1
	s_or_b32 exec_lo, exec_lo, s46
.LBB38_333:                             ;   in Loop: Header=BB38_3 Depth=1
	s_delay_alu instid0(SALU_CYCLE_1)
	s_or_b32 exec_lo, exec_lo, s57
	s_and_saveexec_b32 s46, s93
; %bb.334:                              ;   in Loop: Header=BB38_3 Depth=1
	s_delay_alu instid0(VALU_DEP_1) | instskip(NEXT) | instid1(VALU_DEP_2)
	v_xor_b32_e32 v47, 0x80000000, v3
	v_mov_b32_e32 v46, v2
	ds_store_b64 v77, v[46:47]
; %bb.335:                              ;   in Loop: Header=BB38_3 Depth=1
	s_or_b32 exec_lo, exec_lo, s46
	s_wait_loadcnt_dscnt 0x0
	s_barrier_signal -1
	s_barrier_wait -1
	s_and_saveexec_b32 s46, s94
	s_cbranch_execz .LBB38_337
; %bb.336:                              ;   in Loop: Header=BB38_3 Depth=1
	ds_load_b64 v[46:47], v74 offset:22336
	ds_load_b64 v[48:49], v77
	s_wait_dscnt 0x0
	v_fma_f64 v[2:3], -v[46:47], v[48:49], v[2:3]
.LBB38_337:                             ;   in Loop: Header=BB38_3 Depth=1
	s_or_b32 exec_lo, exec_lo, s46
	s_barrier_signal -1
	s_barrier_wait -1
	s_and_saveexec_b32 s46, s95
; %bb.338:                              ;   in Loop: Header=BB38_3 Depth=1
	s_delay_alu instid0(VALU_DEP_1) | instskip(NEXT) | instid1(VALU_DEP_2)
	v_xor_b32_e32 v47, 0x80000000, v3
	v_mov_b32_e32 v46, v2
	ds_store_b64 v77, v[46:47]
; %bb.339:                              ;   in Loop: Header=BB38_3 Depth=1
	s_or_b32 exec_lo, exec_lo, s46
	s_wait_dscnt 0x0
	s_barrier_signal -1
	s_barrier_wait -1
	s_and_saveexec_b32 s46, s96
	s_cbranch_execz .LBB38_341
; %bb.340:                              ;   in Loop: Header=BB38_3 Depth=1
	ds_load_b64 v[46:47], v74 offset:21824
	ds_load_b64 v[48:49], v77
	s_wait_dscnt 0x0
	v_fma_f64 v[2:3], -v[46:47], v[48:49], v[2:3]
.LBB38_341:                             ;   in Loop: Header=BB38_3 Depth=1
	s_or_b32 exec_lo, exec_lo, s46
	s_barrier_signal -1
	s_barrier_wait -1
	s_and_saveexec_b32 s46, s97
; %bb.342:                              ;   in Loop: Header=BB38_3 Depth=1
	s_delay_alu instid0(VALU_DEP_1) | instskip(NEXT) | instid1(VALU_DEP_2)
	v_xor_b32_e32 v47, 0x80000000, v3
	v_mov_b32_e32 v46, v2
	ds_store_b64 v77, v[46:47]
; %bb.343:                              ;   in Loop: Header=BB38_3 Depth=1
	s_or_b32 exec_lo, exec_lo, s46
	s_wait_dscnt 0x0
	;; [unrolled: 22-line block ×3, first 2 shown]
	s_barrier_signal -1
	s_barrier_wait -1
	s_barrier_signal -1
	s_barrier_wait -1
	s_and_saveexec_b32 s46, s2
; %bb.348:                              ;   in Loop: Header=BB38_3 Depth=1
	ds_store_b64 v79, v[2:3] offset:24384
; %bb.349:                              ;   in Loop: Header=BB38_3 Depth=1
	s_or_b32 exec_lo, exec_lo, s46
	s_wait_dscnt 0x0
	s_barrier_signal -1
	s_barrier_wait -1
	s_barrier_signal -1
	s_barrier_wait -1
	s_and_saveexec_b32 s46, s99
	s_cbranch_execz .LBB38_351
; %bb.350:                              ;   in Loop: Header=BB38_3 Depth=1
	ds_load_b64 v[2:3], v52 offset:22848
	s_wait_dscnt 0x0
	ds_store_b64 v53, v[2:3] offset:20832
	ds_load_b64 v[2:3], v52 offset:22856
	s_wait_dscnt 0x0
	ds_store_b64 v53, v[2:3] offset:21344
	;; [unrolled: 3-line block ×4, first 2 shown]
.LBB38_351:                             ;   in Loop: Header=BB38_3 Depth=1
	s_or_b32 exec_lo, exec_lo, s46
	s_wait_dscnt 0x0
	s_barrier_signal -1
	s_barrier_wait -1
	s_and_saveexec_b32 s46, s10
	s_cbranch_execz .LBB38_353
; %bb.352:                              ;   in Loop: Header=BB38_3 Depth=1
	ds_load_b64 v[2:3], v7 offset:22352
	v_mov_b32_e32 v0, v7
	ds_store_b64 v7, v[34:35] offset:22360
	s_wait_dscnt 0x1
	ds_store_b128 v7, v[0:3] offset:21840
.LBB38_353:                             ;   in Loop: Header=BB38_3 Depth=1
	s_or_b32 exec_lo, exec_lo, s46
	v_mov_b64_e32 v[2:3], 0
	s_wait_dscnt 0x0
	s_barrier_signal -1
	s_barrier_wait -1
	global_wb scope:SCOPE_DEV
	s_wait_storecnt 0x0
	global_inv scope:SCOPE_DEV
	s_and_saveexec_b32 s46, s0
	s_cbranch_execz .LBB38_357
; %bb.354:                              ;   in Loop: Header=BB38_3 Depth=1
	ds_load_b64 v[2:3], v72 offset:21824
	ds_load_b64 v[46:47], v57 offset:22352
	s_wait_dscnt 0x0
	v_fma_f64 v[2:3], v[2:3], v[46:47], 0
	s_and_saveexec_b32 s47, s11
	s_cbranch_execz .LBB38_356
; %bb.355:                              ;   in Loop: Header=BB38_3 Depth=1
	ds_load_b64 v[46:47], v53 offset:22336
	ds_load_b64 v[48:49], v7 offset:22360
	s_wait_dscnt 0x0
	v_fmac_f64_e32 v[2:3], v[46:47], v[48:49]
.LBB38_356:                             ;   in Loop: Header=BB38_3 Depth=1
	s_or_b32 exec_lo, exec_lo, s47
.LBB38_357:                             ;   in Loop: Header=BB38_3 Depth=1
	s_delay_alu instid0(SALU_CYCLE_1)
	s_or_b32 exec_lo, exec_lo, s46
	s_and_saveexec_b32 s46, s90
; %bb.358:                              ;   in Loop: Header=BB38_3 Depth=1
	s_delay_alu instid0(VALU_DEP_1) | instskip(NEXT) | instid1(VALU_DEP_2)
	v_xor_b32_e32 v47, 0x80000000, v3
	v_mov_b32_e32 v46, v2
	ds_store_b64 v73, v[46:47]
; %bb.359:                              ;   in Loop: Header=BB38_3 Depth=1
	s_or_b32 exec_lo, exec_lo, s46
	s_wait_loadcnt_dscnt 0x0
	s_barrier_signal -1
	s_barrier_wait -1
	s_and_saveexec_b32 s46, s91
	s_cbranch_execz .LBB38_361
; %bb.360:                              ;   in Loop: Header=BB38_3 Depth=1
	ds_load_b64 v[46:47], v7 offset:21312
	ds_load_b64 v[48:49], v73
	s_wait_dscnt 0x0
	v_fma_f64 v[2:3], -v[46:47], v[48:49], v[2:3]
.LBB38_361:                             ;   in Loop: Header=BB38_3 Depth=1
	s_or_b32 exec_lo, exec_lo, s46
	s_barrier_signal -1
	s_barrier_wait -1
	s_and_saveexec_b32 s46, s91
; %bb.362:                              ;   in Loop: Header=BB38_3 Depth=1
	s_delay_alu instid0(VALU_DEP_1) | instskip(NEXT) | instid1(VALU_DEP_2)
	v_xor_b32_e32 v47, 0x80000000, v3
	v_mov_b32_e32 v46, v2
	ds_store_b64 v73, v[46:47]
; %bb.363:                              ;   in Loop: Header=BB38_3 Depth=1
	s_or_b32 exec_lo, exec_lo, s46
	s_wait_dscnt 0x0
	s_barrier_signal -1
	s_barrier_wait -1
	s_barrier_signal -1
	s_barrier_wait -1
	s_and_saveexec_b32 s46, s0
; %bb.364:                              ;   in Loop: Header=BB38_3 Depth=1
	ds_store_b64 v75, v[2:3] offset:22336
; %bb.365:                              ;   in Loop: Header=BB38_3 Depth=1
	s_or_b32 exec_lo, exec_lo, s46
	s_wait_dscnt 0x0
	s_barrier_signal -1
	s_barrier_wait -1
	s_barrier_signal -1
	s_barrier_wait -1
	s_and_saveexec_b32 s46, s92
	s_cbranch_execz .LBB38_367
; %bb.366:                              ;   in Loop: Header=BB38_3 Depth=1
	ds_load_b64 v[2:3], v54 offset:21824
	s_wait_dscnt 0x0
	ds_store_b64 v53, v[2:3] offset:20816
	ds_load_b64 v[2:3], v54 offset:21832
	s_wait_dscnt 0x0
	ds_store_b64 v53, v[2:3] offset:21328
.LBB38_367:                             ;   in Loop: Header=BB38_3 Depth=1
	s_or_b32 exec_lo, exec_lo, s46
	s_wait_dscnt 0x0
	s_barrier_signal -1
	s_barrier_wait -1
	s_and_saveexec_b32 s46, s10
	s_cbranch_execz .LBB38_369
; %bb.368:                              ;   in Loop: Header=BB38_3 Depth=1
	ds_load_b64 v[2:3], v7 offset:21312
	v_mov_b32_e32 v0, v7
	ds_store_b64 v7, v[34:35] offset:21320
	s_wait_dscnt 0x1
	ds_store_b128 v7, v[0:3] offset:20800
.LBB38_369:                             ;   in Loop: Header=BB38_3 Depth=1
	s_or_b32 exec_lo, exec_lo, s46
	v_mov_b64_e32 v[2:3], 0
	s_wait_dscnt 0x0
	s_barrier_signal -1
	s_barrier_wait -1
	global_wb scope:SCOPE_DEV
	s_wait_storecnt 0x0
	global_inv scope:SCOPE_DEV
	s_and_saveexec_b32 s57, s3
	s_cbranch_execz .LBB38_379
; %bb.370:                              ;   in Loop: Header=BB38_3 Depth=1
	ds_load_b64 v[2:3], v76 offset:20736
	ds_load_b64 v[46:47], v63 offset:24384
	s_wait_dscnt 0x0
	v_fma_f64 v[2:3], v[2:3], v[46:47], 0
	s_and_saveexec_b32 s46, s14
	s_cbranch_execnz .LBB38_1083
; %bb.371:                              ;   in Loop: Header=BB38_3 Depth=1
	s_or_b32 exec_lo, exec_lo, s46
	s_and_saveexec_b32 s46, s15
	s_cbranch_execnz .LBB38_1084
.LBB38_372:                             ;   in Loop: Header=BB38_3 Depth=1
	s_or_b32 exec_lo, exec_lo, s46
	s_and_saveexec_b32 s46, s16
	s_cbranch_execnz .LBB38_1085
.LBB38_373:                             ;   in Loop: Header=BB38_3 Depth=1
	s_or_b32 exec_lo, exec_lo, s46
	s_and_saveexec_b32 s46, s17
	s_cbranch_execnz .LBB38_1086
.LBB38_374:                             ;   in Loop: Header=BB38_3 Depth=1
	s_or_b32 exec_lo, exec_lo, s46
	s_and_saveexec_b32 s46, s18
	s_cbranch_execnz .LBB38_1087
.LBB38_375:                             ;   in Loop: Header=BB38_3 Depth=1
	s_or_b32 exec_lo, exec_lo, s46
	s_and_saveexec_b32 s46, s2
	s_cbranch_execnz .LBB38_1088
.LBB38_376:                             ;   in Loop: Header=BB38_3 Depth=1
	s_or_b32 exec_lo, exec_lo, s46
	s_and_saveexec_b32 s46, s13
	s_cbranch_execz .LBB38_378
.LBB38_377:                             ;   in Loop: Header=BB38_3 Depth=1
	ds_load_b64 v[46:47], v55 offset:24320
	ds_load_b64 v[48:49], v7 offset:24440
	s_wait_dscnt 0x0
	v_fmac_f64_e32 v[2:3], v[46:47], v[48:49]
.LBB38_378:                             ;   in Loop: Header=BB38_3 Depth=1
	s_or_b32 exec_lo, exec_lo, s46
.LBB38_379:                             ;   in Loop: Header=BB38_3 Depth=1
	s_delay_alu instid0(SALU_CYCLE_1)
	s_or_b32 exec_lo, exec_lo, s57
	s_and_saveexec_b32 s46, s100
; %bb.380:                              ;   in Loop: Header=BB38_3 Depth=1
	s_delay_alu instid0(VALU_DEP_1) | instskip(NEXT) | instid1(VALU_DEP_2)
	v_xor_b32_e32 v47, 0x80000000, v3
	v_mov_b32_e32 v46, v2
	ds_store_b64 v80, v[46:47]
; %bb.381:                              ;   in Loop: Header=BB38_3 Depth=1
	s_or_b32 exec_lo, exec_lo, s46
	s_wait_loadcnt_dscnt 0x0
	s_barrier_signal -1
	s_barrier_wait -1
	s_and_saveexec_b32 s46, s101
	s_cbranch_execz .LBB38_383
; %bb.382:                              ;   in Loop: Header=BB38_3 Depth=1
	ds_load_b64 v[46:47], v76 offset:20224
	ds_load_b64 v[48:49], v80
	s_wait_dscnt 0x0
	v_fma_f64 v[2:3], -v[46:47], v[48:49], v[2:3]
.LBB38_383:                             ;   in Loop: Header=BB38_3 Depth=1
	s_or_b32 exec_lo, exec_lo, s46
	s_barrier_signal -1
	s_barrier_wait -1
	s_and_saveexec_b32 s46, s102
; %bb.384:                              ;   in Loop: Header=BB38_3 Depth=1
	s_delay_alu instid0(VALU_DEP_1) | instskip(NEXT) | instid1(VALU_DEP_2)
	v_xor_b32_e32 v47, 0x80000000, v3
	v_mov_b32_e32 v46, v2
	ds_store_b64 v80, v[46:47]
; %bb.385:                              ;   in Loop: Header=BB38_3 Depth=1
	s_or_b32 exec_lo, exec_lo, s46
	s_wait_dscnt 0x0
	s_barrier_signal -1
	s_barrier_wait -1
	s_and_saveexec_b32 s46, s103
	s_cbranch_execz .LBB38_387
; %bb.386:                              ;   in Loop: Header=BB38_3 Depth=1
	ds_load_b64 v[46:47], v76 offset:19712
	ds_load_b64 v[48:49], v80
	s_wait_dscnt 0x0
	v_fma_f64 v[2:3], -v[46:47], v[48:49], v[2:3]
.LBB38_387:                             ;   in Loop: Header=BB38_3 Depth=1
	s_or_b32 exec_lo, exec_lo, s46
	s_barrier_signal -1
	s_barrier_wait -1
	s_and_saveexec_b32 s46, s104
; %bb.388:                              ;   in Loop: Header=BB38_3 Depth=1
	s_delay_alu instid0(VALU_DEP_1) | instskip(NEXT) | instid1(VALU_DEP_2)
	v_xor_b32_e32 v47, 0x80000000, v3
	v_mov_b32_e32 v46, v2
	ds_store_b64 v80, v[46:47]
; %bb.389:                              ;   in Loop: Header=BB38_3 Depth=1
	s_or_b32 exec_lo, exec_lo, s46
	s_wait_dscnt 0x0
	s_barrier_signal -1
	s_barrier_wait -1
	s_and_saveexec_b32 s46, vcc_hi
	s_cbranch_execz .LBB38_391
; %bb.390:                              ;   in Loop: Header=BB38_3 Depth=1
	ds_load_b64 v[46:47], v76 offset:19200
	ds_load_b64 v[48:49], v80
	s_wait_dscnt 0x0
	v_fma_f64 v[2:3], -v[46:47], v[48:49], v[2:3]
.LBB38_391:                             ;   in Loop: Header=BB38_3 Depth=1
	s_or_b32 exec_lo, exec_lo, s46
	s_barrier_signal -1
	s_barrier_wait -1
	s_and_saveexec_b32 s46, s31
; %bb.392:                              ;   in Loop: Header=BB38_3 Depth=1
	s_delay_alu instid0(VALU_DEP_1) | instskip(NEXT) | instid1(VALU_DEP_2)
	v_xor_b32_e32 v47, 0x80000000, v3
	v_mov_b32_e32 v46, v2
	ds_store_b64 v80, v[46:47]
; %bb.393:                              ;   in Loop: Header=BB38_3 Depth=1
	s_or_b32 exec_lo, exec_lo, s46
	s_wait_dscnt 0x0
	s_barrier_signal -1
	s_barrier_wait -1
	s_and_saveexec_b32 s46, s33
	s_cbranch_execz .LBB38_395
; %bb.394:                              ;   in Loop: Header=BB38_3 Depth=1
	ds_load_b64 v[46:47], v76 offset:18688
	ds_load_b64 v[48:49], v80
	s_wait_dscnt 0x0
	v_fma_f64 v[2:3], -v[46:47], v[48:49], v[2:3]
.LBB38_395:                             ;   in Loop: Header=BB38_3 Depth=1
	s_or_b32 exec_lo, exec_lo, s46
	s_barrier_signal -1
	s_barrier_wait -1
	s_and_saveexec_b32 s46, s34
; %bb.396:                              ;   in Loop: Header=BB38_3 Depth=1
	s_delay_alu instid0(VALU_DEP_1) | instskip(NEXT) | instid1(VALU_DEP_2)
	v_xor_b32_e32 v47, 0x80000000, v3
	v_mov_b32_e32 v46, v2
	ds_store_b64 v80, v[46:47]
; %bb.397:                              ;   in Loop: Header=BB38_3 Depth=1
	s_or_b32 exec_lo, exec_lo, s46
	s_wait_dscnt 0x0
	s_barrier_signal -1
	s_barrier_wait -1
	s_and_saveexec_b32 s46, s35
	;; [unrolled: 22-line block ×4, first 2 shown]
	s_cbranch_execz .LBB38_407
; %bb.406:                              ;   in Loop: Header=BB38_3 Depth=1
	ds_load_b64 v[46:47], v7 offset:17152
	ds_load_b64 v[48:49], v80
	s_wait_dscnt 0x0
	v_fma_f64 v[2:3], -v[46:47], v[48:49], v[2:3]
.LBB38_407:                             ;   in Loop: Header=BB38_3 Depth=1
	s_or_b32 exec_lo, exec_lo, s46
	s_barrier_signal -1
	s_barrier_wait -1
	s_and_saveexec_b32 s46, s39
; %bb.408:                              ;   in Loop: Header=BB38_3 Depth=1
	s_delay_alu instid0(VALU_DEP_1) | instskip(NEXT) | instid1(VALU_DEP_2)
	v_xor_b32_e32 v47, 0x80000000, v3
	v_mov_b32_e32 v46, v2
	ds_store_b64 v80, v[46:47]
; %bb.409:                              ;   in Loop: Header=BB38_3 Depth=1
	s_or_b32 exec_lo, exec_lo, s46
	s_wait_dscnt 0x0
	s_barrier_signal -1
	s_barrier_wait -1
	s_barrier_signal -1
	s_barrier_wait -1
	s_and_saveexec_b32 s46, s3
; %bb.410:                              ;   in Loop: Header=BB38_3 Depth=1
	ds_store_b64 v81, v[2:3] offset:24320
; %bb.411:                              ;   in Loop: Header=BB38_3 Depth=1
	s_or_b32 exec_lo, exec_lo, s46
	s_wait_dscnt 0x0
	s_barrier_signal -1
	s_barrier_wait -1
	s_barrier_signal -1
	s_barrier_wait -1
	s_and_saveexec_b32 s46, s40
	s_cbranch_execz .LBB38_413
; %bb.412:                              ;   in Loop: Header=BB38_3 Depth=1
	ds_load_b64 v[2:3], v56 offset:20736
	s_wait_dscnt 0x0
	ds_store_b64 v58, v[2:3] offset:16704
	ds_load_b64 v[2:3], v56 offset:20744
	s_wait_dscnt 0x0
	ds_store_b64 v58, v[2:3] offset:17216
	;; [unrolled: 3-line block ×8, first 2 shown]
.LBB38_413:                             ;   in Loop: Header=BB38_3 Depth=1
	s_or_b32 exec_lo, exec_lo, s46
	s_wait_dscnt 0x0
	s_barrier_signal -1
	s_barrier_wait -1
	s_and_saveexec_b32 s46, s10
	s_cbranch_execz .LBB38_415
; %bb.414:                              ;   in Loop: Header=BB38_3 Depth=1
	ds_load_b64 v[2:3], v7 offset:20272
	v_mov_b32_e32 v0, v7
	ds_store_b64 v7, v[34:35] offset:20280
	s_wait_dscnt 0x1
	ds_store_b128 v7, v[0:3] offset:19760
.LBB38_415:                             ;   in Loop: Header=BB38_3 Depth=1
	s_or_b32 exec_lo, exec_lo, s46
	v_mov_b64_e32 v[2:3], 0
	s_wait_dscnt 0x0
	s_barrier_signal -1
	s_barrier_wait -1
	global_wb scope:SCOPE_DEV
	s_wait_storecnt 0x0
	global_inv scope:SCOPE_DEV
	s_and_saveexec_b32 s46, s0
	s_cbranch_execz .LBB38_419
; %bb.416:                              ;   in Loop: Header=BB38_3 Depth=1
	ds_load_b64 v[2:3], v72 offset:19744
	ds_load_b64 v[46:47], v57 offset:20272
	s_wait_dscnt 0x0
	v_fma_f64 v[2:3], v[2:3], v[46:47], 0
	s_and_saveexec_b32 s47, s11
	s_cbranch_execz .LBB38_418
; %bb.417:                              ;   in Loop: Header=BB38_3 Depth=1
	ds_load_b64 v[46:47], v58 offset:20256
	ds_load_b64 v[48:49], v7 offset:20280
	s_wait_dscnt 0x0
	v_fmac_f64_e32 v[2:3], v[46:47], v[48:49]
.LBB38_418:                             ;   in Loop: Header=BB38_3 Depth=1
	s_or_b32 exec_lo, exec_lo, s47
.LBB38_419:                             ;   in Loop: Header=BB38_3 Depth=1
	s_delay_alu instid0(SALU_CYCLE_1)
	s_or_b32 exec_lo, exec_lo, s46
	s_and_saveexec_b32 s46, s90
; %bb.420:                              ;   in Loop: Header=BB38_3 Depth=1
	s_delay_alu instid0(VALU_DEP_1) | instskip(NEXT) | instid1(VALU_DEP_2)
	v_xor_b32_e32 v47, 0x80000000, v3
	v_mov_b32_e32 v46, v2
	ds_store_b64 v73, v[46:47]
; %bb.421:                              ;   in Loop: Header=BB38_3 Depth=1
	s_or_b32 exec_lo, exec_lo, s46
	s_wait_loadcnt_dscnt 0x0
	s_barrier_signal -1
	s_barrier_wait -1
	s_and_saveexec_b32 s46, s91
	s_cbranch_execz .LBB38_423
; %bb.422:                              ;   in Loop: Header=BB38_3 Depth=1
	ds_load_b64 v[46:47], v7 offset:19232
	ds_load_b64 v[48:49], v73
	s_wait_dscnt 0x0
	v_fma_f64 v[2:3], -v[46:47], v[48:49], v[2:3]
.LBB38_423:                             ;   in Loop: Header=BB38_3 Depth=1
	s_or_b32 exec_lo, exec_lo, s46
	s_barrier_signal -1
	s_barrier_wait -1
	s_and_saveexec_b32 s46, s91
; %bb.424:                              ;   in Loop: Header=BB38_3 Depth=1
	s_delay_alu instid0(VALU_DEP_1) | instskip(NEXT) | instid1(VALU_DEP_2)
	v_xor_b32_e32 v47, 0x80000000, v3
	v_mov_b32_e32 v46, v2
	ds_store_b64 v73, v[46:47]
; %bb.425:                              ;   in Loop: Header=BB38_3 Depth=1
	s_or_b32 exec_lo, exec_lo, s46
	s_wait_dscnt 0x0
	s_barrier_signal -1
	s_barrier_wait -1
	s_barrier_signal -1
	s_barrier_wait -1
	s_and_saveexec_b32 s46, s0
; %bb.426:                              ;   in Loop: Header=BB38_3 Depth=1
	ds_store_b64 v75, v[2:3] offset:20256
; %bb.427:                              ;   in Loop: Header=BB38_3 Depth=1
	s_or_b32 exec_lo, exec_lo, s46
	s_wait_dscnt 0x0
	s_barrier_signal -1
	s_barrier_wait -1
	s_barrier_signal -1
	s_barrier_wait -1
	s_and_saveexec_b32 s46, s92
	s_cbranch_execz .LBB38_429
; %bb.428:                              ;   in Loop: Header=BB38_3 Depth=1
	ds_load_b64 v[2:3], v60 offset:19744
	s_wait_dscnt 0x0
	ds_store_b64 v58, v[2:3] offset:18736
	ds_load_b64 v[2:3], v60 offset:19752
	s_wait_dscnt 0x0
	ds_store_b64 v58, v[2:3] offset:19248
.LBB38_429:                             ;   in Loop: Header=BB38_3 Depth=1
	s_or_b32 exec_lo, exec_lo, s46
	s_wait_dscnt 0x0
	s_barrier_signal -1
	s_barrier_wait -1
	s_and_saveexec_b32 s46, s10
	s_cbranch_execz .LBB38_431
; %bb.430:                              ;   in Loop: Header=BB38_3 Depth=1
	ds_load_b64 v[2:3], v7 offset:19232
	v_mov_b32_e32 v0, v7
	ds_store_b64 v7, v[34:35] offset:19240
	s_wait_dscnt 0x1
	ds_store_b128 v7, v[0:3] offset:18720
.LBB38_431:                             ;   in Loop: Header=BB38_3 Depth=1
	s_or_b32 exec_lo, exec_lo, s46
	v_mov_b64_e32 v[2:3], 0
	s_wait_dscnt 0x0
	s_barrier_signal -1
	s_barrier_wait -1
	global_wb scope:SCOPE_DEV
	s_wait_storecnt 0x0
	global_inv scope:SCOPE_DEV
	s_and_saveexec_b32 s57, s2
	s_cbranch_execz .LBB38_437
; %bb.432:                              ;   in Loop: Header=BB38_3 Depth=1
	ds_load_b64 v[2:3], v74 offset:18688
	ds_load_b64 v[46:47], v59 offset:20256
	s_wait_dscnt 0x0
	v_fma_f64 v[2:3], v[2:3], v[46:47], 0
	s_and_saveexec_b32 s46, s12
	s_cbranch_execnz .LBB38_1089
; %bb.433:                              ;   in Loop: Header=BB38_3 Depth=1
	s_or_b32 exec_lo, exec_lo, s46
	s_and_saveexec_b32 s46, s13
	s_cbranch_execnz .LBB38_1090
.LBB38_434:                             ;   in Loop: Header=BB38_3 Depth=1
	s_or_b32 exec_lo, exec_lo, s46
	s_and_saveexec_b32 s46, s0
	s_cbranch_execz .LBB38_436
.LBB38_435:                             ;   in Loop: Header=BB38_3 Depth=1
	ds_load_b64 v[46:47], v62 offset:20224
	ds_load_b64 v[48:49], v7 offset:20280
	s_wait_dscnt 0x0
	v_fmac_f64_e32 v[2:3], v[46:47], v[48:49]
.LBB38_436:                             ;   in Loop: Header=BB38_3 Depth=1
	s_or_b32 exec_lo, exec_lo, s46
.LBB38_437:                             ;   in Loop: Header=BB38_3 Depth=1
	s_delay_alu instid0(SALU_CYCLE_1)
	s_or_b32 exec_lo, exec_lo, s57
	s_and_saveexec_b32 s46, s93
; %bb.438:                              ;   in Loop: Header=BB38_3 Depth=1
	s_delay_alu instid0(VALU_DEP_1) | instskip(NEXT) | instid1(VALU_DEP_2)
	v_xor_b32_e32 v47, 0x80000000, v3
	v_mov_b32_e32 v46, v2
	ds_store_b64 v77, v[46:47]
; %bb.439:                              ;   in Loop: Header=BB38_3 Depth=1
	s_or_b32 exec_lo, exec_lo, s46
	s_wait_loadcnt_dscnt 0x0
	s_barrier_signal -1
	s_barrier_wait -1
	s_and_saveexec_b32 s46, s94
	s_cbranch_execz .LBB38_441
; %bb.440:                              ;   in Loop: Header=BB38_3 Depth=1
	ds_load_b64 v[46:47], v74 offset:18176
	ds_load_b64 v[48:49], v77
	s_wait_dscnt 0x0
	v_fma_f64 v[2:3], -v[46:47], v[48:49], v[2:3]
.LBB38_441:                             ;   in Loop: Header=BB38_3 Depth=1
	s_or_b32 exec_lo, exec_lo, s46
	s_barrier_signal -1
	s_barrier_wait -1
	s_and_saveexec_b32 s46, s95
; %bb.442:                              ;   in Loop: Header=BB38_3 Depth=1
	s_delay_alu instid0(VALU_DEP_1) | instskip(NEXT) | instid1(VALU_DEP_2)
	v_xor_b32_e32 v47, 0x80000000, v3
	v_mov_b32_e32 v46, v2
	ds_store_b64 v77, v[46:47]
; %bb.443:                              ;   in Loop: Header=BB38_3 Depth=1
	s_or_b32 exec_lo, exec_lo, s46
	s_wait_dscnt 0x0
	s_barrier_signal -1
	s_barrier_wait -1
	s_and_saveexec_b32 s46, s96
	s_cbranch_execz .LBB38_445
; %bb.444:                              ;   in Loop: Header=BB38_3 Depth=1
	ds_load_b64 v[46:47], v74 offset:17664
	ds_load_b64 v[48:49], v77
	s_wait_dscnt 0x0
	v_fma_f64 v[2:3], -v[46:47], v[48:49], v[2:3]
.LBB38_445:                             ;   in Loop: Header=BB38_3 Depth=1
	s_or_b32 exec_lo, exec_lo, s46
	s_barrier_signal -1
	s_barrier_wait -1
	s_and_saveexec_b32 s46, s97
; %bb.446:                              ;   in Loop: Header=BB38_3 Depth=1
	s_delay_alu instid0(VALU_DEP_1) | instskip(NEXT) | instid1(VALU_DEP_2)
	v_xor_b32_e32 v47, 0x80000000, v3
	v_mov_b32_e32 v46, v2
	ds_store_b64 v77, v[46:47]
; %bb.447:                              ;   in Loop: Header=BB38_3 Depth=1
	s_or_b32 exec_lo, exec_lo, s46
	s_wait_dscnt 0x0
	;; [unrolled: 22-line block ×3, first 2 shown]
	s_barrier_signal -1
	s_barrier_wait -1
	s_barrier_signal -1
	s_barrier_wait -1
	s_and_saveexec_b32 s46, s2
; %bb.452:                              ;   in Loop: Header=BB38_3 Depth=1
	ds_store_b64 v79, v[2:3] offset:20224
; %bb.453:                              ;   in Loop: Header=BB38_3 Depth=1
	s_or_b32 exec_lo, exec_lo, s46
	s_wait_dscnt 0x0
	s_barrier_signal -1
	s_barrier_wait -1
	s_barrier_signal -1
	s_barrier_wait -1
	s_and_saveexec_b32 s46, s99
	s_cbranch_execz .LBB38_455
; %bb.454:                              ;   in Loop: Header=BB38_3 Depth=1
	ds_load_b64 v[2:3], v67 offset:18688
	s_wait_dscnt 0x0
	ds_store_b64 v68, v[2:3] offset:16672
	ds_load_b64 v[2:3], v67 offset:18696
	s_wait_dscnt 0x0
	ds_store_b64 v68, v[2:3] offset:17184
	;; [unrolled: 3-line block ×4, first 2 shown]
.LBB38_455:                             ;   in Loop: Header=BB38_3 Depth=1
	s_or_b32 exec_lo, exec_lo, s46
	s_wait_dscnt 0x0
	s_barrier_signal -1
	s_barrier_wait -1
	s_and_saveexec_b32 s46, s10
	s_cbranch_execz .LBB38_457
; %bb.456:                              ;   in Loop: Header=BB38_3 Depth=1
	ds_load_b64 v[2:3], v7 offset:18192
	v_mov_b32_e32 v0, v7
	ds_store_b64 v7, v[34:35] offset:18200
	s_wait_dscnt 0x1
	ds_store_b128 v7, v[0:3] offset:17680
.LBB38_457:                             ;   in Loop: Header=BB38_3 Depth=1
	s_or_b32 exec_lo, exec_lo, s46
	v_mov_b64_e32 v[2:3], 0
	s_wait_dscnt 0x0
	s_barrier_signal -1
	s_barrier_wait -1
	global_wb scope:SCOPE_DEV
	s_wait_storecnt 0x0
	global_inv scope:SCOPE_DEV
	s_and_saveexec_b32 s46, s0
	s_cbranch_execz .LBB38_461
; %bb.458:                              ;   in Loop: Header=BB38_3 Depth=1
	ds_load_b64 v[2:3], v72 offset:17664
	ds_load_b64 v[46:47], v57 offset:18192
	s_wait_dscnt 0x0
	v_fma_f64 v[2:3], v[2:3], v[46:47], 0
	s_and_saveexec_b32 s47, s11
	s_cbranch_execz .LBB38_460
; %bb.459:                              ;   in Loop: Header=BB38_3 Depth=1
	ds_load_b64 v[46:47], v68 offset:18176
	ds_load_b64 v[48:49], v7 offset:18200
	s_wait_dscnt 0x0
	v_fmac_f64_e32 v[2:3], v[46:47], v[48:49]
.LBB38_460:                             ;   in Loop: Header=BB38_3 Depth=1
	s_or_b32 exec_lo, exec_lo, s47
.LBB38_461:                             ;   in Loop: Header=BB38_3 Depth=1
	s_delay_alu instid0(SALU_CYCLE_1)
	s_or_b32 exec_lo, exec_lo, s46
	s_and_saveexec_b32 s46, s90
; %bb.462:                              ;   in Loop: Header=BB38_3 Depth=1
	s_delay_alu instid0(VALU_DEP_1) | instskip(NEXT) | instid1(VALU_DEP_2)
	v_xor_b32_e32 v47, 0x80000000, v3
	v_mov_b32_e32 v46, v2
	ds_store_b64 v73, v[46:47]
; %bb.463:                              ;   in Loop: Header=BB38_3 Depth=1
	s_or_b32 exec_lo, exec_lo, s46
	s_wait_loadcnt_dscnt 0x0
	s_barrier_signal -1
	s_barrier_wait -1
	s_and_saveexec_b32 s46, s91
	s_cbranch_execz .LBB38_465
; %bb.464:                              ;   in Loop: Header=BB38_3 Depth=1
	ds_load_b64 v[46:47], v7 offset:17152
	ds_load_b64 v[48:49], v73
	s_wait_dscnt 0x0
	v_fma_f64 v[2:3], -v[46:47], v[48:49], v[2:3]
.LBB38_465:                             ;   in Loop: Header=BB38_3 Depth=1
	s_or_b32 exec_lo, exec_lo, s46
	s_barrier_signal -1
	s_barrier_wait -1
	s_and_saveexec_b32 s46, s91
; %bb.466:                              ;   in Loop: Header=BB38_3 Depth=1
	s_delay_alu instid0(VALU_DEP_1) | instskip(NEXT) | instid1(VALU_DEP_2)
	v_xor_b32_e32 v47, 0x80000000, v3
	v_mov_b32_e32 v46, v2
	ds_store_b64 v73, v[46:47]
; %bb.467:                              ;   in Loop: Header=BB38_3 Depth=1
	s_or_b32 exec_lo, exec_lo, s46
	s_wait_dscnt 0x0
	s_barrier_signal -1
	s_barrier_wait -1
	s_barrier_signal -1
	s_barrier_wait -1
	s_and_saveexec_b32 s46, s0
; %bb.468:                              ;   in Loop: Header=BB38_3 Depth=1
	ds_store_b64 v75, v[2:3] offset:18176
; %bb.469:                              ;   in Loop: Header=BB38_3 Depth=1
	s_or_b32 exec_lo, exec_lo, s46
	s_wait_dscnt 0x0
	s_barrier_signal -1
	s_barrier_wait -1
	s_barrier_signal -1
	s_barrier_wait -1
	s_and_saveexec_b32 s46, s92
	s_cbranch_execz .LBB38_471
; %bb.470:                              ;   in Loop: Header=BB38_3 Depth=1
	ds_load_b64 v[2:3], v69 offset:17664
	s_wait_dscnt 0x0
	ds_store_b64 v68, v[2:3] offset:16656
	ds_load_b64 v[2:3], v69 offset:17672
	s_wait_dscnt 0x0
	ds_store_b64 v68, v[2:3] offset:17168
.LBB38_471:                             ;   in Loop: Header=BB38_3 Depth=1
	s_or_b32 exec_lo, exec_lo, s46
	s_wait_dscnt 0x0
	s_barrier_signal -1
	s_barrier_wait -1
	s_and_saveexec_b32 s46, s10
	s_cbranch_execz .LBB38_473
; %bb.472:                              ;   in Loop: Header=BB38_3 Depth=1
	ds_load_b64 v[2:3], v7 offset:17152
	v_mov_b32_e32 v0, v7
	ds_store_b64 v7, v[34:35] offset:17160
	s_wait_dscnt 0x1
	ds_store_b128 v7, v[0:3] offset:16640
.LBB38_473:                             ;   in Loop: Header=BB38_3 Depth=1
	s_or_b32 exec_lo, exec_lo, s46
	v_mov_b64_e32 v[2:3], 0
	s_wait_dscnt 0x0
	s_barrier_signal -1
	s_barrier_wait -1
	global_wb scope:SCOPE_DEV
	s_wait_storecnt 0x0
	global_inv scope:SCOPE_DEV
	s_and_saveexec_b32 s61, s30
	s_cbranch_execz .LBB38_535
; %bb.474:                              ;   in Loop: Header=BB38_3 Depth=1
	ds_load_b64 v[2:3], v64 offset:16384
	ds_load_b64 v[46:47], v66 offset:32512
	s_wait_dscnt 0x0
	v_fma_f64 v[2:3], v[2:3], v[46:47], 0
	s_mov_b32 s46, exec_lo
	v_readlane_b32 s47, v103, 30
	s_and_b32 s47, s46, s47
	s_delay_alu instid0(SALU_CYCLE_1)
	s_mov_b32 exec_lo, s47
	s_cbranch_execz .LBB38_476
; %bb.475:                              ;   in Loop: Header=BB38_3 Depth=1
	ds_load_b64 v[46:47], v64 offset:16896
	ds_load_b64 v[48:49], v66 offset:32520
	s_wait_dscnt 0x0
	v_fmac_f64_e32 v[2:3], v[46:47], v[48:49]
.LBB38_476:                             ;   in Loop: Header=BB38_3 Depth=1
	s_or_b32 exec_lo, exec_lo, s46
	s_delay_alu instid0(SALU_CYCLE_1) | instskip(SKIP_2) | instid1(SALU_CYCLE_1)
	s_mov_b32 s46, exec_lo
	v_readlane_b32 s47, v103, 31
	s_and_b32 s47, s46, s47
	s_mov_b32 exec_lo, s47
	s_cbranch_execz .LBB38_478
; %bb.477:                              ;   in Loop: Header=BB38_3 Depth=1
	ds_load_b64 v[46:47], v64 offset:17408
	ds_load_b64 v[48:49], v66 offset:32528
	s_wait_dscnt 0x0
	v_fmac_f64_e32 v[2:3], v[46:47], v[48:49]
.LBB38_478:                             ;   in Loop: Header=BB38_3 Depth=1
	s_or_b32 exec_lo, exec_lo, s46
	s_delay_alu instid0(SALU_CYCLE_1) | instskip(SKIP_2) | instid1(SALU_CYCLE_1)
	s_mov_b32 s46, exec_lo
	v_readlane_b32 s47, v102, 0
	s_and_b32 s47, s46, s47
	;; [unrolled: 13-line block ×22, first 2 shown]
	s_mov_b32 exec_lo, s47
	s_cbranch_execz .LBB38_520
; %bb.519:                              ;   in Loop: Header=BB38_3 Depth=1
	ds_load_b64 v[46:47], v64 offset:28160
	ds_load_b64 v[48:49], v66 offset:32696
	s_wait_dscnt 0x0
	v_fmac_f64_e32 v[2:3], v[46:47], v[48:49]
.LBB38_520:                             ;   in Loop: Header=BB38_3 Depth=1
	s_or_b32 exec_lo, exec_lo, s46
	s_and_saveexec_b32 s46, s4
	s_cbranch_execz .LBB38_522
; %bb.521:                              ;   in Loop: Header=BB38_3 Depth=1
	ds_load_b64 v[46:47], v64 offset:28672
	ds_load_b64 v[48:49], v66 offset:32704
	s_wait_dscnt 0x0
	v_fmac_f64_e32 v[2:3], v[46:47], v[48:49]
.LBB38_522:                             ;   in Loop: Header=BB38_3 Depth=1
	s_or_b32 exec_lo, exec_lo, s46
	s_delay_alu instid0(SALU_CYCLE_1) | instskip(SKIP_2) | instid1(SALU_CYCLE_1)
	s_mov_b32 s46, exec_lo
	v_readlane_b32 s47, v103, 20
	s_and_b32 s47, s46, s47
	s_mov_b32 exec_lo, s47
	s_cbranch_execz .LBB38_524
; %bb.523:                              ;   in Loop: Header=BB38_3 Depth=1
	ds_load_b64 v[46:47], v64 offset:29184
	ds_load_b64 v[48:49], v66 offset:32712
	s_wait_dscnt 0x0
	v_fmac_f64_e32 v[2:3], v[46:47], v[48:49]
.LBB38_524:                             ;   in Loop: Header=BB38_3 Depth=1
	s_or_b32 exec_lo, exec_lo, s46
	s_delay_alu instid0(SALU_CYCLE_1) | instskip(SKIP_2) | instid1(SALU_CYCLE_1)
	s_mov_b32 s46, exec_lo
	v_readlane_b32 s47, v103, 22
	s_and_b32 s47, s46, s47
	s_mov_b32 exec_lo, s47
	;; [unrolled: 13-line block ×5, first 2 shown]
	s_cbranch_execnz .LBB38_1091
; %bb.531:                              ;   in Loop: Header=BB38_3 Depth=1
	s_or_b32 exec_lo, exec_lo, s46
	s_and_saveexec_b32 s46, s3
	s_cbranch_execnz .LBB38_1092
.LBB38_532:                             ;   in Loop: Header=BB38_3 Depth=1
	s_or_b32 exec_lo, exec_lo, s46
	s_and_saveexec_b32 s46, s17
	s_delay_alu instid0(SALU_CYCLE_1)
	s_xor_b32 s46, exec_lo, s46
	s_cbranch_execz .LBB38_534
.LBB38_533:                             ;   in Loop: Header=BB38_3 Depth=1
	ds_load_b64 v[46:47], v11 offset:32256
	ds_load_b64 v[48:49], v7 offset:32760
	s_wait_dscnt 0x0
	v_fmac_f64_e32 v[2:3], v[46:47], v[48:49]
.LBB38_534:                             ;   in Loop: Header=BB38_3 Depth=1
	s_or_b32 exec_lo, exec_lo, s46
.LBB38_535:                             ;   in Loop: Header=BB38_3 Depth=1
	s_delay_alu instid0(SALU_CYCLE_1)
	s_or_b32 exec_lo, exec_lo, s61
	v_dual_mov_b32 v0, v96 :: v_dual_mov_b32 v6, v94
	s_mov_b32 s57, 31
	s_branch .LBB38_537
.LBB38_536:                             ;   in Loop: Header=BB38_537 Depth=2
	s_or_b32 exec_lo, exec_lo, s46
	v_add_nc_u32_e32 v6, 0xfffff800, v6
	v_add_nc_u32_e32 v0, 4, v0
	s_add_co_i32 s57, s57, -4
	s_cmp_eq_u32 s61, 0
	s_barrier_signal -1
	s_barrier_wait -1
	s_cbranch_scc1 .LBB38_553
.LBB38_537:                             ;   Parent Loop BB38_3 Depth=1
                                        ; =>  This Inner Loop Header: Depth=2
	s_delay_alu instid0(VALU_DEP_1) | instskip(SKIP_1) | instid1(SALU_CYCLE_1)
	v_cmp_eq_u32_e32 vcc_lo, 0, v0
	s_and_b32 s47, s60, vcc_lo
	s_and_saveexec_b32 s46, s47
; %bb.538:                              ;   in Loop: Header=BB38_537 Depth=2
	s_delay_alu instid0(VALU_DEP_3) | instskip(NEXT) | instid1(VALU_DEP_4)
	v_xor_b32_e32 v47, 0x80000000, v3
	v_mov_b32_e32 v46, v2
	ds_store_b64 v84, v[46:47]
; %bb.539:                              ;   in Loop: Header=BB38_537 Depth=2
	s_or_b32 exec_lo, exec_lo, s46
	v_cmp_gt_u32_e32 vcc_lo, s57, v61
	s_wait_loadcnt_dscnt 0x0
	s_barrier_signal -1
	s_barrier_wait -1
	s_and_b32 s47, s60, vcc_lo
	s_delay_alu instid0(SALU_CYCLE_1)
	s_and_saveexec_b32 s46, s47
	s_cbranch_execz .LBB38_541
; %bb.540:                              ;   in Loop: Header=BB38_537 Depth=2
	ds_load_b64 v[46:47], v6 offset:1536
	ds_load_b64 v[48:49], v84
	s_wait_dscnt 0x0
	v_fma_f64 v[2:3], -v[46:47], v[48:49], v[2:3]
.LBB38_541:                             ;   in Loop: Header=BB38_537 Depth=2
	s_or_b32 exec_lo, exec_lo, s46
	s_add_co_i32 s46, s57, -1
	s_delay_alu instid0(SALU_CYCLE_1) | instskip(SKIP_3) | instid1(SALU_CYCLE_1)
	v_cmp_eq_u32_e32 vcc_lo, s46, v61
	s_barrier_signal -1
	s_barrier_wait -1
	s_and_b32 s61, s60, vcc_lo
	s_and_saveexec_b32 s47, s61
; %bb.542:                              ;   in Loop: Header=BB38_537 Depth=2
	s_delay_alu instid0(VALU_DEP_2) | instskip(NEXT) | instid1(VALU_DEP_3)
	v_xor_b32_e32 v47, 0x80000000, v3
	v_mov_b32_e32 v46, v2
	ds_store_b64 v84, v[46:47]
; %bb.543:                              ;   in Loop: Header=BB38_537 Depth=2
	s_or_b32 exec_lo, exec_lo, s47
	v_cmp_gt_u32_e32 vcc_lo, s46, v61
	s_wait_dscnt 0x0
	s_barrier_signal -1
	s_barrier_wait -1
	s_and_b32 s47, s60, vcc_lo
	s_delay_alu instid0(SALU_CYCLE_1)
	s_and_saveexec_b32 s46, s47
	s_cbranch_execz .LBB38_545
; %bb.544:                              ;   in Loop: Header=BB38_537 Depth=2
	ds_load_b64 v[46:47], v6 offset:1024
	ds_load_b64 v[48:49], v84
	s_wait_dscnt 0x0
	v_fma_f64 v[2:3], -v[46:47], v[48:49], v[2:3]
.LBB38_545:                             ;   in Loop: Header=BB38_537 Depth=2
	s_or_b32 exec_lo, exec_lo, s46
	s_add_co_i32 s46, s57, -2
	s_delay_alu instid0(SALU_CYCLE_1) | instskip(SKIP_3) | instid1(SALU_CYCLE_1)
	v_cmp_eq_u32_e32 vcc_lo, s46, v61
	s_barrier_signal -1
	s_barrier_wait -1
	s_and_b32 s61, s60, vcc_lo
	s_and_saveexec_b32 s47, s61
; %bb.546:                              ;   in Loop: Header=BB38_537 Depth=2
	s_delay_alu instid0(VALU_DEP_2) | instskip(NEXT) | instid1(VALU_DEP_3)
	v_xor_b32_e32 v47, 0x80000000, v3
	v_mov_b32_e32 v46, v2
	ds_store_b64 v84, v[46:47]
; %bb.547:                              ;   in Loop: Header=BB38_537 Depth=2
	s_or_b32 exec_lo, exec_lo, s47
	v_cmp_gt_u32_e32 vcc_lo, s46, v61
	s_wait_dscnt 0x0
	;; [unrolled: 29-line block ×3, first 2 shown]
	s_barrier_signal -1
	s_barrier_wait -1
	s_and_b32 s47, s60, vcc_lo
	s_delay_alu instid0(SALU_CYCLE_1)
	s_and_saveexec_b32 s46, s47
	s_cbranch_execz .LBB38_536
; %bb.552:                              ;   in Loop: Header=BB38_537 Depth=2
	ds_load_b64 v[46:47], v6
	ds_load_b64 v[48:49], v84
	s_wait_dscnt 0x0
	v_fma_f64 v[2:3], -v[46:47], v[48:49], v[2:3]
	s_branch .LBB38_536
.LBB38_553:                             ;   in Loop: Header=BB38_3 Depth=1
	s_and_saveexec_b32 s46, s30
; %bb.554:                              ;   in Loop: Header=BB38_3 Depth=1
	ds_store_b64 v85, v[2:3] offset:32256
; %bb.555:                              ;   in Loop: Header=BB38_3 Depth=1
	s_or_b32 exec_lo, exec_lo, s46
	s_wait_dscnt 0x0
	s_barrier_signal -1
	s_barrier_wait -1
	s_barrier_signal -1
	s_barrier_wait -1
	s_mov_b32 s57, exec_lo
	v_readlane_b32 s46, v103, 9
	s_and_b32 s46, s57, s46
	s_delay_alu instid0(SALU_CYCLE_1)
	s_mov_b32 exec_lo, s46
	s_cbranch_execz .LBB38_557
; %bb.556:                              ;   in Loop: Header=BB38_3 Depth=1
	ds_load_b64 v[2:3], v50 offset:16384
	s_wait_dscnt 0x0
	ds_store_b64 v51, v[2:3] offset:256
	ds_load_b64 v[2:3], v50 offset:16392
	s_wait_dscnt 0x0
	ds_store_b64 v51, v[2:3] offset:768
	;; [unrolled: 3-line block ×32, first 2 shown]
.LBB38_557:                             ;   in Loop: Header=BB38_3 Depth=1
	s_or_b32 exec_lo, exec_lo, s57
	s_wait_dscnt 0x0
	s_barrier_signal -1
	s_barrier_wait -1
	s_and_saveexec_b32 s46, s10
	s_cbranch_execz .LBB38_559
; %bb.558:                              ;   in Loop: Header=BB38_3 Depth=1
	ds_load_b64 v[2:3], v7 offset:16112
	v_mov_b32_e32 v0, v7
	ds_store_b64 v7, v[34:35] offset:16120
	s_wait_dscnt 0x1
	ds_store_b128 v7, v[0:3] offset:15600
.LBB38_559:                             ;   in Loop: Header=BB38_3 Depth=1
	s_or_b32 exec_lo, exec_lo, s46
	v_mov_b64_e32 v[2:3], 0
	s_wait_dscnt 0x0
	s_barrier_signal -1
	s_barrier_wait -1
	global_wb scope:SCOPE_DEV
	s_wait_storecnt 0x0
	global_inv scope:SCOPE_DEV
	s_and_saveexec_b32 s46, s0
	s_cbranch_execz .LBB38_563
; %bb.560:                              ;   in Loop: Header=BB38_3 Depth=1
	ds_load_b64 v[2:3], v72 offset:15584
	ds_load_b64 v[46:47], v57 offset:16112
	s_wait_dscnt 0x0
	v_fma_f64 v[2:3], v[2:3], v[46:47], 0
	s_and_saveexec_b32 s47, s11
	s_cbranch_execz .LBB38_562
; %bb.561:                              ;   in Loop: Header=BB38_3 Depth=1
	ds_load_b64 v[46:47], v11 offset:16096
	ds_load_b64 v[48:49], v7 offset:16120
	s_wait_dscnt 0x0
	v_fmac_f64_e32 v[2:3], v[46:47], v[48:49]
.LBB38_562:                             ;   in Loop: Header=BB38_3 Depth=1
	s_or_b32 exec_lo, exec_lo, s47
.LBB38_563:                             ;   in Loop: Header=BB38_3 Depth=1
	s_delay_alu instid0(SALU_CYCLE_1)
	s_or_b32 exec_lo, exec_lo, s46
	s_and_saveexec_b32 s46, s90
; %bb.564:                              ;   in Loop: Header=BB38_3 Depth=1
	s_delay_alu instid0(VALU_DEP_1) | instskip(NEXT) | instid1(VALU_DEP_2)
	v_xor_b32_e32 v47, 0x80000000, v3
	v_mov_b32_e32 v46, v2
	ds_store_b64 v73, v[46:47]
; %bb.565:                              ;   in Loop: Header=BB38_3 Depth=1
	s_or_b32 exec_lo, exec_lo, s46
	s_wait_loadcnt_dscnt 0x0
	s_barrier_signal -1
	s_barrier_wait -1
	s_and_saveexec_b32 s46, s91
	s_cbranch_execz .LBB38_567
; %bb.566:                              ;   in Loop: Header=BB38_3 Depth=1
	ds_load_b64 v[46:47], v7 offset:15072
	ds_load_b64 v[48:49], v73
	s_wait_dscnt 0x0
	v_fma_f64 v[2:3], -v[46:47], v[48:49], v[2:3]
.LBB38_567:                             ;   in Loop: Header=BB38_3 Depth=1
	s_or_b32 exec_lo, exec_lo, s46
	s_barrier_signal -1
	s_barrier_wait -1
	s_and_saveexec_b32 s46, s91
; %bb.568:                              ;   in Loop: Header=BB38_3 Depth=1
	s_delay_alu instid0(VALU_DEP_1) | instskip(NEXT) | instid1(VALU_DEP_2)
	v_xor_b32_e32 v47, 0x80000000, v3
	v_mov_b32_e32 v46, v2
	ds_store_b64 v73, v[46:47]
; %bb.569:                              ;   in Loop: Header=BB38_3 Depth=1
	s_or_b32 exec_lo, exec_lo, s46
	s_wait_dscnt 0x0
	s_barrier_signal -1
	s_barrier_wait -1
	s_barrier_signal -1
	s_barrier_wait -1
	s_and_saveexec_b32 s46, s0
; %bb.570:                              ;   in Loop: Header=BB38_3 Depth=1
	ds_store_b64 v75, v[2:3] offset:16096
; %bb.571:                              ;   in Loop: Header=BB38_3 Depth=1
	s_or_b32 exec_lo, exec_lo, s46
	s_wait_dscnt 0x0
	s_barrier_signal -1
	s_barrier_wait -1
	s_barrier_signal -1
	s_barrier_wait -1
	s_and_saveexec_b32 s46, s92
	s_cbranch_execz .LBB38_573
; %bb.572:                              ;   in Loop: Header=BB38_3 Depth=1
	ds_load_b64 v[2:3], v50 offset:15584
	s_wait_dscnt 0x0
	ds_store_b64 v11, v[2:3] offset:14576
	ds_load_b64 v[2:3], v50 offset:15592
	s_wait_dscnt 0x0
	ds_store_b64 v11, v[2:3] offset:15088
.LBB38_573:                             ;   in Loop: Header=BB38_3 Depth=1
	s_or_b32 exec_lo, exec_lo, s46
	s_wait_dscnt 0x0
	s_barrier_signal -1
	s_barrier_wait -1
	s_and_saveexec_b32 s46, s10
	s_cbranch_execz .LBB38_575
; %bb.574:                              ;   in Loop: Header=BB38_3 Depth=1
	ds_load_b64 v[2:3], v7 offset:15072
	v_mov_b32_e32 v0, v7
	ds_store_b64 v7, v[34:35] offset:15080
	s_wait_dscnt 0x1
	ds_store_b128 v7, v[0:3] offset:14560
.LBB38_575:                             ;   in Loop: Header=BB38_3 Depth=1
	s_or_b32 exec_lo, exec_lo, s46
	v_mov_b64_e32 v[2:3], 0
	s_wait_dscnt 0x0
	s_barrier_signal -1
	s_barrier_wait -1
	global_wb scope:SCOPE_DEV
	s_wait_storecnt 0x0
	global_inv scope:SCOPE_DEV
	s_and_saveexec_b32 s57, s2
	s_cbranch_execz .LBB38_581
; %bb.576:                              ;   in Loop: Header=BB38_3 Depth=1
	ds_load_b64 v[2:3], v74 offset:14528
	ds_load_b64 v[46:47], v59 offset:16096
	s_wait_dscnt 0x0
	v_fma_f64 v[2:3], v[2:3], v[46:47], 0
	s_and_saveexec_b32 s46, s12
	s_cbranch_execnz .LBB38_1093
; %bb.577:                              ;   in Loop: Header=BB38_3 Depth=1
	s_or_b32 exec_lo, exec_lo, s46
	s_and_saveexec_b32 s46, s13
	s_cbranch_execnz .LBB38_1094
.LBB38_578:                             ;   in Loop: Header=BB38_3 Depth=1
	s_or_b32 exec_lo, exec_lo, s46
	s_and_saveexec_b32 s46, s0
	s_cbranch_execz .LBB38_580
.LBB38_579:                             ;   in Loop: Header=BB38_3 Depth=1
	ds_load_b64 v[46:47], v51 offset:16064
	ds_load_b64 v[48:49], v7 offset:16120
	s_wait_dscnt 0x0
	v_fmac_f64_e32 v[2:3], v[46:47], v[48:49]
.LBB38_580:                             ;   in Loop: Header=BB38_3 Depth=1
	s_or_b32 exec_lo, exec_lo, s46
.LBB38_581:                             ;   in Loop: Header=BB38_3 Depth=1
	s_delay_alu instid0(SALU_CYCLE_1)
	s_or_b32 exec_lo, exec_lo, s57
	s_and_saveexec_b32 s46, s93
; %bb.582:                              ;   in Loop: Header=BB38_3 Depth=1
	s_delay_alu instid0(VALU_DEP_1) | instskip(NEXT) | instid1(VALU_DEP_2)
	v_xor_b32_e32 v47, 0x80000000, v3
	v_mov_b32_e32 v46, v2
	ds_store_b64 v77, v[46:47]
; %bb.583:                              ;   in Loop: Header=BB38_3 Depth=1
	s_or_b32 exec_lo, exec_lo, s46
	s_wait_loadcnt_dscnt 0x0
	s_barrier_signal -1
	s_barrier_wait -1
	s_and_saveexec_b32 s46, s94
	s_cbranch_execz .LBB38_585
; %bb.584:                              ;   in Loop: Header=BB38_3 Depth=1
	ds_load_b64 v[46:47], v74 offset:14016
	ds_load_b64 v[48:49], v77
	s_wait_dscnt 0x0
	v_fma_f64 v[2:3], -v[46:47], v[48:49], v[2:3]
.LBB38_585:                             ;   in Loop: Header=BB38_3 Depth=1
	s_or_b32 exec_lo, exec_lo, s46
	s_barrier_signal -1
	s_barrier_wait -1
	s_and_saveexec_b32 s46, s95
; %bb.586:                              ;   in Loop: Header=BB38_3 Depth=1
	s_delay_alu instid0(VALU_DEP_1) | instskip(NEXT) | instid1(VALU_DEP_2)
	v_xor_b32_e32 v47, 0x80000000, v3
	v_mov_b32_e32 v46, v2
	ds_store_b64 v77, v[46:47]
; %bb.587:                              ;   in Loop: Header=BB38_3 Depth=1
	s_or_b32 exec_lo, exec_lo, s46
	s_wait_dscnt 0x0
	s_barrier_signal -1
	s_barrier_wait -1
	s_and_saveexec_b32 s46, s96
	s_cbranch_execz .LBB38_589
; %bb.588:                              ;   in Loop: Header=BB38_3 Depth=1
	ds_load_b64 v[46:47], v74 offset:13504
	ds_load_b64 v[48:49], v77
	s_wait_dscnt 0x0
	v_fma_f64 v[2:3], -v[46:47], v[48:49], v[2:3]
.LBB38_589:                             ;   in Loop: Header=BB38_3 Depth=1
	s_or_b32 exec_lo, exec_lo, s46
	s_barrier_signal -1
	s_barrier_wait -1
	s_and_saveexec_b32 s46, s97
; %bb.590:                              ;   in Loop: Header=BB38_3 Depth=1
	s_delay_alu instid0(VALU_DEP_1) | instskip(NEXT) | instid1(VALU_DEP_2)
	v_xor_b32_e32 v47, 0x80000000, v3
	v_mov_b32_e32 v46, v2
	ds_store_b64 v77, v[46:47]
; %bb.591:                              ;   in Loop: Header=BB38_3 Depth=1
	s_or_b32 exec_lo, exec_lo, s46
	s_wait_dscnt 0x0
	;; [unrolled: 22-line block ×3, first 2 shown]
	s_barrier_signal -1
	s_barrier_wait -1
	s_barrier_signal -1
	s_barrier_wait -1
	s_and_saveexec_b32 s46, s2
; %bb.596:                              ;   in Loop: Header=BB38_3 Depth=1
	ds_store_b64 v79, v[2:3] offset:16064
; %bb.597:                              ;   in Loop: Header=BB38_3 Depth=1
	s_or_b32 exec_lo, exec_lo, s46
	s_wait_dscnt 0x0
	s_barrier_signal -1
	s_barrier_wait -1
	s_barrier_signal -1
	s_barrier_wait -1
	s_and_saveexec_b32 s46, s99
	s_cbranch_execz .LBB38_599
; %bb.598:                              ;   in Loop: Header=BB38_3 Depth=1
	ds_load_b64 v[2:3], v52 offset:14528
	s_wait_dscnt 0x0
	ds_store_b64 v53, v[2:3] offset:12512
	ds_load_b64 v[2:3], v52 offset:14536
	s_wait_dscnt 0x0
	ds_store_b64 v53, v[2:3] offset:13024
	;; [unrolled: 3-line block ×4, first 2 shown]
.LBB38_599:                             ;   in Loop: Header=BB38_3 Depth=1
	s_or_b32 exec_lo, exec_lo, s46
	s_wait_dscnt 0x0
	s_barrier_signal -1
	s_barrier_wait -1
	s_and_saveexec_b32 s46, s10
	s_cbranch_execz .LBB38_601
; %bb.600:                              ;   in Loop: Header=BB38_3 Depth=1
	ds_load_b64 v[2:3], v7 offset:14032
	v_mov_b32_e32 v0, v7
	ds_store_b64 v7, v[34:35] offset:14040
	s_wait_dscnt 0x1
	ds_store_b128 v7, v[0:3] offset:13520
.LBB38_601:                             ;   in Loop: Header=BB38_3 Depth=1
	s_or_b32 exec_lo, exec_lo, s46
	v_mov_b64_e32 v[2:3], 0
	s_wait_dscnt 0x0
	s_barrier_signal -1
	s_barrier_wait -1
	global_wb scope:SCOPE_DEV
	s_wait_storecnt 0x0
	global_inv scope:SCOPE_DEV
	s_and_saveexec_b32 s46, s0
	s_cbranch_execz .LBB38_605
; %bb.602:                              ;   in Loop: Header=BB38_3 Depth=1
	ds_load_b64 v[2:3], v72 offset:13504
	ds_load_b64 v[46:47], v57 offset:14032
	s_wait_dscnt 0x0
	v_fma_f64 v[2:3], v[2:3], v[46:47], 0
	s_and_saveexec_b32 s47, s11
	s_cbranch_execz .LBB38_604
; %bb.603:                              ;   in Loop: Header=BB38_3 Depth=1
	ds_load_b64 v[46:47], v53 offset:14016
	ds_load_b64 v[48:49], v7 offset:14040
	s_wait_dscnt 0x0
	v_fmac_f64_e32 v[2:3], v[46:47], v[48:49]
.LBB38_604:                             ;   in Loop: Header=BB38_3 Depth=1
	s_or_b32 exec_lo, exec_lo, s47
.LBB38_605:                             ;   in Loop: Header=BB38_3 Depth=1
	s_delay_alu instid0(SALU_CYCLE_1)
	s_or_b32 exec_lo, exec_lo, s46
	s_and_saveexec_b32 s46, s90
; %bb.606:                              ;   in Loop: Header=BB38_3 Depth=1
	s_delay_alu instid0(VALU_DEP_1) | instskip(NEXT) | instid1(VALU_DEP_2)
	v_xor_b32_e32 v47, 0x80000000, v3
	v_mov_b32_e32 v46, v2
	ds_store_b64 v73, v[46:47]
; %bb.607:                              ;   in Loop: Header=BB38_3 Depth=1
	s_or_b32 exec_lo, exec_lo, s46
	s_wait_loadcnt_dscnt 0x0
	s_barrier_signal -1
	s_barrier_wait -1
	s_and_saveexec_b32 s46, s91
	s_cbranch_execz .LBB38_609
; %bb.608:                              ;   in Loop: Header=BB38_3 Depth=1
	ds_load_b64 v[46:47], v7 offset:12992
	ds_load_b64 v[48:49], v73
	s_wait_dscnt 0x0
	v_fma_f64 v[2:3], -v[46:47], v[48:49], v[2:3]
.LBB38_609:                             ;   in Loop: Header=BB38_3 Depth=1
	s_or_b32 exec_lo, exec_lo, s46
	s_barrier_signal -1
	s_barrier_wait -1
	s_and_saveexec_b32 s46, s91
; %bb.610:                              ;   in Loop: Header=BB38_3 Depth=1
	s_delay_alu instid0(VALU_DEP_1) | instskip(NEXT) | instid1(VALU_DEP_2)
	v_xor_b32_e32 v47, 0x80000000, v3
	v_mov_b32_e32 v46, v2
	ds_store_b64 v73, v[46:47]
; %bb.611:                              ;   in Loop: Header=BB38_3 Depth=1
	s_or_b32 exec_lo, exec_lo, s46
	s_wait_dscnt 0x0
	s_barrier_signal -1
	s_barrier_wait -1
	s_barrier_signal -1
	s_barrier_wait -1
	s_and_saveexec_b32 s46, s0
; %bb.612:                              ;   in Loop: Header=BB38_3 Depth=1
	ds_store_b64 v75, v[2:3] offset:14016
; %bb.613:                              ;   in Loop: Header=BB38_3 Depth=1
	s_or_b32 exec_lo, exec_lo, s46
	s_wait_dscnt 0x0
	s_barrier_signal -1
	s_barrier_wait -1
	s_barrier_signal -1
	s_barrier_wait -1
	s_and_saveexec_b32 s46, s92
	s_cbranch_execz .LBB38_615
; %bb.614:                              ;   in Loop: Header=BB38_3 Depth=1
	ds_load_b64 v[2:3], v54 offset:13504
	s_wait_dscnt 0x0
	ds_store_b64 v53, v[2:3] offset:12496
	ds_load_b64 v[2:3], v54 offset:13512
	s_wait_dscnt 0x0
	ds_store_b64 v53, v[2:3] offset:13008
.LBB38_615:                             ;   in Loop: Header=BB38_3 Depth=1
	s_or_b32 exec_lo, exec_lo, s46
	s_wait_dscnt 0x0
	s_barrier_signal -1
	s_barrier_wait -1
	s_and_saveexec_b32 s46, s10
	s_cbranch_execz .LBB38_617
; %bb.616:                              ;   in Loop: Header=BB38_3 Depth=1
	ds_load_b64 v[2:3], v7 offset:12992
	v_mov_b32_e32 v0, v7
	ds_store_b64 v7, v[34:35] offset:13000
	s_wait_dscnt 0x1
	ds_store_b128 v7, v[0:3] offset:12480
.LBB38_617:                             ;   in Loop: Header=BB38_3 Depth=1
	s_or_b32 exec_lo, exec_lo, s46
	v_mov_b64_e32 v[2:3], 0
	s_wait_dscnt 0x0
	s_barrier_signal -1
	s_barrier_wait -1
	global_wb scope:SCOPE_DEV
	s_wait_storecnt 0x0
	global_inv scope:SCOPE_DEV
	s_and_saveexec_b32 s57, s3
	s_cbranch_execz .LBB38_627
; %bb.618:                              ;   in Loop: Header=BB38_3 Depth=1
	ds_load_b64 v[2:3], v76 offset:12416
	ds_load_b64 v[46:47], v63 offset:16064
	s_wait_dscnt 0x0
	v_fma_f64 v[2:3], v[2:3], v[46:47], 0
	s_and_saveexec_b32 s46, s14
	s_cbranch_execnz .LBB38_1095
; %bb.619:                              ;   in Loop: Header=BB38_3 Depth=1
	s_or_b32 exec_lo, exec_lo, s46
	s_and_saveexec_b32 s46, s15
	s_cbranch_execnz .LBB38_1096
.LBB38_620:                             ;   in Loop: Header=BB38_3 Depth=1
	s_or_b32 exec_lo, exec_lo, s46
	s_and_saveexec_b32 s46, s16
	s_cbranch_execnz .LBB38_1097
.LBB38_621:                             ;   in Loop: Header=BB38_3 Depth=1
	s_or_b32 exec_lo, exec_lo, s46
	s_and_saveexec_b32 s46, s17
	s_cbranch_execnz .LBB38_1098
.LBB38_622:                             ;   in Loop: Header=BB38_3 Depth=1
	s_or_b32 exec_lo, exec_lo, s46
	s_and_saveexec_b32 s46, s18
	s_cbranch_execnz .LBB38_1099
.LBB38_623:                             ;   in Loop: Header=BB38_3 Depth=1
	s_or_b32 exec_lo, exec_lo, s46
	s_and_saveexec_b32 s46, s2
	s_cbranch_execnz .LBB38_1100
.LBB38_624:                             ;   in Loop: Header=BB38_3 Depth=1
	s_or_b32 exec_lo, exec_lo, s46
	s_and_saveexec_b32 s46, s13
	s_cbranch_execz .LBB38_626
.LBB38_625:                             ;   in Loop: Header=BB38_3 Depth=1
	ds_load_b64 v[46:47], v55 offset:16000
	ds_load_b64 v[48:49], v7 offset:16120
	s_wait_dscnt 0x0
	v_fmac_f64_e32 v[2:3], v[46:47], v[48:49]
.LBB38_626:                             ;   in Loop: Header=BB38_3 Depth=1
	s_or_b32 exec_lo, exec_lo, s46
.LBB38_627:                             ;   in Loop: Header=BB38_3 Depth=1
	s_delay_alu instid0(SALU_CYCLE_1)
	s_or_b32 exec_lo, exec_lo, s57
	s_and_saveexec_b32 s46, s100
; %bb.628:                              ;   in Loop: Header=BB38_3 Depth=1
	s_delay_alu instid0(VALU_DEP_1) | instskip(NEXT) | instid1(VALU_DEP_2)
	v_xor_b32_e32 v47, 0x80000000, v3
	v_mov_b32_e32 v46, v2
	ds_store_b64 v80, v[46:47]
; %bb.629:                              ;   in Loop: Header=BB38_3 Depth=1
	s_or_b32 exec_lo, exec_lo, s46
	s_wait_loadcnt_dscnt 0x0
	s_barrier_signal -1
	s_barrier_wait -1
	s_and_saveexec_b32 s46, s101
	s_cbranch_execz .LBB38_631
; %bb.630:                              ;   in Loop: Header=BB38_3 Depth=1
	ds_load_b64 v[46:47], v76 offset:11904
	ds_load_b64 v[48:49], v80
	s_wait_dscnt 0x0
	v_fma_f64 v[2:3], -v[46:47], v[48:49], v[2:3]
.LBB38_631:                             ;   in Loop: Header=BB38_3 Depth=1
	s_or_b32 exec_lo, exec_lo, s46
	s_barrier_signal -1
	s_barrier_wait -1
	s_and_saveexec_b32 s46, s102
; %bb.632:                              ;   in Loop: Header=BB38_3 Depth=1
	s_delay_alu instid0(VALU_DEP_1) | instskip(NEXT) | instid1(VALU_DEP_2)
	v_xor_b32_e32 v47, 0x80000000, v3
	v_mov_b32_e32 v46, v2
	ds_store_b64 v80, v[46:47]
; %bb.633:                              ;   in Loop: Header=BB38_3 Depth=1
	s_or_b32 exec_lo, exec_lo, s46
	s_wait_dscnt 0x0
	s_barrier_signal -1
	s_barrier_wait -1
	s_and_saveexec_b32 s46, s103
	s_cbranch_execz .LBB38_635
; %bb.634:                              ;   in Loop: Header=BB38_3 Depth=1
	ds_load_b64 v[46:47], v76 offset:11392
	ds_load_b64 v[48:49], v80
	s_wait_dscnt 0x0
	v_fma_f64 v[2:3], -v[46:47], v[48:49], v[2:3]
.LBB38_635:                             ;   in Loop: Header=BB38_3 Depth=1
	s_or_b32 exec_lo, exec_lo, s46
	s_barrier_signal -1
	s_barrier_wait -1
	s_and_saveexec_b32 s46, s104
; %bb.636:                              ;   in Loop: Header=BB38_3 Depth=1
	s_delay_alu instid0(VALU_DEP_1) | instskip(NEXT) | instid1(VALU_DEP_2)
	v_xor_b32_e32 v47, 0x80000000, v3
	v_mov_b32_e32 v46, v2
	ds_store_b64 v80, v[46:47]
; %bb.637:                              ;   in Loop: Header=BB38_3 Depth=1
	s_or_b32 exec_lo, exec_lo, s46
	s_wait_dscnt 0x0
	s_barrier_signal -1
	s_barrier_wait -1
	s_and_saveexec_b32 s46, vcc_hi
	s_cbranch_execz .LBB38_639
; %bb.638:                              ;   in Loop: Header=BB38_3 Depth=1
	ds_load_b64 v[46:47], v76 offset:10880
	ds_load_b64 v[48:49], v80
	s_wait_dscnt 0x0
	v_fma_f64 v[2:3], -v[46:47], v[48:49], v[2:3]
.LBB38_639:                             ;   in Loop: Header=BB38_3 Depth=1
	s_or_b32 exec_lo, exec_lo, s46
	s_barrier_signal -1
	s_barrier_wait -1
	s_and_saveexec_b32 s46, s31
; %bb.640:                              ;   in Loop: Header=BB38_3 Depth=1
	s_delay_alu instid0(VALU_DEP_1) | instskip(NEXT) | instid1(VALU_DEP_2)
	v_xor_b32_e32 v47, 0x80000000, v3
	v_mov_b32_e32 v46, v2
	ds_store_b64 v80, v[46:47]
; %bb.641:                              ;   in Loop: Header=BB38_3 Depth=1
	s_or_b32 exec_lo, exec_lo, s46
	s_wait_dscnt 0x0
	s_barrier_signal -1
	s_barrier_wait -1
	s_and_saveexec_b32 s46, s33
	s_cbranch_execz .LBB38_643
; %bb.642:                              ;   in Loop: Header=BB38_3 Depth=1
	ds_load_b64 v[46:47], v76 offset:10368
	ds_load_b64 v[48:49], v80
	s_wait_dscnt 0x0
	v_fma_f64 v[2:3], -v[46:47], v[48:49], v[2:3]
.LBB38_643:                             ;   in Loop: Header=BB38_3 Depth=1
	s_or_b32 exec_lo, exec_lo, s46
	s_barrier_signal -1
	s_barrier_wait -1
	s_and_saveexec_b32 s46, s34
; %bb.644:                              ;   in Loop: Header=BB38_3 Depth=1
	s_delay_alu instid0(VALU_DEP_1) | instskip(NEXT) | instid1(VALU_DEP_2)
	v_xor_b32_e32 v47, 0x80000000, v3
	v_mov_b32_e32 v46, v2
	ds_store_b64 v80, v[46:47]
; %bb.645:                              ;   in Loop: Header=BB38_3 Depth=1
	s_or_b32 exec_lo, exec_lo, s46
	s_wait_dscnt 0x0
	s_barrier_signal -1
	s_barrier_wait -1
	s_and_saveexec_b32 s46, s35
	;; [unrolled: 22-line block ×4, first 2 shown]
	s_cbranch_execz .LBB38_655
; %bb.654:                              ;   in Loop: Header=BB38_3 Depth=1
	ds_load_b64 v[46:47], v7 offset:8832
	ds_load_b64 v[48:49], v80
	s_wait_dscnt 0x0
	v_fma_f64 v[2:3], -v[46:47], v[48:49], v[2:3]
.LBB38_655:                             ;   in Loop: Header=BB38_3 Depth=1
	s_or_b32 exec_lo, exec_lo, s46
	s_barrier_signal -1
	s_barrier_wait -1
	s_and_saveexec_b32 s46, s39
; %bb.656:                              ;   in Loop: Header=BB38_3 Depth=1
	s_delay_alu instid0(VALU_DEP_1) | instskip(NEXT) | instid1(VALU_DEP_2)
	v_xor_b32_e32 v47, 0x80000000, v3
	v_mov_b32_e32 v46, v2
	ds_store_b64 v80, v[46:47]
; %bb.657:                              ;   in Loop: Header=BB38_3 Depth=1
	s_or_b32 exec_lo, exec_lo, s46
	s_wait_dscnt 0x0
	s_barrier_signal -1
	s_barrier_wait -1
	s_barrier_signal -1
	s_barrier_wait -1
	s_and_saveexec_b32 s46, s3
; %bb.658:                              ;   in Loop: Header=BB38_3 Depth=1
	ds_store_b64 v81, v[2:3] offset:16000
; %bb.659:                              ;   in Loop: Header=BB38_3 Depth=1
	s_or_b32 exec_lo, exec_lo, s46
	s_wait_dscnt 0x0
	s_barrier_signal -1
	s_barrier_wait -1
	s_barrier_signal -1
	s_barrier_wait -1
	s_and_saveexec_b32 s46, s40
	s_cbranch_execz .LBB38_661
; %bb.660:                              ;   in Loop: Header=BB38_3 Depth=1
	ds_load_b64 v[2:3], v56 offset:12416
	s_wait_dscnt 0x0
	ds_store_b64 v58, v[2:3] offset:8384
	ds_load_b64 v[2:3], v56 offset:12424
	s_wait_dscnt 0x0
	ds_store_b64 v58, v[2:3] offset:8896
	;; [unrolled: 3-line block ×8, first 2 shown]
.LBB38_661:                             ;   in Loop: Header=BB38_3 Depth=1
	s_or_b32 exec_lo, exec_lo, s46
	s_wait_dscnt 0x0
	s_barrier_signal -1
	s_barrier_wait -1
	s_and_saveexec_b32 s46, s10
	s_cbranch_execz .LBB38_663
; %bb.662:                              ;   in Loop: Header=BB38_3 Depth=1
	ds_load_b64 v[2:3], v7 offset:11952
	v_mov_b32_e32 v0, v7
	ds_store_b64 v7, v[34:35] offset:11960
	s_wait_dscnt 0x1
	ds_store_b128 v7, v[0:3] offset:11440
.LBB38_663:                             ;   in Loop: Header=BB38_3 Depth=1
	s_or_b32 exec_lo, exec_lo, s46
	v_mov_b64_e32 v[2:3], 0
	s_wait_dscnt 0x0
	s_barrier_signal -1
	s_barrier_wait -1
	global_wb scope:SCOPE_DEV
	s_wait_storecnt 0x0
	global_inv scope:SCOPE_DEV
	s_and_saveexec_b32 s46, s0
	s_cbranch_execz .LBB38_667
; %bb.664:                              ;   in Loop: Header=BB38_3 Depth=1
	ds_load_b64 v[2:3], v72 offset:11424
	ds_load_b64 v[46:47], v57 offset:11952
	s_wait_dscnt 0x0
	v_fma_f64 v[2:3], v[2:3], v[46:47], 0
	s_and_saveexec_b32 s47, s11
	s_cbranch_execz .LBB38_666
; %bb.665:                              ;   in Loop: Header=BB38_3 Depth=1
	ds_load_b64 v[46:47], v58 offset:11936
	ds_load_b64 v[48:49], v7 offset:11960
	s_wait_dscnt 0x0
	v_fmac_f64_e32 v[2:3], v[46:47], v[48:49]
.LBB38_666:                             ;   in Loop: Header=BB38_3 Depth=1
	s_or_b32 exec_lo, exec_lo, s47
.LBB38_667:                             ;   in Loop: Header=BB38_3 Depth=1
	s_delay_alu instid0(SALU_CYCLE_1)
	s_or_b32 exec_lo, exec_lo, s46
	s_and_saveexec_b32 s46, s90
; %bb.668:                              ;   in Loop: Header=BB38_3 Depth=1
	s_delay_alu instid0(VALU_DEP_1) | instskip(NEXT) | instid1(VALU_DEP_2)
	v_xor_b32_e32 v47, 0x80000000, v3
	v_mov_b32_e32 v46, v2
	ds_store_b64 v73, v[46:47]
; %bb.669:                              ;   in Loop: Header=BB38_3 Depth=1
	s_or_b32 exec_lo, exec_lo, s46
	s_wait_loadcnt_dscnt 0x0
	s_barrier_signal -1
	s_barrier_wait -1
	s_and_saveexec_b32 s46, s91
	s_cbranch_execz .LBB38_671
; %bb.670:                              ;   in Loop: Header=BB38_3 Depth=1
	ds_load_b64 v[46:47], v7 offset:10912
	ds_load_b64 v[48:49], v73
	s_wait_dscnt 0x0
	v_fma_f64 v[2:3], -v[46:47], v[48:49], v[2:3]
.LBB38_671:                             ;   in Loop: Header=BB38_3 Depth=1
	s_or_b32 exec_lo, exec_lo, s46
	s_barrier_signal -1
	s_barrier_wait -1
	s_and_saveexec_b32 s46, s91
; %bb.672:                              ;   in Loop: Header=BB38_3 Depth=1
	s_delay_alu instid0(VALU_DEP_1) | instskip(NEXT) | instid1(VALU_DEP_2)
	v_xor_b32_e32 v47, 0x80000000, v3
	v_mov_b32_e32 v46, v2
	ds_store_b64 v73, v[46:47]
; %bb.673:                              ;   in Loop: Header=BB38_3 Depth=1
	s_or_b32 exec_lo, exec_lo, s46
	s_wait_dscnt 0x0
	s_barrier_signal -1
	s_barrier_wait -1
	s_barrier_signal -1
	s_barrier_wait -1
	s_and_saveexec_b32 s46, s0
; %bb.674:                              ;   in Loop: Header=BB38_3 Depth=1
	ds_store_b64 v75, v[2:3] offset:11936
; %bb.675:                              ;   in Loop: Header=BB38_3 Depth=1
	s_or_b32 exec_lo, exec_lo, s46
	s_wait_dscnt 0x0
	s_barrier_signal -1
	s_barrier_wait -1
	s_barrier_signal -1
	s_barrier_wait -1
	s_and_saveexec_b32 s46, s92
	s_cbranch_execz .LBB38_677
; %bb.676:                              ;   in Loop: Header=BB38_3 Depth=1
	ds_load_b64 v[2:3], v60 offset:11424
	s_wait_dscnt 0x0
	ds_store_b64 v58, v[2:3] offset:10416
	ds_load_b64 v[2:3], v60 offset:11432
	s_wait_dscnt 0x0
	ds_store_b64 v58, v[2:3] offset:10928
.LBB38_677:                             ;   in Loop: Header=BB38_3 Depth=1
	s_or_b32 exec_lo, exec_lo, s46
	s_wait_dscnt 0x0
	s_barrier_signal -1
	s_barrier_wait -1
	s_and_saveexec_b32 s46, s10
	s_cbranch_execz .LBB38_679
; %bb.678:                              ;   in Loop: Header=BB38_3 Depth=1
	ds_load_b64 v[2:3], v7 offset:10912
	v_mov_b32_e32 v0, v7
	ds_store_b64 v7, v[34:35] offset:10920
	s_wait_dscnt 0x1
	ds_store_b128 v7, v[0:3] offset:10400
.LBB38_679:                             ;   in Loop: Header=BB38_3 Depth=1
	s_or_b32 exec_lo, exec_lo, s46
	v_mov_b64_e32 v[2:3], 0
	s_wait_dscnt 0x0
	s_barrier_signal -1
	s_barrier_wait -1
	global_wb scope:SCOPE_DEV
	s_wait_storecnt 0x0
	global_inv scope:SCOPE_DEV
	s_and_saveexec_b32 s57, s2
	s_cbranch_execz .LBB38_685
; %bb.680:                              ;   in Loop: Header=BB38_3 Depth=1
	ds_load_b64 v[2:3], v74 offset:10368
	ds_load_b64 v[46:47], v59 offset:11936
	s_wait_dscnt 0x0
	v_fma_f64 v[2:3], v[2:3], v[46:47], 0
	s_and_saveexec_b32 s46, s12
	s_cbranch_execnz .LBB38_1101
; %bb.681:                              ;   in Loop: Header=BB38_3 Depth=1
	s_or_b32 exec_lo, exec_lo, s46
	s_and_saveexec_b32 s46, s13
	s_cbranch_execnz .LBB38_1102
.LBB38_682:                             ;   in Loop: Header=BB38_3 Depth=1
	s_or_b32 exec_lo, exec_lo, s46
	s_and_saveexec_b32 s46, s0
	s_cbranch_execz .LBB38_684
.LBB38_683:                             ;   in Loop: Header=BB38_3 Depth=1
	ds_load_b64 v[46:47], v62 offset:11904
	ds_load_b64 v[48:49], v7 offset:11960
	s_wait_dscnt 0x0
	v_fmac_f64_e32 v[2:3], v[46:47], v[48:49]
.LBB38_684:                             ;   in Loop: Header=BB38_3 Depth=1
	s_or_b32 exec_lo, exec_lo, s46
.LBB38_685:                             ;   in Loop: Header=BB38_3 Depth=1
	s_delay_alu instid0(SALU_CYCLE_1)
	s_or_b32 exec_lo, exec_lo, s57
	s_and_saveexec_b32 s46, s93
; %bb.686:                              ;   in Loop: Header=BB38_3 Depth=1
	s_delay_alu instid0(VALU_DEP_1) | instskip(NEXT) | instid1(VALU_DEP_2)
	v_xor_b32_e32 v47, 0x80000000, v3
	v_mov_b32_e32 v46, v2
	ds_store_b64 v77, v[46:47]
; %bb.687:                              ;   in Loop: Header=BB38_3 Depth=1
	s_or_b32 exec_lo, exec_lo, s46
	s_wait_loadcnt_dscnt 0x0
	s_barrier_signal -1
	s_barrier_wait -1
	s_and_saveexec_b32 s46, s94
	s_cbranch_execz .LBB38_689
; %bb.688:                              ;   in Loop: Header=BB38_3 Depth=1
	ds_load_b64 v[46:47], v74 offset:9856
	ds_load_b64 v[48:49], v77
	s_wait_dscnt 0x0
	v_fma_f64 v[2:3], -v[46:47], v[48:49], v[2:3]
.LBB38_689:                             ;   in Loop: Header=BB38_3 Depth=1
	s_or_b32 exec_lo, exec_lo, s46
	s_barrier_signal -1
	s_barrier_wait -1
	s_and_saveexec_b32 s46, s95
; %bb.690:                              ;   in Loop: Header=BB38_3 Depth=1
	s_delay_alu instid0(VALU_DEP_1) | instskip(NEXT) | instid1(VALU_DEP_2)
	v_xor_b32_e32 v47, 0x80000000, v3
	v_mov_b32_e32 v46, v2
	ds_store_b64 v77, v[46:47]
; %bb.691:                              ;   in Loop: Header=BB38_3 Depth=1
	s_or_b32 exec_lo, exec_lo, s46
	s_wait_dscnt 0x0
	s_barrier_signal -1
	s_barrier_wait -1
	s_and_saveexec_b32 s46, s96
	s_cbranch_execz .LBB38_693
; %bb.692:                              ;   in Loop: Header=BB38_3 Depth=1
	ds_load_b64 v[46:47], v74 offset:9344
	ds_load_b64 v[48:49], v77
	s_wait_dscnt 0x0
	v_fma_f64 v[2:3], -v[46:47], v[48:49], v[2:3]
.LBB38_693:                             ;   in Loop: Header=BB38_3 Depth=1
	s_or_b32 exec_lo, exec_lo, s46
	s_barrier_signal -1
	s_barrier_wait -1
	s_and_saveexec_b32 s46, s97
; %bb.694:                              ;   in Loop: Header=BB38_3 Depth=1
	s_delay_alu instid0(VALU_DEP_1) | instskip(NEXT) | instid1(VALU_DEP_2)
	v_xor_b32_e32 v47, 0x80000000, v3
	v_mov_b32_e32 v46, v2
	ds_store_b64 v77, v[46:47]
; %bb.695:                              ;   in Loop: Header=BB38_3 Depth=1
	s_or_b32 exec_lo, exec_lo, s46
	s_wait_dscnt 0x0
	;; [unrolled: 22-line block ×3, first 2 shown]
	s_barrier_signal -1
	s_barrier_wait -1
	s_barrier_signal -1
	s_barrier_wait -1
	s_and_saveexec_b32 s46, s2
; %bb.700:                              ;   in Loop: Header=BB38_3 Depth=1
	ds_store_b64 v79, v[2:3] offset:11904
; %bb.701:                              ;   in Loop: Header=BB38_3 Depth=1
	s_or_b32 exec_lo, exec_lo, s46
	s_wait_dscnt 0x0
	s_barrier_signal -1
	s_barrier_wait -1
	s_barrier_signal -1
	s_barrier_wait -1
	s_and_saveexec_b32 s46, s99
	s_cbranch_execz .LBB38_703
; %bb.702:                              ;   in Loop: Header=BB38_3 Depth=1
	ds_load_b64 v[2:3], v67 offset:10368
	s_wait_dscnt 0x0
	ds_store_b64 v68, v[2:3] offset:8352
	ds_load_b64 v[2:3], v67 offset:10376
	s_wait_dscnt 0x0
	ds_store_b64 v68, v[2:3] offset:8864
	;; [unrolled: 3-line block ×4, first 2 shown]
.LBB38_703:                             ;   in Loop: Header=BB38_3 Depth=1
	s_or_b32 exec_lo, exec_lo, s46
	s_wait_dscnt 0x0
	s_barrier_signal -1
	s_barrier_wait -1
	s_and_saveexec_b32 s46, s10
	s_cbranch_execz .LBB38_705
; %bb.704:                              ;   in Loop: Header=BB38_3 Depth=1
	ds_load_b64 v[2:3], v7 offset:9872
	v_mov_b32_e32 v0, v7
	ds_store_b64 v7, v[34:35] offset:9880
	s_wait_dscnt 0x1
	ds_store_b128 v7, v[0:3] offset:9360
.LBB38_705:                             ;   in Loop: Header=BB38_3 Depth=1
	s_or_b32 exec_lo, exec_lo, s46
	v_mov_b64_e32 v[2:3], 0
	s_wait_dscnt 0x0
	s_barrier_signal -1
	s_barrier_wait -1
	global_wb scope:SCOPE_DEV
	s_wait_storecnt 0x0
	global_inv scope:SCOPE_DEV
	s_and_saveexec_b32 s46, s0
	s_cbranch_execz .LBB38_709
; %bb.706:                              ;   in Loop: Header=BB38_3 Depth=1
	ds_load_b64 v[2:3], v72 offset:9344
	ds_load_b64 v[46:47], v57 offset:9872
	s_wait_dscnt 0x0
	v_fma_f64 v[2:3], v[2:3], v[46:47], 0
	s_and_saveexec_b32 s47, s11
	s_cbranch_execz .LBB38_708
; %bb.707:                              ;   in Loop: Header=BB38_3 Depth=1
	ds_load_b64 v[46:47], v68 offset:9856
	ds_load_b64 v[48:49], v7 offset:9880
	s_wait_dscnt 0x0
	v_fmac_f64_e32 v[2:3], v[46:47], v[48:49]
.LBB38_708:                             ;   in Loop: Header=BB38_3 Depth=1
	s_or_b32 exec_lo, exec_lo, s47
.LBB38_709:                             ;   in Loop: Header=BB38_3 Depth=1
	s_delay_alu instid0(SALU_CYCLE_1)
	s_or_b32 exec_lo, exec_lo, s46
	s_and_saveexec_b32 s46, s90
; %bb.710:                              ;   in Loop: Header=BB38_3 Depth=1
	s_delay_alu instid0(VALU_DEP_1) | instskip(NEXT) | instid1(VALU_DEP_2)
	v_xor_b32_e32 v47, 0x80000000, v3
	v_mov_b32_e32 v46, v2
	ds_store_b64 v73, v[46:47]
; %bb.711:                              ;   in Loop: Header=BB38_3 Depth=1
	s_or_b32 exec_lo, exec_lo, s46
	s_wait_loadcnt_dscnt 0x0
	s_barrier_signal -1
	s_barrier_wait -1
	s_and_saveexec_b32 s46, s91
	s_cbranch_execz .LBB38_713
; %bb.712:                              ;   in Loop: Header=BB38_3 Depth=1
	ds_load_b64 v[46:47], v7 offset:8832
	ds_load_b64 v[48:49], v73
	s_wait_dscnt 0x0
	v_fma_f64 v[2:3], -v[46:47], v[48:49], v[2:3]
.LBB38_713:                             ;   in Loop: Header=BB38_3 Depth=1
	s_or_b32 exec_lo, exec_lo, s46
	s_barrier_signal -1
	s_barrier_wait -1
	s_and_saveexec_b32 s46, s91
; %bb.714:                              ;   in Loop: Header=BB38_3 Depth=1
	s_delay_alu instid0(VALU_DEP_1) | instskip(NEXT) | instid1(VALU_DEP_2)
	v_xor_b32_e32 v47, 0x80000000, v3
	v_mov_b32_e32 v46, v2
	ds_store_b64 v73, v[46:47]
; %bb.715:                              ;   in Loop: Header=BB38_3 Depth=1
	s_or_b32 exec_lo, exec_lo, s46
	s_wait_dscnt 0x0
	s_barrier_signal -1
	s_barrier_wait -1
	s_barrier_signal -1
	s_barrier_wait -1
	s_and_saveexec_b32 s46, s0
; %bb.716:                              ;   in Loop: Header=BB38_3 Depth=1
	ds_store_b64 v75, v[2:3] offset:9856
; %bb.717:                              ;   in Loop: Header=BB38_3 Depth=1
	s_or_b32 exec_lo, exec_lo, s46
	s_wait_dscnt 0x0
	s_barrier_signal -1
	s_barrier_wait -1
	s_barrier_signal -1
	s_barrier_wait -1
	s_and_saveexec_b32 s46, s92
	s_cbranch_execz .LBB38_719
; %bb.718:                              ;   in Loop: Header=BB38_3 Depth=1
	ds_load_b64 v[2:3], v69 offset:9344
	s_wait_dscnt 0x0
	ds_store_b64 v68, v[2:3] offset:8336
	ds_load_b64 v[2:3], v69 offset:9352
	s_wait_dscnt 0x0
	ds_store_b64 v68, v[2:3] offset:8848
.LBB38_719:                             ;   in Loop: Header=BB38_3 Depth=1
	s_or_b32 exec_lo, exec_lo, s46
	s_wait_dscnt 0x0
	s_barrier_signal -1
	s_barrier_wait -1
	s_and_saveexec_b32 s46, s10
	s_cbranch_execz .LBB38_721
; %bb.720:                              ;   in Loop: Header=BB38_3 Depth=1
	ds_load_b64 v[2:3], v7 offset:8832
	v_mov_b32_e32 v0, v7
	ds_store_b64 v7, v[34:35] offset:8840
	s_wait_dscnt 0x1
	ds_store_b128 v7, v[0:3] offset:8320
.LBB38_721:                             ;   in Loop: Header=BB38_3 Depth=1
	s_or_b32 exec_lo, exec_lo, s46
	v_mov_b64_e32 v[2:3], 0
	s_wait_dscnt 0x0
	s_barrier_signal -1
	s_barrier_wait -1
	global_wb scope:SCOPE_DEV
	s_wait_storecnt 0x0
	global_inv scope:SCOPE_DEV
	s_and_saveexec_b32 s61, s4
	s_cbranch_execz .LBB38_749
; %bb.722:                              ;   in Loop: Header=BB38_3 Depth=1
	ds_load_b64 v[2:3], v78 offset:8192
	ds_load_b64 v[46:47], v65 offset:16000
	s_wait_dscnt 0x0
	v_fma_f64 v[2:3], v[2:3], v[46:47], 0
	s_mov_b32 s46, exec_lo
	v_readlane_b32 s47, v103, 19
	s_and_b32 s47, s46, s47
	s_delay_alu instid0(SALU_CYCLE_1)
	s_mov_b32 exec_lo, s47
	s_cbranch_execz .LBB38_724
; %bb.723:                              ;   in Loop: Header=BB38_3 Depth=1
	ds_load_b64 v[46:47], v78 offset:8704
	ds_load_b64 v[48:49], v65 offset:16008
	s_wait_dscnt 0x0
	v_fmac_f64_e32 v[2:3], v[46:47], v[48:49]
.LBB38_724:                             ;   in Loop: Header=BB38_3 Depth=1
	s_or_b32 exec_lo, exec_lo, s46
	s_delay_alu instid0(SALU_CYCLE_1) | instskip(SKIP_2) | instid1(SALU_CYCLE_1)
	s_mov_b32 s46, exec_lo
	v_readlane_b32 s47, v103, 20
	s_and_b32 s47, s46, s47
	s_mov_b32 exec_lo, s47
	s_cbranch_execz .LBB38_726
; %bb.725:                              ;   in Loop: Header=BB38_3 Depth=1
	ds_load_b64 v[46:47], v78 offset:9216
	ds_load_b64 v[48:49], v65 offset:16016
	s_wait_dscnt 0x0
	v_fmac_f64_e32 v[2:3], v[46:47], v[48:49]
.LBB38_726:                             ;   in Loop: Header=BB38_3 Depth=1
	s_or_b32 exec_lo, exec_lo, s46
	s_delay_alu instid0(SALU_CYCLE_1) | instskip(SKIP_2) | instid1(SALU_CYCLE_1)
	s_mov_b32 s46, exec_lo
	v_readlane_b32 s47, v103, 21
	s_and_b32 s47, s46, s47
	;; [unrolled: 13-line block ×10, first 2 shown]
	s_mov_b32 exec_lo, s47
	s_cbranch_execnz .LBB38_1103
; %bb.743:                              ;   in Loop: Header=BB38_3 Depth=1
	s_or_b32 exec_lo, exec_lo, s46
	s_and_saveexec_b32 s46, s3
	s_cbranch_execnz .LBB38_1104
.LBB38_744:                             ;   in Loop: Header=BB38_3 Depth=1
	s_or_b32 exec_lo, exec_lo, s46
	s_and_saveexec_b32 s46, s15
	s_cbranch_execnz .LBB38_1105
.LBB38_745:                             ;   in Loop: Header=BB38_3 Depth=1
	s_or_b32 exec_lo, exec_lo, s46
	s_and_saveexec_b32 s46, s17
	s_cbranch_execnz .LBB38_1106
.LBB38_746:                             ;   in Loop: Header=BB38_3 Depth=1
	s_or_b32 exec_lo, exec_lo, s46
	s_and_saveexec_b32 s46, s2
	s_cbranch_execz .LBB38_748
.LBB38_747:                             ;   in Loop: Header=BB38_3 Depth=1
	ds_load_b64 v[46:47], v11 offset:15872
	ds_load_b64 v[48:49], v7 offset:16120
	s_wait_dscnt 0x0
	v_fmac_f64_e32 v[2:3], v[46:47], v[48:49]
.LBB38_748:                             ;   in Loop: Header=BB38_3 Depth=1
	s_or_b32 exec_lo, exec_lo, s46
.LBB38_749:                             ;   in Loop: Header=BB38_3 Depth=1
	s_delay_alu instid0(SALU_CYCLE_1) | instskip(NEXT) | instid1(SALU_CYCLE_1)
	s_or_b32 exec_lo, exec_lo, s61
	s_mov_b32 s46, exec_lo
	v_readlane_b32 s47, v103, 2
	s_and_b32 s47, s46, s47
	s_delay_alu instid0(SALU_CYCLE_1)
	s_mov_b32 exec_lo, s47
; %bb.750:                              ;   in Loop: Header=BB38_3 Depth=1
	v_xor_b32_e32 v47, 0x80000000, v3
	v_mov_b32_e32 v46, v2
	ds_store_b64 v82, v[46:47]
; %bb.751:                              ;   in Loop: Header=BB38_3 Depth=1
	s_or_b32 exec_lo, exec_lo, s46
	s_wait_loadcnt_dscnt 0x0
	s_barrier_signal -1
	s_barrier_wait -1
	s_mov_b32 s46, exec_lo
	v_readlane_b32 s47, v103, 3
	s_and_b32 s47, s46, s47
	s_delay_alu instid0(SALU_CYCLE_1)
	s_mov_b32 exec_lo, s47
	s_cbranch_execz .LBB38_753
; %bb.752:                              ;   in Loop: Header=BB38_3 Depth=1
	ds_load_b64 v[46:47], v78 offset:7680
	ds_load_b64 v[48:49], v82
	s_wait_dscnt 0x0
	v_fma_f64 v[2:3], -v[46:47], v[48:49], v[2:3]
.LBB38_753:                             ;   in Loop: Header=BB38_3 Depth=1
	s_or_b32 exec_lo, exec_lo, s46
	s_barrier_signal -1
	s_barrier_wait -1
	s_mov_b32 s46, exec_lo
	v_readlane_b32 s47, v103, 4
	s_and_b32 s47, s46, s47
	s_delay_alu instid0(SALU_CYCLE_1)
	s_mov_b32 exec_lo, s47
; %bb.754:                              ;   in Loop: Header=BB38_3 Depth=1
	v_xor_b32_e32 v47, 0x80000000, v3
	v_mov_b32_e32 v46, v2
	ds_store_b64 v82, v[46:47]
; %bb.755:                              ;   in Loop: Header=BB38_3 Depth=1
	s_or_b32 exec_lo, exec_lo, s46
	s_wait_dscnt 0x0
	s_barrier_signal -1
	s_barrier_wait -1
	s_mov_b32 s46, exec_lo
	v_readlane_b32 s47, v103, 5
	s_and_b32 s47, s46, s47
	s_delay_alu instid0(SALU_CYCLE_1)
	s_mov_b32 exec_lo, s47
	s_cbranch_execz .LBB38_757
; %bb.756:                              ;   in Loop: Header=BB38_3 Depth=1
	ds_load_b64 v[46:47], v78 offset:7168
	ds_load_b64 v[48:49], v82
	s_wait_dscnt 0x0
	v_fma_f64 v[2:3], -v[46:47], v[48:49], v[2:3]
.LBB38_757:                             ;   in Loop: Header=BB38_3 Depth=1
	s_or_b32 exec_lo, exec_lo, s46
	s_barrier_signal -1
	s_barrier_wait -1
	s_mov_b32 s46, exec_lo
	v_readlane_b32 s47, v103, 6
	s_and_b32 s47, s46, s47
	s_delay_alu instid0(SALU_CYCLE_1)
	s_mov_b32 exec_lo, s47
; %bb.758:                              ;   in Loop: Header=BB38_3 Depth=1
	v_xor_b32_e32 v47, 0x80000000, v3
	v_mov_b32_e32 v46, v2
	ds_store_b64 v82, v[46:47]
; %bb.759:                              ;   in Loop: Header=BB38_3 Depth=1
	s_or_b32 exec_lo, exec_lo, s46
	s_wait_dscnt 0x0
	;; [unrolled: 29-line block ×3, first 2 shown]
	s_barrier_signal -1
	s_barrier_wait -1
	s_and_saveexec_b32 s46, s48
	s_cbranch_execz .LBB38_765
; %bb.764:                              ;   in Loop: Header=BB38_3 Depth=1
	ds_load_b64 v[46:47], v78 offset:6144
	ds_load_b64 v[48:49], v82
	s_wait_dscnt 0x0
	v_fma_f64 v[2:3], -v[46:47], v[48:49], v[2:3]
.LBB38_765:                             ;   in Loop: Header=BB38_3 Depth=1
	s_or_b32 exec_lo, exec_lo, s46
	s_barrier_signal -1
	s_barrier_wait -1
	s_and_saveexec_b32 s46, s49
; %bb.766:                              ;   in Loop: Header=BB38_3 Depth=1
	s_delay_alu instid0(VALU_DEP_1) | instskip(NEXT) | instid1(VALU_DEP_2)
	v_xor_b32_e32 v47, 0x80000000, v3
	v_mov_b32_e32 v46, v2
	ds_store_b64 v82, v[46:47]
; %bb.767:                              ;   in Loop: Header=BB38_3 Depth=1
	s_or_b32 exec_lo, exec_lo, s46
	s_wait_dscnt 0x0
	s_barrier_signal -1
	s_barrier_wait -1
	s_and_saveexec_b32 s46, s50
	s_cbranch_execz .LBB38_769
; %bb.768:                              ;   in Loop: Header=BB38_3 Depth=1
	ds_load_b64 v[46:47], v78 offset:5632
	ds_load_b64 v[48:49], v82
	s_wait_dscnt 0x0
	v_fma_f64 v[2:3], -v[46:47], v[48:49], v[2:3]
.LBB38_769:                             ;   in Loop: Header=BB38_3 Depth=1
	s_or_b32 exec_lo, exec_lo, s46
	s_barrier_signal -1
	s_barrier_wait -1
	s_and_saveexec_b32 s46, s51
; %bb.770:                              ;   in Loop: Header=BB38_3 Depth=1
	s_delay_alu instid0(VALU_DEP_1) | instskip(NEXT) | instid1(VALU_DEP_2)
	v_xor_b32_e32 v47, 0x80000000, v3
	v_mov_b32_e32 v46, v2
	ds_store_b64 v82, v[46:47]
; %bb.771:                              ;   in Loop: Header=BB38_3 Depth=1
	s_or_b32 exec_lo, exec_lo, s46
	s_wait_dscnt 0x0
	;; [unrolled: 22-line block ×12, first 2 shown]
	s_barrier_signal -1
	s_barrier_wait -1
	s_barrier_signal -1
	s_barrier_wait -1
	s_and_saveexec_b32 s46, s4
; %bb.812:                              ;   in Loop: Header=BB38_3 Depth=1
	ds_store_b64 v83, v[2:3] offset:15872
; %bb.813:                              ;   in Loop: Header=BB38_3 Depth=1
	s_or_b32 exec_lo, exec_lo, s46
	s_wait_dscnt 0x0
	s_barrier_signal -1
	s_barrier_wait -1
	s_barrier_signal -1
	s_barrier_wait -1
	s_and_saveexec_b32 s57, s43
	s_cbranch_execz .LBB38_815
; %bb.814:                              ;   in Loop: Header=BB38_3 Depth=1
	ds_load_b64 v[2:3], v50 offset:8192
	s_wait_dscnt 0x0
	ds_store_b64 v51, v[2:3] offset:128
	ds_load_b64 v[2:3], v50 offset:8200
	s_wait_dscnt 0x0
	ds_store_b64 v51, v[2:3] offset:640
	;; [unrolled: 3-line block ×16, first 2 shown]
.LBB38_815:                             ;   in Loop: Header=BB38_3 Depth=1
	s_or_b32 exec_lo, exec_lo, s57
	s_wait_dscnt 0x0
	s_barrier_signal -1
	s_barrier_wait -1
	s_and_saveexec_b32 s46, s10
	s_cbranch_execz .LBB38_817
; %bb.816:                              ;   in Loop: Header=BB38_3 Depth=1
	ds_load_b64 v[2:3], v7 offset:7792
	v_mov_b32_e32 v0, v7
	ds_store_b64 v7, v[34:35] offset:7800
	s_wait_dscnt 0x1
	ds_store_b128 v7, v[0:3] offset:7280
.LBB38_817:                             ;   in Loop: Header=BB38_3 Depth=1
	s_or_b32 exec_lo, exec_lo, s46
	v_mov_b64_e32 v[2:3], 0
	s_wait_dscnt 0x0
	s_barrier_signal -1
	s_barrier_wait -1
	global_wb scope:SCOPE_DEV
	s_wait_storecnt 0x0
	global_inv scope:SCOPE_DEV
	s_and_saveexec_b32 s46, s0
	s_cbranch_execz .LBB38_821
; %bb.818:                              ;   in Loop: Header=BB38_3 Depth=1
	ds_load_b64 v[2:3], v72 offset:7264
	ds_load_b64 v[46:47], v57 offset:7792
	s_wait_dscnt 0x0
	v_fma_f64 v[2:3], v[2:3], v[46:47], 0
	s_and_saveexec_b32 s47, s11
	s_cbranch_execz .LBB38_820
; %bb.819:                              ;   in Loop: Header=BB38_3 Depth=1
	ds_load_b64 v[46:47], v11 offset:7776
	ds_load_b64 v[48:49], v7 offset:7800
	s_wait_dscnt 0x0
	v_fmac_f64_e32 v[2:3], v[46:47], v[48:49]
.LBB38_820:                             ;   in Loop: Header=BB38_3 Depth=1
	s_or_b32 exec_lo, exec_lo, s47
.LBB38_821:                             ;   in Loop: Header=BB38_3 Depth=1
	s_delay_alu instid0(SALU_CYCLE_1)
	s_or_b32 exec_lo, exec_lo, s46
	s_and_saveexec_b32 s46, s90
; %bb.822:                              ;   in Loop: Header=BB38_3 Depth=1
	s_delay_alu instid0(VALU_DEP_1) | instskip(NEXT) | instid1(VALU_DEP_2)
	v_xor_b32_e32 v47, 0x80000000, v3
	v_mov_b32_e32 v46, v2
	ds_store_b64 v73, v[46:47]
; %bb.823:                              ;   in Loop: Header=BB38_3 Depth=1
	s_or_b32 exec_lo, exec_lo, s46
	s_wait_loadcnt_dscnt 0x0
	s_barrier_signal -1
	s_barrier_wait -1
	s_and_saveexec_b32 s46, s91
	s_cbranch_execz .LBB38_825
; %bb.824:                              ;   in Loop: Header=BB38_3 Depth=1
	ds_load_b64 v[46:47], v7 offset:6752
	ds_load_b64 v[48:49], v73
	s_wait_dscnt 0x0
	v_fma_f64 v[2:3], -v[46:47], v[48:49], v[2:3]
.LBB38_825:                             ;   in Loop: Header=BB38_3 Depth=1
	s_or_b32 exec_lo, exec_lo, s46
	s_barrier_signal -1
	s_barrier_wait -1
	s_and_saveexec_b32 s46, s91
; %bb.826:                              ;   in Loop: Header=BB38_3 Depth=1
	s_delay_alu instid0(VALU_DEP_1) | instskip(NEXT) | instid1(VALU_DEP_2)
	v_xor_b32_e32 v47, 0x80000000, v3
	v_mov_b32_e32 v46, v2
	ds_store_b64 v73, v[46:47]
; %bb.827:                              ;   in Loop: Header=BB38_3 Depth=1
	s_or_b32 exec_lo, exec_lo, s46
	s_wait_dscnt 0x0
	s_barrier_signal -1
	s_barrier_wait -1
	s_barrier_signal -1
	s_barrier_wait -1
	s_and_saveexec_b32 s46, s0
; %bb.828:                              ;   in Loop: Header=BB38_3 Depth=1
	ds_store_b64 v75, v[2:3] offset:7776
; %bb.829:                              ;   in Loop: Header=BB38_3 Depth=1
	s_or_b32 exec_lo, exec_lo, s46
	s_wait_dscnt 0x0
	s_barrier_signal -1
	s_barrier_wait -1
	s_barrier_signal -1
	s_barrier_wait -1
	s_and_saveexec_b32 s46, s92
	s_cbranch_execz .LBB38_831
; %bb.830:                              ;   in Loop: Header=BB38_3 Depth=1
	ds_load_b64 v[2:3], v50 offset:7264
	s_wait_dscnt 0x0
	ds_store_b64 v11, v[2:3] offset:6256
	ds_load_b64 v[2:3], v50 offset:7272
	s_wait_dscnt 0x0
	ds_store_b64 v11, v[2:3] offset:6768
.LBB38_831:                             ;   in Loop: Header=BB38_3 Depth=1
	s_or_b32 exec_lo, exec_lo, s46
	s_wait_dscnt 0x0
	s_barrier_signal -1
	s_barrier_wait -1
	s_and_saveexec_b32 s46, s10
	s_cbranch_execz .LBB38_833
; %bb.832:                              ;   in Loop: Header=BB38_3 Depth=1
	ds_load_b64 v[2:3], v7 offset:6752
	v_mov_b32_e32 v0, v7
	ds_store_b64 v7, v[34:35] offset:6760
	s_wait_dscnt 0x1
	ds_store_b128 v7, v[0:3] offset:6240
.LBB38_833:                             ;   in Loop: Header=BB38_3 Depth=1
	s_or_b32 exec_lo, exec_lo, s46
	v_mov_b64_e32 v[2:3], 0
	s_wait_dscnt 0x0
	s_barrier_signal -1
	s_barrier_wait -1
	global_wb scope:SCOPE_DEV
	s_wait_storecnt 0x0
	global_inv scope:SCOPE_DEV
	s_and_saveexec_b32 s57, s2
	s_cbranch_execz .LBB38_839
; %bb.834:                              ;   in Loop: Header=BB38_3 Depth=1
	ds_load_b64 v[2:3], v74 offset:6208
	ds_load_b64 v[46:47], v59 offset:7776
	s_wait_dscnt 0x0
	v_fma_f64 v[2:3], v[2:3], v[46:47], 0
	s_and_saveexec_b32 s46, s12
	s_cbranch_execnz .LBB38_1107
; %bb.835:                              ;   in Loop: Header=BB38_3 Depth=1
	s_or_b32 exec_lo, exec_lo, s46
	s_and_saveexec_b32 s46, s13
	s_cbranch_execnz .LBB38_1108
.LBB38_836:                             ;   in Loop: Header=BB38_3 Depth=1
	s_or_b32 exec_lo, exec_lo, s46
	s_and_saveexec_b32 s46, s0
	s_cbranch_execz .LBB38_838
.LBB38_837:                             ;   in Loop: Header=BB38_3 Depth=1
	ds_load_b64 v[46:47], v51 offset:7744
	ds_load_b64 v[48:49], v7 offset:7800
	s_wait_dscnt 0x0
	v_fmac_f64_e32 v[2:3], v[46:47], v[48:49]
.LBB38_838:                             ;   in Loop: Header=BB38_3 Depth=1
	s_or_b32 exec_lo, exec_lo, s46
.LBB38_839:                             ;   in Loop: Header=BB38_3 Depth=1
	s_delay_alu instid0(SALU_CYCLE_1)
	s_or_b32 exec_lo, exec_lo, s57
	s_and_saveexec_b32 s46, s93
; %bb.840:                              ;   in Loop: Header=BB38_3 Depth=1
	s_delay_alu instid0(VALU_DEP_1) | instskip(NEXT) | instid1(VALU_DEP_2)
	v_xor_b32_e32 v47, 0x80000000, v3
	v_mov_b32_e32 v46, v2
	ds_store_b64 v77, v[46:47]
; %bb.841:                              ;   in Loop: Header=BB38_3 Depth=1
	s_or_b32 exec_lo, exec_lo, s46
	s_wait_loadcnt_dscnt 0x0
	s_barrier_signal -1
	s_barrier_wait -1
	s_and_saveexec_b32 s46, s94
	s_cbranch_execz .LBB38_843
; %bb.842:                              ;   in Loop: Header=BB38_3 Depth=1
	ds_load_b64 v[46:47], v74 offset:5696
	ds_load_b64 v[48:49], v77
	s_wait_dscnt 0x0
	v_fma_f64 v[2:3], -v[46:47], v[48:49], v[2:3]
.LBB38_843:                             ;   in Loop: Header=BB38_3 Depth=1
	s_or_b32 exec_lo, exec_lo, s46
	s_barrier_signal -1
	s_barrier_wait -1
	s_and_saveexec_b32 s46, s95
; %bb.844:                              ;   in Loop: Header=BB38_3 Depth=1
	s_delay_alu instid0(VALU_DEP_1) | instskip(NEXT) | instid1(VALU_DEP_2)
	v_xor_b32_e32 v47, 0x80000000, v3
	v_mov_b32_e32 v46, v2
	ds_store_b64 v77, v[46:47]
; %bb.845:                              ;   in Loop: Header=BB38_3 Depth=1
	s_or_b32 exec_lo, exec_lo, s46
	s_wait_dscnt 0x0
	s_barrier_signal -1
	s_barrier_wait -1
	s_and_saveexec_b32 s46, s96
	s_cbranch_execz .LBB38_847
; %bb.846:                              ;   in Loop: Header=BB38_3 Depth=1
	ds_load_b64 v[46:47], v74 offset:5184
	ds_load_b64 v[48:49], v77
	s_wait_dscnt 0x0
	v_fma_f64 v[2:3], -v[46:47], v[48:49], v[2:3]
.LBB38_847:                             ;   in Loop: Header=BB38_3 Depth=1
	s_or_b32 exec_lo, exec_lo, s46
	s_barrier_signal -1
	s_barrier_wait -1
	s_and_saveexec_b32 s46, s97
; %bb.848:                              ;   in Loop: Header=BB38_3 Depth=1
	s_delay_alu instid0(VALU_DEP_1) | instskip(NEXT) | instid1(VALU_DEP_2)
	v_xor_b32_e32 v47, 0x80000000, v3
	v_mov_b32_e32 v46, v2
	ds_store_b64 v77, v[46:47]
; %bb.849:                              ;   in Loop: Header=BB38_3 Depth=1
	s_or_b32 exec_lo, exec_lo, s46
	s_wait_dscnt 0x0
	;; [unrolled: 22-line block ×3, first 2 shown]
	s_barrier_signal -1
	s_barrier_wait -1
	s_barrier_signal -1
	s_barrier_wait -1
	s_and_saveexec_b32 s46, s2
; %bb.854:                              ;   in Loop: Header=BB38_3 Depth=1
	ds_store_b64 v79, v[2:3] offset:7744
; %bb.855:                              ;   in Loop: Header=BB38_3 Depth=1
	s_or_b32 exec_lo, exec_lo, s46
	s_wait_dscnt 0x0
	s_barrier_signal -1
	s_barrier_wait -1
	s_barrier_signal -1
	s_barrier_wait -1
	s_and_saveexec_b32 s46, s99
	s_cbranch_execz .LBB38_857
; %bb.856:                              ;   in Loop: Header=BB38_3 Depth=1
	ds_load_b64 v[2:3], v52 offset:6208
	s_wait_dscnt 0x0
	ds_store_b64 v53, v[2:3] offset:4192
	ds_load_b64 v[2:3], v52 offset:6216
	s_wait_dscnt 0x0
	ds_store_b64 v53, v[2:3] offset:4704
	ds_load_b64 v[2:3], v52 offset:6224
	s_wait_dscnt 0x0
	ds_store_b64 v53, v[2:3] offset:5216
	ds_load_b64 v[2:3], v52 offset:6232
	s_wait_dscnt 0x0
	ds_store_b64 v53, v[2:3] offset:5728
.LBB38_857:                             ;   in Loop: Header=BB38_3 Depth=1
	s_or_b32 exec_lo, exec_lo, s46
	s_wait_dscnt 0x0
	s_barrier_signal -1
	s_barrier_wait -1
	s_and_saveexec_b32 s46, s10
	s_cbranch_execz .LBB38_859
; %bb.858:                              ;   in Loop: Header=BB38_3 Depth=1
	ds_load_b64 v[2:3], v7 offset:5712
	v_mov_b32_e32 v0, v7
	ds_store_b64 v7, v[34:35] offset:5720
	s_wait_dscnt 0x1
	ds_store_b128 v7, v[0:3] offset:5200
.LBB38_859:                             ;   in Loop: Header=BB38_3 Depth=1
	s_or_b32 exec_lo, exec_lo, s46
	v_mov_b64_e32 v[2:3], 0
	s_wait_dscnt 0x0
	s_barrier_signal -1
	s_barrier_wait -1
	global_wb scope:SCOPE_DEV
	s_wait_storecnt 0x0
	global_inv scope:SCOPE_DEV
	s_and_saveexec_b32 s46, s0
	s_cbranch_execz .LBB38_863
; %bb.860:                              ;   in Loop: Header=BB38_3 Depth=1
	ds_load_b64 v[2:3], v72 offset:5184
	ds_load_b64 v[46:47], v57 offset:5712
	s_wait_dscnt 0x0
	v_fma_f64 v[2:3], v[2:3], v[46:47], 0
	s_and_saveexec_b32 s47, s11
	s_cbranch_execz .LBB38_862
; %bb.861:                              ;   in Loop: Header=BB38_3 Depth=1
	ds_load_b64 v[46:47], v53 offset:5696
	ds_load_b64 v[48:49], v7 offset:5720
	s_wait_dscnt 0x0
	v_fmac_f64_e32 v[2:3], v[46:47], v[48:49]
.LBB38_862:                             ;   in Loop: Header=BB38_3 Depth=1
	s_or_b32 exec_lo, exec_lo, s47
.LBB38_863:                             ;   in Loop: Header=BB38_3 Depth=1
	s_delay_alu instid0(SALU_CYCLE_1)
	s_or_b32 exec_lo, exec_lo, s46
	s_and_saveexec_b32 s46, s90
; %bb.864:                              ;   in Loop: Header=BB38_3 Depth=1
	s_delay_alu instid0(VALU_DEP_1) | instskip(NEXT) | instid1(VALU_DEP_2)
	v_xor_b32_e32 v47, 0x80000000, v3
	v_mov_b32_e32 v46, v2
	ds_store_b64 v73, v[46:47]
; %bb.865:                              ;   in Loop: Header=BB38_3 Depth=1
	s_or_b32 exec_lo, exec_lo, s46
	s_wait_loadcnt_dscnt 0x0
	s_barrier_signal -1
	s_barrier_wait -1
	s_and_saveexec_b32 s46, s91
	s_cbranch_execz .LBB38_867
; %bb.866:                              ;   in Loop: Header=BB38_3 Depth=1
	ds_load_b64 v[46:47], v7 offset:4672
	ds_load_b64 v[48:49], v73
	s_wait_dscnt 0x0
	v_fma_f64 v[2:3], -v[46:47], v[48:49], v[2:3]
.LBB38_867:                             ;   in Loop: Header=BB38_3 Depth=1
	s_or_b32 exec_lo, exec_lo, s46
	s_barrier_signal -1
	s_barrier_wait -1
	s_and_saveexec_b32 s46, s91
; %bb.868:                              ;   in Loop: Header=BB38_3 Depth=1
	s_delay_alu instid0(VALU_DEP_1) | instskip(NEXT) | instid1(VALU_DEP_2)
	v_xor_b32_e32 v47, 0x80000000, v3
	v_mov_b32_e32 v46, v2
	ds_store_b64 v73, v[46:47]
; %bb.869:                              ;   in Loop: Header=BB38_3 Depth=1
	s_or_b32 exec_lo, exec_lo, s46
	s_wait_dscnt 0x0
	s_barrier_signal -1
	s_barrier_wait -1
	s_barrier_signal -1
	s_barrier_wait -1
	s_and_saveexec_b32 s46, s0
; %bb.870:                              ;   in Loop: Header=BB38_3 Depth=1
	ds_store_b64 v75, v[2:3] offset:5696
; %bb.871:                              ;   in Loop: Header=BB38_3 Depth=1
	s_or_b32 exec_lo, exec_lo, s46
	s_wait_dscnt 0x0
	s_barrier_signal -1
	s_barrier_wait -1
	s_barrier_signal -1
	s_barrier_wait -1
	s_and_saveexec_b32 s46, s92
	s_cbranch_execz .LBB38_873
; %bb.872:                              ;   in Loop: Header=BB38_3 Depth=1
	ds_load_b64 v[2:3], v54 offset:5184
	s_wait_dscnt 0x0
	ds_store_b64 v53, v[2:3] offset:4176
	ds_load_b64 v[2:3], v54 offset:5192
	s_wait_dscnt 0x0
	ds_store_b64 v53, v[2:3] offset:4688
.LBB38_873:                             ;   in Loop: Header=BB38_3 Depth=1
	s_or_b32 exec_lo, exec_lo, s46
	s_wait_dscnt 0x0
	s_barrier_signal -1
	s_barrier_wait -1
	s_and_saveexec_b32 s46, s10
	s_cbranch_execz .LBB38_875
; %bb.874:                              ;   in Loop: Header=BB38_3 Depth=1
	ds_load_b64 v[2:3], v7 offset:4672
	v_mov_b32_e32 v0, v7
	ds_store_b64 v7, v[34:35] offset:4680
	s_wait_dscnt 0x1
	ds_store_b128 v7, v[0:3] offset:4160
.LBB38_875:                             ;   in Loop: Header=BB38_3 Depth=1
	s_or_b32 exec_lo, exec_lo, s46
	v_mov_b64_e32 v[2:3], 0
	s_wait_dscnt 0x0
	s_barrier_signal -1
	s_barrier_wait -1
	global_wb scope:SCOPE_DEV
	s_wait_storecnt 0x0
	global_inv scope:SCOPE_DEV
	s_and_saveexec_b32 s57, s3
	s_cbranch_execz .LBB38_885
; %bb.876:                              ;   in Loop: Header=BB38_3 Depth=1
	ds_load_b64 v[2:3], v76 offset:4096
	ds_load_b64 v[46:47], v63 offset:7744
	s_wait_dscnt 0x0
	v_fma_f64 v[2:3], v[2:3], v[46:47], 0
	s_and_saveexec_b32 s46, s14
	s_cbranch_execnz .LBB38_1109
; %bb.877:                              ;   in Loop: Header=BB38_3 Depth=1
	s_or_b32 exec_lo, exec_lo, s46
	s_and_saveexec_b32 s46, s15
	s_cbranch_execnz .LBB38_1110
.LBB38_878:                             ;   in Loop: Header=BB38_3 Depth=1
	s_or_b32 exec_lo, exec_lo, s46
	s_and_saveexec_b32 s46, s16
	s_cbranch_execnz .LBB38_1111
.LBB38_879:                             ;   in Loop: Header=BB38_3 Depth=1
	s_or_b32 exec_lo, exec_lo, s46
	s_and_saveexec_b32 s46, s17
	s_cbranch_execnz .LBB38_1112
.LBB38_880:                             ;   in Loop: Header=BB38_3 Depth=1
	s_or_b32 exec_lo, exec_lo, s46
	s_and_saveexec_b32 s46, s18
	s_cbranch_execnz .LBB38_1113
.LBB38_881:                             ;   in Loop: Header=BB38_3 Depth=1
	s_or_b32 exec_lo, exec_lo, s46
	s_and_saveexec_b32 s46, s2
	s_cbranch_execnz .LBB38_1114
.LBB38_882:                             ;   in Loop: Header=BB38_3 Depth=1
	s_or_b32 exec_lo, exec_lo, s46
	s_and_saveexec_b32 s46, s13
	s_cbranch_execz .LBB38_884
.LBB38_883:                             ;   in Loop: Header=BB38_3 Depth=1
	ds_load_b64 v[46:47], v55 offset:7680
	ds_load_b64 v[48:49], v7 offset:7800
	s_wait_dscnt 0x0
	v_fmac_f64_e32 v[2:3], v[46:47], v[48:49]
.LBB38_884:                             ;   in Loop: Header=BB38_3 Depth=1
	s_or_b32 exec_lo, exec_lo, s46
.LBB38_885:                             ;   in Loop: Header=BB38_3 Depth=1
	s_delay_alu instid0(SALU_CYCLE_1)
	s_or_b32 exec_lo, exec_lo, s57
	s_and_saveexec_b32 s46, s100
; %bb.886:                              ;   in Loop: Header=BB38_3 Depth=1
	s_delay_alu instid0(VALU_DEP_1) | instskip(NEXT) | instid1(VALU_DEP_2)
	v_xor_b32_e32 v47, 0x80000000, v3
	v_mov_b32_e32 v46, v2
	ds_store_b64 v80, v[46:47]
; %bb.887:                              ;   in Loop: Header=BB38_3 Depth=1
	s_or_b32 exec_lo, exec_lo, s46
	s_wait_loadcnt_dscnt 0x0
	s_barrier_signal -1
	s_barrier_wait -1
	s_and_saveexec_b32 s46, s101
	s_cbranch_execz .LBB38_889
; %bb.888:                              ;   in Loop: Header=BB38_3 Depth=1
	ds_load_b64 v[46:47], v76 offset:3584
	ds_load_b64 v[48:49], v80
	s_wait_dscnt 0x0
	v_fma_f64 v[2:3], -v[46:47], v[48:49], v[2:3]
.LBB38_889:                             ;   in Loop: Header=BB38_3 Depth=1
	s_or_b32 exec_lo, exec_lo, s46
	s_barrier_signal -1
	s_barrier_wait -1
	s_and_saveexec_b32 s46, s102
; %bb.890:                              ;   in Loop: Header=BB38_3 Depth=1
	s_delay_alu instid0(VALU_DEP_1) | instskip(NEXT) | instid1(VALU_DEP_2)
	v_xor_b32_e32 v47, 0x80000000, v3
	v_mov_b32_e32 v46, v2
	ds_store_b64 v80, v[46:47]
; %bb.891:                              ;   in Loop: Header=BB38_3 Depth=1
	s_or_b32 exec_lo, exec_lo, s46
	s_wait_dscnt 0x0
	s_barrier_signal -1
	s_barrier_wait -1
	s_and_saveexec_b32 s46, s103
	s_cbranch_execz .LBB38_893
; %bb.892:                              ;   in Loop: Header=BB38_3 Depth=1
	ds_load_b64 v[46:47], v76 offset:3072
	ds_load_b64 v[48:49], v80
	s_wait_dscnt 0x0
	v_fma_f64 v[2:3], -v[46:47], v[48:49], v[2:3]
.LBB38_893:                             ;   in Loop: Header=BB38_3 Depth=1
	s_or_b32 exec_lo, exec_lo, s46
	s_barrier_signal -1
	s_barrier_wait -1
	s_and_saveexec_b32 s46, s104
; %bb.894:                              ;   in Loop: Header=BB38_3 Depth=1
	s_delay_alu instid0(VALU_DEP_1) | instskip(NEXT) | instid1(VALU_DEP_2)
	v_xor_b32_e32 v47, 0x80000000, v3
	v_mov_b32_e32 v46, v2
	ds_store_b64 v80, v[46:47]
; %bb.895:                              ;   in Loop: Header=BB38_3 Depth=1
	s_or_b32 exec_lo, exec_lo, s46
	s_wait_dscnt 0x0
	s_barrier_signal -1
	s_barrier_wait -1
	s_and_saveexec_b32 s46, vcc_hi
	s_cbranch_execz .LBB38_897
; %bb.896:                              ;   in Loop: Header=BB38_3 Depth=1
	ds_load_b64 v[46:47], v76 offset:2560
	ds_load_b64 v[48:49], v80
	s_wait_dscnt 0x0
	v_fma_f64 v[2:3], -v[46:47], v[48:49], v[2:3]
.LBB38_897:                             ;   in Loop: Header=BB38_3 Depth=1
	s_or_b32 exec_lo, exec_lo, s46
	s_barrier_signal -1
	s_barrier_wait -1
	s_and_saveexec_b32 s46, s31
; %bb.898:                              ;   in Loop: Header=BB38_3 Depth=1
	s_delay_alu instid0(VALU_DEP_1) | instskip(NEXT) | instid1(VALU_DEP_2)
	v_xor_b32_e32 v47, 0x80000000, v3
	v_mov_b32_e32 v46, v2
	ds_store_b64 v80, v[46:47]
; %bb.899:                              ;   in Loop: Header=BB38_3 Depth=1
	s_or_b32 exec_lo, exec_lo, s46
	s_wait_dscnt 0x0
	s_barrier_signal -1
	s_barrier_wait -1
	s_and_saveexec_b32 s46, s33
	s_cbranch_execz .LBB38_901
; %bb.900:                              ;   in Loop: Header=BB38_3 Depth=1
	ds_load_b64 v[46:47], v76 offset:2048
	ds_load_b64 v[48:49], v80
	s_wait_dscnt 0x0
	v_fma_f64 v[2:3], -v[46:47], v[48:49], v[2:3]
.LBB38_901:                             ;   in Loop: Header=BB38_3 Depth=1
	s_or_b32 exec_lo, exec_lo, s46
	s_barrier_signal -1
	s_barrier_wait -1
	s_and_saveexec_b32 s46, s34
; %bb.902:                              ;   in Loop: Header=BB38_3 Depth=1
	s_delay_alu instid0(VALU_DEP_1) | instskip(NEXT) | instid1(VALU_DEP_2)
	v_xor_b32_e32 v47, 0x80000000, v3
	v_mov_b32_e32 v46, v2
	ds_store_b64 v80, v[46:47]
; %bb.903:                              ;   in Loop: Header=BB38_3 Depth=1
	s_or_b32 exec_lo, exec_lo, s46
	s_wait_dscnt 0x0
	s_barrier_signal -1
	s_barrier_wait -1
	s_and_saveexec_b32 s46, s35
	;; [unrolled: 22-line block ×4, first 2 shown]
	s_cbranch_execz .LBB38_913
; %bb.912:                              ;   in Loop: Header=BB38_3 Depth=1
	ds_load_b64 v[46:47], v7 offset:512
	ds_load_b64 v[48:49], v80
	s_wait_dscnt 0x0
	v_fma_f64 v[2:3], -v[46:47], v[48:49], v[2:3]
.LBB38_913:                             ;   in Loop: Header=BB38_3 Depth=1
	s_or_b32 exec_lo, exec_lo, s46
	s_barrier_signal -1
	s_barrier_wait -1
	s_and_saveexec_b32 s46, s39
; %bb.914:                              ;   in Loop: Header=BB38_3 Depth=1
	s_delay_alu instid0(VALU_DEP_1) | instskip(NEXT) | instid1(VALU_DEP_2)
	v_xor_b32_e32 v47, 0x80000000, v3
	v_mov_b32_e32 v46, v2
	ds_store_b64 v80, v[46:47]
; %bb.915:                              ;   in Loop: Header=BB38_3 Depth=1
	s_or_b32 exec_lo, exec_lo, s46
	s_wait_dscnt 0x0
	s_barrier_signal -1
	s_barrier_wait -1
	s_barrier_signal -1
	s_barrier_wait -1
	s_and_saveexec_b32 s46, s3
; %bb.916:                              ;   in Loop: Header=BB38_3 Depth=1
	ds_store_b64 v81, v[2:3] offset:7680
; %bb.917:                              ;   in Loop: Header=BB38_3 Depth=1
	s_or_b32 exec_lo, exec_lo, s46
	s_wait_dscnt 0x0
	s_barrier_signal -1
	s_barrier_wait -1
	s_barrier_signal -1
	s_barrier_wait -1
	s_and_saveexec_b32 s46, s40
	s_cbranch_execz .LBB38_919
; %bb.918:                              ;   in Loop: Header=BB38_3 Depth=1
	ds_load_b64 v[2:3], v56 offset:4096
	s_wait_dscnt 0x0
	ds_store_b64 v58, v[2:3] offset:64
	ds_load_b64 v[2:3], v56 offset:4104
	s_wait_dscnt 0x0
	ds_store_b64 v58, v[2:3] offset:576
	;; [unrolled: 3-line block ×8, first 2 shown]
.LBB38_919:                             ;   in Loop: Header=BB38_3 Depth=1
	s_or_b32 exec_lo, exec_lo, s46
	s_wait_dscnt 0x0
	s_barrier_signal -1
	s_barrier_wait -1
	s_and_saveexec_b32 s46, s10
	s_cbranch_execz .LBB38_921
; %bb.920:                              ;   in Loop: Header=BB38_3 Depth=1
	ds_load_b64 v[2:3], v7 offset:3632
	v_mov_b32_e32 v0, v7
	ds_store_b64 v7, v[34:35] offset:3640
	s_wait_dscnt 0x1
	ds_store_b128 v7, v[0:3] offset:3120
.LBB38_921:                             ;   in Loop: Header=BB38_3 Depth=1
	s_or_b32 exec_lo, exec_lo, s46
	v_mov_b64_e32 v[2:3], 0
	s_wait_dscnt 0x0
	s_barrier_signal -1
	s_barrier_wait -1
	global_wb scope:SCOPE_DEV
	s_wait_storecnt 0x0
	global_inv scope:SCOPE_DEV
	s_and_saveexec_b32 s46, s0
	s_cbranch_execz .LBB38_925
; %bb.922:                              ;   in Loop: Header=BB38_3 Depth=1
	ds_load_b64 v[2:3], v72 offset:3104
	ds_load_b64 v[46:47], v57 offset:3632
	s_wait_dscnt 0x0
	v_fma_f64 v[2:3], v[2:3], v[46:47], 0
	s_and_saveexec_b32 s47, s11
	s_cbranch_execz .LBB38_924
; %bb.923:                              ;   in Loop: Header=BB38_3 Depth=1
	ds_load_b64 v[46:47], v58 offset:3616
	ds_load_b64 v[48:49], v7 offset:3640
	s_wait_dscnt 0x0
	v_fmac_f64_e32 v[2:3], v[46:47], v[48:49]
.LBB38_924:                             ;   in Loop: Header=BB38_3 Depth=1
	s_or_b32 exec_lo, exec_lo, s47
.LBB38_925:                             ;   in Loop: Header=BB38_3 Depth=1
	s_delay_alu instid0(SALU_CYCLE_1)
	s_or_b32 exec_lo, exec_lo, s46
	s_and_saveexec_b32 s46, s90
; %bb.926:                              ;   in Loop: Header=BB38_3 Depth=1
	s_delay_alu instid0(VALU_DEP_1) | instskip(NEXT) | instid1(VALU_DEP_2)
	v_xor_b32_e32 v47, 0x80000000, v3
	v_mov_b32_e32 v46, v2
	ds_store_b64 v73, v[46:47]
; %bb.927:                              ;   in Loop: Header=BB38_3 Depth=1
	s_or_b32 exec_lo, exec_lo, s46
	s_wait_loadcnt_dscnt 0x0
	s_barrier_signal -1
	s_barrier_wait -1
	s_and_saveexec_b32 s46, s91
	s_cbranch_execz .LBB38_929
; %bb.928:                              ;   in Loop: Header=BB38_3 Depth=1
	ds_load_b64 v[46:47], v7 offset:2592
	ds_load_b64 v[48:49], v73
	s_wait_dscnt 0x0
	v_fma_f64 v[2:3], -v[46:47], v[48:49], v[2:3]
.LBB38_929:                             ;   in Loop: Header=BB38_3 Depth=1
	s_or_b32 exec_lo, exec_lo, s46
	s_barrier_signal -1
	s_barrier_wait -1
	s_and_saveexec_b32 s46, s91
; %bb.930:                              ;   in Loop: Header=BB38_3 Depth=1
	s_delay_alu instid0(VALU_DEP_1) | instskip(NEXT) | instid1(VALU_DEP_2)
	v_xor_b32_e32 v47, 0x80000000, v3
	v_mov_b32_e32 v46, v2
	ds_store_b64 v73, v[46:47]
; %bb.931:                              ;   in Loop: Header=BB38_3 Depth=1
	s_or_b32 exec_lo, exec_lo, s46
	s_wait_dscnt 0x0
	s_barrier_signal -1
	s_barrier_wait -1
	s_barrier_signal -1
	s_barrier_wait -1
	s_and_saveexec_b32 s46, s0
; %bb.932:                              ;   in Loop: Header=BB38_3 Depth=1
	ds_store_b64 v75, v[2:3] offset:3616
; %bb.933:                              ;   in Loop: Header=BB38_3 Depth=1
	s_or_b32 exec_lo, exec_lo, s46
	s_wait_dscnt 0x0
	s_barrier_signal -1
	s_barrier_wait -1
	s_barrier_signal -1
	s_barrier_wait -1
	s_and_saveexec_b32 s46, s92
	s_cbranch_execz .LBB38_935
; %bb.934:                              ;   in Loop: Header=BB38_3 Depth=1
	ds_load_b64 v[2:3], v60 offset:3104
	s_wait_dscnt 0x0
	ds_store_b64 v58, v[2:3] offset:2096
	ds_load_b64 v[2:3], v60 offset:3112
	s_wait_dscnt 0x0
	ds_store_b64 v58, v[2:3] offset:2608
.LBB38_935:                             ;   in Loop: Header=BB38_3 Depth=1
	s_or_b32 exec_lo, exec_lo, s46
	s_wait_dscnt 0x0
	s_barrier_signal -1
	s_barrier_wait -1
	s_and_saveexec_b32 s46, s10
	s_cbranch_execz .LBB38_937
; %bb.936:                              ;   in Loop: Header=BB38_3 Depth=1
	ds_load_b64 v[2:3], v7 offset:2592
	v_mov_b32_e32 v0, v7
	ds_store_b64 v7, v[34:35] offset:2600
	s_wait_dscnt 0x1
	ds_store_b128 v7, v[0:3] offset:2080
.LBB38_937:                             ;   in Loop: Header=BB38_3 Depth=1
	s_or_b32 exec_lo, exec_lo, s46
	v_mov_b64_e32 v[2:3], 0
	s_wait_dscnt 0x0
	s_barrier_signal -1
	s_barrier_wait -1
	global_wb scope:SCOPE_DEV
	s_wait_storecnt 0x0
	global_inv scope:SCOPE_DEV
	s_and_saveexec_b32 s57, s2
	s_cbranch_execz .LBB38_943
; %bb.938:                              ;   in Loop: Header=BB38_3 Depth=1
	ds_load_b64 v[2:3], v74 offset:2048
	ds_load_b64 v[46:47], v59 offset:3616
	s_wait_dscnt 0x0
	v_fma_f64 v[2:3], v[2:3], v[46:47], 0
	s_and_saveexec_b32 s46, s12
	s_cbranch_execnz .LBB38_1115
; %bb.939:                              ;   in Loop: Header=BB38_3 Depth=1
	s_or_b32 exec_lo, exec_lo, s46
	s_and_saveexec_b32 s46, s13
	s_cbranch_execnz .LBB38_1116
.LBB38_940:                             ;   in Loop: Header=BB38_3 Depth=1
	s_or_b32 exec_lo, exec_lo, s46
	s_and_saveexec_b32 s46, s0
	s_cbranch_execz .LBB38_942
.LBB38_941:                             ;   in Loop: Header=BB38_3 Depth=1
	ds_load_b64 v[46:47], v62 offset:3584
	ds_load_b64 v[48:49], v7 offset:3640
	s_wait_dscnt 0x0
	v_fmac_f64_e32 v[2:3], v[46:47], v[48:49]
.LBB38_942:                             ;   in Loop: Header=BB38_3 Depth=1
	s_or_b32 exec_lo, exec_lo, s46
.LBB38_943:                             ;   in Loop: Header=BB38_3 Depth=1
	s_delay_alu instid0(SALU_CYCLE_1)
	s_or_b32 exec_lo, exec_lo, s57
	s_and_saveexec_b32 s46, s93
; %bb.944:                              ;   in Loop: Header=BB38_3 Depth=1
	s_delay_alu instid0(VALU_DEP_1) | instskip(NEXT) | instid1(VALU_DEP_2)
	v_xor_b32_e32 v47, 0x80000000, v3
	v_mov_b32_e32 v46, v2
	ds_store_b64 v77, v[46:47]
; %bb.945:                              ;   in Loop: Header=BB38_3 Depth=1
	s_or_b32 exec_lo, exec_lo, s46
	s_wait_loadcnt_dscnt 0x0
	s_barrier_signal -1
	s_barrier_wait -1
	s_and_saveexec_b32 s46, s94
	s_cbranch_execz .LBB38_947
; %bb.946:                              ;   in Loop: Header=BB38_3 Depth=1
	ds_load_b64 v[46:47], v74 offset:1536
	ds_load_b64 v[48:49], v77
	s_wait_dscnt 0x0
	v_fma_f64 v[2:3], -v[46:47], v[48:49], v[2:3]
.LBB38_947:                             ;   in Loop: Header=BB38_3 Depth=1
	s_or_b32 exec_lo, exec_lo, s46
	s_barrier_signal -1
	s_barrier_wait -1
	s_and_saveexec_b32 s46, s95
; %bb.948:                              ;   in Loop: Header=BB38_3 Depth=1
	s_delay_alu instid0(VALU_DEP_1) | instskip(NEXT) | instid1(VALU_DEP_2)
	v_xor_b32_e32 v47, 0x80000000, v3
	v_mov_b32_e32 v46, v2
	ds_store_b64 v77, v[46:47]
; %bb.949:                              ;   in Loop: Header=BB38_3 Depth=1
	s_or_b32 exec_lo, exec_lo, s46
	s_wait_dscnt 0x0
	s_barrier_signal -1
	s_barrier_wait -1
	s_and_saveexec_b32 s46, s96
	s_cbranch_execz .LBB38_951
; %bb.950:                              ;   in Loop: Header=BB38_3 Depth=1
	ds_load_b64 v[46:47], v74 offset:1024
	ds_load_b64 v[48:49], v77
	s_wait_dscnt 0x0
	v_fma_f64 v[2:3], -v[46:47], v[48:49], v[2:3]
.LBB38_951:                             ;   in Loop: Header=BB38_3 Depth=1
	s_or_b32 exec_lo, exec_lo, s46
	s_barrier_signal -1
	s_barrier_wait -1
	s_and_saveexec_b32 s46, s97
; %bb.952:                              ;   in Loop: Header=BB38_3 Depth=1
	s_delay_alu instid0(VALU_DEP_1) | instskip(NEXT) | instid1(VALU_DEP_2)
	v_xor_b32_e32 v47, 0x80000000, v3
	v_mov_b32_e32 v46, v2
	ds_store_b64 v77, v[46:47]
; %bb.953:                              ;   in Loop: Header=BB38_3 Depth=1
	s_or_b32 exec_lo, exec_lo, s46
	s_wait_dscnt 0x0
	;; [unrolled: 22-line block ×3, first 2 shown]
	s_barrier_signal -1
	s_barrier_wait -1
	s_barrier_signal -1
	s_barrier_wait -1
	s_and_saveexec_b32 s46, s2
; %bb.958:                              ;   in Loop: Header=BB38_3 Depth=1
	ds_store_b64 v79, v[2:3] offset:3584
; %bb.959:                              ;   in Loop: Header=BB38_3 Depth=1
	s_or_b32 exec_lo, exec_lo, s46
	s_wait_dscnt 0x0
	s_barrier_signal -1
	s_barrier_wait -1
	s_barrier_signal -1
	s_barrier_wait -1
	s_and_saveexec_b32 s46, s99
	s_cbranch_execz .LBB38_961
; %bb.960:                              ;   in Loop: Header=BB38_3 Depth=1
	ds_load_b64 v[2:3], v67 offset:2048
	s_wait_dscnt 0x0
	ds_store_b64 v68, v[2:3] offset:32
	ds_load_b64 v[2:3], v67 offset:2056
	s_wait_dscnt 0x0
	ds_store_b64 v68, v[2:3] offset:544
	;; [unrolled: 3-line block ×4, first 2 shown]
.LBB38_961:                             ;   in Loop: Header=BB38_3 Depth=1
	s_or_b32 exec_lo, exec_lo, s46
	s_wait_dscnt 0x0
	s_barrier_signal -1
	s_barrier_wait -1
	s_and_saveexec_b32 s46, s10
	s_cbranch_execz .LBB38_963
; %bb.962:                              ;   in Loop: Header=BB38_3 Depth=1
	ds_load_b64 v[2:3], v7 offset:1552
	v_mov_b32_e32 v0, v7
	ds_store_b64 v7, v[34:35] offset:1560
	s_wait_dscnt 0x1
	ds_store_b128 v7, v[0:3] offset:1040
.LBB38_963:                             ;   in Loop: Header=BB38_3 Depth=1
	s_or_b32 exec_lo, exec_lo, s46
	v_mov_b64_e32 v[2:3], 0
	s_wait_dscnt 0x0
	s_barrier_signal -1
	s_barrier_wait -1
	global_wb scope:SCOPE_DEV
	s_wait_storecnt 0x0
	global_inv scope:SCOPE_DEV
	s_and_saveexec_b32 s46, s0
	s_cbranch_execz .LBB38_967
; %bb.964:                              ;   in Loop: Header=BB38_3 Depth=1
	ds_load_b64 v[2:3], v72 offset:1024
	ds_load_b64 v[46:47], v57 offset:1552
	s_wait_dscnt 0x0
	v_fma_f64 v[2:3], v[2:3], v[46:47], 0
	s_and_saveexec_b32 s47, s11
	s_cbranch_execz .LBB38_966
; %bb.965:                              ;   in Loop: Header=BB38_3 Depth=1
	ds_load_b64 v[46:47], v68 offset:1536
	ds_load_b64 v[48:49], v7 offset:1560
	s_wait_dscnt 0x0
	v_fmac_f64_e32 v[2:3], v[46:47], v[48:49]
.LBB38_966:                             ;   in Loop: Header=BB38_3 Depth=1
	s_or_b32 exec_lo, exec_lo, s47
.LBB38_967:                             ;   in Loop: Header=BB38_3 Depth=1
	s_delay_alu instid0(SALU_CYCLE_1)
	s_or_b32 exec_lo, exec_lo, s46
	s_and_saveexec_b32 s46, s90
; %bb.968:                              ;   in Loop: Header=BB38_3 Depth=1
	s_delay_alu instid0(VALU_DEP_1) | instskip(NEXT) | instid1(VALU_DEP_2)
	v_xor_b32_e32 v47, 0x80000000, v3
	v_mov_b32_e32 v46, v2
	ds_store_b64 v73, v[46:47]
; %bb.969:                              ;   in Loop: Header=BB38_3 Depth=1
	s_or_b32 exec_lo, exec_lo, s46
	s_wait_loadcnt_dscnt 0x0
	s_barrier_signal -1
	s_barrier_wait -1
	s_and_saveexec_b32 s46, s91
	s_cbranch_execz .LBB38_971
; %bb.970:                              ;   in Loop: Header=BB38_3 Depth=1
	ds_load_b64 v[46:47], v7 offset:512
	ds_load_b64 v[48:49], v73
	s_wait_dscnt 0x0
	v_fma_f64 v[2:3], -v[46:47], v[48:49], v[2:3]
.LBB38_971:                             ;   in Loop: Header=BB38_3 Depth=1
	s_or_b32 exec_lo, exec_lo, s46
	s_barrier_signal -1
	s_barrier_wait -1
	s_and_saveexec_b32 s46, s91
; %bb.972:                              ;   in Loop: Header=BB38_3 Depth=1
	s_delay_alu instid0(VALU_DEP_1) | instskip(NEXT) | instid1(VALU_DEP_2)
	v_xor_b32_e32 v47, 0x80000000, v3
	v_mov_b32_e32 v46, v2
	ds_store_b64 v73, v[46:47]
; %bb.973:                              ;   in Loop: Header=BB38_3 Depth=1
	s_or_b32 exec_lo, exec_lo, s46
	s_wait_dscnt 0x0
	s_barrier_signal -1
	s_barrier_wait -1
	s_barrier_signal -1
	s_barrier_wait -1
	s_and_saveexec_b32 s46, s0
; %bb.974:                              ;   in Loop: Header=BB38_3 Depth=1
	ds_store_b64 v75, v[2:3] offset:1536
; %bb.975:                              ;   in Loop: Header=BB38_3 Depth=1
	s_or_b32 exec_lo, exec_lo, s46
	s_wait_dscnt 0x0
	s_barrier_signal -1
	s_barrier_wait -1
	s_barrier_signal -1
	s_barrier_wait -1
	s_and_saveexec_b32 s46, s92
	s_cbranch_execz .LBB38_977
; %bb.976:                              ;   in Loop: Header=BB38_3 Depth=1
	ds_load_b64 v[2:3], v69 offset:1024
	s_wait_dscnt 0x0
	ds_store_b64 v68, v[2:3] offset:16
	ds_load_b64 v[2:3], v69 offset:1032
	s_wait_dscnt 0x0
	ds_store_b64 v68, v[2:3] offset:528
.LBB38_977:                             ;   in Loop: Header=BB38_3 Depth=1
	s_or_b32 exec_lo, exec_lo, s46
	s_wait_dscnt 0x0
	s_barrier_signal -1
	s_barrier_wait -1
	s_and_saveexec_b32 s46, s10
	s_cbranch_execz .LBB38_979
; %bb.978:                              ;   in Loop: Header=BB38_3 Depth=1
	ds_load_b64 v[2:3], v7 offset:512
	v_mov_b32_e32 v0, v7
	ds_store_b64 v7, v[34:35] offset:520
	s_wait_dscnt 0x1
	ds_store_b128 v7, v[0:3]
.LBB38_979:                             ;   in Loop: Header=BB38_3 Depth=1
	s_or_b32 exec_lo, exec_lo, s46
.LBB38_980:                             ;   in Loop: Header=BB38_3 Depth=1
	v_mov_b64_e32 v[2:3], 0
	s_mul_u64 s[46:47], s[72:73], s[76:77]
	s_wait_dscnt 0x0
	s_lshl_b64 s[46:47], s[46:47], 3
	s_barrier_signal -1
	s_add_nc_u64 s[80:81], s[66:67], s[46:47]
	s_barrier_wait -1
	s_and_saveexec_b32 s46, s44
	s_cbranch_execz .LBB38_982
; %bb.981:                              ;   in Loop: Header=BB38_3 Depth=1
	v_lshl_add_u64 v[2:3], v[16:17], 3, s[80:81]
	global_load_b64 v[2:3], v[2:3], off
	s_wait_loadcnt 0x0
	v_mul_f64_e64 v[2:3], v[2:3], -s[64:65]
.LBB38_982:                             ;   in Loop: Header=BB38_3 Depth=1
	s_or_b32 exec_lo, exec_lo, s46
	s_delay_alu instid0(SALU_CYCLE_1)
	s_and_not1_b32 vcc_lo, exec_lo, s45
	s_cbranch_vccnz .LBB38_1008
; %bb.983:                              ;   in Loop: Header=BB38_3 Depth=1
	v_mov_b32_e32 v0, -1
	s_lshl_b64 s[46:47], s[76:77], 2
	s_mov_b32 s57, 0
	s_add_nc_u64 s[82:83], s[74:75], s[46:47]
	s_branch .LBB38_986
.LBB38_984:                             ;   in Loop: Header=BB38_986 Depth=2
	s_wait_xcnt 0x0
	ds_load_b64 v[46:47], v70 offset:384
	s_wait_loadcnt_dscnt 0x0
	v_fmac_f64_e32 v[2:3], v[48:49], v[46:47]
.LBB38_985:                             ;   in Loop: Header=BB38_986 Depth=2
	s_or_b32 exec_lo, exec_lo, s46
	s_add_co_i32 s57, s57, 1
	s_delay_alu instid0(SALU_CYCLE_1)
	s_cmp_eq_u32 s57, s86
	s_cbranch_scc1 .LBB38_1008
.LBB38_986:                             ;   Parent Loop BB38_3 Depth=1
                                        ; =>  This Loop Header: Depth=2
                                        ;       Child Loop BB38_988 Depth 3
	v_cmp_gt_i32_e32 vcc_lo, s57, v0
	s_and_b32 s47, s55, vcc_lo
	s_delay_alu instid0(SALU_CYCLE_1)
	s_and_saveexec_b32 s46, s47
	s_cbranch_execz .LBB38_989
; %bb.987:                              ;   in Loop: Header=BB38_986 Depth=2
	global_load_b32 v0, v7, s[82:83]
	s_wait_loadcnt 0x0
	v_cmp_le_i32_e32 vcc_lo, s57, v0
	s_cbranch_vccnz .LBB38_989
.LBB38_988:                             ;   Parent Loop BB38_3 Depth=1
                                        ;     Parent Loop BB38_986 Depth=2
                                        ; =>    This Inner Loop Header: Depth=3
	global_wb scope:SCOPE_DEV
	s_wait_storecnt 0x0
	global_inv scope:SCOPE_DEV
	global_load_b32 v0, v7, s[82:83]
	s_wait_loadcnt 0x0
	v_cmp_gt_i32_e32 vcc_lo, s57, v0
	s_cbranch_vccnz .LBB38_988
.LBB38_989:                             ;   in Loop: Header=BB38_986 Depth=2
	s_or_b32 exec_lo, exec_lo, s46
	s_lshl_b32 s61, s57, 6
	global_wb scope:SCOPE_DEV
	s_wait_storecnt 0x0
	global_inv scope:SCOPE_DEV
	s_wait_loadcnt 0x0
	s_barrier_signal -1
	s_barrier_wait -1
	s_and_saveexec_b32 s46, s56
	s_cbranch_execz .LBB38_993
; %bb.990:                              ;   in Loop: Header=BB38_986 Depth=2
	v_mov_b64_e32 v[46:47], 0
	v_or_b32_e32 v6, s61, v10
	s_mov_b32 s47, exec_lo
	s_delay_alu instid0(VALU_DEP_1)
	v_cmpx_gt_i32_e64 s85, v6
	s_cbranch_execz .LBB38_992
; %bb.991:                              ;   in Loop: Header=BB38_986 Depth=2
	v_mul_u64_e32 v[46:47], s[70:71], v[6:7]
	s_delay_alu instid0(VALU_DEP_1)
	v_lshl_add_u64 v[46:47], v[46:47], 3, s[80:81]
	global_load_b64 v[46:47], v[46:47], off
.LBB38_992:                             ;   in Loop: Header=BB38_986 Depth=2
	s_wait_xcnt 0x0
	s_or_b32 exec_lo, exec_lo, s47
	s_wait_loadcnt 0x0
	ds_store_b64 v71, v[46:47]
.LBB38_993:                             ;   in Loop: Header=BB38_986 Depth=2
	s_or_b32 exec_lo, exec_lo, s46
	v_add_nc_u32_e32 v6, s61, v4
	v_cmp_ne_u32_e32 vcc_lo, s57, v9
	s_wait_dscnt 0x0
	s_barrier_signal -1
	s_barrier_wait -1
	v_cmp_gt_i32_e64 s61, s85, v6
	v_lshl_add_u64 v[46:47], v[6:7], 3, v[44:45]
	v_cndmask_b32_e64 v29, 0, 1, vcc_lo
	s_and_b32 s47, s61, s5
	s_delay_alu instid0(SALU_CYCLE_1)
	s_and_saveexec_b32 s46, s47
	s_cbranch_execz .LBB38_997
; %bb.994:                              ;   in Loop: Header=BB38_986 Depth=2
	v_mov_b64_e32 v[48:49], v[36:37]
	s_and_not1_b32 vcc_lo, exec_lo, vcc_lo
	s_cbranch_vccnz .LBB38_996
; %bb.995:                              ;   in Loop: Header=BB38_986 Depth=2
	global_load_b64 v[48:49], v[46:47], off
.LBB38_996:                             ;   in Loop: Header=BB38_986 Depth=2
	ds_load_b64 v[98:99], v70
	s_wait_loadcnt_dscnt 0x0
	v_fmac_f64_e32 v[2:3], v[48:49], v[98:99]
.LBB38_997:                             ;   in Loop: Header=BB38_986 Depth=2
	s_or_b32 exec_lo, exec_lo, s46
	v_add_nc_u32_e32 v48, 16, v6
	s_delay_alu instid0(VALU_DEP_1) | instskip(SKIP_1) | instid1(SALU_CYCLE_1)
	v_cmp_gt_i32_e32 vcc_lo, s85, v48
	s_and_b32 s47, vcc_lo, s5
	s_and_saveexec_b32 s46, s47
	s_cbranch_execz .LBB38_1001
; %bb.998:                              ;   in Loop: Header=BB38_986 Depth=2
	v_cmp_ne_u32_e32 vcc_lo, 1, v29
	v_mov_b64_e32 v[48:49], v[38:39]
	s_cbranch_vccnz .LBB38_1000
; %bb.999:                              ;   in Loop: Header=BB38_986 Depth=2
	global_load_b64 v[48:49], v[46:47], off offset:128
.LBB38_1000:                            ;   in Loop: Header=BB38_986 Depth=2
	ds_load_b64 v[98:99], v70 offset:128
	s_wait_loadcnt_dscnt 0x0
	v_fmac_f64_e32 v[2:3], v[48:49], v[98:99]
.LBB38_1001:                            ;   in Loop: Header=BB38_986 Depth=2
	s_or_b32 exec_lo, exec_lo, s46
	v_add_nc_u32_e32 v48, 32, v6
	s_delay_alu instid0(VALU_DEP_1) | instskip(SKIP_1) | instid1(SALU_CYCLE_1)
	v_cmp_gt_i32_e32 vcc_lo, s85, v48
	s_and_b32 s47, vcc_lo, s5
	s_and_saveexec_b32 s46, s47
	s_cbranch_execz .LBB38_1005
; %bb.1002:                             ;   in Loop: Header=BB38_986 Depth=2
	v_cmp_ne_u32_e32 vcc_lo, 1, v29
	v_mov_b64_e32 v[48:49], v[40:41]
	s_cbranch_vccnz .LBB38_1004
; %bb.1003:                             ;   in Loop: Header=BB38_986 Depth=2
	global_load_b64 v[48:49], v[46:47], off offset:256
.LBB38_1004:                            ;   in Loop: Header=BB38_986 Depth=2
	ds_load_b64 v[98:99], v70 offset:256
	s_wait_loadcnt_dscnt 0x0
	v_fmac_f64_e32 v[2:3], v[48:49], v[98:99]
.LBB38_1005:                            ;   in Loop: Header=BB38_986 Depth=2
	s_or_b32 exec_lo, exec_lo, s46
	v_add_nc_u32_e32 v6, 48, v6
	s_delay_alu instid0(VALU_DEP_1) | instskip(SKIP_1) | instid1(SALU_CYCLE_1)
	v_cmp_gt_i32_e32 vcc_lo, s85, v6
	s_and_b32 s47, vcc_lo, s5
	s_and_saveexec_b32 s46, s47
	s_cbranch_execz .LBB38_985
; %bb.1006:                             ;   in Loop: Header=BB38_986 Depth=2
	v_cmp_ne_u32_e32 vcc_lo, 1, v29
	v_mov_b64_e32 v[48:49], v[42:43]
	s_cbranch_vccnz .LBB38_984
; %bb.1007:                             ;   in Loop: Header=BB38_986 Depth=2
	global_load_b64 v[48:49], v[46:47], off offset:384
	s_branch .LBB38_984
.LBB38_1008:                            ;   in Loop: Header=BB38_3 Depth=1
	ds_store_b64 v5, v[2:3]
	s_wait_dscnt 0x0
	s_barrier_signal -1
	s_barrier_wait -1
	s_and_saveexec_b32 s57, s1
	s_cbranch_execz .LBB38_1010
; %bb.1009:                             ;   in Loop: Header=BB38_3 Depth=1
	ds_load_2addr_stride64_b64 v[44:47], v90 offset0:1 offset1:2
	ds_load_2addr_stride64_b64 v[98:101], v90 offset0:3 offset1:4
	s_wait_dscnt 0x1
	v_add_f64_e32 v[2:3], v[2:3], v[44:45]
	s_delay_alu instid0(VALU_DEP_1) | instskip(SKIP_1) | instid1(VALU_DEP_1)
	v_add_f64_e32 v[2:3], v[2:3], v[46:47]
	s_wait_dscnt 0x0
	v_add_f64_e32 v[2:3], v[2:3], v[98:99]
	s_delay_alu instid0(VALU_DEP_1) | instskip(SKIP_4) | instid1(VALU_DEP_1)
	v_add_f64_e32 v[2:3], v[2:3], v[100:101]
	ds_load_2addr_stride64_b64 v[44:47], v90 offset0:5 offset1:6
	ds_load_2addr_stride64_b64 v[98:101], v90 offset0:7 offset1:8
	s_wait_dscnt 0x1
	v_add_f64_e32 v[2:3], v[2:3], v[44:45]
	v_add_f64_e32 v[2:3], v[2:3], v[46:47]
	s_wait_dscnt 0x0
	s_delay_alu instid0(VALU_DEP_1) | instskip(NEXT) | instid1(VALU_DEP_1)
	v_add_f64_e32 v[2:3], v[2:3], v[98:99]
	v_add_f64_e32 v[2:3], v[2:3], v[100:101]
	ds_load_2addr_stride64_b64 v[44:47], v90 offset0:9 offset1:10
	ds_load_2addr_stride64_b64 v[98:101], v90 offset0:11 offset1:12
	s_wait_dscnt 0x1
	v_add_f64_e32 v[2:3], v[2:3], v[44:45]
	s_delay_alu instid0(VALU_DEP_1) | instskip(SKIP_4) | instid1(VALU_DEP_1)
	v_add_f64_e32 v[2:3], v[2:3], v[46:47]
	ds_load_2addr_stride64_b64 v[44:47], v90 offset0:13 offset1:14
	ds_load_b64 v[48:49], v90 offset:7680
	s_wait_dscnt 0x2
	v_add_f64_e32 v[2:3], v[2:3], v[98:99]
	v_add_f64_e32 v[2:3], v[2:3], v[100:101]
	s_wait_dscnt 0x1
	s_delay_alu instid0(VALU_DEP_1) | instskip(NEXT) | instid1(VALU_DEP_1)
	v_add_f64_e32 v[2:3], v[2:3], v[44:45]
	v_add_f64_e32 v[2:3], v[2:3], v[46:47]
	s_wait_dscnt 0x0
	s_delay_alu instid0(VALU_DEP_1) | instskip(NEXT) | instid1(VALU_DEP_1)
	v_add_f64_e32 v[2:3], v[2:3], v[48:49]
	v_xor_b32_e32 v0, 0x80000000, v3
	s_delay_alu instid0(VALU_DEP_2) | instskip(NEXT) | instid1(VALU_DEP_2)
	v_cndmask_b32_e64 v2, v2, 0, s42
	v_cndmask_b32_e64 v3, v0, 0, s42
.LBB38_1010:                            ;   in Loop: Header=BB38_3 Depth=1
	s_or_b32 exec_lo, exec_lo, s57
	s_delay_alu instid0(SALU_CYCLE_1)
	s_and_not1_b32 vcc_lo, exec_lo, s89
	s_cbranch_vccnz .LBB38_1020
; %bb.1011:                             ;   in Loop: Header=BB38_3 Depth=1
	s_and_saveexec_b32 s46, s1
; %bb.1012:                             ;   in Loop: Header=BB38_3 Depth=1
	ds_store_b64 v93, v[2:3]
; %bb.1013:                             ;   in Loop: Header=BB38_3 Depth=1
	s_or_b32 exec_lo, exec_lo, s46
	v_mov_b64_e32 v[44:45], 0
	s_wait_dscnt 0x0
	s_barrier_signal -1
	s_barrier_wait -1
	s_and_saveexec_b32 s46, s6
	s_cbranch_execnz .LBB38_1059
; %bb.1014:                             ;   in Loop: Header=BB38_3 Depth=1
	s_or_b32 exec_lo, exec_lo, s46
	s_and_saveexec_b32 s46, s7
	s_cbranch_execnz .LBB38_1060
.LBB38_1015:                            ;   in Loop: Header=BB38_3 Depth=1
	s_or_b32 exec_lo, exec_lo, s46
	s_and_saveexec_b32 s46, s8
	s_cbranch_execnz .LBB38_1061
.LBB38_1016:                            ;   in Loop: Header=BB38_3 Depth=1
	s_or_b32 exec_lo, exec_lo, s46
	s_and_saveexec_b32 s46, s9
	s_cbranch_execz .LBB38_1018
.LBB38_1017:                            ;   in Loop: Header=BB38_3 Depth=1
	ds_load_b64 v[46:47], v92 offset:24576
	ds_load_b64 v[48:49], v70 offset:384
	s_wait_dscnt 0x0
	v_fmac_f64_e32 v[44:45], v[46:47], v[48:49]
.LBB38_1018:                            ;   in Loop: Header=BB38_3 Depth=1
	s_or_b32 exec_lo, exec_lo, s46
	s_mov_b32 s57, 0
	s_mov_b32 s61, 0
	ds_store_b64 v5, v[44:45]
	s_wait_dscnt 0x0
	s_barrier_signal -1
	s_barrier_wait -1
                                        ; implicit-def: $vgpr46_vgpr47
	s_and_saveexec_b32 s82, s1
	s_cbranch_execz .LBB38_1062
; %bb.1019:                             ;   in Loop: Header=BB38_3 Depth=1
	ds_load_2addr_stride64_b64 v[46:49], v90 offset0:1 offset1:2
	ds_load_2addr_stride64_b64 v[98:101], v90 offset0:3 offset1:4
	s_mov_b32 s61, exec_lo
	s_wait_dscnt 0x1
	v_add_f64_e32 v[44:45], v[44:45], v[46:47]
	s_delay_alu instid0(VALU_DEP_1) | instskip(SKIP_1) | instid1(VALU_DEP_1)
	v_add_f64_e32 v[44:45], v[48:49], v[44:45]
	s_wait_dscnt 0x0
	v_add_f64_e32 v[44:45], v[98:99], v[44:45]
	s_delay_alu instid0(VALU_DEP_1) | instskip(SKIP_4) | instid1(VALU_DEP_1)
	v_add_f64_e32 v[48:49], v[100:101], v[44:45]
	ds_load_2addr_stride64_b64 v[44:47], v90 offset0:5 offset1:6
	ds_load_2addr_stride64_b64 v[98:101], v90 offset0:7 offset1:8
	s_wait_dscnt 0x1
	v_add_f64_e32 v[44:45], v[44:45], v[48:49]
	v_add_f64_e32 v[44:45], v[46:47], v[44:45]
	s_wait_dscnt 0x0
	s_delay_alu instid0(VALU_DEP_1) | instskip(NEXT) | instid1(VALU_DEP_1)
	v_add_f64_e32 v[44:45], v[98:99], v[44:45]
	v_add_f64_e32 v[48:49], v[100:101], v[44:45]
	ds_load_2addr_stride64_b64 v[44:47], v90 offset0:9 offset1:10
	ds_load_2addr_stride64_b64 v[98:101], v90 offset0:11 offset1:12
	s_wait_dscnt 0x1
	v_add_f64_e32 v[44:45], v[44:45], v[48:49]
	s_delay_alu instid0(VALU_DEP_1) | instskip(SKIP_1) | instid1(VALU_DEP_1)
	v_add_f64_e32 v[44:45], v[46:47], v[44:45]
	s_wait_dscnt 0x0
	v_add_f64_e32 v[44:45], v[98:99], v[44:45]
	s_delay_alu instid0(VALU_DEP_1) | instskip(SKIP_4) | instid1(VALU_DEP_1)
	v_add_f64_e32 v[48:49], v[100:101], v[44:45]
	ds_load_2addr_stride64_b64 v[44:47], v90 offset0:13 offset1:14
	ds_load_b64 v[98:99], v90 offset:7680
	s_wait_dscnt 0x1
	v_add_f64_e32 v[44:45], v[44:45], v[48:49]
	v_add_f64_e32 v[44:45], v[46:47], v[44:45]
	s_wait_dscnt 0x0
	s_delay_alu instid0(VALU_DEP_1) | instskip(SKIP_1) | instid1(SALU_CYCLE_1)
	v_add_f64_e32 v[46:47], v[98:99], v[44:45]
	s_or_b32 exec_lo, exec_lo, s82
	s_and_b32 vcc_lo, exec_lo, s57
	s_cbranch_vccnz .LBB38_1021
	s_branch .LBB38_1063
.LBB38_1020:                            ;   in Loop: Header=BB38_3 Depth=1
	s_mov_b32 s61, 0
                                        ; implicit-def: $vgpr46_vgpr47
	s_cbranch_execz .LBB38_1063
.LBB38_1021:                            ;   in Loop: Header=BB38_3 Depth=1
	v_dual_mov_b32 v0, v8 :: v_dual_mov_b32 v6, v95
	s_mov_b32 s57, 0
	s_branch .LBB38_1023
.LBB38_1022:                            ;   in Loop: Header=BB38_1023 Depth=2
	s_or_b32 exec_lo, exec_lo, s46
	v_add_nc_u32_e32 v6, 0x800, v6
	v_add_nc_u32_e32 v0, -4, v0
	s_add_co_i32 s57, s57, 4
	s_delay_alu instid0(SALU_CYCLE_1)
	s_cmp_lg_u32 s57, 64
	s_barrier_signal -1
	s_barrier_wait -1
	s_cbranch_scc0 .LBB38_1039
.LBB38_1023:                            ;   Parent Loop BB38_3 Depth=1
                                        ; =>  This Inner Loop Header: Depth=2
	s_delay_alu instid0(VALU_DEP_1) | instskip(SKIP_1) | instid1(SALU_CYCLE_1)
	v_cmp_eq_u32_e32 vcc_lo, 0, v0
	s_and_b32 s47, s1, vcc_lo
	s_and_saveexec_b32 s46, s47
; %bb.1024:                             ;   in Loop: Header=BB38_1023 Depth=2
	ds_store_b64 v7, v[2:3] offset:41472
; %bb.1025:                             ;   in Loop: Header=BB38_1023 Depth=2
	s_or_b32 exec_lo, exec_lo, s46
	v_cmp_lt_u32_e32 vcc_lo, s57, v8
	s_wait_dscnt 0x0
	s_barrier_signal -1
	s_barrier_wait -1
	s_and_b32 s47, s1, vcc_lo
	s_delay_alu instid0(SALU_CYCLE_1)
	s_and_saveexec_b32 s46, s47
	s_cbranch_execz .LBB38_1027
; %bb.1026:                             ;   in Loop: Header=BB38_1023 Depth=2
	ds_load_b64 v[44:45], v6
	ds_load_b64 v[46:47], v7 offset:41472
	s_wait_dscnt 0x0
	v_fmac_f64_e32 v[2:3], v[44:45], v[46:47]
.LBB38_1027:                            ;   in Loop: Header=BB38_1023 Depth=2
	s_or_b32 exec_lo, exec_lo, s46
	s_or_b32 s46, s57, 1
	s_delay_alu instid0(SALU_CYCLE_1) | instskip(SKIP_3) | instid1(SALU_CYCLE_1)
	v_cmp_eq_u32_e32 vcc_lo, s46, v8
	s_barrier_signal -1
	s_barrier_wait -1
	s_and_b32 s82, s1, vcc_lo
	s_and_saveexec_b32 s47, s82
; %bb.1028:                             ;   in Loop: Header=BB38_1023 Depth=2
	ds_store_b64 v7, v[2:3] offset:41472
; %bb.1029:                             ;   in Loop: Header=BB38_1023 Depth=2
	s_or_b32 exec_lo, exec_lo, s47
	v_cmp_lt_u32_e32 vcc_lo, s46, v8
	s_wait_dscnt 0x0
	s_barrier_signal -1
	s_barrier_wait -1
	s_and_b32 s47, s1, vcc_lo
	s_delay_alu instid0(SALU_CYCLE_1)
	s_and_saveexec_b32 s46, s47
	s_cbranch_execz .LBB38_1031
; %bb.1030:                             ;   in Loop: Header=BB38_1023 Depth=2
	ds_load_b64 v[44:45], v6 offset:512
	ds_load_b64 v[46:47], v7 offset:41472
	s_wait_dscnt 0x0
	v_fmac_f64_e32 v[2:3], v[44:45], v[46:47]
.LBB38_1031:                            ;   in Loop: Header=BB38_1023 Depth=2
	s_or_b32 exec_lo, exec_lo, s46
	s_or_b32 s46, s57, 2
	s_delay_alu instid0(SALU_CYCLE_1) | instskip(SKIP_3) | instid1(SALU_CYCLE_1)
	v_cmp_eq_u32_e32 vcc_lo, s46, v8
	s_barrier_signal -1
	s_barrier_wait -1
	s_and_b32 s82, s1, vcc_lo
	s_and_saveexec_b32 s47, s82
; %bb.1032:                             ;   in Loop: Header=BB38_1023 Depth=2
	ds_store_b64 v7, v[2:3] offset:41472
; %bb.1033:                             ;   in Loop: Header=BB38_1023 Depth=2
	s_or_b32 exec_lo, exec_lo, s47
	v_cmp_lt_u32_e32 vcc_lo, s46, v8
	s_wait_dscnt 0x0
	s_barrier_signal -1
	s_barrier_wait -1
	s_and_b32 s47, s1, vcc_lo
	s_delay_alu instid0(SALU_CYCLE_1)
	s_and_saveexec_b32 s46, s47
	s_cbranch_execz .LBB38_1035
; %bb.1034:                             ;   in Loop: Header=BB38_1023 Depth=2
	ds_load_b64 v[44:45], v6 offset:1024
	ds_load_b64 v[46:47], v7 offset:41472
	s_wait_dscnt 0x0
	v_fmac_f64_e32 v[2:3], v[44:45], v[46:47]
.LBB38_1035:                            ;   in Loop: Header=BB38_1023 Depth=2
	s_or_b32 exec_lo, exec_lo, s46
	s_or_b32 s46, s57, 3
	s_delay_alu instid0(SALU_CYCLE_1) | instskip(SKIP_3) | instid1(SALU_CYCLE_1)
	v_cmp_eq_u32_e32 vcc_lo, s46, v8
	s_barrier_signal -1
	s_barrier_wait -1
	s_and_b32 s82, s1, vcc_lo
	s_and_saveexec_b32 s47, s82
; %bb.1036:                             ;   in Loop: Header=BB38_1023 Depth=2
	ds_store_b64 v7, v[2:3] offset:41472
; %bb.1037:                             ;   in Loop: Header=BB38_1023 Depth=2
	s_or_b32 exec_lo, exec_lo, s47
	v_cmp_lt_u32_e32 vcc_lo, s46, v8
	s_wait_dscnt 0x0
	s_barrier_signal -1
	s_barrier_wait -1
	s_and_b32 s47, s1, vcc_lo
	s_delay_alu instid0(SALU_CYCLE_1)
	s_and_saveexec_b32 s46, s47
	s_cbranch_execz .LBB38_1022
; %bb.1038:                             ;   in Loop: Header=BB38_1023 Depth=2
	ds_load_b64 v[44:45], v6 offset:1536
	ds_load_b64 v[46:47], v7 offset:41472
	s_wait_dscnt 0x0
	v_fmac_f64_e32 v[2:3], v[44:45], v[46:47]
	s_branch .LBB38_1022
.LBB38_1039:                            ;   in Loop: Header=BB38_3 Depth=1
	s_and_b32 vcc_lo, exec_lo, s88
	s_mov_b32 s46, -1
	s_cbranch_vccz .LBB38_1041
; %bb.1040:                             ;   in Loop: Header=BB38_3 Depth=1
	s_and_not1_b32 s47, s61, exec_lo
	s_and_b32 s57, s1, exec_lo
	s_mov_b32 s46, 0
	s_or_b32 s61, s47, s57
.LBB38_1041:                            ;   in Loop: Header=BB38_3 Depth=1
	s_and_not1_b32 vcc_lo, exec_lo, s46
	s_cbranch_vccnz .LBB38_1043
; %bb.1042:                             ;   in Loop: Header=BB38_3 Depth=1
	v_readlane_b32 s47, v103, 10
	s_and_not1_b32 s46, s61, exec_lo
	s_and_b32 s47, s47, exec_lo
	s_delay_alu instid0(SALU_CYCLE_1)
	s_or_b32 s61, s46, s47
.LBB38_1043:                            ;   in Loop: Header=BB38_3 Depth=1
	v_mov_b64_e32 v[44:45], v[30:31]
	s_and_saveexec_b32 s46, s61
	s_cbranch_execnz .LBB38_1064
	s_branch .LBB38_1065
.LBB38_1044:                            ;   in Loop: Header=BB38_3 Depth=1
	s_mov_b32 s47, exec_lo
	v_readlane_b32 s57, v102, 21
	s_and_b32 s57, s47, s57
	s_delay_alu instid0(SALU_CYCLE_1)
	s_mov_b32 exec_lo, s57
; %bb.1045:                             ;   in Loop: Header=BB38_3 Depth=1
	ds_store_b64 v86, v[32:33]
; %bb.1046:                             ;   in Loop: Header=BB38_3 Depth=1
	s_or_b32 exec_lo, exec_lo, s47
	s_and_not1_saveexec_b32 s46, s46
	s_cbranch_execz .LBB38_16
.LBB38_1047:                            ;   in Loop: Header=BB38_3 Depth=1
	v_lshl_add_u64 v[46:47], v[26:27], 3, v[2:3]
	global_load_b64 v[46:47], v[46:47], off
	s_wait_loadcnt 0x0
	v_xor_b32_e32 v47, 0x80000000, v47
	ds_store_b64 v86, v[46:47]
	s_or_b32 exec_lo, exec_lo, s46
	s_and_saveexec_b32 s46, s7
	s_delay_alu instid0(SALU_CYCLE_1)
	s_xor_b32 s46, exec_lo, s46
	s_cbranch_execz .LBB38_17
.LBB38_1048:                            ;   in Loop: Header=BB38_3 Depth=1
	s_mov_b32 s47, exec_lo
	v_readlane_b32 s57, v102, 22
	s_and_b32 s57, s47, s57
	s_delay_alu instid0(SALU_CYCLE_1)
	s_mov_b32 exec_lo, s57
; %bb.1049:                             ;   in Loop: Header=BB38_3 Depth=1
	ds_store_b64 v87, v[32:33]
; %bb.1050:                             ;   in Loop: Header=BB38_3 Depth=1
	s_or_b32 exec_lo, exec_lo, s47
	s_and_not1_saveexec_b32 s46, s46
	s_cbranch_execz .LBB38_18
.LBB38_1051:                            ;   in Loop: Header=BB38_3 Depth=1
	v_lshl_add_u64 v[46:47], v[18:19], 3, v[2:3]
	global_load_b64 v[46:47], v[46:47], off
	s_wait_loadcnt 0x0
	v_xor_b32_e32 v47, 0x80000000, v47
	ds_store_b64 v87, v[46:47]
	s_or_b32 exec_lo, exec_lo, s46
	s_and_saveexec_b32 s46, s8
	s_delay_alu instid0(SALU_CYCLE_1)
	s_xor_b32 s46, exec_lo, s46
	s_cbranch_execz .LBB38_19
.LBB38_1052:                            ;   in Loop: Header=BB38_3 Depth=1
	s_mov_b32 s47, exec_lo
	v_readlane_b32 s57, v102, 23
	s_and_b32 s57, s47, s57
	s_delay_alu instid0(SALU_CYCLE_1)
	s_mov_b32 exec_lo, s57
; %bb.1053:                             ;   in Loop: Header=BB38_3 Depth=1
	ds_store_b64 v88, v[32:33]
; %bb.1054:                             ;   in Loop: Header=BB38_3 Depth=1
	s_or_b32 exec_lo, exec_lo, s47
	s_and_not1_saveexec_b32 s46, s46
	s_cbranch_execz .LBB38_20
.LBB38_1055:                            ;   in Loop: Header=BB38_3 Depth=1
	v_lshl_add_u64 v[46:47], v[20:21], 3, v[2:3]
	global_load_b64 v[46:47], v[46:47], off
	s_wait_loadcnt 0x0
	v_xor_b32_e32 v47, 0x80000000, v47
	ds_store_b64 v88, v[46:47]
	s_or_b32 exec_lo, exec_lo, s46
	s_and_saveexec_b32 s46, s9
	s_delay_alu instid0(SALU_CYCLE_1)
	s_xor_b32 s46, exec_lo, s46
	s_cbranch_execz .LBB38_21
.LBB38_1056:                            ;   in Loop: Header=BB38_3 Depth=1
	s_mov_b32 s47, exec_lo
	v_readlane_b32 s57, v102, 24
	s_and_b32 s57, s47, s57
	s_delay_alu instid0(SALU_CYCLE_1)
	s_mov_b32 exec_lo, s57
; %bb.1057:                             ;   in Loop: Header=BB38_3 Depth=1
	ds_store_b64 v89, v[32:33]
; %bb.1058:                             ;   in Loop: Header=BB38_3 Depth=1
	s_or_b32 exec_lo, exec_lo, s47
	s_and_not1_saveexec_b32 s46, s46
	s_cbranch_execnz .LBB38_22
	s_branch .LBB38_23
.LBB38_1059:                            ;   in Loop: Header=BB38_3 Depth=1
	ds_load_b64 v[44:45], v92
	ds_load_b64 v[46:47], v70
	s_wait_dscnt 0x0
	v_fma_f64 v[44:45], v[44:45], v[46:47], 0
	s_or_b32 exec_lo, exec_lo, s46
	s_and_saveexec_b32 s46, s7
	s_cbranch_execz .LBB38_1015
.LBB38_1060:                            ;   in Loop: Header=BB38_3 Depth=1
	ds_load_b64 v[46:47], v92 offset:8192
	ds_load_b64 v[48:49], v70 offset:128
	s_wait_dscnt 0x0
	v_fmac_f64_e32 v[44:45], v[46:47], v[48:49]
	s_or_b32 exec_lo, exec_lo, s46
	s_and_saveexec_b32 s46, s8
	s_cbranch_execz .LBB38_1016
.LBB38_1061:                            ;   in Loop: Header=BB38_3 Depth=1
	ds_load_b64 v[46:47], v92 offset:16384
	ds_load_b64 v[48:49], v70 offset:256
	s_wait_dscnt 0x0
	v_fmac_f64_e32 v[44:45], v[46:47], v[48:49]
	s_or_b32 exec_lo, exec_lo, s46
	s_and_saveexec_b32 s46, s9
	s_cbranch_execnz .LBB38_1017
	s_branch .LBB38_1018
.LBB38_1062:                            ;   in Loop: Header=BB38_3 Depth=1
	s_or_b32 exec_lo, exec_lo, s82
	s_delay_alu instid0(SALU_CYCLE_1)
	s_and_b32 vcc_lo, exec_lo, s57
	s_cbranch_vccnz .LBB38_1021
.LBB38_1063:                            ;   in Loop: Header=BB38_3 Depth=1
	s_delay_alu instid0(VALU_DEP_1)
	v_mov_b64_e32 v[2:3], v[46:47]
	v_mov_b64_e32 v[44:45], v[24:25]
	s_and_saveexec_b32 s46, s61
	s_cbranch_execz .LBB38_1065
.LBB38_1064:                            ;   in Loop: Header=BB38_3 Depth=1
	s_delay_alu instid0(VALU_DEP_1)
	v_lshl_add_u64 v[44:45], v[44:45], 3, s[80:81]
	global_store_b64 v[44:45], v[2:3], off
.LBB38_1065:                            ;   in Loop: Header=BB38_3 Depth=1
	s_wait_xcnt 0x0
	s_or_b32 exec_lo, exec_lo, s46
	global_wb scope:SCOPE_DEV
	s_wait_storecnt 0x0
	global_inv scope:SCOPE_DEV
	s_wait_loadcnt 0x0
	s_barrier_signal -1
	s_barrier_wait -1
	s_and_saveexec_b32 s46, s55
	s_cbranch_execz .LBB38_2
; %bb.1066:                             ;   in Loop: Header=BB38_3 Depth=1
	s_lshl_b64 s[80:81], s[76:77], 2
	s_delay_alu instid0(SALU_CYCLE_1)
	s_add_nc_u64 s[80:81], s[74:75], s[80:81]
	global_load_b32 v0, v7, s[80:81]
	s_wait_loadcnt 0x0
	v_add_nc_u32_e32 v0, 1, v0
	global_store_b32 v7, v0, s[80:81]
	s_branch .LBB38_2
.LBB38_1067:                            ;   in Loop: Header=BB38_3 Depth=1
	ds_load_b64 v[46:47], v74 offset:31680
	ds_load_b64 v[48:49], v59 offset:32744
	s_wait_dscnt 0x0
	v_fmac_f64_e32 v[2:3], v[46:47], v[48:49]
	s_or_b32 exec_lo, exec_lo, s46
	s_and_saveexec_b32 s46, s13
	s_cbranch_execz .LBB38_72
.LBB38_1068:                            ;   in Loop: Header=BB38_3 Depth=1
	ds_load_b64 v[46:47], v74 offset:32192
	ds_load_b64 v[48:49], v59 offset:32752
	s_wait_dscnt 0x0
	v_fmac_f64_e32 v[2:3], v[46:47], v[48:49]
	s_or_b32 exec_lo, exec_lo, s46
	s_and_saveexec_b32 s46, s0
	s_cbranch_execnz .LBB38_73
	s_branch .LBB38_74
.LBB38_1069:                            ;   in Loop: Header=BB38_3 Depth=1
	ds_load_b64 v[46:47], v76 offset:29568
	ds_load_b64 v[48:49], v63 offset:32712
	s_wait_dscnt 0x0
	v_fmac_f64_e32 v[2:3], v[46:47], v[48:49]
	s_or_b32 exec_lo, exec_lo, s46
	s_and_saveexec_b32 s46, s15
	s_cbranch_execz .LBB38_114
.LBB38_1070:                            ;   in Loop: Header=BB38_3 Depth=1
	ds_load_b64 v[46:47], v76 offset:30080
	ds_load_b64 v[48:49], v63 offset:32720
	s_wait_dscnt 0x0
	v_fmac_f64_e32 v[2:3], v[46:47], v[48:49]
	s_or_b32 exec_lo, exec_lo, s46
	s_and_saveexec_b32 s46, s16
	s_cbranch_execz .LBB38_115
.LBB38_1071:                            ;   in Loop: Header=BB38_3 Depth=1
	ds_load_b64 v[46:47], v76 offset:30592
	ds_load_b64 v[48:49], v63 offset:32728
	s_wait_dscnt 0x0
	v_fmac_f64_e32 v[2:3], v[46:47], v[48:49]
	s_or_b32 exec_lo, exec_lo, s46
	s_and_saveexec_b32 s46, s17
	s_cbranch_execz .LBB38_116
.LBB38_1072:                            ;   in Loop: Header=BB38_3 Depth=1
	ds_load_b64 v[46:47], v76 offset:31104
	ds_load_b64 v[48:49], v63 offset:32736
	s_wait_dscnt 0x0
	v_fmac_f64_e32 v[2:3], v[46:47], v[48:49]
	s_or_b32 exec_lo, exec_lo, s46
	s_and_saveexec_b32 s46, s18
	s_cbranch_execz .LBB38_117
.LBB38_1073:                            ;   in Loop: Header=BB38_3 Depth=1
	ds_load_b64 v[46:47], v76 offset:31616
	ds_load_b64 v[48:49], v63 offset:32744
	s_wait_dscnt 0x0
	v_fmac_f64_e32 v[2:3], v[46:47], v[48:49]
	s_or_b32 exec_lo, exec_lo, s46
	s_and_saveexec_b32 s46, s2
	s_cbranch_execz .LBB38_118
.LBB38_1074:                            ;   in Loop: Header=BB38_3 Depth=1
	ds_load_b64 v[46:47], v76 offset:32128
	ds_load_b64 v[48:49], v63 offset:32752
	s_wait_dscnt 0x0
	v_fmac_f64_e32 v[2:3], v[46:47], v[48:49]
	s_or_b32 exec_lo, exec_lo, s46
	s_and_saveexec_b32 s46, s13
	s_cbranch_execnz .LBB38_119
	s_branch .LBB38_120
.LBB38_1075:                            ;   in Loop: Header=BB38_3 Depth=1
	ds_load_b64 v[46:47], v74 offset:27520
	ds_load_b64 v[48:49], v59 offset:28584
	s_wait_dscnt 0x0
	v_fmac_f64_e32 v[2:3], v[46:47], v[48:49]
	s_or_b32 exec_lo, exec_lo, s46
	s_and_saveexec_b32 s46, s13
	s_cbranch_execz .LBB38_176
.LBB38_1076:                            ;   in Loop: Header=BB38_3 Depth=1
	ds_load_b64 v[46:47], v74 offset:28032
	ds_load_b64 v[48:49], v59 offset:28592
	s_wait_dscnt 0x0
	v_fmac_f64_e32 v[2:3], v[46:47], v[48:49]
	s_or_b32 exec_lo, exec_lo, s46
	s_and_saveexec_b32 s46, s0
	s_cbranch_execnz .LBB38_177
	s_branch .LBB38_178
.LBB38_1077:                            ;   in Loop: Header=BB38_3 Depth=1
	ds_load_b64 v[46:47], v78 offset:30464
	ds_load_b64 v[48:49], v65 offset:32728
	s_wait_dscnt 0x0
	v_fmac_f64_e32 v[2:3], v[46:47], v[48:49]
	s_or_b32 exec_lo, exec_lo, s46
	s_and_saveexec_b32 s46, s3
	s_cbranch_execz .LBB38_238
.LBB38_1078:                            ;   in Loop: Header=BB38_3 Depth=1
	ds_load_b64 v[46:47], v78 offset:30976
	ds_load_b64 v[48:49], v65 offset:32736
	s_wait_dscnt 0x0
	v_fmac_f64_e32 v[2:3], v[46:47], v[48:49]
	s_or_b32 exec_lo, exec_lo, s46
	s_and_saveexec_b32 s46, s15
	s_cbranch_execz .LBB38_239
.LBB38_1079:                            ;   in Loop: Header=BB38_3 Depth=1
	ds_load_b64 v[46:47], v78 offset:31488
	ds_load_b64 v[48:49], v65 offset:32744
	s_wait_dscnt 0x0
	v_fmac_f64_e32 v[2:3], v[46:47], v[48:49]
	s_or_b32 exec_lo, exec_lo, s46
	s_and_saveexec_b32 s46, s17
	s_cbranch_execz .LBB38_240
.LBB38_1080:                            ;   in Loop: Header=BB38_3 Depth=1
	ds_load_b64 v[46:47], v78 offset:32000
	ds_load_b64 v[48:49], v65 offset:32752
	s_wait_dscnt 0x0
	v_fmac_f64_e32 v[2:3], v[46:47], v[48:49]
	s_or_b32 exec_lo, exec_lo, s46
	s_and_saveexec_b32 s46, s2
	s_cbranch_execnz .LBB38_241
	s_branch .LBB38_242
.LBB38_1081:                            ;   in Loop: Header=BB38_3 Depth=1
	ds_load_b64 v[46:47], v74 offset:23360
	ds_load_b64 v[48:49], v59 offset:24424
	s_wait_dscnt 0x0
	v_fmac_f64_e32 v[2:3], v[46:47], v[48:49]
	s_or_b32 exec_lo, exec_lo, s46
	s_and_saveexec_b32 s46, s13
	s_cbranch_execz .LBB38_330
.LBB38_1082:                            ;   in Loop: Header=BB38_3 Depth=1
	ds_load_b64 v[46:47], v74 offset:23872
	ds_load_b64 v[48:49], v59 offset:24432
	s_wait_dscnt 0x0
	v_fmac_f64_e32 v[2:3], v[46:47], v[48:49]
	s_or_b32 exec_lo, exec_lo, s46
	s_and_saveexec_b32 s46, s0
	s_cbranch_execnz .LBB38_331
	s_branch .LBB38_332
.LBB38_1083:                            ;   in Loop: Header=BB38_3 Depth=1
	ds_load_b64 v[46:47], v76 offset:21248
	ds_load_b64 v[48:49], v63 offset:24392
	s_wait_dscnt 0x0
	v_fmac_f64_e32 v[2:3], v[46:47], v[48:49]
	s_or_b32 exec_lo, exec_lo, s46
	s_and_saveexec_b32 s46, s15
	s_cbranch_execz .LBB38_372
.LBB38_1084:                            ;   in Loop: Header=BB38_3 Depth=1
	ds_load_b64 v[46:47], v76 offset:21760
	ds_load_b64 v[48:49], v63 offset:24400
	s_wait_dscnt 0x0
	v_fmac_f64_e32 v[2:3], v[46:47], v[48:49]
	s_or_b32 exec_lo, exec_lo, s46
	s_and_saveexec_b32 s46, s16
	s_cbranch_execz .LBB38_373
.LBB38_1085:                            ;   in Loop: Header=BB38_3 Depth=1
	ds_load_b64 v[46:47], v76 offset:22272
	ds_load_b64 v[48:49], v63 offset:24408
	s_wait_dscnt 0x0
	v_fmac_f64_e32 v[2:3], v[46:47], v[48:49]
	s_or_b32 exec_lo, exec_lo, s46
	s_and_saveexec_b32 s46, s17
	s_cbranch_execz .LBB38_374
.LBB38_1086:                            ;   in Loop: Header=BB38_3 Depth=1
	ds_load_b64 v[46:47], v76 offset:22784
	ds_load_b64 v[48:49], v63 offset:24416
	s_wait_dscnt 0x0
	v_fmac_f64_e32 v[2:3], v[46:47], v[48:49]
	s_or_b32 exec_lo, exec_lo, s46
	s_and_saveexec_b32 s46, s18
	s_cbranch_execz .LBB38_375
.LBB38_1087:                            ;   in Loop: Header=BB38_3 Depth=1
	ds_load_b64 v[46:47], v76 offset:23296
	ds_load_b64 v[48:49], v63 offset:24424
	s_wait_dscnt 0x0
	v_fmac_f64_e32 v[2:3], v[46:47], v[48:49]
	s_or_b32 exec_lo, exec_lo, s46
	s_and_saveexec_b32 s46, s2
	s_cbranch_execz .LBB38_376
.LBB38_1088:                            ;   in Loop: Header=BB38_3 Depth=1
	ds_load_b64 v[46:47], v76 offset:23808
	ds_load_b64 v[48:49], v63 offset:24432
	s_wait_dscnt 0x0
	v_fmac_f64_e32 v[2:3], v[46:47], v[48:49]
	s_or_b32 exec_lo, exec_lo, s46
	s_and_saveexec_b32 s46, s13
	s_cbranch_execnz .LBB38_377
	s_branch .LBB38_378
.LBB38_1089:                            ;   in Loop: Header=BB38_3 Depth=1
	ds_load_b64 v[46:47], v74 offset:19200
	ds_load_b64 v[48:49], v59 offset:20264
	s_wait_dscnt 0x0
	v_fmac_f64_e32 v[2:3], v[46:47], v[48:49]
	s_or_b32 exec_lo, exec_lo, s46
	s_and_saveexec_b32 s46, s13
	s_cbranch_execz .LBB38_434
.LBB38_1090:                            ;   in Loop: Header=BB38_3 Depth=1
	ds_load_b64 v[46:47], v74 offset:19712
	ds_load_b64 v[48:49], v59 offset:20272
	s_wait_dscnt 0x0
	v_fmac_f64_e32 v[2:3], v[46:47], v[48:49]
	s_or_b32 exec_lo, exec_lo, s46
	s_and_saveexec_b32 s46, s0
	s_cbranch_execnz .LBB38_435
	s_branch .LBB38_436
.LBB38_1091:                            ;   in Loop: Header=BB38_3 Depth=1
	ds_load_b64 v[46:47], v64 offset:31232
	ds_load_b64 v[48:49], v66 offset:32744
	s_wait_dscnt 0x0
	v_fmac_f64_e32 v[2:3], v[46:47], v[48:49]
	s_or_b32 exec_lo, exec_lo, s46
	s_and_saveexec_b32 s46, s3
	s_cbranch_execz .LBB38_532
.LBB38_1092:                            ;   in Loop: Header=BB38_3 Depth=1
	ds_load_b64 v[46:47], v64 offset:31744
	ds_load_b64 v[48:49], v66 offset:32752
	s_wait_dscnt 0x0
	v_fmac_f64_e32 v[2:3], v[46:47], v[48:49]
	s_or_b32 exec_lo, exec_lo, s46
	s_and_saveexec_b32 s46, s17
	s_delay_alu instid0(SALU_CYCLE_1)
	s_xor_b32 s46, exec_lo, s46
	s_cbranch_execnz .LBB38_533
	s_branch .LBB38_534
.LBB38_1093:                            ;   in Loop: Header=BB38_3 Depth=1
	ds_load_b64 v[46:47], v74 offset:15040
	ds_load_b64 v[48:49], v59 offset:16104
	s_wait_dscnt 0x0
	v_fmac_f64_e32 v[2:3], v[46:47], v[48:49]
	s_or_b32 exec_lo, exec_lo, s46
	s_and_saveexec_b32 s46, s13
	s_cbranch_execz .LBB38_578
.LBB38_1094:                            ;   in Loop: Header=BB38_3 Depth=1
	ds_load_b64 v[46:47], v74 offset:15552
	ds_load_b64 v[48:49], v59 offset:16112
	s_wait_dscnt 0x0
	v_fmac_f64_e32 v[2:3], v[46:47], v[48:49]
	s_or_b32 exec_lo, exec_lo, s46
	s_and_saveexec_b32 s46, s0
	s_cbranch_execnz .LBB38_579
	s_branch .LBB38_580
.LBB38_1095:                            ;   in Loop: Header=BB38_3 Depth=1
	ds_load_b64 v[46:47], v76 offset:12928
	ds_load_b64 v[48:49], v63 offset:16072
	s_wait_dscnt 0x0
	v_fmac_f64_e32 v[2:3], v[46:47], v[48:49]
	s_or_b32 exec_lo, exec_lo, s46
	s_and_saveexec_b32 s46, s15
	s_cbranch_execz .LBB38_620
.LBB38_1096:                            ;   in Loop: Header=BB38_3 Depth=1
	ds_load_b64 v[46:47], v76 offset:13440
	ds_load_b64 v[48:49], v63 offset:16080
	s_wait_dscnt 0x0
	v_fmac_f64_e32 v[2:3], v[46:47], v[48:49]
	s_or_b32 exec_lo, exec_lo, s46
	s_and_saveexec_b32 s46, s16
	s_cbranch_execz .LBB38_621
.LBB38_1097:                            ;   in Loop: Header=BB38_3 Depth=1
	ds_load_b64 v[46:47], v76 offset:13952
	ds_load_b64 v[48:49], v63 offset:16088
	s_wait_dscnt 0x0
	v_fmac_f64_e32 v[2:3], v[46:47], v[48:49]
	s_or_b32 exec_lo, exec_lo, s46
	s_and_saveexec_b32 s46, s17
	s_cbranch_execz .LBB38_622
.LBB38_1098:                            ;   in Loop: Header=BB38_3 Depth=1
	ds_load_b64 v[46:47], v76 offset:14464
	ds_load_b64 v[48:49], v63 offset:16096
	s_wait_dscnt 0x0
	v_fmac_f64_e32 v[2:3], v[46:47], v[48:49]
	s_or_b32 exec_lo, exec_lo, s46
	s_and_saveexec_b32 s46, s18
	s_cbranch_execz .LBB38_623
.LBB38_1099:                            ;   in Loop: Header=BB38_3 Depth=1
	ds_load_b64 v[46:47], v76 offset:14976
	ds_load_b64 v[48:49], v63 offset:16104
	s_wait_dscnt 0x0
	v_fmac_f64_e32 v[2:3], v[46:47], v[48:49]
	s_or_b32 exec_lo, exec_lo, s46
	s_and_saveexec_b32 s46, s2
	s_cbranch_execz .LBB38_624
.LBB38_1100:                            ;   in Loop: Header=BB38_3 Depth=1
	ds_load_b64 v[46:47], v76 offset:15488
	ds_load_b64 v[48:49], v63 offset:16112
	s_wait_dscnt 0x0
	v_fmac_f64_e32 v[2:3], v[46:47], v[48:49]
	s_or_b32 exec_lo, exec_lo, s46
	s_and_saveexec_b32 s46, s13
	s_cbranch_execnz .LBB38_625
	s_branch .LBB38_626
.LBB38_1101:                            ;   in Loop: Header=BB38_3 Depth=1
	ds_load_b64 v[46:47], v74 offset:10880
	ds_load_b64 v[48:49], v59 offset:11944
	s_wait_dscnt 0x0
	v_fmac_f64_e32 v[2:3], v[46:47], v[48:49]
	s_or_b32 exec_lo, exec_lo, s46
	s_and_saveexec_b32 s46, s13
	s_cbranch_execz .LBB38_682
.LBB38_1102:                            ;   in Loop: Header=BB38_3 Depth=1
	ds_load_b64 v[46:47], v74 offset:11392
	ds_load_b64 v[48:49], v59 offset:11952
	s_wait_dscnt 0x0
	v_fmac_f64_e32 v[2:3], v[46:47], v[48:49]
	s_or_b32 exec_lo, exec_lo, s46
	s_and_saveexec_b32 s46, s0
	s_cbranch_execnz .LBB38_683
	s_branch .LBB38_684
.LBB38_1103:                            ;   in Loop: Header=BB38_3 Depth=1
	ds_load_b64 v[46:47], v78 offset:13824
	ds_load_b64 v[48:49], v65 offset:16088
	s_wait_dscnt 0x0
	v_fmac_f64_e32 v[2:3], v[46:47], v[48:49]
	s_or_b32 exec_lo, exec_lo, s46
	s_and_saveexec_b32 s46, s3
	s_cbranch_execz .LBB38_744
.LBB38_1104:                            ;   in Loop: Header=BB38_3 Depth=1
	ds_load_b64 v[46:47], v78 offset:14336
	ds_load_b64 v[48:49], v65 offset:16096
	s_wait_dscnt 0x0
	v_fmac_f64_e32 v[2:3], v[46:47], v[48:49]
	s_or_b32 exec_lo, exec_lo, s46
	s_and_saveexec_b32 s46, s15
	s_cbranch_execz .LBB38_745
.LBB38_1105:                            ;   in Loop: Header=BB38_3 Depth=1
	ds_load_b64 v[46:47], v78 offset:14848
	ds_load_b64 v[48:49], v65 offset:16104
	s_wait_dscnt 0x0
	v_fmac_f64_e32 v[2:3], v[46:47], v[48:49]
	s_or_b32 exec_lo, exec_lo, s46
	s_and_saveexec_b32 s46, s17
	s_cbranch_execz .LBB38_746
.LBB38_1106:                            ;   in Loop: Header=BB38_3 Depth=1
	ds_load_b64 v[46:47], v78 offset:15360
	ds_load_b64 v[48:49], v65 offset:16112
	s_wait_dscnt 0x0
	v_fmac_f64_e32 v[2:3], v[46:47], v[48:49]
	s_or_b32 exec_lo, exec_lo, s46
	s_and_saveexec_b32 s46, s2
	s_cbranch_execnz .LBB38_747
	s_branch .LBB38_748
.LBB38_1107:                            ;   in Loop: Header=BB38_3 Depth=1
	ds_load_b64 v[46:47], v74 offset:6720
	ds_load_b64 v[48:49], v59 offset:7784
	s_wait_dscnt 0x0
	v_fmac_f64_e32 v[2:3], v[46:47], v[48:49]
	s_or_b32 exec_lo, exec_lo, s46
	s_and_saveexec_b32 s46, s13
	s_cbranch_execz .LBB38_836
.LBB38_1108:                            ;   in Loop: Header=BB38_3 Depth=1
	ds_load_b64 v[46:47], v74 offset:7232
	ds_load_b64 v[48:49], v59 offset:7792
	s_wait_dscnt 0x0
	v_fmac_f64_e32 v[2:3], v[46:47], v[48:49]
	s_or_b32 exec_lo, exec_lo, s46
	s_and_saveexec_b32 s46, s0
	s_cbranch_execnz .LBB38_837
	s_branch .LBB38_838
.LBB38_1109:                            ;   in Loop: Header=BB38_3 Depth=1
	ds_load_b64 v[46:47], v76 offset:4608
	ds_load_b64 v[48:49], v63 offset:7752
	s_wait_dscnt 0x0
	v_fmac_f64_e32 v[2:3], v[46:47], v[48:49]
	s_or_b32 exec_lo, exec_lo, s46
	s_and_saveexec_b32 s46, s15
	s_cbranch_execz .LBB38_878
.LBB38_1110:                            ;   in Loop: Header=BB38_3 Depth=1
	ds_load_b64 v[46:47], v76 offset:5120
	ds_load_b64 v[48:49], v63 offset:7760
	s_wait_dscnt 0x0
	v_fmac_f64_e32 v[2:3], v[46:47], v[48:49]
	s_or_b32 exec_lo, exec_lo, s46
	s_and_saveexec_b32 s46, s16
	s_cbranch_execz .LBB38_879
.LBB38_1111:                            ;   in Loop: Header=BB38_3 Depth=1
	ds_load_b64 v[46:47], v76 offset:5632
	ds_load_b64 v[48:49], v63 offset:7768
	s_wait_dscnt 0x0
	v_fmac_f64_e32 v[2:3], v[46:47], v[48:49]
	s_or_b32 exec_lo, exec_lo, s46
	s_and_saveexec_b32 s46, s17
	s_cbranch_execz .LBB38_880
.LBB38_1112:                            ;   in Loop: Header=BB38_3 Depth=1
	ds_load_b64 v[46:47], v76 offset:6144
	ds_load_b64 v[48:49], v63 offset:7776
	s_wait_dscnt 0x0
	v_fmac_f64_e32 v[2:3], v[46:47], v[48:49]
	s_or_b32 exec_lo, exec_lo, s46
	s_and_saveexec_b32 s46, s18
	s_cbranch_execz .LBB38_881
.LBB38_1113:                            ;   in Loop: Header=BB38_3 Depth=1
	ds_load_b64 v[46:47], v76 offset:6656
	ds_load_b64 v[48:49], v63 offset:7784
	s_wait_dscnt 0x0
	v_fmac_f64_e32 v[2:3], v[46:47], v[48:49]
	s_or_b32 exec_lo, exec_lo, s46
	s_and_saveexec_b32 s46, s2
	s_cbranch_execz .LBB38_882
.LBB38_1114:                            ;   in Loop: Header=BB38_3 Depth=1
	ds_load_b64 v[46:47], v76 offset:7168
	ds_load_b64 v[48:49], v63 offset:7792
	s_wait_dscnt 0x0
	v_fmac_f64_e32 v[2:3], v[46:47], v[48:49]
	s_or_b32 exec_lo, exec_lo, s46
	s_and_saveexec_b32 s46, s13
	s_cbranch_execnz .LBB38_883
	s_branch .LBB38_884
.LBB38_1115:                            ;   in Loop: Header=BB38_3 Depth=1
	ds_load_b64 v[46:47], v74 offset:2560
	ds_load_b64 v[48:49], v59 offset:3624
	s_wait_dscnt 0x0
	v_fmac_f64_e32 v[2:3], v[46:47], v[48:49]
	s_or_b32 exec_lo, exec_lo, s46
	s_and_saveexec_b32 s46, s13
	s_cbranch_execz .LBB38_940
.LBB38_1116:                            ;   in Loop: Header=BB38_3 Depth=1
	ds_load_b64 v[46:47], v74 offset:3072
	ds_load_b64 v[48:49], v59 offset:3632
	s_wait_dscnt 0x0
	v_fmac_f64_e32 v[2:3], v[46:47], v[48:49]
	s_or_b32 exec_lo, exec_lo, s46
	s_and_saveexec_b32 s46, s0
	s_cbranch_execnz .LBB38_941
	s_branch .LBB38_942
.LBB38_1117:
	s_endpgm
	.section	.rodata,"a",@progbits
	.p2align	6, 0x0
	.amdhsa_kernel _ZL19rocblas_trsv_deviceILi64ELi16ELb0ELb1ELb0ELb1EddPKdPdEviT7_lllT6_T8_lllPii
		.amdhsa_group_segment_fixed_size 41480
		.amdhsa_private_segment_fixed_size 0
		.amdhsa_kernarg_size 352
		.amdhsa_user_sgpr_count 2
		.amdhsa_user_sgpr_dispatch_ptr 0
		.amdhsa_user_sgpr_queue_ptr 0
		.amdhsa_user_sgpr_kernarg_segment_ptr 1
		.amdhsa_user_sgpr_dispatch_id 0
		.amdhsa_user_sgpr_kernarg_preload_length 0
		.amdhsa_user_sgpr_kernarg_preload_offset 0
		.amdhsa_user_sgpr_private_segment_size 0
		.amdhsa_wavefront_size32 1
		.amdhsa_uses_dynamic_stack 0
		.amdhsa_enable_private_segment 0
		.amdhsa_system_sgpr_workgroup_id_x 1
		.amdhsa_system_sgpr_workgroup_id_y 0
		.amdhsa_system_sgpr_workgroup_id_z 1
		.amdhsa_system_sgpr_workgroup_info 0
		.amdhsa_system_vgpr_workitem_id 1
		.amdhsa_next_free_vgpr 104
		.amdhsa_next_free_sgpr 105
		.amdhsa_named_barrier_count 0
		.amdhsa_reserve_vcc 1
		.amdhsa_float_round_mode_32 0
		.amdhsa_float_round_mode_16_64 0
		.amdhsa_float_denorm_mode_32 3
		.amdhsa_float_denorm_mode_16_64 3
		.amdhsa_fp16_overflow 0
		.amdhsa_memory_ordered 1
		.amdhsa_forward_progress 1
		.amdhsa_inst_pref_size 255
		.amdhsa_round_robin_scheduling 0
		.amdhsa_exception_fp_ieee_invalid_op 0
		.amdhsa_exception_fp_denorm_src 0
		.amdhsa_exception_fp_ieee_div_zero 0
		.amdhsa_exception_fp_ieee_overflow 0
		.amdhsa_exception_fp_ieee_underflow 0
		.amdhsa_exception_fp_ieee_inexact 0
		.amdhsa_exception_int_div_zero 0
	.end_amdhsa_kernel
	.section	.text._ZL19rocblas_trsv_deviceILi64ELi16ELb0ELb1ELb0ELb1EddPKdPdEviT7_lllT6_T8_lllPii,"axG",@progbits,_ZL19rocblas_trsv_deviceILi64ELi16ELb0ELb1ELb0ELb1EddPKdPdEviT7_lllT6_T8_lllPii,comdat
.Lfunc_end38:
	.size	_ZL19rocblas_trsv_deviceILi64ELi16ELb0ELb1ELb0ELb1EddPKdPdEviT7_lllT6_T8_lllPii, .Lfunc_end38-_ZL19rocblas_trsv_deviceILi64ELi16ELb0ELb1ELb0ELb1EddPKdPdEviT7_lllT6_T8_lllPii
                                        ; -- End function
	.set _ZL19rocblas_trsv_deviceILi64ELi16ELb0ELb1ELb0ELb1EddPKdPdEviT7_lllT6_T8_lllPii.num_vgpr, 104
	.set _ZL19rocblas_trsv_deviceILi64ELi16ELb0ELb1ELb0ELb1EddPKdPdEviT7_lllT6_T8_lllPii.num_agpr, 0
	.set _ZL19rocblas_trsv_deviceILi64ELi16ELb0ELb1ELb0ELb1EddPKdPdEviT7_lllT6_T8_lllPii.numbered_sgpr, 105
	.set _ZL19rocblas_trsv_deviceILi64ELi16ELb0ELb1ELb0ELb1EddPKdPdEviT7_lllT6_T8_lllPii.num_named_barrier, 0
	.set _ZL19rocblas_trsv_deviceILi64ELi16ELb0ELb1ELb0ELb1EddPKdPdEviT7_lllT6_T8_lllPii.private_seg_size, 0
	.set _ZL19rocblas_trsv_deviceILi64ELi16ELb0ELb1ELb0ELb1EddPKdPdEviT7_lllT6_T8_lllPii.uses_vcc, 1
	.set _ZL19rocblas_trsv_deviceILi64ELi16ELb0ELb1ELb0ELb1EddPKdPdEviT7_lllT6_T8_lllPii.uses_flat_scratch, 0
	.set _ZL19rocblas_trsv_deviceILi64ELi16ELb0ELb1ELb0ELb1EddPKdPdEviT7_lllT6_T8_lllPii.has_dyn_sized_stack, 0
	.set _ZL19rocblas_trsv_deviceILi64ELi16ELb0ELb1ELb0ELb1EddPKdPdEviT7_lllT6_T8_lllPii.has_recursion, 0
	.set _ZL19rocblas_trsv_deviceILi64ELi16ELb0ELb1ELb0ELb1EddPKdPdEviT7_lllT6_T8_lllPii.has_indirect_call, 0
	.section	.AMDGPU.csdata,"",@progbits
; Kernel info:
; codeLenInByte = 33440
; TotalNumSgprs: 107
; NumVgprs: 104
; ScratchSize: 0
; MemoryBound: 0
; FloatMode: 240
; IeeeMode: 1
; LDSByteSize: 41480 bytes/workgroup (compile time only)
; SGPRBlocks: 0
; VGPRBlocks: 6
; NumSGPRsForWavesPerEU: 107
; NumVGPRsForWavesPerEU: 104
; NamedBarCnt: 0
; Occupancy: 9
; WaveLimiterHint : 0
; COMPUTE_PGM_RSRC2:SCRATCH_EN: 0
; COMPUTE_PGM_RSRC2:USER_SGPR: 2
; COMPUTE_PGM_RSRC2:TRAP_HANDLER: 0
; COMPUTE_PGM_RSRC2:TGID_X_EN: 1
; COMPUTE_PGM_RSRC2:TGID_Y_EN: 0
; COMPUTE_PGM_RSRC2:TGID_Z_EN: 1
; COMPUTE_PGM_RSRC2:TIDIG_COMP_CNT: 1
	.section	.text._ZL19rocblas_trsv_deviceILi64ELi16ELb0ELb1ELb1ELb1EddPKdPdEviT7_lllT6_T8_lllPii,"axG",@progbits,_ZL19rocblas_trsv_deviceILi64ELi16ELb0ELb1ELb1ELb1EddPKdPdEviT7_lllT6_T8_lllPii,comdat
	.globl	_ZL19rocblas_trsv_deviceILi64ELi16ELb0ELb1ELb1ELb1EddPKdPdEviT7_lllT6_T8_lllPii ; -- Begin function _ZL19rocblas_trsv_deviceILi64ELi16ELb0ELb1ELb1ELb1EddPKdPdEviT7_lllT6_T8_lllPii
	.p2align	8
	.type	_ZL19rocblas_trsv_deviceILi64ELi16ELb0ELb1ELb1ELb1EddPKdPdEviT7_lllT6_T8_lllPii,@function
_ZL19rocblas_trsv_deviceILi64ELi16ELb0ELb1ELb1ELb1EddPKdPdEviT7_lllT6_T8_lllPii: ; @_ZL19rocblas_trsv_deviceILi64ELi16ELb0ELb1ELb1ELb1EddPKdPdEviT7_lllT6_T8_lllPii
; %bb.0:
	s_load_b32 s6, s[0:1], 0x58
	s_bfe_u32 s2, ttmp6, 0x40014
	s_lshr_b32 s3, ttmp7, 16
	s_add_co_i32 s2, s2, 1
	s_bfe_u32 s5, ttmp6, 0x40008
	s_mul_i32 s4, s3, s2
	s_getreg_b32 s2, hwreg(HW_REG_IB_STS2, 6, 4)
	s_add_co_i32 s5, s5, s4
	s_cmp_eq_u32 s2, 0
	s_mov_b32 s77, 0
	s_cselect_b32 s76, s3, s5
                                        ; implicit-def: $vgpr103 : SGPR spill to VGPR lane
	s_wait_kmcnt 0x0
	s_cmp_ge_u32 s76, s6
	v_writelane_b32 v103, s6, 0
	s_cbranch_scc1 .LBB39_1117
; %bb.1:
	s_clause 0x2
	s_load_b512 s[56:71], s[0:1], 0x8
	s_load_b32 s3, s[0:1], 0x6c
	s_load_b32 s85, s[0:1], 0x0
	s_bfe_u32 s5, ttmp6, 0x4000c
	s_and_b32 s4, ttmp6, 15
	s_add_co_i32 s5, s5, 1
	s_load_b128 s[72:75], s[0:1], 0x48
	s_wait_xcnt 0x0
	s_mul_i32 s0, ttmp9, s5
	v_and_b32_e32 v8, 0x3ff, v0
	s_add_co_i32 s4, s4, s0
	v_bfe_u32 v4, v0, 10, 10
	v_dual_mov_b32 v7, 0 :: v_dual_lshrrev_b32 v49, 10, v0
	s_delay_alu instid0(VALU_DEP_3) | instskip(SKIP_1) | instid1(VALU_DEP_4)
	v_lshlrev_b32_e32 v1, 6, v8
                                        ; implicit-def: $vgpr102 : SGPR spill to VGPR lane
	v_lshlrev_b32_e32 v28, 3, v8
	v_lshl_add_u32 v29, v4, 6, v8
	s_delay_alu instid0(VALU_DEP_4)
	v_dual_mov_b32 v11, v7 :: v_dual_add_nc_u32 v2, 16, v4
	v_dual_add_nc_u32 v42, 32, v4 :: v_dual_add_nc_u32 v44, 48, v4
	s_wait_kmcnt 0x0
	s_lshl_b64 s[12:13], s[58:59], 3
	s_lshl_b64 s[14:15], s[68:69], 3
	s_cmp_eq_u32 s2, 0
	v_and_b32_e32 v13, 1, v0
	s_cselect_b32 s86, ttmp9, s4
	s_add_co_i32 s1, s85, -1
	s_ashr_i32 s2, s85, 31
	s_and_b32 s0, s3, 0xffff
	s_ashr_i32 s3, s1, 31
	s_lshr_b32 s2, s2, 26
	s_lshr_b32 s3, s3, 26
	s_add_co_i32 s2, s85, s2
	s_add_co_i32 s1, s1, s3
	s_and_not1_b32 s2, s2, 63
	s_ashr_i32 s1, s1, 6
	s_sub_co_i32 s18, s85, s2
	s_cmp_eq_u32 s1, s86
	v_mad_u32_u24 v10, v4, s0, v8
	s_cselect_b32 s1, -1, 0
	s_cmp_lg_u32 s18, 0
	v_sub_co_u32 v9, s2, s86, 1
	s_cselect_b32 s0, -1, 0
	s_lshl_b32 s16, s86, 6
	s_and_b32 s30, s0, s1
	v_dual_add_nc_u32 v3, v4, v1 :: v_dual_add_nc_u32 v34, s16, v4
	s_xor_b32 s0, s2, -1
	s_xor_b32 s88, s30, -1
	s_cmp_lt_i32 s86, 5
	v_writelane_b32 v103, s0, 1
	s_cselect_b32 vcc_lo, -1, 0
	s_add_nc_u64 s[0:1], s[60:61], 1
	s_ashr_i32 s17, s16, 31
	v_dual_add_nc_u32 v5, v2, v1 :: v_dual_add_nc_u32 v32, s16, v8
	v_lshl_add_u32 v6, v2, 6, v8
	v_cndmask_b32_e32 v38, v29, v3, vcc_lo
	s_mul_u64 s[10:11], s[0:1], s[16:17]
	v_cmp_gt_u32_e64 s0, 4, v29
	v_dual_add_nc_u32 v3, v42, v1 :: v_dual_bitop2_b32 v35, 3, v0 bitop3:0x40
	v_cmp_eq_u32_e64 s2, 1, v13
	v_cmp_eq_u32_e64 s3, 0, v13
	;; [unrolled: 1-line block ×3, first 2 shown]
	v_cmp_gt_u32_e64 s4, 2, v8
	v_and_b32_e32 v36, 7, v0
	s_and_b32 s90, s2, s0
	s_and_b32 s91, s3, s0
	v_cmp_gt_u32_e64 s2, 16, v29
	v_add_nc_u32_e32 v1, v44, v1
	v_cmp_eq_u32_e64 s3, 3, v35
	v_cmp_ne_u32_e64 s5, 3, v35
	v_cmp_eq_u32_e64 s6, 2, v35
	s_or_b32 vcc_lo, vcc_lo, s30
	s_and_b32 s92, s1, s4
	v_cndmask_b32_e32 v39, v6, v5, vcc_lo
	s_and_b32 s93, s3, s2
	s_and_b32 s94, s5, s2
	;; [unrolled: 1-line block ×3, first 2 shown]
	v_cmp_eq_u32_e64 s4, 1, v35
	v_cmp_eq_u32_e64 s5, 0, v35
	v_cmp_gt_u32_e64 s6, 4, v8
	v_cmp_gt_u32_e64 s3, 64, v29
	v_add_nc_u32_e32 v6, s16, v10
	v_cmp_ne_u32_e64 s8, 7, v36
	s_and_b32 s97, s4, s2
	s_and_b32 s98, s5, s2
	;; [unrolled: 1-line block ×3, first 2 shown]
	v_cmp_eq_u32_e64 s4, 6, v36
	s_and_b32 s101, s8, s3
	v_cmp_gt_u32_e64 s5, 6, v36
	v_cmp_eq_u32_e64 s6, 5, v36
	v_cmp_eq_u32_e64 s8, 4, v36
	v_cmp_gt_u32_e64 s7, 2, v35
	s_and_b32 s102, s4, s3
	s_and_b32 s103, s5, s3
	;; [unrolled: 1-line block ×4, first 2 shown]
	v_cmp_gt_u32_e64 s4, 4, v36
	v_cmp_eq_u32_e64 s5, 3, v36
	v_cmp_gt_u32_e64 s6, 3, v36
	v_cmp_gt_u32_e64 s8, 2, v36
	v_lshl_add_u32 v5, v42, 6, v8
	v_and_b32_e32 v37, 15, v0
	s_and_b32 s96, s7, s2
	v_cmp_eq_u32_e64 s7, 7, v36
	s_and_b32 s33, s4, s3
	s_and_b32 s34, s5, s3
	;; [unrolled: 1-line block ×4, first 2 shown]
	v_cmp_eq_u32_e64 s5, 1, v36
	v_cmp_eq_u32_e64 s6, 0, v36
	v_cmp_gt_u32_e64 s4, 0x100, v29
	v_cndmask_b32_e32 v40, v5, v3, vcc_lo
	v_cmp_eq_u32_e64 s8, 15, v37
	s_and_b32 s100, s7, s3
	v_cmp_gt_u32_e64 s7, 5, v36
	s_and_b32 s38, s5, s3
	v_cmp_ne_u32_e64 s5, 15, v37
	s_and_b32 s39, s6, s3
	s_and_b32 s6, s8, s4
	s_and_b32 vcc_hi, s7, s3
	v_writelane_b32 v103, s6, 2
	v_cmp_eq_u32_e64 s7, 2, v36
	v_cmp_eq_u32_e64 s6, 14, v37
	s_and_b32 s5, s5, s4
	v_cmp_gt_u32_e64 s8, 13, v37
	v_writelane_b32 v103, s5, 3
	s_and_b32 s36, s7, s3
	v_cmp_gt_u32_e64 s7, 8, v8
	v_cmp_gt_u32_e64 s5, 14, v37
	s_and_b32 s6, s6, s4
	v_cmp_le_i32_e64 s9, s18, v8
	v_writelane_b32 v103, s6, 4
	s_and_b32 s40, s1, s7
	v_cmp_eq_u32_e64 s7, 13, v37
	s_and_b32 s5, s5, s4
	v_cmp_eq_u32_e64 s6, 12, v37
	v_writelane_b32 v103, s5, 5
	v_lshl_add_u32 v12, v44, 6, v8
	s_and_b32 s5, s7, s4
	v_cmp_gt_u32_e64 s7, 11, v37
	s_and_b32 s6, s6, s4
	v_writelane_b32 v103, s5, 6
	s_and_b32 s5, s8, s4
	v_cmp_eq_u32_e64 s8, 10, v37
	s_and_b32 s50, s7, s4
	v_cmp_eq_u32_e64 s7, 8, v37
	v_writelane_b32 v103, s5, 7
	v_cmp_gt_u32_e64 s5, 12, v37
	s_and_b32 s51, s8, s4
	v_cmp_gt_u32_e64 s8, 8, v37
	s_and_b32 s19, s7, s4
	v_writelane_b32 v103, s6, 8
	v_cmp_eq_u32_e64 s6, 11, v37
	s_and_b32 s48, s5, s4
	v_cmp_gt_u32_e64 s5, 10, v37
	s_and_b32 s21, s8, s4
	v_cmp_gt_u32_e64 s7, 6, v37
	s_and_b32 s49, s6, s4
	v_cmp_eq_u32_e64 s6, 9, v37
	s_and_b32 s52, s5, s4
	v_cmp_gt_u32_e64 s5, 9, v37
	v_cmp_eq_u32_e64 s8, 5, v37
	s_and_b32 s29, s7, s4
	s_and_b32 s53, s6, s4
	v_cmp_eq_u32_e64 s6, 7, v37
	s_and_b32 s54, s5, s4
	v_cmp_gt_u32_e64 s5, 7, v37
	s_and_b32 s58, s8, s4
	v_cmp_eq_u32_e64 s7, 3, v37
	s_and_b32 s23, s6, s4
	v_cmp_eq_u32_e64 s6, 6, v37
	s_and_b32 s25, s5, s4
	v_cmp_gt_u32_e64 s5, 5, v37
	v_cmp_gt_u32_e64 s8, 3, v37
	s_and_b32 s24, s7, s4
	s_and_b32 s27, s6, s4
	v_cmp_eq_u32_e64 s6, 4, v37
	s_and_b32 s59, s5, s4
	v_cmp_gt_u32_e64 s5, 4, v37
	s_and_b32 s26, s8, s4
	v_cmp_eq_u32_e64 s7, 0, v37
	s_and_b32 s20, s6, s4
	v_cmp_eq_u32_e64 s6, 2, v37
	s_and_b32 s22, s5, s4
	v_cmp_gt_u32_e64 s5, 2, v37
	v_cmp_gt_u32_e64 s8, 16, v8
	s_and_b32 s42, s9, s30
	s_and_b32 s28, s6, s4
	v_cmp_eq_u32_e64 s6, 1, v37
	s_and_b32 s87, s5, s4
	v_cmp_gt_u32_e64 s5, 32, v8
	s_xor_b32 s89, vcc_lo, -1
	v_cndmask_b32_e32 v41, v12, v1, vcc_lo
	s_and_b32 s84, s6, s4
	s_xor_b32 s6, s42, -1
	v_cmp_le_i32_e32 vcc_lo, s18, v42
	s_and_b32 s41, s7, s4
	s_and_b32 s43, s1, s8
	s_and_b32 s5, s1, s5
	s_and_b32 s44, s1, s6
	s_cmp_gt_i32 s86, 0
	v_add_nc_u64_e32 v[30:31], s[16:17], v[10:11]
	s_cselect_b32 s45, -1, 0
	s_or_b32 s16, vcc_lo, s9
	v_cmp_le_i32_e32 vcc_lo, s18, v44
	v_writelane_b32 v103, s5, 9
	v_cmp_le_i32_e64 s5, s18, v4
	v_subrev_nc_u32_e32 v12, 64, v34
	v_cmp_le_i32_e64 s6, s18, v2
	s_or_b32 s17, vcc_lo, s9
	v_cmp_gt_i32_e32 vcc_lo, s18, v8
	s_or_b32 s7, s5, s9
	v_subrev_nc_u32_e32 v86, 48, v34
	s_or_b32 s8, s6, s9
	v_dual_lshrrev_b32 v1, 1, v29 :: v_dual_ashrrev_i32 v33, 31, v32
	s_and_b32 s5, s1, vcc_lo
	v_cmp_gt_i32_e32 vcc_lo, s85, v12
	v_writelane_b32 v103, s5, 10
	v_cmp_gt_i32_e64 s5, s85, v32
	v_subrev_nc_u32_e32 v87, 32, v34
	v_lshrrev_b32_e32 v46, 2, v29
	v_lshlrev_b32_e32 v47, 9, v1
	v_mul_u64_e32 v[24:25], s[70:71], v[6:7]
	s_and_b32 s6, vcc_lo, s5
	v_cmp_gt_i32_e32 vcc_lo, s85, v86
	v_writelane_b32 v103, s6, 11
	v_lshl_add_u32 v73, v1, 3, 0x8000
	v_dual_mov_b32 v1, 0x3ff00000 :: v_dual_add_nc_u32 v6, -16, v34
	s_and_b32 s6, vcc_lo, s5
	v_cmp_gt_i32_e32 vcc_lo, s85, v87
	v_writelane_b32 v103, s6, 12
	s_add_nc_u64 s[68:69], s[56:57], s[12:13]
	v_cmp_gt_u32_e64 s30, 0xf0, v29
	v_cmp_gt_u32_e64 s46, 0x3e0, v29
	s_and_b32 s6, vcc_lo, s5
	v_cmp_gt_i32_e32 vcc_lo, s85, v6
	v_writelane_b32 v103, s6, 13
	v_dual_lshlrev_b32 v11, 3, v8 :: v_dual_lshlrev_b32 v48, 9, v46
	v_dual_sub_nc_u32 v57, 0, v47 :: v_dual_lshlrev_b32 v3, 6, v29
	s_and_b32 s6, vcc_lo, s5
	s_delay_alu instid0(VALU_DEP_2) | instskip(SKIP_3) | instid1(VALU_DEP_4)
	v_mad_u32_u24 v50, 0x1f8, v8, v11
	v_writelane_b32 v103, s6, 14
	v_cmp_ge_u32_e64 s6, v8, v4
	v_dual_lshrrev_b32 v82, 4, v29 :: v_dual_lshrrev_b32 v84, 5, v29
	v_mad_i32_i24 v51, 0xfffffe08, v8, v50
	v_and_b32_e32 v81, 0xfffffe00, v3
	s_or_b32 s7, s7, s6
	v_mov_b32_e32 v5, v7
	v_writelane_b32 v103, s7, 15
	v_cmp_ge_u32_e64 s7, v8, v2
	v_mad_u32_u24 v52, 0x1f8, v8, v51
	v_dual_lshlrev_b32 v85, 9, v84 :: v_dual_sub_nc_u32 v63, 0, v81
	v_dual_lshlrev_b32 v91, 3, v4 :: v_dual_mov_b32 v3, v7
	s_or_b32 s8, s8, s7
	s_delay_alu instid0(VALU_DEP_3)
	v_mad_i32_i24 v53, 0xfffffe08, v8, v52
	v_writelane_b32 v103, s8, 16
	v_cmp_ge_u32_e64 s8, v8, v42
	v_dual_mov_b32 v43, v7 :: v_dual_sub_nc_u32 v66, 0, v85
	v_mov_b32_e32 v45, v7
	v_mad_u32_u24 v54, 0x1f8, v8, v53
	s_or_b32 s9, s16, s8
	v_mul_u64_e32 v[14:15], s[60:61], v[32:33]
	v_writelane_b32 v103, s9, 17
	v_cmp_ge_u32_e64 s9, v8, v44
	v_mad_i32_i24 v55, 0xfffffe08, v8, v54
	v_mul_u64_e32 v[16:17], s[70:71], v[32:33]
	v_mul_u64_e32 v[18:19], s[60:61], v[2:3]
	;; [unrolled: 1-line block ×3, first 2 shown]
	s_or_b32 s12, s17, s9
	v_mad_u32_u24 v56, 0x1f8, v8, v55
	v_writelane_b32 v103, s12, 18
	v_mul_u64_e32 v[22:23], s[60:61], v[44:45]
	v_mul_u64_e32 v[26:27], s[60:61], v[4:5]
	;; [unrolled: 1-line block ×3, first 2 shown]
	v_mad_i32_i24 v58, 0xfffffe08, v8, v56
	v_writelane_b32 v103, s30, 19
	v_cmp_gt_u32_e64 s30, 0xe0, v29
	v_dual_lshlrev_b32 v83, 9, v82 :: v_dual_bitop2_b32 v61, 31, v0 bitop3:0x40
	s_delay_alu instid0(VALU_DEP_4) | instskip(SKIP_1) | instid1(VALU_DEP_4)
	v_mad_u32_u24 v60, 0x1f8, v8, v58
	v_bitop3_b32 v0, v0, v49, 0x3ff bitop3:0xa8
	v_writelane_b32 v103, s30, 20
	v_cmp_gt_u32_e64 s30, 0xd0, v29
	v_mul_i32_i24_e32 v43, 0xfffffe08, v8
	v_mad_i32_i24 v62, 0xfffffe08, v8, v60
	v_or_b32_e32 v97, v2, v8
	v_dual_lshlrev_b32 v72, 3, v13 :: v_dual_bitop2_b32 v3, v42, v8 bitop3:0x54
	v_writelane_b32 v103, s30, 21
	v_cmp_gt_u32_e64 s30, 0xc0, v29
	v_mad_u32_u24 v67, 0x1f8, v8, v62
	v_mad_u32_u24 v2, 0x1f8, v8, v43
	v_dual_sub_nc_u32 v59, 0, v48 :: v_dual_bitop2_b32 v80, -8, v29 bitop3:0x40
	s_delay_alu instid0(VALU_DEP_4) | instskip(SKIP_4) | instid1(VALU_DEP_4)
	v_writelane_b32 v103, s30, 22
	v_cmp_gt_u32_e64 s30, 0xb0, v29
	v_mad_i32_i24 v68, 0xfffffe08, v8, v67
	v_mad_u32 v95, v2, 7, v11
	v_dual_lshlrev_b32 v64, 3, v61 :: v_dual_sub_nc_u32 v65, 0, v83
	v_writelane_b32 v103, s30, 23
	v_cmp_gt_u32_e64 s30, 0xa0, v29
	v_mad_u32_u24 v69, 0x1f8, v8, v68
	v_or_b32_e32 v70, 0xa000, v91
	v_dual_lshlrev_b32 v74, 3, v35 :: v_dual_bitop2_b32 v98, v44, v8 bitop3:0x54
	s_delay_alu instid0(VALU_DEP_4) | instskip(SKIP_4) | instid1(VALU_DEP_4)
	v_writelane_b32 v103, s30, 24
	v_cmp_gt_u32_e64 s30, 0x90, v29
	v_dual_lshlrev_b32 v76, 3, v36 :: v_dual_lshlrev_b32 v78, 3, v37
	v_mov_b64_e32 v[32:33], 0
	v_mov_b64_e32 v[34:35], 1.0
	v_writelane_b32 v103, s30, 25
	v_cmp_gt_u32_e64 s30, 0x80, v29
	v_cmp_lt_u32_e32 vcc_lo, 0x3ff, v29
	v_lshl_add_u32 v71, v10, 3, 0xa000
	v_lshl_add_u32 v5, v29, 3, 0x8000
	s_add_nc_u64 s[66:67], s[66:67], s[14:15]
	v_writelane_b32 v103, s30, 26
	v_cmp_gt_u32_e64 s30, 0x70, v29
	v_dual_ashrrev_i32 v13, 31, v12 :: v_dual_sub_nc_u32 v75, v72, v47
	v_lshl_add_u32 v77, v46, 3, 0x8000
	v_dual_sub_nc_u32 v79, v74, v48 :: v_dual_sub_nc_u32 v81, v76, v81
	s_delay_alu instid0(VALU_DEP_4) | instskip(SKIP_4) | instid1(VALU_DEP_4)
	v_writelane_b32 v103, s30, 27
	v_cmp_gt_u32_e64 s30, 0x60, v29
	v_add_nc_u32_e32 v80, 0x8000, v80
	v_lshl_add_u32 v82, v82, 3, 0x8000
	v_dual_sub_nc_u32 v83, v78, v83 :: v_dual_sub_nc_u32 v85, v64, v85
	v_writelane_b32 v103, s30, 28
	v_cmp_gt_u32_e64 s30, 0x50, v29
	v_lshl_add_u32 v84, v84, 3, 0x8000
	v_dual_lshlrev_b32 v86, 3, v38 :: v_dual_lshlrev_b32 v87, 3, v39
	v_dual_lshlrev_b32 v88, 3, v40 :: v_dual_lshlrev_b32 v89, 3, v41
	s_delay_alu instid0(VALU_DEP_4)
	v_writelane_b32 v103, s30, 29
	v_add_nc_u32_e32 v90, 0x8000, v11
	v_add_nc_u32_e32 v91, v69, v91
	v_lshl_add_u32 v92, v4, 9, v62
	v_add_nc_u32_e32 v93, v70, v11
	v_writelane_b32 v103, s46, 30
	v_cmp_gt_u32_e64 s46, 0x3c0, v29
	v_or_b32_e32 v94, 0x3800, v64
	s_lshl_b64 s[78:79], s[10:11], 3
	v_subrev_nc_u32_e32 v96, 31, v61
	v_cmp_eq_u32_e64 s10, 0, v0
	v_writelane_b32 v103, s46, 31
	v_cmp_gt_u32_e64 s46, 0x3a0, v29
	v_cmp_gt_u32_e64 s11, 2, v29
	;; [unrolled: 1-line block ×5, first 2 shown]
	v_writelane_b32 v102, s46, 0
	v_cmp_gt_u32_e64 s46, 0x380, v29
	v_cmp_gt_u32_e64 s15, 48, v29
	;; [unrolled: 1-line block ×5, first 2 shown]
	v_writelane_b32 v102, s46, 1
	v_cmp_gt_u32_e64 s46, 0x360, v29
	v_cmp_gt_u32_e64 s30, 0x400, v29
	v_cmp_eq_u32_e64 s55, 0, v10
	v_cmp_gt_u32_e64 s56, 64, v10
	s_xor_b32 s60, vcc_lo, -1
	v_writelane_b32 v102, s46, 2
	v_cmp_gt_u32_e64 s46, 0x340, v29
                                        ; implicit-def: $vgpr36_vgpr37
                                        ; implicit-def: $vgpr38_vgpr39
                                        ; implicit-def: $vgpr40_vgpr41
                                        ; implicit-def: $vgpr42_vgpr43
	s_delay_alu instid0(VALU_DEP_1) | instskip(SKIP_1) | instid1(VALU_DEP_1)
	v_writelane_b32 v102, s46, 3
	v_cmp_gt_u32_e64 s46, 0x320, v29
	v_writelane_b32 v102, s46, 4
	v_cmp_gt_u32_e64 s46, 0x300, v29
	s_delay_alu instid0(VALU_DEP_1) | instskip(SKIP_1) | instid1(VALU_DEP_1)
	v_writelane_b32 v102, s46, 5
	v_cmp_gt_u32_e64 s46, 0x2e0, v29
	v_writelane_b32 v102, s46, 6
	v_cmp_gt_u32_e64 s46, 0x2c0, v29
	;; [unrolled: 5-line block ×10, first 2 shown]
	s_delay_alu instid0(VALU_DEP_1) | instskip(SKIP_1) | instid1(VALU_DEP_1)
	v_writelane_b32 v102, s46, 23
	v_cmp_gt_u32_e64 s46, 64, v98
	v_writelane_b32 v102, s46, 24
	s_branch .LBB39_3
.LBB39_2:                               ;   in Loop: Header=BB39_3 Depth=1
	s_wait_xcnt 0x0
	s_or_b32 exec_lo, exec_lo, s46
	v_readlane_b32 s46, v103, 0
	s_add_co_i32 s76, s76, 0x10000
	global_wb scope:SCOPE_DEV
	s_wait_storecnt 0x0
	global_inv scope:SCOPE_DEV
	s_cmp_lt_u32 s76, s46
	s_cbranch_scc0 .LBB39_1117
.LBB39_3:                               ; =>This Loop Header: Depth=1
                                        ;     Child Loop BB39_537 Depth 2
                                        ;     Child Loop BB39_986 Depth 2
                                        ;       Child Loop BB39_988 Depth 3
                                        ;     Child Loop BB39_1023 Depth 2
	s_mul_u64 s[46:47], s[62:63], s[76:77]
	s_delay_alu instid0(SALU_CYCLE_1) | instskip(NEXT) | instid1(SALU_CYCLE_1)
	s_lshl_b64 s[46:47], s[46:47], 3
	s_add_nc_u64 s[80:81], s[68:69], s[46:47]
	v_readlane_b32 s46, v103, 1
	v_lshl_add_u64 v[44:45], v[14:15], 3, s[80:81]
	s_and_not1_b32 vcc_lo, exec_lo, s46
	s_cbranch_vccnz .LBB39_13
; %bb.4:                                ;   in Loop: Header=BB39_3 Depth=1
	v_mov_b64_e32 v[38:39], 0
	v_mov_b64_e32 v[36:37], 0
	v_lshl_add_u64 v[2:3], v[12:13], 3, v[44:45]
	s_barrier_signal -1
	s_barrier_wait -1
	s_mov_b32 s46, exec_lo
	v_readlane_b32 s47, v103, 11
	s_and_b32 s47, s46, s47
	s_delay_alu instid0(SALU_CYCLE_1)
	s_mov_b32 exec_lo, s47
	s_cbranch_execz .LBB39_6
; %bb.5:                                ;   in Loop: Header=BB39_3 Depth=1
	global_load_b64 v[36:37], v[2:3], off
.LBB39_6:                               ;   in Loop: Header=BB39_3 Depth=1
	s_wait_xcnt 0x0
	s_or_b32 exec_lo, exec_lo, s46
	s_wait_loadcnt 0x0
	s_barrier_signal -1
	s_barrier_wait -1
	s_mov_b32 s46, exec_lo
	v_readlane_b32 s47, v103, 12
	s_and_b32 s47, s46, s47
	s_delay_alu instid0(SALU_CYCLE_1)
	s_mov_b32 exec_lo, s47
	s_cbranch_execz .LBB39_8
; %bb.7:                                ;   in Loop: Header=BB39_3 Depth=1
	global_load_b64 v[38:39], v[2:3], off offset:128
.LBB39_8:                               ;   in Loop: Header=BB39_3 Depth=1
	s_wait_xcnt 0x0
	s_or_b32 exec_lo, exec_lo, s46
	v_mov_b64_e32 v[42:43], 0
	v_mov_b64_e32 v[40:41], 0
	s_wait_loadcnt 0x0
	s_barrier_signal -1
	s_barrier_wait -1
	s_mov_b32 s46, exec_lo
	v_readlane_b32 s47, v103, 13
	s_and_b32 s47, s46, s47
	s_delay_alu instid0(SALU_CYCLE_1)
	s_mov_b32 exec_lo, s47
	s_cbranch_execz .LBB39_10
; %bb.9:                                ;   in Loop: Header=BB39_3 Depth=1
	global_load_b64 v[40:41], v[2:3], off offset:256
.LBB39_10:                              ;   in Loop: Header=BB39_3 Depth=1
	s_wait_xcnt 0x0
	s_or_b32 exec_lo, exec_lo, s46
	s_wait_loadcnt 0x0
	s_barrier_signal -1
	s_barrier_wait -1
	s_mov_b32 s46, exec_lo
	v_readlane_b32 s47, v103, 14
	s_and_b32 s47, s46, s47
	s_delay_alu instid0(SALU_CYCLE_1)
	s_mov_b32 exec_lo, s47
	s_cbranch_execz .LBB39_12
; %bb.11:                               ;   in Loop: Header=BB39_3 Depth=1
	global_load_b64 v[42:43], v[2:3], off offset:384
.LBB39_12:                              ;   in Loop: Header=BB39_3 Depth=1
	s_wait_xcnt 0x0
	s_or_b32 exec_lo, exec_lo, s46
.LBB39_13:                              ;   in Loop: Header=BB39_3 Depth=1
	v_mov_b32_e32 v29, v7
	s_add_nc_u64 s[46:47], s[80:81], s[78:79]
	s_and_not1_b32 vcc_lo, exec_lo, s88
	s_delay_alu instid0(VALU_DEP_1)
	v_add_nc_u64_e32 v[2:3], s[46:47], v[28:29]
	s_mov_b32 s46, -1
	s_cbranch_vccnz .LBB39_24
; %bb.14:                               ;   in Loop: Header=BB39_3 Depth=1
	s_and_saveexec_b32 s46, s6
	s_delay_alu instid0(SALU_CYCLE_1)
	s_xor_b32 s46, exec_lo, s46
	s_cbranch_execnz .LBB39_1044
; %bb.15:                               ;   in Loop: Header=BB39_3 Depth=1
	s_and_not1_saveexec_b32 s46, s46
	s_cbranch_execnz .LBB39_1047
.LBB39_16:                              ;   in Loop: Header=BB39_3 Depth=1
	s_or_b32 exec_lo, exec_lo, s46
	s_and_saveexec_b32 s46, s7
	s_delay_alu instid0(SALU_CYCLE_1)
	s_xor_b32 s46, exec_lo, s46
	s_cbranch_execnz .LBB39_1048
.LBB39_17:                              ;   in Loop: Header=BB39_3 Depth=1
	s_and_not1_saveexec_b32 s46, s46
	s_cbranch_execnz .LBB39_1051
.LBB39_18:                              ;   in Loop: Header=BB39_3 Depth=1
	s_or_b32 exec_lo, exec_lo, s46
	s_and_saveexec_b32 s46, s8
	s_delay_alu instid0(SALU_CYCLE_1)
	s_xor_b32 s46, exec_lo, s46
	s_cbranch_execnz .LBB39_1052
.LBB39_19:                              ;   in Loop: Header=BB39_3 Depth=1
	s_and_not1_saveexec_b32 s46, s46
	s_cbranch_execnz .LBB39_1055
.LBB39_20:                              ;   in Loop: Header=BB39_3 Depth=1
	s_or_b32 exec_lo, exec_lo, s46
	s_and_saveexec_b32 s46, s9
	s_delay_alu instid0(SALU_CYCLE_1)
	s_xor_b32 s46, exec_lo, s46
	s_cbranch_execnz .LBB39_1056
.LBB39_21:                              ;   in Loop: Header=BB39_3 Depth=1
	s_and_not1_saveexec_b32 s46, s46
	s_cbranch_execz .LBB39_23
.LBB39_22:                              ;   in Loop: Header=BB39_3 Depth=1
	v_lshl_add_u64 v[46:47], v[22:23], 3, v[2:3]
	global_load_b64 v[46:47], v[46:47], off
	s_wait_loadcnt 0x0
	v_xor_b32_e32 v47, 0x80000000, v47
	ds_store_b64 v89, v[46:47]
.LBB39_23:                              ;   in Loop: Header=BB39_3 Depth=1
	s_or_b32 exec_lo, exec_lo, s46
	s_mov_b32 s46, 0
.LBB39_24:                              ;   in Loop: Header=BB39_3 Depth=1
	s_delay_alu instid0(SALU_CYCLE_1)
	s_and_b32 vcc_lo, exec_lo, s46
	s_cbranch_vccz .LBB39_50
; %bb.25:                               ;   in Loop: Header=BB39_3 Depth=1
	s_mov_b32 s46, exec_lo
	v_readlane_b32 s47, v103, 15
	s_and_b32 s47, s46, s47
	s_delay_alu instid0(SALU_CYCLE_1)
	s_xor_b32 s46, s47, s46
	s_mov_b32 exec_lo, s47
	s_cbranch_execz .LBB39_29
; %bb.26:                               ;   in Loop: Header=BB39_3 Depth=1
	s_mov_b32 s47, exec_lo
	v_readlane_b32 s57, v102, 21
	s_and_b32 s57, s47, s57
	s_delay_alu instid0(SALU_CYCLE_1)
	s_mov_b32 exec_lo, s57
; %bb.27:                               ;   in Loop: Header=BB39_3 Depth=1
	ds_store_b64 v91, v[32:33]
; %bb.28:                               ;   in Loop: Header=BB39_3 Depth=1
	s_or_b32 exec_lo, exec_lo, s47
.LBB39_29:                              ;   in Loop: Header=BB39_3 Depth=1
	s_and_not1_saveexec_b32 s46, s46
	s_cbranch_execz .LBB39_31
; %bb.30:                               ;   in Loop: Header=BB39_3 Depth=1
	v_lshl_add_u64 v[46:47], v[26:27], 3, v[2:3]
	global_load_b64 v[46:47], v[46:47], off
	s_wait_loadcnt 0x0
	v_xor_b32_e32 v47, 0x80000000, v47
	ds_store_b64 v91, v[46:47]
.LBB39_31:                              ;   in Loop: Header=BB39_3 Depth=1
	s_or_b32 exec_lo, exec_lo, s46
	s_delay_alu instid0(SALU_CYCLE_1) | instskip(SKIP_2) | instid1(SALU_CYCLE_1)
	s_mov_b32 s46, exec_lo
	v_readlane_b32 s47, v103, 16
	s_and_b32 s47, s46, s47
	s_xor_b32 s46, s47, s46
	s_mov_b32 exec_lo, s47
	s_cbranch_execz .LBB39_35
; %bb.32:                               ;   in Loop: Header=BB39_3 Depth=1
	s_mov_b32 s47, exec_lo
	v_readlane_b32 s57, v102, 22
	s_and_b32 s57, s47, s57
	s_delay_alu instid0(SALU_CYCLE_1)
	s_mov_b32 exec_lo, s57
; %bb.33:                               ;   in Loop: Header=BB39_3 Depth=1
	ds_store_b64 v87, v[32:33]
; %bb.34:                               ;   in Loop: Header=BB39_3 Depth=1
	s_or_b32 exec_lo, exec_lo, s47
.LBB39_35:                              ;   in Loop: Header=BB39_3 Depth=1
	s_and_not1_saveexec_b32 s46, s46
	s_cbranch_execz .LBB39_37
; %bb.36:                               ;   in Loop: Header=BB39_3 Depth=1
	v_lshl_add_u64 v[46:47], v[18:19], 3, v[2:3]
	global_load_b64 v[46:47], v[46:47], off
	s_wait_loadcnt 0x0
	v_xor_b32_e32 v47, 0x80000000, v47
	ds_store_b64 v87, v[46:47]
.LBB39_37:                              ;   in Loop: Header=BB39_3 Depth=1
	s_or_b32 exec_lo, exec_lo, s46
	s_delay_alu instid0(SALU_CYCLE_1) | instskip(SKIP_2) | instid1(SALU_CYCLE_1)
	s_mov_b32 s46, exec_lo
	v_readlane_b32 s47, v103, 17
	s_and_b32 s47, s46, s47
	;; [unrolled: 28-line block ×3, first 2 shown]
	s_xor_b32 s46, s47, s46
	s_mov_b32 exec_lo, s47
	s_cbranch_execz .LBB39_47
; %bb.44:                               ;   in Loop: Header=BB39_3 Depth=1
	s_mov_b32 s47, exec_lo
	v_readlane_b32 s57, v102, 24
	s_and_b32 s57, s47, s57
	s_delay_alu instid0(SALU_CYCLE_1)
	s_mov_b32 exec_lo, s57
; %bb.45:                               ;   in Loop: Header=BB39_3 Depth=1
	ds_store_b64 v89, v[32:33]
; %bb.46:                               ;   in Loop: Header=BB39_3 Depth=1
	s_or_b32 exec_lo, exec_lo, s47
                                        ; implicit-def: $vgpr2_vgpr3
.LBB39_47:                              ;   in Loop: Header=BB39_3 Depth=1
	s_and_not1_saveexec_b32 s46, s46
	s_cbranch_execz .LBB39_49
; %bb.48:                               ;   in Loop: Header=BB39_3 Depth=1
	v_lshl_add_u64 v[2:3], v[22:23], 3, v[2:3]
	global_load_b64 v[2:3], v[2:3], off
	s_wait_loadcnt 0x0
	v_xor_b32_e32 v3, 0x80000000, v3
	ds_store_b64 v89, v[2:3]
.LBB39_49:                              ;   in Loop: Header=BB39_3 Depth=1
	s_or_b32 exec_lo, exec_lo, s46
.LBB39_50:                              ;   in Loop: Header=BB39_3 Depth=1
	s_delay_alu instid0(SALU_CYCLE_1)
	s_and_not1_b32 vcc_lo, exec_lo, s89
	s_wait_loadcnt_dscnt 0x0
	s_barrier_signal -1
	s_barrier_wait -1
	s_cbranch_vccnz .LBB39_980
; %bb.51:                               ;   in Loop: Header=BB39_3 Depth=1
	s_and_saveexec_b32 s46, s10
	s_cbranch_execz .LBB39_53
; %bb.52:                               ;   in Loop: Header=BB39_3 Depth=1
	ds_load_b64 v[2:3], v7 offset:32752
	v_mov_b32_e32 v0, v7
	ds_store_b64 v7, v[34:35] offset:32760
	s_wait_dscnt 0x1
	ds_store_b128 v7, v[0:3] offset:32240
.LBB39_53:                              ;   in Loop: Header=BB39_3 Depth=1
	s_or_b32 exec_lo, exec_lo, s46
	v_mov_b64_e32 v[2:3], 0
	s_wait_dscnt 0x0
	s_barrier_signal -1
	s_barrier_wait -1
	global_wb scope:SCOPE_DEV
	s_wait_storecnt 0x0
	global_inv scope:SCOPE_DEV
	s_and_saveexec_b32 s46, s0
	s_cbranch_execz .LBB39_57
; %bb.54:                               ;   in Loop: Header=BB39_3 Depth=1
	ds_load_b64 v[2:3], v72 offset:32224
	ds_load_b64 v[46:47], v57 offset:32752
	s_wait_dscnt 0x0
	v_fma_f64 v[2:3], v[2:3], v[46:47], 0
	s_and_saveexec_b32 s47, s11
	s_cbranch_execz .LBB39_56
; %bb.55:                               ;   in Loop: Header=BB39_3 Depth=1
	ds_load_b64 v[46:47], v11 offset:32736
	ds_load_b64 v[48:49], v7 offset:32760
	s_wait_dscnt 0x0
	v_fmac_f64_e32 v[2:3], v[46:47], v[48:49]
.LBB39_56:                              ;   in Loop: Header=BB39_3 Depth=1
	s_or_b32 exec_lo, exec_lo, s47
.LBB39_57:                              ;   in Loop: Header=BB39_3 Depth=1
	s_delay_alu instid0(SALU_CYCLE_1)
	s_or_b32 exec_lo, exec_lo, s46
	s_and_saveexec_b32 s46, s90
; %bb.58:                               ;   in Loop: Header=BB39_3 Depth=1
	s_delay_alu instid0(VALU_DEP_1) | instskip(NEXT) | instid1(VALU_DEP_2)
	v_xor_b32_e32 v47, 0x80000000, v3
	v_mov_b32_e32 v46, v2
	ds_store_b64 v73, v[46:47]
; %bb.59:                               ;   in Loop: Header=BB39_3 Depth=1
	s_or_b32 exec_lo, exec_lo, s46
	s_wait_loadcnt_dscnt 0x0
	s_barrier_signal -1
	s_barrier_wait -1
	s_and_saveexec_b32 s46, s91
	s_cbranch_execz .LBB39_61
; %bb.60:                               ;   in Loop: Header=BB39_3 Depth=1
	ds_load_b64 v[46:47], v7 offset:31712
	ds_load_b64 v[48:49], v73
	s_wait_dscnt 0x0
	v_fma_f64 v[2:3], -v[46:47], v[48:49], v[2:3]
.LBB39_61:                              ;   in Loop: Header=BB39_3 Depth=1
	s_or_b32 exec_lo, exec_lo, s46
	s_barrier_signal -1
	s_barrier_wait -1
	s_and_saveexec_b32 s46, s91
; %bb.62:                               ;   in Loop: Header=BB39_3 Depth=1
	s_delay_alu instid0(VALU_DEP_1) | instskip(NEXT) | instid1(VALU_DEP_2)
	v_xor_b32_e32 v47, 0x80000000, v3
	v_mov_b32_e32 v46, v2
	ds_store_b64 v73, v[46:47]
; %bb.63:                               ;   in Loop: Header=BB39_3 Depth=1
	s_or_b32 exec_lo, exec_lo, s46
	s_wait_dscnt 0x0
	s_barrier_signal -1
	s_barrier_wait -1
	s_barrier_signal -1
	s_barrier_wait -1
	s_and_saveexec_b32 s46, s0
; %bb.64:                               ;   in Loop: Header=BB39_3 Depth=1
	ds_store_b64 v75, v[2:3] offset:32736
; %bb.65:                               ;   in Loop: Header=BB39_3 Depth=1
	s_or_b32 exec_lo, exec_lo, s46
	s_wait_dscnt 0x0
	s_barrier_signal -1
	s_barrier_wait -1
	s_barrier_signal -1
	s_barrier_wait -1
	s_and_saveexec_b32 s46, s92
	s_cbranch_execz .LBB39_67
; %bb.66:                               ;   in Loop: Header=BB39_3 Depth=1
	ds_load_b64 v[2:3], v50 offset:32224
	s_wait_dscnt 0x0
	ds_store_b64 v11, v[2:3] offset:31216
	ds_load_b64 v[2:3], v50 offset:32232
	s_wait_dscnt 0x0
	ds_store_b64 v11, v[2:3] offset:31728
.LBB39_67:                              ;   in Loop: Header=BB39_3 Depth=1
	s_or_b32 exec_lo, exec_lo, s46
	s_wait_dscnt 0x0
	s_barrier_signal -1
	s_barrier_wait -1
	s_and_saveexec_b32 s46, s10
	s_cbranch_execz .LBB39_69
; %bb.68:                               ;   in Loop: Header=BB39_3 Depth=1
	ds_load_b64 v[2:3], v7 offset:31712
	v_mov_b32_e32 v0, v7
	ds_store_b64 v7, v[34:35] offset:31720
	s_wait_dscnt 0x1
	ds_store_b128 v7, v[0:3] offset:31200
.LBB39_69:                              ;   in Loop: Header=BB39_3 Depth=1
	s_or_b32 exec_lo, exec_lo, s46
	v_mov_b64_e32 v[2:3], 0
	s_wait_dscnt 0x0
	s_barrier_signal -1
	s_barrier_wait -1
	global_wb scope:SCOPE_DEV
	s_wait_storecnt 0x0
	global_inv scope:SCOPE_DEV
	s_and_saveexec_b32 s57, s2
	s_cbranch_execz .LBB39_75
; %bb.70:                               ;   in Loop: Header=BB39_3 Depth=1
	ds_load_b64 v[2:3], v74 offset:31168
	ds_load_b64 v[46:47], v59 offset:32736
	s_wait_dscnt 0x0
	v_fma_f64 v[2:3], v[2:3], v[46:47], 0
	s_and_saveexec_b32 s46, s12
	s_cbranch_execnz .LBB39_1067
; %bb.71:                               ;   in Loop: Header=BB39_3 Depth=1
	s_or_b32 exec_lo, exec_lo, s46
	s_and_saveexec_b32 s46, s13
	s_cbranch_execnz .LBB39_1068
.LBB39_72:                              ;   in Loop: Header=BB39_3 Depth=1
	s_or_b32 exec_lo, exec_lo, s46
	s_and_saveexec_b32 s46, s0
	s_cbranch_execz .LBB39_74
.LBB39_73:                              ;   in Loop: Header=BB39_3 Depth=1
	ds_load_b64 v[46:47], v51 offset:32704
	ds_load_b64 v[48:49], v7 offset:32760
	s_wait_dscnt 0x0
	v_fmac_f64_e32 v[2:3], v[46:47], v[48:49]
.LBB39_74:                              ;   in Loop: Header=BB39_3 Depth=1
	s_or_b32 exec_lo, exec_lo, s46
.LBB39_75:                              ;   in Loop: Header=BB39_3 Depth=1
	s_delay_alu instid0(SALU_CYCLE_1)
	s_or_b32 exec_lo, exec_lo, s57
	s_and_saveexec_b32 s46, s93
; %bb.76:                               ;   in Loop: Header=BB39_3 Depth=1
	s_delay_alu instid0(VALU_DEP_1) | instskip(NEXT) | instid1(VALU_DEP_2)
	v_xor_b32_e32 v47, 0x80000000, v3
	v_mov_b32_e32 v46, v2
	ds_store_b64 v77, v[46:47]
; %bb.77:                               ;   in Loop: Header=BB39_3 Depth=1
	s_or_b32 exec_lo, exec_lo, s46
	s_wait_loadcnt_dscnt 0x0
	s_barrier_signal -1
	s_barrier_wait -1
	s_and_saveexec_b32 s46, s94
	s_cbranch_execz .LBB39_79
; %bb.78:                               ;   in Loop: Header=BB39_3 Depth=1
	ds_load_b64 v[46:47], v74 offset:30656
	ds_load_b64 v[48:49], v77
	s_wait_dscnt 0x0
	v_fma_f64 v[2:3], -v[46:47], v[48:49], v[2:3]
.LBB39_79:                              ;   in Loop: Header=BB39_3 Depth=1
	s_or_b32 exec_lo, exec_lo, s46
	s_barrier_signal -1
	s_barrier_wait -1
	s_and_saveexec_b32 s46, s95
; %bb.80:                               ;   in Loop: Header=BB39_3 Depth=1
	s_delay_alu instid0(VALU_DEP_1) | instskip(NEXT) | instid1(VALU_DEP_2)
	v_xor_b32_e32 v47, 0x80000000, v3
	v_mov_b32_e32 v46, v2
	ds_store_b64 v77, v[46:47]
; %bb.81:                               ;   in Loop: Header=BB39_3 Depth=1
	s_or_b32 exec_lo, exec_lo, s46
	s_wait_dscnt 0x0
	s_barrier_signal -1
	s_barrier_wait -1
	s_and_saveexec_b32 s46, s96
	s_cbranch_execz .LBB39_83
; %bb.82:                               ;   in Loop: Header=BB39_3 Depth=1
	ds_load_b64 v[46:47], v74 offset:30144
	ds_load_b64 v[48:49], v77
	s_wait_dscnt 0x0
	v_fma_f64 v[2:3], -v[46:47], v[48:49], v[2:3]
.LBB39_83:                              ;   in Loop: Header=BB39_3 Depth=1
	s_or_b32 exec_lo, exec_lo, s46
	s_barrier_signal -1
	s_barrier_wait -1
	s_and_saveexec_b32 s46, s97
; %bb.84:                               ;   in Loop: Header=BB39_3 Depth=1
	s_delay_alu instid0(VALU_DEP_1) | instskip(NEXT) | instid1(VALU_DEP_2)
	v_xor_b32_e32 v47, 0x80000000, v3
	v_mov_b32_e32 v46, v2
	ds_store_b64 v77, v[46:47]
; %bb.85:                               ;   in Loop: Header=BB39_3 Depth=1
	s_or_b32 exec_lo, exec_lo, s46
	s_wait_dscnt 0x0
	s_barrier_signal -1
	s_barrier_wait -1
	s_and_saveexec_b32 s46, s98
	s_cbranch_execz .LBB39_87
; %bb.86:                               ;   in Loop: Header=BB39_3 Depth=1
	ds_load_b64 v[46:47], v7 offset:29632
	ds_load_b64 v[48:49], v77
	s_wait_dscnt 0x0
	v_fma_f64 v[2:3], -v[46:47], v[48:49], v[2:3]
.LBB39_87:                              ;   in Loop: Header=BB39_3 Depth=1
	s_or_b32 exec_lo, exec_lo, s46
	s_barrier_signal -1
	s_barrier_wait -1
	s_and_saveexec_b32 s46, s98
; %bb.88:                               ;   in Loop: Header=BB39_3 Depth=1
	s_delay_alu instid0(VALU_DEP_1) | instskip(NEXT) | instid1(VALU_DEP_2)
	v_xor_b32_e32 v47, 0x80000000, v3
	v_mov_b32_e32 v46, v2
	ds_store_b64 v77, v[46:47]
; %bb.89:                               ;   in Loop: Header=BB39_3 Depth=1
	s_or_b32 exec_lo, exec_lo, s46
	s_wait_dscnt 0x0
	s_barrier_signal -1
	s_barrier_wait -1
	s_barrier_signal -1
	s_barrier_wait -1
	s_and_saveexec_b32 s46, s2
; %bb.90:                               ;   in Loop: Header=BB39_3 Depth=1
	ds_store_b64 v79, v[2:3] offset:32704
; %bb.91:                               ;   in Loop: Header=BB39_3 Depth=1
	s_or_b32 exec_lo, exec_lo, s46
	s_wait_dscnt 0x0
	s_barrier_signal -1
	s_barrier_wait -1
	s_barrier_signal -1
	s_barrier_wait -1
	s_and_saveexec_b32 s46, s99
	s_cbranch_execz .LBB39_93
; %bb.92:                               ;   in Loop: Header=BB39_3 Depth=1
	ds_load_b64 v[2:3], v52 offset:31168
	s_wait_dscnt 0x0
	ds_store_b64 v53, v[2:3] offset:29152
	ds_load_b64 v[2:3], v52 offset:31176
	s_wait_dscnt 0x0
	ds_store_b64 v53, v[2:3] offset:29664
	;; [unrolled: 3-line block ×4, first 2 shown]
.LBB39_93:                              ;   in Loop: Header=BB39_3 Depth=1
	s_or_b32 exec_lo, exec_lo, s46
	s_wait_dscnt 0x0
	s_barrier_signal -1
	s_barrier_wait -1
	s_and_saveexec_b32 s46, s10
	s_cbranch_execz .LBB39_95
; %bb.94:                               ;   in Loop: Header=BB39_3 Depth=1
	ds_load_b64 v[2:3], v7 offset:30672
	v_mov_b32_e32 v0, v7
	ds_store_b64 v7, v[34:35] offset:30680
	s_wait_dscnt 0x1
	ds_store_b128 v7, v[0:3] offset:30160
.LBB39_95:                              ;   in Loop: Header=BB39_3 Depth=1
	s_or_b32 exec_lo, exec_lo, s46
	v_mov_b64_e32 v[2:3], 0
	s_wait_dscnt 0x0
	s_barrier_signal -1
	s_barrier_wait -1
	global_wb scope:SCOPE_DEV
	s_wait_storecnt 0x0
	global_inv scope:SCOPE_DEV
	s_and_saveexec_b32 s46, s0
	s_cbranch_execz .LBB39_99
; %bb.96:                               ;   in Loop: Header=BB39_3 Depth=1
	ds_load_b64 v[2:3], v72 offset:30144
	ds_load_b64 v[46:47], v57 offset:30672
	s_wait_dscnt 0x0
	v_fma_f64 v[2:3], v[2:3], v[46:47], 0
	s_and_saveexec_b32 s47, s11
	s_cbranch_execz .LBB39_98
; %bb.97:                               ;   in Loop: Header=BB39_3 Depth=1
	ds_load_b64 v[46:47], v53 offset:30656
	ds_load_b64 v[48:49], v7 offset:30680
	s_wait_dscnt 0x0
	v_fmac_f64_e32 v[2:3], v[46:47], v[48:49]
.LBB39_98:                              ;   in Loop: Header=BB39_3 Depth=1
	s_or_b32 exec_lo, exec_lo, s47
.LBB39_99:                              ;   in Loop: Header=BB39_3 Depth=1
	s_delay_alu instid0(SALU_CYCLE_1)
	s_or_b32 exec_lo, exec_lo, s46
	s_and_saveexec_b32 s46, s90
; %bb.100:                              ;   in Loop: Header=BB39_3 Depth=1
	s_delay_alu instid0(VALU_DEP_1) | instskip(NEXT) | instid1(VALU_DEP_2)
	v_xor_b32_e32 v47, 0x80000000, v3
	v_mov_b32_e32 v46, v2
	ds_store_b64 v73, v[46:47]
; %bb.101:                              ;   in Loop: Header=BB39_3 Depth=1
	s_or_b32 exec_lo, exec_lo, s46
	s_wait_loadcnt_dscnt 0x0
	s_barrier_signal -1
	s_barrier_wait -1
	s_and_saveexec_b32 s46, s91
	s_cbranch_execz .LBB39_103
; %bb.102:                              ;   in Loop: Header=BB39_3 Depth=1
	ds_load_b64 v[46:47], v7 offset:29632
	ds_load_b64 v[48:49], v73
	s_wait_dscnt 0x0
	v_fma_f64 v[2:3], -v[46:47], v[48:49], v[2:3]
.LBB39_103:                             ;   in Loop: Header=BB39_3 Depth=1
	s_or_b32 exec_lo, exec_lo, s46
	s_barrier_signal -1
	s_barrier_wait -1
	s_and_saveexec_b32 s46, s91
; %bb.104:                              ;   in Loop: Header=BB39_3 Depth=1
	s_delay_alu instid0(VALU_DEP_1) | instskip(NEXT) | instid1(VALU_DEP_2)
	v_xor_b32_e32 v47, 0x80000000, v3
	v_mov_b32_e32 v46, v2
	ds_store_b64 v73, v[46:47]
; %bb.105:                              ;   in Loop: Header=BB39_3 Depth=1
	s_or_b32 exec_lo, exec_lo, s46
	s_wait_dscnt 0x0
	s_barrier_signal -1
	s_barrier_wait -1
	s_barrier_signal -1
	s_barrier_wait -1
	s_and_saveexec_b32 s46, s0
; %bb.106:                              ;   in Loop: Header=BB39_3 Depth=1
	ds_store_b64 v75, v[2:3] offset:30656
; %bb.107:                              ;   in Loop: Header=BB39_3 Depth=1
	s_or_b32 exec_lo, exec_lo, s46
	s_wait_dscnt 0x0
	s_barrier_signal -1
	s_barrier_wait -1
	s_barrier_signal -1
	s_barrier_wait -1
	s_and_saveexec_b32 s46, s92
	s_cbranch_execz .LBB39_109
; %bb.108:                              ;   in Loop: Header=BB39_3 Depth=1
	ds_load_b64 v[2:3], v54 offset:30144
	s_wait_dscnt 0x0
	ds_store_b64 v53, v[2:3] offset:29136
	ds_load_b64 v[2:3], v54 offset:30152
	s_wait_dscnt 0x0
	ds_store_b64 v53, v[2:3] offset:29648
.LBB39_109:                             ;   in Loop: Header=BB39_3 Depth=1
	s_or_b32 exec_lo, exec_lo, s46
	s_wait_dscnt 0x0
	s_barrier_signal -1
	s_barrier_wait -1
	s_and_saveexec_b32 s46, s10
	s_cbranch_execz .LBB39_111
; %bb.110:                              ;   in Loop: Header=BB39_3 Depth=1
	ds_load_b64 v[2:3], v7 offset:29632
	v_mov_b32_e32 v0, v7
	ds_store_b64 v7, v[34:35] offset:29640
	s_wait_dscnt 0x1
	ds_store_b128 v7, v[0:3] offset:29120
.LBB39_111:                             ;   in Loop: Header=BB39_3 Depth=1
	s_or_b32 exec_lo, exec_lo, s46
	v_mov_b64_e32 v[2:3], 0
	s_wait_dscnt 0x0
	s_barrier_signal -1
	s_barrier_wait -1
	global_wb scope:SCOPE_DEV
	s_wait_storecnt 0x0
	global_inv scope:SCOPE_DEV
	s_and_saveexec_b32 s57, s3
	s_cbranch_execz .LBB39_121
; %bb.112:                              ;   in Loop: Header=BB39_3 Depth=1
	ds_load_b64 v[2:3], v76 offset:29056
	ds_load_b64 v[46:47], v63 offset:32704
	s_wait_dscnt 0x0
	v_fma_f64 v[2:3], v[2:3], v[46:47], 0
	s_and_saveexec_b32 s46, s14
	s_cbranch_execnz .LBB39_1069
; %bb.113:                              ;   in Loop: Header=BB39_3 Depth=1
	s_or_b32 exec_lo, exec_lo, s46
	s_and_saveexec_b32 s46, s15
	s_cbranch_execnz .LBB39_1070
.LBB39_114:                             ;   in Loop: Header=BB39_3 Depth=1
	s_or_b32 exec_lo, exec_lo, s46
	s_and_saveexec_b32 s46, s16
	s_cbranch_execnz .LBB39_1071
.LBB39_115:                             ;   in Loop: Header=BB39_3 Depth=1
	s_or_b32 exec_lo, exec_lo, s46
	s_and_saveexec_b32 s46, s17
	s_cbranch_execnz .LBB39_1072
.LBB39_116:                             ;   in Loop: Header=BB39_3 Depth=1
	s_or_b32 exec_lo, exec_lo, s46
	s_and_saveexec_b32 s46, s18
	s_cbranch_execnz .LBB39_1073
.LBB39_117:                             ;   in Loop: Header=BB39_3 Depth=1
	s_or_b32 exec_lo, exec_lo, s46
	s_and_saveexec_b32 s46, s2
	s_cbranch_execnz .LBB39_1074
.LBB39_118:                             ;   in Loop: Header=BB39_3 Depth=1
	s_or_b32 exec_lo, exec_lo, s46
	s_and_saveexec_b32 s46, s13
	s_cbranch_execz .LBB39_120
.LBB39_119:                             ;   in Loop: Header=BB39_3 Depth=1
	ds_load_b64 v[46:47], v55 offset:32640
	ds_load_b64 v[48:49], v7 offset:32760
	s_wait_dscnt 0x0
	v_fmac_f64_e32 v[2:3], v[46:47], v[48:49]
.LBB39_120:                             ;   in Loop: Header=BB39_3 Depth=1
	s_or_b32 exec_lo, exec_lo, s46
.LBB39_121:                             ;   in Loop: Header=BB39_3 Depth=1
	s_delay_alu instid0(SALU_CYCLE_1)
	s_or_b32 exec_lo, exec_lo, s57
	s_and_saveexec_b32 s46, s100
; %bb.122:                              ;   in Loop: Header=BB39_3 Depth=1
	s_delay_alu instid0(VALU_DEP_1) | instskip(NEXT) | instid1(VALU_DEP_2)
	v_xor_b32_e32 v47, 0x80000000, v3
	v_mov_b32_e32 v46, v2
	ds_store_b64 v80, v[46:47]
; %bb.123:                              ;   in Loop: Header=BB39_3 Depth=1
	s_or_b32 exec_lo, exec_lo, s46
	s_wait_loadcnt_dscnt 0x0
	s_barrier_signal -1
	s_barrier_wait -1
	s_and_saveexec_b32 s46, s101
	s_cbranch_execz .LBB39_125
; %bb.124:                              ;   in Loop: Header=BB39_3 Depth=1
	ds_load_b64 v[46:47], v76 offset:28544
	ds_load_b64 v[48:49], v80
	s_wait_dscnt 0x0
	v_fma_f64 v[2:3], -v[46:47], v[48:49], v[2:3]
.LBB39_125:                             ;   in Loop: Header=BB39_3 Depth=1
	s_or_b32 exec_lo, exec_lo, s46
	s_barrier_signal -1
	s_barrier_wait -1
	s_and_saveexec_b32 s46, s102
; %bb.126:                              ;   in Loop: Header=BB39_3 Depth=1
	s_delay_alu instid0(VALU_DEP_1) | instskip(NEXT) | instid1(VALU_DEP_2)
	v_xor_b32_e32 v47, 0x80000000, v3
	v_mov_b32_e32 v46, v2
	ds_store_b64 v80, v[46:47]
; %bb.127:                              ;   in Loop: Header=BB39_3 Depth=1
	s_or_b32 exec_lo, exec_lo, s46
	s_wait_dscnt 0x0
	s_barrier_signal -1
	s_barrier_wait -1
	s_and_saveexec_b32 s46, s103
	s_cbranch_execz .LBB39_129
; %bb.128:                              ;   in Loop: Header=BB39_3 Depth=1
	ds_load_b64 v[46:47], v76 offset:28032
	ds_load_b64 v[48:49], v80
	s_wait_dscnt 0x0
	v_fma_f64 v[2:3], -v[46:47], v[48:49], v[2:3]
.LBB39_129:                             ;   in Loop: Header=BB39_3 Depth=1
	s_or_b32 exec_lo, exec_lo, s46
	s_barrier_signal -1
	s_barrier_wait -1
	s_and_saveexec_b32 s46, s104
; %bb.130:                              ;   in Loop: Header=BB39_3 Depth=1
	s_delay_alu instid0(VALU_DEP_1) | instskip(NEXT) | instid1(VALU_DEP_2)
	v_xor_b32_e32 v47, 0x80000000, v3
	v_mov_b32_e32 v46, v2
	ds_store_b64 v80, v[46:47]
; %bb.131:                              ;   in Loop: Header=BB39_3 Depth=1
	s_or_b32 exec_lo, exec_lo, s46
	s_wait_dscnt 0x0
	s_barrier_signal -1
	s_barrier_wait -1
	s_and_saveexec_b32 s46, vcc_hi
	s_cbranch_execz .LBB39_133
; %bb.132:                              ;   in Loop: Header=BB39_3 Depth=1
	ds_load_b64 v[46:47], v76 offset:27520
	ds_load_b64 v[48:49], v80
	s_wait_dscnt 0x0
	v_fma_f64 v[2:3], -v[46:47], v[48:49], v[2:3]
.LBB39_133:                             ;   in Loop: Header=BB39_3 Depth=1
	s_or_b32 exec_lo, exec_lo, s46
	s_barrier_signal -1
	s_barrier_wait -1
	s_and_saveexec_b32 s46, s31
; %bb.134:                              ;   in Loop: Header=BB39_3 Depth=1
	s_delay_alu instid0(VALU_DEP_1) | instskip(NEXT) | instid1(VALU_DEP_2)
	v_xor_b32_e32 v47, 0x80000000, v3
	v_mov_b32_e32 v46, v2
	ds_store_b64 v80, v[46:47]
; %bb.135:                              ;   in Loop: Header=BB39_3 Depth=1
	s_or_b32 exec_lo, exec_lo, s46
	s_wait_dscnt 0x0
	s_barrier_signal -1
	s_barrier_wait -1
	s_and_saveexec_b32 s46, s33
	s_cbranch_execz .LBB39_137
; %bb.136:                              ;   in Loop: Header=BB39_3 Depth=1
	ds_load_b64 v[46:47], v76 offset:27008
	ds_load_b64 v[48:49], v80
	s_wait_dscnt 0x0
	v_fma_f64 v[2:3], -v[46:47], v[48:49], v[2:3]
.LBB39_137:                             ;   in Loop: Header=BB39_3 Depth=1
	s_or_b32 exec_lo, exec_lo, s46
	s_barrier_signal -1
	s_barrier_wait -1
	s_and_saveexec_b32 s46, s34
; %bb.138:                              ;   in Loop: Header=BB39_3 Depth=1
	s_delay_alu instid0(VALU_DEP_1) | instskip(NEXT) | instid1(VALU_DEP_2)
	v_xor_b32_e32 v47, 0x80000000, v3
	v_mov_b32_e32 v46, v2
	ds_store_b64 v80, v[46:47]
; %bb.139:                              ;   in Loop: Header=BB39_3 Depth=1
	s_or_b32 exec_lo, exec_lo, s46
	s_wait_dscnt 0x0
	s_barrier_signal -1
	s_barrier_wait -1
	s_and_saveexec_b32 s46, s35
	;; [unrolled: 22-line block ×4, first 2 shown]
	s_cbranch_execz .LBB39_149
; %bb.148:                              ;   in Loop: Header=BB39_3 Depth=1
	ds_load_b64 v[46:47], v7 offset:25472
	ds_load_b64 v[48:49], v80
	s_wait_dscnt 0x0
	v_fma_f64 v[2:3], -v[46:47], v[48:49], v[2:3]
.LBB39_149:                             ;   in Loop: Header=BB39_3 Depth=1
	s_or_b32 exec_lo, exec_lo, s46
	s_barrier_signal -1
	s_barrier_wait -1
	s_and_saveexec_b32 s46, s39
; %bb.150:                              ;   in Loop: Header=BB39_3 Depth=1
	s_delay_alu instid0(VALU_DEP_1) | instskip(NEXT) | instid1(VALU_DEP_2)
	v_xor_b32_e32 v47, 0x80000000, v3
	v_mov_b32_e32 v46, v2
	ds_store_b64 v80, v[46:47]
; %bb.151:                              ;   in Loop: Header=BB39_3 Depth=1
	s_or_b32 exec_lo, exec_lo, s46
	s_wait_dscnt 0x0
	s_barrier_signal -1
	s_barrier_wait -1
	s_barrier_signal -1
	s_barrier_wait -1
	s_and_saveexec_b32 s46, s3
; %bb.152:                              ;   in Loop: Header=BB39_3 Depth=1
	ds_store_b64 v81, v[2:3] offset:32640
; %bb.153:                              ;   in Loop: Header=BB39_3 Depth=1
	s_or_b32 exec_lo, exec_lo, s46
	s_wait_dscnt 0x0
	s_barrier_signal -1
	s_barrier_wait -1
	s_barrier_signal -1
	s_barrier_wait -1
	s_and_saveexec_b32 s46, s40
	s_cbranch_execz .LBB39_155
; %bb.154:                              ;   in Loop: Header=BB39_3 Depth=1
	ds_load_b64 v[2:3], v56 offset:29056
	s_wait_dscnt 0x0
	ds_store_b64 v58, v[2:3] offset:25024
	ds_load_b64 v[2:3], v56 offset:29064
	s_wait_dscnt 0x0
	ds_store_b64 v58, v[2:3] offset:25536
	;; [unrolled: 3-line block ×8, first 2 shown]
.LBB39_155:                             ;   in Loop: Header=BB39_3 Depth=1
	s_or_b32 exec_lo, exec_lo, s46
	s_wait_dscnt 0x0
	s_barrier_signal -1
	s_barrier_wait -1
	s_and_saveexec_b32 s46, s10
	s_cbranch_execz .LBB39_157
; %bb.156:                              ;   in Loop: Header=BB39_3 Depth=1
	ds_load_b64 v[2:3], v7 offset:28592
	v_mov_b32_e32 v0, v7
	ds_store_b64 v7, v[34:35] offset:28600
	s_wait_dscnt 0x1
	ds_store_b128 v7, v[0:3] offset:28080
.LBB39_157:                             ;   in Loop: Header=BB39_3 Depth=1
	s_or_b32 exec_lo, exec_lo, s46
	v_mov_b64_e32 v[2:3], 0
	s_wait_dscnt 0x0
	s_barrier_signal -1
	s_barrier_wait -1
	global_wb scope:SCOPE_DEV
	s_wait_storecnt 0x0
	global_inv scope:SCOPE_DEV
	s_and_saveexec_b32 s46, s0
	s_cbranch_execz .LBB39_161
; %bb.158:                              ;   in Loop: Header=BB39_3 Depth=1
	ds_load_b64 v[2:3], v72 offset:28064
	ds_load_b64 v[46:47], v57 offset:28592
	s_wait_dscnt 0x0
	v_fma_f64 v[2:3], v[2:3], v[46:47], 0
	s_and_saveexec_b32 s47, s11
	s_cbranch_execz .LBB39_160
; %bb.159:                              ;   in Loop: Header=BB39_3 Depth=1
	ds_load_b64 v[46:47], v58 offset:28576
	ds_load_b64 v[48:49], v7 offset:28600
	s_wait_dscnt 0x0
	v_fmac_f64_e32 v[2:3], v[46:47], v[48:49]
.LBB39_160:                             ;   in Loop: Header=BB39_3 Depth=1
	s_or_b32 exec_lo, exec_lo, s47
.LBB39_161:                             ;   in Loop: Header=BB39_3 Depth=1
	s_delay_alu instid0(SALU_CYCLE_1)
	s_or_b32 exec_lo, exec_lo, s46
	s_and_saveexec_b32 s46, s90
; %bb.162:                              ;   in Loop: Header=BB39_3 Depth=1
	s_delay_alu instid0(VALU_DEP_1) | instskip(NEXT) | instid1(VALU_DEP_2)
	v_xor_b32_e32 v47, 0x80000000, v3
	v_mov_b32_e32 v46, v2
	ds_store_b64 v73, v[46:47]
; %bb.163:                              ;   in Loop: Header=BB39_3 Depth=1
	s_or_b32 exec_lo, exec_lo, s46
	s_wait_loadcnt_dscnt 0x0
	s_barrier_signal -1
	s_barrier_wait -1
	s_and_saveexec_b32 s46, s91
	s_cbranch_execz .LBB39_165
; %bb.164:                              ;   in Loop: Header=BB39_3 Depth=1
	ds_load_b64 v[46:47], v7 offset:27552
	ds_load_b64 v[48:49], v73
	s_wait_dscnt 0x0
	v_fma_f64 v[2:3], -v[46:47], v[48:49], v[2:3]
.LBB39_165:                             ;   in Loop: Header=BB39_3 Depth=1
	s_or_b32 exec_lo, exec_lo, s46
	s_barrier_signal -1
	s_barrier_wait -1
	s_and_saveexec_b32 s46, s91
; %bb.166:                              ;   in Loop: Header=BB39_3 Depth=1
	s_delay_alu instid0(VALU_DEP_1) | instskip(NEXT) | instid1(VALU_DEP_2)
	v_xor_b32_e32 v47, 0x80000000, v3
	v_mov_b32_e32 v46, v2
	ds_store_b64 v73, v[46:47]
; %bb.167:                              ;   in Loop: Header=BB39_3 Depth=1
	s_or_b32 exec_lo, exec_lo, s46
	s_wait_dscnt 0x0
	s_barrier_signal -1
	s_barrier_wait -1
	s_barrier_signal -1
	s_barrier_wait -1
	s_and_saveexec_b32 s46, s0
; %bb.168:                              ;   in Loop: Header=BB39_3 Depth=1
	ds_store_b64 v75, v[2:3] offset:28576
; %bb.169:                              ;   in Loop: Header=BB39_3 Depth=1
	s_or_b32 exec_lo, exec_lo, s46
	s_wait_dscnt 0x0
	s_barrier_signal -1
	s_barrier_wait -1
	s_barrier_signal -1
	s_barrier_wait -1
	s_and_saveexec_b32 s46, s92
	s_cbranch_execz .LBB39_171
; %bb.170:                              ;   in Loop: Header=BB39_3 Depth=1
	ds_load_b64 v[2:3], v60 offset:28064
	s_wait_dscnt 0x0
	ds_store_b64 v58, v[2:3] offset:27056
	ds_load_b64 v[2:3], v60 offset:28072
	s_wait_dscnt 0x0
	ds_store_b64 v58, v[2:3] offset:27568
.LBB39_171:                             ;   in Loop: Header=BB39_3 Depth=1
	s_or_b32 exec_lo, exec_lo, s46
	s_wait_dscnt 0x0
	s_barrier_signal -1
	s_barrier_wait -1
	s_and_saveexec_b32 s46, s10
	s_cbranch_execz .LBB39_173
; %bb.172:                              ;   in Loop: Header=BB39_3 Depth=1
	ds_load_b64 v[2:3], v7 offset:27552
	v_mov_b32_e32 v0, v7
	ds_store_b64 v7, v[34:35] offset:27560
	s_wait_dscnt 0x1
	ds_store_b128 v7, v[0:3] offset:27040
.LBB39_173:                             ;   in Loop: Header=BB39_3 Depth=1
	s_or_b32 exec_lo, exec_lo, s46
	v_mov_b64_e32 v[2:3], 0
	s_wait_dscnt 0x0
	s_barrier_signal -1
	s_barrier_wait -1
	global_wb scope:SCOPE_DEV
	s_wait_storecnt 0x0
	global_inv scope:SCOPE_DEV
	s_and_saveexec_b32 s57, s2
	s_cbranch_execz .LBB39_179
; %bb.174:                              ;   in Loop: Header=BB39_3 Depth=1
	ds_load_b64 v[2:3], v74 offset:27008
	ds_load_b64 v[46:47], v59 offset:28576
	s_wait_dscnt 0x0
	v_fma_f64 v[2:3], v[2:3], v[46:47], 0
	s_and_saveexec_b32 s46, s12
	s_cbranch_execnz .LBB39_1075
; %bb.175:                              ;   in Loop: Header=BB39_3 Depth=1
	s_or_b32 exec_lo, exec_lo, s46
	s_and_saveexec_b32 s46, s13
	s_cbranch_execnz .LBB39_1076
.LBB39_176:                             ;   in Loop: Header=BB39_3 Depth=1
	s_or_b32 exec_lo, exec_lo, s46
	s_and_saveexec_b32 s46, s0
	s_cbranch_execz .LBB39_178
.LBB39_177:                             ;   in Loop: Header=BB39_3 Depth=1
	ds_load_b64 v[46:47], v62 offset:28544
	ds_load_b64 v[48:49], v7 offset:28600
	s_wait_dscnt 0x0
	v_fmac_f64_e32 v[2:3], v[46:47], v[48:49]
.LBB39_178:                             ;   in Loop: Header=BB39_3 Depth=1
	s_or_b32 exec_lo, exec_lo, s46
.LBB39_179:                             ;   in Loop: Header=BB39_3 Depth=1
	s_delay_alu instid0(SALU_CYCLE_1)
	s_or_b32 exec_lo, exec_lo, s57
	s_and_saveexec_b32 s46, s93
; %bb.180:                              ;   in Loop: Header=BB39_3 Depth=1
	s_delay_alu instid0(VALU_DEP_1) | instskip(NEXT) | instid1(VALU_DEP_2)
	v_xor_b32_e32 v47, 0x80000000, v3
	v_mov_b32_e32 v46, v2
	ds_store_b64 v77, v[46:47]
; %bb.181:                              ;   in Loop: Header=BB39_3 Depth=1
	s_or_b32 exec_lo, exec_lo, s46
	s_wait_loadcnt_dscnt 0x0
	s_barrier_signal -1
	s_barrier_wait -1
	s_and_saveexec_b32 s46, s94
	s_cbranch_execz .LBB39_183
; %bb.182:                              ;   in Loop: Header=BB39_3 Depth=1
	ds_load_b64 v[46:47], v74 offset:26496
	ds_load_b64 v[48:49], v77
	s_wait_dscnt 0x0
	v_fma_f64 v[2:3], -v[46:47], v[48:49], v[2:3]
.LBB39_183:                             ;   in Loop: Header=BB39_3 Depth=1
	s_or_b32 exec_lo, exec_lo, s46
	s_barrier_signal -1
	s_barrier_wait -1
	s_and_saveexec_b32 s46, s95
; %bb.184:                              ;   in Loop: Header=BB39_3 Depth=1
	s_delay_alu instid0(VALU_DEP_1) | instskip(NEXT) | instid1(VALU_DEP_2)
	v_xor_b32_e32 v47, 0x80000000, v3
	v_mov_b32_e32 v46, v2
	ds_store_b64 v77, v[46:47]
; %bb.185:                              ;   in Loop: Header=BB39_3 Depth=1
	s_or_b32 exec_lo, exec_lo, s46
	s_wait_dscnt 0x0
	s_barrier_signal -1
	s_barrier_wait -1
	s_and_saveexec_b32 s46, s96
	s_cbranch_execz .LBB39_187
; %bb.186:                              ;   in Loop: Header=BB39_3 Depth=1
	ds_load_b64 v[46:47], v74 offset:25984
	ds_load_b64 v[48:49], v77
	s_wait_dscnt 0x0
	v_fma_f64 v[2:3], -v[46:47], v[48:49], v[2:3]
.LBB39_187:                             ;   in Loop: Header=BB39_3 Depth=1
	s_or_b32 exec_lo, exec_lo, s46
	s_barrier_signal -1
	s_barrier_wait -1
	s_and_saveexec_b32 s46, s97
; %bb.188:                              ;   in Loop: Header=BB39_3 Depth=1
	s_delay_alu instid0(VALU_DEP_1) | instskip(NEXT) | instid1(VALU_DEP_2)
	v_xor_b32_e32 v47, 0x80000000, v3
	v_mov_b32_e32 v46, v2
	ds_store_b64 v77, v[46:47]
; %bb.189:                              ;   in Loop: Header=BB39_3 Depth=1
	s_or_b32 exec_lo, exec_lo, s46
	s_wait_dscnt 0x0
	s_barrier_signal -1
	s_barrier_wait -1
	s_and_saveexec_b32 s46, s98
	s_cbranch_execz .LBB39_191
; %bb.190:                              ;   in Loop: Header=BB39_3 Depth=1
	ds_load_b64 v[46:47], v7 offset:25472
	ds_load_b64 v[48:49], v77
	s_wait_dscnt 0x0
	v_fma_f64 v[2:3], -v[46:47], v[48:49], v[2:3]
.LBB39_191:                             ;   in Loop: Header=BB39_3 Depth=1
	s_or_b32 exec_lo, exec_lo, s46
	s_barrier_signal -1
	s_barrier_wait -1
	s_and_saveexec_b32 s46, s98
; %bb.192:                              ;   in Loop: Header=BB39_3 Depth=1
	s_delay_alu instid0(VALU_DEP_1) | instskip(NEXT) | instid1(VALU_DEP_2)
	v_xor_b32_e32 v47, 0x80000000, v3
	v_mov_b32_e32 v46, v2
	ds_store_b64 v77, v[46:47]
; %bb.193:                              ;   in Loop: Header=BB39_3 Depth=1
	s_or_b32 exec_lo, exec_lo, s46
	s_wait_dscnt 0x0
	s_barrier_signal -1
	s_barrier_wait -1
	s_barrier_signal -1
	s_barrier_wait -1
	s_and_saveexec_b32 s46, s2
; %bb.194:                              ;   in Loop: Header=BB39_3 Depth=1
	ds_store_b64 v79, v[2:3] offset:28544
; %bb.195:                              ;   in Loop: Header=BB39_3 Depth=1
	s_or_b32 exec_lo, exec_lo, s46
	s_wait_dscnt 0x0
	s_barrier_signal -1
	s_barrier_wait -1
	s_barrier_signal -1
	s_barrier_wait -1
	s_and_saveexec_b32 s46, s99
	s_cbranch_execz .LBB39_197
; %bb.196:                              ;   in Loop: Header=BB39_3 Depth=1
	ds_load_b64 v[2:3], v67 offset:27008
	s_wait_dscnt 0x0
	ds_store_b64 v68, v[2:3] offset:24992
	ds_load_b64 v[2:3], v67 offset:27016
	s_wait_dscnt 0x0
	ds_store_b64 v68, v[2:3] offset:25504
	;; [unrolled: 3-line block ×4, first 2 shown]
.LBB39_197:                             ;   in Loop: Header=BB39_3 Depth=1
	s_or_b32 exec_lo, exec_lo, s46
	s_wait_dscnt 0x0
	s_barrier_signal -1
	s_barrier_wait -1
	s_and_saveexec_b32 s46, s10
	s_cbranch_execz .LBB39_199
; %bb.198:                              ;   in Loop: Header=BB39_3 Depth=1
	ds_load_b64 v[2:3], v7 offset:26512
	v_mov_b32_e32 v0, v7
	ds_store_b64 v7, v[34:35] offset:26520
	s_wait_dscnt 0x1
	ds_store_b128 v7, v[0:3] offset:26000
.LBB39_199:                             ;   in Loop: Header=BB39_3 Depth=1
	s_or_b32 exec_lo, exec_lo, s46
	v_mov_b64_e32 v[2:3], 0
	s_wait_dscnt 0x0
	s_barrier_signal -1
	s_barrier_wait -1
	global_wb scope:SCOPE_DEV
	s_wait_storecnt 0x0
	global_inv scope:SCOPE_DEV
	s_and_saveexec_b32 s46, s0
	s_cbranch_execz .LBB39_203
; %bb.200:                              ;   in Loop: Header=BB39_3 Depth=1
	ds_load_b64 v[2:3], v72 offset:25984
	ds_load_b64 v[46:47], v57 offset:26512
	s_wait_dscnt 0x0
	v_fma_f64 v[2:3], v[2:3], v[46:47], 0
	s_and_saveexec_b32 s47, s11
	s_cbranch_execz .LBB39_202
; %bb.201:                              ;   in Loop: Header=BB39_3 Depth=1
	ds_load_b64 v[46:47], v68 offset:26496
	ds_load_b64 v[48:49], v7 offset:26520
	s_wait_dscnt 0x0
	v_fmac_f64_e32 v[2:3], v[46:47], v[48:49]
.LBB39_202:                             ;   in Loop: Header=BB39_3 Depth=1
	s_or_b32 exec_lo, exec_lo, s47
.LBB39_203:                             ;   in Loop: Header=BB39_3 Depth=1
	s_delay_alu instid0(SALU_CYCLE_1)
	s_or_b32 exec_lo, exec_lo, s46
	s_and_saveexec_b32 s46, s90
; %bb.204:                              ;   in Loop: Header=BB39_3 Depth=1
	s_delay_alu instid0(VALU_DEP_1) | instskip(NEXT) | instid1(VALU_DEP_2)
	v_xor_b32_e32 v47, 0x80000000, v3
	v_mov_b32_e32 v46, v2
	ds_store_b64 v73, v[46:47]
; %bb.205:                              ;   in Loop: Header=BB39_3 Depth=1
	s_or_b32 exec_lo, exec_lo, s46
	s_wait_loadcnt_dscnt 0x0
	s_barrier_signal -1
	s_barrier_wait -1
	s_and_saveexec_b32 s46, s91
	s_cbranch_execz .LBB39_207
; %bb.206:                              ;   in Loop: Header=BB39_3 Depth=1
	ds_load_b64 v[46:47], v7 offset:25472
	ds_load_b64 v[48:49], v73
	s_wait_dscnt 0x0
	v_fma_f64 v[2:3], -v[46:47], v[48:49], v[2:3]
.LBB39_207:                             ;   in Loop: Header=BB39_3 Depth=1
	s_or_b32 exec_lo, exec_lo, s46
	s_barrier_signal -1
	s_barrier_wait -1
	s_and_saveexec_b32 s46, s91
; %bb.208:                              ;   in Loop: Header=BB39_3 Depth=1
	s_delay_alu instid0(VALU_DEP_1) | instskip(NEXT) | instid1(VALU_DEP_2)
	v_xor_b32_e32 v47, 0x80000000, v3
	v_mov_b32_e32 v46, v2
	ds_store_b64 v73, v[46:47]
; %bb.209:                              ;   in Loop: Header=BB39_3 Depth=1
	s_or_b32 exec_lo, exec_lo, s46
	s_wait_dscnt 0x0
	s_barrier_signal -1
	s_barrier_wait -1
	s_barrier_signal -1
	s_barrier_wait -1
	s_and_saveexec_b32 s46, s0
; %bb.210:                              ;   in Loop: Header=BB39_3 Depth=1
	ds_store_b64 v75, v[2:3] offset:26496
; %bb.211:                              ;   in Loop: Header=BB39_3 Depth=1
	s_or_b32 exec_lo, exec_lo, s46
	s_wait_dscnt 0x0
	s_barrier_signal -1
	s_barrier_wait -1
	s_barrier_signal -1
	s_barrier_wait -1
	s_and_saveexec_b32 s46, s92
	s_cbranch_execz .LBB39_213
; %bb.212:                              ;   in Loop: Header=BB39_3 Depth=1
	ds_load_b64 v[2:3], v69 offset:25984
	s_wait_dscnt 0x0
	ds_store_b64 v68, v[2:3] offset:24976
	ds_load_b64 v[2:3], v69 offset:25992
	s_wait_dscnt 0x0
	ds_store_b64 v68, v[2:3] offset:25488
.LBB39_213:                             ;   in Loop: Header=BB39_3 Depth=1
	s_or_b32 exec_lo, exec_lo, s46
	s_wait_dscnt 0x0
	s_barrier_signal -1
	s_barrier_wait -1
	s_and_saveexec_b32 s46, s10
	s_cbranch_execz .LBB39_215
; %bb.214:                              ;   in Loop: Header=BB39_3 Depth=1
	ds_load_b64 v[2:3], v7 offset:25472
	v_mov_b32_e32 v0, v7
	ds_store_b64 v7, v[34:35] offset:25480
	s_wait_dscnt 0x1
	ds_store_b128 v7, v[0:3] offset:24960
.LBB39_215:                             ;   in Loop: Header=BB39_3 Depth=1
	s_or_b32 exec_lo, exec_lo, s46
	v_mov_b64_e32 v[2:3], 0
	s_wait_dscnt 0x0
	s_barrier_signal -1
	s_barrier_wait -1
	global_wb scope:SCOPE_DEV
	s_wait_storecnt 0x0
	global_inv scope:SCOPE_DEV
	s_and_saveexec_b32 s61, s4
	s_cbranch_execz .LBB39_243
; %bb.216:                              ;   in Loop: Header=BB39_3 Depth=1
	ds_load_b64 v[2:3], v78 offset:24832
	ds_load_b64 v[46:47], v65 offset:32640
	s_wait_dscnt 0x0
	v_fma_f64 v[2:3], v[2:3], v[46:47], 0
	s_mov_b32 s46, exec_lo
	v_readlane_b32 s47, v103, 19
	s_and_b32 s47, s46, s47
	s_delay_alu instid0(SALU_CYCLE_1)
	s_mov_b32 exec_lo, s47
	s_cbranch_execz .LBB39_218
; %bb.217:                              ;   in Loop: Header=BB39_3 Depth=1
	ds_load_b64 v[46:47], v78 offset:25344
	ds_load_b64 v[48:49], v65 offset:32648
	s_wait_dscnt 0x0
	v_fmac_f64_e32 v[2:3], v[46:47], v[48:49]
.LBB39_218:                             ;   in Loop: Header=BB39_3 Depth=1
	s_or_b32 exec_lo, exec_lo, s46
	s_delay_alu instid0(SALU_CYCLE_1) | instskip(SKIP_2) | instid1(SALU_CYCLE_1)
	s_mov_b32 s46, exec_lo
	v_readlane_b32 s47, v103, 20
	s_and_b32 s47, s46, s47
	s_mov_b32 exec_lo, s47
	s_cbranch_execz .LBB39_220
; %bb.219:                              ;   in Loop: Header=BB39_3 Depth=1
	ds_load_b64 v[46:47], v78 offset:25856
	ds_load_b64 v[48:49], v65 offset:32656
	s_wait_dscnt 0x0
	v_fmac_f64_e32 v[2:3], v[46:47], v[48:49]
.LBB39_220:                             ;   in Loop: Header=BB39_3 Depth=1
	s_or_b32 exec_lo, exec_lo, s46
	s_delay_alu instid0(SALU_CYCLE_1) | instskip(SKIP_2) | instid1(SALU_CYCLE_1)
	s_mov_b32 s46, exec_lo
	v_readlane_b32 s47, v103, 21
	s_and_b32 s47, s46, s47
	;; [unrolled: 13-line block ×10, first 2 shown]
	s_mov_b32 exec_lo, s47
	s_cbranch_execnz .LBB39_1077
; %bb.237:                              ;   in Loop: Header=BB39_3 Depth=1
	s_or_b32 exec_lo, exec_lo, s46
	s_and_saveexec_b32 s46, s3
	s_cbranch_execnz .LBB39_1078
.LBB39_238:                             ;   in Loop: Header=BB39_3 Depth=1
	s_or_b32 exec_lo, exec_lo, s46
	s_and_saveexec_b32 s46, s15
	s_cbranch_execnz .LBB39_1079
.LBB39_239:                             ;   in Loop: Header=BB39_3 Depth=1
	s_or_b32 exec_lo, exec_lo, s46
	s_and_saveexec_b32 s46, s17
	s_cbranch_execnz .LBB39_1080
.LBB39_240:                             ;   in Loop: Header=BB39_3 Depth=1
	s_or_b32 exec_lo, exec_lo, s46
	s_and_saveexec_b32 s46, s2
	s_cbranch_execz .LBB39_242
.LBB39_241:                             ;   in Loop: Header=BB39_3 Depth=1
	ds_load_b64 v[46:47], v11 offset:32512
	ds_load_b64 v[48:49], v7 offset:32760
	s_wait_dscnt 0x0
	v_fmac_f64_e32 v[2:3], v[46:47], v[48:49]
.LBB39_242:                             ;   in Loop: Header=BB39_3 Depth=1
	s_or_b32 exec_lo, exec_lo, s46
.LBB39_243:                             ;   in Loop: Header=BB39_3 Depth=1
	s_delay_alu instid0(SALU_CYCLE_1) | instskip(NEXT) | instid1(SALU_CYCLE_1)
	s_or_b32 exec_lo, exec_lo, s61
	s_mov_b32 s46, exec_lo
	v_readlane_b32 s47, v103, 2
	s_and_b32 s47, s46, s47
	s_delay_alu instid0(SALU_CYCLE_1)
	s_mov_b32 exec_lo, s47
; %bb.244:                              ;   in Loop: Header=BB39_3 Depth=1
	v_xor_b32_e32 v47, 0x80000000, v3
	v_mov_b32_e32 v46, v2
	ds_store_b64 v82, v[46:47]
; %bb.245:                              ;   in Loop: Header=BB39_3 Depth=1
	s_or_b32 exec_lo, exec_lo, s46
	s_wait_loadcnt_dscnt 0x0
	s_barrier_signal -1
	s_barrier_wait -1
	s_mov_b32 s46, exec_lo
	v_readlane_b32 s47, v103, 3
	s_and_b32 s47, s46, s47
	s_delay_alu instid0(SALU_CYCLE_1)
	s_mov_b32 exec_lo, s47
	s_cbranch_execz .LBB39_247
; %bb.246:                              ;   in Loop: Header=BB39_3 Depth=1
	ds_load_b64 v[46:47], v78 offset:24320
	ds_load_b64 v[48:49], v82
	s_wait_dscnt 0x0
	v_fma_f64 v[2:3], -v[46:47], v[48:49], v[2:3]
.LBB39_247:                             ;   in Loop: Header=BB39_3 Depth=1
	s_or_b32 exec_lo, exec_lo, s46
	s_barrier_signal -1
	s_barrier_wait -1
	s_mov_b32 s46, exec_lo
	v_readlane_b32 s47, v103, 4
	s_and_b32 s47, s46, s47
	s_delay_alu instid0(SALU_CYCLE_1)
	s_mov_b32 exec_lo, s47
; %bb.248:                              ;   in Loop: Header=BB39_3 Depth=1
	v_xor_b32_e32 v47, 0x80000000, v3
	v_mov_b32_e32 v46, v2
	ds_store_b64 v82, v[46:47]
; %bb.249:                              ;   in Loop: Header=BB39_3 Depth=1
	s_or_b32 exec_lo, exec_lo, s46
	s_wait_dscnt 0x0
	s_barrier_signal -1
	s_barrier_wait -1
	s_mov_b32 s46, exec_lo
	v_readlane_b32 s47, v103, 5
	s_and_b32 s47, s46, s47
	s_delay_alu instid0(SALU_CYCLE_1)
	s_mov_b32 exec_lo, s47
	s_cbranch_execz .LBB39_251
; %bb.250:                              ;   in Loop: Header=BB39_3 Depth=1
	ds_load_b64 v[46:47], v78 offset:23808
	ds_load_b64 v[48:49], v82
	s_wait_dscnt 0x0
	v_fma_f64 v[2:3], -v[46:47], v[48:49], v[2:3]
.LBB39_251:                             ;   in Loop: Header=BB39_3 Depth=1
	s_or_b32 exec_lo, exec_lo, s46
	s_barrier_signal -1
	s_barrier_wait -1
	s_mov_b32 s46, exec_lo
	v_readlane_b32 s47, v103, 6
	s_and_b32 s47, s46, s47
	s_delay_alu instid0(SALU_CYCLE_1)
	s_mov_b32 exec_lo, s47
; %bb.252:                              ;   in Loop: Header=BB39_3 Depth=1
	v_xor_b32_e32 v47, 0x80000000, v3
	v_mov_b32_e32 v46, v2
	ds_store_b64 v82, v[46:47]
; %bb.253:                              ;   in Loop: Header=BB39_3 Depth=1
	s_or_b32 exec_lo, exec_lo, s46
	s_wait_dscnt 0x0
	;; [unrolled: 29-line block ×3, first 2 shown]
	s_barrier_signal -1
	s_barrier_wait -1
	s_and_saveexec_b32 s46, s48
	s_cbranch_execz .LBB39_259
; %bb.258:                              ;   in Loop: Header=BB39_3 Depth=1
	ds_load_b64 v[46:47], v78 offset:22784
	ds_load_b64 v[48:49], v82
	s_wait_dscnt 0x0
	v_fma_f64 v[2:3], -v[46:47], v[48:49], v[2:3]
.LBB39_259:                             ;   in Loop: Header=BB39_3 Depth=1
	s_or_b32 exec_lo, exec_lo, s46
	s_barrier_signal -1
	s_barrier_wait -1
	s_and_saveexec_b32 s46, s49
; %bb.260:                              ;   in Loop: Header=BB39_3 Depth=1
	s_delay_alu instid0(VALU_DEP_1) | instskip(NEXT) | instid1(VALU_DEP_2)
	v_xor_b32_e32 v47, 0x80000000, v3
	v_mov_b32_e32 v46, v2
	ds_store_b64 v82, v[46:47]
; %bb.261:                              ;   in Loop: Header=BB39_3 Depth=1
	s_or_b32 exec_lo, exec_lo, s46
	s_wait_dscnt 0x0
	s_barrier_signal -1
	s_barrier_wait -1
	s_and_saveexec_b32 s46, s50
	s_cbranch_execz .LBB39_263
; %bb.262:                              ;   in Loop: Header=BB39_3 Depth=1
	ds_load_b64 v[46:47], v78 offset:22272
	ds_load_b64 v[48:49], v82
	s_wait_dscnt 0x0
	v_fma_f64 v[2:3], -v[46:47], v[48:49], v[2:3]
.LBB39_263:                             ;   in Loop: Header=BB39_3 Depth=1
	s_or_b32 exec_lo, exec_lo, s46
	s_barrier_signal -1
	s_barrier_wait -1
	s_and_saveexec_b32 s46, s51
; %bb.264:                              ;   in Loop: Header=BB39_3 Depth=1
	s_delay_alu instid0(VALU_DEP_1) | instskip(NEXT) | instid1(VALU_DEP_2)
	v_xor_b32_e32 v47, 0x80000000, v3
	v_mov_b32_e32 v46, v2
	ds_store_b64 v82, v[46:47]
; %bb.265:                              ;   in Loop: Header=BB39_3 Depth=1
	s_or_b32 exec_lo, exec_lo, s46
	s_wait_dscnt 0x0
	;; [unrolled: 22-line block ×12, first 2 shown]
	s_barrier_signal -1
	s_barrier_wait -1
	s_barrier_signal -1
	s_barrier_wait -1
	s_and_saveexec_b32 s46, s4
; %bb.306:                              ;   in Loop: Header=BB39_3 Depth=1
	ds_store_b64 v83, v[2:3] offset:32512
; %bb.307:                              ;   in Loop: Header=BB39_3 Depth=1
	s_or_b32 exec_lo, exec_lo, s46
	s_wait_dscnt 0x0
	s_barrier_signal -1
	s_barrier_wait -1
	s_barrier_signal -1
	s_barrier_wait -1
	s_and_saveexec_b32 s57, s43
	s_cbranch_execz .LBB39_309
; %bb.308:                              ;   in Loop: Header=BB39_3 Depth=1
	ds_load_b64 v[2:3], v50 offset:24832
	s_wait_dscnt 0x0
	ds_store_b64 v51, v[2:3] offset:16768
	ds_load_b64 v[2:3], v50 offset:24840
	s_wait_dscnt 0x0
	ds_store_b64 v51, v[2:3] offset:17280
	;; [unrolled: 3-line block ×16, first 2 shown]
.LBB39_309:                             ;   in Loop: Header=BB39_3 Depth=1
	s_or_b32 exec_lo, exec_lo, s57
	s_wait_dscnt 0x0
	s_barrier_signal -1
	s_barrier_wait -1
	s_and_saveexec_b32 s46, s10
	s_cbranch_execz .LBB39_311
; %bb.310:                              ;   in Loop: Header=BB39_3 Depth=1
	ds_load_b64 v[2:3], v7 offset:24432
	v_mov_b32_e32 v0, v7
	ds_store_b64 v7, v[34:35] offset:24440
	s_wait_dscnt 0x1
	ds_store_b128 v7, v[0:3] offset:23920
.LBB39_311:                             ;   in Loop: Header=BB39_3 Depth=1
	s_or_b32 exec_lo, exec_lo, s46
	v_mov_b64_e32 v[2:3], 0
	s_wait_dscnt 0x0
	s_barrier_signal -1
	s_barrier_wait -1
	global_wb scope:SCOPE_DEV
	s_wait_storecnt 0x0
	global_inv scope:SCOPE_DEV
	s_and_saveexec_b32 s46, s0
	s_cbranch_execz .LBB39_315
; %bb.312:                              ;   in Loop: Header=BB39_3 Depth=1
	ds_load_b64 v[2:3], v72 offset:23904
	ds_load_b64 v[46:47], v57 offset:24432
	s_wait_dscnt 0x0
	v_fma_f64 v[2:3], v[2:3], v[46:47], 0
	s_and_saveexec_b32 s47, s11
	s_cbranch_execz .LBB39_314
; %bb.313:                              ;   in Loop: Header=BB39_3 Depth=1
	ds_load_b64 v[46:47], v11 offset:24416
	ds_load_b64 v[48:49], v7 offset:24440
	s_wait_dscnt 0x0
	v_fmac_f64_e32 v[2:3], v[46:47], v[48:49]
.LBB39_314:                             ;   in Loop: Header=BB39_3 Depth=1
	s_or_b32 exec_lo, exec_lo, s47
.LBB39_315:                             ;   in Loop: Header=BB39_3 Depth=1
	s_delay_alu instid0(SALU_CYCLE_1)
	s_or_b32 exec_lo, exec_lo, s46
	s_and_saveexec_b32 s46, s90
; %bb.316:                              ;   in Loop: Header=BB39_3 Depth=1
	s_delay_alu instid0(VALU_DEP_1) | instskip(NEXT) | instid1(VALU_DEP_2)
	v_xor_b32_e32 v47, 0x80000000, v3
	v_mov_b32_e32 v46, v2
	ds_store_b64 v73, v[46:47]
; %bb.317:                              ;   in Loop: Header=BB39_3 Depth=1
	s_or_b32 exec_lo, exec_lo, s46
	s_wait_loadcnt_dscnt 0x0
	s_barrier_signal -1
	s_barrier_wait -1
	s_and_saveexec_b32 s46, s91
	s_cbranch_execz .LBB39_319
; %bb.318:                              ;   in Loop: Header=BB39_3 Depth=1
	ds_load_b64 v[46:47], v7 offset:23392
	ds_load_b64 v[48:49], v73
	s_wait_dscnt 0x0
	v_fma_f64 v[2:3], -v[46:47], v[48:49], v[2:3]
.LBB39_319:                             ;   in Loop: Header=BB39_3 Depth=1
	s_or_b32 exec_lo, exec_lo, s46
	s_barrier_signal -1
	s_barrier_wait -1
	s_and_saveexec_b32 s46, s91
; %bb.320:                              ;   in Loop: Header=BB39_3 Depth=1
	s_delay_alu instid0(VALU_DEP_1) | instskip(NEXT) | instid1(VALU_DEP_2)
	v_xor_b32_e32 v47, 0x80000000, v3
	v_mov_b32_e32 v46, v2
	ds_store_b64 v73, v[46:47]
; %bb.321:                              ;   in Loop: Header=BB39_3 Depth=1
	s_or_b32 exec_lo, exec_lo, s46
	s_wait_dscnt 0x0
	s_barrier_signal -1
	s_barrier_wait -1
	s_barrier_signal -1
	s_barrier_wait -1
	s_and_saveexec_b32 s46, s0
; %bb.322:                              ;   in Loop: Header=BB39_3 Depth=1
	ds_store_b64 v75, v[2:3] offset:24416
; %bb.323:                              ;   in Loop: Header=BB39_3 Depth=1
	s_or_b32 exec_lo, exec_lo, s46
	s_wait_dscnt 0x0
	s_barrier_signal -1
	s_barrier_wait -1
	s_barrier_signal -1
	s_barrier_wait -1
	s_and_saveexec_b32 s46, s92
	s_cbranch_execz .LBB39_325
; %bb.324:                              ;   in Loop: Header=BB39_3 Depth=1
	ds_load_b64 v[2:3], v50 offset:23904
	s_wait_dscnt 0x0
	ds_store_b64 v11, v[2:3] offset:22896
	ds_load_b64 v[2:3], v50 offset:23912
	s_wait_dscnt 0x0
	ds_store_b64 v11, v[2:3] offset:23408
.LBB39_325:                             ;   in Loop: Header=BB39_3 Depth=1
	s_or_b32 exec_lo, exec_lo, s46
	s_wait_dscnt 0x0
	s_barrier_signal -1
	s_barrier_wait -1
	s_and_saveexec_b32 s46, s10
	s_cbranch_execz .LBB39_327
; %bb.326:                              ;   in Loop: Header=BB39_3 Depth=1
	ds_load_b64 v[2:3], v7 offset:23392
	v_mov_b32_e32 v0, v7
	ds_store_b64 v7, v[34:35] offset:23400
	s_wait_dscnt 0x1
	ds_store_b128 v7, v[0:3] offset:22880
.LBB39_327:                             ;   in Loop: Header=BB39_3 Depth=1
	s_or_b32 exec_lo, exec_lo, s46
	v_mov_b64_e32 v[2:3], 0
	s_wait_dscnt 0x0
	s_barrier_signal -1
	s_barrier_wait -1
	global_wb scope:SCOPE_DEV
	s_wait_storecnt 0x0
	global_inv scope:SCOPE_DEV
	s_and_saveexec_b32 s57, s2
	s_cbranch_execz .LBB39_333
; %bb.328:                              ;   in Loop: Header=BB39_3 Depth=1
	ds_load_b64 v[2:3], v74 offset:22848
	ds_load_b64 v[46:47], v59 offset:24416
	s_wait_dscnt 0x0
	v_fma_f64 v[2:3], v[2:3], v[46:47], 0
	s_and_saveexec_b32 s46, s12
	s_cbranch_execnz .LBB39_1081
; %bb.329:                              ;   in Loop: Header=BB39_3 Depth=1
	s_or_b32 exec_lo, exec_lo, s46
	s_and_saveexec_b32 s46, s13
	s_cbranch_execnz .LBB39_1082
.LBB39_330:                             ;   in Loop: Header=BB39_3 Depth=1
	s_or_b32 exec_lo, exec_lo, s46
	s_and_saveexec_b32 s46, s0
	s_cbranch_execz .LBB39_332
.LBB39_331:                             ;   in Loop: Header=BB39_3 Depth=1
	ds_load_b64 v[46:47], v51 offset:24384
	ds_load_b64 v[48:49], v7 offset:24440
	s_wait_dscnt 0x0
	v_fmac_f64_e32 v[2:3], v[46:47], v[48:49]
.LBB39_332:                             ;   in Loop: Header=BB39_3 Depth=1
	s_or_b32 exec_lo, exec_lo, s46
.LBB39_333:                             ;   in Loop: Header=BB39_3 Depth=1
	s_delay_alu instid0(SALU_CYCLE_1)
	s_or_b32 exec_lo, exec_lo, s57
	s_and_saveexec_b32 s46, s93
; %bb.334:                              ;   in Loop: Header=BB39_3 Depth=1
	s_delay_alu instid0(VALU_DEP_1) | instskip(NEXT) | instid1(VALU_DEP_2)
	v_xor_b32_e32 v47, 0x80000000, v3
	v_mov_b32_e32 v46, v2
	ds_store_b64 v77, v[46:47]
; %bb.335:                              ;   in Loop: Header=BB39_3 Depth=1
	s_or_b32 exec_lo, exec_lo, s46
	s_wait_loadcnt_dscnt 0x0
	s_barrier_signal -1
	s_barrier_wait -1
	s_and_saveexec_b32 s46, s94
	s_cbranch_execz .LBB39_337
; %bb.336:                              ;   in Loop: Header=BB39_3 Depth=1
	ds_load_b64 v[46:47], v74 offset:22336
	ds_load_b64 v[48:49], v77
	s_wait_dscnt 0x0
	v_fma_f64 v[2:3], -v[46:47], v[48:49], v[2:3]
.LBB39_337:                             ;   in Loop: Header=BB39_3 Depth=1
	s_or_b32 exec_lo, exec_lo, s46
	s_barrier_signal -1
	s_barrier_wait -1
	s_and_saveexec_b32 s46, s95
; %bb.338:                              ;   in Loop: Header=BB39_3 Depth=1
	s_delay_alu instid0(VALU_DEP_1) | instskip(NEXT) | instid1(VALU_DEP_2)
	v_xor_b32_e32 v47, 0x80000000, v3
	v_mov_b32_e32 v46, v2
	ds_store_b64 v77, v[46:47]
; %bb.339:                              ;   in Loop: Header=BB39_3 Depth=1
	s_or_b32 exec_lo, exec_lo, s46
	s_wait_dscnt 0x0
	s_barrier_signal -1
	s_barrier_wait -1
	s_and_saveexec_b32 s46, s96
	s_cbranch_execz .LBB39_341
; %bb.340:                              ;   in Loop: Header=BB39_3 Depth=1
	ds_load_b64 v[46:47], v74 offset:21824
	ds_load_b64 v[48:49], v77
	s_wait_dscnt 0x0
	v_fma_f64 v[2:3], -v[46:47], v[48:49], v[2:3]
.LBB39_341:                             ;   in Loop: Header=BB39_3 Depth=1
	s_or_b32 exec_lo, exec_lo, s46
	s_barrier_signal -1
	s_barrier_wait -1
	s_and_saveexec_b32 s46, s97
; %bb.342:                              ;   in Loop: Header=BB39_3 Depth=1
	s_delay_alu instid0(VALU_DEP_1) | instskip(NEXT) | instid1(VALU_DEP_2)
	v_xor_b32_e32 v47, 0x80000000, v3
	v_mov_b32_e32 v46, v2
	ds_store_b64 v77, v[46:47]
; %bb.343:                              ;   in Loop: Header=BB39_3 Depth=1
	s_or_b32 exec_lo, exec_lo, s46
	s_wait_dscnt 0x0
	;; [unrolled: 22-line block ×3, first 2 shown]
	s_barrier_signal -1
	s_barrier_wait -1
	s_barrier_signal -1
	s_barrier_wait -1
	s_and_saveexec_b32 s46, s2
; %bb.348:                              ;   in Loop: Header=BB39_3 Depth=1
	ds_store_b64 v79, v[2:3] offset:24384
; %bb.349:                              ;   in Loop: Header=BB39_3 Depth=1
	s_or_b32 exec_lo, exec_lo, s46
	s_wait_dscnt 0x0
	s_barrier_signal -1
	s_barrier_wait -1
	s_barrier_signal -1
	s_barrier_wait -1
	s_and_saveexec_b32 s46, s99
	s_cbranch_execz .LBB39_351
; %bb.350:                              ;   in Loop: Header=BB39_3 Depth=1
	ds_load_b64 v[2:3], v52 offset:22848
	s_wait_dscnt 0x0
	ds_store_b64 v53, v[2:3] offset:20832
	ds_load_b64 v[2:3], v52 offset:22856
	s_wait_dscnt 0x0
	ds_store_b64 v53, v[2:3] offset:21344
	;; [unrolled: 3-line block ×4, first 2 shown]
.LBB39_351:                             ;   in Loop: Header=BB39_3 Depth=1
	s_or_b32 exec_lo, exec_lo, s46
	s_wait_dscnt 0x0
	s_barrier_signal -1
	s_barrier_wait -1
	s_and_saveexec_b32 s46, s10
	s_cbranch_execz .LBB39_353
; %bb.352:                              ;   in Loop: Header=BB39_3 Depth=1
	ds_load_b64 v[2:3], v7 offset:22352
	v_mov_b32_e32 v0, v7
	ds_store_b64 v7, v[34:35] offset:22360
	s_wait_dscnt 0x1
	ds_store_b128 v7, v[0:3] offset:21840
.LBB39_353:                             ;   in Loop: Header=BB39_3 Depth=1
	s_or_b32 exec_lo, exec_lo, s46
	v_mov_b64_e32 v[2:3], 0
	s_wait_dscnt 0x0
	s_barrier_signal -1
	s_barrier_wait -1
	global_wb scope:SCOPE_DEV
	s_wait_storecnt 0x0
	global_inv scope:SCOPE_DEV
	s_and_saveexec_b32 s46, s0
	s_cbranch_execz .LBB39_357
; %bb.354:                              ;   in Loop: Header=BB39_3 Depth=1
	ds_load_b64 v[2:3], v72 offset:21824
	ds_load_b64 v[46:47], v57 offset:22352
	s_wait_dscnt 0x0
	v_fma_f64 v[2:3], v[2:3], v[46:47], 0
	s_and_saveexec_b32 s47, s11
	s_cbranch_execz .LBB39_356
; %bb.355:                              ;   in Loop: Header=BB39_3 Depth=1
	ds_load_b64 v[46:47], v53 offset:22336
	ds_load_b64 v[48:49], v7 offset:22360
	s_wait_dscnt 0x0
	v_fmac_f64_e32 v[2:3], v[46:47], v[48:49]
.LBB39_356:                             ;   in Loop: Header=BB39_3 Depth=1
	s_or_b32 exec_lo, exec_lo, s47
.LBB39_357:                             ;   in Loop: Header=BB39_3 Depth=1
	s_delay_alu instid0(SALU_CYCLE_1)
	s_or_b32 exec_lo, exec_lo, s46
	s_and_saveexec_b32 s46, s90
; %bb.358:                              ;   in Loop: Header=BB39_3 Depth=1
	s_delay_alu instid0(VALU_DEP_1) | instskip(NEXT) | instid1(VALU_DEP_2)
	v_xor_b32_e32 v47, 0x80000000, v3
	v_mov_b32_e32 v46, v2
	ds_store_b64 v73, v[46:47]
; %bb.359:                              ;   in Loop: Header=BB39_3 Depth=1
	s_or_b32 exec_lo, exec_lo, s46
	s_wait_loadcnt_dscnt 0x0
	s_barrier_signal -1
	s_barrier_wait -1
	s_and_saveexec_b32 s46, s91
	s_cbranch_execz .LBB39_361
; %bb.360:                              ;   in Loop: Header=BB39_3 Depth=1
	ds_load_b64 v[46:47], v7 offset:21312
	ds_load_b64 v[48:49], v73
	s_wait_dscnt 0x0
	v_fma_f64 v[2:3], -v[46:47], v[48:49], v[2:3]
.LBB39_361:                             ;   in Loop: Header=BB39_3 Depth=1
	s_or_b32 exec_lo, exec_lo, s46
	s_barrier_signal -1
	s_barrier_wait -1
	s_and_saveexec_b32 s46, s91
; %bb.362:                              ;   in Loop: Header=BB39_3 Depth=1
	s_delay_alu instid0(VALU_DEP_1) | instskip(NEXT) | instid1(VALU_DEP_2)
	v_xor_b32_e32 v47, 0x80000000, v3
	v_mov_b32_e32 v46, v2
	ds_store_b64 v73, v[46:47]
; %bb.363:                              ;   in Loop: Header=BB39_3 Depth=1
	s_or_b32 exec_lo, exec_lo, s46
	s_wait_dscnt 0x0
	s_barrier_signal -1
	s_barrier_wait -1
	s_barrier_signal -1
	s_barrier_wait -1
	s_and_saveexec_b32 s46, s0
; %bb.364:                              ;   in Loop: Header=BB39_3 Depth=1
	ds_store_b64 v75, v[2:3] offset:22336
; %bb.365:                              ;   in Loop: Header=BB39_3 Depth=1
	s_or_b32 exec_lo, exec_lo, s46
	s_wait_dscnt 0x0
	s_barrier_signal -1
	s_barrier_wait -1
	s_barrier_signal -1
	s_barrier_wait -1
	s_and_saveexec_b32 s46, s92
	s_cbranch_execz .LBB39_367
; %bb.366:                              ;   in Loop: Header=BB39_3 Depth=1
	ds_load_b64 v[2:3], v54 offset:21824
	s_wait_dscnt 0x0
	ds_store_b64 v53, v[2:3] offset:20816
	ds_load_b64 v[2:3], v54 offset:21832
	s_wait_dscnt 0x0
	ds_store_b64 v53, v[2:3] offset:21328
.LBB39_367:                             ;   in Loop: Header=BB39_3 Depth=1
	s_or_b32 exec_lo, exec_lo, s46
	s_wait_dscnt 0x0
	s_barrier_signal -1
	s_barrier_wait -1
	s_and_saveexec_b32 s46, s10
	s_cbranch_execz .LBB39_369
; %bb.368:                              ;   in Loop: Header=BB39_3 Depth=1
	ds_load_b64 v[2:3], v7 offset:21312
	v_mov_b32_e32 v0, v7
	ds_store_b64 v7, v[34:35] offset:21320
	s_wait_dscnt 0x1
	ds_store_b128 v7, v[0:3] offset:20800
.LBB39_369:                             ;   in Loop: Header=BB39_3 Depth=1
	s_or_b32 exec_lo, exec_lo, s46
	v_mov_b64_e32 v[2:3], 0
	s_wait_dscnt 0x0
	s_barrier_signal -1
	s_barrier_wait -1
	global_wb scope:SCOPE_DEV
	s_wait_storecnt 0x0
	global_inv scope:SCOPE_DEV
	s_and_saveexec_b32 s57, s3
	s_cbranch_execz .LBB39_379
; %bb.370:                              ;   in Loop: Header=BB39_3 Depth=1
	ds_load_b64 v[2:3], v76 offset:20736
	ds_load_b64 v[46:47], v63 offset:24384
	s_wait_dscnt 0x0
	v_fma_f64 v[2:3], v[2:3], v[46:47], 0
	s_and_saveexec_b32 s46, s14
	s_cbranch_execnz .LBB39_1083
; %bb.371:                              ;   in Loop: Header=BB39_3 Depth=1
	s_or_b32 exec_lo, exec_lo, s46
	s_and_saveexec_b32 s46, s15
	s_cbranch_execnz .LBB39_1084
.LBB39_372:                             ;   in Loop: Header=BB39_3 Depth=1
	s_or_b32 exec_lo, exec_lo, s46
	s_and_saveexec_b32 s46, s16
	s_cbranch_execnz .LBB39_1085
.LBB39_373:                             ;   in Loop: Header=BB39_3 Depth=1
	s_or_b32 exec_lo, exec_lo, s46
	s_and_saveexec_b32 s46, s17
	s_cbranch_execnz .LBB39_1086
.LBB39_374:                             ;   in Loop: Header=BB39_3 Depth=1
	s_or_b32 exec_lo, exec_lo, s46
	s_and_saveexec_b32 s46, s18
	s_cbranch_execnz .LBB39_1087
.LBB39_375:                             ;   in Loop: Header=BB39_3 Depth=1
	s_or_b32 exec_lo, exec_lo, s46
	s_and_saveexec_b32 s46, s2
	s_cbranch_execnz .LBB39_1088
.LBB39_376:                             ;   in Loop: Header=BB39_3 Depth=1
	s_or_b32 exec_lo, exec_lo, s46
	s_and_saveexec_b32 s46, s13
	s_cbranch_execz .LBB39_378
.LBB39_377:                             ;   in Loop: Header=BB39_3 Depth=1
	ds_load_b64 v[46:47], v55 offset:24320
	ds_load_b64 v[48:49], v7 offset:24440
	s_wait_dscnt 0x0
	v_fmac_f64_e32 v[2:3], v[46:47], v[48:49]
.LBB39_378:                             ;   in Loop: Header=BB39_3 Depth=1
	s_or_b32 exec_lo, exec_lo, s46
.LBB39_379:                             ;   in Loop: Header=BB39_3 Depth=1
	s_delay_alu instid0(SALU_CYCLE_1)
	s_or_b32 exec_lo, exec_lo, s57
	s_and_saveexec_b32 s46, s100
; %bb.380:                              ;   in Loop: Header=BB39_3 Depth=1
	s_delay_alu instid0(VALU_DEP_1) | instskip(NEXT) | instid1(VALU_DEP_2)
	v_xor_b32_e32 v47, 0x80000000, v3
	v_mov_b32_e32 v46, v2
	ds_store_b64 v80, v[46:47]
; %bb.381:                              ;   in Loop: Header=BB39_3 Depth=1
	s_or_b32 exec_lo, exec_lo, s46
	s_wait_loadcnt_dscnt 0x0
	s_barrier_signal -1
	s_barrier_wait -1
	s_and_saveexec_b32 s46, s101
	s_cbranch_execz .LBB39_383
; %bb.382:                              ;   in Loop: Header=BB39_3 Depth=1
	ds_load_b64 v[46:47], v76 offset:20224
	ds_load_b64 v[48:49], v80
	s_wait_dscnt 0x0
	v_fma_f64 v[2:3], -v[46:47], v[48:49], v[2:3]
.LBB39_383:                             ;   in Loop: Header=BB39_3 Depth=1
	s_or_b32 exec_lo, exec_lo, s46
	s_barrier_signal -1
	s_barrier_wait -1
	s_and_saveexec_b32 s46, s102
; %bb.384:                              ;   in Loop: Header=BB39_3 Depth=1
	s_delay_alu instid0(VALU_DEP_1) | instskip(NEXT) | instid1(VALU_DEP_2)
	v_xor_b32_e32 v47, 0x80000000, v3
	v_mov_b32_e32 v46, v2
	ds_store_b64 v80, v[46:47]
; %bb.385:                              ;   in Loop: Header=BB39_3 Depth=1
	s_or_b32 exec_lo, exec_lo, s46
	s_wait_dscnt 0x0
	s_barrier_signal -1
	s_barrier_wait -1
	s_and_saveexec_b32 s46, s103
	s_cbranch_execz .LBB39_387
; %bb.386:                              ;   in Loop: Header=BB39_3 Depth=1
	ds_load_b64 v[46:47], v76 offset:19712
	ds_load_b64 v[48:49], v80
	s_wait_dscnt 0x0
	v_fma_f64 v[2:3], -v[46:47], v[48:49], v[2:3]
.LBB39_387:                             ;   in Loop: Header=BB39_3 Depth=1
	s_or_b32 exec_lo, exec_lo, s46
	s_barrier_signal -1
	s_barrier_wait -1
	s_and_saveexec_b32 s46, s104
; %bb.388:                              ;   in Loop: Header=BB39_3 Depth=1
	s_delay_alu instid0(VALU_DEP_1) | instskip(NEXT) | instid1(VALU_DEP_2)
	v_xor_b32_e32 v47, 0x80000000, v3
	v_mov_b32_e32 v46, v2
	ds_store_b64 v80, v[46:47]
; %bb.389:                              ;   in Loop: Header=BB39_3 Depth=1
	s_or_b32 exec_lo, exec_lo, s46
	s_wait_dscnt 0x0
	s_barrier_signal -1
	s_barrier_wait -1
	s_and_saveexec_b32 s46, vcc_hi
	s_cbranch_execz .LBB39_391
; %bb.390:                              ;   in Loop: Header=BB39_3 Depth=1
	ds_load_b64 v[46:47], v76 offset:19200
	ds_load_b64 v[48:49], v80
	s_wait_dscnt 0x0
	v_fma_f64 v[2:3], -v[46:47], v[48:49], v[2:3]
.LBB39_391:                             ;   in Loop: Header=BB39_3 Depth=1
	s_or_b32 exec_lo, exec_lo, s46
	s_barrier_signal -1
	s_barrier_wait -1
	s_and_saveexec_b32 s46, s31
; %bb.392:                              ;   in Loop: Header=BB39_3 Depth=1
	s_delay_alu instid0(VALU_DEP_1) | instskip(NEXT) | instid1(VALU_DEP_2)
	v_xor_b32_e32 v47, 0x80000000, v3
	v_mov_b32_e32 v46, v2
	ds_store_b64 v80, v[46:47]
; %bb.393:                              ;   in Loop: Header=BB39_3 Depth=1
	s_or_b32 exec_lo, exec_lo, s46
	s_wait_dscnt 0x0
	s_barrier_signal -1
	s_barrier_wait -1
	s_and_saveexec_b32 s46, s33
	s_cbranch_execz .LBB39_395
; %bb.394:                              ;   in Loop: Header=BB39_3 Depth=1
	ds_load_b64 v[46:47], v76 offset:18688
	ds_load_b64 v[48:49], v80
	s_wait_dscnt 0x0
	v_fma_f64 v[2:3], -v[46:47], v[48:49], v[2:3]
.LBB39_395:                             ;   in Loop: Header=BB39_3 Depth=1
	s_or_b32 exec_lo, exec_lo, s46
	s_barrier_signal -1
	s_barrier_wait -1
	s_and_saveexec_b32 s46, s34
; %bb.396:                              ;   in Loop: Header=BB39_3 Depth=1
	s_delay_alu instid0(VALU_DEP_1) | instskip(NEXT) | instid1(VALU_DEP_2)
	v_xor_b32_e32 v47, 0x80000000, v3
	v_mov_b32_e32 v46, v2
	ds_store_b64 v80, v[46:47]
; %bb.397:                              ;   in Loop: Header=BB39_3 Depth=1
	s_or_b32 exec_lo, exec_lo, s46
	s_wait_dscnt 0x0
	s_barrier_signal -1
	s_barrier_wait -1
	s_and_saveexec_b32 s46, s35
	;; [unrolled: 22-line block ×4, first 2 shown]
	s_cbranch_execz .LBB39_407
; %bb.406:                              ;   in Loop: Header=BB39_3 Depth=1
	ds_load_b64 v[46:47], v7 offset:17152
	ds_load_b64 v[48:49], v80
	s_wait_dscnt 0x0
	v_fma_f64 v[2:3], -v[46:47], v[48:49], v[2:3]
.LBB39_407:                             ;   in Loop: Header=BB39_3 Depth=1
	s_or_b32 exec_lo, exec_lo, s46
	s_barrier_signal -1
	s_barrier_wait -1
	s_and_saveexec_b32 s46, s39
; %bb.408:                              ;   in Loop: Header=BB39_3 Depth=1
	s_delay_alu instid0(VALU_DEP_1) | instskip(NEXT) | instid1(VALU_DEP_2)
	v_xor_b32_e32 v47, 0x80000000, v3
	v_mov_b32_e32 v46, v2
	ds_store_b64 v80, v[46:47]
; %bb.409:                              ;   in Loop: Header=BB39_3 Depth=1
	s_or_b32 exec_lo, exec_lo, s46
	s_wait_dscnt 0x0
	s_barrier_signal -1
	s_barrier_wait -1
	s_barrier_signal -1
	s_barrier_wait -1
	s_and_saveexec_b32 s46, s3
; %bb.410:                              ;   in Loop: Header=BB39_3 Depth=1
	ds_store_b64 v81, v[2:3] offset:24320
; %bb.411:                              ;   in Loop: Header=BB39_3 Depth=1
	s_or_b32 exec_lo, exec_lo, s46
	s_wait_dscnt 0x0
	s_barrier_signal -1
	s_barrier_wait -1
	s_barrier_signal -1
	s_barrier_wait -1
	s_and_saveexec_b32 s46, s40
	s_cbranch_execz .LBB39_413
; %bb.412:                              ;   in Loop: Header=BB39_3 Depth=1
	ds_load_b64 v[2:3], v56 offset:20736
	s_wait_dscnt 0x0
	ds_store_b64 v58, v[2:3] offset:16704
	ds_load_b64 v[2:3], v56 offset:20744
	s_wait_dscnt 0x0
	ds_store_b64 v58, v[2:3] offset:17216
	;; [unrolled: 3-line block ×8, first 2 shown]
.LBB39_413:                             ;   in Loop: Header=BB39_3 Depth=1
	s_or_b32 exec_lo, exec_lo, s46
	s_wait_dscnt 0x0
	s_barrier_signal -1
	s_barrier_wait -1
	s_and_saveexec_b32 s46, s10
	s_cbranch_execz .LBB39_415
; %bb.414:                              ;   in Loop: Header=BB39_3 Depth=1
	ds_load_b64 v[2:3], v7 offset:20272
	v_mov_b32_e32 v0, v7
	ds_store_b64 v7, v[34:35] offset:20280
	s_wait_dscnt 0x1
	ds_store_b128 v7, v[0:3] offset:19760
.LBB39_415:                             ;   in Loop: Header=BB39_3 Depth=1
	s_or_b32 exec_lo, exec_lo, s46
	v_mov_b64_e32 v[2:3], 0
	s_wait_dscnt 0x0
	s_barrier_signal -1
	s_barrier_wait -1
	global_wb scope:SCOPE_DEV
	s_wait_storecnt 0x0
	global_inv scope:SCOPE_DEV
	s_and_saveexec_b32 s46, s0
	s_cbranch_execz .LBB39_419
; %bb.416:                              ;   in Loop: Header=BB39_3 Depth=1
	ds_load_b64 v[2:3], v72 offset:19744
	ds_load_b64 v[46:47], v57 offset:20272
	s_wait_dscnt 0x0
	v_fma_f64 v[2:3], v[2:3], v[46:47], 0
	s_and_saveexec_b32 s47, s11
	s_cbranch_execz .LBB39_418
; %bb.417:                              ;   in Loop: Header=BB39_3 Depth=1
	ds_load_b64 v[46:47], v58 offset:20256
	ds_load_b64 v[48:49], v7 offset:20280
	s_wait_dscnt 0x0
	v_fmac_f64_e32 v[2:3], v[46:47], v[48:49]
.LBB39_418:                             ;   in Loop: Header=BB39_3 Depth=1
	s_or_b32 exec_lo, exec_lo, s47
.LBB39_419:                             ;   in Loop: Header=BB39_3 Depth=1
	s_delay_alu instid0(SALU_CYCLE_1)
	s_or_b32 exec_lo, exec_lo, s46
	s_and_saveexec_b32 s46, s90
; %bb.420:                              ;   in Loop: Header=BB39_3 Depth=1
	s_delay_alu instid0(VALU_DEP_1) | instskip(NEXT) | instid1(VALU_DEP_2)
	v_xor_b32_e32 v47, 0x80000000, v3
	v_mov_b32_e32 v46, v2
	ds_store_b64 v73, v[46:47]
; %bb.421:                              ;   in Loop: Header=BB39_3 Depth=1
	s_or_b32 exec_lo, exec_lo, s46
	s_wait_loadcnt_dscnt 0x0
	s_barrier_signal -1
	s_barrier_wait -1
	s_and_saveexec_b32 s46, s91
	s_cbranch_execz .LBB39_423
; %bb.422:                              ;   in Loop: Header=BB39_3 Depth=1
	ds_load_b64 v[46:47], v7 offset:19232
	ds_load_b64 v[48:49], v73
	s_wait_dscnt 0x0
	v_fma_f64 v[2:3], -v[46:47], v[48:49], v[2:3]
.LBB39_423:                             ;   in Loop: Header=BB39_3 Depth=1
	s_or_b32 exec_lo, exec_lo, s46
	s_barrier_signal -1
	s_barrier_wait -1
	s_and_saveexec_b32 s46, s91
; %bb.424:                              ;   in Loop: Header=BB39_3 Depth=1
	s_delay_alu instid0(VALU_DEP_1) | instskip(NEXT) | instid1(VALU_DEP_2)
	v_xor_b32_e32 v47, 0x80000000, v3
	v_mov_b32_e32 v46, v2
	ds_store_b64 v73, v[46:47]
; %bb.425:                              ;   in Loop: Header=BB39_3 Depth=1
	s_or_b32 exec_lo, exec_lo, s46
	s_wait_dscnt 0x0
	s_barrier_signal -1
	s_barrier_wait -1
	s_barrier_signal -1
	s_barrier_wait -1
	s_and_saveexec_b32 s46, s0
; %bb.426:                              ;   in Loop: Header=BB39_3 Depth=1
	ds_store_b64 v75, v[2:3] offset:20256
; %bb.427:                              ;   in Loop: Header=BB39_3 Depth=1
	s_or_b32 exec_lo, exec_lo, s46
	s_wait_dscnt 0x0
	s_barrier_signal -1
	s_barrier_wait -1
	s_barrier_signal -1
	s_barrier_wait -1
	s_and_saveexec_b32 s46, s92
	s_cbranch_execz .LBB39_429
; %bb.428:                              ;   in Loop: Header=BB39_3 Depth=1
	ds_load_b64 v[2:3], v60 offset:19744
	s_wait_dscnt 0x0
	ds_store_b64 v58, v[2:3] offset:18736
	ds_load_b64 v[2:3], v60 offset:19752
	s_wait_dscnt 0x0
	ds_store_b64 v58, v[2:3] offset:19248
.LBB39_429:                             ;   in Loop: Header=BB39_3 Depth=1
	s_or_b32 exec_lo, exec_lo, s46
	s_wait_dscnt 0x0
	s_barrier_signal -1
	s_barrier_wait -1
	s_and_saveexec_b32 s46, s10
	s_cbranch_execz .LBB39_431
; %bb.430:                              ;   in Loop: Header=BB39_3 Depth=1
	ds_load_b64 v[2:3], v7 offset:19232
	v_mov_b32_e32 v0, v7
	ds_store_b64 v7, v[34:35] offset:19240
	s_wait_dscnt 0x1
	ds_store_b128 v7, v[0:3] offset:18720
.LBB39_431:                             ;   in Loop: Header=BB39_3 Depth=1
	s_or_b32 exec_lo, exec_lo, s46
	v_mov_b64_e32 v[2:3], 0
	s_wait_dscnt 0x0
	s_barrier_signal -1
	s_barrier_wait -1
	global_wb scope:SCOPE_DEV
	s_wait_storecnt 0x0
	global_inv scope:SCOPE_DEV
	s_and_saveexec_b32 s57, s2
	s_cbranch_execz .LBB39_437
; %bb.432:                              ;   in Loop: Header=BB39_3 Depth=1
	ds_load_b64 v[2:3], v74 offset:18688
	ds_load_b64 v[46:47], v59 offset:20256
	s_wait_dscnt 0x0
	v_fma_f64 v[2:3], v[2:3], v[46:47], 0
	s_and_saveexec_b32 s46, s12
	s_cbranch_execnz .LBB39_1089
; %bb.433:                              ;   in Loop: Header=BB39_3 Depth=1
	s_or_b32 exec_lo, exec_lo, s46
	s_and_saveexec_b32 s46, s13
	s_cbranch_execnz .LBB39_1090
.LBB39_434:                             ;   in Loop: Header=BB39_3 Depth=1
	s_or_b32 exec_lo, exec_lo, s46
	s_and_saveexec_b32 s46, s0
	s_cbranch_execz .LBB39_436
.LBB39_435:                             ;   in Loop: Header=BB39_3 Depth=1
	ds_load_b64 v[46:47], v62 offset:20224
	ds_load_b64 v[48:49], v7 offset:20280
	s_wait_dscnt 0x0
	v_fmac_f64_e32 v[2:3], v[46:47], v[48:49]
.LBB39_436:                             ;   in Loop: Header=BB39_3 Depth=1
	s_or_b32 exec_lo, exec_lo, s46
.LBB39_437:                             ;   in Loop: Header=BB39_3 Depth=1
	s_delay_alu instid0(SALU_CYCLE_1)
	s_or_b32 exec_lo, exec_lo, s57
	s_and_saveexec_b32 s46, s93
; %bb.438:                              ;   in Loop: Header=BB39_3 Depth=1
	s_delay_alu instid0(VALU_DEP_1) | instskip(NEXT) | instid1(VALU_DEP_2)
	v_xor_b32_e32 v47, 0x80000000, v3
	v_mov_b32_e32 v46, v2
	ds_store_b64 v77, v[46:47]
; %bb.439:                              ;   in Loop: Header=BB39_3 Depth=1
	s_or_b32 exec_lo, exec_lo, s46
	s_wait_loadcnt_dscnt 0x0
	s_barrier_signal -1
	s_barrier_wait -1
	s_and_saveexec_b32 s46, s94
	s_cbranch_execz .LBB39_441
; %bb.440:                              ;   in Loop: Header=BB39_3 Depth=1
	ds_load_b64 v[46:47], v74 offset:18176
	ds_load_b64 v[48:49], v77
	s_wait_dscnt 0x0
	v_fma_f64 v[2:3], -v[46:47], v[48:49], v[2:3]
.LBB39_441:                             ;   in Loop: Header=BB39_3 Depth=1
	s_or_b32 exec_lo, exec_lo, s46
	s_barrier_signal -1
	s_barrier_wait -1
	s_and_saveexec_b32 s46, s95
; %bb.442:                              ;   in Loop: Header=BB39_3 Depth=1
	s_delay_alu instid0(VALU_DEP_1) | instskip(NEXT) | instid1(VALU_DEP_2)
	v_xor_b32_e32 v47, 0x80000000, v3
	v_mov_b32_e32 v46, v2
	ds_store_b64 v77, v[46:47]
; %bb.443:                              ;   in Loop: Header=BB39_3 Depth=1
	s_or_b32 exec_lo, exec_lo, s46
	s_wait_dscnt 0x0
	s_barrier_signal -1
	s_barrier_wait -1
	s_and_saveexec_b32 s46, s96
	s_cbranch_execz .LBB39_445
; %bb.444:                              ;   in Loop: Header=BB39_3 Depth=1
	ds_load_b64 v[46:47], v74 offset:17664
	ds_load_b64 v[48:49], v77
	s_wait_dscnt 0x0
	v_fma_f64 v[2:3], -v[46:47], v[48:49], v[2:3]
.LBB39_445:                             ;   in Loop: Header=BB39_3 Depth=1
	s_or_b32 exec_lo, exec_lo, s46
	s_barrier_signal -1
	s_barrier_wait -1
	s_and_saveexec_b32 s46, s97
; %bb.446:                              ;   in Loop: Header=BB39_3 Depth=1
	s_delay_alu instid0(VALU_DEP_1) | instskip(NEXT) | instid1(VALU_DEP_2)
	v_xor_b32_e32 v47, 0x80000000, v3
	v_mov_b32_e32 v46, v2
	ds_store_b64 v77, v[46:47]
; %bb.447:                              ;   in Loop: Header=BB39_3 Depth=1
	s_or_b32 exec_lo, exec_lo, s46
	s_wait_dscnt 0x0
	;; [unrolled: 22-line block ×3, first 2 shown]
	s_barrier_signal -1
	s_barrier_wait -1
	s_barrier_signal -1
	s_barrier_wait -1
	s_and_saveexec_b32 s46, s2
; %bb.452:                              ;   in Loop: Header=BB39_3 Depth=1
	ds_store_b64 v79, v[2:3] offset:20224
; %bb.453:                              ;   in Loop: Header=BB39_3 Depth=1
	s_or_b32 exec_lo, exec_lo, s46
	s_wait_dscnt 0x0
	s_barrier_signal -1
	s_barrier_wait -1
	s_barrier_signal -1
	s_barrier_wait -1
	s_and_saveexec_b32 s46, s99
	s_cbranch_execz .LBB39_455
; %bb.454:                              ;   in Loop: Header=BB39_3 Depth=1
	ds_load_b64 v[2:3], v67 offset:18688
	s_wait_dscnt 0x0
	ds_store_b64 v68, v[2:3] offset:16672
	ds_load_b64 v[2:3], v67 offset:18696
	s_wait_dscnt 0x0
	ds_store_b64 v68, v[2:3] offset:17184
	;; [unrolled: 3-line block ×4, first 2 shown]
.LBB39_455:                             ;   in Loop: Header=BB39_3 Depth=1
	s_or_b32 exec_lo, exec_lo, s46
	s_wait_dscnt 0x0
	s_barrier_signal -1
	s_barrier_wait -1
	s_and_saveexec_b32 s46, s10
	s_cbranch_execz .LBB39_457
; %bb.456:                              ;   in Loop: Header=BB39_3 Depth=1
	ds_load_b64 v[2:3], v7 offset:18192
	v_mov_b32_e32 v0, v7
	ds_store_b64 v7, v[34:35] offset:18200
	s_wait_dscnt 0x1
	ds_store_b128 v7, v[0:3] offset:17680
.LBB39_457:                             ;   in Loop: Header=BB39_3 Depth=1
	s_or_b32 exec_lo, exec_lo, s46
	v_mov_b64_e32 v[2:3], 0
	s_wait_dscnt 0x0
	s_barrier_signal -1
	s_barrier_wait -1
	global_wb scope:SCOPE_DEV
	s_wait_storecnt 0x0
	global_inv scope:SCOPE_DEV
	s_and_saveexec_b32 s46, s0
	s_cbranch_execz .LBB39_461
; %bb.458:                              ;   in Loop: Header=BB39_3 Depth=1
	ds_load_b64 v[2:3], v72 offset:17664
	ds_load_b64 v[46:47], v57 offset:18192
	s_wait_dscnt 0x0
	v_fma_f64 v[2:3], v[2:3], v[46:47], 0
	s_and_saveexec_b32 s47, s11
	s_cbranch_execz .LBB39_460
; %bb.459:                              ;   in Loop: Header=BB39_3 Depth=1
	ds_load_b64 v[46:47], v68 offset:18176
	ds_load_b64 v[48:49], v7 offset:18200
	s_wait_dscnt 0x0
	v_fmac_f64_e32 v[2:3], v[46:47], v[48:49]
.LBB39_460:                             ;   in Loop: Header=BB39_3 Depth=1
	s_or_b32 exec_lo, exec_lo, s47
.LBB39_461:                             ;   in Loop: Header=BB39_3 Depth=1
	s_delay_alu instid0(SALU_CYCLE_1)
	s_or_b32 exec_lo, exec_lo, s46
	s_and_saveexec_b32 s46, s90
; %bb.462:                              ;   in Loop: Header=BB39_3 Depth=1
	s_delay_alu instid0(VALU_DEP_1) | instskip(NEXT) | instid1(VALU_DEP_2)
	v_xor_b32_e32 v47, 0x80000000, v3
	v_mov_b32_e32 v46, v2
	ds_store_b64 v73, v[46:47]
; %bb.463:                              ;   in Loop: Header=BB39_3 Depth=1
	s_or_b32 exec_lo, exec_lo, s46
	s_wait_loadcnt_dscnt 0x0
	s_barrier_signal -1
	s_barrier_wait -1
	s_and_saveexec_b32 s46, s91
	s_cbranch_execz .LBB39_465
; %bb.464:                              ;   in Loop: Header=BB39_3 Depth=1
	ds_load_b64 v[46:47], v7 offset:17152
	ds_load_b64 v[48:49], v73
	s_wait_dscnt 0x0
	v_fma_f64 v[2:3], -v[46:47], v[48:49], v[2:3]
.LBB39_465:                             ;   in Loop: Header=BB39_3 Depth=1
	s_or_b32 exec_lo, exec_lo, s46
	s_barrier_signal -1
	s_barrier_wait -1
	s_and_saveexec_b32 s46, s91
; %bb.466:                              ;   in Loop: Header=BB39_3 Depth=1
	s_delay_alu instid0(VALU_DEP_1) | instskip(NEXT) | instid1(VALU_DEP_2)
	v_xor_b32_e32 v47, 0x80000000, v3
	v_mov_b32_e32 v46, v2
	ds_store_b64 v73, v[46:47]
; %bb.467:                              ;   in Loop: Header=BB39_3 Depth=1
	s_or_b32 exec_lo, exec_lo, s46
	s_wait_dscnt 0x0
	s_barrier_signal -1
	s_barrier_wait -1
	s_barrier_signal -1
	s_barrier_wait -1
	s_and_saveexec_b32 s46, s0
; %bb.468:                              ;   in Loop: Header=BB39_3 Depth=1
	ds_store_b64 v75, v[2:3] offset:18176
; %bb.469:                              ;   in Loop: Header=BB39_3 Depth=1
	s_or_b32 exec_lo, exec_lo, s46
	s_wait_dscnt 0x0
	s_barrier_signal -1
	s_barrier_wait -1
	s_barrier_signal -1
	s_barrier_wait -1
	s_and_saveexec_b32 s46, s92
	s_cbranch_execz .LBB39_471
; %bb.470:                              ;   in Loop: Header=BB39_3 Depth=1
	ds_load_b64 v[2:3], v69 offset:17664
	s_wait_dscnt 0x0
	ds_store_b64 v68, v[2:3] offset:16656
	ds_load_b64 v[2:3], v69 offset:17672
	s_wait_dscnt 0x0
	ds_store_b64 v68, v[2:3] offset:17168
.LBB39_471:                             ;   in Loop: Header=BB39_3 Depth=1
	s_or_b32 exec_lo, exec_lo, s46
	s_wait_dscnt 0x0
	s_barrier_signal -1
	s_barrier_wait -1
	s_and_saveexec_b32 s46, s10
	s_cbranch_execz .LBB39_473
; %bb.472:                              ;   in Loop: Header=BB39_3 Depth=1
	ds_load_b64 v[2:3], v7 offset:17152
	v_mov_b32_e32 v0, v7
	ds_store_b64 v7, v[34:35] offset:17160
	s_wait_dscnt 0x1
	ds_store_b128 v7, v[0:3] offset:16640
.LBB39_473:                             ;   in Loop: Header=BB39_3 Depth=1
	s_or_b32 exec_lo, exec_lo, s46
	v_mov_b64_e32 v[2:3], 0
	s_wait_dscnt 0x0
	s_barrier_signal -1
	s_barrier_wait -1
	global_wb scope:SCOPE_DEV
	s_wait_storecnt 0x0
	global_inv scope:SCOPE_DEV
	s_and_saveexec_b32 s61, s30
	s_cbranch_execz .LBB39_535
; %bb.474:                              ;   in Loop: Header=BB39_3 Depth=1
	ds_load_b64 v[2:3], v64 offset:16384
	ds_load_b64 v[46:47], v66 offset:32512
	s_wait_dscnt 0x0
	v_fma_f64 v[2:3], v[2:3], v[46:47], 0
	s_mov_b32 s46, exec_lo
	v_readlane_b32 s47, v103, 30
	s_and_b32 s47, s46, s47
	s_delay_alu instid0(SALU_CYCLE_1)
	s_mov_b32 exec_lo, s47
	s_cbranch_execz .LBB39_476
; %bb.475:                              ;   in Loop: Header=BB39_3 Depth=1
	ds_load_b64 v[46:47], v64 offset:16896
	ds_load_b64 v[48:49], v66 offset:32520
	s_wait_dscnt 0x0
	v_fmac_f64_e32 v[2:3], v[46:47], v[48:49]
.LBB39_476:                             ;   in Loop: Header=BB39_3 Depth=1
	s_or_b32 exec_lo, exec_lo, s46
	s_delay_alu instid0(SALU_CYCLE_1) | instskip(SKIP_2) | instid1(SALU_CYCLE_1)
	s_mov_b32 s46, exec_lo
	v_readlane_b32 s47, v103, 31
	s_and_b32 s47, s46, s47
	s_mov_b32 exec_lo, s47
	s_cbranch_execz .LBB39_478
; %bb.477:                              ;   in Loop: Header=BB39_3 Depth=1
	ds_load_b64 v[46:47], v64 offset:17408
	ds_load_b64 v[48:49], v66 offset:32528
	s_wait_dscnt 0x0
	v_fmac_f64_e32 v[2:3], v[46:47], v[48:49]
.LBB39_478:                             ;   in Loop: Header=BB39_3 Depth=1
	s_or_b32 exec_lo, exec_lo, s46
	s_delay_alu instid0(SALU_CYCLE_1) | instskip(SKIP_2) | instid1(SALU_CYCLE_1)
	s_mov_b32 s46, exec_lo
	v_readlane_b32 s47, v102, 0
	s_and_b32 s47, s46, s47
	;; [unrolled: 13-line block ×22, first 2 shown]
	s_mov_b32 exec_lo, s47
	s_cbranch_execz .LBB39_520
; %bb.519:                              ;   in Loop: Header=BB39_3 Depth=1
	ds_load_b64 v[46:47], v64 offset:28160
	ds_load_b64 v[48:49], v66 offset:32696
	s_wait_dscnt 0x0
	v_fmac_f64_e32 v[2:3], v[46:47], v[48:49]
.LBB39_520:                             ;   in Loop: Header=BB39_3 Depth=1
	s_or_b32 exec_lo, exec_lo, s46
	s_and_saveexec_b32 s46, s4
	s_cbranch_execz .LBB39_522
; %bb.521:                              ;   in Loop: Header=BB39_3 Depth=1
	ds_load_b64 v[46:47], v64 offset:28672
	ds_load_b64 v[48:49], v66 offset:32704
	s_wait_dscnt 0x0
	v_fmac_f64_e32 v[2:3], v[46:47], v[48:49]
.LBB39_522:                             ;   in Loop: Header=BB39_3 Depth=1
	s_or_b32 exec_lo, exec_lo, s46
	s_delay_alu instid0(SALU_CYCLE_1) | instskip(SKIP_2) | instid1(SALU_CYCLE_1)
	s_mov_b32 s46, exec_lo
	v_readlane_b32 s47, v103, 20
	s_and_b32 s47, s46, s47
	s_mov_b32 exec_lo, s47
	s_cbranch_execz .LBB39_524
; %bb.523:                              ;   in Loop: Header=BB39_3 Depth=1
	ds_load_b64 v[46:47], v64 offset:29184
	ds_load_b64 v[48:49], v66 offset:32712
	s_wait_dscnt 0x0
	v_fmac_f64_e32 v[2:3], v[46:47], v[48:49]
.LBB39_524:                             ;   in Loop: Header=BB39_3 Depth=1
	s_or_b32 exec_lo, exec_lo, s46
	s_delay_alu instid0(SALU_CYCLE_1) | instskip(SKIP_2) | instid1(SALU_CYCLE_1)
	s_mov_b32 s46, exec_lo
	v_readlane_b32 s47, v103, 22
	s_and_b32 s47, s46, s47
	s_mov_b32 exec_lo, s47
	;; [unrolled: 13-line block ×5, first 2 shown]
	s_cbranch_execnz .LBB39_1091
; %bb.531:                              ;   in Loop: Header=BB39_3 Depth=1
	s_or_b32 exec_lo, exec_lo, s46
	s_and_saveexec_b32 s46, s3
	s_cbranch_execnz .LBB39_1092
.LBB39_532:                             ;   in Loop: Header=BB39_3 Depth=1
	s_or_b32 exec_lo, exec_lo, s46
	s_and_saveexec_b32 s46, s17
	s_delay_alu instid0(SALU_CYCLE_1)
	s_xor_b32 s46, exec_lo, s46
	s_cbranch_execz .LBB39_534
.LBB39_533:                             ;   in Loop: Header=BB39_3 Depth=1
	ds_load_b64 v[46:47], v11 offset:32256
	ds_load_b64 v[48:49], v7 offset:32760
	s_wait_dscnt 0x0
	v_fmac_f64_e32 v[2:3], v[46:47], v[48:49]
.LBB39_534:                             ;   in Loop: Header=BB39_3 Depth=1
	s_or_b32 exec_lo, exec_lo, s46
.LBB39_535:                             ;   in Loop: Header=BB39_3 Depth=1
	s_delay_alu instid0(SALU_CYCLE_1)
	s_or_b32 exec_lo, exec_lo, s61
	v_dual_mov_b32 v0, v96 :: v_dual_mov_b32 v6, v94
	s_mov_b32 s57, 31
	s_branch .LBB39_537
.LBB39_536:                             ;   in Loop: Header=BB39_537 Depth=2
	s_or_b32 exec_lo, exec_lo, s46
	v_add_nc_u32_e32 v6, 0xfffff800, v6
	v_add_nc_u32_e32 v0, 4, v0
	s_add_co_i32 s57, s57, -4
	s_cmp_eq_u32 s61, 0
	s_barrier_signal -1
	s_barrier_wait -1
	s_cbranch_scc1 .LBB39_553
.LBB39_537:                             ;   Parent Loop BB39_3 Depth=1
                                        ; =>  This Inner Loop Header: Depth=2
	s_delay_alu instid0(VALU_DEP_1) | instskip(SKIP_1) | instid1(SALU_CYCLE_1)
	v_cmp_eq_u32_e32 vcc_lo, 0, v0
	s_and_b32 s47, s60, vcc_lo
	s_and_saveexec_b32 s46, s47
; %bb.538:                              ;   in Loop: Header=BB39_537 Depth=2
	s_delay_alu instid0(VALU_DEP_3) | instskip(NEXT) | instid1(VALU_DEP_4)
	v_xor_b32_e32 v47, 0x80000000, v3
	v_mov_b32_e32 v46, v2
	ds_store_b64 v84, v[46:47]
; %bb.539:                              ;   in Loop: Header=BB39_537 Depth=2
	s_or_b32 exec_lo, exec_lo, s46
	v_cmp_gt_u32_e32 vcc_lo, s57, v61
	s_wait_loadcnt_dscnt 0x0
	s_barrier_signal -1
	s_barrier_wait -1
	s_and_b32 s47, s60, vcc_lo
	s_delay_alu instid0(SALU_CYCLE_1)
	s_and_saveexec_b32 s46, s47
	s_cbranch_execz .LBB39_541
; %bb.540:                              ;   in Loop: Header=BB39_537 Depth=2
	ds_load_b64 v[46:47], v6 offset:1536
	ds_load_b64 v[48:49], v84
	s_wait_dscnt 0x0
	v_fma_f64 v[2:3], -v[46:47], v[48:49], v[2:3]
.LBB39_541:                             ;   in Loop: Header=BB39_537 Depth=2
	s_or_b32 exec_lo, exec_lo, s46
	s_add_co_i32 s46, s57, -1
	s_delay_alu instid0(SALU_CYCLE_1) | instskip(SKIP_3) | instid1(SALU_CYCLE_1)
	v_cmp_eq_u32_e32 vcc_lo, s46, v61
	s_barrier_signal -1
	s_barrier_wait -1
	s_and_b32 s61, s60, vcc_lo
	s_and_saveexec_b32 s47, s61
; %bb.542:                              ;   in Loop: Header=BB39_537 Depth=2
	s_delay_alu instid0(VALU_DEP_2) | instskip(NEXT) | instid1(VALU_DEP_3)
	v_xor_b32_e32 v47, 0x80000000, v3
	v_mov_b32_e32 v46, v2
	ds_store_b64 v84, v[46:47]
; %bb.543:                              ;   in Loop: Header=BB39_537 Depth=2
	s_or_b32 exec_lo, exec_lo, s47
	v_cmp_gt_u32_e32 vcc_lo, s46, v61
	s_wait_dscnt 0x0
	s_barrier_signal -1
	s_barrier_wait -1
	s_and_b32 s47, s60, vcc_lo
	s_delay_alu instid0(SALU_CYCLE_1)
	s_and_saveexec_b32 s46, s47
	s_cbranch_execz .LBB39_545
; %bb.544:                              ;   in Loop: Header=BB39_537 Depth=2
	ds_load_b64 v[46:47], v6 offset:1024
	ds_load_b64 v[48:49], v84
	s_wait_dscnt 0x0
	v_fma_f64 v[2:3], -v[46:47], v[48:49], v[2:3]
.LBB39_545:                             ;   in Loop: Header=BB39_537 Depth=2
	s_or_b32 exec_lo, exec_lo, s46
	s_add_co_i32 s46, s57, -2
	s_delay_alu instid0(SALU_CYCLE_1) | instskip(SKIP_3) | instid1(SALU_CYCLE_1)
	v_cmp_eq_u32_e32 vcc_lo, s46, v61
	s_barrier_signal -1
	s_barrier_wait -1
	s_and_b32 s61, s60, vcc_lo
	s_and_saveexec_b32 s47, s61
; %bb.546:                              ;   in Loop: Header=BB39_537 Depth=2
	s_delay_alu instid0(VALU_DEP_2) | instskip(NEXT) | instid1(VALU_DEP_3)
	v_xor_b32_e32 v47, 0x80000000, v3
	v_mov_b32_e32 v46, v2
	ds_store_b64 v84, v[46:47]
; %bb.547:                              ;   in Loop: Header=BB39_537 Depth=2
	s_or_b32 exec_lo, exec_lo, s47
	v_cmp_gt_u32_e32 vcc_lo, s46, v61
	s_wait_dscnt 0x0
	;; [unrolled: 29-line block ×3, first 2 shown]
	s_barrier_signal -1
	s_barrier_wait -1
	s_and_b32 s47, s60, vcc_lo
	s_delay_alu instid0(SALU_CYCLE_1)
	s_and_saveexec_b32 s46, s47
	s_cbranch_execz .LBB39_536
; %bb.552:                              ;   in Loop: Header=BB39_537 Depth=2
	ds_load_b64 v[46:47], v6
	ds_load_b64 v[48:49], v84
	s_wait_dscnt 0x0
	v_fma_f64 v[2:3], -v[46:47], v[48:49], v[2:3]
	s_branch .LBB39_536
.LBB39_553:                             ;   in Loop: Header=BB39_3 Depth=1
	s_and_saveexec_b32 s46, s30
; %bb.554:                              ;   in Loop: Header=BB39_3 Depth=1
	ds_store_b64 v85, v[2:3] offset:32256
; %bb.555:                              ;   in Loop: Header=BB39_3 Depth=1
	s_or_b32 exec_lo, exec_lo, s46
	s_wait_dscnt 0x0
	s_barrier_signal -1
	s_barrier_wait -1
	s_barrier_signal -1
	s_barrier_wait -1
	s_mov_b32 s57, exec_lo
	v_readlane_b32 s46, v103, 9
	s_and_b32 s46, s57, s46
	s_delay_alu instid0(SALU_CYCLE_1)
	s_mov_b32 exec_lo, s46
	s_cbranch_execz .LBB39_557
; %bb.556:                              ;   in Loop: Header=BB39_3 Depth=1
	ds_load_b64 v[2:3], v50 offset:16384
	s_wait_dscnt 0x0
	ds_store_b64 v51, v[2:3] offset:256
	ds_load_b64 v[2:3], v50 offset:16392
	s_wait_dscnt 0x0
	ds_store_b64 v51, v[2:3] offset:768
	;; [unrolled: 3-line block ×32, first 2 shown]
.LBB39_557:                             ;   in Loop: Header=BB39_3 Depth=1
	s_or_b32 exec_lo, exec_lo, s57
	s_wait_dscnt 0x0
	s_barrier_signal -1
	s_barrier_wait -1
	s_and_saveexec_b32 s46, s10
	s_cbranch_execz .LBB39_559
; %bb.558:                              ;   in Loop: Header=BB39_3 Depth=1
	ds_load_b64 v[2:3], v7 offset:16112
	v_mov_b32_e32 v0, v7
	ds_store_b64 v7, v[34:35] offset:16120
	s_wait_dscnt 0x1
	ds_store_b128 v7, v[0:3] offset:15600
.LBB39_559:                             ;   in Loop: Header=BB39_3 Depth=1
	s_or_b32 exec_lo, exec_lo, s46
	v_mov_b64_e32 v[2:3], 0
	s_wait_dscnt 0x0
	s_barrier_signal -1
	s_barrier_wait -1
	global_wb scope:SCOPE_DEV
	s_wait_storecnt 0x0
	global_inv scope:SCOPE_DEV
	s_and_saveexec_b32 s46, s0
	s_cbranch_execz .LBB39_563
; %bb.560:                              ;   in Loop: Header=BB39_3 Depth=1
	ds_load_b64 v[2:3], v72 offset:15584
	ds_load_b64 v[46:47], v57 offset:16112
	s_wait_dscnt 0x0
	v_fma_f64 v[2:3], v[2:3], v[46:47], 0
	s_and_saveexec_b32 s47, s11
	s_cbranch_execz .LBB39_562
; %bb.561:                              ;   in Loop: Header=BB39_3 Depth=1
	ds_load_b64 v[46:47], v11 offset:16096
	ds_load_b64 v[48:49], v7 offset:16120
	s_wait_dscnt 0x0
	v_fmac_f64_e32 v[2:3], v[46:47], v[48:49]
.LBB39_562:                             ;   in Loop: Header=BB39_3 Depth=1
	s_or_b32 exec_lo, exec_lo, s47
.LBB39_563:                             ;   in Loop: Header=BB39_3 Depth=1
	s_delay_alu instid0(SALU_CYCLE_1)
	s_or_b32 exec_lo, exec_lo, s46
	s_and_saveexec_b32 s46, s90
; %bb.564:                              ;   in Loop: Header=BB39_3 Depth=1
	s_delay_alu instid0(VALU_DEP_1) | instskip(NEXT) | instid1(VALU_DEP_2)
	v_xor_b32_e32 v47, 0x80000000, v3
	v_mov_b32_e32 v46, v2
	ds_store_b64 v73, v[46:47]
; %bb.565:                              ;   in Loop: Header=BB39_3 Depth=1
	s_or_b32 exec_lo, exec_lo, s46
	s_wait_loadcnt_dscnt 0x0
	s_barrier_signal -1
	s_barrier_wait -1
	s_and_saveexec_b32 s46, s91
	s_cbranch_execz .LBB39_567
; %bb.566:                              ;   in Loop: Header=BB39_3 Depth=1
	ds_load_b64 v[46:47], v7 offset:15072
	ds_load_b64 v[48:49], v73
	s_wait_dscnt 0x0
	v_fma_f64 v[2:3], -v[46:47], v[48:49], v[2:3]
.LBB39_567:                             ;   in Loop: Header=BB39_3 Depth=1
	s_or_b32 exec_lo, exec_lo, s46
	s_barrier_signal -1
	s_barrier_wait -1
	s_and_saveexec_b32 s46, s91
; %bb.568:                              ;   in Loop: Header=BB39_3 Depth=1
	s_delay_alu instid0(VALU_DEP_1) | instskip(NEXT) | instid1(VALU_DEP_2)
	v_xor_b32_e32 v47, 0x80000000, v3
	v_mov_b32_e32 v46, v2
	ds_store_b64 v73, v[46:47]
; %bb.569:                              ;   in Loop: Header=BB39_3 Depth=1
	s_or_b32 exec_lo, exec_lo, s46
	s_wait_dscnt 0x0
	s_barrier_signal -1
	s_barrier_wait -1
	s_barrier_signal -1
	s_barrier_wait -1
	s_and_saveexec_b32 s46, s0
; %bb.570:                              ;   in Loop: Header=BB39_3 Depth=1
	ds_store_b64 v75, v[2:3] offset:16096
; %bb.571:                              ;   in Loop: Header=BB39_3 Depth=1
	s_or_b32 exec_lo, exec_lo, s46
	s_wait_dscnt 0x0
	s_barrier_signal -1
	s_barrier_wait -1
	s_barrier_signal -1
	s_barrier_wait -1
	s_and_saveexec_b32 s46, s92
	s_cbranch_execz .LBB39_573
; %bb.572:                              ;   in Loop: Header=BB39_3 Depth=1
	ds_load_b64 v[2:3], v50 offset:15584
	s_wait_dscnt 0x0
	ds_store_b64 v11, v[2:3] offset:14576
	ds_load_b64 v[2:3], v50 offset:15592
	s_wait_dscnt 0x0
	ds_store_b64 v11, v[2:3] offset:15088
.LBB39_573:                             ;   in Loop: Header=BB39_3 Depth=1
	s_or_b32 exec_lo, exec_lo, s46
	s_wait_dscnt 0x0
	s_barrier_signal -1
	s_barrier_wait -1
	s_and_saveexec_b32 s46, s10
	s_cbranch_execz .LBB39_575
; %bb.574:                              ;   in Loop: Header=BB39_3 Depth=1
	ds_load_b64 v[2:3], v7 offset:15072
	v_mov_b32_e32 v0, v7
	ds_store_b64 v7, v[34:35] offset:15080
	s_wait_dscnt 0x1
	ds_store_b128 v7, v[0:3] offset:14560
.LBB39_575:                             ;   in Loop: Header=BB39_3 Depth=1
	s_or_b32 exec_lo, exec_lo, s46
	v_mov_b64_e32 v[2:3], 0
	s_wait_dscnt 0x0
	s_barrier_signal -1
	s_barrier_wait -1
	global_wb scope:SCOPE_DEV
	s_wait_storecnt 0x0
	global_inv scope:SCOPE_DEV
	s_and_saveexec_b32 s57, s2
	s_cbranch_execz .LBB39_581
; %bb.576:                              ;   in Loop: Header=BB39_3 Depth=1
	ds_load_b64 v[2:3], v74 offset:14528
	ds_load_b64 v[46:47], v59 offset:16096
	s_wait_dscnt 0x0
	v_fma_f64 v[2:3], v[2:3], v[46:47], 0
	s_and_saveexec_b32 s46, s12
	s_cbranch_execnz .LBB39_1093
; %bb.577:                              ;   in Loop: Header=BB39_3 Depth=1
	s_or_b32 exec_lo, exec_lo, s46
	s_and_saveexec_b32 s46, s13
	s_cbranch_execnz .LBB39_1094
.LBB39_578:                             ;   in Loop: Header=BB39_3 Depth=1
	s_or_b32 exec_lo, exec_lo, s46
	s_and_saveexec_b32 s46, s0
	s_cbranch_execz .LBB39_580
.LBB39_579:                             ;   in Loop: Header=BB39_3 Depth=1
	ds_load_b64 v[46:47], v51 offset:16064
	ds_load_b64 v[48:49], v7 offset:16120
	s_wait_dscnt 0x0
	v_fmac_f64_e32 v[2:3], v[46:47], v[48:49]
.LBB39_580:                             ;   in Loop: Header=BB39_3 Depth=1
	s_or_b32 exec_lo, exec_lo, s46
.LBB39_581:                             ;   in Loop: Header=BB39_3 Depth=1
	s_delay_alu instid0(SALU_CYCLE_1)
	s_or_b32 exec_lo, exec_lo, s57
	s_and_saveexec_b32 s46, s93
; %bb.582:                              ;   in Loop: Header=BB39_3 Depth=1
	s_delay_alu instid0(VALU_DEP_1) | instskip(NEXT) | instid1(VALU_DEP_2)
	v_xor_b32_e32 v47, 0x80000000, v3
	v_mov_b32_e32 v46, v2
	ds_store_b64 v77, v[46:47]
; %bb.583:                              ;   in Loop: Header=BB39_3 Depth=1
	s_or_b32 exec_lo, exec_lo, s46
	s_wait_loadcnt_dscnt 0x0
	s_barrier_signal -1
	s_barrier_wait -1
	s_and_saveexec_b32 s46, s94
	s_cbranch_execz .LBB39_585
; %bb.584:                              ;   in Loop: Header=BB39_3 Depth=1
	ds_load_b64 v[46:47], v74 offset:14016
	ds_load_b64 v[48:49], v77
	s_wait_dscnt 0x0
	v_fma_f64 v[2:3], -v[46:47], v[48:49], v[2:3]
.LBB39_585:                             ;   in Loop: Header=BB39_3 Depth=1
	s_or_b32 exec_lo, exec_lo, s46
	s_barrier_signal -1
	s_barrier_wait -1
	s_and_saveexec_b32 s46, s95
; %bb.586:                              ;   in Loop: Header=BB39_3 Depth=1
	s_delay_alu instid0(VALU_DEP_1) | instskip(NEXT) | instid1(VALU_DEP_2)
	v_xor_b32_e32 v47, 0x80000000, v3
	v_mov_b32_e32 v46, v2
	ds_store_b64 v77, v[46:47]
; %bb.587:                              ;   in Loop: Header=BB39_3 Depth=1
	s_or_b32 exec_lo, exec_lo, s46
	s_wait_dscnt 0x0
	s_barrier_signal -1
	s_barrier_wait -1
	s_and_saveexec_b32 s46, s96
	s_cbranch_execz .LBB39_589
; %bb.588:                              ;   in Loop: Header=BB39_3 Depth=1
	ds_load_b64 v[46:47], v74 offset:13504
	ds_load_b64 v[48:49], v77
	s_wait_dscnt 0x0
	v_fma_f64 v[2:3], -v[46:47], v[48:49], v[2:3]
.LBB39_589:                             ;   in Loop: Header=BB39_3 Depth=1
	s_or_b32 exec_lo, exec_lo, s46
	s_barrier_signal -1
	s_barrier_wait -1
	s_and_saveexec_b32 s46, s97
; %bb.590:                              ;   in Loop: Header=BB39_3 Depth=1
	s_delay_alu instid0(VALU_DEP_1) | instskip(NEXT) | instid1(VALU_DEP_2)
	v_xor_b32_e32 v47, 0x80000000, v3
	v_mov_b32_e32 v46, v2
	ds_store_b64 v77, v[46:47]
; %bb.591:                              ;   in Loop: Header=BB39_3 Depth=1
	s_or_b32 exec_lo, exec_lo, s46
	s_wait_dscnt 0x0
	;; [unrolled: 22-line block ×3, first 2 shown]
	s_barrier_signal -1
	s_barrier_wait -1
	s_barrier_signal -1
	s_barrier_wait -1
	s_and_saveexec_b32 s46, s2
; %bb.596:                              ;   in Loop: Header=BB39_3 Depth=1
	ds_store_b64 v79, v[2:3] offset:16064
; %bb.597:                              ;   in Loop: Header=BB39_3 Depth=1
	s_or_b32 exec_lo, exec_lo, s46
	s_wait_dscnt 0x0
	s_barrier_signal -1
	s_barrier_wait -1
	s_barrier_signal -1
	s_barrier_wait -1
	s_and_saveexec_b32 s46, s99
	s_cbranch_execz .LBB39_599
; %bb.598:                              ;   in Loop: Header=BB39_3 Depth=1
	ds_load_b64 v[2:3], v52 offset:14528
	s_wait_dscnt 0x0
	ds_store_b64 v53, v[2:3] offset:12512
	ds_load_b64 v[2:3], v52 offset:14536
	s_wait_dscnt 0x0
	ds_store_b64 v53, v[2:3] offset:13024
	;; [unrolled: 3-line block ×4, first 2 shown]
.LBB39_599:                             ;   in Loop: Header=BB39_3 Depth=1
	s_or_b32 exec_lo, exec_lo, s46
	s_wait_dscnt 0x0
	s_barrier_signal -1
	s_barrier_wait -1
	s_and_saveexec_b32 s46, s10
	s_cbranch_execz .LBB39_601
; %bb.600:                              ;   in Loop: Header=BB39_3 Depth=1
	ds_load_b64 v[2:3], v7 offset:14032
	v_mov_b32_e32 v0, v7
	ds_store_b64 v7, v[34:35] offset:14040
	s_wait_dscnt 0x1
	ds_store_b128 v7, v[0:3] offset:13520
.LBB39_601:                             ;   in Loop: Header=BB39_3 Depth=1
	s_or_b32 exec_lo, exec_lo, s46
	v_mov_b64_e32 v[2:3], 0
	s_wait_dscnt 0x0
	s_barrier_signal -1
	s_barrier_wait -1
	global_wb scope:SCOPE_DEV
	s_wait_storecnt 0x0
	global_inv scope:SCOPE_DEV
	s_and_saveexec_b32 s46, s0
	s_cbranch_execz .LBB39_605
; %bb.602:                              ;   in Loop: Header=BB39_3 Depth=1
	ds_load_b64 v[2:3], v72 offset:13504
	ds_load_b64 v[46:47], v57 offset:14032
	s_wait_dscnt 0x0
	v_fma_f64 v[2:3], v[2:3], v[46:47], 0
	s_and_saveexec_b32 s47, s11
	s_cbranch_execz .LBB39_604
; %bb.603:                              ;   in Loop: Header=BB39_3 Depth=1
	ds_load_b64 v[46:47], v53 offset:14016
	ds_load_b64 v[48:49], v7 offset:14040
	s_wait_dscnt 0x0
	v_fmac_f64_e32 v[2:3], v[46:47], v[48:49]
.LBB39_604:                             ;   in Loop: Header=BB39_3 Depth=1
	s_or_b32 exec_lo, exec_lo, s47
.LBB39_605:                             ;   in Loop: Header=BB39_3 Depth=1
	s_delay_alu instid0(SALU_CYCLE_1)
	s_or_b32 exec_lo, exec_lo, s46
	s_and_saveexec_b32 s46, s90
; %bb.606:                              ;   in Loop: Header=BB39_3 Depth=1
	s_delay_alu instid0(VALU_DEP_1) | instskip(NEXT) | instid1(VALU_DEP_2)
	v_xor_b32_e32 v47, 0x80000000, v3
	v_mov_b32_e32 v46, v2
	ds_store_b64 v73, v[46:47]
; %bb.607:                              ;   in Loop: Header=BB39_3 Depth=1
	s_or_b32 exec_lo, exec_lo, s46
	s_wait_loadcnt_dscnt 0x0
	s_barrier_signal -1
	s_barrier_wait -1
	s_and_saveexec_b32 s46, s91
	s_cbranch_execz .LBB39_609
; %bb.608:                              ;   in Loop: Header=BB39_3 Depth=1
	ds_load_b64 v[46:47], v7 offset:12992
	ds_load_b64 v[48:49], v73
	s_wait_dscnt 0x0
	v_fma_f64 v[2:3], -v[46:47], v[48:49], v[2:3]
.LBB39_609:                             ;   in Loop: Header=BB39_3 Depth=1
	s_or_b32 exec_lo, exec_lo, s46
	s_barrier_signal -1
	s_barrier_wait -1
	s_and_saveexec_b32 s46, s91
; %bb.610:                              ;   in Loop: Header=BB39_3 Depth=1
	s_delay_alu instid0(VALU_DEP_1) | instskip(NEXT) | instid1(VALU_DEP_2)
	v_xor_b32_e32 v47, 0x80000000, v3
	v_mov_b32_e32 v46, v2
	ds_store_b64 v73, v[46:47]
; %bb.611:                              ;   in Loop: Header=BB39_3 Depth=1
	s_or_b32 exec_lo, exec_lo, s46
	s_wait_dscnt 0x0
	s_barrier_signal -1
	s_barrier_wait -1
	s_barrier_signal -1
	s_barrier_wait -1
	s_and_saveexec_b32 s46, s0
; %bb.612:                              ;   in Loop: Header=BB39_3 Depth=1
	ds_store_b64 v75, v[2:3] offset:14016
; %bb.613:                              ;   in Loop: Header=BB39_3 Depth=1
	s_or_b32 exec_lo, exec_lo, s46
	s_wait_dscnt 0x0
	s_barrier_signal -1
	s_barrier_wait -1
	s_barrier_signal -1
	s_barrier_wait -1
	s_and_saveexec_b32 s46, s92
	s_cbranch_execz .LBB39_615
; %bb.614:                              ;   in Loop: Header=BB39_3 Depth=1
	ds_load_b64 v[2:3], v54 offset:13504
	s_wait_dscnt 0x0
	ds_store_b64 v53, v[2:3] offset:12496
	ds_load_b64 v[2:3], v54 offset:13512
	s_wait_dscnt 0x0
	ds_store_b64 v53, v[2:3] offset:13008
.LBB39_615:                             ;   in Loop: Header=BB39_3 Depth=1
	s_or_b32 exec_lo, exec_lo, s46
	s_wait_dscnt 0x0
	s_barrier_signal -1
	s_barrier_wait -1
	s_and_saveexec_b32 s46, s10
	s_cbranch_execz .LBB39_617
; %bb.616:                              ;   in Loop: Header=BB39_3 Depth=1
	ds_load_b64 v[2:3], v7 offset:12992
	v_mov_b32_e32 v0, v7
	ds_store_b64 v7, v[34:35] offset:13000
	s_wait_dscnt 0x1
	ds_store_b128 v7, v[0:3] offset:12480
.LBB39_617:                             ;   in Loop: Header=BB39_3 Depth=1
	s_or_b32 exec_lo, exec_lo, s46
	v_mov_b64_e32 v[2:3], 0
	s_wait_dscnt 0x0
	s_barrier_signal -1
	s_barrier_wait -1
	global_wb scope:SCOPE_DEV
	s_wait_storecnt 0x0
	global_inv scope:SCOPE_DEV
	s_and_saveexec_b32 s57, s3
	s_cbranch_execz .LBB39_627
; %bb.618:                              ;   in Loop: Header=BB39_3 Depth=1
	ds_load_b64 v[2:3], v76 offset:12416
	ds_load_b64 v[46:47], v63 offset:16064
	s_wait_dscnt 0x0
	v_fma_f64 v[2:3], v[2:3], v[46:47], 0
	s_and_saveexec_b32 s46, s14
	s_cbranch_execnz .LBB39_1095
; %bb.619:                              ;   in Loop: Header=BB39_3 Depth=1
	s_or_b32 exec_lo, exec_lo, s46
	s_and_saveexec_b32 s46, s15
	s_cbranch_execnz .LBB39_1096
.LBB39_620:                             ;   in Loop: Header=BB39_3 Depth=1
	s_or_b32 exec_lo, exec_lo, s46
	s_and_saveexec_b32 s46, s16
	s_cbranch_execnz .LBB39_1097
.LBB39_621:                             ;   in Loop: Header=BB39_3 Depth=1
	s_or_b32 exec_lo, exec_lo, s46
	s_and_saveexec_b32 s46, s17
	s_cbranch_execnz .LBB39_1098
.LBB39_622:                             ;   in Loop: Header=BB39_3 Depth=1
	s_or_b32 exec_lo, exec_lo, s46
	s_and_saveexec_b32 s46, s18
	s_cbranch_execnz .LBB39_1099
.LBB39_623:                             ;   in Loop: Header=BB39_3 Depth=1
	s_or_b32 exec_lo, exec_lo, s46
	s_and_saveexec_b32 s46, s2
	s_cbranch_execnz .LBB39_1100
.LBB39_624:                             ;   in Loop: Header=BB39_3 Depth=1
	s_or_b32 exec_lo, exec_lo, s46
	s_and_saveexec_b32 s46, s13
	s_cbranch_execz .LBB39_626
.LBB39_625:                             ;   in Loop: Header=BB39_3 Depth=1
	ds_load_b64 v[46:47], v55 offset:16000
	ds_load_b64 v[48:49], v7 offset:16120
	s_wait_dscnt 0x0
	v_fmac_f64_e32 v[2:3], v[46:47], v[48:49]
.LBB39_626:                             ;   in Loop: Header=BB39_3 Depth=1
	s_or_b32 exec_lo, exec_lo, s46
.LBB39_627:                             ;   in Loop: Header=BB39_3 Depth=1
	s_delay_alu instid0(SALU_CYCLE_1)
	s_or_b32 exec_lo, exec_lo, s57
	s_and_saveexec_b32 s46, s100
; %bb.628:                              ;   in Loop: Header=BB39_3 Depth=1
	s_delay_alu instid0(VALU_DEP_1) | instskip(NEXT) | instid1(VALU_DEP_2)
	v_xor_b32_e32 v47, 0x80000000, v3
	v_mov_b32_e32 v46, v2
	ds_store_b64 v80, v[46:47]
; %bb.629:                              ;   in Loop: Header=BB39_3 Depth=1
	s_or_b32 exec_lo, exec_lo, s46
	s_wait_loadcnt_dscnt 0x0
	s_barrier_signal -1
	s_barrier_wait -1
	s_and_saveexec_b32 s46, s101
	s_cbranch_execz .LBB39_631
; %bb.630:                              ;   in Loop: Header=BB39_3 Depth=1
	ds_load_b64 v[46:47], v76 offset:11904
	ds_load_b64 v[48:49], v80
	s_wait_dscnt 0x0
	v_fma_f64 v[2:3], -v[46:47], v[48:49], v[2:3]
.LBB39_631:                             ;   in Loop: Header=BB39_3 Depth=1
	s_or_b32 exec_lo, exec_lo, s46
	s_barrier_signal -1
	s_barrier_wait -1
	s_and_saveexec_b32 s46, s102
; %bb.632:                              ;   in Loop: Header=BB39_3 Depth=1
	s_delay_alu instid0(VALU_DEP_1) | instskip(NEXT) | instid1(VALU_DEP_2)
	v_xor_b32_e32 v47, 0x80000000, v3
	v_mov_b32_e32 v46, v2
	ds_store_b64 v80, v[46:47]
; %bb.633:                              ;   in Loop: Header=BB39_3 Depth=1
	s_or_b32 exec_lo, exec_lo, s46
	s_wait_dscnt 0x0
	s_barrier_signal -1
	s_barrier_wait -1
	s_and_saveexec_b32 s46, s103
	s_cbranch_execz .LBB39_635
; %bb.634:                              ;   in Loop: Header=BB39_3 Depth=1
	ds_load_b64 v[46:47], v76 offset:11392
	ds_load_b64 v[48:49], v80
	s_wait_dscnt 0x0
	v_fma_f64 v[2:3], -v[46:47], v[48:49], v[2:3]
.LBB39_635:                             ;   in Loop: Header=BB39_3 Depth=1
	s_or_b32 exec_lo, exec_lo, s46
	s_barrier_signal -1
	s_barrier_wait -1
	s_and_saveexec_b32 s46, s104
; %bb.636:                              ;   in Loop: Header=BB39_3 Depth=1
	s_delay_alu instid0(VALU_DEP_1) | instskip(NEXT) | instid1(VALU_DEP_2)
	v_xor_b32_e32 v47, 0x80000000, v3
	v_mov_b32_e32 v46, v2
	ds_store_b64 v80, v[46:47]
; %bb.637:                              ;   in Loop: Header=BB39_3 Depth=1
	s_or_b32 exec_lo, exec_lo, s46
	s_wait_dscnt 0x0
	s_barrier_signal -1
	s_barrier_wait -1
	s_and_saveexec_b32 s46, vcc_hi
	s_cbranch_execz .LBB39_639
; %bb.638:                              ;   in Loop: Header=BB39_3 Depth=1
	ds_load_b64 v[46:47], v76 offset:10880
	ds_load_b64 v[48:49], v80
	s_wait_dscnt 0x0
	v_fma_f64 v[2:3], -v[46:47], v[48:49], v[2:3]
.LBB39_639:                             ;   in Loop: Header=BB39_3 Depth=1
	s_or_b32 exec_lo, exec_lo, s46
	s_barrier_signal -1
	s_barrier_wait -1
	s_and_saveexec_b32 s46, s31
; %bb.640:                              ;   in Loop: Header=BB39_3 Depth=1
	s_delay_alu instid0(VALU_DEP_1) | instskip(NEXT) | instid1(VALU_DEP_2)
	v_xor_b32_e32 v47, 0x80000000, v3
	v_mov_b32_e32 v46, v2
	ds_store_b64 v80, v[46:47]
; %bb.641:                              ;   in Loop: Header=BB39_3 Depth=1
	s_or_b32 exec_lo, exec_lo, s46
	s_wait_dscnt 0x0
	s_barrier_signal -1
	s_barrier_wait -1
	s_and_saveexec_b32 s46, s33
	s_cbranch_execz .LBB39_643
; %bb.642:                              ;   in Loop: Header=BB39_3 Depth=1
	ds_load_b64 v[46:47], v76 offset:10368
	ds_load_b64 v[48:49], v80
	s_wait_dscnt 0x0
	v_fma_f64 v[2:3], -v[46:47], v[48:49], v[2:3]
.LBB39_643:                             ;   in Loop: Header=BB39_3 Depth=1
	s_or_b32 exec_lo, exec_lo, s46
	s_barrier_signal -1
	s_barrier_wait -1
	s_and_saveexec_b32 s46, s34
; %bb.644:                              ;   in Loop: Header=BB39_3 Depth=1
	s_delay_alu instid0(VALU_DEP_1) | instskip(NEXT) | instid1(VALU_DEP_2)
	v_xor_b32_e32 v47, 0x80000000, v3
	v_mov_b32_e32 v46, v2
	ds_store_b64 v80, v[46:47]
; %bb.645:                              ;   in Loop: Header=BB39_3 Depth=1
	s_or_b32 exec_lo, exec_lo, s46
	s_wait_dscnt 0x0
	s_barrier_signal -1
	s_barrier_wait -1
	s_and_saveexec_b32 s46, s35
	;; [unrolled: 22-line block ×4, first 2 shown]
	s_cbranch_execz .LBB39_655
; %bb.654:                              ;   in Loop: Header=BB39_3 Depth=1
	ds_load_b64 v[46:47], v7 offset:8832
	ds_load_b64 v[48:49], v80
	s_wait_dscnt 0x0
	v_fma_f64 v[2:3], -v[46:47], v[48:49], v[2:3]
.LBB39_655:                             ;   in Loop: Header=BB39_3 Depth=1
	s_or_b32 exec_lo, exec_lo, s46
	s_barrier_signal -1
	s_barrier_wait -1
	s_and_saveexec_b32 s46, s39
; %bb.656:                              ;   in Loop: Header=BB39_3 Depth=1
	s_delay_alu instid0(VALU_DEP_1) | instskip(NEXT) | instid1(VALU_DEP_2)
	v_xor_b32_e32 v47, 0x80000000, v3
	v_mov_b32_e32 v46, v2
	ds_store_b64 v80, v[46:47]
; %bb.657:                              ;   in Loop: Header=BB39_3 Depth=1
	s_or_b32 exec_lo, exec_lo, s46
	s_wait_dscnt 0x0
	s_barrier_signal -1
	s_barrier_wait -1
	s_barrier_signal -1
	s_barrier_wait -1
	s_and_saveexec_b32 s46, s3
; %bb.658:                              ;   in Loop: Header=BB39_3 Depth=1
	ds_store_b64 v81, v[2:3] offset:16000
; %bb.659:                              ;   in Loop: Header=BB39_3 Depth=1
	s_or_b32 exec_lo, exec_lo, s46
	s_wait_dscnt 0x0
	s_barrier_signal -1
	s_barrier_wait -1
	s_barrier_signal -1
	s_barrier_wait -1
	s_and_saveexec_b32 s46, s40
	s_cbranch_execz .LBB39_661
; %bb.660:                              ;   in Loop: Header=BB39_3 Depth=1
	ds_load_b64 v[2:3], v56 offset:12416
	s_wait_dscnt 0x0
	ds_store_b64 v58, v[2:3] offset:8384
	ds_load_b64 v[2:3], v56 offset:12424
	s_wait_dscnt 0x0
	ds_store_b64 v58, v[2:3] offset:8896
	;; [unrolled: 3-line block ×8, first 2 shown]
.LBB39_661:                             ;   in Loop: Header=BB39_3 Depth=1
	s_or_b32 exec_lo, exec_lo, s46
	s_wait_dscnt 0x0
	s_barrier_signal -1
	s_barrier_wait -1
	s_and_saveexec_b32 s46, s10
	s_cbranch_execz .LBB39_663
; %bb.662:                              ;   in Loop: Header=BB39_3 Depth=1
	ds_load_b64 v[2:3], v7 offset:11952
	v_mov_b32_e32 v0, v7
	ds_store_b64 v7, v[34:35] offset:11960
	s_wait_dscnt 0x1
	ds_store_b128 v7, v[0:3] offset:11440
.LBB39_663:                             ;   in Loop: Header=BB39_3 Depth=1
	s_or_b32 exec_lo, exec_lo, s46
	v_mov_b64_e32 v[2:3], 0
	s_wait_dscnt 0x0
	s_barrier_signal -1
	s_barrier_wait -1
	global_wb scope:SCOPE_DEV
	s_wait_storecnt 0x0
	global_inv scope:SCOPE_DEV
	s_and_saveexec_b32 s46, s0
	s_cbranch_execz .LBB39_667
; %bb.664:                              ;   in Loop: Header=BB39_3 Depth=1
	ds_load_b64 v[2:3], v72 offset:11424
	ds_load_b64 v[46:47], v57 offset:11952
	s_wait_dscnt 0x0
	v_fma_f64 v[2:3], v[2:3], v[46:47], 0
	s_and_saveexec_b32 s47, s11
	s_cbranch_execz .LBB39_666
; %bb.665:                              ;   in Loop: Header=BB39_3 Depth=1
	ds_load_b64 v[46:47], v58 offset:11936
	ds_load_b64 v[48:49], v7 offset:11960
	s_wait_dscnt 0x0
	v_fmac_f64_e32 v[2:3], v[46:47], v[48:49]
.LBB39_666:                             ;   in Loop: Header=BB39_3 Depth=1
	s_or_b32 exec_lo, exec_lo, s47
.LBB39_667:                             ;   in Loop: Header=BB39_3 Depth=1
	s_delay_alu instid0(SALU_CYCLE_1)
	s_or_b32 exec_lo, exec_lo, s46
	s_and_saveexec_b32 s46, s90
; %bb.668:                              ;   in Loop: Header=BB39_3 Depth=1
	s_delay_alu instid0(VALU_DEP_1) | instskip(NEXT) | instid1(VALU_DEP_2)
	v_xor_b32_e32 v47, 0x80000000, v3
	v_mov_b32_e32 v46, v2
	ds_store_b64 v73, v[46:47]
; %bb.669:                              ;   in Loop: Header=BB39_3 Depth=1
	s_or_b32 exec_lo, exec_lo, s46
	s_wait_loadcnt_dscnt 0x0
	s_barrier_signal -1
	s_barrier_wait -1
	s_and_saveexec_b32 s46, s91
	s_cbranch_execz .LBB39_671
; %bb.670:                              ;   in Loop: Header=BB39_3 Depth=1
	ds_load_b64 v[46:47], v7 offset:10912
	ds_load_b64 v[48:49], v73
	s_wait_dscnt 0x0
	v_fma_f64 v[2:3], -v[46:47], v[48:49], v[2:3]
.LBB39_671:                             ;   in Loop: Header=BB39_3 Depth=1
	s_or_b32 exec_lo, exec_lo, s46
	s_barrier_signal -1
	s_barrier_wait -1
	s_and_saveexec_b32 s46, s91
; %bb.672:                              ;   in Loop: Header=BB39_3 Depth=1
	s_delay_alu instid0(VALU_DEP_1) | instskip(NEXT) | instid1(VALU_DEP_2)
	v_xor_b32_e32 v47, 0x80000000, v3
	v_mov_b32_e32 v46, v2
	ds_store_b64 v73, v[46:47]
; %bb.673:                              ;   in Loop: Header=BB39_3 Depth=1
	s_or_b32 exec_lo, exec_lo, s46
	s_wait_dscnt 0x0
	s_barrier_signal -1
	s_barrier_wait -1
	s_barrier_signal -1
	s_barrier_wait -1
	s_and_saveexec_b32 s46, s0
; %bb.674:                              ;   in Loop: Header=BB39_3 Depth=1
	ds_store_b64 v75, v[2:3] offset:11936
; %bb.675:                              ;   in Loop: Header=BB39_3 Depth=1
	s_or_b32 exec_lo, exec_lo, s46
	s_wait_dscnt 0x0
	s_barrier_signal -1
	s_barrier_wait -1
	s_barrier_signal -1
	s_barrier_wait -1
	s_and_saveexec_b32 s46, s92
	s_cbranch_execz .LBB39_677
; %bb.676:                              ;   in Loop: Header=BB39_3 Depth=1
	ds_load_b64 v[2:3], v60 offset:11424
	s_wait_dscnt 0x0
	ds_store_b64 v58, v[2:3] offset:10416
	ds_load_b64 v[2:3], v60 offset:11432
	s_wait_dscnt 0x0
	ds_store_b64 v58, v[2:3] offset:10928
.LBB39_677:                             ;   in Loop: Header=BB39_3 Depth=1
	s_or_b32 exec_lo, exec_lo, s46
	s_wait_dscnt 0x0
	s_barrier_signal -1
	s_barrier_wait -1
	s_and_saveexec_b32 s46, s10
	s_cbranch_execz .LBB39_679
; %bb.678:                              ;   in Loop: Header=BB39_3 Depth=1
	ds_load_b64 v[2:3], v7 offset:10912
	v_mov_b32_e32 v0, v7
	ds_store_b64 v7, v[34:35] offset:10920
	s_wait_dscnt 0x1
	ds_store_b128 v7, v[0:3] offset:10400
.LBB39_679:                             ;   in Loop: Header=BB39_3 Depth=1
	s_or_b32 exec_lo, exec_lo, s46
	v_mov_b64_e32 v[2:3], 0
	s_wait_dscnt 0x0
	s_barrier_signal -1
	s_barrier_wait -1
	global_wb scope:SCOPE_DEV
	s_wait_storecnt 0x0
	global_inv scope:SCOPE_DEV
	s_and_saveexec_b32 s57, s2
	s_cbranch_execz .LBB39_685
; %bb.680:                              ;   in Loop: Header=BB39_3 Depth=1
	ds_load_b64 v[2:3], v74 offset:10368
	ds_load_b64 v[46:47], v59 offset:11936
	s_wait_dscnt 0x0
	v_fma_f64 v[2:3], v[2:3], v[46:47], 0
	s_and_saveexec_b32 s46, s12
	s_cbranch_execnz .LBB39_1101
; %bb.681:                              ;   in Loop: Header=BB39_3 Depth=1
	s_or_b32 exec_lo, exec_lo, s46
	s_and_saveexec_b32 s46, s13
	s_cbranch_execnz .LBB39_1102
.LBB39_682:                             ;   in Loop: Header=BB39_3 Depth=1
	s_or_b32 exec_lo, exec_lo, s46
	s_and_saveexec_b32 s46, s0
	s_cbranch_execz .LBB39_684
.LBB39_683:                             ;   in Loop: Header=BB39_3 Depth=1
	ds_load_b64 v[46:47], v62 offset:11904
	ds_load_b64 v[48:49], v7 offset:11960
	s_wait_dscnt 0x0
	v_fmac_f64_e32 v[2:3], v[46:47], v[48:49]
.LBB39_684:                             ;   in Loop: Header=BB39_3 Depth=1
	s_or_b32 exec_lo, exec_lo, s46
.LBB39_685:                             ;   in Loop: Header=BB39_3 Depth=1
	s_delay_alu instid0(SALU_CYCLE_1)
	s_or_b32 exec_lo, exec_lo, s57
	s_and_saveexec_b32 s46, s93
; %bb.686:                              ;   in Loop: Header=BB39_3 Depth=1
	s_delay_alu instid0(VALU_DEP_1) | instskip(NEXT) | instid1(VALU_DEP_2)
	v_xor_b32_e32 v47, 0x80000000, v3
	v_mov_b32_e32 v46, v2
	ds_store_b64 v77, v[46:47]
; %bb.687:                              ;   in Loop: Header=BB39_3 Depth=1
	s_or_b32 exec_lo, exec_lo, s46
	s_wait_loadcnt_dscnt 0x0
	s_barrier_signal -1
	s_barrier_wait -1
	s_and_saveexec_b32 s46, s94
	s_cbranch_execz .LBB39_689
; %bb.688:                              ;   in Loop: Header=BB39_3 Depth=1
	ds_load_b64 v[46:47], v74 offset:9856
	ds_load_b64 v[48:49], v77
	s_wait_dscnt 0x0
	v_fma_f64 v[2:3], -v[46:47], v[48:49], v[2:3]
.LBB39_689:                             ;   in Loop: Header=BB39_3 Depth=1
	s_or_b32 exec_lo, exec_lo, s46
	s_barrier_signal -1
	s_barrier_wait -1
	s_and_saveexec_b32 s46, s95
; %bb.690:                              ;   in Loop: Header=BB39_3 Depth=1
	s_delay_alu instid0(VALU_DEP_1) | instskip(NEXT) | instid1(VALU_DEP_2)
	v_xor_b32_e32 v47, 0x80000000, v3
	v_mov_b32_e32 v46, v2
	ds_store_b64 v77, v[46:47]
; %bb.691:                              ;   in Loop: Header=BB39_3 Depth=1
	s_or_b32 exec_lo, exec_lo, s46
	s_wait_dscnt 0x0
	s_barrier_signal -1
	s_barrier_wait -1
	s_and_saveexec_b32 s46, s96
	s_cbranch_execz .LBB39_693
; %bb.692:                              ;   in Loop: Header=BB39_3 Depth=1
	ds_load_b64 v[46:47], v74 offset:9344
	ds_load_b64 v[48:49], v77
	s_wait_dscnt 0x0
	v_fma_f64 v[2:3], -v[46:47], v[48:49], v[2:3]
.LBB39_693:                             ;   in Loop: Header=BB39_3 Depth=1
	s_or_b32 exec_lo, exec_lo, s46
	s_barrier_signal -1
	s_barrier_wait -1
	s_and_saveexec_b32 s46, s97
; %bb.694:                              ;   in Loop: Header=BB39_3 Depth=1
	s_delay_alu instid0(VALU_DEP_1) | instskip(NEXT) | instid1(VALU_DEP_2)
	v_xor_b32_e32 v47, 0x80000000, v3
	v_mov_b32_e32 v46, v2
	ds_store_b64 v77, v[46:47]
; %bb.695:                              ;   in Loop: Header=BB39_3 Depth=1
	s_or_b32 exec_lo, exec_lo, s46
	s_wait_dscnt 0x0
	;; [unrolled: 22-line block ×3, first 2 shown]
	s_barrier_signal -1
	s_barrier_wait -1
	s_barrier_signal -1
	s_barrier_wait -1
	s_and_saveexec_b32 s46, s2
; %bb.700:                              ;   in Loop: Header=BB39_3 Depth=1
	ds_store_b64 v79, v[2:3] offset:11904
; %bb.701:                              ;   in Loop: Header=BB39_3 Depth=1
	s_or_b32 exec_lo, exec_lo, s46
	s_wait_dscnt 0x0
	s_barrier_signal -1
	s_barrier_wait -1
	s_barrier_signal -1
	s_barrier_wait -1
	s_and_saveexec_b32 s46, s99
	s_cbranch_execz .LBB39_703
; %bb.702:                              ;   in Loop: Header=BB39_3 Depth=1
	ds_load_b64 v[2:3], v67 offset:10368
	s_wait_dscnt 0x0
	ds_store_b64 v68, v[2:3] offset:8352
	ds_load_b64 v[2:3], v67 offset:10376
	s_wait_dscnt 0x0
	ds_store_b64 v68, v[2:3] offset:8864
	;; [unrolled: 3-line block ×4, first 2 shown]
.LBB39_703:                             ;   in Loop: Header=BB39_3 Depth=1
	s_or_b32 exec_lo, exec_lo, s46
	s_wait_dscnt 0x0
	s_barrier_signal -1
	s_barrier_wait -1
	s_and_saveexec_b32 s46, s10
	s_cbranch_execz .LBB39_705
; %bb.704:                              ;   in Loop: Header=BB39_3 Depth=1
	ds_load_b64 v[2:3], v7 offset:9872
	v_mov_b32_e32 v0, v7
	ds_store_b64 v7, v[34:35] offset:9880
	s_wait_dscnt 0x1
	ds_store_b128 v7, v[0:3] offset:9360
.LBB39_705:                             ;   in Loop: Header=BB39_3 Depth=1
	s_or_b32 exec_lo, exec_lo, s46
	v_mov_b64_e32 v[2:3], 0
	s_wait_dscnt 0x0
	s_barrier_signal -1
	s_barrier_wait -1
	global_wb scope:SCOPE_DEV
	s_wait_storecnt 0x0
	global_inv scope:SCOPE_DEV
	s_and_saveexec_b32 s46, s0
	s_cbranch_execz .LBB39_709
; %bb.706:                              ;   in Loop: Header=BB39_3 Depth=1
	ds_load_b64 v[2:3], v72 offset:9344
	ds_load_b64 v[46:47], v57 offset:9872
	s_wait_dscnt 0x0
	v_fma_f64 v[2:3], v[2:3], v[46:47], 0
	s_and_saveexec_b32 s47, s11
	s_cbranch_execz .LBB39_708
; %bb.707:                              ;   in Loop: Header=BB39_3 Depth=1
	ds_load_b64 v[46:47], v68 offset:9856
	ds_load_b64 v[48:49], v7 offset:9880
	s_wait_dscnt 0x0
	v_fmac_f64_e32 v[2:3], v[46:47], v[48:49]
.LBB39_708:                             ;   in Loop: Header=BB39_3 Depth=1
	s_or_b32 exec_lo, exec_lo, s47
.LBB39_709:                             ;   in Loop: Header=BB39_3 Depth=1
	s_delay_alu instid0(SALU_CYCLE_1)
	s_or_b32 exec_lo, exec_lo, s46
	s_and_saveexec_b32 s46, s90
; %bb.710:                              ;   in Loop: Header=BB39_3 Depth=1
	s_delay_alu instid0(VALU_DEP_1) | instskip(NEXT) | instid1(VALU_DEP_2)
	v_xor_b32_e32 v47, 0x80000000, v3
	v_mov_b32_e32 v46, v2
	ds_store_b64 v73, v[46:47]
; %bb.711:                              ;   in Loop: Header=BB39_3 Depth=1
	s_or_b32 exec_lo, exec_lo, s46
	s_wait_loadcnt_dscnt 0x0
	s_barrier_signal -1
	s_barrier_wait -1
	s_and_saveexec_b32 s46, s91
	s_cbranch_execz .LBB39_713
; %bb.712:                              ;   in Loop: Header=BB39_3 Depth=1
	ds_load_b64 v[46:47], v7 offset:8832
	ds_load_b64 v[48:49], v73
	s_wait_dscnt 0x0
	v_fma_f64 v[2:3], -v[46:47], v[48:49], v[2:3]
.LBB39_713:                             ;   in Loop: Header=BB39_3 Depth=1
	s_or_b32 exec_lo, exec_lo, s46
	s_barrier_signal -1
	s_barrier_wait -1
	s_and_saveexec_b32 s46, s91
; %bb.714:                              ;   in Loop: Header=BB39_3 Depth=1
	s_delay_alu instid0(VALU_DEP_1) | instskip(NEXT) | instid1(VALU_DEP_2)
	v_xor_b32_e32 v47, 0x80000000, v3
	v_mov_b32_e32 v46, v2
	ds_store_b64 v73, v[46:47]
; %bb.715:                              ;   in Loop: Header=BB39_3 Depth=1
	s_or_b32 exec_lo, exec_lo, s46
	s_wait_dscnt 0x0
	s_barrier_signal -1
	s_barrier_wait -1
	s_barrier_signal -1
	s_barrier_wait -1
	s_and_saveexec_b32 s46, s0
; %bb.716:                              ;   in Loop: Header=BB39_3 Depth=1
	ds_store_b64 v75, v[2:3] offset:9856
; %bb.717:                              ;   in Loop: Header=BB39_3 Depth=1
	s_or_b32 exec_lo, exec_lo, s46
	s_wait_dscnt 0x0
	s_barrier_signal -1
	s_barrier_wait -1
	s_barrier_signal -1
	s_barrier_wait -1
	s_and_saveexec_b32 s46, s92
	s_cbranch_execz .LBB39_719
; %bb.718:                              ;   in Loop: Header=BB39_3 Depth=1
	ds_load_b64 v[2:3], v69 offset:9344
	s_wait_dscnt 0x0
	ds_store_b64 v68, v[2:3] offset:8336
	ds_load_b64 v[2:3], v69 offset:9352
	s_wait_dscnt 0x0
	ds_store_b64 v68, v[2:3] offset:8848
.LBB39_719:                             ;   in Loop: Header=BB39_3 Depth=1
	s_or_b32 exec_lo, exec_lo, s46
	s_wait_dscnt 0x0
	s_barrier_signal -1
	s_barrier_wait -1
	s_and_saveexec_b32 s46, s10
	s_cbranch_execz .LBB39_721
; %bb.720:                              ;   in Loop: Header=BB39_3 Depth=1
	ds_load_b64 v[2:3], v7 offset:8832
	v_mov_b32_e32 v0, v7
	ds_store_b64 v7, v[34:35] offset:8840
	s_wait_dscnt 0x1
	ds_store_b128 v7, v[0:3] offset:8320
.LBB39_721:                             ;   in Loop: Header=BB39_3 Depth=1
	s_or_b32 exec_lo, exec_lo, s46
	v_mov_b64_e32 v[2:3], 0
	s_wait_dscnt 0x0
	s_barrier_signal -1
	s_barrier_wait -1
	global_wb scope:SCOPE_DEV
	s_wait_storecnt 0x0
	global_inv scope:SCOPE_DEV
	s_and_saveexec_b32 s61, s4
	s_cbranch_execz .LBB39_749
; %bb.722:                              ;   in Loop: Header=BB39_3 Depth=1
	ds_load_b64 v[2:3], v78 offset:8192
	ds_load_b64 v[46:47], v65 offset:16000
	s_wait_dscnt 0x0
	v_fma_f64 v[2:3], v[2:3], v[46:47], 0
	s_mov_b32 s46, exec_lo
	v_readlane_b32 s47, v103, 19
	s_and_b32 s47, s46, s47
	s_delay_alu instid0(SALU_CYCLE_1)
	s_mov_b32 exec_lo, s47
	s_cbranch_execz .LBB39_724
; %bb.723:                              ;   in Loop: Header=BB39_3 Depth=1
	ds_load_b64 v[46:47], v78 offset:8704
	ds_load_b64 v[48:49], v65 offset:16008
	s_wait_dscnt 0x0
	v_fmac_f64_e32 v[2:3], v[46:47], v[48:49]
.LBB39_724:                             ;   in Loop: Header=BB39_3 Depth=1
	s_or_b32 exec_lo, exec_lo, s46
	s_delay_alu instid0(SALU_CYCLE_1) | instskip(SKIP_2) | instid1(SALU_CYCLE_1)
	s_mov_b32 s46, exec_lo
	v_readlane_b32 s47, v103, 20
	s_and_b32 s47, s46, s47
	s_mov_b32 exec_lo, s47
	s_cbranch_execz .LBB39_726
; %bb.725:                              ;   in Loop: Header=BB39_3 Depth=1
	ds_load_b64 v[46:47], v78 offset:9216
	ds_load_b64 v[48:49], v65 offset:16016
	s_wait_dscnt 0x0
	v_fmac_f64_e32 v[2:3], v[46:47], v[48:49]
.LBB39_726:                             ;   in Loop: Header=BB39_3 Depth=1
	s_or_b32 exec_lo, exec_lo, s46
	s_delay_alu instid0(SALU_CYCLE_1) | instskip(SKIP_2) | instid1(SALU_CYCLE_1)
	s_mov_b32 s46, exec_lo
	v_readlane_b32 s47, v103, 21
	s_and_b32 s47, s46, s47
	;; [unrolled: 13-line block ×10, first 2 shown]
	s_mov_b32 exec_lo, s47
	s_cbranch_execnz .LBB39_1103
; %bb.743:                              ;   in Loop: Header=BB39_3 Depth=1
	s_or_b32 exec_lo, exec_lo, s46
	s_and_saveexec_b32 s46, s3
	s_cbranch_execnz .LBB39_1104
.LBB39_744:                             ;   in Loop: Header=BB39_3 Depth=1
	s_or_b32 exec_lo, exec_lo, s46
	s_and_saveexec_b32 s46, s15
	s_cbranch_execnz .LBB39_1105
.LBB39_745:                             ;   in Loop: Header=BB39_3 Depth=1
	s_or_b32 exec_lo, exec_lo, s46
	s_and_saveexec_b32 s46, s17
	s_cbranch_execnz .LBB39_1106
.LBB39_746:                             ;   in Loop: Header=BB39_3 Depth=1
	s_or_b32 exec_lo, exec_lo, s46
	s_and_saveexec_b32 s46, s2
	s_cbranch_execz .LBB39_748
.LBB39_747:                             ;   in Loop: Header=BB39_3 Depth=1
	ds_load_b64 v[46:47], v11 offset:15872
	ds_load_b64 v[48:49], v7 offset:16120
	s_wait_dscnt 0x0
	v_fmac_f64_e32 v[2:3], v[46:47], v[48:49]
.LBB39_748:                             ;   in Loop: Header=BB39_3 Depth=1
	s_or_b32 exec_lo, exec_lo, s46
.LBB39_749:                             ;   in Loop: Header=BB39_3 Depth=1
	s_delay_alu instid0(SALU_CYCLE_1) | instskip(NEXT) | instid1(SALU_CYCLE_1)
	s_or_b32 exec_lo, exec_lo, s61
	s_mov_b32 s46, exec_lo
	v_readlane_b32 s47, v103, 2
	s_and_b32 s47, s46, s47
	s_delay_alu instid0(SALU_CYCLE_1)
	s_mov_b32 exec_lo, s47
; %bb.750:                              ;   in Loop: Header=BB39_3 Depth=1
	v_xor_b32_e32 v47, 0x80000000, v3
	v_mov_b32_e32 v46, v2
	ds_store_b64 v82, v[46:47]
; %bb.751:                              ;   in Loop: Header=BB39_3 Depth=1
	s_or_b32 exec_lo, exec_lo, s46
	s_wait_loadcnt_dscnt 0x0
	s_barrier_signal -1
	s_barrier_wait -1
	s_mov_b32 s46, exec_lo
	v_readlane_b32 s47, v103, 3
	s_and_b32 s47, s46, s47
	s_delay_alu instid0(SALU_CYCLE_1)
	s_mov_b32 exec_lo, s47
	s_cbranch_execz .LBB39_753
; %bb.752:                              ;   in Loop: Header=BB39_3 Depth=1
	ds_load_b64 v[46:47], v78 offset:7680
	ds_load_b64 v[48:49], v82
	s_wait_dscnt 0x0
	v_fma_f64 v[2:3], -v[46:47], v[48:49], v[2:3]
.LBB39_753:                             ;   in Loop: Header=BB39_3 Depth=1
	s_or_b32 exec_lo, exec_lo, s46
	s_barrier_signal -1
	s_barrier_wait -1
	s_mov_b32 s46, exec_lo
	v_readlane_b32 s47, v103, 4
	s_and_b32 s47, s46, s47
	s_delay_alu instid0(SALU_CYCLE_1)
	s_mov_b32 exec_lo, s47
; %bb.754:                              ;   in Loop: Header=BB39_3 Depth=1
	v_xor_b32_e32 v47, 0x80000000, v3
	v_mov_b32_e32 v46, v2
	ds_store_b64 v82, v[46:47]
; %bb.755:                              ;   in Loop: Header=BB39_3 Depth=1
	s_or_b32 exec_lo, exec_lo, s46
	s_wait_dscnt 0x0
	s_barrier_signal -1
	s_barrier_wait -1
	s_mov_b32 s46, exec_lo
	v_readlane_b32 s47, v103, 5
	s_and_b32 s47, s46, s47
	s_delay_alu instid0(SALU_CYCLE_1)
	s_mov_b32 exec_lo, s47
	s_cbranch_execz .LBB39_757
; %bb.756:                              ;   in Loop: Header=BB39_3 Depth=1
	ds_load_b64 v[46:47], v78 offset:7168
	ds_load_b64 v[48:49], v82
	s_wait_dscnt 0x0
	v_fma_f64 v[2:3], -v[46:47], v[48:49], v[2:3]
.LBB39_757:                             ;   in Loop: Header=BB39_3 Depth=1
	s_or_b32 exec_lo, exec_lo, s46
	s_barrier_signal -1
	s_barrier_wait -1
	s_mov_b32 s46, exec_lo
	v_readlane_b32 s47, v103, 6
	s_and_b32 s47, s46, s47
	s_delay_alu instid0(SALU_CYCLE_1)
	s_mov_b32 exec_lo, s47
; %bb.758:                              ;   in Loop: Header=BB39_3 Depth=1
	v_xor_b32_e32 v47, 0x80000000, v3
	v_mov_b32_e32 v46, v2
	ds_store_b64 v82, v[46:47]
; %bb.759:                              ;   in Loop: Header=BB39_3 Depth=1
	s_or_b32 exec_lo, exec_lo, s46
	s_wait_dscnt 0x0
	;; [unrolled: 29-line block ×3, first 2 shown]
	s_barrier_signal -1
	s_barrier_wait -1
	s_and_saveexec_b32 s46, s48
	s_cbranch_execz .LBB39_765
; %bb.764:                              ;   in Loop: Header=BB39_3 Depth=1
	ds_load_b64 v[46:47], v78 offset:6144
	ds_load_b64 v[48:49], v82
	s_wait_dscnt 0x0
	v_fma_f64 v[2:3], -v[46:47], v[48:49], v[2:3]
.LBB39_765:                             ;   in Loop: Header=BB39_3 Depth=1
	s_or_b32 exec_lo, exec_lo, s46
	s_barrier_signal -1
	s_barrier_wait -1
	s_and_saveexec_b32 s46, s49
; %bb.766:                              ;   in Loop: Header=BB39_3 Depth=1
	s_delay_alu instid0(VALU_DEP_1) | instskip(NEXT) | instid1(VALU_DEP_2)
	v_xor_b32_e32 v47, 0x80000000, v3
	v_mov_b32_e32 v46, v2
	ds_store_b64 v82, v[46:47]
; %bb.767:                              ;   in Loop: Header=BB39_3 Depth=1
	s_or_b32 exec_lo, exec_lo, s46
	s_wait_dscnt 0x0
	s_barrier_signal -1
	s_barrier_wait -1
	s_and_saveexec_b32 s46, s50
	s_cbranch_execz .LBB39_769
; %bb.768:                              ;   in Loop: Header=BB39_3 Depth=1
	ds_load_b64 v[46:47], v78 offset:5632
	ds_load_b64 v[48:49], v82
	s_wait_dscnt 0x0
	v_fma_f64 v[2:3], -v[46:47], v[48:49], v[2:3]
.LBB39_769:                             ;   in Loop: Header=BB39_3 Depth=1
	s_or_b32 exec_lo, exec_lo, s46
	s_barrier_signal -1
	s_barrier_wait -1
	s_and_saveexec_b32 s46, s51
; %bb.770:                              ;   in Loop: Header=BB39_3 Depth=1
	s_delay_alu instid0(VALU_DEP_1) | instskip(NEXT) | instid1(VALU_DEP_2)
	v_xor_b32_e32 v47, 0x80000000, v3
	v_mov_b32_e32 v46, v2
	ds_store_b64 v82, v[46:47]
; %bb.771:                              ;   in Loop: Header=BB39_3 Depth=1
	s_or_b32 exec_lo, exec_lo, s46
	s_wait_dscnt 0x0
	;; [unrolled: 22-line block ×12, first 2 shown]
	s_barrier_signal -1
	s_barrier_wait -1
	s_barrier_signal -1
	s_barrier_wait -1
	s_and_saveexec_b32 s46, s4
; %bb.812:                              ;   in Loop: Header=BB39_3 Depth=1
	ds_store_b64 v83, v[2:3] offset:15872
; %bb.813:                              ;   in Loop: Header=BB39_3 Depth=1
	s_or_b32 exec_lo, exec_lo, s46
	s_wait_dscnt 0x0
	s_barrier_signal -1
	s_barrier_wait -1
	s_barrier_signal -1
	s_barrier_wait -1
	s_and_saveexec_b32 s57, s43
	s_cbranch_execz .LBB39_815
; %bb.814:                              ;   in Loop: Header=BB39_3 Depth=1
	ds_load_b64 v[2:3], v50 offset:8192
	s_wait_dscnt 0x0
	ds_store_b64 v51, v[2:3] offset:128
	ds_load_b64 v[2:3], v50 offset:8200
	s_wait_dscnt 0x0
	ds_store_b64 v51, v[2:3] offset:640
	;; [unrolled: 3-line block ×16, first 2 shown]
.LBB39_815:                             ;   in Loop: Header=BB39_3 Depth=1
	s_or_b32 exec_lo, exec_lo, s57
	s_wait_dscnt 0x0
	s_barrier_signal -1
	s_barrier_wait -1
	s_and_saveexec_b32 s46, s10
	s_cbranch_execz .LBB39_817
; %bb.816:                              ;   in Loop: Header=BB39_3 Depth=1
	ds_load_b64 v[2:3], v7 offset:7792
	v_mov_b32_e32 v0, v7
	ds_store_b64 v7, v[34:35] offset:7800
	s_wait_dscnt 0x1
	ds_store_b128 v7, v[0:3] offset:7280
.LBB39_817:                             ;   in Loop: Header=BB39_3 Depth=1
	s_or_b32 exec_lo, exec_lo, s46
	v_mov_b64_e32 v[2:3], 0
	s_wait_dscnt 0x0
	s_barrier_signal -1
	s_barrier_wait -1
	global_wb scope:SCOPE_DEV
	s_wait_storecnt 0x0
	global_inv scope:SCOPE_DEV
	s_and_saveexec_b32 s46, s0
	s_cbranch_execz .LBB39_821
; %bb.818:                              ;   in Loop: Header=BB39_3 Depth=1
	ds_load_b64 v[2:3], v72 offset:7264
	ds_load_b64 v[46:47], v57 offset:7792
	s_wait_dscnt 0x0
	v_fma_f64 v[2:3], v[2:3], v[46:47], 0
	s_and_saveexec_b32 s47, s11
	s_cbranch_execz .LBB39_820
; %bb.819:                              ;   in Loop: Header=BB39_3 Depth=1
	ds_load_b64 v[46:47], v11 offset:7776
	ds_load_b64 v[48:49], v7 offset:7800
	s_wait_dscnt 0x0
	v_fmac_f64_e32 v[2:3], v[46:47], v[48:49]
.LBB39_820:                             ;   in Loop: Header=BB39_3 Depth=1
	s_or_b32 exec_lo, exec_lo, s47
.LBB39_821:                             ;   in Loop: Header=BB39_3 Depth=1
	s_delay_alu instid0(SALU_CYCLE_1)
	s_or_b32 exec_lo, exec_lo, s46
	s_and_saveexec_b32 s46, s90
; %bb.822:                              ;   in Loop: Header=BB39_3 Depth=1
	s_delay_alu instid0(VALU_DEP_1) | instskip(NEXT) | instid1(VALU_DEP_2)
	v_xor_b32_e32 v47, 0x80000000, v3
	v_mov_b32_e32 v46, v2
	ds_store_b64 v73, v[46:47]
; %bb.823:                              ;   in Loop: Header=BB39_3 Depth=1
	s_or_b32 exec_lo, exec_lo, s46
	s_wait_loadcnt_dscnt 0x0
	s_barrier_signal -1
	s_barrier_wait -1
	s_and_saveexec_b32 s46, s91
	s_cbranch_execz .LBB39_825
; %bb.824:                              ;   in Loop: Header=BB39_3 Depth=1
	ds_load_b64 v[46:47], v7 offset:6752
	ds_load_b64 v[48:49], v73
	s_wait_dscnt 0x0
	v_fma_f64 v[2:3], -v[46:47], v[48:49], v[2:3]
.LBB39_825:                             ;   in Loop: Header=BB39_3 Depth=1
	s_or_b32 exec_lo, exec_lo, s46
	s_barrier_signal -1
	s_barrier_wait -1
	s_and_saveexec_b32 s46, s91
; %bb.826:                              ;   in Loop: Header=BB39_3 Depth=1
	s_delay_alu instid0(VALU_DEP_1) | instskip(NEXT) | instid1(VALU_DEP_2)
	v_xor_b32_e32 v47, 0x80000000, v3
	v_mov_b32_e32 v46, v2
	ds_store_b64 v73, v[46:47]
; %bb.827:                              ;   in Loop: Header=BB39_3 Depth=1
	s_or_b32 exec_lo, exec_lo, s46
	s_wait_dscnt 0x0
	s_barrier_signal -1
	s_barrier_wait -1
	s_barrier_signal -1
	s_barrier_wait -1
	s_and_saveexec_b32 s46, s0
; %bb.828:                              ;   in Loop: Header=BB39_3 Depth=1
	ds_store_b64 v75, v[2:3] offset:7776
; %bb.829:                              ;   in Loop: Header=BB39_3 Depth=1
	s_or_b32 exec_lo, exec_lo, s46
	s_wait_dscnt 0x0
	s_barrier_signal -1
	s_barrier_wait -1
	s_barrier_signal -1
	s_barrier_wait -1
	s_and_saveexec_b32 s46, s92
	s_cbranch_execz .LBB39_831
; %bb.830:                              ;   in Loop: Header=BB39_3 Depth=1
	ds_load_b64 v[2:3], v50 offset:7264
	s_wait_dscnt 0x0
	ds_store_b64 v11, v[2:3] offset:6256
	ds_load_b64 v[2:3], v50 offset:7272
	s_wait_dscnt 0x0
	ds_store_b64 v11, v[2:3] offset:6768
.LBB39_831:                             ;   in Loop: Header=BB39_3 Depth=1
	s_or_b32 exec_lo, exec_lo, s46
	s_wait_dscnt 0x0
	s_barrier_signal -1
	s_barrier_wait -1
	s_and_saveexec_b32 s46, s10
	s_cbranch_execz .LBB39_833
; %bb.832:                              ;   in Loop: Header=BB39_3 Depth=1
	ds_load_b64 v[2:3], v7 offset:6752
	v_mov_b32_e32 v0, v7
	ds_store_b64 v7, v[34:35] offset:6760
	s_wait_dscnt 0x1
	ds_store_b128 v7, v[0:3] offset:6240
.LBB39_833:                             ;   in Loop: Header=BB39_3 Depth=1
	s_or_b32 exec_lo, exec_lo, s46
	v_mov_b64_e32 v[2:3], 0
	s_wait_dscnt 0x0
	s_barrier_signal -1
	s_barrier_wait -1
	global_wb scope:SCOPE_DEV
	s_wait_storecnt 0x0
	global_inv scope:SCOPE_DEV
	s_and_saveexec_b32 s57, s2
	s_cbranch_execz .LBB39_839
; %bb.834:                              ;   in Loop: Header=BB39_3 Depth=1
	ds_load_b64 v[2:3], v74 offset:6208
	ds_load_b64 v[46:47], v59 offset:7776
	s_wait_dscnt 0x0
	v_fma_f64 v[2:3], v[2:3], v[46:47], 0
	s_and_saveexec_b32 s46, s12
	s_cbranch_execnz .LBB39_1107
; %bb.835:                              ;   in Loop: Header=BB39_3 Depth=1
	s_or_b32 exec_lo, exec_lo, s46
	s_and_saveexec_b32 s46, s13
	s_cbranch_execnz .LBB39_1108
.LBB39_836:                             ;   in Loop: Header=BB39_3 Depth=1
	s_or_b32 exec_lo, exec_lo, s46
	s_and_saveexec_b32 s46, s0
	s_cbranch_execz .LBB39_838
.LBB39_837:                             ;   in Loop: Header=BB39_3 Depth=1
	ds_load_b64 v[46:47], v51 offset:7744
	ds_load_b64 v[48:49], v7 offset:7800
	s_wait_dscnt 0x0
	v_fmac_f64_e32 v[2:3], v[46:47], v[48:49]
.LBB39_838:                             ;   in Loop: Header=BB39_3 Depth=1
	s_or_b32 exec_lo, exec_lo, s46
.LBB39_839:                             ;   in Loop: Header=BB39_3 Depth=1
	s_delay_alu instid0(SALU_CYCLE_1)
	s_or_b32 exec_lo, exec_lo, s57
	s_and_saveexec_b32 s46, s93
; %bb.840:                              ;   in Loop: Header=BB39_3 Depth=1
	s_delay_alu instid0(VALU_DEP_1) | instskip(NEXT) | instid1(VALU_DEP_2)
	v_xor_b32_e32 v47, 0x80000000, v3
	v_mov_b32_e32 v46, v2
	ds_store_b64 v77, v[46:47]
; %bb.841:                              ;   in Loop: Header=BB39_3 Depth=1
	s_or_b32 exec_lo, exec_lo, s46
	s_wait_loadcnt_dscnt 0x0
	s_barrier_signal -1
	s_barrier_wait -1
	s_and_saveexec_b32 s46, s94
	s_cbranch_execz .LBB39_843
; %bb.842:                              ;   in Loop: Header=BB39_3 Depth=1
	ds_load_b64 v[46:47], v74 offset:5696
	ds_load_b64 v[48:49], v77
	s_wait_dscnt 0x0
	v_fma_f64 v[2:3], -v[46:47], v[48:49], v[2:3]
.LBB39_843:                             ;   in Loop: Header=BB39_3 Depth=1
	s_or_b32 exec_lo, exec_lo, s46
	s_barrier_signal -1
	s_barrier_wait -1
	s_and_saveexec_b32 s46, s95
; %bb.844:                              ;   in Loop: Header=BB39_3 Depth=1
	s_delay_alu instid0(VALU_DEP_1) | instskip(NEXT) | instid1(VALU_DEP_2)
	v_xor_b32_e32 v47, 0x80000000, v3
	v_mov_b32_e32 v46, v2
	ds_store_b64 v77, v[46:47]
; %bb.845:                              ;   in Loop: Header=BB39_3 Depth=1
	s_or_b32 exec_lo, exec_lo, s46
	s_wait_dscnt 0x0
	s_barrier_signal -1
	s_barrier_wait -1
	s_and_saveexec_b32 s46, s96
	s_cbranch_execz .LBB39_847
; %bb.846:                              ;   in Loop: Header=BB39_3 Depth=1
	ds_load_b64 v[46:47], v74 offset:5184
	ds_load_b64 v[48:49], v77
	s_wait_dscnt 0x0
	v_fma_f64 v[2:3], -v[46:47], v[48:49], v[2:3]
.LBB39_847:                             ;   in Loop: Header=BB39_3 Depth=1
	s_or_b32 exec_lo, exec_lo, s46
	s_barrier_signal -1
	s_barrier_wait -1
	s_and_saveexec_b32 s46, s97
; %bb.848:                              ;   in Loop: Header=BB39_3 Depth=1
	s_delay_alu instid0(VALU_DEP_1) | instskip(NEXT) | instid1(VALU_DEP_2)
	v_xor_b32_e32 v47, 0x80000000, v3
	v_mov_b32_e32 v46, v2
	ds_store_b64 v77, v[46:47]
; %bb.849:                              ;   in Loop: Header=BB39_3 Depth=1
	s_or_b32 exec_lo, exec_lo, s46
	s_wait_dscnt 0x0
	;; [unrolled: 22-line block ×3, first 2 shown]
	s_barrier_signal -1
	s_barrier_wait -1
	s_barrier_signal -1
	s_barrier_wait -1
	s_and_saveexec_b32 s46, s2
; %bb.854:                              ;   in Loop: Header=BB39_3 Depth=1
	ds_store_b64 v79, v[2:3] offset:7744
; %bb.855:                              ;   in Loop: Header=BB39_3 Depth=1
	s_or_b32 exec_lo, exec_lo, s46
	s_wait_dscnt 0x0
	s_barrier_signal -1
	s_barrier_wait -1
	s_barrier_signal -1
	s_barrier_wait -1
	s_and_saveexec_b32 s46, s99
	s_cbranch_execz .LBB39_857
; %bb.856:                              ;   in Loop: Header=BB39_3 Depth=1
	ds_load_b64 v[2:3], v52 offset:6208
	s_wait_dscnt 0x0
	ds_store_b64 v53, v[2:3] offset:4192
	ds_load_b64 v[2:3], v52 offset:6216
	s_wait_dscnt 0x0
	ds_store_b64 v53, v[2:3] offset:4704
	;; [unrolled: 3-line block ×4, first 2 shown]
.LBB39_857:                             ;   in Loop: Header=BB39_3 Depth=1
	s_or_b32 exec_lo, exec_lo, s46
	s_wait_dscnt 0x0
	s_barrier_signal -1
	s_barrier_wait -1
	s_and_saveexec_b32 s46, s10
	s_cbranch_execz .LBB39_859
; %bb.858:                              ;   in Loop: Header=BB39_3 Depth=1
	ds_load_b64 v[2:3], v7 offset:5712
	v_mov_b32_e32 v0, v7
	ds_store_b64 v7, v[34:35] offset:5720
	s_wait_dscnt 0x1
	ds_store_b128 v7, v[0:3] offset:5200
.LBB39_859:                             ;   in Loop: Header=BB39_3 Depth=1
	s_or_b32 exec_lo, exec_lo, s46
	v_mov_b64_e32 v[2:3], 0
	s_wait_dscnt 0x0
	s_barrier_signal -1
	s_barrier_wait -1
	global_wb scope:SCOPE_DEV
	s_wait_storecnt 0x0
	global_inv scope:SCOPE_DEV
	s_and_saveexec_b32 s46, s0
	s_cbranch_execz .LBB39_863
; %bb.860:                              ;   in Loop: Header=BB39_3 Depth=1
	ds_load_b64 v[2:3], v72 offset:5184
	ds_load_b64 v[46:47], v57 offset:5712
	s_wait_dscnt 0x0
	v_fma_f64 v[2:3], v[2:3], v[46:47], 0
	s_and_saveexec_b32 s47, s11
	s_cbranch_execz .LBB39_862
; %bb.861:                              ;   in Loop: Header=BB39_3 Depth=1
	ds_load_b64 v[46:47], v53 offset:5696
	ds_load_b64 v[48:49], v7 offset:5720
	s_wait_dscnt 0x0
	v_fmac_f64_e32 v[2:3], v[46:47], v[48:49]
.LBB39_862:                             ;   in Loop: Header=BB39_3 Depth=1
	s_or_b32 exec_lo, exec_lo, s47
.LBB39_863:                             ;   in Loop: Header=BB39_3 Depth=1
	s_delay_alu instid0(SALU_CYCLE_1)
	s_or_b32 exec_lo, exec_lo, s46
	s_and_saveexec_b32 s46, s90
; %bb.864:                              ;   in Loop: Header=BB39_3 Depth=1
	s_delay_alu instid0(VALU_DEP_1) | instskip(NEXT) | instid1(VALU_DEP_2)
	v_xor_b32_e32 v47, 0x80000000, v3
	v_mov_b32_e32 v46, v2
	ds_store_b64 v73, v[46:47]
; %bb.865:                              ;   in Loop: Header=BB39_3 Depth=1
	s_or_b32 exec_lo, exec_lo, s46
	s_wait_loadcnt_dscnt 0x0
	s_barrier_signal -1
	s_barrier_wait -1
	s_and_saveexec_b32 s46, s91
	s_cbranch_execz .LBB39_867
; %bb.866:                              ;   in Loop: Header=BB39_3 Depth=1
	ds_load_b64 v[46:47], v7 offset:4672
	ds_load_b64 v[48:49], v73
	s_wait_dscnt 0x0
	v_fma_f64 v[2:3], -v[46:47], v[48:49], v[2:3]
.LBB39_867:                             ;   in Loop: Header=BB39_3 Depth=1
	s_or_b32 exec_lo, exec_lo, s46
	s_barrier_signal -1
	s_barrier_wait -1
	s_and_saveexec_b32 s46, s91
; %bb.868:                              ;   in Loop: Header=BB39_3 Depth=1
	s_delay_alu instid0(VALU_DEP_1) | instskip(NEXT) | instid1(VALU_DEP_2)
	v_xor_b32_e32 v47, 0x80000000, v3
	v_mov_b32_e32 v46, v2
	ds_store_b64 v73, v[46:47]
; %bb.869:                              ;   in Loop: Header=BB39_3 Depth=1
	s_or_b32 exec_lo, exec_lo, s46
	s_wait_dscnt 0x0
	s_barrier_signal -1
	s_barrier_wait -1
	s_barrier_signal -1
	s_barrier_wait -1
	s_and_saveexec_b32 s46, s0
; %bb.870:                              ;   in Loop: Header=BB39_3 Depth=1
	ds_store_b64 v75, v[2:3] offset:5696
; %bb.871:                              ;   in Loop: Header=BB39_3 Depth=1
	s_or_b32 exec_lo, exec_lo, s46
	s_wait_dscnt 0x0
	s_barrier_signal -1
	s_barrier_wait -1
	s_barrier_signal -1
	s_barrier_wait -1
	s_and_saveexec_b32 s46, s92
	s_cbranch_execz .LBB39_873
; %bb.872:                              ;   in Loop: Header=BB39_3 Depth=1
	ds_load_b64 v[2:3], v54 offset:5184
	s_wait_dscnt 0x0
	ds_store_b64 v53, v[2:3] offset:4176
	ds_load_b64 v[2:3], v54 offset:5192
	s_wait_dscnt 0x0
	ds_store_b64 v53, v[2:3] offset:4688
.LBB39_873:                             ;   in Loop: Header=BB39_3 Depth=1
	s_or_b32 exec_lo, exec_lo, s46
	s_wait_dscnt 0x0
	s_barrier_signal -1
	s_barrier_wait -1
	s_and_saveexec_b32 s46, s10
	s_cbranch_execz .LBB39_875
; %bb.874:                              ;   in Loop: Header=BB39_3 Depth=1
	ds_load_b64 v[2:3], v7 offset:4672
	v_mov_b32_e32 v0, v7
	ds_store_b64 v7, v[34:35] offset:4680
	s_wait_dscnt 0x1
	ds_store_b128 v7, v[0:3] offset:4160
.LBB39_875:                             ;   in Loop: Header=BB39_3 Depth=1
	s_or_b32 exec_lo, exec_lo, s46
	v_mov_b64_e32 v[2:3], 0
	s_wait_dscnt 0x0
	s_barrier_signal -1
	s_barrier_wait -1
	global_wb scope:SCOPE_DEV
	s_wait_storecnt 0x0
	global_inv scope:SCOPE_DEV
	s_and_saveexec_b32 s57, s3
	s_cbranch_execz .LBB39_885
; %bb.876:                              ;   in Loop: Header=BB39_3 Depth=1
	ds_load_b64 v[2:3], v76 offset:4096
	ds_load_b64 v[46:47], v63 offset:7744
	s_wait_dscnt 0x0
	v_fma_f64 v[2:3], v[2:3], v[46:47], 0
	s_and_saveexec_b32 s46, s14
	s_cbranch_execnz .LBB39_1109
; %bb.877:                              ;   in Loop: Header=BB39_3 Depth=1
	s_or_b32 exec_lo, exec_lo, s46
	s_and_saveexec_b32 s46, s15
	s_cbranch_execnz .LBB39_1110
.LBB39_878:                             ;   in Loop: Header=BB39_3 Depth=1
	s_or_b32 exec_lo, exec_lo, s46
	s_and_saveexec_b32 s46, s16
	s_cbranch_execnz .LBB39_1111
.LBB39_879:                             ;   in Loop: Header=BB39_3 Depth=1
	s_or_b32 exec_lo, exec_lo, s46
	s_and_saveexec_b32 s46, s17
	s_cbranch_execnz .LBB39_1112
.LBB39_880:                             ;   in Loop: Header=BB39_3 Depth=1
	s_or_b32 exec_lo, exec_lo, s46
	s_and_saveexec_b32 s46, s18
	s_cbranch_execnz .LBB39_1113
.LBB39_881:                             ;   in Loop: Header=BB39_3 Depth=1
	s_or_b32 exec_lo, exec_lo, s46
	s_and_saveexec_b32 s46, s2
	s_cbranch_execnz .LBB39_1114
.LBB39_882:                             ;   in Loop: Header=BB39_3 Depth=1
	s_or_b32 exec_lo, exec_lo, s46
	s_and_saveexec_b32 s46, s13
	s_cbranch_execz .LBB39_884
.LBB39_883:                             ;   in Loop: Header=BB39_3 Depth=1
	ds_load_b64 v[46:47], v55 offset:7680
	ds_load_b64 v[48:49], v7 offset:7800
	s_wait_dscnt 0x0
	v_fmac_f64_e32 v[2:3], v[46:47], v[48:49]
.LBB39_884:                             ;   in Loop: Header=BB39_3 Depth=1
	s_or_b32 exec_lo, exec_lo, s46
.LBB39_885:                             ;   in Loop: Header=BB39_3 Depth=1
	s_delay_alu instid0(SALU_CYCLE_1)
	s_or_b32 exec_lo, exec_lo, s57
	s_and_saveexec_b32 s46, s100
; %bb.886:                              ;   in Loop: Header=BB39_3 Depth=1
	s_delay_alu instid0(VALU_DEP_1) | instskip(NEXT) | instid1(VALU_DEP_2)
	v_xor_b32_e32 v47, 0x80000000, v3
	v_mov_b32_e32 v46, v2
	ds_store_b64 v80, v[46:47]
; %bb.887:                              ;   in Loop: Header=BB39_3 Depth=1
	s_or_b32 exec_lo, exec_lo, s46
	s_wait_loadcnt_dscnt 0x0
	s_barrier_signal -1
	s_barrier_wait -1
	s_and_saveexec_b32 s46, s101
	s_cbranch_execz .LBB39_889
; %bb.888:                              ;   in Loop: Header=BB39_3 Depth=1
	ds_load_b64 v[46:47], v76 offset:3584
	ds_load_b64 v[48:49], v80
	s_wait_dscnt 0x0
	v_fma_f64 v[2:3], -v[46:47], v[48:49], v[2:3]
.LBB39_889:                             ;   in Loop: Header=BB39_3 Depth=1
	s_or_b32 exec_lo, exec_lo, s46
	s_barrier_signal -1
	s_barrier_wait -1
	s_and_saveexec_b32 s46, s102
; %bb.890:                              ;   in Loop: Header=BB39_3 Depth=1
	s_delay_alu instid0(VALU_DEP_1) | instskip(NEXT) | instid1(VALU_DEP_2)
	v_xor_b32_e32 v47, 0x80000000, v3
	v_mov_b32_e32 v46, v2
	ds_store_b64 v80, v[46:47]
; %bb.891:                              ;   in Loop: Header=BB39_3 Depth=1
	s_or_b32 exec_lo, exec_lo, s46
	s_wait_dscnt 0x0
	s_barrier_signal -1
	s_barrier_wait -1
	s_and_saveexec_b32 s46, s103
	s_cbranch_execz .LBB39_893
; %bb.892:                              ;   in Loop: Header=BB39_3 Depth=1
	ds_load_b64 v[46:47], v76 offset:3072
	ds_load_b64 v[48:49], v80
	s_wait_dscnt 0x0
	v_fma_f64 v[2:3], -v[46:47], v[48:49], v[2:3]
.LBB39_893:                             ;   in Loop: Header=BB39_3 Depth=1
	s_or_b32 exec_lo, exec_lo, s46
	s_barrier_signal -1
	s_barrier_wait -1
	s_and_saveexec_b32 s46, s104
; %bb.894:                              ;   in Loop: Header=BB39_3 Depth=1
	s_delay_alu instid0(VALU_DEP_1) | instskip(NEXT) | instid1(VALU_DEP_2)
	v_xor_b32_e32 v47, 0x80000000, v3
	v_mov_b32_e32 v46, v2
	ds_store_b64 v80, v[46:47]
; %bb.895:                              ;   in Loop: Header=BB39_3 Depth=1
	s_or_b32 exec_lo, exec_lo, s46
	s_wait_dscnt 0x0
	s_barrier_signal -1
	s_barrier_wait -1
	s_and_saveexec_b32 s46, vcc_hi
	s_cbranch_execz .LBB39_897
; %bb.896:                              ;   in Loop: Header=BB39_3 Depth=1
	ds_load_b64 v[46:47], v76 offset:2560
	ds_load_b64 v[48:49], v80
	s_wait_dscnt 0x0
	v_fma_f64 v[2:3], -v[46:47], v[48:49], v[2:3]
.LBB39_897:                             ;   in Loop: Header=BB39_3 Depth=1
	s_or_b32 exec_lo, exec_lo, s46
	s_barrier_signal -1
	s_barrier_wait -1
	s_and_saveexec_b32 s46, s31
; %bb.898:                              ;   in Loop: Header=BB39_3 Depth=1
	s_delay_alu instid0(VALU_DEP_1) | instskip(NEXT) | instid1(VALU_DEP_2)
	v_xor_b32_e32 v47, 0x80000000, v3
	v_mov_b32_e32 v46, v2
	ds_store_b64 v80, v[46:47]
; %bb.899:                              ;   in Loop: Header=BB39_3 Depth=1
	s_or_b32 exec_lo, exec_lo, s46
	s_wait_dscnt 0x0
	s_barrier_signal -1
	s_barrier_wait -1
	s_and_saveexec_b32 s46, s33
	s_cbranch_execz .LBB39_901
; %bb.900:                              ;   in Loop: Header=BB39_3 Depth=1
	ds_load_b64 v[46:47], v76 offset:2048
	ds_load_b64 v[48:49], v80
	s_wait_dscnt 0x0
	v_fma_f64 v[2:3], -v[46:47], v[48:49], v[2:3]
.LBB39_901:                             ;   in Loop: Header=BB39_3 Depth=1
	s_or_b32 exec_lo, exec_lo, s46
	s_barrier_signal -1
	s_barrier_wait -1
	s_and_saveexec_b32 s46, s34
; %bb.902:                              ;   in Loop: Header=BB39_3 Depth=1
	s_delay_alu instid0(VALU_DEP_1) | instskip(NEXT) | instid1(VALU_DEP_2)
	v_xor_b32_e32 v47, 0x80000000, v3
	v_mov_b32_e32 v46, v2
	ds_store_b64 v80, v[46:47]
; %bb.903:                              ;   in Loop: Header=BB39_3 Depth=1
	s_or_b32 exec_lo, exec_lo, s46
	s_wait_dscnt 0x0
	s_barrier_signal -1
	s_barrier_wait -1
	s_and_saveexec_b32 s46, s35
	;; [unrolled: 22-line block ×4, first 2 shown]
	s_cbranch_execz .LBB39_913
; %bb.912:                              ;   in Loop: Header=BB39_3 Depth=1
	ds_load_b64 v[46:47], v7 offset:512
	ds_load_b64 v[48:49], v80
	s_wait_dscnt 0x0
	v_fma_f64 v[2:3], -v[46:47], v[48:49], v[2:3]
.LBB39_913:                             ;   in Loop: Header=BB39_3 Depth=1
	s_or_b32 exec_lo, exec_lo, s46
	s_barrier_signal -1
	s_barrier_wait -1
	s_and_saveexec_b32 s46, s39
; %bb.914:                              ;   in Loop: Header=BB39_3 Depth=1
	s_delay_alu instid0(VALU_DEP_1) | instskip(NEXT) | instid1(VALU_DEP_2)
	v_xor_b32_e32 v47, 0x80000000, v3
	v_mov_b32_e32 v46, v2
	ds_store_b64 v80, v[46:47]
; %bb.915:                              ;   in Loop: Header=BB39_3 Depth=1
	s_or_b32 exec_lo, exec_lo, s46
	s_wait_dscnt 0x0
	s_barrier_signal -1
	s_barrier_wait -1
	s_barrier_signal -1
	s_barrier_wait -1
	s_and_saveexec_b32 s46, s3
; %bb.916:                              ;   in Loop: Header=BB39_3 Depth=1
	ds_store_b64 v81, v[2:3] offset:7680
; %bb.917:                              ;   in Loop: Header=BB39_3 Depth=1
	s_or_b32 exec_lo, exec_lo, s46
	s_wait_dscnt 0x0
	s_barrier_signal -1
	s_barrier_wait -1
	s_barrier_signal -1
	s_barrier_wait -1
	s_and_saveexec_b32 s46, s40
	s_cbranch_execz .LBB39_919
; %bb.918:                              ;   in Loop: Header=BB39_3 Depth=1
	ds_load_b64 v[2:3], v56 offset:4096
	s_wait_dscnt 0x0
	ds_store_b64 v58, v[2:3] offset:64
	ds_load_b64 v[2:3], v56 offset:4104
	s_wait_dscnt 0x0
	ds_store_b64 v58, v[2:3] offset:576
	;; [unrolled: 3-line block ×8, first 2 shown]
.LBB39_919:                             ;   in Loop: Header=BB39_3 Depth=1
	s_or_b32 exec_lo, exec_lo, s46
	s_wait_dscnt 0x0
	s_barrier_signal -1
	s_barrier_wait -1
	s_and_saveexec_b32 s46, s10
	s_cbranch_execz .LBB39_921
; %bb.920:                              ;   in Loop: Header=BB39_3 Depth=1
	ds_load_b64 v[2:3], v7 offset:3632
	v_mov_b32_e32 v0, v7
	ds_store_b64 v7, v[34:35] offset:3640
	s_wait_dscnt 0x1
	ds_store_b128 v7, v[0:3] offset:3120
.LBB39_921:                             ;   in Loop: Header=BB39_3 Depth=1
	s_or_b32 exec_lo, exec_lo, s46
	v_mov_b64_e32 v[2:3], 0
	s_wait_dscnt 0x0
	s_barrier_signal -1
	s_barrier_wait -1
	global_wb scope:SCOPE_DEV
	s_wait_storecnt 0x0
	global_inv scope:SCOPE_DEV
	s_and_saveexec_b32 s46, s0
	s_cbranch_execz .LBB39_925
; %bb.922:                              ;   in Loop: Header=BB39_3 Depth=1
	ds_load_b64 v[2:3], v72 offset:3104
	ds_load_b64 v[46:47], v57 offset:3632
	s_wait_dscnt 0x0
	v_fma_f64 v[2:3], v[2:3], v[46:47], 0
	s_and_saveexec_b32 s47, s11
	s_cbranch_execz .LBB39_924
; %bb.923:                              ;   in Loop: Header=BB39_3 Depth=1
	ds_load_b64 v[46:47], v58 offset:3616
	ds_load_b64 v[48:49], v7 offset:3640
	s_wait_dscnt 0x0
	v_fmac_f64_e32 v[2:3], v[46:47], v[48:49]
.LBB39_924:                             ;   in Loop: Header=BB39_3 Depth=1
	s_or_b32 exec_lo, exec_lo, s47
.LBB39_925:                             ;   in Loop: Header=BB39_3 Depth=1
	s_delay_alu instid0(SALU_CYCLE_1)
	s_or_b32 exec_lo, exec_lo, s46
	s_and_saveexec_b32 s46, s90
; %bb.926:                              ;   in Loop: Header=BB39_3 Depth=1
	s_delay_alu instid0(VALU_DEP_1) | instskip(NEXT) | instid1(VALU_DEP_2)
	v_xor_b32_e32 v47, 0x80000000, v3
	v_mov_b32_e32 v46, v2
	ds_store_b64 v73, v[46:47]
; %bb.927:                              ;   in Loop: Header=BB39_3 Depth=1
	s_or_b32 exec_lo, exec_lo, s46
	s_wait_loadcnt_dscnt 0x0
	s_barrier_signal -1
	s_barrier_wait -1
	s_and_saveexec_b32 s46, s91
	s_cbranch_execz .LBB39_929
; %bb.928:                              ;   in Loop: Header=BB39_3 Depth=1
	ds_load_b64 v[46:47], v7 offset:2592
	ds_load_b64 v[48:49], v73
	s_wait_dscnt 0x0
	v_fma_f64 v[2:3], -v[46:47], v[48:49], v[2:3]
.LBB39_929:                             ;   in Loop: Header=BB39_3 Depth=1
	s_or_b32 exec_lo, exec_lo, s46
	s_barrier_signal -1
	s_barrier_wait -1
	s_and_saveexec_b32 s46, s91
; %bb.930:                              ;   in Loop: Header=BB39_3 Depth=1
	s_delay_alu instid0(VALU_DEP_1) | instskip(NEXT) | instid1(VALU_DEP_2)
	v_xor_b32_e32 v47, 0x80000000, v3
	v_mov_b32_e32 v46, v2
	ds_store_b64 v73, v[46:47]
; %bb.931:                              ;   in Loop: Header=BB39_3 Depth=1
	s_or_b32 exec_lo, exec_lo, s46
	s_wait_dscnt 0x0
	s_barrier_signal -1
	s_barrier_wait -1
	s_barrier_signal -1
	s_barrier_wait -1
	s_and_saveexec_b32 s46, s0
; %bb.932:                              ;   in Loop: Header=BB39_3 Depth=1
	ds_store_b64 v75, v[2:3] offset:3616
; %bb.933:                              ;   in Loop: Header=BB39_3 Depth=1
	s_or_b32 exec_lo, exec_lo, s46
	s_wait_dscnt 0x0
	s_barrier_signal -1
	s_barrier_wait -1
	s_barrier_signal -1
	s_barrier_wait -1
	s_and_saveexec_b32 s46, s92
	s_cbranch_execz .LBB39_935
; %bb.934:                              ;   in Loop: Header=BB39_3 Depth=1
	ds_load_b64 v[2:3], v60 offset:3104
	s_wait_dscnt 0x0
	ds_store_b64 v58, v[2:3] offset:2096
	ds_load_b64 v[2:3], v60 offset:3112
	s_wait_dscnt 0x0
	ds_store_b64 v58, v[2:3] offset:2608
.LBB39_935:                             ;   in Loop: Header=BB39_3 Depth=1
	s_or_b32 exec_lo, exec_lo, s46
	s_wait_dscnt 0x0
	s_barrier_signal -1
	s_barrier_wait -1
	s_and_saveexec_b32 s46, s10
	s_cbranch_execz .LBB39_937
; %bb.936:                              ;   in Loop: Header=BB39_3 Depth=1
	ds_load_b64 v[2:3], v7 offset:2592
	v_mov_b32_e32 v0, v7
	ds_store_b64 v7, v[34:35] offset:2600
	s_wait_dscnt 0x1
	ds_store_b128 v7, v[0:3] offset:2080
.LBB39_937:                             ;   in Loop: Header=BB39_3 Depth=1
	s_or_b32 exec_lo, exec_lo, s46
	v_mov_b64_e32 v[2:3], 0
	s_wait_dscnt 0x0
	s_barrier_signal -1
	s_barrier_wait -1
	global_wb scope:SCOPE_DEV
	s_wait_storecnt 0x0
	global_inv scope:SCOPE_DEV
	s_and_saveexec_b32 s57, s2
	s_cbranch_execz .LBB39_943
; %bb.938:                              ;   in Loop: Header=BB39_3 Depth=1
	ds_load_b64 v[2:3], v74 offset:2048
	ds_load_b64 v[46:47], v59 offset:3616
	s_wait_dscnt 0x0
	v_fma_f64 v[2:3], v[2:3], v[46:47], 0
	s_and_saveexec_b32 s46, s12
	s_cbranch_execnz .LBB39_1115
; %bb.939:                              ;   in Loop: Header=BB39_3 Depth=1
	s_or_b32 exec_lo, exec_lo, s46
	s_and_saveexec_b32 s46, s13
	s_cbranch_execnz .LBB39_1116
.LBB39_940:                             ;   in Loop: Header=BB39_3 Depth=1
	s_or_b32 exec_lo, exec_lo, s46
	s_and_saveexec_b32 s46, s0
	s_cbranch_execz .LBB39_942
.LBB39_941:                             ;   in Loop: Header=BB39_3 Depth=1
	ds_load_b64 v[46:47], v62 offset:3584
	ds_load_b64 v[48:49], v7 offset:3640
	s_wait_dscnt 0x0
	v_fmac_f64_e32 v[2:3], v[46:47], v[48:49]
.LBB39_942:                             ;   in Loop: Header=BB39_3 Depth=1
	s_or_b32 exec_lo, exec_lo, s46
.LBB39_943:                             ;   in Loop: Header=BB39_3 Depth=1
	s_delay_alu instid0(SALU_CYCLE_1)
	s_or_b32 exec_lo, exec_lo, s57
	s_and_saveexec_b32 s46, s93
; %bb.944:                              ;   in Loop: Header=BB39_3 Depth=1
	s_delay_alu instid0(VALU_DEP_1) | instskip(NEXT) | instid1(VALU_DEP_2)
	v_xor_b32_e32 v47, 0x80000000, v3
	v_mov_b32_e32 v46, v2
	ds_store_b64 v77, v[46:47]
; %bb.945:                              ;   in Loop: Header=BB39_3 Depth=1
	s_or_b32 exec_lo, exec_lo, s46
	s_wait_loadcnt_dscnt 0x0
	s_barrier_signal -1
	s_barrier_wait -1
	s_and_saveexec_b32 s46, s94
	s_cbranch_execz .LBB39_947
; %bb.946:                              ;   in Loop: Header=BB39_3 Depth=1
	ds_load_b64 v[46:47], v74 offset:1536
	ds_load_b64 v[48:49], v77
	s_wait_dscnt 0x0
	v_fma_f64 v[2:3], -v[46:47], v[48:49], v[2:3]
.LBB39_947:                             ;   in Loop: Header=BB39_3 Depth=1
	s_or_b32 exec_lo, exec_lo, s46
	s_barrier_signal -1
	s_barrier_wait -1
	s_and_saveexec_b32 s46, s95
; %bb.948:                              ;   in Loop: Header=BB39_3 Depth=1
	s_delay_alu instid0(VALU_DEP_1) | instskip(NEXT) | instid1(VALU_DEP_2)
	v_xor_b32_e32 v47, 0x80000000, v3
	v_mov_b32_e32 v46, v2
	ds_store_b64 v77, v[46:47]
; %bb.949:                              ;   in Loop: Header=BB39_3 Depth=1
	s_or_b32 exec_lo, exec_lo, s46
	s_wait_dscnt 0x0
	s_barrier_signal -1
	s_barrier_wait -1
	s_and_saveexec_b32 s46, s96
	s_cbranch_execz .LBB39_951
; %bb.950:                              ;   in Loop: Header=BB39_3 Depth=1
	ds_load_b64 v[46:47], v74 offset:1024
	ds_load_b64 v[48:49], v77
	s_wait_dscnt 0x0
	v_fma_f64 v[2:3], -v[46:47], v[48:49], v[2:3]
.LBB39_951:                             ;   in Loop: Header=BB39_3 Depth=1
	s_or_b32 exec_lo, exec_lo, s46
	s_barrier_signal -1
	s_barrier_wait -1
	s_and_saveexec_b32 s46, s97
; %bb.952:                              ;   in Loop: Header=BB39_3 Depth=1
	s_delay_alu instid0(VALU_DEP_1) | instskip(NEXT) | instid1(VALU_DEP_2)
	v_xor_b32_e32 v47, 0x80000000, v3
	v_mov_b32_e32 v46, v2
	ds_store_b64 v77, v[46:47]
; %bb.953:                              ;   in Loop: Header=BB39_3 Depth=1
	s_or_b32 exec_lo, exec_lo, s46
	s_wait_dscnt 0x0
	s_barrier_signal -1
	s_barrier_wait -1
	s_and_saveexec_b32 s46, s98
	s_cbranch_execz .LBB39_955
; %bb.954:                              ;   in Loop: Header=BB39_3 Depth=1
	ds_load_b64 v[46:47], v7 offset:512
	ds_load_b64 v[48:49], v77
	s_wait_dscnt 0x0
	v_fma_f64 v[2:3], -v[46:47], v[48:49], v[2:3]
.LBB39_955:                             ;   in Loop: Header=BB39_3 Depth=1
	s_or_b32 exec_lo, exec_lo, s46
	s_barrier_signal -1
	s_barrier_wait -1
	s_and_saveexec_b32 s46, s98
; %bb.956:                              ;   in Loop: Header=BB39_3 Depth=1
	s_delay_alu instid0(VALU_DEP_1) | instskip(NEXT) | instid1(VALU_DEP_2)
	v_xor_b32_e32 v47, 0x80000000, v3
	v_mov_b32_e32 v46, v2
	ds_store_b64 v77, v[46:47]
; %bb.957:                              ;   in Loop: Header=BB39_3 Depth=1
	s_or_b32 exec_lo, exec_lo, s46
	s_wait_dscnt 0x0
	s_barrier_signal -1
	s_barrier_wait -1
	s_barrier_signal -1
	s_barrier_wait -1
	s_and_saveexec_b32 s46, s2
; %bb.958:                              ;   in Loop: Header=BB39_3 Depth=1
	ds_store_b64 v79, v[2:3] offset:3584
; %bb.959:                              ;   in Loop: Header=BB39_3 Depth=1
	s_or_b32 exec_lo, exec_lo, s46
	s_wait_dscnt 0x0
	s_barrier_signal -1
	s_barrier_wait -1
	s_barrier_signal -1
	s_barrier_wait -1
	s_and_saveexec_b32 s46, s99
	s_cbranch_execz .LBB39_961
; %bb.960:                              ;   in Loop: Header=BB39_3 Depth=1
	ds_load_b64 v[2:3], v67 offset:2048
	s_wait_dscnt 0x0
	ds_store_b64 v68, v[2:3] offset:32
	ds_load_b64 v[2:3], v67 offset:2056
	s_wait_dscnt 0x0
	ds_store_b64 v68, v[2:3] offset:544
	;; [unrolled: 3-line block ×4, first 2 shown]
.LBB39_961:                             ;   in Loop: Header=BB39_3 Depth=1
	s_or_b32 exec_lo, exec_lo, s46
	s_wait_dscnt 0x0
	s_barrier_signal -1
	s_barrier_wait -1
	s_and_saveexec_b32 s46, s10
	s_cbranch_execz .LBB39_963
; %bb.962:                              ;   in Loop: Header=BB39_3 Depth=1
	ds_load_b64 v[2:3], v7 offset:1552
	v_mov_b32_e32 v0, v7
	ds_store_b64 v7, v[34:35] offset:1560
	s_wait_dscnt 0x1
	ds_store_b128 v7, v[0:3] offset:1040
.LBB39_963:                             ;   in Loop: Header=BB39_3 Depth=1
	s_or_b32 exec_lo, exec_lo, s46
	v_mov_b64_e32 v[2:3], 0
	s_wait_dscnt 0x0
	s_barrier_signal -1
	s_barrier_wait -1
	global_wb scope:SCOPE_DEV
	s_wait_storecnt 0x0
	global_inv scope:SCOPE_DEV
	s_and_saveexec_b32 s46, s0
	s_cbranch_execz .LBB39_967
; %bb.964:                              ;   in Loop: Header=BB39_3 Depth=1
	ds_load_b64 v[2:3], v72 offset:1024
	ds_load_b64 v[46:47], v57 offset:1552
	s_wait_dscnt 0x0
	v_fma_f64 v[2:3], v[2:3], v[46:47], 0
	s_and_saveexec_b32 s47, s11
	s_cbranch_execz .LBB39_966
; %bb.965:                              ;   in Loop: Header=BB39_3 Depth=1
	ds_load_b64 v[46:47], v68 offset:1536
	ds_load_b64 v[48:49], v7 offset:1560
	s_wait_dscnt 0x0
	v_fmac_f64_e32 v[2:3], v[46:47], v[48:49]
.LBB39_966:                             ;   in Loop: Header=BB39_3 Depth=1
	s_or_b32 exec_lo, exec_lo, s47
.LBB39_967:                             ;   in Loop: Header=BB39_3 Depth=1
	s_delay_alu instid0(SALU_CYCLE_1)
	s_or_b32 exec_lo, exec_lo, s46
	s_and_saveexec_b32 s46, s90
; %bb.968:                              ;   in Loop: Header=BB39_3 Depth=1
	s_delay_alu instid0(VALU_DEP_1) | instskip(NEXT) | instid1(VALU_DEP_2)
	v_xor_b32_e32 v47, 0x80000000, v3
	v_mov_b32_e32 v46, v2
	ds_store_b64 v73, v[46:47]
; %bb.969:                              ;   in Loop: Header=BB39_3 Depth=1
	s_or_b32 exec_lo, exec_lo, s46
	s_wait_loadcnt_dscnt 0x0
	s_barrier_signal -1
	s_barrier_wait -1
	s_and_saveexec_b32 s46, s91
	s_cbranch_execz .LBB39_971
; %bb.970:                              ;   in Loop: Header=BB39_3 Depth=1
	ds_load_b64 v[46:47], v7 offset:512
	ds_load_b64 v[48:49], v73
	s_wait_dscnt 0x0
	v_fma_f64 v[2:3], -v[46:47], v[48:49], v[2:3]
.LBB39_971:                             ;   in Loop: Header=BB39_3 Depth=1
	s_or_b32 exec_lo, exec_lo, s46
	s_barrier_signal -1
	s_barrier_wait -1
	s_and_saveexec_b32 s46, s91
; %bb.972:                              ;   in Loop: Header=BB39_3 Depth=1
	s_delay_alu instid0(VALU_DEP_1) | instskip(NEXT) | instid1(VALU_DEP_2)
	v_xor_b32_e32 v47, 0x80000000, v3
	v_mov_b32_e32 v46, v2
	ds_store_b64 v73, v[46:47]
; %bb.973:                              ;   in Loop: Header=BB39_3 Depth=1
	s_or_b32 exec_lo, exec_lo, s46
	s_wait_dscnt 0x0
	s_barrier_signal -1
	s_barrier_wait -1
	s_barrier_signal -1
	s_barrier_wait -1
	s_and_saveexec_b32 s46, s0
; %bb.974:                              ;   in Loop: Header=BB39_3 Depth=1
	ds_store_b64 v75, v[2:3] offset:1536
; %bb.975:                              ;   in Loop: Header=BB39_3 Depth=1
	s_or_b32 exec_lo, exec_lo, s46
	s_wait_dscnt 0x0
	s_barrier_signal -1
	s_barrier_wait -1
	s_barrier_signal -1
	s_barrier_wait -1
	s_and_saveexec_b32 s46, s92
	s_cbranch_execz .LBB39_977
; %bb.976:                              ;   in Loop: Header=BB39_3 Depth=1
	ds_load_b64 v[2:3], v69 offset:1024
	s_wait_dscnt 0x0
	ds_store_b64 v68, v[2:3] offset:16
	ds_load_b64 v[2:3], v69 offset:1032
	s_wait_dscnt 0x0
	ds_store_b64 v68, v[2:3] offset:528
.LBB39_977:                             ;   in Loop: Header=BB39_3 Depth=1
	s_or_b32 exec_lo, exec_lo, s46
	s_wait_dscnt 0x0
	s_barrier_signal -1
	s_barrier_wait -1
	s_and_saveexec_b32 s46, s10
	s_cbranch_execz .LBB39_979
; %bb.978:                              ;   in Loop: Header=BB39_3 Depth=1
	ds_load_b64 v[2:3], v7 offset:512
	v_mov_b32_e32 v0, v7
	ds_store_b64 v7, v[34:35] offset:520
	s_wait_dscnt 0x1
	ds_store_b128 v7, v[0:3]
.LBB39_979:                             ;   in Loop: Header=BB39_3 Depth=1
	s_or_b32 exec_lo, exec_lo, s46
.LBB39_980:                             ;   in Loop: Header=BB39_3 Depth=1
	v_mov_b64_e32 v[2:3], 0
	s_mul_u64 s[46:47], s[72:73], s[76:77]
	s_wait_dscnt 0x0
	s_lshl_b64 s[46:47], s[46:47], 3
	s_barrier_signal -1
	s_add_nc_u64 s[80:81], s[66:67], s[46:47]
	s_barrier_wait -1
	s_and_saveexec_b32 s46, s44
	s_cbranch_execz .LBB39_982
; %bb.981:                              ;   in Loop: Header=BB39_3 Depth=1
	v_lshl_add_u64 v[2:3], v[16:17], 3, s[80:81]
	global_load_b64 v[2:3], v[2:3], off
	s_wait_loadcnt 0x0
	v_mul_f64_e64 v[2:3], v[2:3], -s[64:65]
.LBB39_982:                             ;   in Loop: Header=BB39_3 Depth=1
	s_or_b32 exec_lo, exec_lo, s46
	s_delay_alu instid0(SALU_CYCLE_1)
	s_and_not1_b32 vcc_lo, exec_lo, s45
	s_cbranch_vccnz .LBB39_1008
; %bb.983:                              ;   in Loop: Header=BB39_3 Depth=1
	v_mov_b32_e32 v0, -1
	s_lshl_b64 s[46:47], s[76:77], 2
	s_mov_b32 s57, 0
	s_add_nc_u64 s[82:83], s[74:75], s[46:47]
	s_branch .LBB39_986
.LBB39_984:                             ;   in Loop: Header=BB39_986 Depth=2
	s_wait_xcnt 0x0
	ds_load_b64 v[46:47], v70 offset:384
	s_wait_loadcnt_dscnt 0x0
	v_fmac_f64_e32 v[2:3], v[48:49], v[46:47]
.LBB39_985:                             ;   in Loop: Header=BB39_986 Depth=2
	s_or_b32 exec_lo, exec_lo, s46
	s_add_co_i32 s57, s57, 1
	s_delay_alu instid0(SALU_CYCLE_1)
	s_cmp_eq_u32 s57, s86
	s_cbranch_scc1 .LBB39_1008
.LBB39_986:                             ;   Parent Loop BB39_3 Depth=1
                                        ; =>  This Loop Header: Depth=2
                                        ;       Child Loop BB39_988 Depth 3
	v_cmp_gt_i32_e32 vcc_lo, s57, v0
	s_and_b32 s47, s55, vcc_lo
	s_delay_alu instid0(SALU_CYCLE_1)
	s_and_saveexec_b32 s46, s47
	s_cbranch_execz .LBB39_989
; %bb.987:                              ;   in Loop: Header=BB39_986 Depth=2
	global_load_b32 v0, v7, s[82:83]
	s_wait_loadcnt 0x0
	v_cmp_le_i32_e32 vcc_lo, s57, v0
	s_cbranch_vccnz .LBB39_989
.LBB39_988:                             ;   Parent Loop BB39_3 Depth=1
                                        ;     Parent Loop BB39_986 Depth=2
                                        ; =>    This Inner Loop Header: Depth=3
	global_wb scope:SCOPE_DEV
	s_wait_storecnt 0x0
	global_inv scope:SCOPE_DEV
	global_load_b32 v0, v7, s[82:83]
	s_wait_loadcnt 0x0
	v_cmp_gt_i32_e32 vcc_lo, s57, v0
	s_cbranch_vccnz .LBB39_988
.LBB39_989:                             ;   in Loop: Header=BB39_986 Depth=2
	s_or_b32 exec_lo, exec_lo, s46
	s_lshl_b32 s61, s57, 6
	global_wb scope:SCOPE_DEV
	s_wait_storecnt 0x0
	global_inv scope:SCOPE_DEV
	s_wait_loadcnt 0x0
	s_barrier_signal -1
	s_barrier_wait -1
	s_and_saveexec_b32 s46, s56
	s_cbranch_execz .LBB39_993
; %bb.990:                              ;   in Loop: Header=BB39_986 Depth=2
	v_mov_b64_e32 v[46:47], 0
	v_or_b32_e32 v6, s61, v10
	s_mov_b32 s47, exec_lo
	s_delay_alu instid0(VALU_DEP_1)
	v_cmpx_gt_i32_e64 s85, v6
	s_cbranch_execz .LBB39_992
; %bb.991:                              ;   in Loop: Header=BB39_986 Depth=2
	v_mul_u64_e32 v[46:47], s[70:71], v[6:7]
	s_delay_alu instid0(VALU_DEP_1)
	v_lshl_add_u64 v[46:47], v[46:47], 3, s[80:81]
	global_load_b64 v[46:47], v[46:47], off
.LBB39_992:                             ;   in Loop: Header=BB39_986 Depth=2
	s_wait_xcnt 0x0
	s_or_b32 exec_lo, exec_lo, s47
	s_wait_loadcnt 0x0
	ds_store_b64 v71, v[46:47]
.LBB39_993:                             ;   in Loop: Header=BB39_986 Depth=2
	s_or_b32 exec_lo, exec_lo, s46
	v_add_nc_u32_e32 v6, s61, v4
	v_cmp_ne_u32_e32 vcc_lo, s57, v9
	s_wait_dscnt 0x0
	s_barrier_signal -1
	s_barrier_wait -1
	v_cmp_gt_i32_e64 s61, s85, v6
	v_lshl_add_u64 v[46:47], v[6:7], 3, v[44:45]
	v_cndmask_b32_e64 v29, 0, 1, vcc_lo
	s_and_b32 s47, s61, s5
	s_delay_alu instid0(SALU_CYCLE_1)
	s_and_saveexec_b32 s46, s47
	s_cbranch_execz .LBB39_997
; %bb.994:                              ;   in Loop: Header=BB39_986 Depth=2
	v_mov_b64_e32 v[48:49], v[36:37]
	s_and_not1_b32 vcc_lo, exec_lo, vcc_lo
	s_cbranch_vccnz .LBB39_996
; %bb.995:                              ;   in Loop: Header=BB39_986 Depth=2
	global_load_b64 v[48:49], v[46:47], off
.LBB39_996:                             ;   in Loop: Header=BB39_986 Depth=2
	ds_load_b64 v[98:99], v70
	s_wait_loadcnt_dscnt 0x0
	v_fmac_f64_e32 v[2:3], v[48:49], v[98:99]
.LBB39_997:                             ;   in Loop: Header=BB39_986 Depth=2
	s_or_b32 exec_lo, exec_lo, s46
	v_add_nc_u32_e32 v48, 16, v6
	s_delay_alu instid0(VALU_DEP_1) | instskip(SKIP_1) | instid1(SALU_CYCLE_1)
	v_cmp_gt_i32_e32 vcc_lo, s85, v48
	s_and_b32 s47, vcc_lo, s5
	s_and_saveexec_b32 s46, s47
	s_cbranch_execz .LBB39_1001
; %bb.998:                              ;   in Loop: Header=BB39_986 Depth=2
	v_cmp_ne_u32_e32 vcc_lo, 1, v29
	v_mov_b64_e32 v[48:49], v[38:39]
	s_cbranch_vccnz .LBB39_1000
; %bb.999:                              ;   in Loop: Header=BB39_986 Depth=2
	global_load_b64 v[48:49], v[46:47], off offset:128
.LBB39_1000:                            ;   in Loop: Header=BB39_986 Depth=2
	ds_load_b64 v[98:99], v70 offset:128
	s_wait_loadcnt_dscnt 0x0
	v_fmac_f64_e32 v[2:3], v[48:49], v[98:99]
.LBB39_1001:                            ;   in Loop: Header=BB39_986 Depth=2
	s_or_b32 exec_lo, exec_lo, s46
	v_add_nc_u32_e32 v48, 32, v6
	s_delay_alu instid0(VALU_DEP_1) | instskip(SKIP_1) | instid1(SALU_CYCLE_1)
	v_cmp_gt_i32_e32 vcc_lo, s85, v48
	s_and_b32 s47, vcc_lo, s5
	s_and_saveexec_b32 s46, s47
	s_cbranch_execz .LBB39_1005
; %bb.1002:                             ;   in Loop: Header=BB39_986 Depth=2
	v_cmp_ne_u32_e32 vcc_lo, 1, v29
	v_mov_b64_e32 v[48:49], v[40:41]
	s_cbranch_vccnz .LBB39_1004
; %bb.1003:                             ;   in Loop: Header=BB39_986 Depth=2
	global_load_b64 v[48:49], v[46:47], off offset:256
.LBB39_1004:                            ;   in Loop: Header=BB39_986 Depth=2
	ds_load_b64 v[98:99], v70 offset:256
	s_wait_loadcnt_dscnt 0x0
	v_fmac_f64_e32 v[2:3], v[48:49], v[98:99]
.LBB39_1005:                            ;   in Loop: Header=BB39_986 Depth=2
	s_or_b32 exec_lo, exec_lo, s46
	v_add_nc_u32_e32 v6, 48, v6
	s_delay_alu instid0(VALU_DEP_1) | instskip(SKIP_1) | instid1(SALU_CYCLE_1)
	v_cmp_gt_i32_e32 vcc_lo, s85, v6
	s_and_b32 s47, vcc_lo, s5
	s_and_saveexec_b32 s46, s47
	s_cbranch_execz .LBB39_985
; %bb.1006:                             ;   in Loop: Header=BB39_986 Depth=2
	v_cmp_ne_u32_e32 vcc_lo, 1, v29
	v_mov_b64_e32 v[48:49], v[42:43]
	s_cbranch_vccnz .LBB39_984
; %bb.1007:                             ;   in Loop: Header=BB39_986 Depth=2
	global_load_b64 v[48:49], v[46:47], off offset:384
	s_branch .LBB39_984
.LBB39_1008:                            ;   in Loop: Header=BB39_3 Depth=1
	ds_store_b64 v5, v[2:3]
	s_wait_dscnt 0x0
	s_barrier_signal -1
	s_barrier_wait -1
	s_and_saveexec_b32 s57, s1
	s_cbranch_execz .LBB39_1010
; %bb.1009:                             ;   in Loop: Header=BB39_3 Depth=1
	ds_load_2addr_stride64_b64 v[44:47], v90 offset0:1 offset1:2
	ds_load_2addr_stride64_b64 v[98:101], v90 offset0:3 offset1:4
	s_wait_dscnt 0x1
	v_add_f64_e32 v[2:3], v[2:3], v[44:45]
	s_delay_alu instid0(VALU_DEP_1) | instskip(SKIP_1) | instid1(VALU_DEP_1)
	v_add_f64_e32 v[2:3], v[2:3], v[46:47]
	s_wait_dscnt 0x0
	v_add_f64_e32 v[2:3], v[2:3], v[98:99]
	s_delay_alu instid0(VALU_DEP_1) | instskip(SKIP_4) | instid1(VALU_DEP_1)
	v_add_f64_e32 v[2:3], v[2:3], v[100:101]
	ds_load_2addr_stride64_b64 v[44:47], v90 offset0:5 offset1:6
	ds_load_2addr_stride64_b64 v[98:101], v90 offset0:7 offset1:8
	s_wait_dscnt 0x1
	v_add_f64_e32 v[2:3], v[2:3], v[44:45]
	v_add_f64_e32 v[2:3], v[2:3], v[46:47]
	s_wait_dscnt 0x0
	s_delay_alu instid0(VALU_DEP_1) | instskip(NEXT) | instid1(VALU_DEP_1)
	v_add_f64_e32 v[2:3], v[2:3], v[98:99]
	v_add_f64_e32 v[2:3], v[2:3], v[100:101]
	ds_load_2addr_stride64_b64 v[44:47], v90 offset0:9 offset1:10
	ds_load_2addr_stride64_b64 v[98:101], v90 offset0:11 offset1:12
	s_wait_dscnt 0x1
	v_add_f64_e32 v[2:3], v[2:3], v[44:45]
	s_delay_alu instid0(VALU_DEP_1) | instskip(SKIP_4) | instid1(VALU_DEP_1)
	v_add_f64_e32 v[2:3], v[2:3], v[46:47]
	ds_load_2addr_stride64_b64 v[44:47], v90 offset0:13 offset1:14
	ds_load_b64 v[48:49], v90 offset:7680
	s_wait_dscnt 0x2
	v_add_f64_e32 v[2:3], v[2:3], v[98:99]
	v_add_f64_e32 v[2:3], v[2:3], v[100:101]
	s_wait_dscnt 0x1
	s_delay_alu instid0(VALU_DEP_1) | instskip(NEXT) | instid1(VALU_DEP_1)
	v_add_f64_e32 v[2:3], v[2:3], v[44:45]
	v_add_f64_e32 v[2:3], v[2:3], v[46:47]
	s_wait_dscnt 0x0
	s_delay_alu instid0(VALU_DEP_1) | instskip(NEXT) | instid1(VALU_DEP_1)
	v_add_f64_e32 v[2:3], v[2:3], v[48:49]
	v_xor_b32_e32 v0, 0x80000000, v3
	s_delay_alu instid0(VALU_DEP_2) | instskip(NEXT) | instid1(VALU_DEP_2)
	v_cndmask_b32_e64 v2, v2, 0, s42
	v_cndmask_b32_e64 v3, v0, 0, s42
.LBB39_1010:                            ;   in Loop: Header=BB39_3 Depth=1
	s_or_b32 exec_lo, exec_lo, s57
	s_delay_alu instid0(SALU_CYCLE_1)
	s_and_not1_b32 vcc_lo, exec_lo, s89
	s_cbranch_vccnz .LBB39_1020
; %bb.1011:                             ;   in Loop: Header=BB39_3 Depth=1
	s_and_saveexec_b32 s46, s1
; %bb.1012:                             ;   in Loop: Header=BB39_3 Depth=1
	ds_store_b64 v93, v[2:3]
; %bb.1013:                             ;   in Loop: Header=BB39_3 Depth=1
	s_or_b32 exec_lo, exec_lo, s46
	v_mov_b64_e32 v[44:45], 0
	s_wait_dscnt 0x0
	s_barrier_signal -1
	s_barrier_wait -1
	s_and_saveexec_b32 s46, s6
	s_cbranch_execnz .LBB39_1059
; %bb.1014:                             ;   in Loop: Header=BB39_3 Depth=1
	s_or_b32 exec_lo, exec_lo, s46
	s_and_saveexec_b32 s46, s7
	s_cbranch_execnz .LBB39_1060
.LBB39_1015:                            ;   in Loop: Header=BB39_3 Depth=1
	s_or_b32 exec_lo, exec_lo, s46
	s_and_saveexec_b32 s46, s8
	s_cbranch_execnz .LBB39_1061
.LBB39_1016:                            ;   in Loop: Header=BB39_3 Depth=1
	s_or_b32 exec_lo, exec_lo, s46
	s_and_saveexec_b32 s46, s9
	s_cbranch_execz .LBB39_1018
.LBB39_1017:                            ;   in Loop: Header=BB39_3 Depth=1
	ds_load_b64 v[46:47], v92 offset:24576
	ds_load_b64 v[48:49], v70 offset:384
	s_wait_dscnt 0x0
	v_fmac_f64_e32 v[44:45], v[46:47], v[48:49]
.LBB39_1018:                            ;   in Loop: Header=BB39_3 Depth=1
	s_or_b32 exec_lo, exec_lo, s46
	s_mov_b32 s57, 0
	s_mov_b32 s61, 0
	ds_store_b64 v5, v[44:45]
	s_wait_dscnt 0x0
	s_barrier_signal -1
	s_barrier_wait -1
                                        ; implicit-def: $vgpr46_vgpr47
	s_and_saveexec_b32 s82, s1
	s_cbranch_execz .LBB39_1062
; %bb.1019:                             ;   in Loop: Header=BB39_3 Depth=1
	ds_load_2addr_stride64_b64 v[46:49], v90 offset0:1 offset1:2
	ds_load_2addr_stride64_b64 v[98:101], v90 offset0:3 offset1:4
	s_mov_b32 s61, exec_lo
	s_wait_dscnt 0x1
	v_add_f64_e32 v[44:45], v[44:45], v[46:47]
	s_delay_alu instid0(VALU_DEP_1) | instskip(SKIP_1) | instid1(VALU_DEP_1)
	v_add_f64_e32 v[44:45], v[48:49], v[44:45]
	s_wait_dscnt 0x0
	v_add_f64_e32 v[44:45], v[98:99], v[44:45]
	s_delay_alu instid0(VALU_DEP_1) | instskip(SKIP_4) | instid1(VALU_DEP_1)
	v_add_f64_e32 v[48:49], v[100:101], v[44:45]
	ds_load_2addr_stride64_b64 v[44:47], v90 offset0:5 offset1:6
	ds_load_2addr_stride64_b64 v[98:101], v90 offset0:7 offset1:8
	s_wait_dscnt 0x1
	v_add_f64_e32 v[44:45], v[44:45], v[48:49]
	v_add_f64_e32 v[44:45], v[46:47], v[44:45]
	s_wait_dscnt 0x0
	s_delay_alu instid0(VALU_DEP_1) | instskip(NEXT) | instid1(VALU_DEP_1)
	v_add_f64_e32 v[44:45], v[98:99], v[44:45]
	v_add_f64_e32 v[48:49], v[100:101], v[44:45]
	ds_load_2addr_stride64_b64 v[44:47], v90 offset0:9 offset1:10
	ds_load_2addr_stride64_b64 v[98:101], v90 offset0:11 offset1:12
	s_wait_dscnt 0x1
	v_add_f64_e32 v[44:45], v[44:45], v[48:49]
	s_delay_alu instid0(VALU_DEP_1) | instskip(SKIP_1) | instid1(VALU_DEP_1)
	v_add_f64_e32 v[44:45], v[46:47], v[44:45]
	s_wait_dscnt 0x0
	v_add_f64_e32 v[44:45], v[98:99], v[44:45]
	s_delay_alu instid0(VALU_DEP_1) | instskip(SKIP_4) | instid1(VALU_DEP_1)
	v_add_f64_e32 v[48:49], v[100:101], v[44:45]
	ds_load_2addr_stride64_b64 v[44:47], v90 offset0:13 offset1:14
	ds_load_b64 v[98:99], v90 offset:7680
	s_wait_dscnt 0x1
	v_add_f64_e32 v[44:45], v[44:45], v[48:49]
	v_add_f64_e32 v[44:45], v[46:47], v[44:45]
	s_wait_dscnt 0x0
	s_delay_alu instid0(VALU_DEP_1) | instskip(SKIP_1) | instid1(SALU_CYCLE_1)
	v_add_f64_e32 v[46:47], v[98:99], v[44:45]
	s_or_b32 exec_lo, exec_lo, s82
	s_and_b32 vcc_lo, exec_lo, s57
	s_cbranch_vccnz .LBB39_1021
	s_branch .LBB39_1063
.LBB39_1020:                            ;   in Loop: Header=BB39_3 Depth=1
	s_mov_b32 s61, 0
                                        ; implicit-def: $vgpr46_vgpr47
	s_cbranch_execz .LBB39_1063
.LBB39_1021:                            ;   in Loop: Header=BB39_3 Depth=1
	v_dual_mov_b32 v0, v8 :: v_dual_mov_b32 v6, v95
	s_mov_b32 s57, 0
	s_branch .LBB39_1023
.LBB39_1022:                            ;   in Loop: Header=BB39_1023 Depth=2
	s_or_b32 exec_lo, exec_lo, s46
	v_add_nc_u32_e32 v6, 0x800, v6
	v_add_nc_u32_e32 v0, -4, v0
	s_add_co_i32 s57, s57, 4
	s_delay_alu instid0(SALU_CYCLE_1)
	s_cmp_lg_u32 s57, 64
	s_barrier_signal -1
	s_barrier_wait -1
	s_cbranch_scc0 .LBB39_1039
.LBB39_1023:                            ;   Parent Loop BB39_3 Depth=1
                                        ; =>  This Inner Loop Header: Depth=2
	s_delay_alu instid0(VALU_DEP_1) | instskip(SKIP_1) | instid1(SALU_CYCLE_1)
	v_cmp_eq_u32_e32 vcc_lo, 0, v0
	s_and_b32 s47, s1, vcc_lo
	s_and_saveexec_b32 s46, s47
; %bb.1024:                             ;   in Loop: Header=BB39_1023 Depth=2
	ds_store_b64 v7, v[2:3] offset:41472
; %bb.1025:                             ;   in Loop: Header=BB39_1023 Depth=2
	s_or_b32 exec_lo, exec_lo, s46
	v_cmp_lt_u32_e32 vcc_lo, s57, v8
	s_wait_dscnt 0x0
	s_barrier_signal -1
	s_barrier_wait -1
	s_and_b32 s47, s1, vcc_lo
	s_delay_alu instid0(SALU_CYCLE_1)
	s_and_saveexec_b32 s46, s47
	s_cbranch_execz .LBB39_1027
; %bb.1026:                             ;   in Loop: Header=BB39_1023 Depth=2
	ds_load_b64 v[44:45], v6
	ds_load_b64 v[46:47], v7 offset:41472
	s_wait_dscnt 0x0
	v_fmac_f64_e32 v[2:3], v[44:45], v[46:47]
.LBB39_1027:                            ;   in Loop: Header=BB39_1023 Depth=2
	s_or_b32 exec_lo, exec_lo, s46
	s_or_b32 s46, s57, 1
	s_delay_alu instid0(SALU_CYCLE_1) | instskip(SKIP_3) | instid1(SALU_CYCLE_1)
	v_cmp_eq_u32_e32 vcc_lo, s46, v8
	s_barrier_signal -1
	s_barrier_wait -1
	s_and_b32 s82, s1, vcc_lo
	s_and_saveexec_b32 s47, s82
; %bb.1028:                             ;   in Loop: Header=BB39_1023 Depth=2
	ds_store_b64 v7, v[2:3] offset:41472
; %bb.1029:                             ;   in Loop: Header=BB39_1023 Depth=2
	s_or_b32 exec_lo, exec_lo, s47
	v_cmp_lt_u32_e32 vcc_lo, s46, v8
	s_wait_dscnt 0x0
	s_barrier_signal -1
	s_barrier_wait -1
	s_and_b32 s47, s1, vcc_lo
	s_delay_alu instid0(SALU_CYCLE_1)
	s_and_saveexec_b32 s46, s47
	s_cbranch_execz .LBB39_1031
; %bb.1030:                             ;   in Loop: Header=BB39_1023 Depth=2
	ds_load_b64 v[44:45], v6 offset:512
	ds_load_b64 v[46:47], v7 offset:41472
	s_wait_dscnt 0x0
	v_fmac_f64_e32 v[2:3], v[44:45], v[46:47]
.LBB39_1031:                            ;   in Loop: Header=BB39_1023 Depth=2
	s_or_b32 exec_lo, exec_lo, s46
	s_or_b32 s46, s57, 2
	s_delay_alu instid0(SALU_CYCLE_1) | instskip(SKIP_3) | instid1(SALU_CYCLE_1)
	v_cmp_eq_u32_e32 vcc_lo, s46, v8
	s_barrier_signal -1
	s_barrier_wait -1
	s_and_b32 s82, s1, vcc_lo
	s_and_saveexec_b32 s47, s82
; %bb.1032:                             ;   in Loop: Header=BB39_1023 Depth=2
	ds_store_b64 v7, v[2:3] offset:41472
; %bb.1033:                             ;   in Loop: Header=BB39_1023 Depth=2
	s_or_b32 exec_lo, exec_lo, s47
	v_cmp_lt_u32_e32 vcc_lo, s46, v8
	s_wait_dscnt 0x0
	s_barrier_signal -1
	s_barrier_wait -1
	s_and_b32 s47, s1, vcc_lo
	s_delay_alu instid0(SALU_CYCLE_1)
	s_and_saveexec_b32 s46, s47
	s_cbranch_execz .LBB39_1035
; %bb.1034:                             ;   in Loop: Header=BB39_1023 Depth=2
	ds_load_b64 v[44:45], v6 offset:1024
	ds_load_b64 v[46:47], v7 offset:41472
	s_wait_dscnt 0x0
	v_fmac_f64_e32 v[2:3], v[44:45], v[46:47]
.LBB39_1035:                            ;   in Loop: Header=BB39_1023 Depth=2
	s_or_b32 exec_lo, exec_lo, s46
	s_or_b32 s46, s57, 3
	s_delay_alu instid0(SALU_CYCLE_1) | instskip(SKIP_3) | instid1(SALU_CYCLE_1)
	v_cmp_eq_u32_e32 vcc_lo, s46, v8
	s_barrier_signal -1
	s_barrier_wait -1
	s_and_b32 s82, s1, vcc_lo
	s_and_saveexec_b32 s47, s82
; %bb.1036:                             ;   in Loop: Header=BB39_1023 Depth=2
	ds_store_b64 v7, v[2:3] offset:41472
; %bb.1037:                             ;   in Loop: Header=BB39_1023 Depth=2
	s_or_b32 exec_lo, exec_lo, s47
	v_cmp_lt_u32_e32 vcc_lo, s46, v8
	s_wait_dscnt 0x0
	s_barrier_signal -1
	s_barrier_wait -1
	s_and_b32 s47, s1, vcc_lo
	s_delay_alu instid0(SALU_CYCLE_1)
	s_and_saveexec_b32 s46, s47
	s_cbranch_execz .LBB39_1022
; %bb.1038:                             ;   in Loop: Header=BB39_1023 Depth=2
	ds_load_b64 v[44:45], v6 offset:1536
	ds_load_b64 v[46:47], v7 offset:41472
	s_wait_dscnt 0x0
	v_fmac_f64_e32 v[2:3], v[44:45], v[46:47]
	s_branch .LBB39_1022
.LBB39_1039:                            ;   in Loop: Header=BB39_3 Depth=1
	s_and_b32 vcc_lo, exec_lo, s88
	s_mov_b32 s46, -1
	s_cbranch_vccz .LBB39_1041
; %bb.1040:                             ;   in Loop: Header=BB39_3 Depth=1
	s_and_not1_b32 s47, s61, exec_lo
	s_and_b32 s57, s1, exec_lo
	s_mov_b32 s46, 0
	s_or_b32 s61, s47, s57
.LBB39_1041:                            ;   in Loop: Header=BB39_3 Depth=1
	s_and_not1_b32 vcc_lo, exec_lo, s46
	s_cbranch_vccnz .LBB39_1043
; %bb.1042:                             ;   in Loop: Header=BB39_3 Depth=1
	v_readlane_b32 s47, v103, 10
	s_and_not1_b32 s46, s61, exec_lo
	s_and_b32 s47, s47, exec_lo
	s_delay_alu instid0(SALU_CYCLE_1)
	s_or_b32 s61, s46, s47
.LBB39_1043:                            ;   in Loop: Header=BB39_3 Depth=1
	v_mov_b64_e32 v[44:45], v[30:31]
	s_and_saveexec_b32 s46, s61
	s_cbranch_execnz .LBB39_1064
	s_branch .LBB39_1065
.LBB39_1044:                            ;   in Loop: Header=BB39_3 Depth=1
	s_mov_b32 s47, exec_lo
	v_readlane_b32 s57, v102, 21
	s_and_b32 s57, s47, s57
	s_delay_alu instid0(SALU_CYCLE_1)
	s_mov_b32 exec_lo, s57
; %bb.1045:                             ;   in Loop: Header=BB39_3 Depth=1
	ds_store_b64 v86, v[32:33]
; %bb.1046:                             ;   in Loop: Header=BB39_3 Depth=1
	s_or_b32 exec_lo, exec_lo, s47
	s_and_not1_saveexec_b32 s46, s46
	s_cbranch_execz .LBB39_16
.LBB39_1047:                            ;   in Loop: Header=BB39_3 Depth=1
	v_lshl_add_u64 v[46:47], v[26:27], 3, v[2:3]
	global_load_b64 v[46:47], v[46:47], off
	s_wait_loadcnt 0x0
	v_xor_b32_e32 v47, 0x80000000, v47
	ds_store_b64 v86, v[46:47]
	s_or_b32 exec_lo, exec_lo, s46
	s_and_saveexec_b32 s46, s7
	s_delay_alu instid0(SALU_CYCLE_1)
	s_xor_b32 s46, exec_lo, s46
	s_cbranch_execz .LBB39_17
.LBB39_1048:                            ;   in Loop: Header=BB39_3 Depth=1
	s_mov_b32 s47, exec_lo
	v_readlane_b32 s57, v102, 22
	s_and_b32 s57, s47, s57
	s_delay_alu instid0(SALU_CYCLE_1)
	s_mov_b32 exec_lo, s57
; %bb.1049:                             ;   in Loop: Header=BB39_3 Depth=1
	ds_store_b64 v87, v[32:33]
; %bb.1050:                             ;   in Loop: Header=BB39_3 Depth=1
	s_or_b32 exec_lo, exec_lo, s47
	s_and_not1_saveexec_b32 s46, s46
	s_cbranch_execz .LBB39_18
.LBB39_1051:                            ;   in Loop: Header=BB39_3 Depth=1
	v_lshl_add_u64 v[46:47], v[18:19], 3, v[2:3]
	global_load_b64 v[46:47], v[46:47], off
	s_wait_loadcnt 0x0
	v_xor_b32_e32 v47, 0x80000000, v47
	ds_store_b64 v87, v[46:47]
	s_or_b32 exec_lo, exec_lo, s46
	s_and_saveexec_b32 s46, s8
	s_delay_alu instid0(SALU_CYCLE_1)
	s_xor_b32 s46, exec_lo, s46
	s_cbranch_execz .LBB39_19
.LBB39_1052:                            ;   in Loop: Header=BB39_3 Depth=1
	s_mov_b32 s47, exec_lo
	v_readlane_b32 s57, v102, 23
	s_and_b32 s57, s47, s57
	s_delay_alu instid0(SALU_CYCLE_1)
	s_mov_b32 exec_lo, s57
; %bb.1053:                             ;   in Loop: Header=BB39_3 Depth=1
	ds_store_b64 v88, v[32:33]
; %bb.1054:                             ;   in Loop: Header=BB39_3 Depth=1
	s_or_b32 exec_lo, exec_lo, s47
	s_and_not1_saveexec_b32 s46, s46
	s_cbranch_execz .LBB39_20
.LBB39_1055:                            ;   in Loop: Header=BB39_3 Depth=1
	v_lshl_add_u64 v[46:47], v[20:21], 3, v[2:3]
	global_load_b64 v[46:47], v[46:47], off
	s_wait_loadcnt 0x0
	v_xor_b32_e32 v47, 0x80000000, v47
	ds_store_b64 v88, v[46:47]
	s_or_b32 exec_lo, exec_lo, s46
	s_and_saveexec_b32 s46, s9
	s_delay_alu instid0(SALU_CYCLE_1)
	s_xor_b32 s46, exec_lo, s46
	s_cbranch_execz .LBB39_21
.LBB39_1056:                            ;   in Loop: Header=BB39_3 Depth=1
	s_mov_b32 s47, exec_lo
	v_readlane_b32 s57, v102, 24
	s_and_b32 s57, s47, s57
	s_delay_alu instid0(SALU_CYCLE_1)
	s_mov_b32 exec_lo, s57
; %bb.1057:                             ;   in Loop: Header=BB39_3 Depth=1
	ds_store_b64 v89, v[32:33]
; %bb.1058:                             ;   in Loop: Header=BB39_3 Depth=1
	s_or_b32 exec_lo, exec_lo, s47
	s_and_not1_saveexec_b32 s46, s46
	s_cbranch_execnz .LBB39_22
	s_branch .LBB39_23
.LBB39_1059:                            ;   in Loop: Header=BB39_3 Depth=1
	ds_load_b64 v[44:45], v92
	ds_load_b64 v[46:47], v70
	s_wait_dscnt 0x0
	v_fma_f64 v[44:45], v[44:45], v[46:47], 0
	s_or_b32 exec_lo, exec_lo, s46
	s_and_saveexec_b32 s46, s7
	s_cbranch_execz .LBB39_1015
.LBB39_1060:                            ;   in Loop: Header=BB39_3 Depth=1
	ds_load_b64 v[46:47], v92 offset:8192
	ds_load_b64 v[48:49], v70 offset:128
	s_wait_dscnt 0x0
	v_fmac_f64_e32 v[44:45], v[46:47], v[48:49]
	s_or_b32 exec_lo, exec_lo, s46
	s_and_saveexec_b32 s46, s8
	s_cbranch_execz .LBB39_1016
.LBB39_1061:                            ;   in Loop: Header=BB39_3 Depth=1
	ds_load_b64 v[46:47], v92 offset:16384
	ds_load_b64 v[48:49], v70 offset:256
	s_wait_dscnt 0x0
	v_fmac_f64_e32 v[44:45], v[46:47], v[48:49]
	s_or_b32 exec_lo, exec_lo, s46
	s_and_saveexec_b32 s46, s9
	s_cbranch_execnz .LBB39_1017
	s_branch .LBB39_1018
.LBB39_1062:                            ;   in Loop: Header=BB39_3 Depth=1
	s_or_b32 exec_lo, exec_lo, s82
	s_delay_alu instid0(SALU_CYCLE_1)
	s_and_b32 vcc_lo, exec_lo, s57
	s_cbranch_vccnz .LBB39_1021
.LBB39_1063:                            ;   in Loop: Header=BB39_3 Depth=1
	s_delay_alu instid0(VALU_DEP_1)
	v_mov_b64_e32 v[2:3], v[46:47]
	v_mov_b64_e32 v[44:45], v[24:25]
	s_and_saveexec_b32 s46, s61
	s_cbranch_execz .LBB39_1065
.LBB39_1064:                            ;   in Loop: Header=BB39_3 Depth=1
	s_delay_alu instid0(VALU_DEP_1)
	v_lshl_add_u64 v[44:45], v[44:45], 3, s[80:81]
	global_store_b64 v[44:45], v[2:3], off
.LBB39_1065:                            ;   in Loop: Header=BB39_3 Depth=1
	s_wait_xcnt 0x0
	s_or_b32 exec_lo, exec_lo, s46
	global_wb scope:SCOPE_DEV
	s_wait_storecnt 0x0
	global_inv scope:SCOPE_DEV
	s_wait_loadcnt 0x0
	s_barrier_signal -1
	s_barrier_wait -1
	s_and_saveexec_b32 s46, s55
	s_cbranch_execz .LBB39_2
; %bb.1066:                             ;   in Loop: Header=BB39_3 Depth=1
	s_lshl_b64 s[80:81], s[76:77], 2
	s_delay_alu instid0(SALU_CYCLE_1)
	s_add_nc_u64 s[80:81], s[74:75], s[80:81]
	global_load_b32 v0, v7, s[80:81]
	s_wait_loadcnt 0x0
	v_add_nc_u32_e32 v0, 1, v0
	global_store_b32 v7, v0, s[80:81]
	s_branch .LBB39_2
.LBB39_1067:                            ;   in Loop: Header=BB39_3 Depth=1
	ds_load_b64 v[46:47], v74 offset:31680
	ds_load_b64 v[48:49], v59 offset:32744
	s_wait_dscnt 0x0
	v_fmac_f64_e32 v[2:3], v[46:47], v[48:49]
	s_or_b32 exec_lo, exec_lo, s46
	s_and_saveexec_b32 s46, s13
	s_cbranch_execz .LBB39_72
.LBB39_1068:                            ;   in Loop: Header=BB39_3 Depth=1
	ds_load_b64 v[46:47], v74 offset:32192
	ds_load_b64 v[48:49], v59 offset:32752
	s_wait_dscnt 0x0
	v_fmac_f64_e32 v[2:3], v[46:47], v[48:49]
	s_or_b32 exec_lo, exec_lo, s46
	s_and_saveexec_b32 s46, s0
	s_cbranch_execnz .LBB39_73
	s_branch .LBB39_74
.LBB39_1069:                            ;   in Loop: Header=BB39_3 Depth=1
	ds_load_b64 v[46:47], v76 offset:29568
	ds_load_b64 v[48:49], v63 offset:32712
	s_wait_dscnt 0x0
	v_fmac_f64_e32 v[2:3], v[46:47], v[48:49]
	s_or_b32 exec_lo, exec_lo, s46
	s_and_saveexec_b32 s46, s15
	s_cbranch_execz .LBB39_114
.LBB39_1070:                            ;   in Loop: Header=BB39_3 Depth=1
	ds_load_b64 v[46:47], v76 offset:30080
	ds_load_b64 v[48:49], v63 offset:32720
	s_wait_dscnt 0x0
	v_fmac_f64_e32 v[2:3], v[46:47], v[48:49]
	s_or_b32 exec_lo, exec_lo, s46
	s_and_saveexec_b32 s46, s16
	s_cbranch_execz .LBB39_115
.LBB39_1071:                            ;   in Loop: Header=BB39_3 Depth=1
	ds_load_b64 v[46:47], v76 offset:30592
	ds_load_b64 v[48:49], v63 offset:32728
	s_wait_dscnt 0x0
	v_fmac_f64_e32 v[2:3], v[46:47], v[48:49]
	s_or_b32 exec_lo, exec_lo, s46
	s_and_saveexec_b32 s46, s17
	s_cbranch_execz .LBB39_116
.LBB39_1072:                            ;   in Loop: Header=BB39_3 Depth=1
	ds_load_b64 v[46:47], v76 offset:31104
	ds_load_b64 v[48:49], v63 offset:32736
	s_wait_dscnt 0x0
	v_fmac_f64_e32 v[2:3], v[46:47], v[48:49]
	s_or_b32 exec_lo, exec_lo, s46
	s_and_saveexec_b32 s46, s18
	s_cbranch_execz .LBB39_117
.LBB39_1073:                            ;   in Loop: Header=BB39_3 Depth=1
	ds_load_b64 v[46:47], v76 offset:31616
	ds_load_b64 v[48:49], v63 offset:32744
	s_wait_dscnt 0x0
	v_fmac_f64_e32 v[2:3], v[46:47], v[48:49]
	s_or_b32 exec_lo, exec_lo, s46
	s_and_saveexec_b32 s46, s2
	s_cbranch_execz .LBB39_118
.LBB39_1074:                            ;   in Loop: Header=BB39_3 Depth=1
	ds_load_b64 v[46:47], v76 offset:32128
	ds_load_b64 v[48:49], v63 offset:32752
	s_wait_dscnt 0x0
	v_fmac_f64_e32 v[2:3], v[46:47], v[48:49]
	s_or_b32 exec_lo, exec_lo, s46
	s_and_saveexec_b32 s46, s13
	s_cbranch_execnz .LBB39_119
	s_branch .LBB39_120
.LBB39_1075:                            ;   in Loop: Header=BB39_3 Depth=1
	ds_load_b64 v[46:47], v74 offset:27520
	ds_load_b64 v[48:49], v59 offset:28584
	s_wait_dscnt 0x0
	v_fmac_f64_e32 v[2:3], v[46:47], v[48:49]
	s_or_b32 exec_lo, exec_lo, s46
	s_and_saveexec_b32 s46, s13
	s_cbranch_execz .LBB39_176
.LBB39_1076:                            ;   in Loop: Header=BB39_3 Depth=1
	ds_load_b64 v[46:47], v74 offset:28032
	ds_load_b64 v[48:49], v59 offset:28592
	s_wait_dscnt 0x0
	v_fmac_f64_e32 v[2:3], v[46:47], v[48:49]
	s_or_b32 exec_lo, exec_lo, s46
	s_and_saveexec_b32 s46, s0
	s_cbranch_execnz .LBB39_177
	s_branch .LBB39_178
.LBB39_1077:                            ;   in Loop: Header=BB39_3 Depth=1
	ds_load_b64 v[46:47], v78 offset:30464
	ds_load_b64 v[48:49], v65 offset:32728
	s_wait_dscnt 0x0
	v_fmac_f64_e32 v[2:3], v[46:47], v[48:49]
	s_or_b32 exec_lo, exec_lo, s46
	s_and_saveexec_b32 s46, s3
	s_cbranch_execz .LBB39_238
.LBB39_1078:                            ;   in Loop: Header=BB39_3 Depth=1
	ds_load_b64 v[46:47], v78 offset:30976
	ds_load_b64 v[48:49], v65 offset:32736
	s_wait_dscnt 0x0
	v_fmac_f64_e32 v[2:3], v[46:47], v[48:49]
	s_or_b32 exec_lo, exec_lo, s46
	s_and_saveexec_b32 s46, s15
	s_cbranch_execz .LBB39_239
.LBB39_1079:                            ;   in Loop: Header=BB39_3 Depth=1
	ds_load_b64 v[46:47], v78 offset:31488
	ds_load_b64 v[48:49], v65 offset:32744
	s_wait_dscnt 0x0
	v_fmac_f64_e32 v[2:3], v[46:47], v[48:49]
	s_or_b32 exec_lo, exec_lo, s46
	s_and_saveexec_b32 s46, s17
	s_cbranch_execz .LBB39_240
.LBB39_1080:                            ;   in Loop: Header=BB39_3 Depth=1
	ds_load_b64 v[46:47], v78 offset:32000
	ds_load_b64 v[48:49], v65 offset:32752
	s_wait_dscnt 0x0
	v_fmac_f64_e32 v[2:3], v[46:47], v[48:49]
	s_or_b32 exec_lo, exec_lo, s46
	s_and_saveexec_b32 s46, s2
	s_cbranch_execnz .LBB39_241
	s_branch .LBB39_242
.LBB39_1081:                            ;   in Loop: Header=BB39_3 Depth=1
	ds_load_b64 v[46:47], v74 offset:23360
	ds_load_b64 v[48:49], v59 offset:24424
	s_wait_dscnt 0x0
	v_fmac_f64_e32 v[2:3], v[46:47], v[48:49]
	s_or_b32 exec_lo, exec_lo, s46
	s_and_saveexec_b32 s46, s13
	s_cbranch_execz .LBB39_330
.LBB39_1082:                            ;   in Loop: Header=BB39_3 Depth=1
	ds_load_b64 v[46:47], v74 offset:23872
	ds_load_b64 v[48:49], v59 offset:24432
	s_wait_dscnt 0x0
	v_fmac_f64_e32 v[2:3], v[46:47], v[48:49]
	s_or_b32 exec_lo, exec_lo, s46
	s_and_saveexec_b32 s46, s0
	s_cbranch_execnz .LBB39_331
	s_branch .LBB39_332
.LBB39_1083:                            ;   in Loop: Header=BB39_3 Depth=1
	ds_load_b64 v[46:47], v76 offset:21248
	ds_load_b64 v[48:49], v63 offset:24392
	s_wait_dscnt 0x0
	v_fmac_f64_e32 v[2:3], v[46:47], v[48:49]
	s_or_b32 exec_lo, exec_lo, s46
	s_and_saveexec_b32 s46, s15
	s_cbranch_execz .LBB39_372
.LBB39_1084:                            ;   in Loop: Header=BB39_3 Depth=1
	ds_load_b64 v[46:47], v76 offset:21760
	ds_load_b64 v[48:49], v63 offset:24400
	s_wait_dscnt 0x0
	v_fmac_f64_e32 v[2:3], v[46:47], v[48:49]
	s_or_b32 exec_lo, exec_lo, s46
	s_and_saveexec_b32 s46, s16
	s_cbranch_execz .LBB39_373
.LBB39_1085:                            ;   in Loop: Header=BB39_3 Depth=1
	ds_load_b64 v[46:47], v76 offset:22272
	ds_load_b64 v[48:49], v63 offset:24408
	s_wait_dscnt 0x0
	v_fmac_f64_e32 v[2:3], v[46:47], v[48:49]
	s_or_b32 exec_lo, exec_lo, s46
	s_and_saveexec_b32 s46, s17
	s_cbranch_execz .LBB39_374
.LBB39_1086:                            ;   in Loop: Header=BB39_3 Depth=1
	ds_load_b64 v[46:47], v76 offset:22784
	ds_load_b64 v[48:49], v63 offset:24416
	s_wait_dscnt 0x0
	v_fmac_f64_e32 v[2:3], v[46:47], v[48:49]
	s_or_b32 exec_lo, exec_lo, s46
	s_and_saveexec_b32 s46, s18
	s_cbranch_execz .LBB39_375
.LBB39_1087:                            ;   in Loop: Header=BB39_3 Depth=1
	ds_load_b64 v[46:47], v76 offset:23296
	ds_load_b64 v[48:49], v63 offset:24424
	s_wait_dscnt 0x0
	v_fmac_f64_e32 v[2:3], v[46:47], v[48:49]
	s_or_b32 exec_lo, exec_lo, s46
	s_and_saveexec_b32 s46, s2
	s_cbranch_execz .LBB39_376
.LBB39_1088:                            ;   in Loop: Header=BB39_3 Depth=1
	ds_load_b64 v[46:47], v76 offset:23808
	ds_load_b64 v[48:49], v63 offset:24432
	s_wait_dscnt 0x0
	v_fmac_f64_e32 v[2:3], v[46:47], v[48:49]
	s_or_b32 exec_lo, exec_lo, s46
	s_and_saveexec_b32 s46, s13
	s_cbranch_execnz .LBB39_377
	s_branch .LBB39_378
.LBB39_1089:                            ;   in Loop: Header=BB39_3 Depth=1
	ds_load_b64 v[46:47], v74 offset:19200
	ds_load_b64 v[48:49], v59 offset:20264
	s_wait_dscnt 0x0
	v_fmac_f64_e32 v[2:3], v[46:47], v[48:49]
	s_or_b32 exec_lo, exec_lo, s46
	s_and_saveexec_b32 s46, s13
	s_cbranch_execz .LBB39_434
.LBB39_1090:                            ;   in Loop: Header=BB39_3 Depth=1
	ds_load_b64 v[46:47], v74 offset:19712
	ds_load_b64 v[48:49], v59 offset:20272
	s_wait_dscnt 0x0
	v_fmac_f64_e32 v[2:3], v[46:47], v[48:49]
	s_or_b32 exec_lo, exec_lo, s46
	s_and_saveexec_b32 s46, s0
	s_cbranch_execnz .LBB39_435
	s_branch .LBB39_436
.LBB39_1091:                            ;   in Loop: Header=BB39_3 Depth=1
	ds_load_b64 v[46:47], v64 offset:31232
	ds_load_b64 v[48:49], v66 offset:32744
	s_wait_dscnt 0x0
	v_fmac_f64_e32 v[2:3], v[46:47], v[48:49]
	s_or_b32 exec_lo, exec_lo, s46
	s_and_saveexec_b32 s46, s3
	s_cbranch_execz .LBB39_532
.LBB39_1092:                            ;   in Loop: Header=BB39_3 Depth=1
	ds_load_b64 v[46:47], v64 offset:31744
	ds_load_b64 v[48:49], v66 offset:32752
	s_wait_dscnt 0x0
	v_fmac_f64_e32 v[2:3], v[46:47], v[48:49]
	s_or_b32 exec_lo, exec_lo, s46
	s_and_saveexec_b32 s46, s17
	s_delay_alu instid0(SALU_CYCLE_1)
	s_xor_b32 s46, exec_lo, s46
	s_cbranch_execnz .LBB39_533
	s_branch .LBB39_534
.LBB39_1093:                            ;   in Loop: Header=BB39_3 Depth=1
	ds_load_b64 v[46:47], v74 offset:15040
	ds_load_b64 v[48:49], v59 offset:16104
	s_wait_dscnt 0x0
	v_fmac_f64_e32 v[2:3], v[46:47], v[48:49]
	s_or_b32 exec_lo, exec_lo, s46
	s_and_saveexec_b32 s46, s13
	s_cbranch_execz .LBB39_578
.LBB39_1094:                            ;   in Loop: Header=BB39_3 Depth=1
	ds_load_b64 v[46:47], v74 offset:15552
	ds_load_b64 v[48:49], v59 offset:16112
	s_wait_dscnt 0x0
	v_fmac_f64_e32 v[2:3], v[46:47], v[48:49]
	s_or_b32 exec_lo, exec_lo, s46
	s_and_saveexec_b32 s46, s0
	s_cbranch_execnz .LBB39_579
	s_branch .LBB39_580
.LBB39_1095:                            ;   in Loop: Header=BB39_3 Depth=1
	ds_load_b64 v[46:47], v76 offset:12928
	ds_load_b64 v[48:49], v63 offset:16072
	s_wait_dscnt 0x0
	v_fmac_f64_e32 v[2:3], v[46:47], v[48:49]
	s_or_b32 exec_lo, exec_lo, s46
	s_and_saveexec_b32 s46, s15
	s_cbranch_execz .LBB39_620
.LBB39_1096:                            ;   in Loop: Header=BB39_3 Depth=1
	ds_load_b64 v[46:47], v76 offset:13440
	ds_load_b64 v[48:49], v63 offset:16080
	s_wait_dscnt 0x0
	v_fmac_f64_e32 v[2:3], v[46:47], v[48:49]
	s_or_b32 exec_lo, exec_lo, s46
	s_and_saveexec_b32 s46, s16
	s_cbranch_execz .LBB39_621
.LBB39_1097:                            ;   in Loop: Header=BB39_3 Depth=1
	ds_load_b64 v[46:47], v76 offset:13952
	ds_load_b64 v[48:49], v63 offset:16088
	s_wait_dscnt 0x0
	v_fmac_f64_e32 v[2:3], v[46:47], v[48:49]
	s_or_b32 exec_lo, exec_lo, s46
	s_and_saveexec_b32 s46, s17
	s_cbranch_execz .LBB39_622
.LBB39_1098:                            ;   in Loop: Header=BB39_3 Depth=1
	ds_load_b64 v[46:47], v76 offset:14464
	ds_load_b64 v[48:49], v63 offset:16096
	s_wait_dscnt 0x0
	v_fmac_f64_e32 v[2:3], v[46:47], v[48:49]
	s_or_b32 exec_lo, exec_lo, s46
	s_and_saveexec_b32 s46, s18
	s_cbranch_execz .LBB39_623
.LBB39_1099:                            ;   in Loop: Header=BB39_3 Depth=1
	ds_load_b64 v[46:47], v76 offset:14976
	ds_load_b64 v[48:49], v63 offset:16104
	s_wait_dscnt 0x0
	v_fmac_f64_e32 v[2:3], v[46:47], v[48:49]
	s_or_b32 exec_lo, exec_lo, s46
	s_and_saveexec_b32 s46, s2
	s_cbranch_execz .LBB39_624
.LBB39_1100:                            ;   in Loop: Header=BB39_3 Depth=1
	ds_load_b64 v[46:47], v76 offset:15488
	ds_load_b64 v[48:49], v63 offset:16112
	s_wait_dscnt 0x0
	v_fmac_f64_e32 v[2:3], v[46:47], v[48:49]
	s_or_b32 exec_lo, exec_lo, s46
	s_and_saveexec_b32 s46, s13
	s_cbranch_execnz .LBB39_625
	s_branch .LBB39_626
.LBB39_1101:                            ;   in Loop: Header=BB39_3 Depth=1
	ds_load_b64 v[46:47], v74 offset:10880
	ds_load_b64 v[48:49], v59 offset:11944
	s_wait_dscnt 0x0
	v_fmac_f64_e32 v[2:3], v[46:47], v[48:49]
	s_or_b32 exec_lo, exec_lo, s46
	s_and_saveexec_b32 s46, s13
	s_cbranch_execz .LBB39_682
.LBB39_1102:                            ;   in Loop: Header=BB39_3 Depth=1
	ds_load_b64 v[46:47], v74 offset:11392
	ds_load_b64 v[48:49], v59 offset:11952
	s_wait_dscnt 0x0
	v_fmac_f64_e32 v[2:3], v[46:47], v[48:49]
	s_or_b32 exec_lo, exec_lo, s46
	s_and_saveexec_b32 s46, s0
	s_cbranch_execnz .LBB39_683
	s_branch .LBB39_684
.LBB39_1103:                            ;   in Loop: Header=BB39_3 Depth=1
	ds_load_b64 v[46:47], v78 offset:13824
	ds_load_b64 v[48:49], v65 offset:16088
	s_wait_dscnt 0x0
	v_fmac_f64_e32 v[2:3], v[46:47], v[48:49]
	s_or_b32 exec_lo, exec_lo, s46
	s_and_saveexec_b32 s46, s3
	s_cbranch_execz .LBB39_744
.LBB39_1104:                            ;   in Loop: Header=BB39_3 Depth=1
	ds_load_b64 v[46:47], v78 offset:14336
	ds_load_b64 v[48:49], v65 offset:16096
	s_wait_dscnt 0x0
	v_fmac_f64_e32 v[2:3], v[46:47], v[48:49]
	s_or_b32 exec_lo, exec_lo, s46
	s_and_saveexec_b32 s46, s15
	s_cbranch_execz .LBB39_745
.LBB39_1105:                            ;   in Loop: Header=BB39_3 Depth=1
	ds_load_b64 v[46:47], v78 offset:14848
	ds_load_b64 v[48:49], v65 offset:16104
	s_wait_dscnt 0x0
	v_fmac_f64_e32 v[2:3], v[46:47], v[48:49]
	s_or_b32 exec_lo, exec_lo, s46
	s_and_saveexec_b32 s46, s17
	s_cbranch_execz .LBB39_746
.LBB39_1106:                            ;   in Loop: Header=BB39_3 Depth=1
	ds_load_b64 v[46:47], v78 offset:15360
	ds_load_b64 v[48:49], v65 offset:16112
	s_wait_dscnt 0x0
	v_fmac_f64_e32 v[2:3], v[46:47], v[48:49]
	s_or_b32 exec_lo, exec_lo, s46
	s_and_saveexec_b32 s46, s2
	s_cbranch_execnz .LBB39_747
	s_branch .LBB39_748
.LBB39_1107:                            ;   in Loop: Header=BB39_3 Depth=1
	ds_load_b64 v[46:47], v74 offset:6720
	ds_load_b64 v[48:49], v59 offset:7784
	s_wait_dscnt 0x0
	v_fmac_f64_e32 v[2:3], v[46:47], v[48:49]
	s_or_b32 exec_lo, exec_lo, s46
	s_and_saveexec_b32 s46, s13
	s_cbranch_execz .LBB39_836
.LBB39_1108:                            ;   in Loop: Header=BB39_3 Depth=1
	ds_load_b64 v[46:47], v74 offset:7232
	ds_load_b64 v[48:49], v59 offset:7792
	s_wait_dscnt 0x0
	v_fmac_f64_e32 v[2:3], v[46:47], v[48:49]
	s_or_b32 exec_lo, exec_lo, s46
	s_and_saveexec_b32 s46, s0
	s_cbranch_execnz .LBB39_837
	s_branch .LBB39_838
.LBB39_1109:                            ;   in Loop: Header=BB39_3 Depth=1
	ds_load_b64 v[46:47], v76 offset:4608
	ds_load_b64 v[48:49], v63 offset:7752
	s_wait_dscnt 0x0
	v_fmac_f64_e32 v[2:3], v[46:47], v[48:49]
	s_or_b32 exec_lo, exec_lo, s46
	s_and_saveexec_b32 s46, s15
	s_cbranch_execz .LBB39_878
.LBB39_1110:                            ;   in Loop: Header=BB39_3 Depth=1
	ds_load_b64 v[46:47], v76 offset:5120
	ds_load_b64 v[48:49], v63 offset:7760
	s_wait_dscnt 0x0
	v_fmac_f64_e32 v[2:3], v[46:47], v[48:49]
	s_or_b32 exec_lo, exec_lo, s46
	s_and_saveexec_b32 s46, s16
	s_cbranch_execz .LBB39_879
.LBB39_1111:                            ;   in Loop: Header=BB39_3 Depth=1
	ds_load_b64 v[46:47], v76 offset:5632
	ds_load_b64 v[48:49], v63 offset:7768
	s_wait_dscnt 0x0
	v_fmac_f64_e32 v[2:3], v[46:47], v[48:49]
	s_or_b32 exec_lo, exec_lo, s46
	s_and_saveexec_b32 s46, s17
	s_cbranch_execz .LBB39_880
.LBB39_1112:                            ;   in Loop: Header=BB39_3 Depth=1
	ds_load_b64 v[46:47], v76 offset:6144
	ds_load_b64 v[48:49], v63 offset:7776
	s_wait_dscnt 0x0
	v_fmac_f64_e32 v[2:3], v[46:47], v[48:49]
	s_or_b32 exec_lo, exec_lo, s46
	s_and_saveexec_b32 s46, s18
	s_cbranch_execz .LBB39_881
.LBB39_1113:                            ;   in Loop: Header=BB39_3 Depth=1
	ds_load_b64 v[46:47], v76 offset:6656
	ds_load_b64 v[48:49], v63 offset:7784
	s_wait_dscnt 0x0
	v_fmac_f64_e32 v[2:3], v[46:47], v[48:49]
	s_or_b32 exec_lo, exec_lo, s46
	s_and_saveexec_b32 s46, s2
	s_cbranch_execz .LBB39_882
.LBB39_1114:                            ;   in Loop: Header=BB39_3 Depth=1
	ds_load_b64 v[46:47], v76 offset:7168
	ds_load_b64 v[48:49], v63 offset:7792
	s_wait_dscnt 0x0
	v_fmac_f64_e32 v[2:3], v[46:47], v[48:49]
	s_or_b32 exec_lo, exec_lo, s46
	s_and_saveexec_b32 s46, s13
	s_cbranch_execnz .LBB39_883
	s_branch .LBB39_884
.LBB39_1115:                            ;   in Loop: Header=BB39_3 Depth=1
	ds_load_b64 v[46:47], v74 offset:2560
	ds_load_b64 v[48:49], v59 offset:3624
	s_wait_dscnt 0x0
	v_fmac_f64_e32 v[2:3], v[46:47], v[48:49]
	s_or_b32 exec_lo, exec_lo, s46
	s_and_saveexec_b32 s46, s13
	s_cbranch_execz .LBB39_940
.LBB39_1116:                            ;   in Loop: Header=BB39_3 Depth=1
	ds_load_b64 v[46:47], v74 offset:3072
	ds_load_b64 v[48:49], v59 offset:3632
	s_wait_dscnt 0x0
	v_fmac_f64_e32 v[2:3], v[46:47], v[48:49]
	s_or_b32 exec_lo, exec_lo, s46
	s_and_saveexec_b32 s46, s0
	s_cbranch_execnz .LBB39_941
	s_branch .LBB39_942
.LBB39_1117:
	s_endpgm
	.section	.rodata,"a",@progbits
	.p2align	6, 0x0
	.amdhsa_kernel _ZL19rocblas_trsv_deviceILi64ELi16ELb0ELb1ELb1ELb1EddPKdPdEviT7_lllT6_T8_lllPii
		.amdhsa_group_segment_fixed_size 41480
		.amdhsa_private_segment_fixed_size 0
		.amdhsa_kernarg_size 352
		.amdhsa_user_sgpr_count 2
		.amdhsa_user_sgpr_dispatch_ptr 0
		.amdhsa_user_sgpr_queue_ptr 0
		.amdhsa_user_sgpr_kernarg_segment_ptr 1
		.amdhsa_user_sgpr_dispatch_id 0
		.amdhsa_user_sgpr_kernarg_preload_length 0
		.amdhsa_user_sgpr_kernarg_preload_offset 0
		.amdhsa_user_sgpr_private_segment_size 0
		.amdhsa_wavefront_size32 1
		.amdhsa_uses_dynamic_stack 0
		.amdhsa_enable_private_segment 0
		.amdhsa_system_sgpr_workgroup_id_x 1
		.amdhsa_system_sgpr_workgroup_id_y 0
		.amdhsa_system_sgpr_workgroup_id_z 1
		.amdhsa_system_sgpr_workgroup_info 0
		.amdhsa_system_vgpr_workitem_id 1
		.amdhsa_next_free_vgpr 104
		.amdhsa_next_free_sgpr 105
		.amdhsa_named_barrier_count 0
		.amdhsa_reserve_vcc 1
		.amdhsa_float_round_mode_32 0
		.amdhsa_float_round_mode_16_64 0
		.amdhsa_float_denorm_mode_32 3
		.amdhsa_float_denorm_mode_16_64 3
		.amdhsa_fp16_overflow 0
		.amdhsa_memory_ordered 1
		.amdhsa_forward_progress 1
		.amdhsa_inst_pref_size 255
		.amdhsa_round_robin_scheduling 0
		.amdhsa_exception_fp_ieee_invalid_op 0
		.amdhsa_exception_fp_denorm_src 0
		.amdhsa_exception_fp_ieee_div_zero 0
		.amdhsa_exception_fp_ieee_overflow 0
		.amdhsa_exception_fp_ieee_underflow 0
		.amdhsa_exception_fp_ieee_inexact 0
		.amdhsa_exception_int_div_zero 0
	.end_amdhsa_kernel
	.section	.text._ZL19rocblas_trsv_deviceILi64ELi16ELb0ELb1ELb1ELb1EddPKdPdEviT7_lllT6_T8_lllPii,"axG",@progbits,_ZL19rocblas_trsv_deviceILi64ELi16ELb0ELb1ELb1ELb1EddPKdPdEviT7_lllT6_T8_lllPii,comdat
.Lfunc_end39:
	.size	_ZL19rocblas_trsv_deviceILi64ELi16ELb0ELb1ELb1ELb1EddPKdPdEviT7_lllT6_T8_lllPii, .Lfunc_end39-_ZL19rocblas_trsv_deviceILi64ELi16ELb0ELb1ELb1ELb1EddPKdPdEviT7_lllT6_T8_lllPii
                                        ; -- End function
	.set _ZL19rocblas_trsv_deviceILi64ELi16ELb0ELb1ELb1ELb1EddPKdPdEviT7_lllT6_T8_lllPii.num_vgpr, 104
	.set _ZL19rocblas_trsv_deviceILi64ELi16ELb0ELb1ELb1ELb1EddPKdPdEviT7_lllT6_T8_lllPii.num_agpr, 0
	.set _ZL19rocblas_trsv_deviceILi64ELi16ELb0ELb1ELb1ELb1EddPKdPdEviT7_lllT6_T8_lllPii.numbered_sgpr, 105
	.set _ZL19rocblas_trsv_deviceILi64ELi16ELb0ELb1ELb1ELb1EddPKdPdEviT7_lllT6_T8_lllPii.num_named_barrier, 0
	.set _ZL19rocblas_trsv_deviceILi64ELi16ELb0ELb1ELb1ELb1EddPKdPdEviT7_lllT6_T8_lllPii.private_seg_size, 0
	.set _ZL19rocblas_trsv_deviceILi64ELi16ELb0ELb1ELb1ELb1EddPKdPdEviT7_lllT6_T8_lllPii.uses_vcc, 1
	.set _ZL19rocblas_trsv_deviceILi64ELi16ELb0ELb1ELb1ELb1EddPKdPdEviT7_lllT6_T8_lllPii.uses_flat_scratch, 0
	.set _ZL19rocblas_trsv_deviceILi64ELi16ELb0ELb1ELb1ELb1EddPKdPdEviT7_lllT6_T8_lllPii.has_dyn_sized_stack, 0
	.set _ZL19rocblas_trsv_deviceILi64ELi16ELb0ELb1ELb1ELb1EddPKdPdEviT7_lllT6_T8_lllPii.has_recursion, 0
	.set _ZL19rocblas_trsv_deviceILi64ELi16ELb0ELb1ELb1ELb1EddPKdPdEviT7_lllT6_T8_lllPii.has_indirect_call, 0
	.section	.AMDGPU.csdata,"",@progbits
; Kernel info:
; codeLenInByte = 33440
; TotalNumSgprs: 107
; NumVgprs: 104
; ScratchSize: 0
; MemoryBound: 0
; FloatMode: 240
; IeeeMode: 1
; LDSByteSize: 41480 bytes/workgroup (compile time only)
; SGPRBlocks: 0
; VGPRBlocks: 6
; NumSGPRsForWavesPerEU: 107
; NumVGPRsForWavesPerEU: 104
; NamedBarCnt: 0
; Occupancy: 9
; WaveLimiterHint : 0
; COMPUTE_PGM_RSRC2:SCRATCH_EN: 0
; COMPUTE_PGM_RSRC2:USER_SGPR: 2
; COMPUTE_PGM_RSRC2:TRAP_HANDLER: 0
; COMPUTE_PGM_RSRC2:TGID_X_EN: 1
; COMPUTE_PGM_RSRC2:TGID_Y_EN: 0
; COMPUTE_PGM_RSRC2:TGID_Z_EN: 1
; COMPUTE_PGM_RSRC2:TIDIG_COMP_CNT: 1
	.section	.text._ZL19rocblas_trsv_deviceILi64ELi16ELb0ELb0ELb0ELb0EddPKdPdEviT7_lllT6_T8_lllPii,"axG",@progbits,_ZL19rocblas_trsv_deviceILi64ELi16ELb0ELb0ELb0ELb0EddPKdPdEviT7_lllT6_T8_lllPii,comdat
	.globl	_ZL19rocblas_trsv_deviceILi64ELi16ELb0ELb0ELb0ELb0EddPKdPdEviT7_lllT6_T8_lllPii ; -- Begin function _ZL19rocblas_trsv_deviceILi64ELi16ELb0ELb0ELb0ELb0EddPKdPdEviT7_lllT6_T8_lllPii
	.p2align	8
	.type	_ZL19rocblas_trsv_deviceILi64ELi16ELb0ELb0ELb0ELb0EddPKdPdEviT7_lllT6_T8_lllPii,@function
_ZL19rocblas_trsv_deviceILi64ELi16ELb0ELb0ELb0ELb0EddPKdPdEviT7_lllT6_T8_lllPii: ; @_ZL19rocblas_trsv_deviceILi64ELi16ELb0ELb0ELb0ELb0EddPKdPdEviT7_lllT6_T8_lllPii
; %bb.0:
	s_load_b32 s100, s[0:1], 0x58
	s_bfe_u32 s2, ttmp6, 0x40014
	s_lshr_b32 s3, ttmp7, 16
	s_add_co_i32 s2, s2, 1
	s_bfe_u32 s5, ttmp6, 0x40008
	s_mul_i32 s4, s3, s2
	s_getreg_b32 s2, hwreg(HW_REG_IB_STS2, 6, 4)
	s_add_co_i32 s5, s5, s4
	s_cmp_eq_u32 s2, 0
	s_mov_b32 s89, 0
	s_cselect_b32 s88, s3, s5
	s_wait_kmcnt 0x0
	s_cmp_ge_u32 s88, s100
	s_cbranch_scc1 .LBB40_1087
; %bb.1:
	s_clause 0x3
	s_load_b512 s[68:83], s[0:1], 0x8
	s_load_b32 s3, s[0:1], 0x6c
	s_load_b32 s102, s[0:1], 0x60
	;; [unrolled: 1-line block ×3, first 2 shown]
	s_bfe_u32 s5, ttmp6, 0x4000c
	s_and_b32 s4, ttmp6, 15
	s_add_co_i32 s5, s5, 1
	s_load_b128 s[84:87], s[0:1], 0x48
	s_mul_i32 s5, ttmp9, s5
                                        ; implicit-def: $vgpr84 : SGPR spill to VGPR lane
	v_bfe_u32 v40, v0, 10, 10
	s_add_co_i32 s6, s4, s5
	v_and_b32_e32 v2, 0x3ff, v0
	v_dual_mov_b32 v5, 0 :: v_dual_lshrrev_b32 v1, 10, v0
	s_delay_alu instid0(VALU_DEP_3) | instskip(SKIP_1) | instid1(VALU_DEP_4)
	v_lshl_add_u32 v66, v40, 3, 0xa000
	v_dual_add_nc_u32 v33, 32, v40 :: v_dual_add_nc_u32 v34, 48, v40
	v_lshl_add_u32 v30, v40, 6, v2
	s_delay_alu instid0(VALU_DEP_4)
	v_dual_mov_b32 v3, v5 :: v_dual_lshlrev_b32 v43, 3, v2
	s_wait_kmcnt 0x0
	s_lshl_b64 s[0:1], s[70:71], 3
	s_lshl_b64 s[4:5], s[80:81], 3
	s_cmp_eq_u32 s2, 0
	s_add_nc_u64 s[0:1], s[68:69], s[0:1]
	s_cselect_b32 s101, ttmp9, s6
	s_add_co_i32 s2, s90, -1
	s_ashr_i32 s91, s90, 31
	s_and_b32 s6, s3, 0xffff
	s_ashr_i32 s3, s2, 31
	s_lshr_b32 s7, s91, 26
	s_lshr_b32 s3, s3, 26
	s_add_co_i32 s7, s90, s7
	s_add_co_i32 s102, s102, -1
	s_add_co_i32 s2, s2, s3
	v_writelane_b32 v84, s0, 0
	s_and_not1_b32 s7, s7, 63
	s_sub_co_i32 s65, s102, s101
	s_ashr_i32 s2, s2, 6
	s_sub_co_i32 s15, s90, s7
	s_cmp_eq_u32 s2, s65
	v_writelane_b32 v84, s1, 1
	s_cselect_b32 s7, -1, 0
	s_cmp_lg_u32 s15, 0
	s_add_nc_u64 s[0:1], s[78:79], s[4:5]
	s_cselect_b32 s8, -1, 0
	v_writelane_b32 v84, s0, 2
	s_and_b32 s16, s8, s7
	s_add_nc_u64 s[2:3], s[72:73], 1
	s_xor_b32 s69, s16, -1
	s_cmp_lg_u32 s101, 0
	v_writelane_b32 v84, s1, 3
	s_cselect_b32 s0, -1, 0
	s_lshl_b32 s10, s65, 6
	s_delay_alu instid0(SALU_CYCLE_1) | instskip(SKIP_3) | instid1(VALU_DEP_3)
	v_dual_lshrrev_b32 v10, 1, v30 :: v_dual_add_nc_u32 v12, s10, v40
	v_add_nc_u32_e32 v6, s10, v2
	v_mad_nc_u64_u32 v[18:19], s2, s10, v[2:3]
	s_ashr_i32 s11, s10, 31
	v_dual_lshlrev_b32 v11, 9, v10 :: v_dual_add_nc_u32 v16, 64, v12
	s_delay_alu instid0(VALU_DEP_3) | instskip(SKIP_2) | instid1(VALU_DEP_2)
	v_dual_ashrrev_i32 v7, 31, v6 :: v_dual_bitop2_b32 v13, 1, v0 bitop3:0x40
	s_cmp_gt_i32 s101, 4
	s_mul_i32 s1, s3, s10
	v_ashrrev_i32_e32 v17, 31, v16
	s_mul_i32 s2, s2, s11
	s_cselect_b32 s3, -1, 0
	s_delay_alu instid0(VALU_DEP_4)
	v_add3_u32 v19, s2, s1, v19
	s_and_b32 s104, s3, s69
	v_lshl_add_u32 v3, v10, 3, 0x8000
	v_cmp_gt_u32_e64 s1, 4, v30
	v_sub_nc_u32_e32 v41, 0, v11
	v_cmp_eq_u32_e64 s2, 1, v13
	v_cmp_eq_u32_e64 s3, 0, v13
	v_and_b32_e32 v10, 3, v0
	v_bitop3_b32 v31, v0, v1, 0x3ff bitop3:0xa8
	v_dual_lshlrev_b32 v42, 3, v13 :: v_dual_lshrrev_b32 v1, 2, v30
	s_and_b32 vcc_hi, s2, s1
	s_and_b32 s36, s3, s1
	v_cmp_gt_u32_e64 s2, 16, v30
	v_cmp_eq_u32_e64 s3, 3, v10
	v_cmp_ne_u32_e64 s4, 3, v10
	v_dual_lshlrev_b32 v13, 9, v1 :: v_dual_sub_nc_u32 v44, v42, v11
	v_lshl_add_u32 v45, v1, 3, 0x8000
	v_cmp_eq_u32_e64 s5, 2, v10
	s_and_b32 s37, s3, s2
	v_cmp_gt_u32_e64 s3, 2, v10
	s_and_b32 s38, s4, s2
	v_cmp_eq_u32_e64 s4, 1, v10
	v_dual_lshlrev_b32 v1, 6, v30 :: v_dual_bitop2_b32 v11, 7, v0 bitop3:0x40
	s_and_b32 s39, s5, s2
	v_cmp_eq_u32_e64 s5, 0, v10
	s_and_b32 s40, s3, s2
	s_and_b32 s41, s4, s2
	v_cmp_gt_u32_e64 s3, 64, v30
	v_cmp_eq_u32_e64 s4, 7, v11
	s_and_b32 s42, s5, s2
	v_cmp_ne_u32_e64 s5, 7, v11
	v_mad_u32_u24 v4, v40, s6, v2
	v_cmp_eq_u32_e64 s6, 6, v11
	s_and_b32 s43, s4, s3
	v_cmp_gt_u32_e64 s4, 6, v11
	s_and_b32 s44, s5, s3
	v_cmp_gt_u32_e64 s5, 5, v11
	v_dual_sub_nc_u32 v46, 0, v13 :: v_dual_lshlrev_b32 v47, 3, v10
	s_and_b32 s46, s4, s3
	v_cmp_eq_u32_e64 s4, 4, v11
	v_and_b32_e32 v10, 0x1fff8, v30
	v_and_b32_e32 v1, 0xfffffe00, v1
	v_cmp_eq_u32_e64 s7, 5, v11
	s_and_b32 s45, s6, s3
	v_cmp_gt_u32_e64 s6, 4, v11
	s_and_b32 s48, s5, s3
	v_cmp_eq_u32_e64 s5, 3, v11
	s_and_b32 s49, s4, s3
	v_cmp_eq_u32_e64 s4, 2, v11
	v_dual_sub_nc_u32 v48, v47, v13 :: v_dual_lshlrev_b32 v51, 3, v11
	v_add_nc_u32_e32 v49, 0x8000, v10
	v_dual_sub_nc_u32 v50, 0, v1 :: v_dual_lshrrev_b32 v10, 4, v30
	s_and_b32 s47, s7, s3
	v_cmp_gt_u32_e64 s7, 3, v11
	s_and_b32 s50, s6, s3
	s_and_b32 s51, s5, s3
	v_cmp_gt_u32_e64 s5, 2, v11
	v_cmp_eq_u32_e64 s6, 1, v11
	s_and_b32 s53, s4, s3
	v_cmp_eq_u32_e64 s4, 0, v11
	v_dual_lshlrev_b32 v13, 9, v10 :: v_dual_bitop2_b32 v11, 15, v0 bitop3:0x40
	s_and_b32 s54, s5, s3
	v_writelane_b32 v84, s0, 4
	s_and_b32 s56, s4, s3
	v_cmp_gt_u32_e64 s4, 0x100, v30
	v_cmp_eq_u32_e64 s5, 15, v11
	s_and_b32 s55, s6, s3
	v_cmp_ne_u32_e64 s6, 15, v11
	s_and_b32 s52, s7, s3
	v_cmp_gt_u32_e64 s7, 14, v11
	s_and_b32 s5, s5, s4
	v_cmp_eq_u32_e64 s8, 13, v11
	v_writelane_b32 v84, s5, 5
	v_cmp_eq_u32_e64 s5, 14, v11
	s_and_b32 s6, s6, s4
	v_cmp_gt_u32_e64 s9, 13, v11
	v_dual_sub_nc_u32 v52, v51, v1 :: v_dual_lshlrev_b32 v55, 3, v11
	v_writelane_b32 v84, s6, 6
	s_and_b32 s5, s5, s4
	v_cmp_gt_u32_e64 s6, 12, v11
	v_dual_sub_nc_u32 v54, 0, v13 :: v_dual_lshrrev_b32 v1, 5, v30
	v_writelane_b32 v84, s5, 7
	s_and_b32 s5, s7, s4
	v_cmp_eq_u32_e64 s7, 11, v11
	s_and_b32 s13, s6, s4
	v_cmp_eq_u32_e64 s6, 9, v11
	v_writelane_b32 v84, s5, 8
	s_and_b32 s5, s8, s4
	v_cmp_gt_u32_e64 s8, 11, v11
	s_and_b32 s23, s7, s4
	v_cmp_gt_u32_e64 s7, 9, v11
	v_writelane_b32 v84, s5, 9
	s_and_b32 s5, s9, s4
	v_cmp_eq_u32_e64 s9, 10, v11
	s_and_b32 s25, s8, s4
	v_cmp_eq_u32_e64 s8, 8, v11
	v_writelane_b32 v84, s5, 10
	v_cmp_eq_u32_e64 s5, 12, v11
	s_and_b32 s31, s6, s4
	v_cmp_gt_u32_e64 s6, 7, v11
	s_and_b32 s27, s9, s4
	v_cmp_gt_u32_e64 s9, 8, v11
	;; [unrolled: 2-line block ×3, first 2 shown]
	s_and_b32 s34, s7, s4
	s_and_b32 s61, s8, s4
	v_cmp_eq_u32_e64 s7, 6, v11
	v_cmp_gt_u32_e64 s8, 6, v11
	s_and_b32 s29, s5, s4
	v_cmp_eq_u32_e64 s5, 7, v11
	s_and_b32 s64, s6, s4
	v_cmp_eq_u32_e64 s6, 4, v11
	;; [unrolled: 2-line block ×3, first 2 shown]
	s_and_b32 s63, s5, s4
	v_cmp_gt_u32_e64 s5, 5, v11
	s_and_b32 s24, s7, s4
	s_and_b32 s26, s8, s4
	v_cmp_gt_u32_e64 s7, 4, v11
	v_cmp_eq_u32_e64 s8, 3, v11
	s_and_b32 s30, s5, s4
	v_cmp_eq_u32_e64 s5, 2, v11
	s_and_b32 s33, s6, s4
	v_cmp_gt_u32_e64 s6, 2, v11
	v_cmp_le_i32_e64 s14, s15, v2
	v_dual_lshlrev_b32 v14, 9, v1 :: v_dual_bitop2_b32 v56, 31, v0 bitop3:0x40
	s_and_b32 s28, s9, s4
	v_cmp_gt_u32_e64 s9, 3, v11
	s_and_b32 s70, s7, s4
	s_and_b32 s71, s8, s4
	v_cmp_eq_u32_e64 s7, 1, v11
	v_cmp_eq_u32_e64 s8, 0, v11
	s_and_b32 s78, s5, s4
	v_cmp_eq_u32_e64 s5, 0, v40
	v_lshl_add_u32 v53, v10, 3, 0x8000
	s_and_b32 s79, s6, s4
	v_add_nc_u64_e32 v[10:11], s[10:11], v[4:5]
	s_and_b32 s10, s14, s16
	s_movk_i32 s6, 0x3800
	v_cmp_gt_i32_e32 vcc_lo, s15, v2
	v_mad_u32_u24 v63, 0x208, v56, s6
	s_xor_b32 s6, s10, -1
	s_and_b32 s9, s9, s4
	s_and_b32 s103, s7, s4
	;; [unrolled: 1-line block ×4, first 2 shown]
	s_cmp_gt_i32 s101, 0
	v_cmp_gt_i32_e64 s0, s90, v6
	v_mul_u64_e32 v[8:9], s[72:73], v[16:17]
	s_cselect_b32 s58, -1, 0
	v_add_nc_u32_e32 v17, 0x50, v12
	s_and_b32 s6, s5, vcc_lo
	v_cmp_gt_i32_e32 vcc_lo, s90, v16
	v_writelane_b32 v84, s6, 11
	v_add_nc_u32_e32 v20, 0x60, v12
	v_cmp_gt_i32_e64 s6, s90, v17
	v_add_nc_u32_e32 v21, 0x70, v12
	s_and_b32 s16, s0, vcc_lo
	v_cmp_le_i32_e32 vcc_lo, s15, v40
	v_writelane_b32 v84, s16, 12
	v_cmp_gt_i32_e64 s7, s90, v20
	s_and_b32 s6, s0, s6
	v_cmp_gt_i32_e64 s8, s90, v21
	v_dual_add_nc_u32 v70, v66, v43 :: v_dual_add_nc_u32 v32, 16, v40
	v_writelane_b32 v84, s6, 13
	s_and_b32 s6, s0, s7
	v_cmp_le_u32_e64 s7, v40, v2
                                        ; implicit-def: $vgpr83 : SGPR spill to VGPR lane
                                        ; implicit-def: $vgpr82 : SGPR spill to VGPR lane
	v_dual_lshlrev_b32 v0, 9, v56 :: v_dual_lshlrev_b32 v60, 3, v56
	v_writelane_b32 v84, s6, 14
	s_and_b32 s6, s0, s8
	v_lshl_add_u32 v58, v1, 3, 0x8000
	s_delay_alu instid0(VALU_DEP_3)
	v_dual_sub_nc_u32 v62, 0, v0 :: v_dual_sub_nc_u32 v64, v60, v14
	v_writelane_b32 v84, s6, 15
	s_or_b32 s6, vcc_lo, s14
	v_cmp_le_i32_e32 vcc_lo, s15, v32
	s_or_b32 s6, s6, s7
	v_mul_u64_e32 v[0:1], s[82:83], v[6:7]
	v_writelane_b32 v84, s7, 16
	v_cmp_le_u32_e64 s7, v32, v2
	v_mul_u64_e32 v[10:11], s[82:83], v[10:11]
	v_dual_sub_nc_u32 v57, v55, v13 :: v_dual_sub_nc_u32 v59, 0, v14
	v_writelane_b32 v84, s6, 17
	s_or_b32 s6, vcc_lo, s14
	v_cmp_le_i32_e32 vcc_lo, s15, v33
	s_or_b32 s6, s6, s7
	v_mad_nc_u64_u32 v[12:13], s72, v40, v[18:19]
	v_writelane_b32 v84, s7, 18
	v_cmp_le_u32_e64 s7, v33, v2
	v_mad_nc_u64_u32 v[14:15], s72, v32, v[18:19]
	v_mad_nc_u64_u32 v[16:17], s72, v33, v[18:19]
	;; [unrolled: 1-line block ×3, first 2 shown]
	v_writelane_b32 v84, s6, 19
	s_or_b32 s6, vcc_lo, s14
	v_cmp_le_i32_e32 vcc_lo, s15, v34
	s_or_b32 s6, s6, s7
	v_cmp_ne_u32_e64 s8, v2, v33
	v_writelane_b32 v84, s7, 20
	v_cmp_le_u32_e64 s7, v34, v2
	v_or_b32_e32 v35, v32, v2
	v_or_b32_e32 v36, v33, v2
	v_cmp_ne_u32_e64 s15, v2, v34
	v_writelane_b32 v84, s6, 21
	s_or_b32 s6, vcc_lo, s14
	v_mad_u32 v13, s73, v40, v13
	s_or_b32 s6, s6, s7
	v_mad_u32 v15, s73, v32, v15
	v_writelane_b32 v84, s7, 22
	v_cmp_ne_u32_e64 s7, v2, v32
	v_mad_u32 v17, s73, v33, v17
	v_mad_u32 v19, s73, v34, v19
	v_or_b32_e32 v37, v34, v2
	v_writelane_b32 v84, s6, 23
	v_cmp_ne_u32_e64 s6, v2, v40
	v_mov_b64_e32 v[20:21], 0
	v_cmp_lt_u32_e32 vcc_lo, 0x3ff, v30
	v_mul_u32_u24_e32 v61, 0x208, v56
	v_lshl_add_u32 v65, v4, 3, 0xa000
	v_writelane_b32 v84, s6, 24
	s_or_b32 s6, s14, s6
	v_lshl_add_u32 v67, v30, 3, 0x8000
	v_add_nc_u32_e32 v68, 0x8000, v43
	v_lshl_add_u32 v69, v40, 9, v43
	v_writelane_b32 v84, s6, 25
	s_or_b32 s6, s14, s7
	v_lshl_add_u32 v71, v2, 9, v43
	v_lshl_add_u32 v72, v32, 9, v43
	;; [unrolled: 1-line block ×3, first 2 shown]
	v_writelane_b32 v84, s7, 26
	v_cmp_gt_u32_e64 s7, 0xf0, v30
	v_lshl_add_u32 v74, v34, 9, v43
	v_add_nc_u32_e32 v75, 0x7800, v43
	v_subrev_nc_u32_e32 v76, 63, v2
	v_writelane_b32 v84, s6, 27
	v_writelane_b32 v83, s7, 0
	v_cmp_gt_u32_e64 s7, 0xe0, v30
	s_or_b32 s6, s14, s8
	v_cmp_gt_u32_e64 s16, 12, v30
	v_writelane_b32 v84, s8, 28
	v_cmp_gt_u32_e64 s17, 8, v30
	v_writelane_b32 v83, s7, 1
	v_cmp_gt_u32_e64 s7, 0xd0, v30
	v_cmp_gt_u32_e64 s18, 56, v30
	v_writelane_b32 v84, s6, 29
	s_or_b32 s6, s14, s15
	v_cmp_eq_u32_e64 s14, 0, v31
	v_writelane_b32 v83, s7, 2
	v_cmp_gt_u32_e64 s7, 0xc0, v30
	v_writelane_b32 v84, s15, 30
	v_cmp_gt_u32_e64 s15, 2, v30
	v_cmp_gt_u32_e64 s19, 48, v30
	;; [unrolled: 1-line block ×3, first 2 shown]
	v_writelane_b32 v83, s7, 3
	v_cmp_gt_u32_e64 s7, 0xb0, v30
	v_cmp_gt_u32_e64 s21, 32, v30
	;; [unrolled: 1-line block ×4, first 2 shown]
	v_cmp_eq_u32_e64 s59, 0, v4
	v_writelane_b32 v83, s7, 4
	v_cmp_gt_u32_e64 s7, 0xa0, v30
	v_cmp_gt_u32_e64 s60, 64, v4
	s_add_co_i32 s65, s65, 1
	v_writelane_b32 v84, s6, 31
	s_xor_b32 s6, vcc_lo, -1
	v_writelane_b32 v83, s7, 5
	v_cmp_gt_u32_e64 s7, 0x90, v30
	s_lshl_b64 s[80:81], s[72:73], 7
	s_lshl_b64 s[92:93], s[72:73], 8
	s_mul_u64 s[94:95], s[72:73], 0x180
                                        ; implicit-def: $vgpr22_vgpr23
                                        ; implicit-def: $vgpr24_vgpr25
                                        ; implicit-def: $vgpr26_vgpr27
                                        ; implicit-def: $vgpr28_vgpr29
	v_writelane_b32 v83, s7, 6
	v_cmp_gt_u32_e64 s7, 0x80, v30
	s_delay_alu instid0(VALU_DEP_1) | instskip(SKIP_1) | instid1(VALU_DEP_1)
	v_writelane_b32 v83, s7, 7
	v_cmp_gt_u32_e64 s7, 0x70, v30
	v_writelane_b32 v83, s7, 8
	v_cmp_gt_u32_e64 s7, 0x60, v30
	s_delay_alu instid0(VALU_DEP_1) | instskip(SKIP_1) | instid1(VALU_DEP_1)
	v_writelane_b32 v83, s7, 9
	v_cmp_gt_u32_e64 s7, 0x50, v30
	;; [unrolled: 5-line block ×13, first 2 shown]
	v_writelane_b32 v82, s7, 0
	v_cmp_gt_u32_e64 s7, 0x120, v30
	s_delay_alu instid0(VALU_DEP_1) | instskip(SKIP_1) | instid1(VALU_DEP_1)
	v_writelane_b32 v82, s7, 1
	v_cmp_le_u32_e64 s7, v2, v40
	v_writelane_b32 v82, s7, 2
	v_cmp_le_u32_e64 s7, v2, v32
	s_delay_alu instid0(VALU_DEP_1) | instskip(SKIP_1) | instid1(VALU_DEP_1)
	v_writelane_b32 v82, s7, 3
	v_cmp_le_u32_e64 s7, v2, v33
	v_writelane_b32 v82, s7, 4
	v_cmp_le_u32_e64 s7, v2, v34
	s_delay_alu instid0(VALU_DEP_1) | instskip(SKIP_1) | instid1(VALU_DEP_1)
	v_writelane_b32 v82, s7, 5
	v_cmp_gt_u32_e64 s7, 64, v31
	v_writelane_b32 v82, s7, 6
	v_cmp_gt_u32_e64 s7, 64, v35
	s_delay_alu instid0(VALU_DEP_1) | instskip(SKIP_1) | instid1(VALU_DEP_1)
	v_writelane_b32 v82, s7, 7
	v_cmp_gt_u32_e64 s7, 64, v36
	v_writelane_b32 v82, s7, 8
	v_cmp_gt_u32_e64 s7, 64, v37
	s_delay_alu instid0(VALU_DEP_1)
	v_writelane_b32 v82, s7, 9
	s_branch .LBB40_3
.LBB40_2:                               ;   in Loop: Header=BB40_3 Depth=1
	s_wait_xcnt 0x0
	s_or_b32 exec_lo, exec_lo, s7
	s_add_co_i32 s88, s88, 0x10000
	global_wb scope:SCOPE_DEV
	s_wait_storecnt 0x0
	global_inv scope:SCOPE_DEV
	s_cmp_lt_u32 s88, s100
	s_cbranch_scc0 .LBB40_1087
.LBB40_3:                               ; =>This Loop Header: Depth=1
                                        ;     Child Loop BB40_542 Depth 2
                                        ;     Child Loop BB40_959 Depth 2
                                        ;       Child Loop BB40_961 Depth 3
                                        ;     Child Loop BB40_999 Depth 2
	v_readlane_b32 s96, v84, 0
	v_readlane_b32 s7, v84, 4
	;; [unrolled: 1-line block ×3, first 2 shown]
	s_mul_u64 s[66:67], s[74:75], s[88:89]
	s_delay_alu instid0(SALU_CYCLE_1)
	s_lshl_b64 s[66:67], s[66:67], 3
	s_and_not1_b32 vcc_lo, exec_lo, s7
	s_add_nc_u64 s[96:97], s[96:97], s[66:67]
	s_cbranch_vccnz .LBB40_13
; %bb.4:                                ;   in Loop: Header=BB40_3 Depth=1
	v_lshl_add_u64 v[26:27], v[8:9], 3, s[96:97]
	v_mov_b64_e32 v[24:25], 0
	v_mov_b64_e32 v[22:23], 0
	s_barrier_signal -1
	s_delay_alu instid0(VALU_DEP_3) | instskip(SKIP_4) | instid1(SALU_CYCLE_1)
	v_lshl_add_u64 v[30:31], v[6:7], 3, v[26:27]
	s_barrier_wait -1
	s_mov_b32 s7, exec_lo
	v_readlane_b32 s8, v84, 12
	s_and_b32 s8, s7, s8
	s_mov_b32 exec_lo, s8
	s_cbranch_execz .LBB40_6
; %bb.5:                                ;   in Loop: Header=BB40_3 Depth=1
	global_load_b64 v[22:23], v[30:31], off
.LBB40_6:                               ;   in Loop: Header=BB40_3 Depth=1
	s_wait_xcnt 0x0
	s_or_b32 exec_lo, exec_lo, s7
	s_wait_loadcnt 0x0
	s_barrier_signal -1
	s_barrier_wait -1
	s_mov_b32 s7, exec_lo
	v_readlane_b32 s8, v84, 13
	s_and_b32 s8, s7, s8
	s_delay_alu instid0(SALU_CYCLE_1)
	s_mov_b32 exec_lo, s8
	s_cbranch_execz .LBB40_8
; %bb.7:                                ;   in Loop: Header=BB40_3 Depth=1
	v_add_nc_u64_e32 v[24:25], s[80:81], v[30:31]
	global_load_b64 v[24:25], v[24:25], off
.LBB40_8:                               ;   in Loop: Header=BB40_3 Depth=1
	s_wait_xcnt 0x0
	s_or_b32 exec_lo, exec_lo, s7
	v_mov_b64_e32 v[28:29], 0
	v_mov_b64_e32 v[26:27], 0
	s_wait_loadcnt 0x0
	s_barrier_signal -1
	s_barrier_wait -1
	s_mov_b32 s7, exec_lo
	v_readlane_b32 s8, v84, 14
	s_and_b32 s8, s7, s8
	s_delay_alu instid0(SALU_CYCLE_1)
	s_mov_b32 exec_lo, s8
	s_cbranch_execz .LBB40_10
; %bb.9:                                ;   in Loop: Header=BB40_3 Depth=1
	v_add_nc_u64_e32 v[26:27], s[92:93], v[30:31]
	global_load_b64 v[26:27], v[26:27], off
.LBB40_10:                              ;   in Loop: Header=BB40_3 Depth=1
	s_wait_xcnt 0x0
	s_or_b32 exec_lo, exec_lo, s7
	s_wait_loadcnt 0x0
	s_barrier_signal -1
	s_barrier_wait -1
	s_mov_b32 s7, exec_lo
	v_readlane_b32 s8, v84, 15
	s_and_b32 s8, s7, s8
	s_delay_alu instid0(SALU_CYCLE_1)
	s_mov_b32 exec_lo, s8
	s_cbranch_execz .LBB40_12
; %bb.11:                               ;   in Loop: Header=BB40_3 Depth=1
	v_add_nc_u64_e32 v[28:29], s[94:95], v[30:31]
	global_load_b64 v[28:29], v[28:29], off
.LBB40_12:                              ;   in Loop: Header=BB40_3 Depth=1
	s_wait_xcnt 0x0
	s_or_b32 exec_lo, exec_lo, s7
.LBB40_13:                              ;   in Loop: Header=BB40_3 Depth=1
	s_delay_alu instid0(SALU_CYCLE_1)
	s_and_not1_b32 vcc_lo, exec_lo, s69
	s_mov_b32 s7, -1
	s_cbranch_vccnz .LBB40_49
; %bb.14:                               ;   in Loop: Header=BB40_3 Depth=1
	s_mov_b32 s8, 0
                                        ; implicit-def: $vgpr30_vgpr31
	s_mov_b32 s7, exec_lo
	v_readlane_b32 s66, v84, 16
	s_and_b32 s66, s7, s66
	s_delay_alu instid0(SALU_CYCLE_1)
	s_xor_b32 s7, s66, s7
	s_mov_b32 exec_lo, s66
	s_cbranch_execnz .LBB40_1021
; %bb.15:                               ;   in Loop: Header=BB40_3 Depth=1
	s_and_not1_saveexec_b32 s7, s7
	s_cbranch_execnz .LBB40_1026
.LBB40_16:                              ;   in Loop: Header=BB40_3 Depth=1
	s_or_b32 exec_lo, exec_lo, s7
	s_and_saveexec_b32 s7, s8
.LBB40_17:                              ;   in Loop: Header=BB40_3 Depth=1
	ds_store_b64 v69, v[30:31]
.LBB40_18:                              ;   in Loop: Header=BB40_3 Depth=1
	s_or_b32 exec_lo, exec_lo, s7
	s_delay_alu instid0(SALU_CYCLE_1) | instskip(SKIP_2) | instid1(SALU_CYCLE_1)
	s_mov_b32 s7, exec_lo
	v_readlane_b32 s8, v84, 18
	s_and_b32 s8, s7, s8
	s_xor_b32 s7, s8, s7
	s_mov_b32 exec_lo, s8
	s_cbranch_execz .LBB40_26
; %bb.19:                               ;   in Loop: Header=BB40_3 Depth=1
	s_mov_b32 s8, exec_lo
	v_readlane_b32 s66, v84, 26
	s_and_b32 s66, s8, s66
	s_delay_alu instid0(SALU_CYCLE_1)
	s_xor_b32 s8, s66, s8
	s_mov_b32 exec_lo, s66
	s_cbranch_execz .LBB40_23
; %bb.20:                               ;   in Loop: Header=BB40_3 Depth=1
	s_mov_b32 s66, exec_lo
	v_readlane_b32 s67, v82, 7
	s_and_b32 s67, s66, s67
	s_delay_alu instid0(SALU_CYCLE_1)
	s_mov_b32 exec_lo, s67
; %bb.21:                               ;   in Loop: Header=BB40_3 Depth=1
	ds_store_b64 v72, v[20:21]
; %bb.22:                               ;   in Loop: Header=BB40_3 Depth=1
	s_or_b32 exec_lo, exec_lo, s66
.LBB40_23:                              ;   in Loop: Header=BB40_3 Depth=1
	s_and_not1_saveexec_b32 s8, s8
	s_cbranch_execz .LBB40_25
; %bb.24:                               ;   in Loop: Header=BB40_3 Depth=1
	v_lshl_add_u64 v[30:31], v[14:15], 3, s[96:97]
	global_load_b64 v[30:31], v[30:31], off
	s_wait_loadcnt 0x0
	v_div_scale_f64 v[32:33], null, v[30:31], v[30:31], 1.0
	s_delay_alu instid0(VALU_DEP_1) | instskip(SKIP_1) | instid1(TRANS32_DEP_1)
	v_rcp_f64_e32 v[34:35], v[32:33]
	v_nop
	v_fma_f64 v[36:37], -v[32:33], v[34:35], 1.0
	s_delay_alu instid0(VALU_DEP_1) | instskip(NEXT) | instid1(VALU_DEP_1)
	v_fmac_f64_e32 v[34:35], v[34:35], v[36:37]
	v_fma_f64 v[36:37], -v[32:33], v[34:35], 1.0
	s_delay_alu instid0(VALU_DEP_1) | instskip(SKIP_1) | instid1(VALU_DEP_1)
	v_fmac_f64_e32 v[34:35], v[34:35], v[36:37]
	v_div_scale_f64 v[36:37], vcc_lo, 1.0, v[30:31], 1.0
	v_mul_f64_e32 v[38:39], v[36:37], v[34:35]
	s_delay_alu instid0(VALU_DEP_1) | instskip(NEXT) | instid1(VALU_DEP_1)
	v_fma_f64 v[32:33], -v[32:33], v[38:39], v[36:37]
	v_div_fmas_f64 v[32:33], v[32:33], v[34:35], v[38:39]
	s_delay_alu instid0(VALU_DEP_1)
	v_div_fixup_f64 v[30:31], v[32:33], v[30:31], 1.0
	ds_store_b64 v72, v[30:31]
.LBB40_25:                              ;   in Loop: Header=BB40_3 Depth=1
	s_or_b32 exec_lo, exec_lo, s8
.LBB40_26:                              ;   in Loop: Header=BB40_3 Depth=1
	s_and_not1_saveexec_b32 s7, s7
	s_cbranch_execz .LBB40_28
; %bb.27:                               ;   in Loop: Header=BB40_3 Depth=1
	v_lshl_add_u64 v[30:31], v[14:15], 3, s[96:97]
	global_load_b64 v[30:31], v[30:31], off
	s_wait_loadcnt 0x0
	v_xor_b32_e32 v31, 0x80000000, v31
	ds_store_b64 v72, v[30:31]
.LBB40_28:                              ;   in Loop: Header=BB40_3 Depth=1
	s_or_b32 exec_lo, exec_lo, s7
	s_delay_alu instid0(SALU_CYCLE_1) | instskip(SKIP_2) | instid1(SALU_CYCLE_1)
	s_mov_b32 s7, exec_lo
	v_readlane_b32 s8, v84, 20
	s_and_b32 s8, s7, s8
	s_xor_b32 s7, s8, s7
	s_mov_b32 exec_lo, s8
	s_cbranch_execz .LBB40_36
; %bb.29:                               ;   in Loop: Header=BB40_3 Depth=1
	s_mov_b32 s8, exec_lo
	v_readlane_b32 s66, v84, 28
	s_and_b32 s66, s8, s66
	s_delay_alu instid0(SALU_CYCLE_1)
	s_xor_b32 s8, s66, s8
	s_mov_b32 exec_lo, s66
	s_cbranch_execz .LBB40_33
; %bb.30:                               ;   in Loop: Header=BB40_3 Depth=1
	s_mov_b32 s66, exec_lo
	v_readlane_b32 s67, v82, 8
	s_and_b32 s67, s66, s67
	s_delay_alu instid0(SALU_CYCLE_1)
	s_mov_b32 exec_lo, s67
; %bb.31:                               ;   in Loop: Header=BB40_3 Depth=1
	ds_store_b64 v73, v[20:21]
; %bb.32:                               ;   in Loop: Header=BB40_3 Depth=1
	s_or_b32 exec_lo, exec_lo, s66
.LBB40_33:                              ;   in Loop: Header=BB40_3 Depth=1
	s_and_not1_saveexec_b32 s8, s8
	s_cbranch_execz .LBB40_35
; %bb.34:                               ;   in Loop: Header=BB40_3 Depth=1
	v_lshl_add_u64 v[30:31], v[16:17], 3, s[96:97]
	global_load_b64 v[30:31], v[30:31], off
	s_wait_loadcnt 0x0
	v_div_scale_f64 v[32:33], null, v[30:31], v[30:31], 1.0
	s_delay_alu instid0(VALU_DEP_1) | instskip(SKIP_1) | instid1(TRANS32_DEP_1)
	v_rcp_f64_e32 v[34:35], v[32:33]
	v_nop
	v_fma_f64 v[36:37], -v[32:33], v[34:35], 1.0
	s_delay_alu instid0(VALU_DEP_1) | instskip(NEXT) | instid1(VALU_DEP_1)
	v_fmac_f64_e32 v[34:35], v[34:35], v[36:37]
	v_fma_f64 v[36:37], -v[32:33], v[34:35], 1.0
	s_delay_alu instid0(VALU_DEP_1) | instskip(SKIP_1) | instid1(VALU_DEP_1)
	v_fmac_f64_e32 v[34:35], v[34:35], v[36:37]
	v_div_scale_f64 v[36:37], vcc_lo, 1.0, v[30:31], 1.0
	v_mul_f64_e32 v[38:39], v[36:37], v[34:35]
	s_delay_alu instid0(VALU_DEP_1) | instskip(NEXT) | instid1(VALU_DEP_1)
	v_fma_f64 v[32:33], -v[32:33], v[38:39], v[36:37]
	v_div_fmas_f64 v[32:33], v[32:33], v[34:35], v[38:39]
	s_delay_alu instid0(VALU_DEP_1)
	v_div_fixup_f64 v[30:31], v[32:33], v[30:31], 1.0
	ds_store_b64 v73, v[30:31]
.LBB40_35:                              ;   in Loop: Header=BB40_3 Depth=1
	s_or_b32 exec_lo, exec_lo, s8
.LBB40_36:                              ;   in Loop: Header=BB40_3 Depth=1
	s_and_not1_saveexec_b32 s7, s7
	s_cbranch_execz .LBB40_38
; %bb.37:                               ;   in Loop: Header=BB40_3 Depth=1
	v_lshl_add_u64 v[30:31], v[16:17], 3, s[96:97]
	global_load_b64 v[30:31], v[30:31], off
	s_wait_loadcnt 0x0
	v_xor_b32_e32 v31, 0x80000000, v31
	ds_store_b64 v73, v[30:31]
.LBB40_38:                              ;   in Loop: Header=BB40_3 Depth=1
	;; [unrolled: 63-line block ×3, first 2 shown]
	s_or_b32 exec_lo, exec_lo, s7
	s_mov_b32 s7, 0
.LBB40_49:                              ;   in Loop: Header=BB40_3 Depth=1
	s_delay_alu instid0(SALU_CYCLE_1)
	s_and_b32 vcc_lo, exec_lo, s7
	s_cbranch_vccz .LBB40_85
; %bb.50:                               ;   in Loop: Header=BB40_3 Depth=1
	s_mov_b32 s8, 0
                                        ; implicit-def: $vgpr30_vgpr31
	s_mov_b32 s7, exec_lo
	v_readlane_b32 s66, v84, 17
	s_and_b32 s66, s7, s66
	s_delay_alu instid0(SALU_CYCLE_1)
	s_xor_b32 s7, s66, s7
	s_mov_b32 exec_lo, s66
	s_cbranch_execnz .LBB40_1027
; %bb.51:                               ;   in Loop: Header=BB40_3 Depth=1
	s_and_not1_saveexec_b32 s7, s7
	s_cbranch_execnz .LBB40_1032
.LBB40_52:                              ;   in Loop: Header=BB40_3 Depth=1
	s_or_b32 exec_lo, exec_lo, s7
	s_and_saveexec_b32 s7, s8
.LBB40_53:                              ;   in Loop: Header=BB40_3 Depth=1
	ds_store_b64 v69, v[30:31]
.LBB40_54:                              ;   in Loop: Header=BB40_3 Depth=1
	s_or_b32 exec_lo, exec_lo, s7
	s_delay_alu instid0(SALU_CYCLE_1) | instskip(SKIP_2) | instid1(SALU_CYCLE_1)
	s_mov_b32 s7, exec_lo
	v_readlane_b32 s8, v84, 19
	s_and_b32 s8, s7, s8
	s_xor_b32 s7, s8, s7
	s_mov_b32 exec_lo, s8
	s_cbranch_execz .LBB40_62
; %bb.55:                               ;   in Loop: Header=BB40_3 Depth=1
	s_mov_b32 s8, exec_lo
	v_readlane_b32 s66, v84, 27
	s_and_b32 s66, s8, s66
	s_delay_alu instid0(SALU_CYCLE_1)
	s_xor_b32 s8, s66, s8
	s_mov_b32 exec_lo, s66
	s_cbranch_execz .LBB40_59
; %bb.56:                               ;   in Loop: Header=BB40_3 Depth=1
	s_mov_b32 s66, exec_lo
	v_readlane_b32 s67, v82, 7
	s_and_b32 s67, s66, s67
	s_delay_alu instid0(SALU_CYCLE_1)
	s_mov_b32 exec_lo, s67
; %bb.57:                               ;   in Loop: Header=BB40_3 Depth=1
	ds_store_b64 v72, v[20:21]
; %bb.58:                               ;   in Loop: Header=BB40_3 Depth=1
	s_or_b32 exec_lo, exec_lo, s66
.LBB40_59:                              ;   in Loop: Header=BB40_3 Depth=1
	s_and_not1_saveexec_b32 s8, s8
	s_cbranch_execz .LBB40_61
; %bb.60:                               ;   in Loop: Header=BB40_3 Depth=1
	v_lshl_add_u64 v[30:31], v[14:15], 3, s[96:97]
	global_load_b64 v[30:31], v[30:31], off
	s_wait_loadcnt 0x0
	v_div_scale_f64 v[32:33], null, v[30:31], v[30:31], 1.0
	s_delay_alu instid0(VALU_DEP_1) | instskip(SKIP_1) | instid1(TRANS32_DEP_1)
	v_rcp_f64_e32 v[34:35], v[32:33]
	v_nop
	v_fma_f64 v[36:37], -v[32:33], v[34:35], 1.0
	s_delay_alu instid0(VALU_DEP_1) | instskip(NEXT) | instid1(VALU_DEP_1)
	v_fmac_f64_e32 v[34:35], v[34:35], v[36:37]
	v_fma_f64 v[36:37], -v[32:33], v[34:35], 1.0
	s_delay_alu instid0(VALU_DEP_1) | instskip(SKIP_1) | instid1(VALU_DEP_1)
	v_fmac_f64_e32 v[34:35], v[34:35], v[36:37]
	v_div_scale_f64 v[36:37], vcc_lo, 1.0, v[30:31], 1.0
	v_mul_f64_e32 v[38:39], v[36:37], v[34:35]
	s_delay_alu instid0(VALU_DEP_1) | instskip(NEXT) | instid1(VALU_DEP_1)
	v_fma_f64 v[32:33], -v[32:33], v[38:39], v[36:37]
	v_div_fmas_f64 v[32:33], v[32:33], v[34:35], v[38:39]
	s_delay_alu instid0(VALU_DEP_1)
	v_div_fixup_f64 v[30:31], v[32:33], v[30:31], 1.0
	ds_store_b64 v72, v[30:31]
.LBB40_61:                              ;   in Loop: Header=BB40_3 Depth=1
	s_or_b32 exec_lo, exec_lo, s8
.LBB40_62:                              ;   in Loop: Header=BB40_3 Depth=1
	s_and_not1_saveexec_b32 s7, s7
	s_cbranch_execz .LBB40_64
; %bb.63:                               ;   in Loop: Header=BB40_3 Depth=1
	v_lshl_add_u64 v[30:31], v[14:15], 3, s[96:97]
	global_load_b64 v[30:31], v[30:31], off
	s_wait_loadcnt 0x0
	v_xor_b32_e32 v31, 0x80000000, v31
	ds_store_b64 v72, v[30:31]
.LBB40_64:                              ;   in Loop: Header=BB40_3 Depth=1
	s_or_b32 exec_lo, exec_lo, s7
	s_delay_alu instid0(SALU_CYCLE_1) | instskip(SKIP_2) | instid1(SALU_CYCLE_1)
	s_mov_b32 s7, exec_lo
	v_readlane_b32 s8, v84, 21
	s_and_b32 s8, s7, s8
	s_xor_b32 s7, s8, s7
	s_mov_b32 exec_lo, s8
	s_cbranch_execz .LBB40_72
; %bb.65:                               ;   in Loop: Header=BB40_3 Depth=1
	s_mov_b32 s8, exec_lo
	v_readlane_b32 s66, v84, 29
	s_and_b32 s66, s8, s66
	s_delay_alu instid0(SALU_CYCLE_1)
	s_xor_b32 s8, s66, s8
	s_mov_b32 exec_lo, s66
	s_cbranch_execz .LBB40_69
; %bb.66:                               ;   in Loop: Header=BB40_3 Depth=1
	s_mov_b32 s66, exec_lo
	v_readlane_b32 s67, v82, 8
	s_and_b32 s67, s66, s67
	s_delay_alu instid0(SALU_CYCLE_1)
	s_mov_b32 exec_lo, s67
; %bb.67:                               ;   in Loop: Header=BB40_3 Depth=1
	ds_store_b64 v73, v[20:21]
; %bb.68:                               ;   in Loop: Header=BB40_3 Depth=1
	s_or_b32 exec_lo, exec_lo, s66
.LBB40_69:                              ;   in Loop: Header=BB40_3 Depth=1
	s_and_not1_saveexec_b32 s8, s8
	s_cbranch_execz .LBB40_71
; %bb.70:                               ;   in Loop: Header=BB40_3 Depth=1
	v_lshl_add_u64 v[30:31], v[16:17], 3, s[96:97]
	global_load_b64 v[30:31], v[30:31], off
	s_wait_loadcnt 0x0
	v_div_scale_f64 v[32:33], null, v[30:31], v[30:31], 1.0
	s_delay_alu instid0(VALU_DEP_1) | instskip(SKIP_1) | instid1(TRANS32_DEP_1)
	v_rcp_f64_e32 v[34:35], v[32:33]
	v_nop
	v_fma_f64 v[36:37], -v[32:33], v[34:35], 1.0
	s_delay_alu instid0(VALU_DEP_1) | instskip(NEXT) | instid1(VALU_DEP_1)
	v_fmac_f64_e32 v[34:35], v[34:35], v[36:37]
	v_fma_f64 v[36:37], -v[32:33], v[34:35], 1.0
	s_delay_alu instid0(VALU_DEP_1) | instskip(SKIP_1) | instid1(VALU_DEP_1)
	v_fmac_f64_e32 v[34:35], v[34:35], v[36:37]
	v_div_scale_f64 v[36:37], vcc_lo, 1.0, v[30:31], 1.0
	v_mul_f64_e32 v[38:39], v[36:37], v[34:35]
	s_delay_alu instid0(VALU_DEP_1) | instskip(NEXT) | instid1(VALU_DEP_1)
	v_fma_f64 v[32:33], -v[32:33], v[38:39], v[36:37]
	v_div_fmas_f64 v[32:33], v[32:33], v[34:35], v[38:39]
	s_delay_alu instid0(VALU_DEP_1)
	v_div_fixup_f64 v[30:31], v[32:33], v[30:31], 1.0
	ds_store_b64 v73, v[30:31]
.LBB40_71:                              ;   in Loop: Header=BB40_3 Depth=1
	s_or_b32 exec_lo, exec_lo, s8
.LBB40_72:                              ;   in Loop: Header=BB40_3 Depth=1
	s_and_not1_saveexec_b32 s7, s7
	s_cbranch_execz .LBB40_74
; %bb.73:                               ;   in Loop: Header=BB40_3 Depth=1
	v_lshl_add_u64 v[30:31], v[16:17], 3, s[96:97]
	global_load_b64 v[30:31], v[30:31], off
	s_wait_loadcnt 0x0
	v_xor_b32_e32 v31, 0x80000000, v31
	ds_store_b64 v73, v[30:31]
.LBB40_74:                              ;   in Loop: Header=BB40_3 Depth=1
	s_or_b32 exec_lo, exec_lo, s7
	s_delay_alu instid0(SALU_CYCLE_1) | instskip(SKIP_2) | instid1(SALU_CYCLE_1)
	s_mov_b32 s7, exec_lo
	v_readlane_b32 s8, v84, 23
	s_and_b32 s8, s7, s8
	s_xor_b32 s7, s8, s7
	s_mov_b32 exec_lo, s8
	s_cbranch_execz .LBB40_82
; %bb.75:                               ;   in Loop: Header=BB40_3 Depth=1
	s_mov_b32 s8, exec_lo
	v_readlane_b32 s66, v84, 31
	s_and_b32 s66, s8, s66
	s_delay_alu instid0(SALU_CYCLE_1)
	s_xor_b32 s8, s66, s8
	s_mov_b32 exec_lo, s66
	s_cbranch_execz .LBB40_79
; %bb.76:                               ;   in Loop: Header=BB40_3 Depth=1
	s_mov_b32 s66, exec_lo
	v_readlane_b32 s67, v82, 9
	s_and_b32 s67, s66, s67
	s_delay_alu instid0(SALU_CYCLE_1)
	s_mov_b32 exec_lo, s67
; %bb.77:                               ;   in Loop: Header=BB40_3 Depth=1
	ds_store_b64 v74, v[20:21]
; %bb.78:                               ;   in Loop: Header=BB40_3 Depth=1
	s_or_b32 exec_lo, exec_lo, s66
.LBB40_79:                              ;   in Loop: Header=BB40_3 Depth=1
	s_and_not1_saveexec_b32 s8, s8
	s_cbranch_execz .LBB40_81
; %bb.80:                               ;   in Loop: Header=BB40_3 Depth=1
	v_lshl_add_u64 v[30:31], v[18:19], 3, s[96:97]
	global_load_b64 v[30:31], v[30:31], off
	s_wait_loadcnt 0x0
	v_div_scale_f64 v[32:33], null, v[30:31], v[30:31], 1.0
	s_delay_alu instid0(VALU_DEP_1) | instskip(SKIP_1) | instid1(TRANS32_DEP_1)
	v_rcp_f64_e32 v[34:35], v[32:33]
	v_nop
	v_fma_f64 v[36:37], -v[32:33], v[34:35], 1.0
	s_delay_alu instid0(VALU_DEP_1) | instskip(NEXT) | instid1(VALU_DEP_1)
	v_fmac_f64_e32 v[34:35], v[34:35], v[36:37]
	v_fma_f64 v[36:37], -v[32:33], v[34:35], 1.0
	s_delay_alu instid0(VALU_DEP_1) | instskip(SKIP_1) | instid1(VALU_DEP_1)
	v_fmac_f64_e32 v[34:35], v[34:35], v[36:37]
	v_div_scale_f64 v[36:37], vcc_lo, 1.0, v[30:31], 1.0
	v_mul_f64_e32 v[38:39], v[36:37], v[34:35]
	s_delay_alu instid0(VALU_DEP_1) | instskip(NEXT) | instid1(VALU_DEP_1)
	v_fma_f64 v[32:33], -v[32:33], v[38:39], v[36:37]
	v_div_fmas_f64 v[32:33], v[32:33], v[34:35], v[38:39]
	s_delay_alu instid0(VALU_DEP_1)
	v_div_fixup_f64 v[30:31], v[32:33], v[30:31], 1.0
	ds_store_b64 v74, v[30:31]
.LBB40_81:                              ;   in Loop: Header=BB40_3 Depth=1
	s_or_b32 exec_lo, exec_lo, s8
.LBB40_82:                              ;   in Loop: Header=BB40_3 Depth=1
	s_and_not1_saveexec_b32 s7, s7
	s_cbranch_execz .LBB40_84
; %bb.83:                               ;   in Loop: Header=BB40_3 Depth=1
	v_lshl_add_u64 v[30:31], v[18:19], 3, s[96:97]
	global_load_b64 v[30:31], v[30:31], off
	s_wait_loadcnt 0x0
	v_xor_b32_e32 v31, 0x80000000, v31
	ds_store_b64 v74, v[30:31]
.LBB40_84:                              ;   in Loop: Header=BB40_3 Depth=1
	s_or_b32 exec_lo, exec_lo, s7
.LBB40_85:                              ;   in Loop: Header=BB40_3 Depth=1
	s_delay_alu instid0(SALU_CYCLE_1)
	s_and_not1_b32 vcc_lo, exec_lo, s104
	s_wait_loadcnt_dscnt 0x0
	s_barrier_signal -1
	s_barrier_wait -1
	s_cbranch_vccnz .LBB40_953
; %bb.86:                               ;   in Loop: Header=BB40_3 Depth=1
	s_and_saveexec_b32 s7, s14
	s_cbranch_execz .LBB40_88
; %bb.87:                               ;   in Loop: Header=BB40_3 Depth=1
	ds_load_b128 v[30:33], v5 offset:32752
	ds_load_b64 v[34:35], v5 offset:32240
	s_wait_dscnt 0x0
	v_mul_f64_e32 v[32:33], v[34:35], v[32:33]
	s_delay_alu instid0(VALU_DEP_1)
	v_mul_f64_e32 v[30:31], v[30:31], v[32:33]
	ds_store_b64 v5, v[30:31] offset:32752
.LBB40_88:                              ;   in Loop: Header=BB40_3 Depth=1
	s_or_b32 exec_lo, exec_lo, s7
	v_mov_b64_e32 v[30:31], 0
	s_wait_dscnt 0x0
	s_barrier_signal -1
	s_barrier_wait -1
	global_wb scope:SCOPE_DEV
	s_wait_storecnt 0x0
	global_inv scope:SCOPE_DEV
	s_and_saveexec_b32 s7, s1
	s_cbranch_execz .LBB40_92
; %bb.89:                               ;   in Loop: Header=BB40_3 Depth=1
	ds_load_b64 v[30:31], v42 offset:32224
	ds_load_b64 v[32:33], v41 offset:32752
	s_wait_dscnt 0x0
	v_fma_f64 v[30:31], v[30:31], v[32:33], 0
	s_and_saveexec_b32 s8, s15
	s_cbranch_execz .LBB40_91
; %bb.90:                               ;   in Loop: Header=BB40_3 Depth=1
	ds_load_b64 v[32:33], v43 offset:32736
	ds_load_b64 v[34:35], v5 offset:32760
	s_wait_dscnt 0x0
	v_fmac_f64_e32 v[30:31], v[32:33], v[34:35]
.LBB40_91:                              ;   in Loop: Header=BB40_3 Depth=1
	s_or_b32 exec_lo, exec_lo, s8
.LBB40_92:                              ;   in Loop: Header=BB40_3 Depth=1
	s_delay_alu instid0(SALU_CYCLE_1)
	s_or_b32 exec_lo, exec_lo, s7
	s_and_saveexec_b32 s7, vcc_hi
	s_cbranch_execz .LBB40_94
; %bb.93:                               ;   in Loop: Header=BB40_3 Depth=1
	ds_load_b64 v[32:33], v5 offset:31720
	s_wait_dscnt 0x0
	v_mul_f64_e32 v[30:31], v[30:31], v[32:33]
	s_delay_alu instid0(VALU_DEP_1) | instskip(NEXT) | instid1(VALU_DEP_2)
	v_xor_b32_e32 v33, 0x80000000, v31
	v_mov_b32_e32 v32, v30
	ds_store_b64 v3, v[32:33]
.LBB40_94:                              ;   in Loop: Header=BB40_3 Depth=1
	s_or_b32 exec_lo, exec_lo, s7
	s_wait_loadcnt_dscnt 0x0
	s_barrier_signal -1
	s_barrier_wait -1
	s_and_saveexec_b32 s7, s36
	s_cbranch_execz .LBB40_96
; %bb.95:                               ;   in Loop: Header=BB40_3 Depth=1
	ds_load_b64 v[32:33], v5 offset:31712
	ds_load_b64 v[34:35], v3
	s_wait_dscnt 0x0
	v_fma_f64 v[30:31], -v[32:33], v[34:35], v[30:31]
.LBB40_96:                              ;   in Loop: Header=BB40_3 Depth=1
	s_or_b32 exec_lo, exec_lo, s7
	s_barrier_signal -1
	s_barrier_wait -1
	s_and_saveexec_b32 s7, s36
	s_cbranch_execz .LBB40_98
; %bb.97:                               ;   in Loop: Header=BB40_3 Depth=1
	ds_load_b64 v[32:33], v5 offset:31200
	s_wait_dscnt 0x0
	v_mul_f64_e32 v[30:31], v[30:31], v[32:33]
	s_delay_alu instid0(VALU_DEP_1) | instskip(NEXT) | instid1(VALU_DEP_2)
	v_xor_b32_e32 v33, 0x80000000, v31
	v_mov_b32_e32 v32, v30
	ds_store_b64 v3, v[32:33]
.LBB40_98:                              ;   in Loop: Header=BB40_3 Depth=1
	s_or_b32 exec_lo, exec_lo, s7
	s_wait_dscnt 0x0
	s_barrier_signal -1
	s_barrier_wait -1
	s_barrier_signal -1
	s_barrier_wait -1
	s_and_saveexec_b32 s7, s1
; %bb.99:                               ;   in Loop: Header=BB40_3 Depth=1
	ds_store_b64 v44, v[30:31] offset:32736
; %bb.100:                              ;   in Loop: Header=BB40_3 Depth=1
	s_or_b32 exec_lo, exec_lo, s7
	s_wait_dscnt 0x0
	s_barrier_signal -1
	s_barrier_wait -1
	s_barrier_signal -1
	s_barrier_wait -1
	s_and_saveexec_b32 s7, s14
	s_cbranch_execz .LBB40_102
; %bb.101:                              ;   in Loop: Header=BB40_3 Depth=1
	ds_load_b128 v[30:33], v5 offset:31712
	ds_load_b64 v[34:35], v5 offset:31200
	s_wait_dscnt 0x0
	v_mul_f64_e32 v[32:33], v[34:35], v[32:33]
	s_delay_alu instid0(VALU_DEP_1)
	v_mul_f64_e32 v[30:31], v[30:31], v[32:33]
	ds_store_b64 v5, v[30:31] offset:31712
.LBB40_102:                             ;   in Loop: Header=BB40_3 Depth=1
	s_or_b32 exec_lo, exec_lo, s7
	v_mov_b64_e32 v[30:31], 0
	s_wait_dscnt 0x0
	s_barrier_signal -1
	s_barrier_wait -1
	global_wb scope:SCOPE_DEV
	s_wait_storecnt 0x0
	global_inv scope:SCOPE_DEV
	s_and_saveexec_b32 s7, s2
	s_cbranch_execz .LBB40_108
; %bb.103:                              ;   in Loop: Header=BB40_3 Depth=1
	ds_load_b64 v[30:31], v47 offset:31168
	ds_load_b64 v[32:33], v46 offset:32736
	s_wait_dscnt 0x0
	v_fma_f64 v[30:31], v[30:31], v[32:33], 0
	s_and_saveexec_b32 s8, s16
	s_cbranch_execnz .LBB40_1037
; %bb.104:                              ;   in Loop: Header=BB40_3 Depth=1
	s_or_b32 exec_lo, exec_lo, s8
	s_and_saveexec_b32 s8, s17
	s_cbranch_execnz .LBB40_1038
.LBB40_105:                             ;   in Loop: Header=BB40_3 Depth=1
	s_or_b32 exec_lo, exec_lo, s8
	s_and_saveexec_b32 s8, s1
	s_cbranch_execz .LBB40_107
.LBB40_106:                             ;   in Loop: Header=BB40_3 Depth=1
	ds_load_b64 v[32:33], v43 offset:32704
	ds_load_b64 v[34:35], v5 offset:32760
	s_wait_dscnt 0x0
	v_fmac_f64_e32 v[30:31], v[32:33], v[34:35]
.LBB40_107:                             ;   in Loop: Header=BB40_3 Depth=1
	s_or_b32 exec_lo, exec_lo, s8
.LBB40_108:                             ;   in Loop: Header=BB40_3 Depth=1
	s_delay_alu instid0(SALU_CYCLE_1)
	s_or_b32 exec_lo, exec_lo, s7
	s_and_saveexec_b32 s7, s37
	s_cbranch_execz .LBB40_110
; %bb.109:                              ;   in Loop: Header=BB40_3 Depth=1
	ds_load_b64 v[32:33], v5 offset:30680
	s_wait_dscnt 0x0
	v_mul_f64_e32 v[30:31], v[30:31], v[32:33]
	s_delay_alu instid0(VALU_DEP_1) | instskip(NEXT) | instid1(VALU_DEP_2)
	v_xor_b32_e32 v33, 0x80000000, v31
	v_mov_b32_e32 v32, v30
	ds_store_b64 v45, v[32:33]
.LBB40_110:                             ;   in Loop: Header=BB40_3 Depth=1
	s_or_b32 exec_lo, exec_lo, s7
	s_wait_loadcnt_dscnt 0x0
	s_barrier_signal -1
	s_barrier_wait -1
	s_and_saveexec_b32 s7, s38
	s_cbranch_execz .LBB40_112
; %bb.111:                              ;   in Loop: Header=BB40_3 Depth=1
	ds_load_b64 v[32:33], v47 offset:30656
	ds_load_b64 v[34:35], v45
	s_wait_dscnt 0x0
	v_fma_f64 v[30:31], -v[32:33], v[34:35], v[30:31]
.LBB40_112:                             ;   in Loop: Header=BB40_3 Depth=1
	s_or_b32 exec_lo, exec_lo, s7
	s_barrier_signal -1
	s_barrier_wait -1
	s_and_saveexec_b32 s7, s39
	s_cbranch_execz .LBB40_114
; %bb.113:                              ;   in Loop: Header=BB40_3 Depth=1
	ds_load_b64 v[32:33], v5 offset:30160
	s_wait_dscnt 0x0
	v_mul_f64_e32 v[30:31], v[30:31], v[32:33]
	s_delay_alu instid0(VALU_DEP_1) | instskip(NEXT) | instid1(VALU_DEP_2)
	v_xor_b32_e32 v33, 0x80000000, v31
	v_mov_b32_e32 v32, v30
	ds_store_b64 v45, v[32:33]
.LBB40_114:                             ;   in Loop: Header=BB40_3 Depth=1
	s_or_b32 exec_lo, exec_lo, s7
	s_wait_dscnt 0x0
	s_barrier_signal -1
	s_barrier_wait -1
	s_and_saveexec_b32 s7, s40
	s_cbranch_execz .LBB40_116
; %bb.115:                              ;   in Loop: Header=BB40_3 Depth=1
	ds_load_b64 v[32:33], v47 offset:30144
	ds_load_b64 v[34:35], v45
	s_wait_dscnt 0x0
	v_fma_f64 v[30:31], -v[32:33], v[34:35], v[30:31]
.LBB40_116:                             ;   in Loop: Header=BB40_3 Depth=1
	s_or_b32 exec_lo, exec_lo, s7
	s_barrier_signal -1
	s_barrier_wait -1
	s_and_saveexec_b32 s7, s41
	s_cbranch_execz .LBB40_118
; %bb.117:                              ;   in Loop: Header=BB40_3 Depth=1
	ds_load_b64 v[32:33], v5 offset:29640
	s_wait_dscnt 0x0
	v_mul_f64_e32 v[30:31], v[30:31], v[32:33]
	s_delay_alu instid0(VALU_DEP_1) | instskip(NEXT) | instid1(VALU_DEP_2)
	v_xor_b32_e32 v33, 0x80000000, v31
	v_mov_b32_e32 v32, v30
	ds_store_b64 v45, v[32:33]
.LBB40_118:                             ;   in Loop: Header=BB40_3 Depth=1
	s_or_b32 exec_lo, exec_lo, s7
	s_wait_dscnt 0x0
	;; [unrolled: 26-line block ×3, first 2 shown]
	s_barrier_signal -1
	s_barrier_wait -1
	s_barrier_signal -1
	s_barrier_wait -1
	s_and_saveexec_b32 s7, s2
; %bb.123:                              ;   in Loop: Header=BB40_3 Depth=1
	ds_store_b64 v48, v[30:31] offset:32704
; %bb.124:                              ;   in Loop: Header=BB40_3 Depth=1
	s_or_b32 exec_lo, exec_lo, s7
	s_wait_dscnt 0x0
	s_barrier_signal -1
	s_barrier_wait -1
	s_barrier_signal -1
	s_barrier_wait -1
	s_and_saveexec_b32 s7, s14
	s_cbranch_execz .LBB40_126
; %bb.125:                              ;   in Loop: Header=BB40_3 Depth=1
	ds_load_b128 v[30:33], v5 offset:30672
	ds_load_b64 v[34:35], v5 offset:30160
	s_wait_dscnt 0x0
	v_mul_f64_e32 v[32:33], v[34:35], v[32:33]
	s_delay_alu instid0(VALU_DEP_1)
	v_mul_f64_e32 v[30:31], v[30:31], v[32:33]
	ds_store_b64 v5, v[30:31] offset:30672
.LBB40_126:                             ;   in Loop: Header=BB40_3 Depth=1
	s_or_b32 exec_lo, exec_lo, s7
	v_mov_b64_e32 v[30:31], 0
	s_wait_dscnt 0x0
	s_barrier_signal -1
	s_barrier_wait -1
	global_wb scope:SCOPE_DEV
	s_wait_storecnt 0x0
	global_inv scope:SCOPE_DEV
	s_and_saveexec_b32 s7, s1
	s_cbranch_execz .LBB40_130
; %bb.127:                              ;   in Loop: Header=BB40_3 Depth=1
	ds_load_b64 v[30:31], v42 offset:30144
	ds_load_b64 v[32:33], v41 offset:30672
	s_wait_dscnt 0x0
	v_fma_f64 v[30:31], v[30:31], v[32:33], 0
	s_and_saveexec_b32 s8, s15
	s_cbranch_execz .LBB40_129
; %bb.128:                              ;   in Loop: Header=BB40_3 Depth=1
	ds_load_b64 v[32:33], v43 offset:30656
	ds_load_b64 v[34:35], v5 offset:30680
	s_wait_dscnt 0x0
	v_fmac_f64_e32 v[30:31], v[32:33], v[34:35]
.LBB40_129:                             ;   in Loop: Header=BB40_3 Depth=1
	s_or_b32 exec_lo, exec_lo, s8
.LBB40_130:                             ;   in Loop: Header=BB40_3 Depth=1
	s_delay_alu instid0(SALU_CYCLE_1)
	s_or_b32 exec_lo, exec_lo, s7
	s_and_saveexec_b32 s7, vcc_hi
	s_cbranch_execz .LBB40_132
; %bb.131:                              ;   in Loop: Header=BB40_3 Depth=1
	ds_load_b64 v[32:33], v5 offset:29640
	s_wait_dscnt 0x0
	v_mul_f64_e32 v[30:31], v[30:31], v[32:33]
	s_delay_alu instid0(VALU_DEP_1) | instskip(NEXT) | instid1(VALU_DEP_2)
	v_xor_b32_e32 v33, 0x80000000, v31
	v_mov_b32_e32 v32, v30
	ds_store_b64 v3, v[32:33]
.LBB40_132:                             ;   in Loop: Header=BB40_3 Depth=1
	s_or_b32 exec_lo, exec_lo, s7
	s_wait_loadcnt_dscnt 0x0
	s_barrier_signal -1
	s_barrier_wait -1
	s_and_saveexec_b32 s7, s36
	s_cbranch_execz .LBB40_134
; %bb.133:                              ;   in Loop: Header=BB40_3 Depth=1
	ds_load_b64 v[32:33], v5 offset:29632
	ds_load_b64 v[34:35], v3
	s_wait_dscnt 0x0
	v_fma_f64 v[30:31], -v[32:33], v[34:35], v[30:31]
.LBB40_134:                             ;   in Loop: Header=BB40_3 Depth=1
	s_or_b32 exec_lo, exec_lo, s7
	s_barrier_signal -1
	s_barrier_wait -1
	s_and_saveexec_b32 s7, s36
	s_cbranch_execz .LBB40_136
; %bb.135:                              ;   in Loop: Header=BB40_3 Depth=1
	ds_load_b64 v[32:33], v5 offset:29120
	s_wait_dscnt 0x0
	v_mul_f64_e32 v[30:31], v[30:31], v[32:33]
	s_delay_alu instid0(VALU_DEP_1) | instskip(NEXT) | instid1(VALU_DEP_2)
	v_xor_b32_e32 v33, 0x80000000, v31
	v_mov_b32_e32 v32, v30
	ds_store_b64 v3, v[32:33]
.LBB40_136:                             ;   in Loop: Header=BB40_3 Depth=1
	s_or_b32 exec_lo, exec_lo, s7
	s_wait_dscnt 0x0
	s_barrier_signal -1
	s_barrier_wait -1
	s_barrier_signal -1
	s_barrier_wait -1
	s_and_saveexec_b32 s7, s1
; %bb.137:                              ;   in Loop: Header=BB40_3 Depth=1
	ds_store_b64 v44, v[30:31] offset:30656
; %bb.138:                              ;   in Loop: Header=BB40_3 Depth=1
	s_or_b32 exec_lo, exec_lo, s7
	s_wait_dscnt 0x0
	s_barrier_signal -1
	s_barrier_wait -1
	s_barrier_signal -1
	s_barrier_wait -1
	s_and_saveexec_b32 s7, s14
	s_cbranch_execz .LBB40_140
; %bb.139:                              ;   in Loop: Header=BB40_3 Depth=1
	ds_load_b128 v[30:33], v5 offset:29632
	ds_load_b64 v[34:35], v5 offset:29120
	s_wait_dscnt 0x0
	v_mul_f64_e32 v[32:33], v[34:35], v[32:33]
	s_delay_alu instid0(VALU_DEP_1)
	v_mul_f64_e32 v[30:31], v[30:31], v[32:33]
	ds_store_b64 v5, v[30:31] offset:29632
.LBB40_140:                             ;   in Loop: Header=BB40_3 Depth=1
	s_or_b32 exec_lo, exec_lo, s7
	v_mov_b64_e32 v[30:31], 0
	s_wait_dscnt 0x0
	s_barrier_signal -1
	s_barrier_wait -1
	global_wb scope:SCOPE_DEV
	s_wait_storecnt 0x0
	global_inv scope:SCOPE_DEV
	s_and_saveexec_b32 s7, s3
	s_cbranch_execz .LBB40_150
; %bb.141:                              ;   in Loop: Header=BB40_3 Depth=1
	ds_load_b64 v[30:31], v51 offset:29056
	ds_load_b64 v[32:33], v50 offset:32704
	s_wait_dscnt 0x0
	v_fma_f64 v[30:31], v[30:31], v[32:33], 0
	s_and_saveexec_b32 s8, s18
	s_cbranch_execnz .LBB40_1039
; %bb.142:                              ;   in Loop: Header=BB40_3 Depth=1
	s_or_b32 exec_lo, exec_lo, s8
	s_and_saveexec_b32 s8, s19
	s_cbranch_execnz .LBB40_1040
.LBB40_143:                             ;   in Loop: Header=BB40_3 Depth=1
	s_or_b32 exec_lo, exec_lo, s8
	s_and_saveexec_b32 s8, s20
	s_cbranch_execnz .LBB40_1041
.LBB40_144:                             ;   in Loop: Header=BB40_3 Depth=1
	s_or_b32 exec_lo, exec_lo, s8
	s_and_saveexec_b32 s8, s21
	s_cbranch_execnz .LBB40_1042
.LBB40_145:                             ;   in Loop: Header=BB40_3 Depth=1
	s_or_b32 exec_lo, exec_lo, s8
	s_and_saveexec_b32 s8, s22
	s_cbranch_execnz .LBB40_1043
.LBB40_146:                             ;   in Loop: Header=BB40_3 Depth=1
	s_or_b32 exec_lo, exec_lo, s8
	s_and_saveexec_b32 s8, s2
	s_cbranch_execnz .LBB40_1044
.LBB40_147:                             ;   in Loop: Header=BB40_3 Depth=1
	s_or_b32 exec_lo, exec_lo, s8
	s_and_saveexec_b32 s8, s17
	s_cbranch_execz .LBB40_149
.LBB40_148:                             ;   in Loop: Header=BB40_3 Depth=1
	ds_load_b64 v[32:33], v43 offset:32640
	ds_load_b64 v[34:35], v5 offset:32760
	s_wait_dscnt 0x0
	v_fmac_f64_e32 v[30:31], v[32:33], v[34:35]
.LBB40_149:                             ;   in Loop: Header=BB40_3 Depth=1
	s_or_b32 exec_lo, exec_lo, s8
.LBB40_150:                             ;   in Loop: Header=BB40_3 Depth=1
	s_delay_alu instid0(SALU_CYCLE_1)
	s_or_b32 exec_lo, exec_lo, s7
	s_and_saveexec_b32 s7, s43
	s_cbranch_execz .LBB40_152
; %bb.151:                              ;   in Loop: Header=BB40_3 Depth=1
	ds_load_b64 v[32:33], v5 offset:28600
	s_wait_dscnt 0x0
	v_mul_f64_e32 v[30:31], v[30:31], v[32:33]
	s_delay_alu instid0(VALU_DEP_1) | instskip(NEXT) | instid1(VALU_DEP_2)
	v_xor_b32_e32 v33, 0x80000000, v31
	v_mov_b32_e32 v32, v30
	ds_store_b64 v49, v[32:33]
.LBB40_152:                             ;   in Loop: Header=BB40_3 Depth=1
	s_or_b32 exec_lo, exec_lo, s7
	s_wait_loadcnt_dscnt 0x0
	s_barrier_signal -1
	s_barrier_wait -1
	s_and_saveexec_b32 s7, s44
	s_cbranch_execz .LBB40_154
; %bb.153:                              ;   in Loop: Header=BB40_3 Depth=1
	ds_load_b64 v[32:33], v51 offset:28544
	ds_load_b64 v[34:35], v49
	s_wait_dscnt 0x0
	v_fma_f64 v[30:31], -v[32:33], v[34:35], v[30:31]
.LBB40_154:                             ;   in Loop: Header=BB40_3 Depth=1
	s_or_b32 exec_lo, exec_lo, s7
	s_barrier_signal -1
	s_barrier_wait -1
	s_and_saveexec_b32 s7, s45
	s_cbranch_execz .LBB40_156
; %bb.155:                              ;   in Loop: Header=BB40_3 Depth=1
	ds_load_b64 v[32:33], v5 offset:28080
	s_wait_dscnt 0x0
	v_mul_f64_e32 v[30:31], v[30:31], v[32:33]
	s_delay_alu instid0(VALU_DEP_1) | instskip(NEXT) | instid1(VALU_DEP_2)
	v_xor_b32_e32 v33, 0x80000000, v31
	v_mov_b32_e32 v32, v30
	ds_store_b64 v49, v[32:33]
.LBB40_156:                             ;   in Loop: Header=BB40_3 Depth=1
	s_or_b32 exec_lo, exec_lo, s7
	s_wait_dscnt 0x0
	s_barrier_signal -1
	s_barrier_wait -1
	s_and_saveexec_b32 s7, s46
	s_cbranch_execz .LBB40_158
; %bb.157:                              ;   in Loop: Header=BB40_3 Depth=1
	ds_load_b64 v[32:33], v51 offset:28032
	ds_load_b64 v[34:35], v49
	s_wait_dscnt 0x0
	v_fma_f64 v[30:31], -v[32:33], v[34:35], v[30:31]
.LBB40_158:                             ;   in Loop: Header=BB40_3 Depth=1
	s_or_b32 exec_lo, exec_lo, s7
	s_barrier_signal -1
	s_barrier_wait -1
	s_and_saveexec_b32 s7, s47
	s_cbranch_execz .LBB40_160
; %bb.159:                              ;   in Loop: Header=BB40_3 Depth=1
	ds_load_b64 v[32:33], v5 offset:27560
	s_wait_dscnt 0x0
	v_mul_f64_e32 v[30:31], v[30:31], v[32:33]
	s_delay_alu instid0(VALU_DEP_1) | instskip(NEXT) | instid1(VALU_DEP_2)
	v_xor_b32_e32 v33, 0x80000000, v31
	v_mov_b32_e32 v32, v30
	ds_store_b64 v49, v[32:33]
.LBB40_160:                             ;   in Loop: Header=BB40_3 Depth=1
	s_or_b32 exec_lo, exec_lo, s7
	s_wait_dscnt 0x0
	;; [unrolled: 26-line block ×7, first 2 shown]
	s_barrier_signal -1
	s_barrier_wait -1
	s_barrier_signal -1
	s_barrier_wait -1
	s_and_saveexec_b32 s7, s3
; %bb.181:                              ;   in Loop: Header=BB40_3 Depth=1
	ds_store_b64 v52, v[30:31] offset:32640
; %bb.182:                              ;   in Loop: Header=BB40_3 Depth=1
	s_or_b32 exec_lo, exec_lo, s7
	s_wait_dscnt 0x0
	s_barrier_signal -1
	s_barrier_wait -1
	s_barrier_signal -1
	s_barrier_wait -1
	s_and_saveexec_b32 s7, s14
	s_cbranch_execz .LBB40_184
; %bb.183:                              ;   in Loop: Header=BB40_3 Depth=1
	ds_load_b128 v[30:33], v5 offset:28592
	ds_load_b64 v[34:35], v5 offset:28080
	s_wait_dscnt 0x0
	v_mul_f64_e32 v[32:33], v[34:35], v[32:33]
	s_delay_alu instid0(VALU_DEP_1)
	v_mul_f64_e32 v[30:31], v[30:31], v[32:33]
	ds_store_b64 v5, v[30:31] offset:28592
.LBB40_184:                             ;   in Loop: Header=BB40_3 Depth=1
	s_or_b32 exec_lo, exec_lo, s7
	v_mov_b64_e32 v[30:31], 0
	s_wait_dscnt 0x0
	s_barrier_signal -1
	s_barrier_wait -1
	global_wb scope:SCOPE_DEV
	s_wait_storecnt 0x0
	global_inv scope:SCOPE_DEV
	s_and_saveexec_b32 s7, s1
	s_cbranch_execz .LBB40_188
; %bb.185:                              ;   in Loop: Header=BB40_3 Depth=1
	ds_load_b64 v[30:31], v42 offset:28064
	ds_load_b64 v[32:33], v41 offset:28592
	s_wait_dscnt 0x0
	v_fma_f64 v[30:31], v[30:31], v[32:33], 0
	s_and_saveexec_b32 s8, s15
	s_cbranch_execz .LBB40_187
; %bb.186:                              ;   in Loop: Header=BB40_3 Depth=1
	ds_load_b64 v[32:33], v43 offset:28576
	ds_load_b64 v[34:35], v5 offset:28600
	s_wait_dscnt 0x0
	v_fmac_f64_e32 v[30:31], v[32:33], v[34:35]
.LBB40_187:                             ;   in Loop: Header=BB40_3 Depth=1
	s_or_b32 exec_lo, exec_lo, s8
.LBB40_188:                             ;   in Loop: Header=BB40_3 Depth=1
	s_delay_alu instid0(SALU_CYCLE_1)
	s_or_b32 exec_lo, exec_lo, s7
	s_and_saveexec_b32 s7, vcc_hi
	s_cbranch_execz .LBB40_190
; %bb.189:                              ;   in Loop: Header=BB40_3 Depth=1
	ds_load_b64 v[32:33], v5 offset:27560
	s_wait_dscnt 0x0
	v_mul_f64_e32 v[30:31], v[30:31], v[32:33]
	s_delay_alu instid0(VALU_DEP_1) | instskip(NEXT) | instid1(VALU_DEP_2)
	v_xor_b32_e32 v33, 0x80000000, v31
	v_mov_b32_e32 v32, v30
	ds_store_b64 v3, v[32:33]
.LBB40_190:                             ;   in Loop: Header=BB40_3 Depth=1
	s_or_b32 exec_lo, exec_lo, s7
	s_wait_loadcnt_dscnt 0x0
	s_barrier_signal -1
	s_barrier_wait -1
	s_and_saveexec_b32 s7, s36
	s_cbranch_execz .LBB40_192
; %bb.191:                              ;   in Loop: Header=BB40_3 Depth=1
	ds_load_b64 v[32:33], v5 offset:27552
	ds_load_b64 v[34:35], v3
	s_wait_dscnt 0x0
	v_fma_f64 v[30:31], -v[32:33], v[34:35], v[30:31]
.LBB40_192:                             ;   in Loop: Header=BB40_3 Depth=1
	s_or_b32 exec_lo, exec_lo, s7
	s_barrier_signal -1
	s_barrier_wait -1
	s_and_saveexec_b32 s7, s36
	s_cbranch_execz .LBB40_194
; %bb.193:                              ;   in Loop: Header=BB40_3 Depth=1
	ds_load_b64 v[32:33], v5 offset:27040
	s_wait_dscnt 0x0
	v_mul_f64_e32 v[30:31], v[30:31], v[32:33]
	s_delay_alu instid0(VALU_DEP_1) | instskip(NEXT) | instid1(VALU_DEP_2)
	v_xor_b32_e32 v33, 0x80000000, v31
	v_mov_b32_e32 v32, v30
	ds_store_b64 v3, v[32:33]
.LBB40_194:                             ;   in Loop: Header=BB40_3 Depth=1
	s_or_b32 exec_lo, exec_lo, s7
	s_wait_dscnt 0x0
	s_barrier_signal -1
	s_barrier_wait -1
	s_barrier_signal -1
	s_barrier_wait -1
	s_and_saveexec_b32 s7, s1
; %bb.195:                              ;   in Loop: Header=BB40_3 Depth=1
	ds_store_b64 v44, v[30:31] offset:28576
; %bb.196:                              ;   in Loop: Header=BB40_3 Depth=1
	s_or_b32 exec_lo, exec_lo, s7
	s_wait_dscnt 0x0
	s_barrier_signal -1
	s_barrier_wait -1
	s_barrier_signal -1
	s_barrier_wait -1
	s_and_saveexec_b32 s7, s14
	s_cbranch_execz .LBB40_198
; %bb.197:                              ;   in Loop: Header=BB40_3 Depth=1
	ds_load_b128 v[30:33], v5 offset:27552
	ds_load_b64 v[34:35], v5 offset:27040
	s_wait_dscnt 0x0
	v_mul_f64_e32 v[32:33], v[34:35], v[32:33]
	s_delay_alu instid0(VALU_DEP_1)
	v_mul_f64_e32 v[30:31], v[30:31], v[32:33]
	ds_store_b64 v5, v[30:31] offset:27552
.LBB40_198:                             ;   in Loop: Header=BB40_3 Depth=1
	s_or_b32 exec_lo, exec_lo, s7
	v_mov_b64_e32 v[30:31], 0
	s_wait_dscnt 0x0
	s_barrier_signal -1
	s_barrier_wait -1
	global_wb scope:SCOPE_DEV
	s_wait_storecnt 0x0
	global_inv scope:SCOPE_DEV
	s_and_saveexec_b32 s7, s2
	s_cbranch_execz .LBB40_204
; %bb.199:                              ;   in Loop: Header=BB40_3 Depth=1
	ds_load_b64 v[30:31], v47 offset:27008
	ds_load_b64 v[32:33], v46 offset:28576
	s_wait_dscnt 0x0
	v_fma_f64 v[30:31], v[30:31], v[32:33], 0
	s_and_saveexec_b32 s8, s16
	s_cbranch_execnz .LBB40_1045
; %bb.200:                              ;   in Loop: Header=BB40_3 Depth=1
	s_or_b32 exec_lo, exec_lo, s8
	s_and_saveexec_b32 s8, s17
	s_cbranch_execnz .LBB40_1046
.LBB40_201:                             ;   in Loop: Header=BB40_3 Depth=1
	s_or_b32 exec_lo, exec_lo, s8
	s_and_saveexec_b32 s8, s1
	s_cbranch_execz .LBB40_203
.LBB40_202:                             ;   in Loop: Header=BB40_3 Depth=1
	ds_load_b64 v[32:33], v43 offset:28544
	ds_load_b64 v[34:35], v5 offset:28600
	s_wait_dscnt 0x0
	v_fmac_f64_e32 v[30:31], v[32:33], v[34:35]
.LBB40_203:                             ;   in Loop: Header=BB40_3 Depth=1
	s_or_b32 exec_lo, exec_lo, s8
.LBB40_204:                             ;   in Loop: Header=BB40_3 Depth=1
	s_delay_alu instid0(SALU_CYCLE_1)
	s_or_b32 exec_lo, exec_lo, s7
	s_and_saveexec_b32 s7, s37
	s_cbranch_execz .LBB40_206
; %bb.205:                              ;   in Loop: Header=BB40_3 Depth=1
	ds_load_b64 v[32:33], v5 offset:26520
	s_wait_dscnt 0x0
	v_mul_f64_e32 v[30:31], v[30:31], v[32:33]
	s_delay_alu instid0(VALU_DEP_1) | instskip(NEXT) | instid1(VALU_DEP_2)
	v_xor_b32_e32 v33, 0x80000000, v31
	v_mov_b32_e32 v32, v30
	ds_store_b64 v45, v[32:33]
.LBB40_206:                             ;   in Loop: Header=BB40_3 Depth=1
	s_or_b32 exec_lo, exec_lo, s7
	s_wait_loadcnt_dscnt 0x0
	s_barrier_signal -1
	s_barrier_wait -1
	s_and_saveexec_b32 s7, s38
	s_cbranch_execz .LBB40_208
; %bb.207:                              ;   in Loop: Header=BB40_3 Depth=1
	ds_load_b64 v[32:33], v47 offset:26496
	ds_load_b64 v[34:35], v45
	s_wait_dscnt 0x0
	v_fma_f64 v[30:31], -v[32:33], v[34:35], v[30:31]
.LBB40_208:                             ;   in Loop: Header=BB40_3 Depth=1
	s_or_b32 exec_lo, exec_lo, s7
	s_barrier_signal -1
	s_barrier_wait -1
	s_and_saveexec_b32 s7, s39
	s_cbranch_execz .LBB40_210
; %bb.209:                              ;   in Loop: Header=BB40_3 Depth=1
	ds_load_b64 v[32:33], v5 offset:26000
	s_wait_dscnt 0x0
	v_mul_f64_e32 v[30:31], v[30:31], v[32:33]
	s_delay_alu instid0(VALU_DEP_1) | instskip(NEXT) | instid1(VALU_DEP_2)
	v_xor_b32_e32 v33, 0x80000000, v31
	v_mov_b32_e32 v32, v30
	ds_store_b64 v45, v[32:33]
.LBB40_210:                             ;   in Loop: Header=BB40_3 Depth=1
	s_or_b32 exec_lo, exec_lo, s7
	s_wait_dscnt 0x0
	s_barrier_signal -1
	s_barrier_wait -1
	s_and_saveexec_b32 s7, s40
	s_cbranch_execz .LBB40_212
; %bb.211:                              ;   in Loop: Header=BB40_3 Depth=1
	ds_load_b64 v[32:33], v47 offset:25984
	ds_load_b64 v[34:35], v45
	s_wait_dscnt 0x0
	v_fma_f64 v[30:31], -v[32:33], v[34:35], v[30:31]
.LBB40_212:                             ;   in Loop: Header=BB40_3 Depth=1
	s_or_b32 exec_lo, exec_lo, s7
	s_barrier_signal -1
	s_barrier_wait -1
	s_and_saveexec_b32 s7, s41
	s_cbranch_execz .LBB40_214
; %bb.213:                              ;   in Loop: Header=BB40_3 Depth=1
	ds_load_b64 v[32:33], v5 offset:25480
	s_wait_dscnt 0x0
	v_mul_f64_e32 v[30:31], v[30:31], v[32:33]
	s_delay_alu instid0(VALU_DEP_1) | instskip(NEXT) | instid1(VALU_DEP_2)
	v_xor_b32_e32 v33, 0x80000000, v31
	v_mov_b32_e32 v32, v30
	ds_store_b64 v45, v[32:33]
.LBB40_214:                             ;   in Loop: Header=BB40_3 Depth=1
	s_or_b32 exec_lo, exec_lo, s7
	s_wait_dscnt 0x0
	;; [unrolled: 26-line block ×3, first 2 shown]
	s_barrier_signal -1
	s_barrier_wait -1
	s_barrier_signal -1
	s_barrier_wait -1
	s_and_saveexec_b32 s7, s2
; %bb.219:                              ;   in Loop: Header=BB40_3 Depth=1
	ds_store_b64 v48, v[30:31] offset:28544
; %bb.220:                              ;   in Loop: Header=BB40_3 Depth=1
	s_or_b32 exec_lo, exec_lo, s7
	s_wait_dscnt 0x0
	s_barrier_signal -1
	s_barrier_wait -1
	s_barrier_signal -1
	s_barrier_wait -1
	s_and_saveexec_b32 s7, s14
	s_cbranch_execz .LBB40_222
; %bb.221:                              ;   in Loop: Header=BB40_3 Depth=1
	ds_load_b128 v[30:33], v5 offset:26512
	ds_load_b64 v[34:35], v5 offset:26000
	s_wait_dscnt 0x0
	v_mul_f64_e32 v[32:33], v[34:35], v[32:33]
	s_delay_alu instid0(VALU_DEP_1)
	v_mul_f64_e32 v[30:31], v[30:31], v[32:33]
	ds_store_b64 v5, v[30:31] offset:26512
.LBB40_222:                             ;   in Loop: Header=BB40_3 Depth=1
	s_or_b32 exec_lo, exec_lo, s7
	v_mov_b64_e32 v[30:31], 0
	s_wait_dscnt 0x0
	s_barrier_signal -1
	s_barrier_wait -1
	global_wb scope:SCOPE_DEV
	s_wait_storecnt 0x0
	global_inv scope:SCOPE_DEV
	s_and_saveexec_b32 s7, s1
	s_cbranch_execz .LBB40_226
; %bb.223:                              ;   in Loop: Header=BB40_3 Depth=1
	ds_load_b64 v[30:31], v42 offset:25984
	ds_load_b64 v[32:33], v41 offset:26512
	s_wait_dscnt 0x0
	v_fma_f64 v[30:31], v[30:31], v[32:33], 0
	s_and_saveexec_b32 s8, s15
	s_cbranch_execz .LBB40_225
; %bb.224:                              ;   in Loop: Header=BB40_3 Depth=1
	ds_load_b64 v[32:33], v43 offset:26496
	ds_load_b64 v[34:35], v5 offset:26520
	s_wait_dscnt 0x0
	v_fmac_f64_e32 v[30:31], v[32:33], v[34:35]
.LBB40_225:                             ;   in Loop: Header=BB40_3 Depth=1
	s_or_b32 exec_lo, exec_lo, s8
.LBB40_226:                             ;   in Loop: Header=BB40_3 Depth=1
	s_delay_alu instid0(SALU_CYCLE_1)
	s_or_b32 exec_lo, exec_lo, s7
	s_and_saveexec_b32 s7, vcc_hi
	s_cbranch_execz .LBB40_228
; %bb.227:                              ;   in Loop: Header=BB40_3 Depth=1
	ds_load_b64 v[32:33], v5 offset:25480
	s_wait_dscnt 0x0
	v_mul_f64_e32 v[30:31], v[30:31], v[32:33]
	s_delay_alu instid0(VALU_DEP_1) | instskip(NEXT) | instid1(VALU_DEP_2)
	v_xor_b32_e32 v33, 0x80000000, v31
	v_mov_b32_e32 v32, v30
	ds_store_b64 v3, v[32:33]
.LBB40_228:                             ;   in Loop: Header=BB40_3 Depth=1
	s_or_b32 exec_lo, exec_lo, s7
	s_wait_loadcnt_dscnt 0x0
	s_barrier_signal -1
	s_barrier_wait -1
	s_and_saveexec_b32 s7, s36
	s_cbranch_execz .LBB40_230
; %bb.229:                              ;   in Loop: Header=BB40_3 Depth=1
	ds_load_b64 v[32:33], v5 offset:25472
	ds_load_b64 v[34:35], v3
	s_wait_dscnt 0x0
	v_fma_f64 v[30:31], -v[32:33], v[34:35], v[30:31]
.LBB40_230:                             ;   in Loop: Header=BB40_3 Depth=1
	s_or_b32 exec_lo, exec_lo, s7
	s_barrier_signal -1
	s_barrier_wait -1
	s_and_saveexec_b32 s7, s36
	s_cbranch_execz .LBB40_232
; %bb.231:                              ;   in Loop: Header=BB40_3 Depth=1
	ds_load_b64 v[32:33], v5 offset:24960
	s_wait_dscnt 0x0
	v_mul_f64_e32 v[30:31], v[30:31], v[32:33]
	s_delay_alu instid0(VALU_DEP_1) | instskip(NEXT) | instid1(VALU_DEP_2)
	v_xor_b32_e32 v33, 0x80000000, v31
	v_mov_b32_e32 v32, v30
	ds_store_b64 v3, v[32:33]
.LBB40_232:                             ;   in Loop: Header=BB40_3 Depth=1
	s_or_b32 exec_lo, exec_lo, s7
	s_wait_dscnt 0x0
	s_barrier_signal -1
	s_barrier_wait -1
	s_barrier_signal -1
	s_barrier_wait -1
	s_and_saveexec_b32 s7, s1
; %bb.233:                              ;   in Loop: Header=BB40_3 Depth=1
	ds_store_b64 v44, v[30:31] offset:26496
; %bb.234:                              ;   in Loop: Header=BB40_3 Depth=1
	s_or_b32 exec_lo, exec_lo, s7
	s_wait_dscnt 0x0
	s_barrier_signal -1
	s_barrier_wait -1
	s_barrier_signal -1
	s_barrier_wait -1
	s_and_saveexec_b32 s7, s14
	s_cbranch_execz .LBB40_236
; %bb.235:                              ;   in Loop: Header=BB40_3 Depth=1
	ds_load_b128 v[30:33], v5 offset:25472
	ds_load_b64 v[34:35], v5 offset:24960
	s_wait_dscnt 0x0
	v_mul_f64_e32 v[32:33], v[34:35], v[32:33]
	s_delay_alu instid0(VALU_DEP_1)
	v_mul_f64_e32 v[30:31], v[30:31], v[32:33]
	ds_store_b64 v5, v[30:31] offset:25472
.LBB40_236:                             ;   in Loop: Header=BB40_3 Depth=1
	s_or_b32 exec_lo, exec_lo, s7
	v_mov_b64_e32 v[30:31], 0
	s_wait_dscnt 0x0
	s_barrier_signal -1
	s_barrier_wait -1
	global_wb scope:SCOPE_DEV
	s_wait_storecnt 0x0
	global_inv scope:SCOPE_DEV
	s_and_saveexec_b32 s7, s4
	s_cbranch_execz .LBB40_264
; %bb.237:                              ;   in Loop: Header=BB40_3 Depth=1
	ds_load_b64 v[30:31], v55 offset:24832
	ds_load_b64 v[32:33], v54 offset:32640
	s_wait_dscnt 0x0
	v_fma_f64 v[30:31], v[30:31], v[32:33], 0
	s_mov_b32 s8, exec_lo
	v_readlane_b32 s66, v83, 0
	s_and_b32 s66, s8, s66
	s_delay_alu instid0(SALU_CYCLE_1)
	s_mov_b32 exec_lo, s66
	s_cbranch_execz .LBB40_239
; %bb.238:                              ;   in Loop: Header=BB40_3 Depth=1
	ds_load_b64 v[32:33], v55 offset:25344
	ds_load_b64 v[34:35], v54 offset:32648
	s_wait_dscnt 0x0
	v_fmac_f64_e32 v[30:31], v[32:33], v[34:35]
.LBB40_239:                             ;   in Loop: Header=BB40_3 Depth=1
	s_or_b32 exec_lo, exec_lo, s8
	s_delay_alu instid0(SALU_CYCLE_1) | instskip(SKIP_2) | instid1(SALU_CYCLE_1)
	s_mov_b32 s8, exec_lo
	v_readlane_b32 s66, v83, 1
	s_and_b32 s66, s8, s66
	s_mov_b32 exec_lo, s66
	s_cbranch_execz .LBB40_241
; %bb.240:                              ;   in Loop: Header=BB40_3 Depth=1
	ds_load_b64 v[32:33], v55 offset:25856
	ds_load_b64 v[34:35], v54 offset:32656
	s_wait_dscnt 0x0
	v_fmac_f64_e32 v[30:31], v[32:33], v[34:35]
.LBB40_241:                             ;   in Loop: Header=BB40_3 Depth=1
	s_or_b32 exec_lo, exec_lo, s8
	s_delay_alu instid0(SALU_CYCLE_1) | instskip(SKIP_2) | instid1(SALU_CYCLE_1)
	s_mov_b32 s8, exec_lo
	v_readlane_b32 s66, v83, 2
	s_and_b32 s66, s8, s66
	;; [unrolled: 13-line block ×10, first 2 shown]
	s_mov_b32 exec_lo, s66
	s_cbranch_execnz .LBB40_1047
; %bb.258:                              ;   in Loop: Header=BB40_3 Depth=1
	s_or_b32 exec_lo, exec_lo, s8
	s_and_saveexec_b32 s8, s3
	s_cbranch_execnz .LBB40_1048
.LBB40_259:                             ;   in Loop: Header=BB40_3 Depth=1
	s_or_b32 exec_lo, exec_lo, s8
	s_and_saveexec_b32 s8, s19
	s_cbranch_execnz .LBB40_1049
.LBB40_260:                             ;   in Loop: Header=BB40_3 Depth=1
	s_or_b32 exec_lo, exec_lo, s8
	s_and_saveexec_b32 s8, s21
	s_cbranch_execnz .LBB40_1050
.LBB40_261:                             ;   in Loop: Header=BB40_3 Depth=1
	s_or_b32 exec_lo, exec_lo, s8
	s_and_saveexec_b32 s8, s2
	s_cbranch_execz .LBB40_263
.LBB40_262:                             ;   in Loop: Header=BB40_3 Depth=1
	ds_load_b64 v[32:33], v43 offset:32512
	ds_load_b64 v[34:35], v5 offset:32760
	s_wait_dscnt 0x0
	v_fmac_f64_e32 v[30:31], v[32:33], v[34:35]
.LBB40_263:                             ;   in Loop: Header=BB40_3 Depth=1
	s_or_b32 exec_lo, exec_lo, s8
.LBB40_264:                             ;   in Loop: Header=BB40_3 Depth=1
	s_delay_alu instid0(SALU_CYCLE_1) | instskip(NEXT) | instid1(SALU_CYCLE_1)
	s_or_b32 exec_lo, exec_lo, s7
	s_mov_b32 s7, exec_lo
	v_readlane_b32 s8, v84, 5
	s_and_b32 s8, s7, s8
	s_delay_alu instid0(SALU_CYCLE_1)
	s_mov_b32 exec_lo, s8
	s_cbranch_execz .LBB40_266
; %bb.265:                              ;   in Loop: Header=BB40_3 Depth=1
	ds_load_b64 v[32:33], v5 offset:24440
	s_wait_dscnt 0x0
	v_mul_f64_e32 v[30:31], v[30:31], v[32:33]
	s_delay_alu instid0(VALU_DEP_1) | instskip(NEXT) | instid1(VALU_DEP_2)
	v_xor_b32_e32 v33, 0x80000000, v31
	v_mov_b32_e32 v32, v30
	ds_store_b64 v53, v[32:33]
.LBB40_266:                             ;   in Loop: Header=BB40_3 Depth=1
	s_or_b32 exec_lo, exec_lo, s7
	s_wait_loadcnt_dscnt 0x0
	s_barrier_signal -1
	s_barrier_wait -1
	s_mov_b32 s7, exec_lo
	v_readlane_b32 s8, v84, 6
	s_and_b32 s8, s7, s8
	s_delay_alu instid0(SALU_CYCLE_1)
	s_mov_b32 exec_lo, s8
	s_cbranch_execz .LBB40_268
; %bb.267:                              ;   in Loop: Header=BB40_3 Depth=1
	ds_load_b64 v[32:33], v55 offset:24320
	ds_load_b64 v[34:35], v53
	s_wait_dscnt 0x0
	v_fma_f64 v[30:31], -v[32:33], v[34:35], v[30:31]
.LBB40_268:                             ;   in Loop: Header=BB40_3 Depth=1
	s_or_b32 exec_lo, exec_lo, s7
	s_barrier_signal -1
	s_barrier_wait -1
	s_mov_b32 s7, exec_lo
	v_readlane_b32 s8, v84, 7
	s_and_b32 s8, s7, s8
	s_delay_alu instid0(SALU_CYCLE_1)
	s_mov_b32 exec_lo, s8
	s_cbranch_execz .LBB40_270
; %bb.269:                              ;   in Loop: Header=BB40_3 Depth=1
	ds_load_b64 v[32:33], v5 offset:23920
	s_wait_dscnt 0x0
	v_mul_f64_e32 v[30:31], v[30:31], v[32:33]
	s_delay_alu instid0(VALU_DEP_1) | instskip(NEXT) | instid1(VALU_DEP_2)
	v_xor_b32_e32 v33, 0x80000000, v31
	v_mov_b32_e32 v32, v30
	ds_store_b64 v53, v[32:33]
.LBB40_270:                             ;   in Loop: Header=BB40_3 Depth=1
	s_or_b32 exec_lo, exec_lo, s7
	s_wait_dscnt 0x0
	s_barrier_signal -1
	s_barrier_wait -1
	s_mov_b32 s7, exec_lo
	v_readlane_b32 s8, v84, 8
	s_and_b32 s8, s7, s8
	s_delay_alu instid0(SALU_CYCLE_1)
	s_mov_b32 exec_lo, s8
	s_cbranch_execz .LBB40_272
; %bb.271:                              ;   in Loop: Header=BB40_3 Depth=1
	ds_load_b64 v[32:33], v55 offset:23808
	ds_load_b64 v[34:35], v53
	s_wait_dscnt 0x0
	v_fma_f64 v[30:31], -v[32:33], v[34:35], v[30:31]
.LBB40_272:                             ;   in Loop: Header=BB40_3 Depth=1
	s_or_b32 exec_lo, exec_lo, s7
	s_barrier_signal -1
	s_barrier_wait -1
	s_mov_b32 s7, exec_lo
	v_readlane_b32 s8, v84, 9
	s_and_b32 s8, s7, s8
	s_delay_alu instid0(SALU_CYCLE_1)
	s_mov_b32 exec_lo, s8
	s_cbranch_execz .LBB40_274
; %bb.273:                              ;   in Loop: Header=BB40_3 Depth=1
	ds_load_b64 v[32:33], v5 offset:23400
	s_wait_dscnt 0x0
	v_mul_f64_e32 v[30:31], v[30:31], v[32:33]
	s_delay_alu instid0(VALU_DEP_1) | instskip(NEXT) | instid1(VALU_DEP_2)
	v_xor_b32_e32 v33, 0x80000000, v31
	v_mov_b32_e32 v32, v30
	ds_store_b64 v53, v[32:33]
.LBB40_274:                             ;   in Loop: Header=BB40_3 Depth=1
	s_or_b32 exec_lo, exec_lo, s7
	s_wait_dscnt 0x0
	s_barrier_signal -1
	s_barrier_wait -1
	s_mov_b32 s7, exec_lo
	v_readlane_b32 s8, v84, 10
	s_and_b32 s8, s7, s8
	s_delay_alu instid0(SALU_CYCLE_1)
	s_mov_b32 exec_lo, s8
	s_cbranch_execz .LBB40_276
; %bb.275:                              ;   in Loop: Header=BB40_3 Depth=1
	ds_load_b64 v[32:33], v55 offset:23296
	ds_load_b64 v[34:35], v53
	s_wait_dscnt 0x0
	v_fma_f64 v[30:31], -v[32:33], v[34:35], v[30:31]
.LBB40_276:                             ;   in Loop: Header=BB40_3 Depth=1
	s_or_b32 exec_lo, exec_lo, s7
	s_barrier_signal -1
	s_barrier_wait -1
	s_and_saveexec_b32 s7, s12
	s_cbranch_execz .LBB40_278
; %bb.277:                              ;   in Loop: Header=BB40_3 Depth=1
	ds_load_b64 v[32:33], v5 offset:22880
	s_wait_dscnt 0x0
	v_mul_f64_e32 v[30:31], v[30:31], v[32:33]
	s_delay_alu instid0(VALU_DEP_1) | instskip(NEXT) | instid1(VALU_DEP_2)
	v_xor_b32_e32 v33, 0x80000000, v31
	v_mov_b32_e32 v32, v30
	ds_store_b64 v53, v[32:33]
.LBB40_278:                             ;   in Loop: Header=BB40_3 Depth=1
	s_or_b32 exec_lo, exec_lo, s7
	s_wait_dscnt 0x0
	s_barrier_signal -1
	s_barrier_wait -1
	s_and_saveexec_b32 s7, s13
	s_cbranch_execz .LBB40_280
; %bb.279:                              ;   in Loop: Header=BB40_3 Depth=1
	ds_load_b64 v[32:33], v55 offset:22784
	ds_load_b64 v[34:35], v53
	s_wait_dscnt 0x0
	v_fma_f64 v[30:31], -v[32:33], v[34:35], v[30:31]
.LBB40_280:                             ;   in Loop: Header=BB40_3 Depth=1
	s_or_b32 exec_lo, exec_lo, s7
	s_barrier_signal -1
	s_barrier_wait -1
	s_and_saveexec_b32 s7, s23
	s_cbranch_execz .LBB40_282
; %bb.281:                              ;   in Loop: Header=BB40_3 Depth=1
	ds_load_b64 v[32:33], v5 offset:22360
	s_wait_dscnt 0x0
	v_mul_f64_e32 v[30:31], v[30:31], v[32:33]
	s_delay_alu instid0(VALU_DEP_1) | instskip(NEXT) | instid1(VALU_DEP_2)
	v_xor_b32_e32 v33, 0x80000000, v31
	v_mov_b32_e32 v32, v30
	ds_store_b64 v53, v[32:33]
.LBB40_282:                             ;   in Loop: Header=BB40_3 Depth=1
	s_or_b32 exec_lo, exec_lo, s7
	s_wait_dscnt 0x0
	s_barrier_signal -1
	s_barrier_wait -1
	s_and_saveexec_b32 s7, s25
	;; [unrolled: 26-line block ×12, first 2 shown]
	s_cbranch_execz .LBB40_324
; %bb.323:                              ;   in Loop: Header=BB40_3 Depth=1
	ds_load_b64 v[32:33], v5 offset:17152
	ds_load_b64 v[34:35], v53
	s_wait_dscnt 0x0
	v_fma_f64 v[30:31], -v[32:33], v[34:35], v[30:31]
.LBB40_324:                             ;   in Loop: Header=BB40_3 Depth=1
	s_or_b32 exec_lo, exec_lo, s7
	s_barrier_signal -1
	s_barrier_wait -1
	s_and_saveexec_b32 s7, s57
	s_cbranch_execz .LBB40_326
; %bb.325:                              ;   in Loop: Header=BB40_3 Depth=1
	ds_load_b64 v[32:33], v5 offset:16640
	s_wait_dscnt 0x0
	v_mul_f64_e32 v[30:31], v[30:31], v[32:33]
	s_delay_alu instid0(VALU_DEP_1) | instskip(NEXT) | instid1(VALU_DEP_2)
	v_xor_b32_e32 v33, 0x80000000, v31
	v_mov_b32_e32 v32, v30
	ds_store_b64 v53, v[32:33]
.LBB40_326:                             ;   in Loop: Header=BB40_3 Depth=1
	s_or_b32 exec_lo, exec_lo, s7
	s_wait_dscnt 0x0
	s_barrier_signal -1
	s_barrier_wait -1
	s_barrier_signal -1
	s_barrier_wait -1
	s_and_saveexec_b32 s7, s4
; %bb.327:                              ;   in Loop: Header=BB40_3 Depth=1
	ds_store_b64 v57, v[30:31] offset:32512
; %bb.328:                              ;   in Loop: Header=BB40_3 Depth=1
	s_or_b32 exec_lo, exec_lo, s7
	s_wait_dscnt 0x0
	s_barrier_signal -1
	s_barrier_wait -1
	s_barrier_signal -1
	s_barrier_wait -1
	s_and_saveexec_b32 s7, s14
	s_cbranch_execz .LBB40_330
; %bb.329:                              ;   in Loop: Header=BB40_3 Depth=1
	ds_load_b128 v[30:33], v5 offset:24432
	ds_load_b64 v[34:35], v5 offset:23920
	s_wait_dscnt 0x0
	v_mul_f64_e32 v[32:33], v[34:35], v[32:33]
	s_delay_alu instid0(VALU_DEP_1)
	v_mul_f64_e32 v[30:31], v[30:31], v[32:33]
	ds_store_b64 v5, v[30:31] offset:24432
.LBB40_330:                             ;   in Loop: Header=BB40_3 Depth=1
	s_or_b32 exec_lo, exec_lo, s7
	v_mov_b64_e32 v[30:31], 0
	s_wait_dscnt 0x0
	s_barrier_signal -1
	s_barrier_wait -1
	global_wb scope:SCOPE_DEV
	s_wait_storecnt 0x0
	global_inv scope:SCOPE_DEV
	s_and_saveexec_b32 s7, s1
	s_cbranch_execz .LBB40_334
; %bb.331:                              ;   in Loop: Header=BB40_3 Depth=1
	ds_load_b64 v[30:31], v42 offset:23904
	ds_load_b64 v[32:33], v41 offset:24432
	s_wait_dscnt 0x0
	v_fma_f64 v[30:31], v[30:31], v[32:33], 0
	s_and_saveexec_b32 s8, s15
	s_cbranch_execz .LBB40_333
; %bb.332:                              ;   in Loop: Header=BB40_3 Depth=1
	ds_load_b64 v[32:33], v43 offset:24416
	ds_load_b64 v[34:35], v5 offset:24440
	s_wait_dscnt 0x0
	v_fmac_f64_e32 v[30:31], v[32:33], v[34:35]
.LBB40_333:                             ;   in Loop: Header=BB40_3 Depth=1
	s_or_b32 exec_lo, exec_lo, s8
.LBB40_334:                             ;   in Loop: Header=BB40_3 Depth=1
	s_delay_alu instid0(SALU_CYCLE_1)
	s_or_b32 exec_lo, exec_lo, s7
	s_and_saveexec_b32 s7, vcc_hi
	s_cbranch_execz .LBB40_336
; %bb.335:                              ;   in Loop: Header=BB40_3 Depth=1
	ds_load_b64 v[32:33], v5 offset:23400
	s_wait_dscnt 0x0
	v_mul_f64_e32 v[30:31], v[30:31], v[32:33]
	s_delay_alu instid0(VALU_DEP_1) | instskip(NEXT) | instid1(VALU_DEP_2)
	v_xor_b32_e32 v33, 0x80000000, v31
	v_mov_b32_e32 v32, v30
	ds_store_b64 v3, v[32:33]
.LBB40_336:                             ;   in Loop: Header=BB40_3 Depth=1
	s_or_b32 exec_lo, exec_lo, s7
	s_wait_loadcnt_dscnt 0x0
	s_barrier_signal -1
	s_barrier_wait -1
	s_and_saveexec_b32 s7, s36
	s_cbranch_execz .LBB40_338
; %bb.337:                              ;   in Loop: Header=BB40_3 Depth=1
	ds_load_b64 v[32:33], v5 offset:23392
	ds_load_b64 v[34:35], v3
	s_wait_dscnt 0x0
	v_fma_f64 v[30:31], -v[32:33], v[34:35], v[30:31]
.LBB40_338:                             ;   in Loop: Header=BB40_3 Depth=1
	s_or_b32 exec_lo, exec_lo, s7
	s_barrier_signal -1
	s_barrier_wait -1
	s_and_saveexec_b32 s7, s36
	s_cbranch_execz .LBB40_340
; %bb.339:                              ;   in Loop: Header=BB40_3 Depth=1
	ds_load_b64 v[32:33], v5 offset:22880
	s_wait_dscnt 0x0
	v_mul_f64_e32 v[30:31], v[30:31], v[32:33]
	s_delay_alu instid0(VALU_DEP_1) | instskip(NEXT) | instid1(VALU_DEP_2)
	v_xor_b32_e32 v33, 0x80000000, v31
	v_mov_b32_e32 v32, v30
	ds_store_b64 v3, v[32:33]
.LBB40_340:                             ;   in Loop: Header=BB40_3 Depth=1
	s_or_b32 exec_lo, exec_lo, s7
	s_wait_dscnt 0x0
	s_barrier_signal -1
	s_barrier_wait -1
	s_barrier_signal -1
	s_barrier_wait -1
	s_and_saveexec_b32 s7, s1
; %bb.341:                              ;   in Loop: Header=BB40_3 Depth=1
	ds_store_b64 v44, v[30:31] offset:24416
; %bb.342:                              ;   in Loop: Header=BB40_3 Depth=1
	s_or_b32 exec_lo, exec_lo, s7
	s_wait_dscnt 0x0
	s_barrier_signal -1
	s_barrier_wait -1
	s_barrier_signal -1
	s_barrier_wait -1
	s_and_saveexec_b32 s7, s14
	s_cbranch_execz .LBB40_344
; %bb.343:                              ;   in Loop: Header=BB40_3 Depth=1
	ds_load_b128 v[30:33], v5 offset:23392
	ds_load_b64 v[34:35], v5 offset:22880
	s_wait_dscnt 0x0
	v_mul_f64_e32 v[32:33], v[34:35], v[32:33]
	s_delay_alu instid0(VALU_DEP_1)
	v_mul_f64_e32 v[30:31], v[30:31], v[32:33]
	ds_store_b64 v5, v[30:31] offset:23392
.LBB40_344:                             ;   in Loop: Header=BB40_3 Depth=1
	s_or_b32 exec_lo, exec_lo, s7
	v_mov_b64_e32 v[30:31], 0
	s_wait_dscnt 0x0
	s_barrier_signal -1
	s_barrier_wait -1
	global_wb scope:SCOPE_DEV
	s_wait_storecnt 0x0
	global_inv scope:SCOPE_DEV
	s_and_saveexec_b32 s7, s2
	s_cbranch_execz .LBB40_350
; %bb.345:                              ;   in Loop: Header=BB40_3 Depth=1
	ds_load_b64 v[30:31], v47 offset:22848
	ds_load_b64 v[32:33], v46 offset:24416
	s_wait_dscnt 0x0
	v_fma_f64 v[30:31], v[30:31], v[32:33], 0
	s_and_saveexec_b32 s8, s16
	s_cbranch_execnz .LBB40_1051
; %bb.346:                              ;   in Loop: Header=BB40_3 Depth=1
	s_or_b32 exec_lo, exec_lo, s8
	s_and_saveexec_b32 s8, s17
	s_cbranch_execnz .LBB40_1052
.LBB40_347:                             ;   in Loop: Header=BB40_3 Depth=1
	s_or_b32 exec_lo, exec_lo, s8
	s_and_saveexec_b32 s8, s1
	s_cbranch_execz .LBB40_349
.LBB40_348:                             ;   in Loop: Header=BB40_3 Depth=1
	ds_load_b64 v[32:33], v43 offset:24384
	ds_load_b64 v[34:35], v5 offset:24440
	s_wait_dscnt 0x0
	v_fmac_f64_e32 v[30:31], v[32:33], v[34:35]
.LBB40_349:                             ;   in Loop: Header=BB40_3 Depth=1
	s_or_b32 exec_lo, exec_lo, s8
.LBB40_350:                             ;   in Loop: Header=BB40_3 Depth=1
	s_delay_alu instid0(SALU_CYCLE_1)
	s_or_b32 exec_lo, exec_lo, s7
	s_and_saveexec_b32 s7, s37
	s_cbranch_execz .LBB40_352
; %bb.351:                              ;   in Loop: Header=BB40_3 Depth=1
	ds_load_b64 v[32:33], v5 offset:22360
	s_wait_dscnt 0x0
	v_mul_f64_e32 v[30:31], v[30:31], v[32:33]
	s_delay_alu instid0(VALU_DEP_1) | instskip(NEXT) | instid1(VALU_DEP_2)
	v_xor_b32_e32 v33, 0x80000000, v31
	v_mov_b32_e32 v32, v30
	ds_store_b64 v45, v[32:33]
.LBB40_352:                             ;   in Loop: Header=BB40_3 Depth=1
	s_or_b32 exec_lo, exec_lo, s7
	s_wait_loadcnt_dscnt 0x0
	s_barrier_signal -1
	s_barrier_wait -1
	s_and_saveexec_b32 s7, s38
	s_cbranch_execz .LBB40_354
; %bb.353:                              ;   in Loop: Header=BB40_3 Depth=1
	ds_load_b64 v[32:33], v47 offset:22336
	ds_load_b64 v[34:35], v45
	s_wait_dscnt 0x0
	v_fma_f64 v[30:31], -v[32:33], v[34:35], v[30:31]
.LBB40_354:                             ;   in Loop: Header=BB40_3 Depth=1
	s_or_b32 exec_lo, exec_lo, s7
	s_barrier_signal -1
	s_barrier_wait -1
	s_and_saveexec_b32 s7, s39
	s_cbranch_execz .LBB40_356
; %bb.355:                              ;   in Loop: Header=BB40_3 Depth=1
	ds_load_b64 v[32:33], v5 offset:21840
	s_wait_dscnt 0x0
	v_mul_f64_e32 v[30:31], v[30:31], v[32:33]
	s_delay_alu instid0(VALU_DEP_1) | instskip(NEXT) | instid1(VALU_DEP_2)
	v_xor_b32_e32 v33, 0x80000000, v31
	v_mov_b32_e32 v32, v30
	ds_store_b64 v45, v[32:33]
.LBB40_356:                             ;   in Loop: Header=BB40_3 Depth=1
	s_or_b32 exec_lo, exec_lo, s7
	s_wait_dscnt 0x0
	s_barrier_signal -1
	s_barrier_wait -1
	s_and_saveexec_b32 s7, s40
	s_cbranch_execz .LBB40_358
; %bb.357:                              ;   in Loop: Header=BB40_3 Depth=1
	ds_load_b64 v[32:33], v47 offset:21824
	ds_load_b64 v[34:35], v45
	s_wait_dscnt 0x0
	v_fma_f64 v[30:31], -v[32:33], v[34:35], v[30:31]
.LBB40_358:                             ;   in Loop: Header=BB40_3 Depth=1
	s_or_b32 exec_lo, exec_lo, s7
	s_barrier_signal -1
	s_barrier_wait -1
	s_and_saveexec_b32 s7, s41
	s_cbranch_execz .LBB40_360
; %bb.359:                              ;   in Loop: Header=BB40_3 Depth=1
	ds_load_b64 v[32:33], v5 offset:21320
	s_wait_dscnt 0x0
	v_mul_f64_e32 v[30:31], v[30:31], v[32:33]
	s_delay_alu instid0(VALU_DEP_1) | instskip(NEXT) | instid1(VALU_DEP_2)
	v_xor_b32_e32 v33, 0x80000000, v31
	v_mov_b32_e32 v32, v30
	ds_store_b64 v45, v[32:33]
.LBB40_360:                             ;   in Loop: Header=BB40_3 Depth=1
	s_or_b32 exec_lo, exec_lo, s7
	s_wait_dscnt 0x0
	;; [unrolled: 26-line block ×3, first 2 shown]
	s_barrier_signal -1
	s_barrier_wait -1
	s_barrier_signal -1
	s_barrier_wait -1
	s_and_saveexec_b32 s7, s2
; %bb.365:                              ;   in Loop: Header=BB40_3 Depth=1
	ds_store_b64 v48, v[30:31] offset:24384
; %bb.366:                              ;   in Loop: Header=BB40_3 Depth=1
	s_or_b32 exec_lo, exec_lo, s7
	s_wait_dscnt 0x0
	s_barrier_signal -1
	s_barrier_wait -1
	s_barrier_signal -1
	s_barrier_wait -1
	s_and_saveexec_b32 s7, s14
	s_cbranch_execz .LBB40_368
; %bb.367:                              ;   in Loop: Header=BB40_3 Depth=1
	ds_load_b128 v[30:33], v5 offset:22352
	ds_load_b64 v[34:35], v5 offset:21840
	s_wait_dscnt 0x0
	v_mul_f64_e32 v[32:33], v[34:35], v[32:33]
	s_delay_alu instid0(VALU_DEP_1)
	v_mul_f64_e32 v[30:31], v[30:31], v[32:33]
	ds_store_b64 v5, v[30:31] offset:22352
.LBB40_368:                             ;   in Loop: Header=BB40_3 Depth=1
	s_or_b32 exec_lo, exec_lo, s7
	v_mov_b64_e32 v[30:31], 0
	s_wait_dscnt 0x0
	s_barrier_signal -1
	s_barrier_wait -1
	global_wb scope:SCOPE_DEV
	s_wait_storecnt 0x0
	global_inv scope:SCOPE_DEV
	s_and_saveexec_b32 s7, s1
	s_cbranch_execz .LBB40_372
; %bb.369:                              ;   in Loop: Header=BB40_3 Depth=1
	ds_load_b64 v[30:31], v42 offset:21824
	ds_load_b64 v[32:33], v41 offset:22352
	s_wait_dscnt 0x0
	v_fma_f64 v[30:31], v[30:31], v[32:33], 0
	s_and_saveexec_b32 s8, s15
	s_cbranch_execz .LBB40_371
; %bb.370:                              ;   in Loop: Header=BB40_3 Depth=1
	ds_load_b64 v[32:33], v43 offset:22336
	ds_load_b64 v[34:35], v5 offset:22360
	s_wait_dscnt 0x0
	v_fmac_f64_e32 v[30:31], v[32:33], v[34:35]
.LBB40_371:                             ;   in Loop: Header=BB40_3 Depth=1
	s_or_b32 exec_lo, exec_lo, s8
.LBB40_372:                             ;   in Loop: Header=BB40_3 Depth=1
	s_delay_alu instid0(SALU_CYCLE_1)
	s_or_b32 exec_lo, exec_lo, s7
	s_and_saveexec_b32 s7, vcc_hi
	s_cbranch_execz .LBB40_374
; %bb.373:                              ;   in Loop: Header=BB40_3 Depth=1
	ds_load_b64 v[32:33], v5 offset:21320
	s_wait_dscnt 0x0
	v_mul_f64_e32 v[30:31], v[30:31], v[32:33]
	s_delay_alu instid0(VALU_DEP_1) | instskip(NEXT) | instid1(VALU_DEP_2)
	v_xor_b32_e32 v33, 0x80000000, v31
	v_mov_b32_e32 v32, v30
	ds_store_b64 v3, v[32:33]
.LBB40_374:                             ;   in Loop: Header=BB40_3 Depth=1
	s_or_b32 exec_lo, exec_lo, s7
	s_wait_loadcnt_dscnt 0x0
	s_barrier_signal -1
	s_barrier_wait -1
	s_and_saveexec_b32 s7, s36
	s_cbranch_execz .LBB40_376
; %bb.375:                              ;   in Loop: Header=BB40_3 Depth=1
	ds_load_b64 v[32:33], v5 offset:21312
	ds_load_b64 v[34:35], v3
	s_wait_dscnt 0x0
	v_fma_f64 v[30:31], -v[32:33], v[34:35], v[30:31]
.LBB40_376:                             ;   in Loop: Header=BB40_3 Depth=1
	s_or_b32 exec_lo, exec_lo, s7
	s_barrier_signal -1
	s_barrier_wait -1
	s_and_saveexec_b32 s7, s36
	s_cbranch_execz .LBB40_378
; %bb.377:                              ;   in Loop: Header=BB40_3 Depth=1
	ds_load_b64 v[32:33], v5 offset:20800
	s_wait_dscnt 0x0
	v_mul_f64_e32 v[30:31], v[30:31], v[32:33]
	s_delay_alu instid0(VALU_DEP_1) | instskip(NEXT) | instid1(VALU_DEP_2)
	v_xor_b32_e32 v33, 0x80000000, v31
	v_mov_b32_e32 v32, v30
	ds_store_b64 v3, v[32:33]
.LBB40_378:                             ;   in Loop: Header=BB40_3 Depth=1
	s_or_b32 exec_lo, exec_lo, s7
	s_wait_dscnt 0x0
	s_barrier_signal -1
	s_barrier_wait -1
	s_barrier_signal -1
	s_barrier_wait -1
	s_and_saveexec_b32 s7, s1
; %bb.379:                              ;   in Loop: Header=BB40_3 Depth=1
	ds_store_b64 v44, v[30:31] offset:22336
; %bb.380:                              ;   in Loop: Header=BB40_3 Depth=1
	s_or_b32 exec_lo, exec_lo, s7
	s_wait_dscnt 0x0
	s_barrier_signal -1
	s_barrier_wait -1
	s_barrier_signal -1
	s_barrier_wait -1
	s_and_saveexec_b32 s7, s14
	s_cbranch_execz .LBB40_382
; %bb.381:                              ;   in Loop: Header=BB40_3 Depth=1
	ds_load_b128 v[30:33], v5 offset:21312
	ds_load_b64 v[34:35], v5 offset:20800
	s_wait_dscnt 0x0
	v_mul_f64_e32 v[32:33], v[34:35], v[32:33]
	s_delay_alu instid0(VALU_DEP_1)
	v_mul_f64_e32 v[30:31], v[30:31], v[32:33]
	ds_store_b64 v5, v[30:31] offset:21312
.LBB40_382:                             ;   in Loop: Header=BB40_3 Depth=1
	s_or_b32 exec_lo, exec_lo, s7
	v_mov_b64_e32 v[30:31], 0
	s_wait_dscnt 0x0
	s_barrier_signal -1
	s_barrier_wait -1
	global_wb scope:SCOPE_DEV
	s_wait_storecnt 0x0
	global_inv scope:SCOPE_DEV
	s_and_saveexec_b32 s7, s3
	s_cbranch_execz .LBB40_392
; %bb.383:                              ;   in Loop: Header=BB40_3 Depth=1
	ds_load_b64 v[30:31], v51 offset:20736
	ds_load_b64 v[32:33], v50 offset:24384
	s_wait_dscnt 0x0
	v_fma_f64 v[30:31], v[30:31], v[32:33], 0
	s_and_saveexec_b32 s8, s18
	s_cbranch_execnz .LBB40_1053
; %bb.384:                              ;   in Loop: Header=BB40_3 Depth=1
	s_or_b32 exec_lo, exec_lo, s8
	s_and_saveexec_b32 s8, s19
	s_cbranch_execnz .LBB40_1054
.LBB40_385:                             ;   in Loop: Header=BB40_3 Depth=1
	s_or_b32 exec_lo, exec_lo, s8
	s_and_saveexec_b32 s8, s20
	s_cbranch_execnz .LBB40_1055
.LBB40_386:                             ;   in Loop: Header=BB40_3 Depth=1
	s_or_b32 exec_lo, exec_lo, s8
	s_and_saveexec_b32 s8, s21
	s_cbranch_execnz .LBB40_1056
.LBB40_387:                             ;   in Loop: Header=BB40_3 Depth=1
	s_or_b32 exec_lo, exec_lo, s8
	s_and_saveexec_b32 s8, s22
	s_cbranch_execnz .LBB40_1057
.LBB40_388:                             ;   in Loop: Header=BB40_3 Depth=1
	s_or_b32 exec_lo, exec_lo, s8
	s_and_saveexec_b32 s8, s2
	s_cbranch_execnz .LBB40_1058
.LBB40_389:                             ;   in Loop: Header=BB40_3 Depth=1
	s_or_b32 exec_lo, exec_lo, s8
	s_and_saveexec_b32 s8, s17
	s_cbranch_execz .LBB40_391
.LBB40_390:                             ;   in Loop: Header=BB40_3 Depth=1
	ds_load_b64 v[32:33], v43 offset:24320
	ds_load_b64 v[34:35], v5 offset:24440
	s_wait_dscnt 0x0
	v_fmac_f64_e32 v[30:31], v[32:33], v[34:35]
.LBB40_391:                             ;   in Loop: Header=BB40_3 Depth=1
	s_or_b32 exec_lo, exec_lo, s8
.LBB40_392:                             ;   in Loop: Header=BB40_3 Depth=1
	s_delay_alu instid0(SALU_CYCLE_1)
	s_or_b32 exec_lo, exec_lo, s7
	s_and_saveexec_b32 s7, s43
	s_cbranch_execz .LBB40_394
; %bb.393:                              ;   in Loop: Header=BB40_3 Depth=1
	ds_load_b64 v[32:33], v5 offset:20280
	s_wait_dscnt 0x0
	v_mul_f64_e32 v[30:31], v[30:31], v[32:33]
	s_delay_alu instid0(VALU_DEP_1) | instskip(NEXT) | instid1(VALU_DEP_2)
	v_xor_b32_e32 v33, 0x80000000, v31
	v_mov_b32_e32 v32, v30
	ds_store_b64 v49, v[32:33]
.LBB40_394:                             ;   in Loop: Header=BB40_3 Depth=1
	s_or_b32 exec_lo, exec_lo, s7
	s_wait_loadcnt_dscnt 0x0
	s_barrier_signal -1
	s_barrier_wait -1
	s_and_saveexec_b32 s7, s44
	s_cbranch_execz .LBB40_396
; %bb.395:                              ;   in Loop: Header=BB40_3 Depth=1
	ds_load_b64 v[32:33], v51 offset:20224
	ds_load_b64 v[34:35], v49
	s_wait_dscnt 0x0
	v_fma_f64 v[30:31], -v[32:33], v[34:35], v[30:31]
.LBB40_396:                             ;   in Loop: Header=BB40_3 Depth=1
	s_or_b32 exec_lo, exec_lo, s7
	s_barrier_signal -1
	s_barrier_wait -1
	s_and_saveexec_b32 s7, s45
	s_cbranch_execz .LBB40_398
; %bb.397:                              ;   in Loop: Header=BB40_3 Depth=1
	ds_load_b64 v[32:33], v5 offset:19760
	s_wait_dscnt 0x0
	v_mul_f64_e32 v[30:31], v[30:31], v[32:33]
	s_delay_alu instid0(VALU_DEP_1) | instskip(NEXT) | instid1(VALU_DEP_2)
	v_xor_b32_e32 v33, 0x80000000, v31
	v_mov_b32_e32 v32, v30
	ds_store_b64 v49, v[32:33]
.LBB40_398:                             ;   in Loop: Header=BB40_3 Depth=1
	s_or_b32 exec_lo, exec_lo, s7
	s_wait_dscnt 0x0
	s_barrier_signal -1
	s_barrier_wait -1
	s_and_saveexec_b32 s7, s46
	s_cbranch_execz .LBB40_400
; %bb.399:                              ;   in Loop: Header=BB40_3 Depth=1
	ds_load_b64 v[32:33], v51 offset:19712
	ds_load_b64 v[34:35], v49
	s_wait_dscnt 0x0
	v_fma_f64 v[30:31], -v[32:33], v[34:35], v[30:31]
.LBB40_400:                             ;   in Loop: Header=BB40_3 Depth=1
	s_or_b32 exec_lo, exec_lo, s7
	s_barrier_signal -1
	s_barrier_wait -1
	s_and_saveexec_b32 s7, s47
	s_cbranch_execz .LBB40_402
; %bb.401:                              ;   in Loop: Header=BB40_3 Depth=1
	ds_load_b64 v[32:33], v5 offset:19240
	s_wait_dscnt 0x0
	v_mul_f64_e32 v[30:31], v[30:31], v[32:33]
	s_delay_alu instid0(VALU_DEP_1) | instskip(NEXT) | instid1(VALU_DEP_2)
	v_xor_b32_e32 v33, 0x80000000, v31
	v_mov_b32_e32 v32, v30
	ds_store_b64 v49, v[32:33]
.LBB40_402:                             ;   in Loop: Header=BB40_3 Depth=1
	s_or_b32 exec_lo, exec_lo, s7
	s_wait_dscnt 0x0
	;; [unrolled: 26-line block ×7, first 2 shown]
	s_barrier_signal -1
	s_barrier_wait -1
	s_barrier_signal -1
	s_barrier_wait -1
	s_and_saveexec_b32 s7, s3
; %bb.423:                              ;   in Loop: Header=BB40_3 Depth=1
	ds_store_b64 v52, v[30:31] offset:24320
; %bb.424:                              ;   in Loop: Header=BB40_3 Depth=1
	s_or_b32 exec_lo, exec_lo, s7
	s_wait_dscnt 0x0
	s_barrier_signal -1
	s_barrier_wait -1
	s_barrier_signal -1
	s_barrier_wait -1
	s_and_saveexec_b32 s7, s14
	s_cbranch_execz .LBB40_426
; %bb.425:                              ;   in Loop: Header=BB40_3 Depth=1
	ds_load_b128 v[30:33], v5 offset:20272
	ds_load_b64 v[34:35], v5 offset:19760
	s_wait_dscnt 0x0
	v_mul_f64_e32 v[32:33], v[34:35], v[32:33]
	s_delay_alu instid0(VALU_DEP_1)
	v_mul_f64_e32 v[30:31], v[30:31], v[32:33]
	ds_store_b64 v5, v[30:31] offset:20272
.LBB40_426:                             ;   in Loop: Header=BB40_3 Depth=1
	s_or_b32 exec_lo, exec_lo, s7
	v_mov_b64_e32 v[30:31], 0
	s_wait_dscnt 0x0
	s_barrier_signal -1
	s_barrier_wait -1
	global_wb scope:SCOPE_DEV
	s_wait_storecnt 0x0
	global_inv scope:SCOPE_DEV
	s_and_saveexec_b32 s7, s1
	s_cbranch_execz .LBB40_430
; %bb.427:                              ;   in Loop: Header=BB40_3 Depth=1
	ds_load_b64 v[30:31], v42 offset:19744
	ds_load_b64 v[32:33], v41 offset:20272
	s_wait_dscnt 0x0
	v_fma_f64 v[30:31], v[30:31], v[32:33], 0
	s_and_saveexec_b32 s8, s15
	s_cbranch_execz .LBB40_429
; %bb.428:                              ;   in Loop: Header=BB40_3 Depth=1
	ds_load_b64 v[32:33], v43 offset:20256
	ds_load_b64 v[34:35], v5 offset:20280
	s_wait_dscnt 0x0
	v_fmac_f64_e32 v[30:31], v[32:33], v[34:35]
.LBB40_429:                             ;   in Loop: Header=BB40_3 Depth=1
	s_or_b32 exec_lo, exec_lo, s8
.LBB40_430:                             ;   in Loop: Header=BB40_3 Depth=1
	s_delay_alu instid0(SALU_CYCLE_1)
	s_or_b32 exec_lo, exec_lo, s7
	s_and_saveexec_b32 s7, vcc_hi
	s_cbranch_execz .LBB40_432
; %bb.431:                              ;   in Loop: Header=BB40_3 Depth=1
	ds_load_b64 v[32:33], v5 offset:19240
	s_wait_dscnt 0x0
	v_mul_f64_e32 v[30:31], v[30:31], v[32:33]
	s_delay_alu instid0(VALU_DEP_1) | instskip(NEXT) | instid1(VALU_DEP_2)
	v_xor_b32_e32 v33, 0x80000000, v31
	v_mov_b32_e32 v32, v30
	ds_store_b64 v3, v[32:33]
.LBB40_432:                             ;   in Loop: Header=BB40_3 Depth=1
	s_or_b32 exec_lo, exec_lo, s7
	s_wait_loadcnt_dscnt 0x0
	s_barrier_signal -1
	s_barrier_wait -1
	s_and_saveexec_b32 s7, s36
	s_cbranch_execz .LBB40_434
; %bb.433:                              ;   in Loop: Header=BB40_3 Depth=1
	ds_load_b64 v[32:33], v5 offset:19232
	ds_load_b64 v[34:35], v3
	s_wait_dscnt 0x0
	v_fma_f64 v[30:31], -v[32:33], v[34:35], v[30:31]
.LBB40_434:                             ;   in Loop: Header=BB40_3 Depth=1
	s_or_b32 exec_lo, exec_lo, s7
	s_barrier_signal -1
	s_barrier_wait -1
	s_and_saveexec_b32 s7, s36
	s_cbranch_execz .LBB40_436
; %bb.435:                              ;   in Loop: Header=BB40_3 Depth=1
	ds_load_b64 v[32:33], v5 offset:18720
	s_wait_dscnt 0x0
	v_mul_f64_e32 v[30:31], v[30:31], v[32:33]
	s_delay_alu instid0(VALU_DEP_1) | instskip(NEXT) | instid1(VALU_DEP_2)
	v_xor_b32_e32 v33, 0x80000000, v31
	v_mov_b32_e32 v32, v30
	ds_store_b64 v3, v[32:33]
.LBB40_436:                             ;   in Loop: Header=BB40_3 Depth=1
	s_or_b32 exec_lo, exec_lo, s7
	s_wait_dscnt 0x0
	s_barrier_signal -1
	s_barrier_wait -1
	s_barrier_signal -1
	s_barrier_wait -1
	s_and_saveexec_b32 s7, s1
; %bb.437:                              ;   in Loop: Header=BB40_3 Depth=1
	ds_store_b64 v44, v[30:31] offset:20256
; %bb.438:                              ;   in Loop: Header=BB40_3 Depth=1
	s_or_b32 exec_lo, exec_lo, s7
	s_wait_dscnt 0x0
	s_barrier_signal -1
	s_barrier_wait -1
	s_barrier_signal -1
	s_barrier_wait -1
	s_and_saveexec_b32 s7, s14
	s_cbranch_execz .LBB40_440
; %bb.439:                              ;   in Loop: Header=BB40_3 Depth=1
	ds_load_b128 v[30:33], v5 offset:19232
	ds_load_b64 v[34:35], v5 offset:18720
	s_wait_dscnt 0x0
	v_mul_f64_e32 v[32:33], v[34:35], v[32:33]
	s_delay_alu instid0(VALU_DEP_1)
	v_mul_f64_e32 v[30:31], v[30:31], v[32:33]
	ds_store_b64 v5, v[30:31] offset:19232
.LBB40_440:                             ;   in Loop: Header=BB40_3 Depth=1
	s_or_b32 exec_lo, exec_lo, s7
	v_mov_b64_e32 v[30:31], 0
	s_wait_dscnt 0x0
	s_barrier_signal -1
	s_barrier_wait -1
	global_wb scope:SCOPE_DEV
	s_wait_storecnt 0x0
	global_inv scope:SCOPE_DEV
	s_and_saveexec_b32 s7, s2
	s_cbranch_execz .LBB40_446
; %bb.441:                              ;   in Loop: Header=BB40_3 Depth=1
	ds_load_b64 v[30:31], v47 offset:18688
	ds_load_b64 v[32:33], v46 offset:20256
	s_wait_dscnt 0x0
	v_fma_f64 v[30:31], v[30:31], v[32:33], 0
	s_and_saveexec_b32 s8, s16
	s_cbranch_execnz .LBB40_1059
; %bb.442:                              ;   in Loop: Header=BB40_3 Depth=1
	s_or_b32 exec_lo, exec_lo, s8
	s_and_saveexec_b32 s8, s17
	s_cbranch_execnz .LBB40_1060
.LBB40_443:                             ;   in Loop: Header=BB40_3 Depth=1
	s_or_b32 exec_lo, exec_lo, s8
	s_and_saveexec_b32 s8, s1
	s_cbranch_execz .LBB40_445
.LBB40_444:                             ;   in Loop: Header=BB40_3 Depth=1
	ds_load_b64 v[32:33], v43 offset:20224
	ds_load_b64 v[34:35], v5 offset:20280
	s_wait_dscnt 0x0
	v_fmac_f64_e32 v[30:31], v[32:33], v[34:35]
.LBB40_445:                             ;   in Loop: Header=BB40_3 Depth=1
	s_or_b32 exec_lo, exec_lo, s8
.LBB40_446:                             ;   in Loop: Header=BB40_3 Depth=1
	s_delay_alu instid0(SALU_CYCLE_1)
	s_or_b32 exec_lo, exec_lo, s7
	s_and_saveexec_b32 s7, s37
	s_cbranch_execz .LBB40_448
; %bb.447:                              ;   in Loop: Header=BB40_3 Depth=1
	ds_load_b64 v[32:33], v5 offset:18200
	s_wait_dscnt 0x0
	v_mul_f64_e32 v[30:31], v[30:31], v[32:33]
	s_delay_alu instid0(VALU_DEP_1) | instskip(NEXT) | instid1(VALU_DEP_2)
	v_xor_b32_e32 v33, 0x80000000, v31
	v_mov_b32_e32 v32, v30
	ds_store_b64 v45, v[32:33]
.LBB40_448:                             ;   in Loop: Header=BB40_3 Depth=1
	s_or_b32 exec_lo, exec_lo, s7
	s_wait_loadcnt_dscnt 0x0
	s_barrier_signal -1
	s_barrier_wait -1
	s_and_saveexec_b32 s7, s38
	s_cbranch_execz .LBB40_450
; %bb.449:                              ;   in Loop: Header=BB40_3 Depth=1
	ds_load_b64 v[32:33], v47 offset:18176
	ds_load_b64 v[34:35], v45
	s_wait_dscnt 0x0
	v_fma_f64 v[30:31], -v[32:33], v[34:35], v[30:31]
.LBB40_450:                             ;   in Loop: Header=BB40_3 Depth=1
	s_or_b32 exec_lo, exec_lo, s7
	s_barrier_signal -1
	s_barrier_wait -1
	s_and_saveexec_b32 s7, s39
	s_cbranch_execz .LBB40_452
; %bb.451:                              ;   in Loop: Header=BB40_3 Depth=1
	ds_load_b64 v[32:33], v5 offset:17680
	s_wait_dscnt 0x0
	v_mul_f64_e32 v[30:31], v[30:31], v[32:33]
	s_delay_alu instid0(VALU_DEP_1) | instskip(NEXT) | instid1(VALU_DEP_2)
	v_xor_b32_e32 v33, 0x80000000, v31
	v_mov_b32_e32 v32, v30
	ds_store_b64 v45, v[32:33]
.LBB40_452:                             ;   in Loop: Header=BB40_3 Depth=1
	s_or_b32 exec_lo, exec_lo, s7
	s_wait_dscnt 0x0
	s_barrier_signal -1
	s_barrier_wait -1
	s_and_saveexec_b32 s7, s40
	s_cbranch_execz .LBB40_454
; %bb.453:                              ;   in Loop: Header=BB40_3 Depth=1
	ds_load_b64 v[32:33], v47 offset:17664
	ds_load_b64 v[34:35], v45
	s_wait_dscnt 0x0
	v_fma_f64 v[30:31], -v[32:33], v[34:35], v[30:31]
.LBB40_454:                             ;   in Loop: Header=BB40_3 Depth=1
	s_or_b32 exec_lo, exec_lo, s7
	s_barrier_signal -1
	s_barrier_wait -1
	s_and_saveexec_b32 s7, s41
	s_cbranch_execz .LBB40_456
; %bb.455:                              ;   in Loop: Header=BB40_3 Depth=1
	ds_load_b64 v[32:33], v5 offset:17160
	s_wait_dscnt 0x0
	v_mul_f64_e32 v[30:31], v[30:31], v[32:33]
	s_delay_alu instid0(VALU_DEP_1) | instskip(NEXT) | instid1(VALU_DEP_2)
	v_xor_b32_e32 v33, 0x80000000, v31
	v_mov_b32_e32 v32, v30
	ds_store_b64 v45, v[32:33]
.LBB40_456:                             ;   in Loop: Header=BB40_3 Depth=1
	s_or_b32 exec_lo, exec_lo, s7
	s_wait_dscnt 0x0
	;; [unrolled: 26-line block ×3, first 2 shown]
	s_barrier_signal -1
	s_barrier_wait -1
	s_barrier_signal -1
	s_barrier_wait -1
	s_and_saveexec_b32 s7, s2
; %bb.461:                              ;   in Loop: Header=BB40_3 Depth=1
	ds_store_b64 v48, v[30:31] offset:20224
; %bb.462:                              ;   in Loop: Header=BB40_3 Depth=1
	s_or_b32 exec_lo, exec_lo, s7
	s_wait_dscnt 0x0
	s_barrier_signal -1
	s_barrier_wait -1
	s_barrier_signal -1
	s_barrier_wait -1
	s_and_saveexec_b32 s7, s14
	s_cbranch_execz .LBB40_464
; %bb.463:                              ;   in Loop: Header=BB40_3 Depth=1
	ds_load_b128 v[30:33], v5 offset:18192
	ds_load_b64 v[34:35], v5 offset:17680
	s_wait_dscnt 0x0
	v_mul_f64_e32 v[32:33], v[34:35], v[32:33]
	s_delay_alu instid0(VALU_DEP_1)
	v_mul_f64_e32 v[30:31], v[30:31], v[32:33]
	ds_store_b64 v5, v[30:31] offset:18192
.LBB40_464:                             ;   in Loop: Header=BB40_3 Depth=1
	s_or_b32 exec_lo, exec_lo, s7
	v_mov_b64_e32 v[30:31], 0
	s_wait_dscnt 0x0
	s_barrier_signal -1
	s_barrier_wait -1
	global_wb scope:SCOPE_DEV
	s_wait_storecnt 0x0
	global_inv scope:SCOPE_DEV
	s_and_saveexec_b32 s7, s1
	s_cbranch_execz .LBB40_468
; %bb.465:                              ;   in Loop: Header=BB40_3 Depth=1
	ds_load_b64 v[30:31], v42 offset:17664
	ds_load_b64 v[32:33], v41 offset:18192
	s_wait_dscnt 0x0
	v_fma_f64 v[30:31], v[30:31], v[32:33], 0
	s_and_saveexec_b32 s8, s15
	s_cbranch_execz .LBB40_467
; %bb.466:                              ;   in Loop: Header=BB40_3 Depth=1
	ds_load_b64 v[32:33], v43 offset:18176
	ds_load_b64 v[34:35], v5 offset:18200
	s_wait_dscnt 0x0
	v_fmac_f64_e32 v[30:31], v[32:33], v[34:35]
.LBB40_467:                             ;   in Loop: Header=BB40_3 Depth=1
	s_or_b32 exec_lo, exec_lo, s8
.LBB40_468:                             ;   in Loop: Header=BB40_3 Depth=1
	s_delay_alu instid0(SALU_CYCLE_1)
	s_or_b32 exec_lo, exec_lo, s7
	s_and_saveexec_b32 s7, vcc_hi
	s_cbranch_execz .LBB40_470
; %bb.469:                              ;   in Loop: Header=BB40_3 Depth=1
	ds_load_b64 v[32:33], v5 offset:17160
	s_wait_dscnt 0x0
	v_mul_f64_e32 v[30:31], v[30:31], v[32:33]
	s_delay_alu instid0(VALU_DEP_1) | instskip(NEXT) | instid1(VALU_DEP_2)
	v_xor_b32_e32 v33, 0x80000000, v31
	v_mov_b32_e32 v32, v30
	ds_store_b64 v3, v[32:33]
.LBB40_470:                             ;   in Loop: Header=BB40_3 Depth=1
	s_or_b32 exec_lo, exec_lo, s7
	s_wait_loadcnt_dscnt 0x0
	s_barrier_signal -1
	s_barrier_wait -1
	s_and_saveexec_b32 s7, s36
	s_cbranch_execz .LBB40_472
; %bb.471:                              ;   in Loop: Header=BB40_3 Depth=1
	ds_load_b64 v[32:33], v5 offset:17152
	ds_load_b64 v[34:35], v3
	s_wait_dscnt 0x0
	v_fma_f64 v[30:31], -v[32:33], v[34:35], v[30:31]
.LBB40_472:                             ;   in Loop: Header=BB40_3 Depth=1
	s_or_b32 exec_lo, exec_lo, s7
	s_barrier_signal -1
	s_barrier_wait -1
	s_and_saveexec_b32 s7, s36
	s_cbranch_execz .LBB40_474
; %bb.473:                              ;   in Loop: Header=BB40_3 Depth=1
	ds_load_b64 v[32:33], v5 offset:16640
	s_wait_dscnt 0x0
	v_mul_f64_e32 v[30:31], v[30:31], v[32:33]
	s_delay_alu instid0(VALU_DEP_1) | instskip(NEXT) | instid1(VALU_DEP_2)
	v_xor_b32_e32 v33, 0x80000000, v31
	v_mov_b32_e32 v32, v30
	ds_store_b64 v3, v[32:33]
.LBB40_474:                             ;   in Loop: Header=BB40_3 Depth=1
	s_or_b32 exec_lo, exec_lo, s7
	s_wait_dscnt 0x0
	s_barrier_signal -1
	s_barrier_wait -1
	s_barrier_signal -1
	s_barrier_wait -1
	s_and_saveexec_b32 s7, s1
; %bb.475:                              ;   in Loop: Header=BB40_3 Depth=1
	ds_store_b64 v44, v[30:31] offset:18176
; %bb.476:                              ;   in Loop: Header=BB40_3 Depth=1
	s_or_b32 exec_lo, exec_lo, s7
	s_wait_dscnt 0x0
	s_barrier_signal -1
	s_barrier_wait -1
	s_barrier_signal -1
	s_barrier_wait -1
	s_and_saveexec_b32 s7, s14
	s_cbranch_execz .LBB40_478
; %bb.477:                              ;   in Loop: Header=BB40_3 Depth=1
	ds_load_b128 v[30:33], v5 offset:17152
	ds_load_b64 v[34:35], v5 offset:16640
	s_wait_dscnt 0x0
	v_mul_f64_e32 v[32:33], v[34:35], v[32:33]
	s_delay_alu instid0(VALU_DEP_1)
	v_mul_f64_e32 v[30:31], v[30:31], v[32:33]
	ds_store_b64 v5, v[30:31] offset:17152
.LBB40_478:                             ;   in Loop: Header=BB40_3 Depth=1
	s_or_b32 exec_lo, exec_lo, s7
	v_mov_b64_e32 v[30:31], 0
	s_wait_dscnt 0x0
	s_barrier_signal -1
	s_barrier_wait -1
	global_wb scope:SCOPE_DEV
	s_wait_storecnt 0x0
	global_inv scope:SCOPE_DEV
	s_and_saveexec_b32 s98, s35
	s_cbranch_execz .LBB40_540
; %bb.479:                              ;   in Loop: Header=BB40_3 Depth=1
	ds_load_b64 v[30:31], v60 offset:16384
	ds_load_b64 v[32:33], v59 offset:32512
	s_wait_dscnt 0x0
	v_fma_f64 v[30:31], v[30:31], v[32:33], 0
	s_mov_b32 s7, exec_lo
	v_readlane_b32 s8, v83, 11
	s_and_b32 s8, s7, s8
	s_delay_alu instid0(SALU_CYCLE_1)
	s_mov_b32 exec_lo, s8
	s_cbranch_execz .LBB40_481
; %bb.480:                              ;   in Loop: Header=BB40_3 Depth=1
	ds_load_b64 v[32:33], v60 offset:16896
	ds_load_b64 v[34:35], v59 offset:32520
	s_wait_dscnt 0x0
	v_fmac_f64_e32 v[30:31], v[32:33], v[34:35]
.LBB40_481:                             ;   in Loop: Header=BB40_3 Depth=1
	s_or_b32 exec_lo, exec_lo, s7
	s_delay_alu instid0(SALU_CYCLE_1) | instskip(SKIP_2) | instid1(SALU_CYCLE_1)
	s_mov_b32 s7, exec_lo
	v_readlane_b32 s8, v83, 12
	s_and_b32 s8, s7, s8
	s_mov_b32 exec_lo, s8
	s_cbranch_execz .LBB40_483
; %bb.482:                              ;   in Loop: Header=BB40_3 Depth=1
	ds_load_b64 v[32:33], v60 offset:17408
	ds_load_b64 v[34:35], v59 offset:32528
	s_wait_dscnt 0x0
	v_fmac_f64_e32 v[30:31], v[32:33], v[34:35]
.LBB40_483:                             ;   in Loop: Header=BB40_3 Depth=1
	s_or_b32 exec_lo, exec_lo, s7
	s_delay_alu instid0(SALU_CYCLE_1) | instskip(SKIP_2) | instid1(SALU_CYCLE_1)
	s_mov_b32 s7, exec_lo
	v_readlane_b32 s8, v83, 13
	s_and_b32 s8, s7, s8
	;; [unrolled: 13-line block ×22, first 2 shown]
	s_mov_b32 exec_lo, s8
	s_cbranch_execz .LBB40_525
; %bb.524:                              ;   in Loop: Header=BB40_3 Depth=1
	ds_load_b64 v[32:33], v60 offset:28160
	ds_load_b64 v[34:35], v59 offset:32696
	s_wait_dscnt 0x0
	v_fmac_f64_e32 v[30:31], v[32:33], v[34:35]
.LBB40_525:                             ;   in Loop: Header=BB40_3 Depth=1
	s_or_b32 exec_lo, exec_lo, s7
	s_and_saveexec_b32 s7, s4
	s_cbranch_execz .LBB40_527
; %bb.526:                              ;   in Loop: Header=BB40_3 Depth=1
	ds_load_b64 v[32:33], v60 offset:28672
	ds_load_b64 v[34:35], v59 offset:32704
	s_wait_dscnt 0x0
	v_fmac_f64_e32 v[30:31], v[32:33], v[34:35]
.LBB40_527:                             ;   in Loop: Header=BB40_3 Depth=1
	s_or_b32 exec_lo, exec_lo, s7
	s_delay_alu instid0(SALU_CYCLE_1) | instskip(SKIP_2) | instid1(SALU_CYCLE_1)
	s_mov_b32 s7, exec_lo
	v_readlane_b32 s8, v83, 1
	s_and_b32 s8, s7, s8
	s_mov_b32 exec_lo, s8
	s_cbranch_execz .LBB40_529
; %bb.528:                              ;   in Loop: Header=BB40_3 Depth=1
	ds_load_b64 v[32:33], v60 offset:29184
	ds_load_b64 v[34:35], v59 offset:32712
	s_wait_dscnt 0x0
	v_fmac_f64_e32 v[30:31], v[32:33], v[34:35]
.LBB40_529:                             ;   in Loop: Header=BB40_3 Depth=1
	s_or_b32 exec_lo, exec_lo, s7
	s_delay_alu instid0(SALU_CYCLE_1) | instskip(SKIP_2) | instid1(SALU_CYCLE_1)
	s_mov_b32 s7, exec_lo
	v_readlane_b32 s8, v83, 3
	s_and_b32 s8, s7, s8
	s_mov_b32 exec_lo, s8
	;; [unrolled: 13-line block ×5, first 2 shown]
	s_cbranch_execnz .LBB40_1061
; %bb.536:                              ;   in Loop: Header=BB40_3 Depth=1
	s_or_b32 exec_lo, exec_lo, s7
	s_and_saveexec_b32 s7, s3
	s_cbranch_execnz .LBB40_1062
.LBB40_537:                             ;   in Loop: Header=BB40_3 Depth=1
	s_or_b32 exec_lo, exec_lo, s7
	s_and_saveexec_b32 s7, s21
	s_delay_alu instid0(SALU_CYCLE_1)
	s_xor_b32 s7, exec_lo, s7
	s_cbranch_execz .LBB40_539
.LBB40_538:                             ;   in Loop: Header=BB40_3 Depth=1
	ds_load_b64 v[32:33], v43 offset:32256
	ds_load_b64 v[34:35], v5 offset:32760
	s_wait_dscnt 0x0
	v_fmac_f64_e32 v[30:31], v[32:33], v[34:35]
.LBB40_539:                             ;   in Loop: Header=BB40_3 Depth=1
	s_or_b32 exec_lo, exec_lo, s7
.LBB40_540:                             ;   in Loop: Header=BB40_3 Depth=1
	s_delay_alu instid0(SALU_CYCLE_1)
	s_or_b32 exec_lo, exec_lo, s98
	v_mov_b32_e32 v32, v62
	s_mov_b32 s7, 31
	s_branch .LBB40_542
.LBB40_541:                             ;   in Loop: Header=BB40_542 Depth=2
	s_or_b32 exec_lo, exec_lo, s8
	v_add_nc_u32_e32 v32, 0xfffff800, v32
	s_add_co_i32 s7, s7, -4
	s_cmp_eq_u32 s98, 0
	s_barrier_signal -1
	s_barrier_wait -1
	s_cbranch_scc1 .LBB40_558
.LBB40_542:                             ;   Parent Loop BB40_3 Depth=1
                                        ; =>  This Inner Loop Header: Depth=2
	s_delay_alu instid0(VALU_DEP_1) | instskip(SKIP_1) | instid1(SALU_CYCLE_1)
	v_cmp_eq_u32_e32 vcc_lo, 0xffffc200, v32
	s_and_b32 s66, s6, vcc_lo
	s_and_saveexec_b32 s8, s66
	s_cbranch_execz .LBB40_544
; %bb.543:                              ;   in Loop: Header=BB40_542 Depth=2
	ds_load_b64 v[34:35], v61
	s_wait_dscnt 0x0
	v_mul_f64_e32 v[30:31], v[30:31], v[34:35]
	s_delay_alu instid0(VALU_DEP_1) | instskip(NEXT) | instid1(VALU_DEP_2)
	v_xor_b32_e32 v35, 0x80000000, v31
	v_mov_b32_e32 v34, v30
	ds_store_b64 v58, v[34:35]
.LBB40_544:                             ;   in Loop: Header=BB40_542 Depth=2
	s_or_b32 exec_lo, exec_lo, s8
	v_cmp_gt_u32_e32 vcc_lo, s7, v56
	v_add_nc_u32_e32 v33, v63, v32
	s_wait_loadcnt_dscnt 0x0
	s_barrier_signal -1
	s_barrier_wait -1
	s_and_b32 s66, s6, vcc_lo
	s_delay_alu instid0(SALU_CYCLE_1)
	s_and_saveexec_b32 s8, s66
	s_cbranch_execz .LBB40_546
; %bb.545:                              ;   in Loop: Header=BB40_542 Depth=2
	ds_load_b64 v[34:35], v33 offset:1536
	ds_load_b64 v[36:37], v58
	s_wait_dscnt 0x0
	v_fma_f64 v[30:31], -v[34:35], v[36:37], v[30:31]
.LBB40_546:                             ;   in Loop: Header=BB40_542 Depth=2
	s_or_b32 exec_lo, exec_lo, s8
	s_add_co_i32 s8, s7, -1
	s_delay_alu instid0(SALU_CYCLE_1) | instskip(SKIP_3) | instid1(SALU_CYCLE_1)
	v_cmp_eq_u32_e32 vcc_lo, s8, v56
	s_barrier_signal -1
	s_barrier_wait -1
	s_and_b32 s67, s6, vcc_lo
	s_and_saveexec_b32 s66, s67
	s_cbranch_execz .LBB40_548
; %bb.547:                              ;   in Loop: Header=BB40_542 Depth=2
	ds_load_b64 v[34:35], v61
	s_wait_dscnt 0x0
	v_mul_f64_e32 v[30:31], v[30:31], v[34:35]
	s_delay_alu instid0(VALU_DEP_1) | instskip(NEXT) | instid1(VALU_DEP_2)
	v_xor_b32_e32 v35, 0x80000000, v31
	v_mov_b32_e32 v34, v30
	ds_store_b64 v58, v[34:35]
.LBB40_548:                             ;   in Loop: Header=BB40_542 Depth=2
	s_or_b32 exec_lo, exec_lo, s66
	v_cmp_gt_u32_e32 vcc_lo, s8, v56
	s_wait_dscnt 0x0
	s_barrier_signal -1
	s_barrier_wait -1
	s_and_b32 s66, s6, vcc_lo
	s_delay_alu instid0(SALU_CYCLE_1)
	s_and_saveexec_b32 s8, s66
	s_cbranch_execz .LBB40_550
; %bb.549:                              ;   in Loop: Header=BB40_542 Depth=2
	ds_load_b64 v[34:35], v33 offset:1024
	ds_load_b64 v[36:37], v58
	s_wait_dscnt 0x0
	v_fma_f64 v[30:31], -v[34:35], v[36:37], v[30:31]
.LBB40_550:                             ;   in Loop: Header=BB40_542 Depth=2
	s_or_b32 exec_lo, exec_lo, s8
	s_add_co_i32 s8, s7, -2
	s_delay_alu instid0(SALU_CYCLE_1) | instskip(SKIP_3) | instid1(SALU_CYCLE_1)
	v_cmp_eq_u32_e32 vcc_lo, s8, v56
	s_barrier_signal -1
	s_barrier_wait -1
	s_and_b32 s67, s6, vcc_lo
	s_and_saveexec_b32 s66, s67
	s_cbranch_execz .LBB40_552
; %bb.551:                              ;   in Loop: Header=BB40_542 Depth=2
	ds_load_b64 v[34:35], v61
	s_wait_dscnt 0x0
	v_mul_f64_e32 v[30:31], v[30:31], v[34:35]
	s_delay_alu instid0(VALU_DEP_1) | instskip(NEXT) | instid1(VALU_DEP_2)
	v_xor_b32_e32 v35, 0x80000000, v31
	v_mov_b32_e32 v34, v30
	ds_store_b64 v58, v[34:35]
.LBB40_552:                             ;   in Loop: Header=BB40_542 Depth=2
	s_or_b32 exec_lo, exec_lo, s66
	v_cmp_gt_u32_e32 vcc_lo, s8, v56
	s_wait_dscnt 0x0
	s_barrier_signal -1
	s_barrier_wait -1
	s_and_b32 s66, s6, vcc_lo
	s_delay_alu instid0(SALU_CYCLE_1)
	s_and_saveexec_b32 s8, s66
	s_cbranch_execz .LBB40_554
; %bb.553:                              ;   in Loop: Header=BB40_542 Depth=2
	ds_load_b64 v[34:35], v33 offset:512
	ds_load_b64 v[36:37], v58
	s_wait_dscnt 0x0
	v_fma_f64 v[30:31], -v[34:35], v[36:37], v[30:31]
.LBB40_554:                             ;   in Loop: Header=BB40_542 Depth=2
	s_or_b32 exec_lo, exec_lo, s8
	s_add_co_i32 s98, s7, -3
	s_delay_alu instid0(SALU_CYCLE_1) | instskip(SKIP_3) | instid1(SALU_CYCLE_1)
	v_cmp_eq_u32_e32 vcc_lo, s98, v56
	s_barrier_signal -1
	s_barrier_wait -1
	s_and_b32 s66, s6, vcc_lo
	s_and_saveexec_b32 s8, s66
	s_cbranch_execz .LBB40_556
; %bb.555:                              ;   in Loop: Header=BB40_542 Depth=2
	ds_load_b64 v[34:35], v61
	s_wait_dscnt 0x0
	v_mul_f64_e32 v[30:31], v[30:31], v[34:35]
	s_delay_alu instid0(VALU_DEP_1) | instskip(NEXT) | instid1(VALU_DEP_2)
	v_xor_b32_e32 v35, 0x80000000, v31
	v_mov_b32_e32 v34, v30
	ds_store_b64 v58, v[34:35]
.LBB40_556:                             ;   in Loop: Header=BB40_542 Depth=2
	s_or_b32 exec_lo, exec_lo, s8
	v_cmp_gt_u32_e32 vcc_lo, s98, v56
	s_wait_dscnt 0x0
	s_barrier_signal -1
	s_barrier_wait -1
	s_and_b32 s66, s6, vcc_lo
	s_delay_alu instid0(SALU_CYCLE_1)
	s_and_saveexec_b32 s8, s66
	s_cbranch_execz .LBB40_541
; %bb.557:                              ;   in Loop: Header=BB40_542 Depth=2
	ds_load_b64 v[34:35], v33
	ds_load_b64 v[36:37], v58
	s_wait_dscnt 0x0
	v_fma_f64 v[30:31], -v[34:35], v[36:37], v[30:31]
	s_branch .LBB40_541
.LBB40_558:                             ;   in Loop: Header=BB40_3 Depth=1
	s_and_saveexec_b32 s7, s35
; %bb.559:                              ;   in Loop: Header=BB40_3 Depth=1
	ds_store_b64 v64, v[30:31] offset:32256
; %bb.560:                              ;   in Loop: Header=BB40_3 Depth=1
	s_or_b32 exec_lo, exec_lo, s7
	s_wait_dscnt 0x0
	s_barrier_signal -1
	s_barrier_wait -1
	s_barrier_signal -1
	s_barrier_wait -1
	s_and_saveexec_b32 s7, s14
	s_cbranch_execz .LBB40_562
; %bb.561:                              ;   in Loop: Header=BB40_3 Depth=1
	ds_load_b128 v[30:33], v5 offset:16112
	ds_load_b64 v[34:35], v5 offset:15600
	s_wait_dscnt 0x0
	v_mul_f64_e32 v[32:33], v[34:35], v[32:33]
	s_delay_alu instid0(VALU_DEP_1)
	v_mul_f64_e32 v[30:31], v[30:31], v[32:33]
	ds_store_b64 v5, v[30:31] offset:16112
.LBB40_562:                             ;   in Loop: Header=BB40_3 Depth=1
	s_or_b32 exec_lo, exec_lo, s7
	v_mov_b64_e32 v[30:31], 0
	s_wait_dscnt 0x0
	s_barrier_signal -1
	s_barrier_wait -1
	global_wb scope:SCOPE_DEV
	s_wait_storecnt 0x0
	global_inv scope:SCOPE_DEV
	s_and_saveexec_b32 s7, s1
	s_cbranch_execz .LBB40_566
; %bb.563:                              ;   in Loop: Header=BB40_3 Depth=1
	ds_load_b64 v[30:31], v42 offset:15584
	ds_load_b64 v[32:33], v41 offset:16112
	s_wait_dscnt 0x0
	v_fma_f64 v[30:31], v[30:31], v[32:33], 0
	s_and_saveexec_b32 s8, s15
	s_cbranch_execz .LBB40_565
; %bb.564:                              ;   in Loop: Header=BB40_3 Depth=1
	ds_load_b64 v[32:33], v43 offset:16096
	ds_load_b64 v[34:35], v5 offset:16120
	s_wait_dscnt 0x0
	v_fmac_f64_e32 v[30:31], v[32:33], v[34:35]
.LBB40_565:                             ;   in Loop: Header=BB40_3 Depth=1
	s_or_b32 exec_lo, exec_lo, s8
.LBB40_566:                             ;   in Loop: Header=BB40_3 Depth=1
	s_delay_alu instid0(SALU_CYCLE_1)
	s_or_b32 exec_lo, exec_lo, s7
	s_and_saveexec_b32 s7, vcc_hi
	s_cbranch_execz .LBB40_568
; %bb.567:                              ;   in Loop: Header=BB40_3 Depth=1
	ds_load_b64 v[32:33], v5 offset:15080
	s_wait_dscnt 0x0
	v_mul_f64_e32 v[30:31], v[30:31], v[32:33]
	s_delay_alu instid0(VALU_DEP_1) | instskip(NEXT) | instid1(VALU_DEP_2)
	v_xor_b32_e32 v33, 0x80000000, v31
	v_mov_b32_e32 v32, v30
	ds_store_b64 v3, v[32:33]
.LBB40_568:                             ;   in Loop: Header=BB40_3 Depth=1
	s_or_b32 exec_lo, exec_lo, s7
	s_wait_loadcnt_dscnt 0x0
	s_barrier_signal -1
	s_barrier_wait -1
	s_and_saveexec_b32 s7, s36
	s_cbranch_execz .LBB40_570
; %bb.569:                              ;   in Loop: Header=BB40_3 Depth=1
	ds_load_b64 v[32:33], v5 offset:15072
	ds_load_b64 v[34:35], v3
	s_wait_dscnt 0x0
	v_fma_f64 v[30:31], -v[32:33], v[34:35], v[30:31]
.LBB40_570:                             ;   in Loop: Header=BB40_3 Depth=1
	s_or_b32 exec_lo, exec_lo, s7
	s_barrier_signal -1
	s_barrier_wait -1
	s_and_saveexec_b32 s7, s36
	s_cbranch_execz .LBB40_572
; %bb.571:                              ;   in Loop: Header=BB40_3 Depth=1
	ds_load_b64 v[32:33], v5 offset:14560
	s_wait_dscnt 0x0
	v_mul_f64_e32 v[30:31], v[30:31], v[32:33]
	s_delay_alu instid0(VALU_DEP_1) | instskip(NEXT) | instid1(VALU_DEP_2)
	v_xor_b32_e32 v33, 0x80000000, v31
	v_mov_b32_e32 v32, v30
	ds_store_b64 v3, v[32:33]
.LBB40_572:                             ;   in Loop: Header=BB40_3 Depth=1
	s_or_b32 exec_lo, exec_lo, s7
	s_wait_dscnt 0x0
	s_barrier_signal -1
	s_barrier_wait -1
	s_barrier_signal -1
	s_barrier_wait -1
	s_and_saveexec_b32 s7, s1
; %bb.573:                              ;   in Loop: Header=BB40_3 Depth=1
	ds_store_b64 v44, v[30:31] offset:16096
; %bb.574:                              ;   in Loop: Header=BB40_3 Depth=1
	s_or_b32 exec_lo, exec_lo, s7
	s_wait_dscnt 0x0
	s_barrier_signal -1
	s_barrier_wait -1
	s_barrier_signal -1
	s_barrier_wait -1
	s_and_saveexec_b32 s7, s14
	s_cbranch_execz .LBB40_576
; %bb.575:                              ;   in Loop: Header=BB40_3 Depth=1
	ds_load_b128 v[30:33], v5 offset:15072
	ds_load_b64 v[34:35], v5 offset:14560
	s_wait_dscnt 0x0
	v_mul_f64_e32 v[32:33], v[34:35], v[32:33]
	s_delay_alu instid0(VALU_DEP_1)
	v_mul_f64_e32 v[30:31], v[30:31], v[32:33]
	ds_store_b64 v5, v[30:31] offset:15072
.LBB40_576:                             ;   in Loop: Header=BB40_3 Depth=1
	s_or_b32 exec_lo, exec_lo, s7
	v_mov_b64_e32 v[30:31], 0
	s_wait_dscnt 0x0
	s_barrier_signal -1
	s_barrier_wait -1
	global_wb scope:SCOPE_DEV
	s_wait_storecnt 0x0
	global_inv scope:SCOPE_DEV
	s_and_saveexec_b32 s7, s2
	s_cbranch_execz .LBB40_582
; %bb.577:                              ;   in Loop: Header=BB40_3 Depth=1
	ds_load_b64 v[30:31], v47 offset:14528
	ds_load_b64 v[32:33], v46 offset:16096
	s_wait_dscnt 0x0
	v_fma_f64 v[30:31], v[30:31], v[32:33], 0
	s_and_saveexec_b32 s8, s16
	s_cbranch_execnz .LBB40_1063
; %bb.578:                              ;   in Loop: Header=BB40_3 Depth=1
	s_or_b32 exec_lo, exec_lo, s8
	s_and_saveexec_b32 s8, s17
	s_cbranch_execnz .LBB40_1064
.LBB40_579:                             ;   in Loop: Header=BB40_3 Depth=1
	s_or_b32 exec_lo, exec_lo, s8
	s_and_saveexec_b32 s8, s1
	s_cbranch_execz .LBB40_581
.LBB40_580:                             ;   in Loop: Header=BB40_3 Depth=1
	ds_load_b64 v[32:33], v43 offset:16064
	ds_load_b64 v[34:35], v5 offset:16120
	s_wait_dscnt 0x0
	v_fmac_f64_e32 v[30:31], v[32:33], v[34:35]
.LBB40_581:                             ;   in Loop: Header=BB40_3 Depth=1
	s_or_b32 exec_lo, exec_lo, s8
.LBB40_582:                             ;   in Loop: Header=BB40_3 Depth=1
	s_delay_alu instid0(SALU_CYCLE_1)
	s_or_b32 exec_lo, exec_lo, s7
	s_and_saveexec_b32 s7, s37
	s_cbranch_execz .LBB40_584
; %bb.583:                              ;   in Loop: Header=BB40_3 Depth=1
	ds_load_b64 v[32:33], v5 offset:14040
	s_wait_dscnt 0x0
	v_mul_f64_e32 v[30:31], v[30:31], v[32:33]
	s_delay_alu instid0(VALU_DEP_1) | instskip(NEXT) | instid1(VALU_DEP_2)
	v_xor_b32_e32 v33, 0x80000000, v31
	v_mov_b32_e32 v32, v30
	ds_store_b64 v45, v[32:33]
.LBB40_584:                             ;   in Loop: Header=BB40_3 Depth=1
	s_or_b32 exec_lo, exec_lo, s7
	s_wait_loadcnt_dscnt 0x0
	s_barrier_signal -1
	s_barrier_wait -1
	s_and_saveexec_b32 s7, s38
	s_cbranch_execz .LBB40_586
; %bb.585:                              ;   in Loop: Header=BB40_3 Depth=1
	ds_load_b64 v[32:33], v47 offset:14016
	ds_load_b64 v[34:35], v45
	s_wait_dscnt 0x0
	v_fma_f64 v[30:31], -v[32:33], v[34:35], v[30:31]
.LBB40_586:                             ;   in Loop: Header=BB40_3 Depth=1
	s_or_b32 exec_lo, exec_lo, s7
	s_barrier_signal -1
	s_barrier_wait -1
	s_and_saveexec_b32 s7, s39
	s_cbranch_execz .LBB40_588
; %bb.587:                              ;   in Loop: Header=BB40_3 Depth=1
	ds_load_b64 v[32:33], v5 offset:13520
	s_wait_dscnt 0x0
	v_mul_f64_e32 v[30:31], v[30:31], v[32:33]
	s_delay_alu instid0(VALU_DEP_1) | instskip(NEXT) | instid1(VALU_DEP_2)
	v_xor_b32_e32 v33, 0x80000000, v31
	v_mov_b32_e32 v32, v30
	ds_store_b64 v45, v[32:33]
.LBB40_588:                             ;   in Loop: Header=BB40_3 Depth=1
	s_or_b32 exec_lo, exec_lo, s7
	s_wait_dscnt 0x0
	s_barrier_signal -1
	s_barrier_wait -1
	s_and_saveexec_b32 s7, s40
	s_cbranch_execz .LBB40_590
; %bb.589:                              ;   in Loop: Header=BB40_3 Depth=1
	ds_load_b64 v[32:33], v47 offset:13504
	ds_load_b64 v[34:35], v45
	s_wait_dscnt 0x0
	v_fma_f64 v[30:31], -v[32:33], v[34:35], v[30:31]
.LBB40_590:                             ;   in Loop: Header=BB40_3 Depth=1
	s_or_b32 exec_lo, exec_lo, s7
	s_barrier_signal -1
	s_barrier_wait -1
	s_and_saveexec_b32 s7, s41
	s_cbranch_execz .LBB40_592
; %bb.591:                              ;   in Loop: Header=BB40_3 Depth=1
	ds_load_b64 v[32:33], v5 offset:13000
	s_wait_dscnt 0x0
	v_mul_f64_e32 v[30:31], v[30:31], v[32:33]
	s_delay_alu instid0(VALU_DEP_1) | instskip(NEXT) | instid1(VALU_DEP_2)
	v_xor_b32_e32 v33, 0x80000000, v31
	v_mov_b32_e32 v32, v30
	ds_store_b64 v45, v[32:33]
.LBB40_592:                             ;   in Loop: Header=BB40_3 Depth=1
	s_or_b32 exec_lo, exec_lo, s7
	s_wait_dscnt 0x0
	;; [unrolled: 26-line block ×3, first 2 shown]
	s_barrier_signal -1
	s_barrier_wait -1
	s_barrier_signal -1
	s_barrier_wait -1
	s_and_saveexec_b32 s7, s2
; %bb.597:                              ;   in Loop: Header=BB40_3 Depth=1
	ds_store_b64 v48, v[30:31] offset:16064
; %bb.598:                              ;   in Loop: Header=BB40_3 Depth=1
	s_or_b32 exec_lo, exec_lo, s7
	s_wait_dscnt 0x0
	s_barrier_signal -1
	s_barrier_wait -1
	s_barrier_signal -1
	s_barrier_wait -1
	s_and_saveexec_b32 s7, s14
	s_cbranch_execz .LBB40_600
; %bb.599:                              ;   in Loop: Header=BB40_3 Depth=1
	ds_load_b128 v[30:33], v5 offset:14032
	ds_load_b64 v[34:35], v5 offset:13520
	s_wait_dscnt 0x0
	v_mul_f64_e32 v[32:33], v[34:35], v[32:33]
	s_delay_alu instid0(VALU_DEP_1)
	v_mul_f64_e32 v[30:31], v[30:31], v[32:33]
	ds_store_b64 v5, v[30:31] offset:14032
.LBB40_600:                             ;   in Loop: Header=BB40_3 Depth=1
	s_or_b32 exec_lo, exec_lo, s7
	v_mov_b64_e32 v[30:31], 0
	s_wait_dscnt 0x0
	s_barrier_signal -1
	s_barrier_wait -1
	global_wb scope:SCOPE_DEV
	s_wait_storecnt 0x0
	global_inv scope:SCOPE_DEV
	s_and_saveexec_b32 s7, s1
	s_cbranch_execz .LBB40_604
; %bb.601:                              ;   in Loop: Header=BB40_3 Depth=1
	ds_load_b64 v[30:31], v42 offset:13504
	ds_load_b64 v[32:33], v41 offset:14032
	s_wait_dscnt 0x0
	v_fma_f64 v[30:31], v[30:31], v[32:33], 0
	s_and_saveexec_b32 s8, s15
	s_cbranch_execz .LBB40_603
; %bb.602:                              ;   in Loop: Header=BB40_3 Depth=1
	ds_load_b64 v[32:33], v43 offset:14016
	ds_load_b64 v[34:35], v5 offset:14040
	s_wait_dscnt 0x0
	v_fmac_f64_e32 v[30:31], v[32:33], v[34:35]
.LBB40_603:                             ;   in Loop: Header=BB40_3 Depth=1
	s_or_b32 exec_lo, exec_lo, s8
.LBB40_604:                             ;   in Loop: Header=BB40_3 Depth=1
	s_delay_alu instid0(SALU_CYCLE_1)
	s_or_b32 exec_lo, exec_lo, s7
	s_and_saveexec_b32 s7, vcc_hi
	s_cbranch_execz .LBB40_606
; %bb.605:                              ;   in Loop: Header=BB40_3 Depth=1
	ds_load_b64 v[32:33], v5 offset:13000
	s_wait_dscnt 0x0
	v_mul_f64_e32 v[30:31], v[30:31], v[32:33]
	s_delay_alu instid0(VALU_DEP_1) | instskip(NEXT) | instid1(VALU_DEP_2)
	v_xor_b32_e32 v33, 0x80000000, v31
	v_mov_b32_e32 v32, v30
	ds_store_b64 v3, v[32:33]
.LBB40_606:                             ;   in Loop: Header=BB40_3 Depth=1
	s_or_b32 exec_lo, exec_lo, s7
	s_wait_loadcnt_dscnt 0x0
	s_barrier_signal -1
	s_barrier_wait -1
	s_and_saveexec_b32 s7, s36
	s_cbranch_execz .LBB40_608
; %bb.607:                              ;   in Loop: Header=BB40_3 Depth=1
	ds_load_b64 v[32:33], v5 offset:12992
	ds_load_b64 v[34:35], v3
	s_wait_dscnt 0x0
	v_fma_f64 v[30:31], -v[32:33], v[34:35], v[30:31]
.LBB40_608:                             ;   in Loop: Header=BB40_3 Depth=1
	s_or_b32 exec_lo, exec_lo, s7
	s_barrier_signal -1
	s_barrier_wait -1
	s_and_saveexec_b32 s7, s36
	s_cbranch_execz .LBB40_610
; %bb.609:                              ;   in Loop: Header=BB40_3 Depth=1
	ds_load_b64 v[32:33], v5 offset:12480
	s_wait_dscnt 0x0
	v_mul_f64_e32 v[30:31], v[30:31], v[32:33]
	s_delay_alu instid0(VALU_DEP_1) | instskip(NEXT) | instid1(VALU_DEP_2)
	v_xor_b32_e32 v33, 0x80000000, v31
	v_mov_b32_e32 v32, v30
	ds_store_b64 v3, v[32:33]
.LBB40_610:                             ;   in Loop: Header=BB40_3 Depth=1
	s_or_b32 exec_lo, exec_lo, s7
	s_wait_dscnt 0x0
	s_barrier_signal -1
	s_barrier_wait -1
	s_barrier_signal -1
	s_barrier_wait -1
	s_and_saveexec_b32 s7, s1
; %bb.611:                              ;   in Loop: Header=BB40_3 Depth=1
	ds_store_b64 v44, v[30:31] offset:14016
; %bb.612:                              ;   in Loop: Header=BB40_3 Depth=1
	s_or_b32 exec_lo, exec_lo, s7
	s_wait_dscnt 0x0
	s_barrier_signal -1
	s_barrier_wait -1
	s_barrier_signal -1
	s_barrier_wait -1
	s_and_saveexec_b32 s7, s14
	s_cbranch_execz .LBB40_614
; %bb.613:                              ;   in Loop: Header=BB40_3 Depth=1
	ds_load_b128 v[30:33], v5 offset:12992
	ds_load_b64 v[34:35], v5 offset:12480
	s_wait_dscnt 0x0
	v_mul_f64_e32 v[32:33], v[34:35], v[32:33]
	s_delay_alu instid0(VALU_DEP_1)
	v_mul_f64_e32 v[30:31], v[30:31], v[32:33]
	ds_store_b64 v5, v[30:31] offset:12992
.LBB40_614:                             ;   in Loop: Header=BB40_3 Depth=1
	s_or_b32 exec_lo, exec_lo, s7
	v_mov_b64_e32 v[30:31], 0
	s_wait_dscnt 0x0
	s_barrier_signal -1
	s_barrier_wait -1
	global_wb scope:SCOPE_DEV
	s_wait_storecnt 0x0
	global_inv scope:SCOPE_DEV
	s_and_saveexec_b32 s7, s3
	s_cbranch_execz .LBB40_624
; %bb.615:                              ;   in Loop: Header=BB40_3 Depth=1
	ds_load_b64 v[30:31], v51 offset:12416
	ds_load_b64 v[32:33], v50 offset:16064
	s_wait_dscnt 0x0
	v_fma_f64 v[30:31], v[30:31], v[32:33], 0
	s_and_saveexec_b32 s8, s18
	s_cbranch_execnz .LBB40_1065
; %bb.616:                              ;   in Loop: Header=BB40_3 Depth=1
	s_or_b32 exec_lo, exec_lo, s8
	s_and_saveexec_b32 s8, s19
	s_cbranch_execnz .LBB40_1066
.LBB40_617:                             ;   in Loop: Header=BB40_3 Depth=1
	s_or_b32 exec_lo, exec_lo, s8
	s_and_saveexec_b32 s8, s20
	s_cbranch_execnz .LBB40_1067
.LBB40_618:                             ;   in Loop: Header=BB40_3 Depth=1
	s_or_b32 exec_lo, exec_lo, s8
	s_and_saveexec_b32 s8, s21
	s_cbranch_execnz .LBB40_1068
.LBB40_619:                             ;   in Loop: Header=BB40_3 Depth=1
	s_or_b32 exec_lo, exec_lo, s8
	s_and_saveexec_b32 s8, s22
	s_cbranch_execnz .LBB40_1069
.LBB40_620:                             ;   in Loop: Header=BB40_3 Depth=1
	s_or_b32 exec_lo, exec_lo, s8
	s_and_saveexec_b32 s8, s2
	s_cbranch_execnz .LBB40_1070
.LBB40_621:                             ;   in Loop: Header=BB40_3 Depth=1
	s_or_b32 exec_lo, exec_lo, s8
	s_and_saveexec_b32 s8, s17
	s_cbranch_execz .LBB40_623
.LBB40_622:                             ;   in Loop: Header=BB40_3 Depth=1
	ds_load_b64 v[32:33], v43 offset:16000
	ds_load_b64 v[34:35], v5 offset:16120
	s_wait_dscnt 0x0
	v_fmac_f64_e32 v[30:31], v[32:33], v[34:35]
.LBB40_623:                             ;   in Loop: Header=BB40_3 Depth=1
	s_or_b32 exec_lo, exec_lo, s8
.LBB40_624:                             ;   in Loop: Header=BB40_3 Depth=1
	s_delay_alu instid0(SALU_CYCLE_1)
	s_or_b32 exec_lo, exec_lo, s7
	s_and_saveexec_b32 s7, s43
	s_cbranch_execz .LBB40_626
; %bb.625:                              ;   in Loop: Header=BB40_3 Depth=1
	ds_load_b64 v[32:33], v5 offset:11960
	s_wait_dscnt 0x0
	v_mul_f64_e32 v[30:31], v[30:31], v[32:33]
	s_delay_alu instid0(VALU_DEP_1) | instskip(NEXT) | instid1(VALU_DEP_2)
	v_xor_b32_e32 v33, 0x80000000, v31
	v_mov_b32_e32 v32, v30
	ds_store_b64 v49, v[32:33]
.LBB40_626:                             ;   in Loop: Header=BB40_3 Depth=1
	s_or_b32 exec_lo, exec_lo, s7
	s_wait_loadcnt_dscnt 0x0
	s_barrier_signal -1
	s_barrier_wait -1
	s_and_saveexec_b32 s7, s44
	s_cbranch_execz .LBB40_628
; %bb.627:                              ;   in Loop: Header=BB40_3 Depth=1
	ds_load_b64 v[32:33], v51 offset:11904
	ds_load_b64 v[34:35], v49
	s_wait_dscnt 0x0
	v_fma_f64 v[30:31], -v[32:33], v[34:35], v[30:31]
.LBB40_628:                             ;   in Loop: Header=BB40_3 Depth=1
	s_or_b32 exec_lo, exec_lo, s7
	s_barrier_signal -1
	s_barrier_wait -1
	s_and_saveexec_b32 s7, s45
	s_cbranch_execz .LBB40_630
; %bb.629:                              ;   in Loop: Header=BB40_3 Depth=1
	ds_load_b64 v[32:33], v5 offset:11440
	s_wait_dscnt 0x0
	v_mul_f64_e32 v[30:31], v[30:31], v[32:33]
	s_delay_alu instid0(VALU_DEP_1) | instskip(NEXT) | instid1(VALU_DEP_2)
	v_xor_b32_e32 v33, 0x80000000, v31
	v_mov_b32_e32 v32, v30
	ds_store_b64 v49, v[32:33]
.LBB40_630:                             ;   in Loop: Header=BB40_3 Depth=1
	s_or_b32 exec_lo, exec_lo, s7
	s_wait_dscnt 0x0
	s_barrier_signal -1
	s_barrier_wait -1
	s_and_saveexec_b32 s7, s46
	s_cbranch_execz .LBB40_632
; %bb.631:                              ;   in Loop: Header=BB40_3 Depth=1
	ds_load_b64 v[32:33], v51 offset:11392
	ds_load_b64 v[34:35], v49
	s_wait_dscnt 0x0
	v_fma_f64 v[30:31], -v[32:33], v[34:35], v[30:31]
.LBB40_632:                             ;   in Loop: Header=BB40_3 Depth=1
	s_or_b32 exec_lo, exec_lo, s7
	s_barrier_signal -1
	s_barrier_wait -1
	s_and_saveexec_b32 s7, s47
	s_cbranch_execz .LBB40_634
; %bb.633:                              ;   in Loop: Header=BB40_3 Depth=1
	ds_load_b64 v[32:33], v5 offset:10920
	s_wait_dscnt 0x0
	v_mul_f64_e32 v[30:31], v[30:31], v[32:33]
	s_delay_alu instid0(VALU_DEP_1) | instskip(NEXT) | instid1(VALU_DEP_2)
	v_xor_b32_e32 v33, 0x80000000, v31
	v_mov_b32_e32 v32, v30
	ds_store_b64 v49, v[32:33]
.LBB40_634:                             ;   in Loop: Header=BB40_3 Depth=1
	s_or_b32 exec_lo, exec_lo, s7
	s_wait_dscnt 0x0
	s_barrier_signal -1
	s_barrier_wait -1
	s_and_saveexec_b32 s7, s48
	s_cbranch_execz .LBB40_636
; %bb.635:                              ;   in Loop: Header=BB40_3 Depth=1
	ds_load_b64 v[32:33], v51 offset:10880
	ds_load_b64 v[34:35], v49
	s_wait_dscnt 0x0
	v_fma_f64 v[30:31], -v[32:33], v[34:35], v[30:31]
.LBB40_636:                             ;   in Loop: Header=BB40_3 Depth=1
	s_or_b32 exec_lo, exec_lo, s7
	s_barrier_signal -1
	s_barrier_wait -1
	s_and_saveexec_b32 s7, s49
	s_cbranch_execz .LBB40_638
; %bb.637:                              ;   in Loop: Header=BB40_3 Depth=1
	ds_load_b64 v[32:33], v5 offset:10400
	s_wait_dscnt 0x0
	v_mul_f64_e32 v[30:31], v[30:31], v[32:33]
	s_delay_alu instid0(VALU_DEP_1) | instskip(NEXT) | instid1(VALU_DEP_2)
	v_xor_b32_e32 v33, 0x80000000, v31
	v_mov_b32_e32 v32, v30
	ds_store_b64 v49, v[32:33]
.LBB40_638:                             ;   in Loop: Header=BB40_3 Depth=1
	s_or_b32 exec_lo, exec_lo, s7
	s_wait_dscnt 0x0
	s_barrier_signal -1
	s_barrier_wait -1
	s_and_saveexec_b32 s7, s50
	s_cbranch_execz .LBB40_640
; %bb.639:                              ;   in Loop: Header=BB40_3 Depth=1
	ds_load_b64 v[32:33], v51 offset:10368
	ds_load_b64 v[34:35], v49
	s_wait_dscnt 0x0
	v_fma_f64 v[30:31], -v[32:33], v[34:35], v[30:31]
.LBB40_640:                             ;   in Loop: Header=BB40_3 Depth=1
	s_or_b32 exec_lo, exec_lo, s7
	s_barrier_signal -1
	s_barrier_wait -1
	s_and_saveexec_b32 s7, s51
	s_cbranch_execz .LBB40_642
; %bb.641:                              ;   in Loop: Header=BB40_3 Depth=1
	ds_load_b64 v[32:33], v5 offset:9880
	s_wait_dscnt 0x0
	v_mul_f64_e32 v[30:31], v[30:31], v[32:33]
	s_delay_alu instid0(VALU_DEP_1) | instskip(NEXT) | instid1(VALU_DEP_2)
	v_xor_b32_e32 v33, 0x80000000, v31
	v_mov_b32_e32 v32, v30
	ds_store_b64 v49, v[32:33]
.LBB40_642:                             ;   in Loop: Header=BB40_3 Depth=1
	s_or_b32 exec_lo, exec_lo, s7
	s_wait_dscnt 0x0
	s_barrier_signal -1
	s_barrier_wait -1
	s_and_saveexec_b32 s7, s52
	s_cbranch_execz .LBB40_644
; %bb.643:                              ;   in Loop: Header=BB40_3 Depth=1
	ds_load_b64 v[32:33], v51 offset:9856
	ds_load_b64 v[34:35], v49
	s_wait_dscnt 0x0
	v_fma_f64 v[30:31], -v[32:33], v[34:35], v[30:31]
.LBB40_644:                             ;   in Loop: Header=BB40_3 Depth=1
	s_or_b32 exec_lo, exec_lo, s7
	s_barrier_signal -1
	s_barrier_wait -1
	s_and_saveexec_b32 s7, s53
	s_cbranch_execz .LBB40_646
; %bb.645:                              ;   in Loop: Header=BB40_3 Depth=1
	ds_load_b64 v[32:33], v5 offset:9360
	s_wait_dscnt 0x0
	v_mul_f64_e32 v[30:31], v[30:31], v[32:33]
	s_delay_alu instid0(VALU_DEP_1) | instskip(NEXT) | instid1(VALU_DEP_2)
	v_xor_b32_e32 v33, 0x80000000, v31
	v_mov_b32_e32 v32, v30
	ds_store_b64 v49, v[32:33]
.LBB40_646:                             ;   in Loop: Header=BB40_3 Depth=1
	s_or_b32 exec_lo, exec_lo, s7
	s_wait_dscnt 0x0
	s_barrier_signal -1
	s_barrier_wait -1
	s_and_saveexec_b32 s7, s54
	s_cbranch_execz .LBB40_648
; %bb.647:                              ;   in Loop: Header=BB40_3 Depth=1
	ds_load_b64 v[32:33], v51 offset:9344
	ds_load_b64 v[34:35], v49
	s_wait_dscnt 0x0
	v_fma_f64 v[30:31], -v[32:33], v[34:35], v[30:31]
.LBB40_648:                             ;   in Loop: Header=BB40_3 Depth=1
	s_or_b32 exec_lo, exec_lo, s7
	s_barrier_signal -1
	s_barrier_wait -1
	s_and_saveexec_b32 s7, s55
	s_cbranch_execz .LBB40_650
; %bb.649:                              ;   in Loop: Header=BB40_3 Depth=1
	ds_load_b64 v[32:33], v5 offset:8840
	s_wait_dscnt 0x0
	v_mul_f64_e32 v[30:31], v[30:31], v[32:33]
	s_delay_alu instid0(VALU_DEP_1) | instskip(NEXT) | instid1(VALU_DEP_2)
	v_xor_b32_e32 v33, 0x80000000, v31
	v_mov_b32_e32 v32, v30
	ds_store_b64 v49, v[32:33]
.LBB40_650:                             ;   in Loop: Header=BB40_3 Depth=1
	s_or_b32 exec_lo, exec_lo, s7
	s_wait_dscnt 0x0
	s_barrier_signal -1
	s_barrier_wait -1
	s_and_saveexec_b32 s7, s56
	s_cbranch_execz .LBB40_652
; %bb.651:                              ;   in Loop: Header=BB40_3 Depth=1
	ds_load_b64 v[32:33], v5 offset:8832
	ds_load_b64 v[34:35], v49
	s_wait_dscnt 0x0
	v_fma_f64 v[30:31], -v[32:33], v[34:35], v[30:31]
.LBB40_652:                             ;   in Loop: Header=BB40_3 Depth=1
	s_or_b32 exec_lo, exec_lo, s7
	s_barrier_signal -1
	s_barrier_wait -1
	s_and_saveexec_b32 s7, s56
	s_cbranch_execz .LBB40_654
; %bb.653:                              ;   in Loop: Header=BB40_3 Depth=1
	ds_load_b64 v[32:33], v5 offset:8320
	s_wait_dscnt 0x0
	v_mul_f64_e32 v[30:31], v[30:31], v[32:33]
	s_delay_alu instid0(VALU_DEP_1) | instskip(NEXT) | instid1(VALU_DEP_2)
	v_xor_b32_e32 v33, 0x80000000, v31
	v_mov_b32_e32 v32, v30
	ds_store_b64 v49, v[32:33]
.LBB40_654:                             ;   in Loop: Header=BB40_3 Depth=1
	s_or_b32 exec_lo, exec_lo, s7
	s_wait_dscnt 0x0
	s_barrier_signal -1
	s_barrier_wait -1
	s_barrier_signal -1
	s_barrier_wait -1
	s_and_saveexec_b32 s7, s3
; %bb.655:                              ;   in Loop: Header=BB40_3 Depth=1
	ds_store_b64 v52, v[30:31] offset:16000
; %bb.656:                              ;   in Loop: Header=BB40_3 Depth=1
	s_or_b32 exec_lo, exec_lo, s7
	s_wait_dscnt 0x0
	s_barrier_signal -1
	s_barrier_wait -1
	s_barrier_signal -1
	s_barrier_wait -1
	s_and_saveexec_b32 s7, s14
	s_cbranch_execz .LBB40_658
; %bb.657:                              ;   in Loop: Header=BB40_3 Depth=1
	ds_load_b128 v[30:33], v5 offset:11952
	ds_load_b64 v[34:35], v5 offset:11440
	s_wait_dscnt 0x0
	v_mul_f64_e32 v[32:33], v[34:35], v[32:33]
	s_delay_alu instid0(VALU_DEP_1)
	v_mul_f64_e32 v[30:31], v[30:31], v[32:33]
	ds_store_b64 v5, v[30:31] offset:11952
.LBB40_658:                             ;   in Loop: Header=BB40_3 Depth=1
	s_or_b32 exec_lo, exec_lo, s7
	v_mov_b64_e32 v[30:31], 0
	s_wait_dscnt 0x0
	s_barrier_signal -1
	s_barrier_wait -1
	global_wb scope:SCOPE_DEV
	s_wait_storecnt 0x0
	global_inv scope:SCOPE_DEV
	s_and_saveexec_b32 s7, s1
	s_cbranch_execz .LBB40_662
; %bb.659:                              ;   in Loop: Header=BB40_3 Depth=1
	ds_load_b64 v[30:31], v42 offset:11424
	ds_load_b64 v[32:33], v41 offset:11952
	s_wait_dscnt 0x0
	v_fma_f64 v[30:31], v[30:31], v[32:33], 0
	s_and_saveexec_b32 s8, s15
	s_cbranch_execz .LBB40_661
; %bb.660:                              ;   in Loop: Header=BB40_3 Depth=1
	ds_load_b64 v[32:33], v43 offset:11936
	ds_load_b64 v[34:35], v5 offset:11960
	s_wait_dscnt 0x0
	v_fmac_f64_e32 v[30:31], v[32:33], v[34:35]
.LBB40_661:                             ;   in Loop: Header=BB40_3 Depth=1
	s_or_b32 exec_lo, exec_lo, s8
.LBB40_662:                             ;   in Loop: Header=BB40_3 Depth=1
	s_delay_alu instid0(SALU_CYCLE_1)
	s_or_b32 exec_lo, exec_lo, s7
	s_and_saveexec_b32 s7, vcc_hi
	s_cbranch_execz .LBB40_664
; %bb.663:                              ;   in Loop: Header=BB40_3 Depth=1
	ds_load_b64 v[32:33], v5 offset:10920
	s_wait_dscnt 0x0
	v_mul_f64_e32 v[30:31], v[30:31], v[32:33]
	s_delay_alu instid0(VALU_DEP_1) | instskip(NEXT) | instid1(VALU_DEP_2)
	v_xor_b32_e32 v33, 0x80000000, v31
	v_mov_b32_e32 v32, v30
	ds_store_b64 v3, v[32:33]
.LBB40_664:                             ;   in Loop: Header=BB40_3 Depth=1
	s_or_b32 exec_lo, exec_lo, s7
	s_wait_loadcnt_dscnt 0x0
	s_barrier_signal -1
	s_barrier_wait -1
	s_and_saveexec_b32 s7, s36
	s_cbranch_execz .LBB40_666
; %bb.665:                              ;   in Loop: Header=BB40_3 Depth=1
	ds_load_b64 v[32:33], v5 offset:10912
	ds_load_b64 v[34:35], v3
	s_wait_dscnt 0x0
	v_fma_f64 v[30:31], -v[32:33], v[34:35], v[30:31]
.LBB40_666:                             ;   in Loop: Header=BB40_3 Depth=1
	s_or_b32 exec_lo, exec_lo, s7
	s_barrier_signal -1
	s_barrier_wait -1
	s_and_saveexec_b32 s7, s36
	s_cbranch_execz .LBB40_668
; %bb.667:                              ;   in Loop: Header=BB40_3 Depth=1
	ds_load_b64 v[32:33], v5 offset:10400
	s_wait_dscnt 0x0
	v_mul_f64_e32 v[30:31], v[30:31], v[32:33]
	s_delay_alu instid0(VALU_DEP_1) | instskip(NEXT) | instid1(VALU_DEP_2)
	v_xor_b32_e32 v33, 0x80000000, v31
	v_mov_b32_e32 v32, v30
	ds_store_b64 v3, v[32:33]
.LBB40_668:                             ;   in Loop: Header=BB40_3 Depth=1
	s_or_b32 exec_lo, exec_lo, s7
	s_wait_dscnt 0x0
	s_barrier_signal -1
	s_barrier_wait -1
	s_barrier_signal -1
	s_barrier_wait -1
	s_and_saveexec_b32 s7, s1
; %bb.669:                              ;   in Loop: Header=BB40_3 Depth=1
	ds_store_b64 v44, v[30:31] offset:11936
; %bb.670:                              ;   in Loop: Header=BB40_3 Depth=1
	s_or_b32 exec_lo, exec_lo, s7
	s_wait_dscnt 0x0
	s_barrier_signal -1
	s_barrier_wait -1
	s_barrier_signal -1
	s_barrier_wait -1
	s_and_saveexec_b32 s7, s14
	s_cbranch_execz .LBB40_672
; %bb.671:                              ;   in Loop: Header=BB40_3 Depth=1
	ds_load_b128 v[30:33], v5 offset:10912
	ds_load_b64 v[34:35], v5 offset:10400
	s_wait_dscnt 0x0
	v_mul_f64_e32 v[32:33], v[34:35], v[32:33]
	s_delay_alu instid0(VALU_DEP_1)
	v_mul_f64_e32 v[30:31], v[30:31], v[32:33]
	ds_store_b64 v5, v[30:31] offset:10912
.LBB40_672:                             ;   in Loop: Header=BB40_3 Depth=1
	s_or_b32 exec_lo, exec_lo, s7
	v_mov_b64_e32 v[30:31], 0
	s_wait_dscnt 0x0
	s_barrier_signal -1
	s_barrier_wait -1
	global_wb scope:SCOPE_DEV
	s_wait_storecnt 0x0
	global_inv scope:SCOPE_DEV
	s_and_saveexec_b32 s7, s2
	s_cbranch_execz .LBB40_678
; %bb.673:                              ;   in Loop: Header=BB40_3 Depth=1
	ds_load_b64 v[30:31], v47 offset:10368
	ds_load_b64 v[32:33], v46 offset:11936
	s_wait_dscnt 0x0
	v_fma_f64 v[30:31], v[30:31], v[32:33], 0
	s_and_saveexec_b32 s8, s16
	s_cbranch_execnz .LBB40_1071
; %bb.674:                              ;   in Loop: Header=BB40_3 Depth=1
	s_or_b32 exec_lo, exec_lo, s8
	s_and_saveexec_b32 s8, s17
	s_cbranch_execnz .LBB40_1072
.LBB40_675:                             ;   in Loop: Header=BB40_3 Depth=1
	s_or_b32 exec_lo, exec_lo, s8
	s_and_saveexec_b32 s8, s1
	s_cbranch_execz .LBB40_677
.LBB40_676:                             ;   in Loop: Header=BB40_3 Depth=1
	ds_load_b64 v[32:33], v43 offset:11904
	ds_load_b64 v[34:35], v5 offset:11960
	s_wait_dscnt 0x0
	v_fmac_f64_e32 v[30:31], v[32:33], v[34:35]
.LBB40_677:                             ;   in Loop: Header=BB40_3 Depth=1
	s_or_b32 exec_lo, exec_lo, s8
.LBB40_678:                             ;   in Loop: Header=BB40_3 Depth=1
	s_delay_alu instid0(SALU_CYCLE_1)
	s_or_b32 exec_lo, exec_lo, s7
	s_and_saveexec_b32 s7, s37
	s_cbranch_execz .LBB40_680
; %bb.679:                              ;   in Loop: Header=BB40_3 Depth=1
	ds_load_b64 v[32:33], v5 offset:9880
	s_wait_dscnt 0x0
	v_mul_f64_e32 v[30:31], v[30:31], v[32:33]
	s_delay_alu instid0(VALU_DEP_1) | instskip(NEXT) | instid1(VALU_DEP_2)
	v_xor_b32_e32 v33, 0x80000000, v31
	v_mov_b32_e32 v32, v30
	ds_store_b64 v45, v[32:33]
.LBB40_680:                             ;   in Loop: Header=BB40_3 Depth=1
	s_or_b32 exec_lo, exec_lo, s7
	s_wait_loadcnt_dscnt 0x0
	s_barrier_signal -1
	s_barrier_wait -1
	s_and_saveexec_b32 s7, s38
	s_cbranch_execz .LBB40_682
; %bb.681:                              ;   in Loop: Header=BB40_3 Depth=1
	ds_load_b64 v[32:33], v47 offset:9856
	ds_load_b64 v[34:35], v45
	s_wait_dscnt 0x0
	v_fma_f64 v[30:31], -v[32:33], v[34:35], v[30:31]
.LBB40_682:                             ;   in Loop: Header=BB40_3 Depth=1
	s_or_b32 exec_lo, exec_lo, s7
	s_barrier_signal -1
	s_barrier_wait -1
	s_and_saveexec_b32 s7, s39
	s_cbranch_execz .LBB40_684
; %bb.683:                              ;   in Loop: Header=BB40_3 Depth=1
	ds_load_b64 v[32:33], v5 offset:9360
	s_wait_dscnt 0x0
	v_mul_f64_e32 v[30:31], v[30:31], v[32:33]
	s_delay_alu instid0(VALU_DEP_1) | instskip(NEXT) | instid1(VALU_DEP_2)
	v_xor_b32_e32 v33, 0x80000000, v31
	v_mov_b32_e32 v32, v30
	ds_store_b64 v45, v[32:33]
.LBB40_684:                             ;   in Loop: Header=BB40_3 Depth=1
	s_or_b32 exec_lo, exec_lo, s7
	s_wait_dscnt 0x0
	s_barrier_signal -1
	s_barrier_wait -1
	s_and_saveexec_b32 s7, s40
	s_cbranch_execz .LBB40_686
; %bb.685:                              ;   in Loop: Header=BB40_3 Depth=1
	ds_load_b64 v[32:33], v47 offset:9344
	ds_load_b64 v[34:35], v45
	s_wait_dscnt 0x0
	v_fma_f64 v[30:31], -v[32:33], v[34:35], v[30:31]
.LBB40_686:                             ;   in Loop: Header=BB40_3 Depth=1
	s_or_b32 exec_lo, exec_lo, s7
	s_barrier_signal -1
	s_barrier_wait -1
	s_and_saveexec_b32 s7, s41
	s_cbranch_execz .LBB40_688
; %bb.687:                              ;   in Loop: Header=BB40_3 Depth=1
	ds_load_b64 v[32:33], v5 offset:8840
	s_wait_dscnt 0x0
	v_mul_f64_e32 v[30:31], v[30:31], v[32:33]
	s_delay_alu instid0(VALU_DEP_1) | instskip(NEXT) | instid1(VALU_DEP_2)
	v_xor_b32_e32 v33, 0x80000000, v31
	v_mov_b32_e32 v32, v30
	ds_store_b64 v45, v[32:33]
.LBB40_688:                             ;   in Loop: Header=BB40_3 Depth=1
	s_or_b32 exec_lo, exec_lo, s7
	s_wait_dscnt 0x0
	;; [unrolled: 26-line block ×3, first 2 shown]
	s_barrier_signal -1
	s_barrier_wait -1
	s_barrier_signal -1
	s_barrier_wait -1
	s_and_saveexec_b32 s7, s2
; %bb.693:                              ;   in Loop: Header=BB40_3 Depth=1
	ds_store_b64 v48, v[30:31] offset:11904
; %bb.694:                              ;   in Loop: Header=BB40_3 Depth=1
	s_or_b32 exec_lo, exec_lo, s7
	s_wait_dscnt 0x0
	s_barrier_signal -1
	s_barrier_wait -1
	s_barrier_signal -1
	s_barrier_wait -1
	s_and_saveexec_b32 s7, s14
	s_cbranch_execz .LBB40_696
; %bb.695:                              ;   in Loop: Header=BB40_3 Depth=1
	ds_load_b128 v[30:33], v5 offset:9872
	ds_load_b64 v[34:35], v5 offset:9360
	s_wait_dscnt 0x0
	v_mul_f64_e32 v[32:33], v[34:35], v[32:33]
	s_delay_alu instid0(VALU_DEP_1)
	v_mul_f64_e32 v[30:31], v[30:31], v[32:33]
	ds_store_b64 v5, v[30:31] offset:9872
.LBB40_696:                             ;   in Loop: Header=BB40_3 Depth=1
	s_or_b32 exec_lo, exec_lo, s7
	v_mov_b64_e32 v[30:31], 0
	s_wait_dscnt 0x0
	s_barrier_signal -1
	s_barrier_wait -1
	global_wb scope:SCOPE_DEV
	s_wait_storecnt 0x0
	global_inv scope:SCOPE_DEV
	s_and_saveexec_b32 s7, s1
	s_cbranch_execz .LBB40_700
; %bb.697:                              ;   in Loop: Header=BB40_3 Depth=1
	ds_load_b64 v[30:31], v42 offset:9344
	ds_load_b64 v[32:33], v41 offset:9872
	s_wait_dscnt 0x0
	v_fma_f64 v[30:31], v[30:31], v[32:33], 0
	s_and_saveexec_b32 s8, s15
	s_cbranch_execz .LBB40_699
; %bb.698:                              ;   in Loop: Header=BB40_3 Depth=1
	ds_load_b64 v[32:33], v43 offset:9856
	ds_load_b64 v[34:35], v5 offset:9880
	s_wait_dscnt 0x0
	v_fmac_f64_e32 v[30:31], v[32:33], v[34:35]
.LBB40_699:                             ;   in Loop: Header=BB40_3 Depth=1
	s_or_b32 exec_lo, exec_lo, s8
.LBB40_700:                             ;   in Loop: Header=BB40_3 Depth=1
	s_delay_alu instid0(SALU_CYCLE_1)
	s_or_b32 exec_lo, exec_lo, s7
	s_and_saveexec_b32 s7, vcc_hi
	s_cbranch_execz .LBB40_702
; %bb.701:                              ;   in Loop: Header=BB40_3 Depth=1
	ds_load_b64 v[32:33], v5 offset:8840
	s_wait_dscnt 0x0
	v_mul_f64_e32 v[30:31], v[30:31], v[32:33]
	s_delay_alu instid0(VALU_DEP_1) | instskip(NEXT) | instid1(VALU_DEP_2)
	v_xor_b32_e32 v33, 0x80000000, v31
	v_mov_b32_e32 v32, v30
	ds_store_b64 v3, v[32:33]
.LBB40_702:                             ;   in Loop: Header=BB40_3 Depth=1
	s_or_b32 exec_lo, exec_lo, s7
	s_wait_loadcnt_dscnt 0x0
	s_barrier_signal -1
	s_barrier_wait -1
	s_and_saveexec_b32 s7, s36
	s_cbranch_execz .LBB40_704
; %bb.703:                              ;   in Loop: Header=BB40_3 Depth=1
	ds_load_b64 v[32:33], v5 offset:8832
	ds_load_b64 v[34:35], v3
	s_wait_dscnt 0x0
	v_fma_f64 v[30:31], -v[32:33], v[34:35], v[30:31]
.LBB40_704:                             ;   in Loop: Header=BB40_3 Depth=1
	s_or_b32 exec_lo, exec_lo, s7
	s_barrier_signal -1
	s_barrier_wait -1
	s_and_saveexec_b32 s7, s36
	s_cbranch_execz .LBB40_706
; %bb.705:                              ;   in Loop: Header=BB40_3 Depth=1
	ds_load_b64 v[32:33], v5 offset:8320
	s_wait_dscnt 0x0
	v_mul_f64_e32 v[30:31], v[30:31], v[32:33]
	s_delay_alu instid0(VALU_DEP_1) | instskip(NEXT) | instid1(VALU_DEP_2)
	v_xor_b32_e32 v33, 0x80000000, v31
	v_mov_b32_e32 v32, v30
	ds_store_b64 v3, v[32:33]
.LBB40_706:                             ;   in Loop: Header=BB40_3 Depth=1
	s_or_b32 exec_lo, exec_lo, s7
	s_wait_dscnt 0x0
	s_barrier_signal -1
	s_barrier_wait -1
	s_barrier_signal -1
	s_barrier_wait -1
	s_and_saveexec_b32 s7, s1
; %bb.707:                              ;   in Loop: Header=BB40_3 Depth=1
	ds_store_b64 v44, v[30:31] offset:9856
; %bb.708:                              ;   in Loop: Header=BB40_3 Depth=1
	s_or_b32 exec_lo, exec_lo, s7
	s_wait_dscnt 0x0
	s_barrier_signal -1
	s_barrier_wait -1
	s_barrier_signal -1
	s_barrier_wait -1
	s_and_saveexec_b32 s7, s14
	s_cbranch_execz .LBB40_710
; %bb.709:                              ;   in Loop: Header=BB40_3 Depth=1
	ds_load_b128 v[30:33], v5 offset:8832
	ds_load_b64 v[34:35], v5 offset:8320
	s_wait_dscnt 0x0
	v_mul_f64_e32 v[32:33], v[34:35], v[32:33]
	s_delay_alu instid0(VALU_DEP_1)
	v_mul_f64_e32 v[30:31], v[30:31], v[32:33]
	ds_store_b64 v5, v[30:31] offset:8832
.LBB40_710:                             ;   in Loop: Header=BB40_3 Depth=1
	s_or_b32 exec_lo, exec_lo, s7
	v_mov_b64_e32 v[30:31], 0
	s_wait_dscnt 0x0
	s_barrier_signal -1
	s_barrier_wait -1
	global_wb scope:SCOPE_DEV
	s_wait_storecnt 0x0
	global_inv scope:SCOPE_DEV
	s_and_saveexec_b32 s7, s4
	s_cbranch_execz .LBB40_738
; %bb.711:                              ;   in Loop: Header=BB40_3 Depth=1
	ds_load_b64 v[30:31], v55 offset:8192
	ds_load_b64 v[32:33], v54 offset:16000
	s_wait_dscnt 0x0
	v_fma_f64 v[30:31], v[30:31], v[32:33], 0
	s_mov_b32 s8, exec_lo
	v_readlane_b32 s66, v83, 0
	s_and_b32 s66, s8, s66
	s_delay_alu instid0(SALU_CYCLE_1)
	s_mov_b32 exec_lo, s66
	s_cbranch_execz .LBB40_713
; %bb.712:                              ;   in Loop: Header=BB40_3 Depth=1
	ds_load_b64 v[32:33], v55 offset:8704
	ds_load_b64 v[34:35], v54 offset:16008
	s_wait_dscnt 0x0
	v_fmac_f64_e32 v[30:31], v[32:33], v[34:35]
.LBB40_713:                             ;   in Loop: Header=BB40_3 Depth=1
	s_or_b32 exec_lo, exec_lo, s8
	s_delay_alu instid0(SALU_CYCLE_1) | instskip(SKIP_2) | instid1(SALU_CYCLE_1)
	s_mov_b32 s8, exec_lo
	v_readlane_b32 s66, v83, 1
	s_and_b32 s66, s8, s66
	s_mov_b32 exec_lo, s66
	s_cbranch_execz .LBB40_715
; %bb.714:                              ;   in Loop: Header=BB40_3 Depth=1
	ds_load_b64 v[32:33], v55 offset:9216
	ds_load_b64 v[34:35], v54 offset:16016
	s_wait_dscnt 0x0
	v_fmac_f64_e32 v[30:31], v[32:33], v[34:35]
.LBB40_715:                             ;   in Loop: Header=BB40_3 Depth=1
	s_or_b32 exec_lo, exec_lo, s8
	s_delay_alu instid0(SALU_CYCLE_1) | instskip(SKIP_2) | instid1(SALU_CYCLE_1)
	s_mov_b32 s8, exec_lo
	v_readlane_b32 s66, v83, 2
	s_and_b32 s66, s8, s66
	;; [unrolled: 13-line block ×10, first 2 shown]
	s_mov_b32 exec_lo, s66
	s_cbranch_execnz .LBB40_1073
; %bb.732:                              ;   in Loop: Header=BB40_3 Depth=1
	s_or_b32 exec_lo, exec_lo, s8
	s_and_saveexec_b32 s8, s3
	s_cbranch_execnz .LBB40_1074
.LBB40_733:                             ;   in Loop: Header=BB40_3 Depth=1
	s_or_b32 exec_lo, exec_lo, s8
	s_and_saveexec_b32 s8, s19
	s_cbranch_execnz .LBB40_1075
.LBB40_734:                             ;   in Loop: Header=BB40_3 Depth=1
	s_or_b32 exec_lo, exec_lo, s8
	s_and_saveexec_b32 s8, s21
	s_cbranch_execnz .LBB40_1076
.LBB40_735:                             ;   in Loop: Header=BB40_3 Depth=1
	s_or_b32 exec_lo, exec_lo, s8
	s_and_saveexec_b32 s8, s2
	s_cbranch_execz .LBB40_737
.LBB40_736:                             ;   in Loop: Header=BB40_3 Depth=1
	ds_load_b64 v[32:33], v43 offset:15872
	ds_load_b64 v[34:35], v5 offset:16120
	s_wait_dscnt 0x0
	v_fmac_f64_e32 v[30:31], v[32:33], v[34:35]
.LBB40_737:                             ;   in Loop: Header=BB40_3 Depth=1
	s_or_b32 exec_lo, exec_lo, s8
.LBB40_738:                             ;   in Loop: Header=BB40_3 Depth=1
	s_delay_alu instid0(SALU_CYCLE_1) | instskip(NEXT) | instid1(SALU_CYCLE_1)
	s_or_b32 exec_lo, exec_lo, s7
	s_mov_b32 s7, exec_lo
	v_readlane_b32 s8, v84, 5
	s_and_b32 s8, s7, s8
	s_delay_alu instid0(SALU_CYCLE_1)
	s_mov_b32 exec_lo, s8
	s_cbranch_execz .LBB40_740
; %bb.739:                              ;   in Loop: Header=BB40_3 Depth=1
	ds_load_b64 v[32:33], v5 offset:7800
	s_wait_dscnt 0x0
	v_mul_f64_e32 v[30:31], v[30:31], v[32:33]
	s_delay_alu instid0(VALU_DEP_1) | instskip(NEXT) | instid1(VALU_DEP_2)
	v_xor_b32_e32 v33, 0x80000000, v31
	v_mov_b32_e32 v32, v30
	ds_store_b64 v53, v[32:33]
.LBB40_740:                             ;   in Loop: Header=BB40_3 Depth=1
	s_or_b32 exec_lo, exec_lo, s7
	s_wait_loadcnt_dscnt 0x0
	s_barrier_signal -1
	s_barrier_wait -1
	s_mov_b32 s7, exec_lo
	v_readlane_b32 s8, v84, 6
	s_and_b32 s8, s7, s8
	s_delay_alu instid0(SALU_CYCLE_1)
	s_mov_b32 exec_lo, s8
	s_cbranch_execz .LBB40_742
; %bb.741:                              ;   in Loop: Header=BB40_3 Depth=1
	ds_load_b64 v[32:33], v55 offset:7680
	ds_load_b64 v[34:35], v53
	s_wait_dscnt 0x0
	v_fma_f64 v[30:31], -v[32:33], v[34:35], v[30:31]
.LBB40_742:                             ;   in Loop: Header=BB40_3 Depth=1
	s_or_b32 exec_lo, exec_lo, s7
	s_barrier_signal -1
	s_barrier_wait -1
	s_mov_b32 s7, exec_lo
	v_readlane_b32 s8, v84, 7
	s_and_b32 s8, s7, s8
	s_delay_alu instid0(SALU_CYCLE_1)
	s_mov_b32 exec_lo, s8
	s_cbranch_execz .LBB40_744
; %bb.743:                              ;   in Loop: Header=BB40_3 Depth=1
	ds_load_b64 v[32:33], v5 offset:7280
	s_wait_dscnt 0x0
	v_mul_f64_e32 v[30:31], v[30:31], v[32:33]
	s_delay_alu instid0(VALU_DEP_1) | instskip(NEXT) | instid1(VALU_DEP_2)
	v_xor_b32_e32 v33, 0x80000000, v31
	v_mov_b32_e32 v32, v30
	ds_store_b64 v53, v[32:33]
.LBB40_744:                             ;   in Loop: Header=BB40_3 Depth=1
	s_or_b32 exec_lo, exec_lo, s7
	s_wait_dscnt 0x0
	s_barrier_signal -1
	s_barrier_wait -1
	s_mov_b32 s7, exec_lo
	v_readlane_b32 s8, v84, 8
	s_and_b32 s8, s7, s8
	s_delay_alu instid0(SALU_CYCLE_1)
	s_mov_b32 exec_lo, s8
	s_cbranch_execz .LBB40_746
; %bb.745:                              ;   in Loop: Header=BB40_3 Depth=1
	ds_load_b64 v[32:33], v55 offset:7168
	ds_load_b64 v[34:35], v53
	s_wait_dscnt 0x0
	v_fma_f64 v[30:31], -v[32:33], v[34:35], v[30:31]
.LBB40_746:                             ;   in Loop: Header=BB40_3 Depth=1
	s_or_b32 exec_lo, exec_lo, s7
	s_barrier_signal -1
	s_barrier_wait -1
	s_mov_b32 s7, exec_lo
	v_readlane_b32 s8, v84, 9
	s_and_b32 s8, s7, s8
	s_delay_alu instid0(SALU_CYCLE_1)
	s_mov_b32 exec_lo, s8
	s_cbranch_execz .LBB40_748
; %bb.747:                              ;   in Loop: Header=BB40_3 Depth=1
	ds_load_b64 v[32:33], v5 offset:6760
	s_wait_dscnt 0x0
	v_mul_f64_e32 v[30:31], v[30:31], v[32:33]
	s_delay_alu instid0(VALU_DEP_1) | instskip(NEXT) | instid1(VALU_DEP_2)
	v_xor_b32_e32 v33, 0x80000000, v31
	v_mov_b32_e32 v32, v30
	ds_store_b64 v53, v[32:33]
.LBB40_748:                             ;   in Loop: Header=BB40_3 Depth=1
	s_or_b32 exec_lo, exec_lo, s7
	s_wait_dscnt 0x0
	s_barrier_signal -1
	s_barrier_wait -1
	s_mov_b32 s7, exec_lo
	v_readlane_b32 s8, v84, 10
	s_and_b32 s8, s7, s8
	s_delay_alu instid0(SALU_CYCLE_1)
	s_mov_b32 exec_lo, s8
	s_cbranch_execz .LBB40_750
; %bb.749:                              ;   in Loop: Header=BB40_3 Depth=1
	ds_load_b64 v[32:33], v55 offset:6656
	ds_load_b64 v[34:35], v53
	s_wait_dscnt 0x0
	v_fma_f64 v[30:31], -v[32:33], v[34:35], v[30:31]
.LBB40_750:                             ;   in Loop: Header=BB40_3 Depth=1
	s_or_b32 exec_lo, exec_lo, s7
	s_barrier_signal -1
	s_barrier_wait -1
	s_and_saveexec_b32 s7, s12
	s_cbranch_execz .LBB40_752
; %bb.751:                              ;   in Loop: Header=BB40_3 Depth=1
	ds_load_b64 v[32:33], v5 offset:6240
	s_wait_dscnt 0x0
	v_mul_f64_e32 v[30:31], v[30:31], v[32:33]
	s_delay_alu instid0(VALU_DEP_1) | instskip(NEXT) | instid1(VALU_DEP_2)
	v_xor_b32_e32 v33, 0x80000000, v31
	v_mov_b32_e32 v32, v30
	ds_store_b64 v53, v[32:33]
.LBB40_752:                             ;   in Loop: Header=BB40_3 Depth=1
	s_or_b32 exec_lo, exec_lo, s7
	s_wait_dscnt 0x0
	s_barrier_signal -1
	s_barrier_wait -1
	s_and_saveexec_b32 s7, s13
	s_cbranch_execz .LBB40_754
; %bb.753:                              ;   in Loop: Header=BB40_3 Depth=1
	ds_load_b64 v[32:33], v55 offset:6144
	ds_load_b64 v[34:35], v53
	s_wait_dscnt 0x0
	v_fma_f64 v[30:31], -v[32:33], v[34:35], v[30:31]
.LBB40_754:                             ;   in Loop: Header=BB40_3 Depth=1
	s_or_b32 exec_lo, exec_lo, s7
	s_barrier_signal -1
	s_barrier_wait -1
	s_and_saveexec_b32 s7, s23
	s_cbranch_execz .LBB40_756
; %bb.755:                              ;   in Loop: Header=BB40_3 Depth=1
	ds_load_b64 v[32:33], v5 offset:5720
	s_wait_dscnt 0x0
	v_mul_f64_e32 v[30:31], v[30:31], v[32:33]
	s_delay_alu instid0(VALU_DEP_1) | instskip(NEXT) | instid1(VALU_DEP_2)
	v_xor_b32_e32 v33, 0x80000000, v31
	v_mov_b32_e32 v32, v30
	ds_store_b64 v53, v[32:33]
.LBB40_756:                             ;   in Loop: Header=BB40_3 Depth=1
	s_or_b32 exec_lo, exec_lo, s7
	s_wait_dscnt 0x0
	s_barrier_signal -1
	s_barrier_wait -1
	s_and_saveexec_b32 s7, s25
	;; [unrolled: 26-line block ×12, first 2 shown]
	s_cbranch_execz .LBB40_798
; %bb.797:                              ;   in Loop: Header=BB40_3 Depth=1
	ds_load_b64 v[32:33], v5 offset:512
	ds_load_b64 v[34:35], v53
	s_wait_dscnt 0x0
	v_fma_f64 v[30:31], -v[32:33], v[34:35], v[30:31]
.LBB40_798:                             ;   in Loop: Header=BB40_3 Depth=1
	s_or_b32 exec_lo, exec_lo, s7
	s_barrier_signal -1
	s_barrier_wait -1
	s_and_saveexec_b32 s7, s57
	s_cbranch_execz .LBB40_800
; %bb.799:                              ;   in Loop: Header=BB40_3 Depth=1
	ds_load_b64 v[32:33], v5
	s_wait_dscnt 0x0
	v_mul_f64_e32 v[30:31], v[30:31], v[32:33]
	s_delay_alu instid0(VALU_DEP_1) | instskip(NEXT) | instid1(VALU_DEP_2)
	v_xor_b32_e32 v33, 0x80000000, v31
	v_mov_b32_e32 v32, v30
	ds_store_b64 v53, v[32:33]
.LBB40_800:                             ;   in Loop: Header=BB40_3 Depth=1
	s_or_b32 exec_lo, exec_lo, s7
	s_wait_dscnt 0x0
	s_barrier_signal -1
	s_barrier_wait -1
	s_barrier_signal -1
	s_barrier_wait -1
	s_and_saveexec_b32 s7, s4
; %bb.801:                              ;   in Loop: Header=BB40_3 Depth=1
	ds_store_b64 v57, v[30:31] offset:15872
; %bb.802:                              ;   in Loop: Header=BB40_3 Depth=1
	s_or_b32 exec_lo, exec_lo, s7
	s_wait_dscnt 0x0
	s_barrier_signal -1
	s_barrier_wait -1
	s_barrier_signal -1
	s_barrier_wait -1
	s_and_saveexec_b32 s7, s14
	s_cbranch_execz .LBB40_804
; %bb.803:                              ;   in Loop: Header=BB40_3 Depth=1
	ds_load_b128 v[30:33], v5 offset:7792
	ds_load_b64 v[34:35], v5 offset:7280
	s_wait_dscnt 0x0
	v_mul_f64_e32 v[32:33], v[34:35], v[32:33]
	s_delay_alu instid0(VALU_DEP_1)
	v_mul_f64_e32 v[30:31], v[30:31], v[32:33]
	ds_store_b64 v5, v[30:31] offset:7792
.LBB40_804:                             ;   in Loop: Header=BB40_3 Depth=1
	s_or_b32 exec_lo, exec_lo, s7
	v_mov_b64_e32 v[30:31], 0
	s_wait_dscnt 0x0
	s_barrier_signal -1
	s_barrier_wait -1
	global_wb scope:SCOPE_DEV
	s_wait_storecnt 0x0
	global_inv scope:SCOPE_DEV
	s_and_saveexec_b32 s7, s1
	s_cbranch_execz .LBB40_808
; %bb.805:                              ;   in Loop: Header=BB40_3 Depth=1
	ds_load_b64 v[30:31], v42 offset:7264
	ds_load_b64 v[32:33], v41 offset:7792
	s_wait_dscnt 0x0
	v_fma_f64 v[30:31], v[30:31], v[32:33], 0
	s_and_saveexec_b32 s8, s15
	s_cbranch_execz .LBB40_807
; %bb.806:                              ;   in Loop: Header=BB40_3 Depth=1
	ds_load_b64 v[32:33], v43 offset:7776
	ds_load_b64 v[34:35], v5 offset:7800
	s_wait_dscnt 0x0
	v_fmac_f64_e32 v[30:31], v[32:33], v[34:35]
.LBB40_807:                             ;   in Loop: Header=BB40_3 Depth=1
	s_or_b32 exec_lo, exec_lo, s8
.LBB40_808:                             ;   in Loop: Header=BB40_3 Depth=1
	s_delay_alu instid0(SALU_CYCLE_1)
	s_or_b32 exec_lo, exec_lo, s7
	s_and_saveexec_b32 s7, vcc_hi
	s_cbranch_execz .LBB40_810
; %bb.809:                              ;   in Loop: Header=BB40_3 Depth=1
	ds_load_b64 v[32:33], v5 offset:6760
	s_wait_dscnt 0x0
	v_mul_f64_e32 v[30:31], v[30:31], v[32:33]
	s_delay_alu instid0(VALU_DEP_1) | instskip(NEXT) | instid1(VALU_DEP_2)
	v_xor_b32_e32 v33, 0x80000000, v31
	v_mov_b32_e32 v32, v30
	ds_store_b64 v3, v[32:33]
.LBB40_810:                             ;   in Loop: Header=BB40_3 Depth=1
	s_or_b32 exec_lo, exec_lo, s7
	s_wait_loadcnt_dscnt 0x0
	s_barrier_signal -1
	s_barrier_wait -1
	s_and_saveexec_b32 s7, s36
	s_cbranch_execz .LBB40_812
; %bb.811:                              ;   in Loop: Header=BB40_3 Depth=1
	ds_load_b64 v[32:33], v5 offset:6752
	ds_load_b64 v[34:35], v3
	s_wait_dscnt 0x0
	v_fma_f64 v[30:31], -v[32:33], v[34:35], v[30:31]
.LBB40_812:                             ;   in Loop: Header=BB40_3 Depth=1
	s_or_b32 exec_lo, exec_lo, s7
	s_barrier_signal -1
	s_barrier_wait -1
	s_and_saveexec_b32 s7, s36
	s_cbranch_execz .LBB40_814
; %bb.813:                              ;   in Loop: Header=BB40_3 Depth=1
	ds_load_b64 v[32:33], v5 offset:6240
	s_wait_dscnt 0x0
	v_mul_f64_e32 v[30:31], v[30:31], v[32:33]
	s_delay_alu instid0(VALU_DEP_1) | instskip(NEXT) | instid1(VALU_DEP_2)
	v_xor_b32_e32 v33, 0x80000000, v31
	v_mov_b32_e32 v32, v30
	ds_store_b64 v3, v[32:33]
.LBB40_814:                             ;   in Loop: Header=BB40_3 Depth=1
	s_or_b32 exec_lo, exec_lo, s7
	s_wait_dscnt 0x0
	s_barrier_signal -1
	s_barrier_wait -1
	s_barrier_signal -1
	s_barrier_wait -1
	s_and_saveexec_b32 s7, s1
; %bb.815:                              ;   in Loop: Header=BB40_3 Depth=1
	ds_store_b64 v44, v[30:31] offset:7776
; %bb.816:                              ;   in Loop: Header=BB40_3 Depth=1
	s_or_b32 exec_lo, exec_lo, s7
	s_wait_dscnt 0x0
	s_barrier_signal -1
	s_barrier_wait -1
	s_barrier_signal -1
	s_barrier_wait -1
	s_and_saveexec_b32 s7, s14
	s_cbranch_execz .LBB40_818
; %bb.817:                              ;   in Loop: Header=BB40_3 Depth=1
	ds_load_b128 v[30:33], v5 offset:6752
	ds_load_b64 v[34:35], v5 offset:6240
	s_wait_dscnt 0x0
	v_mul_f64_e32 v[32:33], v[34:35], v[32:33]
	s_delay_alu instid0(VALU_DEP_1)
	v_mul_f64_e32 v[30:31], v[30:31], v[32:33]
	ds_store_b64 v5, v[30:31] offset:6752
.LBB40_818:                             ;   in Loop: Header=BB40_3 Depth=1
	s_or_b32 exec_lo, exec_lo, s7
	v_mov_b64_e32 v[30:31], 0
	s_wait_dscnt 0x0
	s_barrier_signal -1
	s_barrier_wait -1
	global_wb scope:SCOPE_DEV
	s_wait_storecnt 0x0
	global_inv scope:SCOPE_DEV
	s_and_saveexec_b32 s7, s2
	s_cbranch_execz .LBB40_824
; %bb.819:                              ;   in Loop: Header=BB40_3 Depth=1
	ds_load_b64 v[30:31], v47 offset:6208
	ds_load_b64 v[32:33], v46 offset:7776
	s_wait_dscnt 0x0
	v_fma_f64 v[30:31], v[30:31], v[32:33], 0
	s_and_saveexec_b32 s8, s16
	s_cbranch_execnz .LBB40_1077
; %bb.820:                              ;   in Loop: Header=BB40_3 Depth=1
	s_or_b32 exec_lo, exec_lo, s8
	s_and_saveexec_b32 s8, s17
	s_cbranch_execnz .LBB40_1078
.LBB40_821:                             ;   in Loop: Header=BB40_3 Depth=1
	s_or_b32 exec_lo, exec_lo, s8
	s_and_saveexec_b32 s8, s1
	s_cbranch_execz .LBB40_823
.LBB40_822:                             ;   in Loop: Header=BB40_3 Depth=1
	ds_load_b64 v[32:33], v43 offset:7744
	ds_load_b64 v[34:35], v5 offset:7800
	s_wait_dscnt 0x0
	v_fmac_f64_e32 v[30:31], v[32:33], v[34:35]
.LBB40_823:                             ;   in Loop: Header=BB40_3 Depth=1
	s_or_b32 exec_lo, exec_lo, s8
.LBB40_824:                             ;   in Loop: Header=BB40_3 Depth=1
	s_delay_alu instid0(SALU_CYCLE_1)
	s_or_b32 exec_lo, exec_lo, s7
	s_and_saveexec_b32 s7, s37
	s_cbranch_execz .LBB40_826
; %bb.825:                              ;   in Loop: Header=BB40_3 Depth=1
	ds_load_b64 v[32:33], v5 offset:5720
	s_wait_dscnt 0x0
	v_mul_f64_e32 v[30:31], v[30:31], v[32:33]
	s_delay_alu instid0(VALU_DEP_1) | instskip(NEXT) | instid1(VALU_DEP_2)
	v_xor_b32_e32 v33, 0x80000000, v31
	v_mov_b32_e32 v32, v30
	ds_store_b64 v45, v[32:33]
.LBB40_826:                             ;   in Loop: Header=BB40_3 Depth=1
	s_or_b32 exec_lo, exec_lo, s7
	s_wait_loadcnt_dscnt 0x0
	s_barrier_signal -1
	s_barrier_wait -1
	s_and_saveexec_b32 s7, s38
	s_cbranch_execz .LBB40_828
; %bb.827:                              ;   in Loop: Header=BB40_3 Depth=1
	ds_load_b64 v[32:33], v47 offset:5696
	ds_load_b64 v[34:35], v45
	s_wait_dscnt 0x0
	v_fma_f64 v[30:31], -v[32:33], v[34:35], v[30:31]
.LBB40_828:                             ;   in Loop: Header=BB40_3 Depth=1
	s_or_b32 exec_lo, exec_lo, s7
	s_barrier_signal -1
	s_barrier_wait -1
	s_and_saveexec_b32 s7, s39
	s_cbranch_execz .LBB40_830
; %bb.829:                              ;   in Loop: Header=BB40_3 Depth=1
	ds_load_b64 v[32:33], v5 offset:5200
	s_wait_dscnt 0x0
	v_mul_f64_e32 v[30:31], v[30:31], v[32:33]
	s_delay_alu instid0(VALU_DEP_1) | instskip(NEXT) | instid1(VALU_DEP_2)
	v_xor_b32_e32 v33, 0x80000000, v31
	v_mov_b32_e32 v32, v30
	ds_store_b64 v45, v[32:33]
.LBB40_830:                             ;   in Loop: Header=BB40_3 Depth=1
	s_or_b32 exec_lo, exec_lo, s7
	s_wait_dscnt 0x0
	s_barrier_signal -1
	s_barrier_wait -1
	s_and_saveexec_b32 s7, s40
	s_cbranch_execz .LBB40_832
; %bb.831:                              ;   in Loop: Header=BB40_3 Depth=1
	ds_load_b64 v[32:33], v47 offset:5184
	ds_load_b64 v[34:35], v45
	s_wait_dscnt 0x0
	v_fma_f64 v[30:31], -v[32:33], v[34:35], v[30:31]
.LBB40_832:                             ;   in Loop: Header=BB40_3 Depth=1
	s_or_b32 exec_lo, exec_lo, s7
	s_barrier_signal -1
	s_barrier_wait -1
	s_and_saveexec_b32 s7, s41
	s_cbranch_execz .LBB40_834
; %bb.833:                              ;   in Loop: Header=BB40_3 Depth=1
	ds_load_b64 v[32:33], v5 offset:4680
	s_wait_dscnt 0x0
	v_mul_f64_e32 v[30:31], v[30:31], v[32:33]
	s_delay_alu instid0(VALU_DEP_1) | instskip(NEXT) | instid1(VALU_DEP_2)
	v_xor_b32_e32 v33, 0x80000000, v31
	v_mov_b32_e32 v32, v30
	ds_store_b64 v45, v[32:33]
.LBB40_834:                             ;   in Loop: Header=BB40_3 Depth=1
	s_or_b32 exec_lo, exec_lo, s7
	s_wait_dscnt 0x0
	;; [unrolled: 26-line block ×3, first 2 shown]
	s_barrier_signal -1
	s_barrier_wait -1
	s_barrier_signal -1
	s_barrier_wait -1
	s_and_saveexec_b32 s7, s2
; %bb.839:                              ;   in Loop: Header=BB40_3 Depth=1
	ds_store_b64 v48, v[30:31] offset:7744
; %bb.840:                              ;   in Loop: Header=BB40_3 Depth=1
	s_or_b32 exec_lo, exec_lo, s7
	s_wait_dscnt 0x0
	s_barrier_signal -1
	s_barrier_wait -1
	s_barrier_signal -1
	s_barrier_wait -1
	s_and_saveexec_b32 s7, s14
	s_cbranch_execz .LBB40_842
; %bb.841:                              ;   in Loop: Header=BB40_3 Depth=1
	ds_load_b128 v[30:33], v5 offset:5712
	ds_load_b64 v[34:35], v5 offset:5200
	s_wait_dscnt 0x0
	v_mul_f64_e32 v[32:33], v[34:35], v[32:33]
	s_delay_alu instid0(VALU_DEP_1)
	v_mul_f64_e32 v[30:31], v[30:31], v[32:33]
	ds_store_b64 v5, v[30:31] offset:5712
.LBB40_842:                             ;   in Loop: Header=BB40_3 Depth=1
	s_or_b32 exec_lo, exec_lo, s7
	v_mov_b64_e32 v[30:31], 0
	s_wait_dscnt 0x0
	s_barrier_signal -1
	s_barrier_wait -1
	global_wb scope:SCOPE_DEV
	s_wait_storecnt 0x0
	global_inv scope:SCOPE_DEV
	s_and_saveexec_b32 s7, s1
	s_cbranch_execz .LBB40_846
; %bb.843:                              ;   in Loop: Header=BB40_3 Depth=1
	ds_load_b64 v[30:31], v42 offset:5184
	ds_load_b64 v[32:33], v41 offset:5712
	s_wait_dscnt 0x0
	v_fma_f64 v[30:31], v[30:31], v[32:33], 0
	s_and_saveexec_b32 s8, s15
	s_cbranch_execz .LBB40_845
; %bb.844:                              ;   in Loop: Header=BB40_3 Depth=1
	ds_load_b64 v[32:33], v43 offset:5696
	ds_load_b64 v[34:35], v5 offset:5720
	s_wait_dscnt 0x0
	v_fmac_f64_e32 v[30:31], v[32:33], v[34:35]
.LBB40_845:                             ;   in Loop: Header=BB40_3 Depth=1
	s_or_b32 exec_lo, exec_lo, s8
.LBB40_846:                             ;   in Loop: Header=BB40_3 Depth=1
	s_delay_alu instid0(SALU_CYCLE_1)
	s_or_b32 exec_lo, exec_lo, s7
	s_and_saveexec_b32 s7, vcc_hi
	s_cbranch_execz .LBB40_848
; %bb.847:                              ;   in Loop: Header=BB40_3 Depth=1
	ds_load_b64 v[32:33], v5 offset:4680
	s_wait_dscnt 0x0
	v_mul_f64_e32 v[30:31], v[30:31], v[32:33]
	s_delay_alu instid0(VALU_DEP_1) | instskip(NEXT) | instid1(VALU_DEP_2)
	v_xor_b32_e32 v33, 0x80000000, v31
	v_mov_b32_e32 v32, v30
	ds_store_b64 v3, v[32:33]
.LBB40_848:                             ;   in Loop: Header=BB40_3 Depth=1
	s_or_b32 exec_lo, exec_lo, s7
	s_wait_loadcnt_dscnt 0x0
	s_barrier_signal -1
	s_barrier_wait -1
	s_and_saveexec_b32 s7, s36
	s_cbranch_execz .LBB40_850
; %bb.849:                              ;   in Loop: Header=BB40_3 Depth=1
	ds_load_b64 v[32:33], v5 offset:4672
	ds_load_b64 v[34:35], v3
	s_wait_dscnt 0x0
	v_fma_f64 v[30:31], -v[32:33], v[34:35], v[30:31]
.LBB40_850:                             ;   in Loop: Header=BB40_3 Depth=1
	s_or_b32 exec_lo, exec_lo, s7
	s_barrier_signal -1
	s_barrier_wait -1
	s_and_saveexec_b32 s7, s36
	s_cbranch_execz .LBB40_852
; %bb.851:                              ;   in Loop: Header=BB40_3 Depth=1
	ds_load_b64 v[32:33], v5 offset:4160
	s_wait_dscnt 0x0
	v_mul_f64_e32 v[30:31], v[30:31], v[32:33]
	s_delay_alu instid0(VALU_DEP_1) | instskip(NEXT) | instid1(VALU_DEP_2)
	v_xor_b32_e32 v33, 0x80000000, v31
	v_mov_b32_e32 v32, v30
	ds_store_b64 v3, v[32:33]
.LBB40_852:                             ;   in Loop: Header=BB40_3 Depth=1
	s_or_b32 exec_lo, exec_lo, s7
	s_wait_dscnt 0x0
	s_barrier_signal -1
	s_barrier_wait -1
	s_barrier_signal -1
	s_barrier_wait -1
	s_and_saveexec_b32 s7, s1
; %bb.853:                              ;   in Loop: Header=BB40_3 Depth=1
	ds_store_b64 v44, v[30:31] offset:5696
; %bb.854:                              ;   in Loop: Header=BB40_3 Depth=1
	s_or_b32 exec_lo, exec_lo, s7
	s_wait_dscnt 0x0
	s_barrier_signal -1
	s_barrier_wait -1
	s_barrier_signal -1
	s_barrier_wait -1
	s_and_saveexec_b32 s7, s14
	s_cbranch_execz .LBB40_856
; %bb.855:                              ;   in Loop: Header=BB40_3 Depth=1
	ds_load_b128 v[30:33], v5 offset:4672
	ds_load_b64 v[34:35], v5 offset:4160
	s_wait_dscnt 0x0
	v_mul_f64_e32 v[32:33], v[34:35], v[32:33]
	s_delay_alu instid0(VALU_DEP_1)
	v_mul_f64_e32 v[30:31], v[30:31], v[32:33]
	ds_store_b64 v5, v[30:31] offset:4672
.LBB40_856:                             ;   in Loop: Header=BB40_3 Depth=1
	s_or_b32 exec_lo, exec_lo, s7
	v_mov_b64_e32 v[30:31], 0
	s_wait_dscnt 0x0
	s_barrier_signal -1
	s_barrier_wait -1
	global_wb scope:SCOPE_DEV
	s_wait_storecnt 0x0
	global_inv scope:SCOPE_DEV
	s_and_saveexec_b32 s7, s3
	s_cbranch_execz .LBB40_866
; %bb.857:                              ;   in Loop: Header=BB40_3 Depth=1
	ds_load_b64 v[30:31], v51 offset:4096
	ds_load_b64 v[32:33], v50 offset:7744
	s_wait_dscnt 0x0
	v_fma_f64 v[30:31], v[30:31], v[32:33], 0
	s_and_saveexec_b32 s8, s18
	s_cbranch_execnz .LBB40_1079
; %bb.858:                              ;   in Loop: Header=BB40_3 Depth=1
	s_or_b32 exec_lo, exec_lo, s8
	s_and_saveexec_b32 s8, s19
	s_cbranch_execnz .LBB40_1080
.LBB40_859:                             ;   in Loop: Header=BB40_3 Depth=1
	s_or_b32 exec_lo, exec_lo, s8
	s_and_saveexec_b32 s8, s20
	s_cbranch_execnz .LBB40_1081
.LBB40_860:                             ;   in Loop: Header=BB40_3 Depth=1
	s_or_b32 exec_lo, exec_lo, s8
	s_and_saveexec_b32 s8, s21
	s_cbranch_execnz .LBB40_1082
.LBB40_861:                             ;   in Loop: Header=BB40_3 Depth=1
	s_or_b32 exec_lo, exec_lo, s8
	s_and_saveexec_b32 s8, s22
	s_cbranch_execnz .LBB40_1083
.LBB40_862:                             ;   in Loop: Header=BB40_3 Depth=1
	s_or_b32 exec_lo, exec_lo, s8
	s_and_saveexec_b32 s8, s2
	s_cbranch_execnz .LBB40_1084
.LBB40_863:                             ;   in Loop: Header=BB40_3 Depth=1
	s_or_b32 exec_lo, exec_lo, s8
	s_and_saveexec_b32 s8, s17
	s_cbranch_execz .LBB40_865
.LBB40_864:                             ;   in Loop: Header=BB40_3 Depth=1
	ds_load_b64 v[32:33], v43 offset:7680
	ds_load_b64 v[34:35], v5 offset:7800
	s_wait_dscnt 0x0
	v_fmac_f64_e32 v[30:31], v[32:33], v[34:35]
.LBB40_865:                             ;   in Loop: Header=BB40_3 Depth=1
	s_or_b32 exec_lo, exec_lo, s8
.LBB40_866:                             ;   in Loop: Header=BB40_3 Depth=1
	s_delay_alu instid0(SALU_CYCLE_1)
	s_or_b32 exec_lo, exec_lo, s7
	s_and_saveexec_b32 s7, s43
	s_cbranch_execz .LBB40_868
; %bb.867:                              ;   in Loop: Header=BB40_3 Depth=1
	ds_load_b64 v[32:33], v5 offset:3640
	s_wait_dscnt 0x0
	v_mul_f64_e32 v[30:31], v[30:31], v[32:33]
	s_delay_alu instid0(VALU_DEP_1) | instskip(NEXT) | instid1(VALU_DEP_2)
	v_xor_b32_e32 v33, 0x80000000, v31
	v_mov_b32_e32 v32, v30
	ds_store_b64 v49, v[32:33]
.LBB40_868:                             ;   in Loop: Header=BB40_3 Depth=1
	s_or_b32 exec_lo, exec_lo, s7
	s_wait_loadcnt_dscnt 0x0
	s_barrier_signal -1
	s_barrier_wait -1
	s_and_saveexec_b32 s7, s44
	s_cbranch_execz .LBB40_870
; %bb.869:                              ;   in Loop: Header=BB40_3 Depth=1
	ds_load_b64 v[32:33], v51 offset:3584
	ds_load_b64 v[34:35], v49
	s_wait_dscnt 0x0
	v_fma_f64 v[30:31], -v[32:33], v[34:35], v[30:31]
.LBB40_870:                             ;   in Loop: Header=BB40_3 Depth=1
	s_or_b32 exec_lo, exec_lo, s7
	s_barrier_signal -1
	s_barrier_wait -1
	s_and_saveexec_b32 s7, s45
	s_cbranch_execz .LBB40_872
; %bb.871:                              ;   in Loop: Header=BB40_3 Depth=1
	ds_load_b64 v[32:33], v5 offset:3120
	s_wait_dscnt 0x0
	v_mul_f64_e32 v[30:31], v[30:31], v[32:33]
	s_delay_alu instid0(VALU_DEP_1) | instskip(NEXT) | instid1(VALU_DEP_2)
	v_xor_b32_e32 v33, 0x80000000, v31
	v_mov_b32_e32 v32, v30
	ds_store_b64 v49, v[32:33]
.LBB40_872:                             ;   in Loop: Header=BB40_3 Depth=1
	s_or_b32 exec_lo, exec_lo, s7
	s_wait_dscnt 0x0
	s_barrier_signal -1
	s_barrier_wait -1
	s_and_saveexec_b32 s7, s46
	s_cbranch_execz .LBB40_874
; %bb.873:                              ;   in Loop: Header=BB40_3 Depth=1
	ds_load_b64 v[32:33], v51 offset:3072
	ds_load_b64 v[34:35], v49
	s_wait_dscnt 0x0
	v_fma_f64 v[30:31], -v[32:33], v[34:35], v[30:31]
.LBB40_874:                             ;   in Loop: Header=BB40_3 Depth=1
	s_or_b32 exec_lo, exec_lo, s7
	s_barrier_signal -1
	s_barrier_wait -1
	s_and_saveexec_b32 s7, s47
	s_cbranch_execz .LBB40_876
; %bb.875:                              ;   in Loop: Header=BB40_3 Depth=1
	ds_load_b64 v[32:33], v5 offset:2600
	s_wait_dscnt 0x0
	v_mul_f64_e32 v[30:31], v[30:31], v[32:33]
	s_delay_alu instid0(VALU_DEP_1) | instskip(NEXT) | instid1(VALU_DEP_2)
	v_xor_b32_e32 v33, 0x80000000, v31
	v_mov_b32_e32 v32, v30
	ds_store_b64 v49, v[32:33]
.LBB40_876:                             ;   in Loop: Header=BB40_3 Depth=1
	s_or_b32 exec_lo, exec_lo, s7
	s_wait_dscnt 0x0
	;; [unrolled: 26-line block ×6, first 2 shown]
	s_barrier_signal -1
	s_barrier_wait -1
	s_and_saveexec_b32 s7, s56
	s_cbranch_execz .LBB40_894
; %bb.893:                              ;   in Loop: Header=BB40_3 Depth=1
	ds_load_b64 v[32:33], v5 offset:512
	ds_load_b64 v[34:35], v49
	s_wait_dscnt 0x0
	v_fma_f64 v[30:31], -v[32:33], v[34:35], v[30:31]
.LBB40_894:                             ;   in Loop: Header=BB40_3 Depth=1
	s_or_b32 exec_lo, exec_lo, s7
	s_barrier_signal -1
	s_barrier_wait -1
	s_and_saveexec_b32 s7, s56
	s_cbranch_execz .LBB40_896
; %bb.895:                              ;   in Loop: Header=BB40_3 Depth=1
	ds_load_b64 v[32:33], v5
	s_wait_dscnt 0x0
	v_mul_f64_e32 v[30:31], v[30:31], v[32:33]
	s_delay_alu instid0(VALU_DEP_1) | instskip(NEXT) | instid1(VALU_DEP_2)
	v_xor_b32_e32 v33, 0x80000000, v31
	v_mov_b32_e32 v32, v30
	ds_store_b64 v49, v[32:33]
.LBB40_896:                             ;   in Loop: Header=BB40_3 Depth=1
	s_or_b32 exec_lo, exec_lo, s7
	s_wait_dscnt 0x0
	s_barrier_signal -1
	s_barrier_wait -1
	s_barrier_signal -1
	s_barrier_wait -1
	s_and_saveexec_b32 s7, s3
; %bb.897:                              ;   in Loop: Header=BB40_3 Depth=1
	ds_store_b64 v52, v[30:31] offset:7680
; %bb.898:                              ;   in Loop: Header=BB40_3 Depth=1
	s_or_b32 exec_lo, exec_lo, s7
	s_wait_dscnt 0x0
	s_barrier_signal -1
	s_barrier_wait -1
	s_barrier_signal -1
	s_barrier_wait -1
	s_and_saveexec_b32 s7, s14
	s_cbranch_execz .LBB40_900
; %bb.899:                              ;   in Loop: Header=BB40_3 Depth=1
	ds_load_b128 v[30:33], v5 offset:3632
	ds_load_b64 v[34:35], v5 offset:3120
	s_wait_dscnt 0x0
	v_mul_f64_e32 v[32:33], v[34:35], v[32:33]
	s_delay_alu instid0(VALU_DEP_1)
	v_mul_f64_e32 v[30:31], v[30:31], v[32:33]
	ds_store_b64 v5, v[30:31] offset:3632
.LBB40_900:                             ;   in Loop: Header=BB40_3 Depth=1
	s_or_b32 exec_lo, exec_lo, s7
	v_mov_b64_e32 v[30:31], 0
	s_wait_dscnt 0x0
	s_barrier_signal -1
	s_barrier_wait -1
	global_wb scope:SCOPE_DEV
	s_wait_storecnt 0x0
	global_inv scope:SCOPE_DEV
	s_and_saveexec_b32 s7, s1
	s_cbranch_execz .LBB40_904
; %bb.901:                              ;   in Loop: Header=BB40_3 Depth=1
	ds_load_b64 v[30:31], v42 offset:3104
	ds_load_b64 v[32:33], v41 offset:3632
	s_wait_dscnt 0x0
	v_fma_f64 v[30:31], v[30:31], v[32:33], 0
	s_and_saveexec_b32 s8, s15
	s_cbranch_execz .LBB40_903
; %bb.902:                              ;   in Loop: Header=BB40_3 Depth=1
	ds_load_b64 v[32:33], v43 offset:3616
	ds_load_b64 v[34:35], v5 offset:3640
	s_wait_dscnt 0x0
	v_fmac_f64_e32 v[30:31], v[32:33], v[34:35]
.LBB40_903:                             ;   in Loop: Header=BB40_3 Depth=1
	s_or_b32 exec_lo, exec_lo, s8
.LBB40_904:                             ;   in Loop: Header=BB40_3 Depth=1
	s_delay_alu instid0(SALU_CYCLE_1)
	s_or_b32 exec_lo, exec_lo, s7
	s_and_saveexec_b32 s7, vcc_hi
	s_cbranch_execz .LBB40_906
; %bb.905:                              ;   in Loop: Header=BB40_3 Depth=1
	ds_load_b64 v[32:33], v5 offset:2600
	s_wait_dscnt 0x0
	v_mul_f64_e32 v[30:31], v[30:31], v[32:33]
	s_delay_alu instid0(VALU_DEP_1) | instskip(NEXT) | instid1(VALU_DEP_2)
	v_xor_b32_e32 v33, 0x80000000, v31
	v_mov_b32_e32 v32, v30
	ds_store_b64 v3, v[32:33]
.LBB40_906:                             ;   in Loop: Header=BB40_3 Depth=1
	s_or_b32 exec_lo, exec_lo, s7
	s_wait_loadcnt_dscnt 0x0
	s_barrier_signal -1
	s_barrier_wait -1
	s_and_saveexec_b32 s7, s36
	s_cbranch_execz .LBB40_908
; %bb.907:                              ;   in Loop: Header=BB40_3 Depth=1
	ds_load_b64 v[32:33], v5 offset:2592
	ds_load_b64 v[34:35], v3
	s_wait_dscnt 0x0
	v_fma_f64 v[30:31], -v[32:33], v[34:35], v[30:31]
.LBB40_908:                             ;   in Loop: Header=BB40_3 Depth=1
	s_or_b32 exec_lo, exec_lo, s7
	s_barrier_signal -1
	s_barrier_wait -1
	s_and_saveexec_b32 s7, s36
	s_cbranch_execz .LBB40_910
; %bb.909:                              ;   in Loop: Header=BB40_3 Depth=1
	ds_load_b64 v[32:33], v5 offset:2080
	s_wait_dscnt 0x0
	v_mul_f64_e32 v[30:31], v[30:31], v[32:33]
	s_delay_alu instid0(VALU_DEP_1) | instskip(NEXT) | instid1(VALU_DEP_2)
	v_xor_b32_e32 v33, 0x80000000, v31
	v_mov_b32_e32 v32, v30
	ds_store_b64 v3, v[32:33]
.LBB40_910:                             ;   in Loop: Header=BB40_3 Depth=1
	s_or_b32 exec_lo, exec_lo, s7
	s_wait_dscnt 0x0
	s_barrier_signal -1
	s_barrier_wait -1
	s_barrier_signal -1
	s_barrier_wait -1
	s_and_saveexec_b32 s7, s1
; %bb.911:                              ;   in Loop: Header=BB40_3 Depth=1
	ds_store_b64 v44, v[30:31] offset:3616
; %bb.912:                              ;   in Loop: Header=BB40_3 Depth=1
	s_or_b32 exec_lo, exec_lo, s7
	s_wait_dscnt 0x0
	s_barrier_signal -1
	s_barrier_wait -1
	s_barrier_signal -1
	s_barrier_wait -1
	s_and_saveexec_b32 s7, s14
	s_cbranch_execz .LBB40_914
; %bb.913:                              ;   in Loop: Header=BB40_3 Depth=1
	ds_load_b128 v[30:33], v5 offset:2592
	ds_load_b64 v[34:35], v5 offset:2080
	s_wait_dscnt 0x0
	v_mul_f64_e32 v[32:33], v[34:35], v[32:33]
	s_delay_alu instid0(VALU_DEP_1)
	v_mul_f64_e32 v[30:31], v[30:31], v[32:33]
	ds_store_b64 v5, v[30:31] offset:2592
.LBB40_914:                             ;   in Loop: Header=BB40_3 Depth=1
	s_or_b32 exec_lo, exec_lo, s7
	v_mov_b64_e32 v[30:31], 0
	s_wait_dscnt 0x0
	s_barrier_signal -1
	s_barrier_wait -1
	global_wb scope:SCOPE_DEV
	s_wait_storecnt 0x0
	global_inv scope:SCOPE_DEV
	s_and_saveexec_b32 s7, s2
	s_cbranch_execz .LBB40_920
; %bb.915:                              ;   in Loop: Header=BB40_3 Depth=1
	ds_load_b64 v[30:31], v47 offset:2048
	ds_load_b64 v[32:33], v46 offset:3616
	s_wait_dscnt 0x0
	v_fma_f64 v[30:31], v[30:31], v[32:33], 0
	s_and_saveexec_b32 s8, s16
	s_cbranch_execnz .LBB40_1085
; %bb.916:                              ;   in Loop: Header=BB40_3 Depth=1
	s_or_b32 exec_lo, exec_lo, s8
	s_and_saveexec_b32 s8, s17
	s_cbranch_execnz .LBB40_1086
.LBB40_917:                             ;   in Loop: Header=BB40_3 Depth=1
	s_or_b32 exec_lo, exec_lo, s8
	s_and_saveexec_b32 s8, s1
	s_cbranch_execz .LBB40_919
.LBB40_918:                             ;   in Loop: Header=BB40_3 Depth=1
	ds_load_b64 v[32:33], v43 offset:3584
	ds_load_b64 v[34:35], v5 offset:3640
	s_wait_dscnt 0x0
	v_fmac_f64_e32 v[30:31], v[32:33], v[34:35]
.LBB40_919:                             ;   in Loop: Header=BB40_3 Depth=1
	s_or_b32 exec_lo, exec_lo, s8
.LBB40_920:                             ;   in Loop: Header=BB40_3 Depth=1
	s_delay_alu instid0(SALU_CYCLE_1)
	s_or_b32 exec_lo, exec_lo, s7
	s_and_saveexec_b32 s7, s37
	s_cbranch_execz .LBB40_922
; %bb.921:                              ;   in Loop: Header=BB40_3 Depth=1
	ds_load_b64 v[32:33], v5 offset:1560
	s_wait_dscnt 0x0
	v_mul_f64_e32 v[30:31], v[30:31], v[32:33]
	s_delay_alu instid0(VALU_DEP_1) | instskip(NEXT) | instid1(VALU_DEP_2)
	v_xor_b32_e32 v33, 0x80000000, v31
	v_mov_b32_e32 v32, v30
	ds_store_b64 v45, v[32:33]
.LBB40_922:                             ;   in Loop: Header=BB40_3 Depth=1
	s_or_b32 exec_lo, exec_lo, s7
	s_wait_loadcnt_dscnt 0x0
	s_barrier_signal -1
	s_barrier_wait -1
	s_and_saveexec_b32 s7, s38
	s_cbranch_execz .LBB40_924
; %bb.923:                              ;   in Loop: Header=BB40_3 Depth=1
	ds_load_b64 v[32:33], v47 offset:1536
	ds_load_b64 v[34:35], v45
	s_wait_dscnt 0x0
	v_fma_f64 v[30:31], -v[32:33], v[34:35], v[30:31]
.LBB40_924:                             ;   in Loop: Header=BB40_3 Depth=1
	s_or_b32 exec_lo, exec_lo, s7
	s_barrier_signal -1
	s_barrier_wait -1
	s_and_saveexec_b32 s7, s39
	s_cbranch_execz .LBB40_926
; %bb.925:                              ;   in Loop: Header=BB40_3 Depth=1
	ds_load_b64 v[32:33], v5 offset:1040
	s_wait_dscnt 0x0
	v_mul_f64_e32 v[30:31], v[30:31], v[32:33]
	s_delay_alu instid0(VALU_DEP_1) | instskip(NEXT) | instid1(VALU_DEP_2)
	v_xor_b32_e32 v33, 0x80000000, v31
	v_mov_b32_e32 v32, v30
	ds_store_b64 v45, v[32:33]
.LBB40_926:                             ;   in Loop: Header=BB40_3 Depth=1
	s_or_b32 exec_lo, exec_lo, s7
	s_wait_dscnt 0x0
	s_barrier_signal -1
	s_barrier_wait -1
	s_and_saveexec_b32 s7, s40
	s_cbranch_execz .LBB40_928
; %bb.927:                              ;   in Loop: Header=BB40_3 Depth=1
	ds_load_b64 v[32:33], v47 offset:1024
	ds_load_b64 v[34:35], v45
	s_wait_dscnt 0x0
	v_fma_f64 v[30:31], -v[32:33], v[34:35], v[30:31]
.LBB40_928:                             ;   in Loop: Header=BB40_3 Depth=1
	s_or_b32 exec_lo, exec_lo, s7
	s_barrier_signal -1
	s_barrier_wait -1
	s_and_saveexec_b32 s7, s41
	s_cbranch_execz .LBB40_930
; %bb.929:                              ;   in Loop: Header=BB40_3 Depth=1
	ds_load_b64 v[32:33], v5 offset:520
	s_wait_dscnt 0x0
	v_mul_f64_e32 v[30:31], v[30:31], v[32:33]
	s_delay_alu instid0(VALU_DEP_1) | instskip(NEXT) | instid1(VALU_DEP_2)
	v_xor_b32_e32 v33, 0x80000000, v31
	v_mov_b32_e32 v32, v30
	ds_store_b64 v45, v[32:33]
.LBB40_930:                             ;   in Loop: Header=BB40_3 Depth=1
	s_or_b32 exec_lo, exec_lo, s7
	s_wait_dscnt 0x0
	s_barrier_signal -1
	s_barrier_wait -1
	s_and_saveexec_b32 s7, s42
	s_cbranch_execz .LBB40_932
; %bb.931:                              ;   in Loop: Header=BB40_3 Depth=1
	ds_load_b64 v[32:33], v5 offset:512
	ds_load_b64 v[34:35], v45
	s_wait_dscnt 0x0
	v_fma_f64 v[30:31], -v[32:33], v[34:35], v[30:31]
.LBB40_932:                             ;   in Loop: Header=BB40_3 Depth=1
	s_or_b32 exec_lo, exec_lo, s7
	s_barrier_signal -1
	s_barrier_wait -1
	s_and_saveexec_b32 s7, s42
	s_cbranch_execz .LBB40_934
; %bb.933:                              ;   in Loop: Header=BB40_3 Depth=1
	ds_load_b64 v[32:33], v5
	s_wait_dscnt 0x0
	v_mul_f64_e32 v[30:31], v[30:31], v[32:33]
	s_delay_alu instid0(VALU_DEP_1) | instskip(NEXT) | instid1(VALU_DEP_2)
	v_xor_b32_e32 v33, 0x80000000, v31
	v_mov_b32_e32 v32, v30
	ds_store_b64 v45, v[32:33]
.LBB40_934:                             ;   in Loop: Header=BB40_3 Depth=1
	s_or_b32 exec_lo, exec_lo, s7
	s_wait_dscnt 0x0
	s_barrier_signal -1
	s_barrier_wait -1
	s_barrier_signal -1
	s_barrier_wait -1
	s_and_saveexec_b32 s7, s2
; %bb.935:                              ;   in Loop: Header=BB40_3 Depth=1
	ds_store_b64 v48, v[30:31] offset:3584
; %bb.936:                              ;   in Loop: Header=BB40_3 Depth=1
	s_or_b32 exec_lo, exec_lo, s7
	s_wait_dscnt 0x0
	s_barrier_signal -1
	s_barrier_wait -1
	s_barrier_signal -1
	s_barrier_wait -1
	s_and_saveexec_b32 s7, s14
	s_cbranch_execz .LBB40_938
; %bb.937:                              ;   in Loop: Header=BB40_3 Depth=1
	ds_load_b128 v[30:33], v5 offset:1552
	ds_load_b64 v[34:35], v5 offset:1040
	s_wait_dscnt 0x0
	v_mul_f64_e32 v[32:33], v[34:35], v[32:33]
	s_delay_alu instid0(VALU_DEP_1)
	v_mul_f64_e32 v[30:31], v[30:31], v[32:33]
	ds_store_b64 v5, v[30:31] offset:1552
.LBB40_938:                             ;   in Loop: Header=BB40_3 Depth=1
	s_or_b32 exec_lo, exec_lo, s7
	v_mov_b64_e32 v[30:31], 0
	s_wait_dscnt 0x0
	s_barrier_signal -1
	s_barrier_wait -1
	global_wb scope:SCOPE_DEV
	s_wait_storecnt 0x0
	global_inv scope:SCOPE_DEV
	s_and_saveexec_b32 s7, s1
	s_cbranch_execz .LBB40_942
; %bb.939:                              ;   in Loop: Header=BB40_3 Depth=1
	ds_load_b64 v[30:31], v42 offset:1024
	ds_load_b64 v[32:33], v41 offset:1552
	s_wait_dscnt 0x0
	v_fma_f64 v[30:31], v[30:31], v[32:33], 0
	s_and_saveexec_b32 s8, s15
	s_cbranch_execz .LBB40_941
; %bb.940:                              ;   in Loop: Header=BB40_3 Depth=1
	ds_load_b64 v[32:33], v43 offset:1536
	ds_load_b64 v[34:35], v5 offset:1560
	s_wait_dscnt 0x0
	v_fmac_f64_e32 v[30:31], v[32:33], v[34:35]
.LBB40_941:                             ;   in Loop: Header=BB40_3 Depth=1
	s_or_b32 exec_lo, exec_lo, s8
.LBB40_942:                             ;   in Loop: Header=BB40_3 Depth=1
	s_delay_alu instid0(SALU_CYCLE_1)
	s_or_b32 exec_lo, exec_lo, s7
	s_and_saveexec_b32 s7, vcc_hi
	s_cbranch_execz .LBB40_944
; %bb.943:                              ;   in Loop: Header=BB40_3 Depth=1
	ds_load_b64 v[32:33], v5 offset:520
	s_wait_dscnt 0x0
	v_mul_f64_e32 v[30:31], v[30:31], v[32:33]
	s_delay_alu instid0(VALU_DEP_1) | instskip(NEXT) | instid1(VALU_DEP_2)
	v_xor_b32_e32 v33, 0x80000000, v31
	v_mov_b32_e32 v32, v30
	ds_store_b64 v3, v[32:33]
.LBB40_944:                             ;   in Loop: Header=BB40_3 Depth=1
	s_or_b32 exec_lo, exec_lo, s7
	s_wait_loadcnt_dscnt 0x0
	s_barrier_signal -1
	s_barrier_wait -1
	s_and_saveexec_b32 s7, s36
	s_cbranch_execz .LBB40_946
; %bb.945:                              ;   in Loop: Header=BB40_3 Depth=1
	ds_load_b64 v[32:33], v5 offset:512
	ds_load_b64 v[34:35], v3
	s_wait_dscnt 0x0
	v_fma_f64 v[30:31], -v[32:33], v[34:35], v[30:31]
.LBB40_946:                             ;   in Loop: Header=BB40_3 Depth=1
	s_or_b32 exec_lo, exec_lo, s7
	s_barrier_signal -1
	s_barrier_wait -1
	s_and_saveexec_b32 s7, s36
	s_cbranch_execz .LBB40_948
; %bb.947:                              ;   in Loop: Header=BB40_3 Depth=1
	ds_load_b64 v[32:33], v5
	s_wait_dscnt 0x0
	v_mul_f64_e32 v[30:31], v[30:31], v[32:33]
	s_delay_alu instid0(VALU_DEP_1) | instskip(NEXT) | instid1(VALU_DEP_2)
	v_xor_b32_e32 v33, 0x80000000, v31
	v_mov_b32_e32 v32, v30
	ds_store_b64 v3, v[32:33]
.LBB40_948:                             ;   in Loop: Header=BB40_3 Depth=1
	s_or_b32 exec_lo, exec_lo, s7
	s_wait_dscnt 0x0
	s_barrier_signal -1
	s_barrier_wait -1
	s_barrier_signal -1
	s_barrier_wait -1
	s_and_saveexec_b32 s7, s1
; %bb.949:                              ;   in Loop: Header=BB40_3 Depth=1
	ds_store_b64 v44, v[30:31] offset:1536
; %bb.950:                              ;   in Loop: Header=BB40_3 Depth=1
	s_or_b32 exec_lo, exec_lo, s7
	s_wait_dscnt 0x0
	s_barrier_signal -1
	s_barrier_wait -1
	s_barrier_signal -1
	s_barrier_wait -1
	s_and_saveexec_b32 s7, s14
	s_cbranch_execz .LBB40_952
; %bb.951:                              ;   in Loop: Header=BB40_3 Depth=1
	ds_load_b128 v[30:33], v5 offset:512
	ds_load_b64 v[34:35], v5
	s_wait_dscnt 0x0
	v_mul_f64_e32 v[32:33], v[34:35], v[32:33]
	s_delay_alu instid0(VALU_DEP_1)
	v_mul_f64_e32 v[30:31], v[30:31], v[32:33]
	ds_store_b64 v5, v[30:31] offset:512
.LBB40_952:                             ;   in Loop: Header=BB40_3 Depth=1
	s_or_b32 exec_lo, exec_lo, s7
.LBB40_953:                             ;   in Loop: Header=BB40_3 Depth=1
	v_readlane_b32 s98, v84, 2
	v_mov_b64_e32 v[30:31], 0
	v_readlane_b32 s99, v84, 3
	s_mul_u64 s[66:67], s[84:85], s[88:89]
	s_wait_dscnt 0x0
	s_lshl_b64 s[66:67], s[66:67], 3
	s_barrier_signal -1
	s_add_nc_u64 s[98:99], s[98:99], s[66:67]
	s_barrier_wait -1
	s_and_saveexec_b32 s7, s11
	s_cbranch_execz .LBB40_955
; %bb.954:                              ;   in Loop: Header=BB40_3 Depth=1
	v_lshl_add_u64 v[30:31], v[0:1], 3, s[98:99]
	global_load_b64 v[30:31], v[30:31], off
	s_wait_loadcnt 0x0
	v_mul_f64_e64 v[30:31], v[30:31], -s[76:77]
.LBB40_955:                             ;   in Loop: Header=BB40_3 Depth=1
	s_or_b32 exec_lo, exec_lo, s7
	s_delay_alu instid0(SALU_CYCLE_1)
	s_and_not1_b32 vcc_lo, exec_lo, s58
	s_cbranch_vccnz .LBB40_981
; %bb.956:                              ;   in Loop: Header=BB40_3 Depth=1
	v_lshl_add_u64 v[32:33], v[6:7], 3, s[96:97]
	v_mov_b32_e32 v77, -1
	s_lshl_b64 s[66:67], s[88:89], 2
	s_mov_b32 s7, 0
	s_add_nc_u64 s[96:97], s[86:87], s[66:67]
	s_branch .LBB40_959
.LBB40_957:                             ;   in Loop: Header=BB40_959 Depth=2
	s_wait_xcnt 0x0
	ds_load_b64 v[34:35], v66 offset:384
	s_wait_loadcnt_dscnt 0x0
	v_fmac_f64_e32 v[30:31], v[36:37], v[34:35]
.LBB40_958:                             ;   in Loop: Header=BB40_959 Depth=2
	s_or_b32 exec_lo, exec_lo, s8
	s_add_co_i32 s7, s7, 1
	s_delay_alu instid0(SALU_CYCLE_1)
	s_cmp_eq_u32 s7, s101
	s_cbranch_scc1 .LBB40_981
.LBB40_959:                             ;   Parent Loop BB40_3 Depth=1
                                        ; =>  This Loop Header: Depth=2
                                        ;       Child Loop BB40_961 Depth 3
	v_cmp_gt_i32_e32 vcc_lo, s7, v77
	s_and_b32 s66, s59, vcc_lo
	s_delay_alu instid0(SALU_CYCLE_1)
	s_and_saveexec_b32 s8, s66
	s_cbranch_execz .LBB40_962
; %bb.960:                              ;   in Loop: Header=BB40_959 Depth=2
	global_load_b32 v77, v5, s[96:97]
	s_wait_loadcnt 0x0
	v_cmp_le_i32_e32 vcc_lo, s7, v77
	s_cbranch_vccnz .LBB40_962
.LBB40_961:                             ;   Parent Loop BB40_3 Depth=1
                                        ;     Parent Loop BB40_959 Depth=2
                                        ; =>    This Inner Loop Header: Depth=3
	global_wb scope:SCOPE_DEV
	s_wait_storecnt 0x0
	global_inv scope:SCOPE_DEV
	global_load_b32 v77, v5, s[96:97]
	s_wait_loadcnt 0x0
	v_cmp_gt_i32_e32 vcc_lo, s7, v77
	s_cbranch_vccnz .LBB40_961
.LBB40_962:                             ;   in Loop: Header=BB40_959 Depth=2
	s_or_b32 exec_lo, exec_lo, s8
	s_sub_co_i32 s8, s102, s7
	global_wb scope:SCOPE_DEV
	s_wait_storecnt 0x0
	global_inv scope:SCOPE_DEV
	s_lshl_b32 s66, s8, 6
	s_wait_loadcnt 0x0
	s_barrier_signal -1
	s_barrier_wait -1
	s_and_saveexec_b32 s67, s60
	s_cbranch_execz .LBB40_966
; %bb.963:                              ;   in Loop: Header=BB40_959 Depth=2
	s_ashr_i32 s68, s66, 31
	v_mov_b64_e32 v[36:37], 0
	v_dual_mov_b32 v35, s68 :: v_dual_bitop2_b32 v34, s66, v4 bitop3:0x54
	s_mov_b32 s68, exec_lo
	s_delay_alu instid0(VALU_DEP_1)
	v_cmpx_gt_i64_e64 s[90:91], v[34:35]
	s_cbranch_execz .LBB40_965
; %bb.964:                              ;   in Loop: Header=BB40_959 Depth=2
	v_mul_u64_e32 v[34:35], s[82:83], v[34:35]
	s_delay_alu instid0(VALU_DEP_1)
	v_lshl_add_u64 v[34:35], v[34:35], 3, s[98:99]
	global_load_b64 v[36:37], v[34:35], off
.LBB40_965:                             ;   in Loop: Header=BB40_959 Depth=2
	s_wait_xcnt 0x0
	s_or_b32 exec_lo, exec_lo, s68
	s_wait_loadcnt 0x0
	ds_store_b64 v65, v[36:37]
.LBB40_966:                             ;   in Loop: Header=BB40_959 Depth=2
	s_or_b32 exec_lo, exec_lo, s67
	v_add_nc_u32_e32 v36, s66, v40
	s_cmp_lg_u32 s8, s65
	s_wait_dscnt 0x0
	s_cselect_b32 s66, -1, 0
	s_barrier_signal -1
	v_ashrrev_i32_e32 v37, 31, v36
	v_cmp_gt_i32_e32 vcc_lo, s90, v36
	s_barrier_wait -1
	s_delay_alu instid0(VALU_DEP_2) | instskip(SKIP_2) | instid1(VALU_DEP_2)
	v_mul_u64_e32 v[34:35], s[72:73], v[36:37]
	v_cndmask_b32_e64 v37, 0, 1, s66
	s_and_b32 s67, s0, vcc_lo
	v_lshl_add_u64 v[34:35], v[34:35], 3, v[32:33]
	s_and_saveexec_b32 s8, s67
	s_cbranch_execz .LBB40_970
; %bb.967:                              ;   in Loop: Header=BB40_959 Depth=2
	v_mov_b64_e32 v[38:39], v[22:23]
	s_and_not1_b32 vcc_lo, exec_lo, s66
	s_cbranch_vccnz .LBB40_969
; %bb.968:                              ;   in Loop: Header=BB40_959 Depth=2
	global_load_b64 v[38:39], v[34:35], off
.LBB40_969:                             ;   in Loop: Header=BB40_959 Depth=2
	ds_load_b64 v[78:79], v66
	s_wait_loadcnt_dscnt 0x0
	v_fmac_f64_e32 v[30:31], v[38:39], v[78:79]
.LBB40_970:                             ;   in Loop: Header=BB40_959 Depth=2
	s_or_b32 exec_lo, exec_lo, s8
	v_add_nc_u32_e32 v38, 16, v36
	s_delay_alu instid0(VALU_DEP_1) | instskip(SKIP_1) | instid1(SALU_CYCLE_1)
	v_cmp_gt_i32_e32 vcc_lo, s90, v38
	s_and_b32 s66, s0, vcc_lo
	s_and_saveexec_b32 s8, s66
	s_cbranch_execz .LBB40_974
; %bb.971:                              ;   in Loop: Header=BB40_959 Depth=2
	v_cmp_ne_u32_e32 vcc_lo, 1, v37
	v_mov_b64_e32 v[38:39], v[24:25]
	s_cbranch_vccnz .LBB40_973
; %bb.972:                              ;   in Loop: Header=BB40_959 Depth=2
	v_add_nc_u64_e32 v[38:39], s[80:81], v[34:35]
	global_load_b64 v[38:39], v[38:39], off
.LBB40_973:                             ;   in Loop: Header=BB40_959 Depth=2
	ds_load_b64 v[78:79], v66 offset:128
	s_wait_loadcnt_dscnt 0x0
	v_fmac_f64_e32 v[30:31], v[38:39], v[78:79]
.LBB40_974:                             ;   in Loop: Header=BB40_959 Depth=2
	s_or_b32 exec_lo, exec_lo, s8
	v_add_nc_u32_e32 v38, 32, v36
	s_delay_alu instid0(VALU_DEP_1) | instskip(SKIP_1) | instid1(SALU_CYCLE_1)
	v_cmp_gt_i32_e32 vcc_lo, s90, v38
	s_and_b32 s66, s0, vcc_lo
	s_and_saveexec_b32 s8, s66
	s_cbranch_execz .LBB40_978
; %bb.975:                              ;   in Loop: Header=BB40_959 Depth=2
	v_cmp_ne_u32_e32 vcc_lo, 1, v37
	v_mov_b64_e32 v[38:39], v[26:27]
	s_cbranch_vccnz .LBB40_977
; %bb.976:                              ;   in Loop: Header=BB40_959 Depth=2
	v_add_nc_u64_e32 v[38:39], s[92:93], v[34:35]
	global_load_b64 v[38:39], v[38:39], off
.LBB40_977:                             ;   in Loop: Header=BB40_959 Depth=2
	ds_load_b64 v[78:79], v66 offset:256
	s_wait_loadcnt_dscnt 0x0
	v_fmac_f64_e32 v[30:31], v[38:39], v[78:79]
.LBB40_978:                             ;   in Loop: Header=BB40_959 Depth=2
	s_or_b32 exec_lo, exec_lo, s8
	v_add_nc_u32_e32 v36, 48, v36
	s_delay_alu instid0(VALU_DEP_1) | instskip(SKIP_1) | instid1(SALU_CYCLE_1)
	v_cmp_gt_i32_e32 vcc_lo, s90, v36
	s_and_b32 s66, s0, vcc_lo
	s_and_saveexec_b32 s8, s66
	s_cbranch_execz .LBB40_958
; %bb.979:                              ;   in Loop: Header=BB40_959 Depth=2
	v_cmp_ne_u32_e32 vcc_lo, 1, v37
	v_mov_b64_e32 v[36:37], v[28:29]
	s_cbranch_vccnz .LBB40_957
; %bb.980:                              ;   in Loop: Header=BB40_959 Depth=2
	v_add_nc_u64_e32 v[34:35], s[94:95], v[34:35]
	global_load_b64 v[36:37], v[34:35], off
	s_branch .LBB40_957
.LBB40_981:                             ;   in Loop: Header=BB40_3 Depth=1
	ds_store_b64 v67, v[30:31]
	s_wait_dscnt 0x0
	s_barrier_signal -1
	s_barrier_wait -1
	s_and_saveexec_b32 s7, s5
	s_cbranch_execz .LBB40_983
; %bb.982:                              ;   in Loop: Header=BB40_3 Depth=1
	ds_load_2addr_stride64_b64 v[32:35], v68 offset0:1 offset1:2
	ds_load_2addr_stride64_b64 v[36:39], v68 offset0:3 offset1:4
	s_wait_dscnt 0x1
	v_add_f64_e32 v[30:31], v[30:31], v[32:33]
	s_delay_alu instid0(VALU_DEP_1) | instskip(SKIP_1) | instid1(VALU_DEP_1)
	v_add_f64_e32 v[30:31], v[30:31], v[34:35]
	s_wait_dscnt 0x0
	v_add_f64_e32 v[30:31], v[30:31], v[36:37]
	s_delay_alu instid0(VALU_DEP_1) | instskip(SKIP_4) | instid1(VALU_DEP_1)
	v_add_f64_e32 v[38:39], v[30:31], v[38:39]
	ds_load_2addr_stride64_b64 v[30:33], v68 offset0:5 offset1:6
	ds_load_2addr_stride64_b64 v[34:37], v68 offset0:7 offset1:8
	s_wait_dscnt 0x1
	v_add_f64_e32 v[30:31], v[38:39], v[30:31]
	v_add_f64_e32 v[30:31], v[30:31], v[32:33]
	s_wait_dscnt 0x0
	s_delay_alu instid0(VALU_DEP_1) | instskip(NEXT) | instid1(VALU_DEP_1)
	v_add_f64_e32 v[30:31], v[30:31], v[34:35]
	v_add_f64_e32 v[38:39], v[30:31], v[36:37]
	ds_load_2addr_stride64_b64 v[30:33], v68 offset0:9 offset1:10
	ds_load_2addr_stride64_b64 v[34:37], v68 offset0:11 offset1:12
	s_wait_dscnt 0x1
	v_add_f64_e32 v[30:31], v[38:39], v[30:31]
	s_delay_alu instid0(VALU_DEP_1) | instskip(SKIP_1) | instid1(VALU_DEP_1)
	v_add_f64_e32 v[30:31], v[30:31], v[32:33]
	s_wait_dscnt 0x0
	v_add_f64_e32 v[30:31], v[30:31], v[34:35]
	s_delay_alu instid0(VALU_DEP_1) | instskip(SKIP_4) | instid1(VALU_DEP_1)
	v_add_f64_e32 v[34:35], v[30:31], v[36:37]
	ds_load_2addr_stride64_b64 v[30:33], v68 offset0:13 offset1:14
	ds_load_b64 v[36:37], v68 offset:7680
	s_wait_dscnt 0x1
	v_add_f64_e32 v[30:31], v[34:35], v[30:31]
	v_add_f64_e32 v[30:31], v[30:31], v[32:33]
	s_wait_dscnt 0x0
	s_delay_alu instid0(VALU_DEP_1) | instskip(NEXT) | instid1(VALU_DEP_1)
	v_add_f64_e32 v[30:31], v[30:31], v[36:37]
	v_xor_b32_e32 v31, 0x80000000, v31
	s_delay_alu instid0(VALU_DEP_2) | instskip(NEXT) | instid1(VALU_DEP_2)
	v_cndmask_b32_e64 v30, v30, 0, s10
	v_cndmask_b32_e64 v31, v31, 0, s10
.LBB40_983:                             ;   in Loop: Header=BB40_3 Depth=1
	s_or_b32 exec_lo, exec_lo, s7
	s_delay_alu instid0(SALU_CYCLE_1)
	s_and_not1_b32 vcc_lo, exec_lo, s104
	s_cbranch_vccnz .LBB40_996
; %bb.984:                              ;   in Loop: Header=BB40_3 Depth=1
	s_and_saveexec_b32 s7, s5
; %bb.985:                              ;   in Loop: Header=BB40_3 Depth=1
	ds_store_b64 v70, v[30:31]
; %bb.986:                              ;   in Loop: Header=BB40_3 Depth=1
	s_or_b32 exec_lo, exec_lo, s7
	v_mov_b64_e32 v[32:33], 0
	s_wait_dscnt 0x0
	s_barrier_signal -1
	s_barrier_wait -1
	s_mov_b32 s7, exec_lo
	v_readlane_b32 s8, v82, 2
	s_and_b32 s8, s7, s8
	s_delay_alu instid0(SALU_CYCLE_1)
	s_mov_b32 exec_lo, s8
	s_cbranch_execz .LBB40_988
; %bb.987:                              ;   in Loop: Header=BB40_3 Depth=1
	ds_load_b64 v[32:33], v69
	ds_load_b64 v[34:35], v66
	s_wait_dscnt 0x0
	v_fma_f64 v[32:33], v[32:33], v[34:35], 0
.LBB40_988:                             ;   in Loop: Header=BB40_3 Depth=1
	s_or_b32 exec_lo, exec_lo, s7
	s_delay_alu instid0(SALU_CYCLE_1) | instskip(SKIP_2) | instid1(SALU_CYCLE_1)
	s_mov_b32 s7, exec_lo
	v_readlane_b32 s8, v82, 3
	s_and_b32 s8, s7, s8
	s_mov_b32 exec_lo, s8
	s_cbranch_execz .LBB40_990
; %bb.989:                              ;   in Loop: Header=BB40_3 Depth=1
	ds_load_b64 v[34:35], v69 offset:8192
	ds_load_b64 v[36:37], v66 offset:128
	s_wait_dscnt 0x0
	v_fmac_f64_e32 v[32:33], v[34:35], v[36:37]
.LBB40_990:                             ;   in Loop: Header=BB40_3 Depth=1
	s_or_b32 exec_lo, exec_lo, s7
	s_delay_alu instid0(SALU_CYCLE_1) | instskip(SKIP_2) | instid1(SALU_CYCLE_1)
	s_mov_b32 s7, exec_lo
	v_readlane_b32 s8, v82, 4
	s_and_b32 s8, s7, s8
	s_mov_b32 exec_lo, s8
	s_cbranch_execz .LBB40_992
; %bb.991:                              ;   in Loop: Header=BB40_3 Depth=1
	ds_load_b64 v[34:35], v69 offset:16384
	ds_load_b64 v[36:37], v66 offset:256
	s_wait_dscnt 0x0
	v_fmac_f64_e32 v[32:33], v[34:35], v[36:37]
.LBB40_992:                             ;   in Loop: Header=BB40_3 Depth=1
	;; [unrolled: 13-line block ×3, first 2 shown]
	s_or_b32 exec_lo, exec_lo, s7
	s_mov_b32 s7, 0
	s_mov_b32 s96, 0
	ds_store_b64 v67, v[32:33]
	s_wait_dscnt 0x0
	s_barrier_signal -1
	s_barrier_wait -1
                                        ; implicit-def: $vgpr34_vgpr35
	s_and_saveexec_b32 s97, s5
	s_cbranch_execz .LBB40_1033
; %bb.995:                              ;   in Loop: Header=BB40_3 Depth=1
	ds_load_2addr_stride64_b64 v[34:37], v68 offset0:1 offset1:2
	ds_load_2addr_stride64_b64 v[78:81], v68 offset0:3 offset1:4
	s_mov_b32 s96, exec_lo
	s_wait_dscnt 0x1
	v_add_f64_e32 v[32:33], v[32:33], v[34:35]
	s_delay_alu instid0(VALU_DEP_1) | instskip(SKIP_1) | instid1(VALU_DEP_1)
	v_add_f64_e32 v[32:33], v[36:37], v[32:33]
	s_wait_dscnt 0x0
	v_add_f64_e32 v[32:33], v[78:79], v[32:33]
	s_delay_alu instid0(VALU_DEP_1) | instskip(SKIP_4) | instid1(VALU_DEP_1)
	v_add_f64_e32 v[78:79], v[80:81], v[32:33]
	ds_load_2addr_stride64_b64 v[32:35], v68 offset0:5 offset1:6
	ds_load_2addr_stride64_b64 v[36:39], v68 offset0:7 offset1:8
	s_wait_dscnt 0x1
	v_add_f64_e32 v[32:33], v[32:33], v[78:79]
	v_add_f64_e32 v[32:33], v[34:35], v[32:33]
	s_wait_dscnt 0x0
	s_delay_alu instid0(VALU_DEP_1) | instskip(NEXT) | instid1(VALU_DEP_1)
	v_add_f64_e32 v[32:33], v[36:37], v[32:33]
	v_add_f64_e32 v[78:79], v[38:39], v[32:33]
	ds_load_2addr_stride64_b64 v[32:35], v68 offset0:9 offset1:10
	ds_load_2addr_stride64_b64 v[36:39], v68 offset0:11 offset1:12
	s_wait_dscnt 0x1
	v_add_f64_e32 v[32:33], v[32:33], v[78:79]
	s_delay_alu instid0(VALU_DEP_1) | instskip(SKIP_1) | instid1(VALU_DEP_1)
	v_add_f64_e32 v[32:33], v[34:35], v[32:33]
	s_wait_dscnt 0x0
	v_add_f64_e32 v[32:33], v[36:37], v[32:33]
	s_delay_alu instid0(VALU_DEP_1) | instskip(SKIP_4) | instid1(VALU_DEP_1)
	v_add_f64_e32 v[36:37], v[38:39], v[32:33]
	ds_load_2addr_stride64_b64 v[32:35], v68 offset0:13 offset1:14
	ds_load_b64 v[38:39], v68 offset:7680
	s_wait_dscnt 0x1
	v_add_f64_e32 v[32:33], v[32:33], v[36:37]
	v_add_f64_e32 v[32:33], v[34:35], v[32:33]
	s_wait_dscnt 0x0
	s_delay_alu instid0(VALU_DEP_1) | instskip(SKIP_1) | instid1(SALU_CYCLE_1)
	v_add_f64_e32 v[34:35], v[38:39], v[32:33]
	s_or_b32 exec_lo, exec_lo, s97
	s_and_b32 vcc_lo, exec_lo, s7
	s_cbranch_vccnz .LBB40_997
	s_branch .LBB40_1034
.LBB40_996:                             ;   in Loop: Header=BB40_3 Depth=1
	s_mov_b32 s96, 0
                                        ; implicit-def: $vgpr34_vgpr35
	s_cbranch_execz .LBB40_1034
.LBB40_997:                             ;   in Loop: Header=BB40_3 Depth=1
	v_dual_mov_b32 v32, v76 :: v_dual_mov_b32 v33, v75
	s_mov_b32 s7, 63
	s_branch .LBB40_999
.LBB40_998:                             ;   in Loop: Header=BB40_999 Depth=2
	s_or_b32 exec_lo, exec_lo, s8
	v_add_nc_u32_e32 v33, 0xfffff800, v33
	v_add_nc_u32_e32 v32, 4, v32
	s_add_co_i32 s7, s7, -4
	s_cmp_lg_u32 s97, 0
	s_barrier_signal -1
	s_barrier_wait -1
	s_cbranch_scc0 .LBB40_1015
.LBB40_999:                             ;   Parent Loop BB40_3 Depth=1
                                        ; =>  This Inner Loop Header: Depth=2
	s_delay_alu instid0(VALU_DEP_1) | instskip(SKIP_1) | instid1(SALU_CYCLE_1)
	v_cmp_eq_u32_e32 vcc_lo, 0, v32
	s_and_b32 s66, s5, vcc_lo
	s_and_saveexec_b32 s8, s66
	s_cbranch_execz .LBB40_1001
; %bb.1000:                             ;   in Loop: Header=BB40_999 Depth=2
	ds_load_b64 v[34:35], v71
	s_wait_dscnt 0x0
	v_mul_f64_e32 v[30:31], v[30:31], v[34:35]
	ds_store_b64 v5, v[30:31] offset:41472
.LBB40_1001:                            ;   in Loop: Header=BB40_999 Depth=2
	s_or_b32 exec_lo, exec_lo, s8
	v_cmp_gt_u32_e32 vcc_lo, s7, v2
	s_wait_dscnt 0x0
	s_barrier_signal -1
	s_barrier_wait -1
	s_and_b32 s66, s5, vcc_lo
	s_delay_alu instid0(SALU_CYCLE_1)
	s_and_saveexec_b32 s8, s66
	s_cbranch_execz .LBB40_1003
; %bb.1002:                             ;   in Loop: Header=BB40_999 Depth=2
	ds_load_b64 v[34:35], v33 offset:1536
	ds_load_b64 v[36:37], v5 offset:41472
	s_wait_dscnt 0x0
	v_fmac_f64_e32 v[30:31], v[34:35], v[36:37]
.LBB40_1003:                            ;   in Loop: Header=BB40_999 Depth=2
	s_or_b32 exec_lo, exec_lo, s8
	s_add_co_i32 s8, s7, -1
	s_delay_alu instid0(SALU_CYCLE_1) | instskip(SKIP_3) | instid1(SALU_CYCLE_1)
	v_cmp_eq_u32_e32 vcc_lo, s8, v2
	s_barrier_signal -1
	s_barrier_wait -1
	s_and_b32 s67, s5, vcc_lo
	s_and_saveexec_b32 s66, s67
	s_cbranch_execz .LBB40_1005
; %bb.1004:                             ;   in Loop: Header=BB40_999 Depth=2
	ds_load_b64 v[34:35], v71
	s_wait_dscnt 0x0
	v_mul_f64_e32 v[30:31], v[30:31], v[34:35]
	ds_store_b64 v5, v[30:31] offset:41472
.LBB40_1005:                            ;   in Loop: Header=BB40_999 Depth=2
	s_or_b32 exec_lo, exec_lo, s66
	v_cmp_gt_u32_e32 vcc_lo, s8, v2
	s_wait_dscnt 0x0
	s_barrier_signal -1
	s_barrier_wait -1
	s_and_b32 s66, s5, vcc_lo
	s_delay_alu instid0(SALU_CYCLE_1)
	s_and_saveexec_b32 s8, s66
	s_cbranch_execz .LBB40_1007
; %bb.1006:                             ;   in Loop: Header=BB40_999 Depth=2
	ds_load_b64 v[34:35], v33 offset:1024
	ds_load_b64 v[36:37], v5 offset:41472
	s_wait_dscnt 0x0
	v_fmac_f64_e32 v[30:31], v[34:35], v[36:37]
.LBB40_1007:                            ;   in Loop: Header=BB40_999 Depth=2
	s_or_b32 exec_lo, exec_lo, s8
	s_add_co_i32 s8, s7, -2
	s_delay_alu instid0(SALU_CYCLE_1) | instskip(SKIP_3) | instid1(SALU_CYCLE_1)
	v_cmp_eq_u32_e32 vcc_lo, s8, v2
	s_barrier_signal -1
	s_barrier_wait -1
	;; [unrolled: 30-line block ×3, first 2 shown]
	s_and_b32 s66, s5, vcc_lo
	s_and_saveexec_b32 s8, s66
	s_cbranch_execz .LBB40_1013
; %bb.1012:                             ;   in Loop: Header=BB40_999 Depth=2
	ds_load_b64 v[34:35], v71
	s_wait_dscnt 0x0
	v_mul_f64_e32 v[30:31], v[30:31], v[34:35]
	ds_store_b64 v5, v[30:31] offset:41472
.LBB40_1013:                            ;   in Loop: Header=BB40_999 Depth=2
	s_or_b32 exec_lo, exec_lo, s8
	v_cmp_gt_u32_e32 vcc_lo, s97, v2
	s_wait_dscnt 0x0
	s_barrier_signal -1
	s_barrier_wait -1
	s_and_b32 s66, s5, vcc_lo
	s_delay_alu instid0(SALU_CYCLE_1)
	s_and_saveexec_b32 s8, s66
	s_cbranch_execz .LBB40_998
; %bb.1014:                             ;   in Loop: Header=BB40_999 Depth=2
	ds_load_b64 v[34:35], v33
	ds_load_b64 v[36:37], v5 offset:41472
	s_wait_dscnt 0x0
	v_fmac_f64_e32 v[30:31], v[34:35], v[36:37]
	s_branch .LBB40_998
.LBB40_1015:                            ;   in Loop: Header=BB40_3 Depth=1
	s_and_b32 vcc_lo, exec_lo, s69
	s_mov_b32 s7, -1
	s_cbranch_vccnz .LBB40_1035
; %bb.1016:                             ;   in Loop: Header=BB40_3 Depth=1
	s_and_not1_b32 vcc_lo, exec_lo, s7
	s_cbranch_vccz .LBB40_1036
.LBB40_1017:                            ;   in Loop: Header=BB40_3 Depth=1
	s_and_saveexec_b32 s7, s96
	s_cbranch_execz .LBB40_1019
.LBB40_1018:                            ;   in Loop: Header=BB40_3 Depth=1
	v_lshl_add_u64 v[32:33], v[10:11], 3, s[98:99]
	global_store_b64 v[32:33], v[30:31], off
.LBB40_1019:                            ;   in Loop: Header=BB40_3 Depth=1
	s_wait_xcnt 0x0
	s_or_b32 exec_lo, exec_lo, s7
	global_wb scope:SCOPE_DEV
	s_wait_storecnt 0x0
	global_inv scope:SCOPE_DEV
	s_wait_loadcnt 0x0
	s_barrier_signal -1
	s_barrier_wait -1
	s_and_saveexec_b32 s7, s59
	s_cbranch_execz .LBB40_2
; %bb.1020:                             ;   in Loop: Header=BB40_3 Depth=1
	s_lshl_b64 s[66:67], s[88:89], 2
	s_delay_alu instid0(SALU_CYCLE_1)
	s_add_nc_u64 s[66:67], s[86:87], s[66:67]
	global_load_b32 v30, v5, s[66:67]
	s_wait_loadcnt 0x0
	v_add_nc_u32_e32 v30, 1, v30
	global_store_b32 v5, v30, s[66:67]
	s_branch .LBB40_2
.LBB40_1021:                            ;   in Loop: Header=BB40_3 Depth=1
	s_mov_b32 s66, exec_lo
	v_readlane_b32 s67, v84, 24
	s_and_b32 s67, s66, s67
	s_delay_alu instid0(SALU_CYCLE_1)
	s_xor_b32 s66, s67, s66
	s_mov_b32 exec_lo, s67
	s_cbranch_execz .LBB40_1023
; %bb.1022:                             ;   in Loop: Header=BB40_3 Depth=1
	v_readlane_b32 s8, v82, 6
	s_and_b32 s8, s8, exec_lo
.LBB40_1023:                            ;   in Loop: Header=BB40_3 Depth=1
	s_or_saveexec_b32 s66, s66
	v_mov_b64_e32 v[30:31], 0
	s_xor_b32 exec_lo, exec_lo, s66
	s_cbranch_execz .LBB40_1025
; %bb.1024:                             ;   in Loop: Header=BB40_3 Depth=1
	v_lshl_add_u64 v[30:31], v[12:13], 3, s[96:97]
	s_or_b32 s8, s8, exec_lo
	global_load_b64 v[30:31], v[30:31], off
	s_wait_loadcnt 0x0
	v_div_scale_f64 v[32:33], null, v[30:31], v[30:31], 1.0
	s_delay_alu instid0(VALU_DEP_1) | instskip(SKIP_1) | instid1(TRANS32_DEP_1)
	v_rcp_f64_e32 v[34:35], v[32:33]
	v_nop
	v_fma_f64 v[36:37], -v[32:33], v[34:35], 1.0
	s_delay_alu instid0(VALU_DEP_1) | instskip(NEXT) | instid1(VALU_DEP_1)
	v_fmac_f64_e32 v[34:35], v[34:35], v[36:37]
	v_fma_f64 v[36:37], -v[32:33], v[34:35], 1.0
	s_delay_alu instid0(VALU_DEP_1) | instskip(SKIP_1) | instid1(VALU_DEP_1)
	v_fmac_f64_e32 v[34:35], v[34:35], v[36:37]
	v_div_scale_f64 v[36:37], vcc_lo, 1.0, v[30:31], 1.0
	v_mul_f64_e32 v[38:39], v[36:37], v[34:35]
	s_delay_alu instid0(VALU_DEP_1) | instskip(NEXT) | instid1(VALU_DEP_1)
	v_fma_f64 v[32:33], -v[32:33], v[38:39], v[36:37]
	v_div_fmas_f64 v[32:33], v[32:33], v[34:35], v[38:39]
	s_delay_alu instid0(VALU_DEP_1)
	v_div_fixup_f64 v[30:31], v[32:33], v[30:31], 1.0
.LBB40_1025:                            ;   in Loop: Header=BB40_3 Depth=1
	s_or_b32 exec_lo, exec_lo, s66
	s_delay_alu instid0(SALU_CYCLE_1)
	s_and_b32 s8, s8, exec_lo
	s_and_not1_saveexec_b32 s7, s7
	s_cbranch_execz .LBB40_16
.LBB40_1026:                            ;   in Loop: Header=BB40_3 Depth=1
	v_lshl_add_u64 v[30:31], v[12:13], 3, s[96:97]
	s_or_b32 s8, s8, exec_lo
	global_load_b64 v[30:31], v[30:31], off
	s_wait_loadcnt 0x0
	v_xor_b32_e32 v31, 0x80000000, v31
	s_or_b32 exec_lo, exec_lo, s7
	s_and_saveexec_b32 s7, s8
	s_cbranch_execnz .LBB40_17
	s_branch .LBB40_18
.LBB40_1027:                            ;   in Loop: Header=BB40_3 Depth=1
	s_mov_b32 s66, exec_lo
	v_readlane_b32 s67, v84, 25
	s_and_b32 s67, s66, s67
	s_delay_alu instid0(SALU_CYCLE_1)
	s_xor_b32 s66, s67, s66
	s_mov_b32 exec_lo, s67
	s_cbranch_execz .LBB40_1029
; %bb.1028:                             ;   in Loop: Header=BB40_3 Depth=1
	v_readlane_b32 s8, v82, 6
	s_and_b32 s8, s8, exec_lo
.LBB40_1029:                            ;   in Loop: Header=BB40_3 Depth=1
	s_or_saveexec_b32 s66, s66
	v_mov_b64_e32 v[30:31], 0
	s_xor_b32 exec_lo, exec_lo, s66
	s_cbranch_execz .LBB40_1031
; %bb.1030:                             ;   in Loop: Header=BB40_3 Depth=1
	v_lshl_add_u64 v[30:31], v[12:13], 3, s[96:97]
	s_or_b32 s8, s8, exec_lo
	global_load_b64 v[30:31], v[30:31], off
	s_wait_loadcnt 0x0
	v_div_scale_f64 v[32:33], null, v[30:31], v[30:31], 1.0
	s_delay_alu instid0(VALU_DEP_1) | instskip(SKIP_1) | instid1(TRANS32_DEP_1)
	v_rcp_f64_e32 v[34:35], v[32:33]
	v_nop
	v_fma_f64 v[36:37], -v[32:33], v[34:35], 1.0
	s_delay_alu instid0(VALU_DEP_1) | instskip(NEXT) | instid1(VALU_DEP_1)
	v_fmac_f64_e32 v[34:35], v[34:35], v[36:37]
	v_fma_f64 v[36:37], -v[32:33], v[34:35], 1.0
	s_delay_alu instid0(VALU_DEP_1) | instskip(SKIP_1) | instid1(VALU_DEP_1)
	v_fmac_f64_e32 v[34:35], v[34:35], v[36:37]
	v_div_scale_f64 v[36:37], vcc_lo, 1.0, v[30:31], 1.0
	v_mul_f64_e32 v[38:39], v[36:37], v[34:35]
	s_delay_alu instid0(VALU_DEP_1) | instskip(NEXT) | instid1(VALU_DEP_1)
	v_fma_f64 v[32:33], -v[32:33], v[38:39], v[36:37]
	v_div_fmas_f64 v[32:33], v[32:33], v[34:35], v[38:39]
	s_delay_alu instid0(VALU_DEP_1)
	v_div_fixup_f64 v[30:31], v[32:33], v[30:31], 1.0
.LBB40_1031:                            ;   in Loop: Header=BB40_3 Depth=1
	s_or_b32 exec_lo, exec_lo, s66
	s_delay_alu instid0(SALU_CYCLE_1)
	s_and_b32 s8, s8, exec_lo
	s_and_not1_saveexec_b32 s7, s7
	s_cbranch_execz .LBB40_52
.LBB40_1032:                            ;   in Loop: Header=BB40_3 Depth=1
	v_lshl_add_u64 v[30:31], v[12:13], 3, s[96:97]
	s_or_b32 s8, s8, exec_lo
	global_load_b64 v[30:31], v[30:31], off
	s_wait_loadcnt 0x0
	v_xor_b32_e32 v31, 0x80000000, v31
	s_or_b32 exec_lo, exec_lo, s7
	s_and_saveexec_b32 s7, s8
	s_cbranch_execnz .LBB40_53
	s_branch .LBB40_54
.LBB40_1033:                            ;   in Loop: Header=BB40_3 Depth=1
	s_or_b32 exec_lo, exec_lo, s97
	s_delay_alu instid0(SALU_CYCLE_1)
	s_and_b32 vcc_lo, exec_lo, s7
	s_cbranch_vccnz .LBB40_997
.LBB40_1034:                            ;   in Loop: Header=BB40_3 Depth=1
	s_delay_alu instid0(VALU_DEP_1)
	v_mov_b64_e32 v[30:31], v[34:35]
	s_and_saveexec_b32 s7, s96
	s_cbranch_execnz .LBB40_1018
	s_branch .LBB40_1019
.LBB40_1035:                            ;   in Loop: Header=BB40_3 Depth=1
	s_and_not1_b32 s8, s96, exec_lo
	s_and_b32 s66, s5, exec_lo
	s_delay_alu instid0(SALU_CYCLE_1)
	s_or_b32 s96, s8, s66
	s_cbranch_execnz .LBB40_1017
.LBB40_1036:                            ;   in Loop: Header=BB40_3 Depth=1
	v_readlane_b32 s8, v84, 11
	s_and_not1_b32 s7, s96, exec_lo
	s_and_b32 s8, s8, exec_lo
	s_delay_alu instid0(SALU_CYCLE_1) | instskip(NEXT) | instid1(SALU_CYCLE_1)
	s_or_b32 s96, s7, s8
	s_and_saveexec_b32 s7, s96
	s_cbranch_execnz .LBB40_1018
	s_branch .LBB40_1019
.LBB40_1037:                            ;   in Loop: Header=BB40_3 Depth=1
	ds_load_b64 v[32:33], v47 offset:31680
	ds_load_b64 v[34:35], v46 offset:32744
	s_wait_dscnt 0x0
	v_fmac_f64_e32 v[30:31], v[32:33], v[34:35]
	s_or_b32 exec_lo, exec_lo, s8
	s_and_saveexec_b32 s8, s17
	s_cbranch_execz .LBB40_105
.LBB40_1038:                            ;   in Loop: Header=BB40_3 Depth=1
	ds_load_b64 v[32:33], v47 offset:32192
	ds_load_b64 v[34:35], v46 offset:32752
	s_wait_dscnt 0x0
	v_fmac_f64_e32 v[30:31], v[32:33], v[34:35]
	s_or_b32 exec_lo, exec_lo, s8
	s_and_saveexec_b32 s8, s1
	s_cbranch_execnz .LBB40_106
	s_branch .LBB40_107
.LBB40_1039:                            ;   in Loop: Header=BB40_3 Depth=1
	ds_load_b64 v[32:33], v51 offset:29568
	ds_load_b64 v[34:35], v50 offset:32712
	s_wait_dscnt 0x0
	v_fmac_f64_e32 v[30:31], v[32:33], v[34:35]
	s_or_b32 exec_lo, exec_lo, s8
	s_and_saveexec_b32 s8, s19
	s_cbranch_execz .LBB40_143
.LBB40_1040:                            ;   in Loop: Header=BB40_3 Depth=1
	ds_load_b64 v[32:33], v51 offset:30080
	ds_load_b64 v[34:35], v50 offset:32720
	s_wait_dscnt 0x0
	v_fmac_f64_e32 v[30:31], v[32:33], v[34:35]
	s_or_b32 exec_lo, exec_lo, s8
	s_and_saveexec_b32 s8, s20
	s_cbranch_execz .LBB40_144
.LBB40_1041:                            ;   in Loop: Header=BB40_3 Depth=1
	ds_load_b64 v[32:33], v51 offset:30592
	ds_load_b64 v[34:35], v50 offset:32728
	s_wait_dscnt 0x0
	v_fmac_f64_e32 v[30:31], v[32:33], v[34:35]
	s_or_b32 exec_lo, exec_lo, s8
	s_and_saveexec_b32 s8, s21
	s_cbranch_execz .LBB40_145
.LBB40_1042:                            ;   in Loop: Header=BB40_3 Depth=1
	ds_load_b64 v[32:33], v51 offset:31104
	ds_load_b64 v[34:35], v50 offset:32736
	s_wait_dscnt 0x0
	v_fmac_f64_e32 v[30:31], v[32:33], v[34:35]
	s_or_b32 exec_lo, exec_lo, s8
	s_and_saveexec_b32 s8, s22
	s_cbranch_execz .LBB40_146
.LBB40_1043:                            ;   in Loop: Header=BB40_3 Depth=1
	ds_load_b64 v[32:33], v51 offset:31616
	ds_load_b64 v[34:35], v50 offset:32744
	s_wait_dscnt 0x0
	v_fmac_f64_e32 v[30:31], v[32:33], v[34:35]
	s_or_b32 exec_lo, exec_lo, s8
	s_and_saveexec_b32 s8, s2
	s_cbranch_execz .LBB40_147
.LBB40_1044:                            ;   in Loop: Header=BB40_3 Depth=1
	ds_load_b64 v[32:33], v51 offset:32128
	ds_load_b64 v[34:35], v50 offset:32752
	s_wait_dscnt 0x0
	v_fmac_f64_e32 v[30:31], v[32:33], v[34:35]
	s_or_b32 exec_lo, exec_lo, s8
	s_and_saveexec_b32 s8, s17
	s_cbranch_execnz .LBB40_148
	s_branch .LBB40_149
.LBB40_1045:                            ;   in Loop: Header=BB40_3 Depth=1
	ds_load_b64 v[32:33], v47 offset:27520
	ds_load_b64 v[34:35], v46 offset:28584
	s_wait_dscnt 0x0
	v_fmac_f64_e32 v[30:31], v[32:33], v[34:35]
	s_or_b32 exec_lo, exec_lo, s8
	s_and_saveexec_b32 s8, s17
	s_cbranch_execz .LBB40_201
.LBB40_1046:                            ;   in Loop: Header=BB40_3 Depth=1
	ds_load_b64 v[32:33], v47 offset:28032
	ds_load_b64 v[34:35], v46 offset:28592
	s_wait_dscnt 0x0
	v_fmac_f64_e32 v[30:31], v[32:33], v[34:35]
	s_or_b32 exec_lo, exec_lo, s8
	s_and_saveexec_b32 s8, s1
	s_cbranch_execnz .LBB40_202
	s_branch .LBB40_203
.LBB40_1047:                            ;   in Loop: Header=BB40_3 Depth=1
	ds_load_b64 v[32:33], v55 offset:30464
	ds_load_b64 v[34:35], v54 offset:32728
	s_wait_dscnt 0x0
	v_fmac_f64_e32 v[30:31], v[32:33], v[34:35]
	s_or_b32 exec_lo, exec_lo, s8
	s_and_saveexec_b32 s8, s3
	s_cbranch_execz .LBB40_259
.LBB40_1048:                            ;   in Loop: Header=BB40_3 Depth=1
	ds_load_b64 v[32:33], v55 offset:30976
	ds_load_b64 v[34:35], v54 offset:32736
	s_wait_dscnt 0x0
	v_fmac_f64_e32 v[30:31], v[32:33], v[34:35]
	s_or_b32 exec_lo, exec_lo, s8
	s_and_saveexec_b32 s8, s19
	s_cbranch_execz .LBB40_260
.LBB40_1049:                            ;   in Loop: Header=BB40_3 Depth=1
	ds_load_b64 v[32:33], v55 offset:31488
	ds_load_b64 v[34:35], v54 offset:32744
	s_wait_dscnt 0x0
	v_fmac_f64_e32 v[30:31], v[32:33], v[34:35]
	s_or_b32 exec_lo, exec_lo, s8
	s_and_saveexec_b32 s8, s21
	s_cbranch_execz .LBB40_261
.LBB40_1050:                            ;   in Loop: Header=BB40_3 Depth=1
	ds_load_b64 v[32:33], v55 offset:32000
	ds_load_b64 v[34:35], v54 offset:32752
	s_wait_dscnt 0x0
	v_fmac_f64_e32 v[30:31], v[32:33], v[34:35]
	s_or_b32 exec_lo, exec_lo, s8
	s_and_saveexec_b32 s8, s2
	s_cbranch_execnz .LBB40_262
	s_branch .LBB40_263
.LBB40_1051:                            ;   in Loop: Header=BB40_3 Depth=1
	ds_load_b64 v[32:33], v47 offset:23360
	ds_load_b64 v[34:35], v46 offset:24424
	s_wait_dscnt 0x0
	v_fmac_f64_e32 v[30:31], v[32:33], v[34:35]
	s_or_b32 exec_lo, exec_lo, s8
	s_and_saveexec_b32 s8, s17
	s_cbranch_execz .LBB40_347
.LBB40_1052:                            ;   in Loop: Header=BB40_3 Depth=1
	ds_load_b64 v[32:33], v47 offset:23872
	ds_load_b64 v[34:35], v46 offset:24432
	s_wait_dscnt 0x0
	v_fmac_f64_e32 v[30:31], v[32:33], v[34:35]
	s_or_b32 exec_lo, exec_lo, s8
	s_and_saveexec_b32 s8, s1
	s_cbranch_execnz .LBB40_348
	s_branch .LBB40_349
.LBB40_1053:                            ;   in Loop: Header=BB40_3 Depth=1
	ds_load_b64 v[32:33], v51 offset:21248
	ds_load_b64 v[34:35], v50 offset:24392
	s_wait_dscnt 0x0
	v_fmac_f64_e32 v[30:31], v[32:33], v[34:35]
	s_or_b32 exec_lo, exec_lo, s8
	s_and_saveexec_b32 s8, s19
	s_cbranch_execz .LBB40_385
.LBB40_1054:                            ;   in Loop: Header=BB40_3 Depth=1
	ds_load_b64 v[32:33], v51 offset:21760
	ds_load_b64 v[34:35], v50 offset:24400
	s_wait_dscnt 0x0
	v_fmac_f64_e32 v[30:31], v[32:33], v[34:35]
	s_or_b32 exec_lo, exec_lo, s8
	s_and_saveexec_b32 s8, s20
	s_cbranch_execz .LBB40_386
.LBB40_1055:                            ;   in Loop: Header=BB40_3 Depth=1
	ds_load_b64 v[32:33], v51 offset:22272
	ds_load_b64 v[34:35], v50 offset:24408
	s_wait_dscnt 0x0
	v_fmac_f64_e32 v[30:31], v[32:33], v[34:35]
	s_or_b32 exec_lo, exec_lo, s8
	s_and_saveexec_b32 s8, s21
	s_cbranch_execz .LBB40_387
.LBB40_1056:                            ;   in Loop: Header=BB40_3 Depth=1
	ds_load_b64 v[32:33], v51 offset:22784
	ds_load_b64 v[34:35], v50 offset:24416
	s_wait_dscnt 0x0
	v_fmac_f64_e32 v[30:31], v[32:33], v[34:35]
	s_or_b32 exec_lo, exec_lo, s8
	s_and_saveexec_b32 s8, s22
	s_cbranch_execz .LBB40_388
.LBB40_1057:                            ;   in Loop: Header=BB40_3 Depth=1
	ds_load_b64 v[32:33], v51 offset:23296
	ds_load_b64 v[34:35], v50 offset:24424
	s_wait_dscnt 0x0
	v_fmac_f64_e32 v[30:31], v[32:33], v[34:35]
	s_or_b32 exec_lo, exec_lo, s8
	s_and_saveexec_b32 s8, s2
	s_cbranch_execz .LBB40_389
.LBB40_1058:                            ;   in Loop: Header=BB40_3 Depth=1
	ds_load_b64 v[32:33], v51 offset:23808
	ds_load_b64 v[34:35], v50 offset:24432
	s_wait_dscnt 0x0
	v_fmac_f64_e32 v[30:31], v[32:33], v[34:35]
	s_or_b32 exec_lo, exec_lo, s8
	s_and_saveexec_b32 s8, s17
	s_cbranch_execnz .LBB40_390
	s_branch .LBB40_391
.LBB40_1059:                            ;   in Loop: Header=BB40_3 Depth=1
	ds_load_b64 v[32:33], v47 offset:19200
	ds_load_b64 v[34:35], v46 offset:20264
	s_wait_dscnt 0x0
	v_fmac_f64_e32 v[30:31], v[32:33], v[34:35]
	s_or_b32 exec_lo, exec_lo, s8
	s_and_saveexec_b32 s8, s17
	s_cbranch_execz .LBB40_443
.LBB40_1060:                            ;   in Loop: Header=BB40_3 Depth=1
	ds_load_b64 v[32:33], v47 offset:19712
	ds_load_b64 v[34:35], v46 offset:20272
	s_wait_dscnt 0x0
	v_fmac_f64_e32 v[30:31], v[32:33], v[34:35]
	s_or_b32 exec_lo, exec_lo, s8
	s_and_saveexec_b32 s8, s1
	s_cbranch_execnz .LBB40_444
	s_branch .LBB40_445
.LBB40_1061:                            ;   in Loop: Header=BB40_3 Depth=1
	ds_load_b64 v[32:33], v60 offset:31232
	ds_load_b64 v[34:35], v59 offset:32744
	s_wait_dscnt 0x0
	v_fmac_f64_e32 v[30:31], v[32:33], v[34:35]
	s_or_b32 exec_lo, exec_lo, s7
	s_and_saveexec_b32 s7, s3
	s_cbranch_execz .LBB40_537
.LBB40_1062:                            ;   in Loop: Header=BB40_3 Depth=1
	ds_load_b64 v[32:33], v60 offset:31744
	ds_load_b64 v[34:35], v59 offset:32752
	s_wait_dscnt 0x0
	v_fmac_f64_e32 v[30:31], v[32:33], v[34:35]
	s_or_b32 exec_lo, exec_lo, s7
	s_and_saveexec_b32 s7, s21
	s_delay_alu instid0(SALU_CYCLE_1)
	s_xor_b32 s7, exec_lo, s7
	s_cbranch_execnz .LBB40_538
	s_branch .LBB40_539
.LBB40_1063:                            ;   in Loop: Header=BB40_3 Depth=1
	ds_load_b64 v[32:33], v47 offset:15040
	ds_load_b64 v[34:35], v46 offset:16104
	s_wait_dscnt 0x0
	v_fmac_f64_e32 v[30:31], v[32:33], v[34:35]
	s_or_b32 exec_lo, exec_lo, s8
	s_and_saveexec_b32 s8, s17
	s_cbranch_execz .LBB40_579
.LBB40_1064:                            ;   in Loop: Header=BB40_3 Depth=1
	ds_load_b64 v[32:33], v47 offset:15552
	ds_load_b64 v[34:35], v46 offset:16112
	s_wait_dscnt 0x0
	v_fmac_f64_e32 v[30:31], v[32:33], v[34:35]
	s_or_b32 exec_lo, exec_lo, s8
	s_and_saveexec_b32 s8, s1
	s_cbranch_execnz .LBB40_580
	s_branch .LBB40_581
.LBB40_1065:                            ;   in Loop: Header=BB40_3 Depth=1
	ds_load_b64 v[32:33], v51 offset:12928
	ds_load_b64 v[34:35], v50 offset:16072
	s_wait_dscnt 0x0
	v_fmac_f64_e32 v[30:31], v[32:33], v[34:35]
	s_or_b32 exec_lo, exec_lo, s8
	s_and_saveexec_b32 s8, s19
	s_cbranch_execz .LBB40_617
.LBB40_1066:                            ;   in Loop: Header=BB40_3 Depth=1
	ds_load_b64 v[32:33], v51 offset:13440
	ds_load_b64 v[34:35], v50 offset:16080
	s_wait_dscnt 0x0
	v_fmac_f64_e32 v[30:31], v[32:33], v[34:35]
	s_or_b32 exec_lo, exec_lo, s8
	s_and_saveexec_b32 s8, s20
	s_cbranch_execz .LBB40_618
.LBB40_1067:                            ;   in Loop: Header=BB40_3 Depth=1
	ds_load_b64 v[32:33], v51 offset:13952
	ds_load_b64 v[34:35], v50 offset:16088
	s_wait_dscnt 0x0
	v_fmac_f64_e32 v[30:31], v[32:33], v[34:35]
	s_or_b32 exec_lo, exec_lo, s8
	s_and_saveexec_b32 s8, s21
	s_cbranch_execz .LBB40_619
.LBB40_1068:                            ;   in Loop: Header=BB40_3 Depth=1
	ds_load_b64 v[32:33], v51 offset:14464
	ds_load_b64 v[34:35], v50 offset:16096
	s_wait_dscnt 0x0
	v_fmac_f64_e32 v[30:31], v[32:33], v[34:35]
	s_or_b32 exec_lo, exec_lo, s8
	s_and_saveexec_b32 s8, s22
	s_cbranch_execz .LBB40_620
.LBB40_1069:                            ;   in Loop: Header=BB40_3 Depth=1
	ds_load_b64 v[32:33], v51 offset:14976
	ds_load_b64 v[34:35], v50 offset:16104
	s_wait_dscnt 0x0
	v_fmac_f64_e32 v[30:31], v[32:33], v[34:35]
	s_or_b32 exec_lo, exec_lo, s8
	s_and_saveexec_b32 s8, s2
	s_cbranch_execz .LBB40_621
.LBB40_1070:                            ;   in Loop: Header=BB40_3 Depth=1
	ds_load_b64 v[32:33], v51 offset:15488
	ds_load_b64 v[34:35], v50 offset:16112
	s_wait_dscnt 0x0
	v_fmac_f64_e32 v[30:31], v[32:33], v[34:35]
	s_or_b32 exec_lo, exec_lo, s8
	s_and_saveexec_b32 s8, s17
	s_cbranch_execnz .LBB40_622
	s_branch .LBB40_623
.LBB40_1071:                            ;   in Loop: Header=BB40_3 Depth=1
	ds_load_b64 v[32:33], v47 offset:10880
	ds_load_b64 v[34:35], v46 offset:11944
	s_wait_dscnt 0x0
	v_fmac_f64_e32 v[30:31], v[32:33], v[34:35]
	s_or_b32 exec_lo, exec_lo, s8
	s_and_saveexec_b32 s8, s17
	s_cbranch_execz .LBB40_675
.LBB40_1072:                            ;   in Loop: Header=BB40_3 Depth=1
	ds_load_b64 v[32:33], v47 offset:11392
	ds_load_b64 v[34:35], v46 offset:11952
	s_wait_dscnt 0x0
	v_fmac_f64_e32 v[30:31], v[32:33], v[34:35]
	s_or_b32 exec_lo, exec_lo, s8
	s_and_saveexec_b32 s8, s1
	s_cbranch_execnz .LBB40_676
	s_branch .LBB40_677
.LBB40_1073:                            ;   in Loop: Header=BB40_3 Depth=1
	ds_load_b64 v[32:33], v55 offset:13824
	ds_load_b64 v[34:35], v54 offset:16088
	s_wait_dscnt 0x0
	v_fmac_f64_e32 v[30:31], v[32:33], v[34:35]
	s_or_b32 exec_lo, exec_lo, s8
	s_and_saveexec_b32 s8, s3
	s_cbranch_execz .LBB40_733
.LBB40_1074:                            ;   in Loop: Header=BB40_3 Depth=1
	ds_load_b64 v[32:33], v55 offset:14336
	ds_load_b64 v[34:35], v54 offset:16096
	s_wait_dscnt 0x0
	v_fmac_f64_e32 v[30:31], v[32:33], v[34:35]
	s_or_b32 exec_lo, exec_lo, s8
	s_and_saveexec_b32 s8, s19
	s_cbranch_execz .LBB40_734
.LBB40_1075:                            ;   in Loop: Header=BB40_3 Depth=1
	ds_load_b64 v[32:33], v55 offset:14848
	ds_load_b64 v[34:35], v54 offset:16104
	s_wait_dscnt 0x0
	v_fmac_f64_e32 v[30:31], v[32:33], v[34:35]
	s_or_b32 exec_lo, exec_lo, s8
	s_and_saveexec_b32 s8, s21
	s_cbranch_execz .LBB40_735
.LBB40_1076:                            ;   in Loop: Header=BB40_3 Depth=1
	ds_load_b64 v[32:33], v55 offset:15360
	ds_load_b64 v[34:35], v54 offset:16112
	s_wait_dscnt 0x0
	v_fmac_f64_e32 v[30:31], v[32:33], v[34:35]
	s_or_b32 exec_lo, exec_lo, s8
	s_and_saveexec_b32 s8, s2
	s_cbranch_execnz .LBB40_736
	s_branch .LBB40_737
.LBB40_1077:                            ;   in Loop: Header=BB40_3 Depth=1
	ds_load_b64 v[32:33], v47 offset:6720
	ds_load_b64 v[34:35], v46 offset:7784
	s_wait_dscnt 0x0
	v_fmac_f64_e32 v[30:31], v[32:33], v[34:35]
	s_or_b32 exec_lo, exec_lo, s8
	s_and_saveexec_b32 s8, s17
	s_cbranch_execz .LBB40_821
.LBB40_1078:                            ;   in Loop: Header=BB40_3 Depth=1
	ds_load_b64 v[32:33], v47 offset:7232
	ds_load_b64 v[34:35], v46 offset:7792
	s_wait_dscnt 0x0
	v_fmac_f64_e32 v[30:31], v[32:33], v[34:35]
	s_or_b32 exec_lo, exec_lo, s8
	s_and_saveexec_b32 s8, s1
	s_cbranch_execnz .LBB40_822
	s_branch .LBB40_823
.LBB40_1079:                            ;   in Loop: Header=BB40_3 Depth=1
	ds_load_b64 v[32:33], v51 offset:4608
	ds_load_b64 v[34:35], v50 offset:7752
	s_wait_dscnt 0x0
	v_fmac_f64_e32 v[30:31], v[32:33], v[34:35]
	s_or_b32 exec_lo, exec_lo, s8
	s_and_saveexec_b32 s8, s19
	s_cbranch_execz .LBB40_859
.LBB40_1080:                            ;   in Loop: Header=BB40_3 Depth=1
	ds_load_b64 v[32:33], v51 offset:5120
	ds_load_b64 v[34:35], v50 offset:7760
	s_wait_dscnt 0x0
	v_fmac_f64_e32 v[30:31], v[32:33], v[34:35]
	s_or_b32 exec_lo, exec_lo, s8
	s_and_saveexec_b32 s8, s20
	s_cbranch_execz .LBB40_860
.LBB40_1081:                            ;   in Loop: Header=BB40_3 Depth=1
	ds_load_b64 v[32:33], v51 offset:5632
	ds_load_b64 v[34:35], v50 offset:7768
	s_wait_dscnt 0x0
	v_fmac_f64_e32 v[30:31], v[32:33], v[34:35]
	s_or_b32 exec_lo, exec_lo, s8
	s_and_saveexec_b32 s8, s21
	s_cbranch_execz .LBB40_861
.LBB40_1082:                            ;   in Loop: Header=BB40_3 Depth=1
	ds_load_b64 v[32:33], v51 offset:6144
	ds_load_b64 v[34:35], v50 offset:7776
	s_wait_dscnt 0x0
	v_fmac_f64_e32 v[30:31], v[32:33], v[34:35]
	s_or_b32 exec_lo, exec_lo, s8
	s_and_saveexec_b32 s8, s22
	s_cbranch_execz .LBB40_862
.LBB40_1083:                            ;   in Loop: Header=BB40_3 Depth=1
	ds_load_b64 v[32:33], v51 offset:6656
	ds_load_b64 v[34:35], v50 offset:7784
	s_wait_dscnt 0x0
	v_fmac_f64_e32 v[30:31], v[32:33], v[34:35]
	s_or_b32 exec_lo, exec_lo, s8
	s_and_saveexec_b32 s8, s2
	s_cbranch_execz .LBB40_863
.LBB40_1084:                            ;   in Loop: Header=BB40_3 Depth=1
	ds_load_b64 v[32:33], v51 offset:7168
	ds_load_b64 v[34:35], v50 offset:7792
	s_wait_dscnt 0x0
	v_fmac_f64_e32 v[30:31], v[32:33], v[34:35]
	s_or_b32 exec_lo, exec_lo, s8
	s_and_saveexec_b32 s8, s17
	s_cbranch_execnz .LBB40_864
	s_branch .LBB40_865
.LBB40_1085:                            ;   in Loop: Header=BB40_3 Depth=1
	ds_load_b64 v[32:33], v47 offset:2560
	ds_load_b64 v[34:35], v46 offset:3624
	s_wait_dscnt 0x0
	v_fmac_f64_e32 v[30:31], v[32:33], v[34:35]
	s_or_b32 exec_lo, exec_lo, s8
	s_and_saveexec_b32 s8, s17
	s_cbranch_execz .LBB40_917
.LBB40_1086:                            ;   in Loop: Header=BB40_3 Depth=1
	ds_load_b64 v[32:33], v47 offset:3072
	ds_load_b64 v[34:35], v46 offset:3632
	s_wait_dscnt 0x0
	v_fmac_f64_e32 v[30:31], v[32:33], v[34:35]
	s_or_b32 exec_lo, exec_lo, s8
	s_and_saveexec_b32 s8, s1
	s_cbranch_execnz .LBB40_918
	s_branch .LBB40_919
.LBB40_1087:
	s_endpgm
	.section	.rodata,"a",@progbits
	.p2align	6, 0x0
	.amdhsa_kernel _ZL19rocblas_trsv_deviceILi64ELi16ELb0ELb0ELb0ELb0EddPKdPdEviT7_lllT6_T8_lllPii
		.amdhsa_group_segment_fixed_size 41480
		.amdhsa_private_segment_fixed_size 0
		.amdhsa_kernarg_size 352
		.amdhsa_user_sgpr_count 2
		.amdhsa_user_sgpr_dispatch_ptr 0
		.amdhsa_user_sgpr_queue_ptr 0
		.amdhsa_user_sgpr_kernarg_segment_ptr 1
		.amdhsa_user_sgpr_dispatch_id 0
		.amdhsa_user_sgpr_kernarg_preload_length 0
		.amdhsa_user_sgpr_kernarg_preload_offset 0
		.amdhsa_user_sgpr_private_segment_size 0
		.amdhsa_wavefront_size32 1
		.amdhsa_uses_dynamic_stack 0
		.amdhsa_enable_private_segment 0
		.amdhsa_system_sgpr_workgroup_id_x 1
		.amdhsa_system_sgpr_workgroup_id_y 0
		.amdhsa_system_sgpr_workgroup_id_z 1
		.amdhsa_system_sgpr_workgroup_info 0
		.amdhsa_system_vgpr_workitem_id 1
		.amdhsa_next_free_vgpr 85
		.amdhsa_next_free_sgpr 105
		.amdhsa_named_barrier_count 0
		.amdhsa_reserve_vcc 1
		.amdhsa_float_round_mode_32 0
		.amdhsa_float_round_mode_16_64 0
		.amdhsa_float_denorm_mode_32 3
		.amdhsa_float_denorm_mode_16_64 3
		.amdhsa_fp16_overflow 0
		.amdhsa_memory_ordered 1
		.amdhsa_forward_progress 1
		.amdhsa_inst_pref_size 255
		.amdhsa_round_robin_scheduling 0
		.amdhsa_exception_fp_ieee_invalid_op 0
		.amdhsa_exception_fp_denorm_src 0
		.amdhsa_exception_fp_ieee_div_zero 0
		.amdhsa_exception_fp_ieee_overflow 0
		.amdhsa_exception_fp_ieee_underflow 0
		.amdhsa_exception_fp_ieee_inexact 0
		.amdhsa_exception_int_div_zero 0
	.end_amdhsa_kernel
	.section	.text._ZL19rocblas_trsv_deviceILi64ELi16ELb0ELb0ELb0ELb0EddPKdPdEviT7_lllT6_T8_lllPii,"axG",@progbits,_ZL19rocblas_trsv_deviceILi64ELi16ELb0ELb0ELb0ELb0EddPKdPdEviT7_lllT6_T8_lllPii,comdat
.Lfunc_end40:
	.size	_ZL19rocblas_trsv_deviceILi64ELi16ELb0ELb0ELb0ELb0EddPKdPdEviT7_lllT6_T8_lllPii, .Lfunc_end40-_ZL19rocblas_trsv_deviceILi64ELi16ELb0ELb0ELb0ELb0EddPKdPdEviT7_lllT6_T8_lllPii
                                        ; -- End function
	.set _ZL19rocblas_trsv_deviceILi64ELi16ELb0ELb0ELb0ELb0EddPKdPdEviT7_lllT6_T8_lllPii.num_vgpr, 85
	.set _ZL19rocblas_trsv_deviceILi64ELi16ELb0ELb0ELb0ELb0EddPKdPdEviT7_lllT6_T8_lllPii.num_agpr, 0
	.set _ZL19rocblas_trsv_deviceILi64ELi16ELb0ELb0ELb0ELb0EddPKdPdEviT7_lllT6_T8_lllPii.numbered_sgpr, 105
	.set _ZL19rocblas_trsv_deviceILi64ELi16ELb0ELb0ELb0ELb0EddPKdPdEviT7_lllT6_T8_lllPii.num_named_barrier, 0
	.set _ZL19rocblas_trsv_deviceILi64ELi16ELb0ELb0ELb0ELb0EddPKdPdEviT7_lllT6_T8_lllPii.private_seg_size, 0
	.set _ZL19rocblas_trsv_deviceILi64ELi16ELb0ELb0ELb0ELb0EddPKdPdEviT7_lllT6_T8_lllPii.uses_vcc, 1
	.set _ZL19rocblas_trsv_deviceILi64ELi16ELb0ELb0ELb0ELb0EddPKdPdEviT7_lllT6_T8_lllPii.uses_flat_scratch, 0
	.set _ZL19rocblas_trsv_deviceILi64ELi16ELb0ELb0ELb0ELb0EddPKdPdEviT7_lllT6_T8_lllPii.has_dyn_sized_stack, 0
	.set _ZL19rocblas_trsv_deviceILi64ELi16ELb0ELb0ELb0ELb0EddPKdPdEviT7_lllT6_T8_lllPii.has_recursion, 0
	.set _ZL19rocblas_trsv_deviceILi64ELi16ELb0ELb0ELb0ELb0EddPKdPdEviT7_lllT6_T8_lllPii.has_indirect_call, 0
	.section	.AMDGPU.csdata,"",@progbits
; Kernel info:
; codeLenInByte = 33976
; TotalNumSgprs: 107
; NumVgprs: 85
; ScratchSize: 0
; MemoryBound: 0
; FloatMode: 240
; IeeeMode: 1
; LDSByteSize: 41480 bytes/workgroup (compile time only)
; SGPRBlocks: 0
; VGPRBlocks: 5
; NumSGPRsForWavesPerEU: 107
; NumVGPRsForWavesPerEU: 85
; NamedBarCnt: 0
; Occupancy: 10
; WaveLimiterHint : 0
; COMPUTE_PGM_RSRC2:SCRATCH_EN: 0
; COMPUTE_PGM_RSRC2:USER_SGPR: 2
; COMPUTE_PGM_RSRC2:TRAP_HANDLER: 0
; COMPUTE_PGM_RSRC2:TGID_X_EN: 1
; COMPUTE_PGM_RSRC2:TGID_Y_EN: 0
; COMPUTE_PGM_RSRC2:TGID_Z_EN: 1
; COMPUTE_PGM_RSRC2:TIDIG_COMP_CNT: 1
	.section	.text._ZL19rocblas_trsv_deviceILi64ELi16ELb0ELb1ELb0ELb0EddPKdPdEviT7_lllT6_T8_lllPii,"axG",@progbits,_ZL19rocblas_trsv_deviceILi64ELi16ELb0ELb1ELb0ELb0EddPKdPdEviT7_lllT6_T8_lllPii,comdat
	.globl	_ZL19rocblas_trsv_deviceILi64ELi16ELb0ELb1ELb0ELb0EddPKdPdEviT7_lllT6_T8_lllPii ; -- Begin function _ZL19rocblas_trsv_deviceILi64ELi16ELb0ELb1ELb0ELb0EddPKdPdEviT7_lllT6_T8_lllPii
	.p2align	8
	.type	_ZL19rocblas_trsv_deviceILi64ELi16ELb0ELb1ELb0ELb0EddPKdPdEviT7_lllT6_T8_lllPii,@function
_ZL19rocblas_trsv_deviceILi64ELi16ELb0ELb1ELb0ELb0EddPKdPdEviT7_lllT6_T8_lllPii: ; @_ZL19rocblas_trsv_deviceILi64ELi16ELb0ELb1ELb0ELb0EddPKdPdEviT7_lllT6_T8_lllPii
; %bb.0:
	s_load_b32 s6, s[0:1], 0x58
	s_bfe_u32 s2, ttmp6, 0x40014
	s_lshr_b32 s3, ttmp7, 16
	s_add_co_i32 s2, s2, 1
	s_bfe_u32 s5, ttmp6, 0x40008
	s_mul_i32 s4, s3, s2
	s_getreg_b32 s2, hwreg(HW_REG_IB_STS2, 6, 4)
	s_add_co_i32 s5, s5, s4
	s_cmp_eq_u32 s2, 0
	s_mov_b32 s81, 0
	s_cselect_b32 s80, s3, s5
                                        ; implicit-def: $vgpr97 : SGPR spill to VGPR lane
	s_wait_kmcnt 0x0
	s_cmp_ge_u32 s80, s6
	v_writelane_b32 v97, s6, 0
	s_cbranch_scc1 .LBB41_1149
; %bb.1:
	s_clause 0x2
	s_load_b512 s[60:75], s[0:1], 0x8
	s_load_b32 s3, s[0:1], 0x6c
	s_load_b32 s87, s[0:1], 0x0
	s_bfe_u32 s5, ttmp6, 0x4000c
	s_and_b32 s4, ttmp6, 15
	s_add_co_i32 s5, s5, 1
	s_load_b128 s[76:79], s[0:1], 0x48
	s_wait_xcnt 0x0
	s_mul_i32 s0, ttmp9, s5
	v_and_b32_e32 v4, 0x3ff, v0
	s_add_co_i32 s6, s4, s0
	v_bfe_u32 v42, v0, 10, 10
	v_mov_b32_e32 v3, 0
                                        ; implicit-def: $vgpr96 : SGPR spill to VGPR lane
                                        ; implicit-def: $vgpr32_vgpr33
	s_delay_alu instid0(VALU_DEP_3) | instskip(SKIP_1) | instid1(VALU_DEP_4)
	v_lshlrev_b32_e32 v1, 6, v4
	v_mul_i32_i24_e32 v17, 0xfffffe08, v4
	v_lshl_add_u32 v34, v42, 6, v4
	s_delay_alu instid0(VALU_DEP_4)
	v_dual_mov_b32 v7, v3 :: v_dual_mov_b32 v5, v3
	v_dual_add_nc_u32 v26, 32, v42 :: v_dual_add_nc_u32 v27, 48, v42
	s_wait_kmcnt 0x0
	s_lshl_b64 s[0:1], s[62:63], 3
	s_lshl_b64 s[4:5], s[72:73], 3
	s_cmp_eq_u32 s2, 0
	s_add_nc_u64 s[0:1], s[60:61], s[0:1]
	s_cselect_b32 s88, ttmp9, s6
	s_add_co_i32 s2, s87, -1
	s_and_b32 s6, s3, 0xffff
	s_ashr_i32 s3, s87, 31
	s_ashr_i32 s7, s2, 31
	s_lshr_b32 s3, s3, 26
	s_lshr_b32 s7, s7, 26
	s_add_co_i32 s3, s87, s3
	s_add_co_i32 s2, s2, s7
	s_and_not1_b32 s3, s3, 63
	s_ashr_i32 s2, s2, 6
	s_sub_co_i32 s15, s87, s3
	v_writelane_b32 v97, s0, 1
	s_cmp_eq_u32 s2, s88
	s_add_nc_u64 s[2:3], s[64:65], 1
	s_cselect_b32 s7, -1, 0
	s_cmp_lg_u32 s15, 0
	v_writelane_b32 v97, s1, 2
	s_cselect_b32 s0, -1, 0
	s_lshl_b32 s10, s88, 6
	s_delay_alu instid0(SALU_CYCLE_1)
	v_dual_add_nc_u32 v22, 16, v42 :: v_dual_add_nc_u32 v16, s10, v42
	v_dual_add_nc_u32 v12, s10, v4 :: v_dual_add_nc_u32 v2, v42, v1
	v_sub_co_u32 v43, s1, s88, 1
	s_and_b32 s16, s0, s7
	v_subrev_nc_u32_e32 v8, 64, v16
	s_xor_b32 s0, s1, -1
	s_xor_b32 s90, s16, -1
	s_cmp_lt_i32 s88, 5
	v_ashrrev_i32_e32 v13, 31, v12
	v_mad_nc_u64_u32 v[20:21], s2, s10, v[4:5]
	v_add_nc_u32_e32 v5, v22, v1
	v_lshl_add_u32 v14, v22, 6, v4
	s_cselect_b32 vcc_lo, -1, 0
	s_delay_alu instid0(SALU_CYCLE_1)
	v_dual_ashrrev_i32 v9, 31, v8 :: v_dual_cndmask_b32 v23, v34, v2, vcc_lo
	s_or_b32 vcc_lo, vcc_lo, s16
	s_delay_alu instid0(VALU_DEP_2) | instid1(SALU_CYCLE_1)
	v_dual_lshrrev_b32 v2, 1, v34 :: v_dual_cndmask_b32 v24, v14, v5, vcc_lo
	s_add_nc_u64 s[4:5], s[70:71], s[4:5]
	v_lshrrev_b32_e32 v5, 10, v0
	v_writelane_b32 v97, s4, 3
	s_delay_alu instid0(VALU_DEP_3) | instskip(SKIP_3) | instid1(VALU_DEP_2)
	v_dual_lshlrev_b32 v14, 9, v2 :: v_dual_bitop2_b32 v15, 1, v0 bitop3:0x40
	s_ashr_i32 s11, s10, 31
	s_mul_i32 s1, s3, s10
	v_writelane_b32 v97, s5, 4
	v_dual_sub_nc_u32 v44, 0, v14 :: v_dual_lshlrev_b32 v45, 3, v15
	v_lshlrev_b32_e32 v46, 3, v4
	v_bitop3_b32 v35, v0, v5, 0x3ff bitop3:0xa8
	v_writelane_b32 v97, s0, 5
	s_mul_i32 s0, s2, s11
	v_lshl_add_u32 v5, v2, 3, 0x8000
	v_add3_u32 v21, s0, s1, v21
	v_cmp_gt_u32_e64 s0, 4, v34
	v_cmp_eq_u32_e64 s2, 1, v15
	v_cmp_eq_u32_e64 s3, 0, v15
	v_lshrrev_b32_e32 v2, 2, v34
	v_dual_sub_nc_u32 v47, v45, v14 :: v_dual_bitop2_b32 v14, 3, v0 bitop3:0x40
	v_cmp_eq_u32_e64 s1, 0, v42
	v_cmp_gt_u32_e64 s4, 2, v4
	s_and_b32 s92, s2, s0
	s_and_b32 s93, s3, s0
	v_lshlrev_b32_e32 v15, 9, v2
	v_lshl_add_u32 v49, v2, 3, 0x8000
	v_cmp_gt_u32_e64 s2, 16, v34
	v_cmp_eq_u32_e64 s3, 3, v14
	v_lshlrev_b32_e32 v2, 6, v34
	s_and_b32 s94, s1, s4
	v_lshlrev_b32_e32 v51, 3, v14
	v_cmp_ne_u32_e64 s4, 3, v14
	s_and_b32 s95, s3, s2
	v_cmp_eq_u32_e64 s3, 2, v14
	v_cmp_gt_u32_e64 s5, 2, v14
	v_cmp_eq_u32_e64 s7, 1, v14
	v_cmp_eq_u32_e64 s8, 0, v14
	v_and_b32_e32 v14, -8, v34
	v_and_b32_e32 v2, 0xfffffe00, v2
	s_and_b32 s97, s3, s2
	v_cmp_gt_u32_e64 s3, 4, v4
	s_and_b32 s96, s4, s2
	s_and_b32 s98, s5, s2
	v_dual_sub_nc_u32 v54, 0, v2 :: v_dual_sub_nc_u32 v50, 0, v15
	v_dual_sub_nc_u32 v52, v51, v15 :: v_dual_bitop2_b32 v15, 7, v0 bitop3:0x40
	s_and_b32 s101, s1, s3
	v_cmp_gt_u32_e64 s3, 64, v34
	s_and_b32 s99, s7, s2
	v_lshl_add_u32 v28, v27, 6, v4
	v_cmp_eq_u32_e64 s4, 7, v15
	v_cmp_ne_u32_e64 s5, 7, v15
	v_cmp_eq_u32_e64 s7, 6, v15
	v_lshlrev_b32_e32 v55, 3, v15
	v_add_nc_u32_e32 v53, 0x8000, v14
	s_and_b32 s102, s4, s3
	v_cmp_gt_u32_e64 s4, 6, v15
	s_and_b32 s103, s5, s3
	v_cmp_eq_u32_e64 s5, 5, v15
	s_and_b32 s104, s7, s3
	v_cmp_gt_u32_e64 s7, 5, v15
	s_and_b32 vcc_hi, s4, s3
	v_cmp_eq_u32_e64 s4, 4, v15
	s_and_b32 s36, s5, s3
	v_cmp_gt_u32_e64 s5, 4, v15
	s_and_b32 s37, s7, s3
	v_cmp_eq_u32_e64 s7, 3, v15
	s_and_b32 s38, s4, s3
	v_cmp_gt_u32_e64 s4, 3, v15
	s_and_b32 s39, s5, s3
	v_cmp_eq_u32_e64 s5, 2, v15
	v_lshrrev_b32_e32 v14, 4, v34
	v_sub_nc_u32_e32 v56, v55, v2
	s_and_b32 s41, s4, s3
	v_cmp_eq_u32_e64 s4, 1, v15
	s_and_b32 s42, s5, s3
	v_cmp_eq_u32_e64 s5, 0, v15
	v_and_b32_e32 v2, 15, v0
	s_and_b32 s40, s7, s3
	s_and_b32 s44, s4, s3
	v_cmp_gt_u32_e64 s4, 8, v4
	v_cmp_gt_u32_e64 s7, 2, v15
	s_and_b32 s45, s5, s3
	v_cmp_eq_u32_e64 s5, 15, v2
	s_and_b32 s100, s8, s2
	s_and_b32 s46, s1, s4
	v_cmp_gt_u32_e64 s4, 0x100, v34
	s_and_b32 s43, s7, s3
	v_cmp_ne_u32_e64 s7, 15, v2
	v_cmp_eq_u32_e64 s8, 14, v2
	v_cmp_gt_u32_e64 s9, 14, v2
	s_and_b32 s5, s5, s4
	v_mad_u32_u24 v6, v42, s6, v4
	v_writelane_b32 v97, s5, 6
	v_cmp_eq_u32_e64 s5, 13, v2
	s_and_b32 s48, s7, s4
	v_cmp_gt_u32_e64 s7, 13, v2
	s_and_b32 s49, s8, s4
	s_and_b32 s50, s9, s4
	;; [unrolled: 1-line block ×3, first 2 shown]
	v_cmp_gt_u32_e64 s5, 12, v2
	s_and_b32 s52, s7, s4
	v_cmp_gt_u32_e64 s7, 11, v2
	v_cmp_eq_u32_e64 s8, 12, v2
	v_cmp_eq_u32_e64 s9, 11, v2
	s_and_b32 s54, s5, s4
	v_cmp_eq_u32_e64 s5, 10, v2
	s_and_b32 s56, s7, s4
	;; [unrolled: 2-line block ×3, first 2 shown]
	s_and_b32 s55, s9, s4
	s_and_b32 s57, s5, s4
	v_cmp_eq_u32_e64 s5, 8, v2
	s_and_b32 s61, s7, s4
	v_cmp_gt_u32_e64 s7, 8, v2
	v_cmp_gt_u32_e64 s8, 10, v2
	;; [unrolled: 1-line block ×3, first 2 shown]
	s_and_b32 s63, s5, s4
	v_cmp_gt_u32_e64 s5, 7, v2
	s_and_b32 s12, s7, s4
	v_cmp_gt_u32_e64 s7, 6, v2
	s_and_b32 s58, s8, s4
	s_and_b32 s62, s9, s4
	;; [unrolled: 1-line block ×3, first 2 shown]
	v_cmp_eq_u32_e64 s5, 5, v2
	v_cmp_eq_u32_e64 s8, 7, v2
	;; [unrolled: 1-line block ×3, first 2 shown]
	s_and_b32 s27, s7, s4
	v_cmp_eq_u32_e64 s7, 4, v2
	s_and_b32 s29, s5, s4
	v_cmp_eq_u32_e64 s5, 3, v2
	v_lshlrev_b32_e32 v19, 9, v14
	s_and_b32 s13, s8, s4
	s_and_b32 s25, s9, s4
	v_cmp_gt_u32_e64 s8, 5, v2
	v_cmp_gt_u32_e64 s9, 4, v2
	s_and_b32 s34, s7, s4
	v_cmp_gt_u32_e64 s7, 3, v2
	v_lshrrev_b32_e32 v25, 5, v34
	v_lshlrev_b32_e32 v59, 3, v2
	s_and_b32 s26, s5, s4
	v_cmp_gt_u32_e64 s5, 2, v2
	v_lshl_add_u32 v57, v14, 3, 0x8000
	s_and_b32 s31, s8, s4
	s_and_b32 s24, s9, s4
	v_cmp_eq_u32_e64 s8, 2, v2
	v_cmp_eq_u32_e64 s9, 1, v2
	s_and_b32 s28, s7, s4
	v_cmp_eq_u32_e64 s7, 0, v2
	v_add_nc_u64_e32 v[14:15], s[10:11], v[6:7]
	v_dual_sub_nc_u32 v58, 0, v19 :: v_dual_bitop2_b32 v7, 31, v0 bitop3:0x40
	v_dual_lshlrev_b32 v0, 9, v25 :: v_dual_add_nc_u32 v2, s10, v6
	v_dual_sub_nc_u32 v60, v59, v19 :: v_dual_add_nc_u32 v19, v26, v1
	v_lshl_add_u32 v61, v25, 3, 0x8000
	v_lshl_add_u32 v25, v26, 6, v4
	v_dual_add_nc_u32 v1, v27, v1 :: v_dual_lshlrev_b32 v29, 9, v7
	s_and_b32 s33, s5, s4
	v_cmp_gt_u32_e64 s5, 16, v4
	v_cmp_le_i32_e64 s14, s15, v4
	s_xor_b32 s91, vcc_lo, -1
	v_dual_cndmask_b32 v25, v25, v19 :: v_dual_sub_nc_u32 v66, 0, v29
	v_cndmask_b32_e32 v28, v28, v1, vcc_lo
	v_cmp_gt_u32_e32 vcc_lo, 32, v4
	s_and_b32 s10, s1, s5
	s_movk_i32 s5, 0x3800
	s_and_b32 s11, s14, s16
	v_cmp_gt_i32_e64 s6, s15, v4
	s_and_b32 s73, s7, s4
	v_mad_u32_u24 v64, 0x208, v7, s5
	s_xor_b32 s5, s11, -1
	s_and_b32 s7, s1, vcc_lo
	s_and_b32 s30, s8, s4
	s_and_b32 s72, s9, s4
	v_writelane_b32 v97, s7, 7
	s_and_b32 s70, s1, s5
	s_cmp_gt_i32 s88, 0
	v_subrev_nc_u32_e32 v19, 48, v16
	s_cselect_b32 s71, -1, 0
	v_cmp_gt_i32_e64 s5, s87, v12
	v_cmp_gt_i32_e32 vcc_lo, s87, v8
	s_and_b32 s6, s1, s6
	v_mul_lo_u32 v29, v17, 6
	v_writelane_b32 v97, s6, 8
	v_subrev_nc_u32_e32 v17, 32, v16
	s_and_b32 s6, vcc_lo, s5
	v_cmp_gt_i32_e32 vcc_lo, s87, v19
	v_dual_add_nc_u32 v30, -16, v16 :: v_dual_lshlrev_b32 v80, 3, v25
	v_writelane_b32 v97, s6, 9
	v_cmp_gt_i32_e64 s6, s87, v17
	s_and_b32 s7, vcc_lo, s5
	v_cmp_gt_i32_e32 vcc_lo, s87, v30
	v_cmp_ne_u32_e64 s16, v4, v22
	v_writelane_b32 v97, s7, 10
	s_and_b32 s6, s6, s5
	v_cmp_ne_u32_e64 s17, v4, v26
	v_cmp_ne_u32_e64 s18, v4, v27
	v_cmp_gt_u32_e64 s35, 0xf0, v34
	v_writelane_b32 v97, s6, 11
	s_and_b32 s6, vcc_lo, s5
	v_cmp_le_i32_e32 vcc_lo, s15, v42
	v_cmp_gt_u32_e64 s47, 0x3e0, v34
	v_mad_u32_u24 v48, 0x1f8, v4, v46
	v_writelane_b32 v97, s6, 12
	v_cmp_ge_u32_e64 s6, v4, v42
	s_or_b32 s7, vcc_lo, s14
	v_cmp_le_i32_e32 vcc_lo, s15, v22
	v_mad_i32_i24 v65, 0xfffffe08, v4, v48
	v_mad_nc_u64_u32 v[16:17], s64, v22, v[20:21]
	s_or_b32 s7, s7, s6
	v_dual_lshlrev_b32 v62, 3, v7 :: v_dual_sub_nc_u32 v63, 0, v0
	v_writelane_b32 v97, s7, 13
	v_cmp_ge_u32_e64 s7, v4, v22
	s_or_b32 s8, vcc_lo, s14
	v_cmp_le_i32_e32 vcc_lo, s15, v26
	v_mad_u32_u24 v68, 0x1f8, v4, v65
	v_dual_sub_nc_u32 v67, v62, v0 :: v_dual_lshlrev_b32 v76, 3, v23
	s_or_b32 s8, s8, s7
	s_or_b32 s9, vcc_lo, s14
	v_writelane_b32 v97, s8, 14
	v_cmp_ge_u32_e64 s8, v4, v26
	v_cmp_le_i32_e32 vcc_lo, s15, v27
	v_mad_i32_i24 v69, 0xfffffe08, v4, v68
	v_dual_lshlrev_b32 v81, 3, v28 :: v_dual_lshlrev_b32 v23, 3, v42
	s_or_b32 s9, s9, s8
	s_or_b32 s15, vcc_lo, s14
	v_writelane_b32 v97, s9, 15
	v_cmp_ge_u32_e64 s9, v4, v27
	v_mad_u32_u24 v70, 0x1f8, v4, v69
	v_mul_u64_e32 v[10:11], s[64:65], v[12:13]
	v_mul_u64_e32 v[0:1], s[74:75], v[12:13]
	;; [unrolled: 1-line block ×3, first 2 shown]
	s_or_b32 s15, s15, s9
	v_mad_i32_i24 v71, 0xfffffe08, v4, v70
	v_writelane_b32 v97, s15, 16
	v_cmp_ne_u32_e64 s15, v4, v42
	v_mad_u32 v17, s65, v22, v17
	v_or_b32_e32 v84, 0xa000, v23
	v_mad_u32_u24 v72, 0x1f8, v4, v71
	v_or_b32_e32 v36, v22, v4
	v_writelane_b32 v97, s15, 17
	s_or_b32 s15, s14, s15
	v_mul_u32_u24_e32 v18, 0x1f8, v4
	v_mad_i32_i24 v73, 0xfffffe08, v4, v72
	v_mad_nc_u64_u32 v[14:15], s64, v42, v[20:21]
	v_writelane_b32 v97, s15, 18
	s_or_b32 s15, s14, s16
	v_mad_u32 v29, v18, 7, v29
	v_mad_u32_u24 v74, 0x1f8, v4, v73
	v_mad_nc_u64_u32 v[18:19], s64, v26, v[20:21]
	v_writelane_b32 v97, s16, 19
	v_mad_nc_u64_u32 v[20:21], s64, v27, v[20:21]
	v_dual_add_nc_u32 v91, v84, v46 :: v_dual_bitop2_b32 v37, v26, v4 bitop3:0x54
	v_mad_i32_i24 v75, 0xfffffe08, v4, v74
	v_writelane_b32 v97, s15, 20
	s_or_b32 s15, s14, s17
	s_or_b32 s14, s14, s18
	v_mad_u32 v15, s65, v42, v15
	v_mad_u32_u24 v79, 0x1f8, v4, v75
	v_writelane_b32 v97, s17, 21
	v_mad_u32 v19, s65, v26, v19
	v_mad_u32 v21, s65, v27, v21
	v_mul_u32_u24_e32 v30, 0x1f0, v4
	v_mad_i32_i24 v82, 0xfffffe08, v4, v79
	v_writelane_b32 v97, s15, 22
	v_or_b32_e32 v38, v27, v4
	s_delay_alu instid0(VALU_DEP_4) | instskip(NEXT) | instid1(VALU_DEP_4)
	v_dual_lshlrev_b32 v77, 3, v24 :: v_dual_sub_nc_u32 v78, v29, v30
	v_mad_u32_u24 v83, 0x1f8, v4, v82
	v_writelane_b32 v97, s18, 23
	v_cmp_lt_u32_e32 vcc_lo, 0x3ff, v34
	v_mov_b64_e32 v[24:25], 0
	v_mul_u32_u24_e32 v86, 0x208, v7
	v_add_nc_u32_e32 v85, v83, v23
	v_writelane_b32 v97, s14, 24
	v_mul_u64_e32 v[22:23], s[74:75], v[2:3]
	v_lshl_add_u32 v87, v6, 3, 0xa000
	v_lshl_add_u32 v88, v34, 3, 0x8000
	v_add_nc_u32_e32 v89, 0x8000, v46
	v_writelane_b32 v97, s35, 25
	v_cmp_gt_u32_e64 s35, 0xe0, v34
	v_lshl_add_u32 v90, v42, 9, v75
	v_cmp_eq_u32_e64 s14, 0, v35
	v_cmp_gt_u32_e64 s15, 2, v34
	v_cmp_gt_u32_e64 s16, 12, v34
	v_writelane_b32 v97, s35, 26
	v_cmp_gt_u32_e64 s35, 0xd0, v34
	v_cmp_gt_u32_e64 s17, 8, v34
	;; [unrolled: 1-line block ×5, first 2 shown]
	v_writelane_b32 v97, s35, 27
	v_cmp_gt_u32_e64 s35, 0xc0, v34
	v_cmp_gt_u32_e64 s21, 32, v34
	v_cmp_gt_u32_e64 s22, 24, v34
	v_cmp_eq_u32_e64 s59, 0, v6
	v_cmp_gt_u32_e64 s60, 64, v6
	v_writelane_b32 v97, s35, 28
	v_cmp_gt_u32_e64 s35, 0xb0, v34
	s_xor_b32 s64, vcc_lo, -1
                                        ; implicit-def: $vgpr26_vgpr27
                                        ; implicit-def: $vgpr28_vgpr29
                                        ; implicit-def: $vgpr30_vgpr31
	v_writelane_b32 v97, s35, 29
	v_cmp_gt_u32_e64 s35, 0xa0, v34
	s_delay_alu instid0(VALU_DEP_1) | instskip(SKIP_1) | instid1(VALU_DEP_1)
	v_writelane_b32 v97, s35, 30
	v_cmp_gt_u32_e64 s35, 0x90, v34
	v_writelane_b32 v97, s35, 31
	v_cmp_gt_u32_e64 s35, 0x80, v34
	s_delay_alu instid0(VALU_DEP_1) | instskip(SKIP_1) | instid1(VALU_DEP_1)
	v_writelane_b32 v96, s35, 0
	v_cmp_gt_u32_e64 s35, 0x70, v34
	;; [unrolled: 5-line block ×3, first 2 shown]
	v_writelane_b32 v96, s35, 3
	v_cmp_gt_u32_e64 s35, 0x400, v34
	v_writelane_b32 v96, s47, 4
	v_cmp_gt_u32_e64 s47, 0x3c0, v34
	s_delay_alu instid0(VALU_DEP_1) | instskip(SKIP_1) | instid1(VALU_DEP_1)
	v_writelane_b32 v96, s47, 5
	v_cmp_gt_u32_e64 s47, 0x3a0, v34
	v_writelane_b32 v96, s47, 6
	v_cmp_gt_u32_e64 s47, 0x380, v34
	s_delay_alu instid0(VALU_DEP_1) | instskip(SKIP_1) | instid1(VALU_DEP_1)
	;; [unrolled: 5-line block ×13, first 2 shown]
	v_writelane_b32 v96, s47, 29
	v_cmp_gt_u32_e64 s47, 64, v38
	v_writelane_b32 v96, s47, 30
	s_branch .LBB41_3
.LBB41_2:                               ;   in Loop: Header=BB41_3 Depth=1
	s_wait_xcnt 0x0
	s_or_b32 exec_lo, exec_lo, s47
	v_readlane_b32 s47, v97, 0
	s_add_co_i32 s80, s80, 0x10000
	global_wb scope:SCOPE_DEV
	s_wait_storecnt 0x0
	global_inv scope:SCOPE_DEV
	s_cmp_lt_u32 s80, s47
	s_cbranch_scc0 .LBB41_1149
.LBB41_3:                               ; =>This Loop Header: Depth=1
                                        ;     Child Loop BB41_553 Depth 2
                                        ;     Child Loop BB41_1002 Depth 2
                                        ;       Child Loop BB41_1004 Depth 3
                                        ;     Child Loop BB41_1039 Depth 2
	v_readlane_b32 s84, v97, 1
	v_readlane_b32 s85, v97, 2
	s_mul_u64 s[82:83], s[66:67], s[80:81]
	v_readlane_b32 s47, v97, 5
	s_lshl_b64 s[82:83], s[82:83], 3
	s_delay_alu instid0(SALU_CYCLE_1)
	s_add_nc_u64 s[82:83], s[84:85], s[82:83]
	s_and_not1_b32 vcc_lo, exec_lo, s47
	v_lshl_add_u64 v[34:35], v[10:11], 3, s[82:83]
	s_cbranch_vccz .LBB41_6
; %bb.4:                                ;   in Loop: Header=BB41_3 Depth=1
	s_and_not1_b32 vcc_lo, exec_lo, s90
	s_mov_b32 s47, -1
	s_cbranch_vccz .LBB41_15
.LBB41_5:                               ;   in Loop: Header=BB41_3 Depth=1
	s_and_b32 vcc_lo, exec_lo, s47
	s_cbranch_vccnz .LBB41_25
	s_branch .LBB41_66
.LBB41_6:                               ;   in Loop: Header=BB41_3 Depth=1
	v_mov_b64_e32 v[28:29], 0
	v_mov_b64_e32 v[26:27], 0
	s_delay_alu instid0(VALU_DEP_3)
	v_lshl_add_u64 v[36:37], v[8:9], 3, v[34:35]
	s_barrier_signal -1
	s_barrier_wait -1
	s_mov_b32 s47, exec_lo
	v_readlane_b32 s65, v97, 9
	s_and_b32 s65, s47, s65
	s_delay_alu instid0(SALU_CYCLE_1)
	s_mov_b32 exec_lo, s65
	s_cbranch_execz .LBB41_8
; %bb.7:                                ;   in Loop: Header=BB41_3 Depth=1
	global_load_b64 v[26:27], v[36:37], off
.LBB41_8:                               ;   in Loop: Header=BB41_3 Depth=1
	s_wait_xcnt 0x0
	s_or_b32 exec_lo, exec_lo, s47
	s_wait_loadcnt 0x0
	s_barrier_signal -1
	s_barrier_wait -1
	s_mov_b32 s47, exec_lo
	v_readlane_b32 s65, v97, 10
	s_and_b32 s65, s47, s65
	s_delay_alu instid0(SALU_CYCLE_1)
	s_mov_b32 exec_lo, s65
	s_cbranch_execz .LBB41_10
; %bb.9:                                ;   in Loop: Header=BB41_3 Depth=1
	global_load_b64 v[28:29], v[36:37], off offset:128
.LBB41_10:                              ;   in Loop: Header=BB41_3 Depth=1
	s_wait_xcnt 0x0
	s_or_b32 exec_lo, exec_lo, s47
	v_mov_b64_e32 v[32:33], 0
	v_mov_b64_e32 v[30:31], 0
	s_wait_loadcnt 0x0
	s_barrier_signal -1
	s_barrier_wait -1
	s_mov_b32 s47, exec_lo
	v_readlane_b32 s65, v97, 11
	s_and_b32 s65, s47, s65
	s_delay_alu instid0(SALU_CYCLE_1)
	s_mov_b32 exec_lo, s65
	s_cbranch_execz .LBB41_12
; %bb.11:                               ;   in Loop: Header=BB41_3 Depth=1
	global_load_b64 v[30:31], v[36:37], off offset:256
.LBB41_12:                              ;   in Loop: Header=BB41_3 Depth=1
	s_wait_xcnt 0x0
	s_or_b32 exec_lo, exec_lo, s47
	s_wait_loadcnt 0x0
	s_barrier_signal -1
	s_barrier_wait -1
	s_mov_b32 s47, exec_lo
	v_readlane_b32 s65, v97, 12
	s_and_b32 s65, s47, s65
	s_delay_alu instid0(SALU_CYCLE_1)
	s_mov_b32 exec_lo, s65
	s_cbranch_execz .LBB41_14
; %bb.13:                               ;   in Loop: Header=BB41_3 Depth=1
	global_load_b64 v[32:33], v[36:37], off offset:384
.LBB41_14:                              ;   in Loop: Header=BB41_3 Depth=1
	s_wait_xcnt 0x0
	s_or_b32 exec_lo, exec_lo, s47
	s_delay_alu instid0(SALU_CYCLE_1)
	s_and_not1_b32 vcc_lo, exec_lo, s90
	s_mov_b32 s47, -1
	s_cbranch_vccnz .LBB41_5
.LBB41_15:                              ;   in Loop: Header=BB41_3 Depth=1
	s_and_saveexec_b32 s47, s6
	s_delay_alu instid0(SALU_CYCLE_1)
	s_xor_b32 s65, exec_lo, s47
	s_cbranch_execnz .LBB41_1060
; %bb.16:                               ;   in Loop: Header=BB41_3 Depth=1
	s_and_not1_saveexec_b32 s65, s65
	s_cbranch_execnz .LBB41_1067
.LBB41_17:                              ;   in Loop: Header=BB41_3 Depth=1
	s_or_b32 exec_lo, exec_lo, s65
	s_and_saveexec_b32 s47, s7
	s_delay_alu instid0(SALU_CYCLE_1)
	s_xor_b32 s65, exec_lo, s47
	s_cbranch_execnz .LBB41_1068
.LBB41_18:                              ;   in Loop: Header=BB41_3 Depth=1
	s_and_not1_saveexec_b32 s65, s65
	s_cbranch_execnz .LBB41_1075
.LBB41_19:                              ;   in Loop: Header=BB41_3 Depth=1
	s_or_b32 exec_lo, exec_lo, s65
	s_and_saveexec_b32 s47, s8
	s_delay_alu instid0(SALU_CYCLE_1)
	s_xor_b32 s65, exec_lo, s47
	s_cbranch_execnz .LBB41_1076
.LBB41_20:                              ;   in Loop: Header=BB41_3 Depth=1
	s_and_not1_saveexec_b32 s65, s65
	s_cbranch_execnz .LBB41_1083
.LBB41_21:                              ;   in Loop: Header=BB41_3 Depth=1
	s_or_b32 exec_lo, exec_lo, s65
	s_and_saveexec_b32 s47, s9
	s_delay_alu instid0(SALU_CYCLE_1)
	s_xor_b32 s65, exec_lo, s47
	s_cbranch_execnz .LBB41_1084
.LBB41_22:                              ;   in Loop: Header=BB41_3 Depth=1
	s_and_not1_saveexec_b32 s65, s65
	s_cbranch_execz .LBB41_24
.LBB41_23:                              ;   in Loop: Header=BB41_3 Depth=1
	v_lshl_add_u64 v[36:37], v[20:21], 3, s[82:83]
	global_load_b64 v[36:37], v[36:37], off
	s_wait_loadcnt 0x0
	v_xor_b32_e32 v37, 0x80000000, v37
	ds_store_b64 v81, v[36:37]
.LBB41_24:                              ;   in Loop: Header=BB41_3 Depth=1
	s_or_b32 exec_lo, exec_lo, s65
	s_branch .LBB41_66
.LBB41_25:                              ;   in Loop: Header=BB41_3 Depth=1
	v_readlane_b32 s65, v97, 13
	s_and_saveexec_b32 s47, s65
	s_delay_alu instid0(SALU_CYCLE_1)
	s_xor_b32 s65, exec_lo, s47
	s_cbranch_execz .LBB41_33
; %bb.26:                               ;   in Loop: Header=BB41_3 Depth=1
	v_readlane_b32 s84, v97, 18
	s_and_saveexec_b32 s47, s84
	s_delay_alu instid0(SALU_CYCLE_1)
	s_xor_b32 s84, exec_lo, s47
	s_cbranch_execz .LBB41_30
; %bb.27:                               ;   in Loop: Header=BB41_3 Depth=1
	s_mov_b32 s47, exec_lo
	v_readlane_b32 s85, v96, 27
	s_and_b32 s85, s47, s85
	s_delay_alu instid0(SALU_CYCLE_1)
	s_mov_b32 exec_lo, s85
; %bb.28:                               ;   in Loop: Header=BB41_3 Depth=1
	ds_store_b64 v85, v[24:25]
; %bb.29:                               ;   in Loop: Header=BB41_3 Depth=1
	s_or_b32 exec_lo, exec_lo, s47
.LBB41_30:                              ;   in Loop: Header=BB41_3 Depth=1
	s_and_not1_saveexec_b32 s84, s84
	s_cbranch_execz .LBB41_32
; %bb.31:                               ;   in Loop: Header=BB41_3 Depth=1
	v_lshl_add_u64 v[36:37], v[14:15], 3, s[82:83]
	global_load_b64 v[36:37], v[36:37], off
	s_wait_loadcnt 0x0
	v_div_scale_f64 v[38:39], null, v[36:37], v[36:37], 1.0
	s_delay_alu instid0(VALU_DEP_1) | instskip(SKIP_1) | instid1(TRANS32_DEP_1)
	v_rcp_f64_e32 v[40:41], v[38:39]
	v_nop
	v_fma_f64 v[92:93], -v[38:39], v[40:41], 1.0
	s_delay_alu instid0(VALU_DEP_1) | instskip(NEXT) | instid1(VALU_DEP_1)
	v_fmac_f64_e32 v[40:41], v[40:41], v[92:93]
	v_fma_f64 v[92:93], -v[38:39], v[40:41], 1.0
	s_delay_alu instid0(VALU_DEP_1) | instskip(SKIP_1) | instid1(VALU_DEP_1)
	v_fmac_f64_e32 v[40:41], v[40:41], v[92:93]
	v_div_scale_f64 v[92:93], vcc_lo, 1.0, v[36:37], 1.0
	v_mul_f64_e32 v[94:95], v[92:93], v[40:41]
	s_delay_alu instid0(VALU_DEP_1) | instskip(NEXT) | instid1(VALU_DEP_1)
	v_fma_f64 v[38:39], -v[38:39], v[94:95], v[92:93]
	v_div_fmas_f64 v[38:39], v[38:39], v[40:41], v[94:95]
	s_delay_alu instid0(VALU_DEP_1)
	v_div_fixup_f64 v[36:37], v[38:39], v[36:37], 1.0
	ds_store_b64 v85, v[36:37]
.LBB41_32:                              ;   in Loop: Header=BB41_3 Depth=1
	s_or_b32 exec_lo, exec_lo, s84
.LBB41_33:                              ;   in Loop: Header=BB41_3 Depth=1
	s_and_not1_saveexec_b32 s65, s65
	s_cbranch_execz .LBB41_35
; %bb.34:                               ;   in Loop: Header=BB41_3 Depth=1
	v_lshl_add_u64 v[36:37], v[14:15], 3, s[82:83]
	global_load_b64 v[36:37], v[36:37], off
	s_wait_loadcnt 0x0
	v_xor_b32_e32 v37, 0x80000000, v37
	ds_store_b64 v85, v[36:37]
.LBB41_35:                              ;   in Loop: Header=BB41_3 Depth=1
	s_or_b32 exec_lo, exec_lo, s65
	v_readlane_b32 s65, v97, 14
	s_and_saveexec_b32 s47, s65
	s_delay_alu instid0(SALU_CYCLE_1)
	s_xor_b32 s65, exec_lo, s47
	s_cbranch_execz .LBB41_43
; %bb.36:                               ;   in Loop: Header=BB41_3 Depth=1
	v_readlane_b32 s84, v97, 20
	s_and_saveexec_b32 s47, s84
	s_delay_alu instid0(SALU_CYCLE_1)
	s_xor_b32 s84, exec_lo, s47
	s_cbranch_execz .LBB41_40
; %bb.37:                               ;   in Loop: Header=BB41_3 Depth=1
	s_mov_b32 s47, exec_lo
	v_readlane_b32 s85, v96, 28
	s_and_b32 s85, s47, s85
	s_delay_alu instid0(SALU_CYCLE_1)
	s_mov_b32 exec_lo, s85
; %bb.38:                               ;   in Loop: Header=BB41_3 Depth=1
	ds_store_b64 v77, v[24:25]
; %bb.39:                               ;   in Loop: Header=BB41_3 Depth=1
	s_or_b32 exec_lo, exec_lo, s47
.LBB41_40:                              ;   in Loop: Header=BB41_3 Depth=1
	s_and_not1_saveexec_b32 s84, s84
	s_cbranch_execz .LBB41_42
; %bb.41:                               ;   in Loop: Header=BB41_3 Depth=1
	v_lshl_add_u64 v[36:37], v[16:17], 3, s[82:83]
	global_load_b64 v[36:37], v[36:37], off
	s_wait_loadcnt 0x0
	v_div_scale_f64 v[38:39], null, v[36:37], v[36:37], 1.0
	s_delay_alu instid0(VALU_DEP_1) | instskip(SKIP_1) | instid1(TRANS32_DEP_1)
	v_rcp_f64_e32 v[40:41], v[38:39]
	v_nop
	v_fma_f64 v[92:93], -v[38:39], v[40:41], 1.0
	s_delay_alu instid0(VALU_DEP_1) | instskip(NEXT) | instid1(VALU_DEP_1)
	v_fmac_f64_e32 v[40:41], v[40:41], v[92:93]
	v_fma_f64 v[92:93], -v[38:39], v[40:41], 1.0
	s_delay_alu instid0(VALU_DEP_1) | instskip(SKIP_1) | instid1(VALU_DEP_1)
	v_fmac_f64_e32 v[40:41], v[40:41], v[92:93]
	v_div_scale_f64 v[92:93], vcc_lo, 1.0, v[36:37], 1.0
	v_mul_f64_e32 v[94:95], v[92:93], v[40:41]
	s_delay_alu instid0(VALU_DEP_1) | instskip(NEXT) | instid1(VALU_DEP_1)
	v_fma_f64 v[38:39], -v[38:39], v[94:95], v[92:93]
	v_div_fmas_f64 v[38:39], v[38:39], v[40:41], v[94:95]
	s_delay_alu instid0(VALU_DEP_1)
	v_div_fixup_f64 v[36:37], v[38:39], v[36:37], 1.0
	ds_store_b64 v77, v[36:37]
.LBB41_42:                              ;   in Loop: Header=BB41_3 Depth=1
	s_or_b32 exec_lo, exec_lo, s84
.LBB41_43:                              ;   in Loop: Header=BB41_3 Depth=1
	s_and_not1_saveexec_b32 s65, s65
	s_cbranch_execz .LBB41_45
; %bb.44:                               ;   in Loop: Header=BB41_3 Depth=1
	v_lshl_add_u64 v[36:37], v[16:17], 3, s[82:83]
	global_load_b64 v[36:37], v[36:37], off
	s_wait_loadcnt 0x0
	v_xor_b32_e32 v37, 0x80000000, v37
	ds_store_b64 v77, v[36:37]
.LBB41_45:                              ;   in Loop: Header=BB41_3 Depth=1
	s_or_b32 exec_lo, exec_lo, s65
	;; [unrolled: 59-line block ×4, first 2 shown]
.LBB41_66:                              ;   in Loop: Header=BB41_3 Depth=1
	s_delay_alu instid0(SALU_CYCLE_1)
	s_and_not1_b32 vcc_lo, exec_lo, s91
	s_wait_loadcnt_dscnt 0x0
	s_barrier_signal -1
	s_barrier_wait -1
	s_cbranch_vccnz .LBB41_996
; %bb.67:                               ;   in Loop: Header=BB41_3 Depth=1
	s_and_saveexec_b32 s65, s14
	s_cbranch_execz .LBB41_69
; %bb.68:                               ;   in Loop: Header=BB41_3 Depth=1
	ds_load_b128 v[36:39], v3 offset:32752
	ds_load_b64 v[40:41], v3 offset:32240
	v_add_nc_u32_e64 v2, 0x7800, 0
	s_wait_dscnt 0x0
	v_mul_f64_e32 v[38:39], v[40:41], v[38:39]
	s_delay_alu instid0(VALU_DEP_1)
	v_mul_f64_e32 v[36:37], v[36:37], v[38:39]
	ds_store_2addr_b64 v2, v[36:37], v[36:37] offset0:191 offset1:254
.LBB41_69:                              ;   in Loop: Header=BB41_3 Depth=1
	s_or_b32 exec_lo, exec_lo, s65
	v_mov_b64_e32 v[36:37], 0
	s_wait_dscnt 0x0
	s_barrier_signal -1
	s_barrier_wait -1
	global_wb scope:SCOPE_DEV
	s_wait_storecnt 0x0
	global_inv scope:SCOPE_DEV
	s_and_saveexec_b32 s65, s0
	s_cbranch_execz .LBB41_73
; %bb.70:                               ;   in Loop: Header=BB41_3 Depth=1
	ds_load_b64 v[36:37], v45 offset:32224
	ds_load_b64 v[38:39], v44 offset:32752
	s_wait_dscnt 0x0
	v_fma_f64 v[36:37], v[36:37], v[38:39], 0
	s_and_saveexec_b32 s47, s15
	s_cbranch_execz .LBB41_72
; %bb.71:                               ;   in Loop: Header=BB41_3 Depth=1
	ds_load_b64 v[38:39], v46 offset:32736
	ds_load_b64 v[40:41], v3 offset:32760
	s_wait_dscnt 0x0
	v_fmac_f64_e32 v[36:37], v[38:39], v[40:41]
.LBB41_72:                              ;   in Loop: Header=BB41_3 Depth=1
	s_or_b32 exec_lo, exec_lo, s47
.LBB41_73:                              ;   in Loop: Header=BB41_3 Depth=1
	s_delay_alu instid0(SALU_CYCLE_1)
	s_or_b32 exec_lo, exec_lo, s65
	s_and_saveexec_b32 s65, s92
	s_cbranch_execz .LBB41_75
; %bb.74:                               ;   in Loop: Header=BB41_3 Depth=1
	ds_load_b64 v[38:39], v3 offset:31720
	s_wait_dscnt 0x0
	v_mul_f64_e32 v[36:37], v[36:37], v[38:39]
	s_delay_alu instid0(VALU_DEP_1) | instskip(NEXT) | instid1(VALU_DEP_2)
	v_xor_b32_e32 v39, 0x80000000, v37
	v_mov_b32_e32 v38, v36
	ds_store_b64 v5, v[38:39]
.LBB41_75:                              ;   in Loop: Header=BB41_3 Depth=1
	s_or_b32 exec_lo, exec_lo, s65
	s_wait_loadcnt_dscnt 0x0
	s_barrier_signal -1
	s_barrier_wait -1
	s_and_saveexec_b32 s47, s93
	s_cbranch_execz .LBB41_77
; %bb.76:                               ;   in Loop: Header=BB41_3 Depth=1
	ds_load_b64 v[38:39], v3 offset:31712
	ds_load_b64 v[40:41], v5
	s_wait_dscnt 0x0
	v_fma_f64 v[36:37], -v[38:39], v[40:41], v[36:37]
.LBB41_77:                              ;   in Loop: Header=BB41_3 Depth=1
	s_or_b32 exec_lo, exec_lo, s47
	s_barrier_signal -1
	s_barrier_wait -1
	s_and_saveexec_b32 s65, s93
	s_cbranch_execz .LBB41_79
; %bb.78:                               ;   in Loop: Header=BB41_3 Depth=1
	ds_load_b64 v[38:39], v3 offset:31200
	s_wait_dscnt 0x0
	v_mul_f64_e32 v[36:37], v[36:37], v[38:39]
	s_delay_alu instid0(VALU_DEP_1) | instskip(NEXT) | instid1(VALU_DEP_2)
	v_xor_b32_e32 v39, 0x80000000, v37
	v_mov_b32_e32 v38, v36
	ds_store_b64 v5, v[38:39]
.LBB41_79:                              ;   in Loop: Header=BB41_3 Depth=1
	s_or_b32 exec_lo, exec_lo, s65
	s_wait_dscnt 0x0
	s_barrier_signal -1
	s_barrier_wait -1
	s_barrier_signal -1
	s_barrier_wait -1
	s_and_saveexec_b32 s47, s0
; %bb.80:                               ;   in Loop: Header=BB41_3 Depth=1
	ds_store_b64 v47, v[36:37] offset:32736
; %bb.81:                               ;   in Loop: Header=BB41_3 Depth=1
	s_or_b32 exec_lo, exec_lo, s47
	s_wait_dscnt 0x0
	s_barrier_signal -1
	s_barrier_wait -1
	s_barrier_signal -1
	s_barrier_wait -1
	s_and_saveexec_b32 s47, s94
	s_cbranch_execz .LBB41_83
; %bb.82:                               ;   in Loop: Header=BB41_3 Depth=1
	ds_load_b64 v[36:37], v48 offset:32224
	s_wait_dscnt 0x0
	ds_store_b64 v46, v[36:37] offset:31216
	ds_load_b64 v[36:37], v48 offset:32232
	s_wait_dscnt 0x0
	ds_store_b64 v46, v[36:37] offset:31728
.LBB41_83:                              ;   in Loop: Header=BB41_3 Depth=1
	s_or_b32 exec_lo, exec_lo, s47
	s_wait_dscnt 0x0
	s_barrier_signal -1
	s_barrier_wait -1
	s_and_saveexec_b32 s65, s14
	s_cbranch_execz .LBB41_85
; %bb.84:                               ;   in Loop: Header=BB41_3 Depth=1
	ds_load_b128 v[36:39], v3 offset:31712
	ds_load_b64 v[40:41], v3 offset:31200
	v_add_nc_u32_e64 v2, 0x7800, 0
	s_wait_dscnt 0x0
	v_mul_f64_e32 v[38:39], v[40:41], v[38:39]
	s_delay_alu instid0(VALU_DEP_1)
	v_mul_f64_e32 v[36:37], v[36:37], v[38:39]
	ds_store_2addr_b64 v2, v[36:37], v[36:37] offset0:61 offset1:124
.LBB41_85:                              ;   in Loop: Header=BB41_3 Depth=1
	s_or_b32 exec_lo, exec_lo, s65
	v_mov_b64_e32 v[36:37], 0
	s_wait_dscnt 0x0
	s_barrier_signal -1
	s_barrier_wait -1
	global_wb scope:SCOPE_DEV
	s_wait_storecnt 0x0
	global_inv scope:SCOPE_DEV
	s_and_saveexec_b32 s65, s2
	s_cbranch_execz .LBB41_91
; %bb.86:                               ;   in Loop: Header=BB41_3 Depth=1
	ds_load_b64 v[36:37], v51 offset:31168
	ds_load_b64 v[38:39], v50 offset:32736
	s_wait_dscnt 0x0
	v_fma_f64 v[36:37], v[36:37], v[38:39], 0
	s_and_saveexec_b32 s47, s16
	s_cbranch_execnz .LBB41_1099
; %bb.87:                               ;   in Loop: Header=BB41_3 Depth=1
	s_or_b32 exec_lo, exec_lo, s47
	s_and_saveexec_b32 s47, s17
	s_cbranch_execnz .LBB41_1100
.LBB41_88:                              ;   in Loop: Header=BB41_3 Depth=1
	s_or_b32 exec_lo, exec_lo, s47
	s_and_saveexec_b32 s47, s0
	s_cbranch_execz .LBB41_90
.LBB41_89:                              ;   in Loop: Header=BB41_3 Depth=1
	ds_load_b64 v[38:39], v65 offset:32704
	ds_load_b64 v[40:41], v3 offset:32760
	s_wait_dscnt 0x0
	v_fmac_f64_e32 v[36:37], v[38:39], v[40:41]
.LBB41_90:                              ;   in Loop: Header=BB41_3 Depth=1
	s_or_b32 exec_lo, exec_lo, s47
.LBB41_91:                              ;   in Loop: Header=BB41_3 Depth=1
	s_delay_alu instid0(SALU_CYCLE_1)
	s_or_b32 exec_lo, exec_lo, s65
	s_and_saveexec_b32 s65, s95
	s_cbranch_execz .LBB41_93
; %bb.92:                               ;   in Loop: Header=BB41_3 Depth=1
	ds_load_b64 v[38:39], v3 offset:30680
	s_wait_dscnt 0x0
	v_mul_f64_e32 v[36:37], v[36:37], v[38:39]
	s_delay_alu instid0(VALU_DEP_1) | instskip(NEXT) | instid1(VALU_DEP_2)
	v_xor_b32_e32 v39, 0x80000000, v37
	v_mov_b32_e32 v38, v36
	ds_store_b64 v49, v[38:39]
.LBB41_93:                              ;   in Loop: Header=BB41_3 Depth=1
	s_or_b32 exec_lo, exec_lo, s65
	s_wait_loadcnt_dscnt 0x0
	s_barrier_signal -1
	s_barrier_wait -1
	s_and_saveexec_b32 s47, s96
	s_cbranch_execz .LBB41_95
; %bb.94:                               ;   in Loop: Header=BB41_3 Depth=1
	ds_load_b64 v[38:39], v51 offset:30656
	ds_load_b64 v[40:41], v49
	s_wait_dscnt 0x0
	v_fma_f64 v[36:37], -v[38:39], v[40:41], v[36:37]
.LBB41_95:                              ;   in Loop: Header=BB41_3 Depth=1
	s_or_b32 exec_lo, exec_lo, s47
	s_barrier_signal -1
	s_barrier_wait -1
	s_and_saveexec_b32 s65, s97
	s_cbranch_execz .LBB41_97
; %bb.96:                               ;   in Loop: Header=BB41_3 Depth=1
	ds_load_b64 v[38:39], v3 offset:30160
	s_wait_dscnt 0x0
	v_mul_f64_e32 v[36:37], v[36:37], v[38:39]
	s_delay_alu instid0(VALU_DEP_1) | instskip(NEXT) | instid1(VALU_DEP_2)
	v_xor_b32_e32 v39, 0x80000000, v37
	v_mov_b32_e32 v38, v36
	ds_store_b64 v49, v[38:39]
.LBB41_97:                              ;   in Loop: Header=BB41_3 Depth=1
	s_or_b32 exec_lo, exec_lo, s65
	s_wait_dscnt 0x0
	s_barrier_signal -1
	s_barrier_wait -1
	s_and_saveexec_b32 s47, s98
	s_cbranch_execz .LBB41_99
; %bb.98:                               ;   in Loop: Header=BB41_3 Depth=1
	ds_load_b64 v[38:39], v51 offset:30144
	ds_load_b64 v[40:41], v49
	s_wait_dscnt 0x0
	v_fma_f64 v[36:37], -v[38:39], v[40:41], v[36:37]
.LBB41_99:                              ;   in Loop: Header=BB41_3 Depth=1
	s_or_b32 exec_lo, exec_lo, s47
	s_barrier_signal -1
	s_barrier_wait -1
	s_and_saveexec_b32 s65, s99
	s_cbranch_execz .LBB41_101
; %bb.100:                              ;   in Loop: Header=BB41_3 Depth=1
	ds_load_b64 v[38:39], v3 offset:29640
	s_wait_dscnt 0x0
	v_mul_f64_e32 v[36:37], v[36:37], v[38:39]
	s_delay_alu instid0(VALU_DEP_1) | instskip(NEXT) | instid1(VALU_DEP_2)
	v_xor_b32_e32 v39, 0x80000000, v37
	v_mov_b32_e32 v38, v36
	ds_store_b64 v49, v[38:39]
.LBB41_101:                             ;   in Loop: Header=BB41_3 Depth=1
	s_or_b32 exec_lo, exec_lo, s65
	s_wait_dscnt 0x0
	s_barrier_signal -1
	s_barrier_wait -1
	s_and_saveexec_b32 s47, s100
	s_cbranch_execz .LBB41_103
; %bb.102:                              ;   in Loop: Header=BB41_3 Depth=1
	ds_load_b64 v[38:39], v3 offset:29632
	ds_load_b64 v[40:41], v49
	s_wait_dscnt 0x0
	v_fma_f64 v[36:37], -v[38:39], v[40:41], v[36:37]
.LBB41_103:                             ;   in Loop: Header=BB41_3 Depth=1
	s_or_b32 exec_lo, exec_lo, s47
	s_barrier_signal -1
	s_barrier_wait -1
	s_and_saveexec_b32 s65, s100
	s_cbranch_execz .LBB41_105
; %bb.104:                              ;   in Loop: Header=BB41_3 Depth=1
	ds_load_b64 v[38:39], v3 offset:29120
	s_wait_dscnt 0x0
	v_mul_f64_e32 v[36:37], v[36:37], v[38:39]
	s_delay_alu instid0(VALU_DEP_1) | instskip(NEXT) | instid1(VALU_DEP_2)
	v_xor_b32_e32 v39, 0x80000000, v37
	v_mov_b32_e32 v38, v36
	ds_store_b64 v49, v[38:39]
.LBB41_105:                             ;   in Loop: Header=BB41_3 Depth=1
	s_or_b32 exec_lo, exec_lo, s65
	s_wait_dscnt 0x0
	s_barrier_signal -1
	s_barrier_wait -1
	s_barrier_signal -1
	s_barrier_wait -1
	s_and_saveexec_b32 s47, s2
; %bb.106:                              ;   in Loop: Header=BB41_3 Depth=1
	ds_store_b64 v52, v[36:37] offset:32704
; %bb.107:                              ;   in Loop: Header=BB41_3 Depth=1
	s_or_b32 exec_lo, exec_lo, s47
	s_wait_dscnt 0x0
	s_barrier_signal -1
	s_barrier_wait -1
	s_barrier_signal -1
	s_barrier_wait -1
	s_and_saveexec_b32 s65, s101
	s_cbranch_execz .LBB41_109
; %bb.108:                              ;   in Loop: Header=BB41_3 Depth=1
	ds_load_b64 v[36:37], v68 offset:31168
	s_wait_dscnt 0x0
	ds_store_b64 v69, v[36:37] offset:29152
	ds_load_b64 v[36:37], v68 offset:31176
	s_wait_dscnt 0x0
	ds_store_b64 v69, v[36:37] offset:29664
	;; [unrolled: 3-line block ×4, first 2 shown]
.LBB41_109:                             ;   in Loop: Header=BB41_3 Depth=1
	s_or_b32 exec_lo, exec_lo, s65
	s_wait_dscnt 0x0
	s_barrier_signal -1
	s_barrier_wait -1
	s_and_saveexec_b32 s65, s14
	s_cbranch_execz .LBB41_111
; %bb.110:                              ;   in Loop: Header=BB41_3 Depth=1
	ds_load_b128 v[36:39], v3 offset:30672
	ds_load_b64 v[40:41], v3 offset:30160
	v_add_nc_u32_e64 v2, 0x7000, 0
	s_wait_dscnt 0x0
	v_mul_f64_e32 v[38:39], v[40:41], v[38:39]
	s_delay_alu instid0(VALU_DEP_1)
	v_mul_f64_e32 v[36:37], v[36:37], v[38:39]
	ds_store_2addr_b64 v2, v[36:37], v[36:37] offset0:187 offset1:250
.LBB41_111:                             ;   in Loop: Header=BB41_3 Depth=1
	s_or_b32 exec_lo, exec_lo, s65
	v_mov_b64_e32 v[36:37], 0
	s_wait_dscnt 0x0
	s_barrier_signal -1
	s_barrier_wait -1
	global_wb scope:SCOPE_DEV
	s_wait_storecnt 0x0
	global_inv scope:SCOPE_DEV
	s_and_saveexec_b32 s65, s0
	s_cbranch_execz .LBB41_115
; %bb.112:                              ;   in Loop: Header=BB41_3 Depth=1
	ds_load_b64 v[36:37], v45 offset:30144
	ds_load_b64 v[38:39], v44 offset:30672
	s_wait_dscnt 0x0
	v_fma_f64 v[36:37], v[36:37], v[38:39], 0
	s_and_saveexec_b32 s47, s15
	s_cbranch_execz .LBB41_114
; %bb.113:                              ;   in Loop: Header=BB41_3 Depth=1
	ds_load_b64 v[38:39], v69 offset:30656
	ds_load_b64 v[40:41], v3 offset:30680
	s_wait_dscnt 0x0
	v_fmac_f64_e32 v[36:37], v[38:39], v[40:41]
.LBB41_114:                             ;   in Loop: Header=BB41_3 Depth=1
	s_or_b32 exec_lo, exec_lo, s47
.LBB41_115:                             ;   in Loop: Header=BB41_3 Depth=1
	s_delay_alu instid0(SALU_CYCLE_1)
	s_or_b32 exec_lo, exec_lo, s65
	s_and_saveexec_b32 s65, s92
	s_cbranch_execz .LBB41_117
; %bb.116:                              ;   in Loop: Header=BB41_3 Depth=1
	ds_load_b64 v[38:39], v3 offset:29640
	s_wait_dscnt 0x0
	v_mul_f64_e32 v[36:37], v[36:37], v[38:39]
	s_delay_alu instid0(VALU_DEP_1) | instskip(NEXT) | instid1(VALU_DEP_2)
	v_xor_b32_e32 v39, 0x80000000, v37
	v_mov_b32_e32 v38, v36
	ds_store_b64 v5, v[38:39]
.LBB41_117:                             ;   in Loop: Header=BB41_3 Depth=1
	s_or_b32 exec_lo, exec_lo, s65
	s_wait_loadcnt_dscnt 0x0
	s_barrier_signal -1
	s_barrier_wait -1
	s_and_saveexec_b32 s47, s93
	s_cbranch_execz .LBB41_119
; %bb.118:                              ;   in Loop: Header=BB41_3 Depth=1
	ds_load_b64 v[38:39], v3 offset:29632
	ds_load_b64 v[40:41], v5
	s_wait_dscnt 0x0
	v_fma_f64 v[36:37], -v[38:39], v[40:41], v[36:37]
.LBB41_119:                             ;   in Loop: Header=BB41_3 Depth=1
	s_or_b32 exec_lo, exec_lo, s47
	s_barrier_signal -1
	s_barrier_wait -1
	s_and_saveexec_b32 s65, s93
	s_cbranch_execz .LBB41_121
; %bb.120:                              ;   in Loop: Header=BB41_3 Depth=1
	ds_load_b64 v[38:39], v3 offset:29120
	s_wait_dscnt 0x0
	v_mul_f64_e32 v[36:37], v[36:37], v[38:39]
	s_delay_alu instid0(VALU_DEP_1) | instskip(NEXT) | instid1(VALU_DEP_2)
	v_xor_b32_e32 v39, 0x80000000, v37
	v_mov_b32_e32 v38, v36
	ds_store_b64 v5, v[38:39]
.LBB41_121:                             ;   in Loop: Header=BB41_3 Depth=1
	s_or_b32 exec_lo, exec_lo, s65
	s_wait_dscnt 0x0
	s_barrier_signal -1
	s_barrier_wait -1
	s_barrier_signal -1
	s_barrier_wait -1
	s_and_saveexec_b32 s47, s0
; %bb.122:                              ;   in Loop: Header=BB41_3 Depth=1
	ds_store_b64 v47, v[36:37] offset:30656
; %bb.123:                              ;   in Loop: Header=BB41_3 Depth=1
	s_or_b32 exec_lo, exec_lo, s47
	s_wait_dscnt 0x0
	s_barrier_signal -1
	s_barrier_wait -1
	s_barrier_signal -1
	s_barrier_wait -1
	s_and_saveexec_b32 s47, s94
	s_cbranch_execz .LBB41_125
; %bb.124:                              ;   in Loop: Header=BB41_3 Depth=1
	ds_load_b64 v[36:37], v70 offset:30144
	s_wait_dscnt 0x0
	ds_store_b64 v69, v[36:37] offset:29136
	ds_load_b64 v[36:37], v70 offset:30152
	s_wait_dscnt 0x0
	ds_store_b64 v69, v[36:37] offset:29648
.LBB41_125:                             ;   in Loop: Header=BB41_3 Depth=1
	s_or_b32 exec_lo, exec_lo, s47
	s_wait_dscnt 0x0
	s_barrier_signal -1
	s_barrier_wait -1
	s_and_saveexec_b32 s65, s14
	s_cbranch_execz .LBB41_127
; %bb.126:                              ;   in Loop: Header=BB41_3 Depth=1
	ds_load_b128 v[36:39], v3 offset:29632
	ds_load_b64 v[40:41], v3 offset:29120
	v_add_nc_u32_e64 v2, 0x7000, 0
	s_wait_dscnt 0x0
	v_mul_f64_e32 v[38:39], v[40:41], v[38:39]
	s_delay_alu instid0(VALU_DEP_1)
	v_mul_f64_e32 v[36:37], v[36:37], v[38:39]
	ds_store_2addr_b64 v2, v[36:37], v[36:37] offset0:57 offset1:120
.LBB41_127:                             ;   in Loop: Header=BB41_3 Depth=1
	s_or_b32 exec_lo, exec_lo, s65
	v_mov_b64_e32 v[36:37], 0
	s_wait_dscnt 0x0
	s_barrier_signal -1
	s_barrier_wait -1
	global_wb scope:SCOPE_DEV
	s_wait_storecnt 0x0
	global_inv scope:SCOPE_DEV
	s_and_saveexec_b32 s65, s3
	s_cbranch_execz .LBB41_137
; %bb.128:                              ;   in Loop: Header=BB41_3 Depth=1
	ds_load_b64 v[36:37], v55 offset:29056
	ds_load_b64 v[38:39], v54 offset:32704
	s_wait_dscnt 0x0
	v_fma_f64 v[36:37], v[36:37], v[38:39], 0
	s_and_saveexec_b32 s47, s18
	s_cbranch_execnz .LBB41_1101
; %bb.129:                              ;   in Loop: Header=BB41_3 Depth=1
	s_or_b32 exec_lo, exec_lo, s47
	s_and_saveexec_b32 s47, s19
	s_cbranch_execnz .LBB41_1102
.LBB41_130:                             ;   in Loop: Header=BB41_3 Depth=1
	s_or_b32 exec_lo, exec_lo, s47
	s_and_saveexec_b32 s47, s20
	s_cbranch_execnz .LBB41_1103
.LBB41_131:                             ;   in Loop: Header=BB41_3 Depth=1
	s_or_b32 exec_lo, exec_lo, s47
	s_and_saveexec_b32 s47, s21
	s_cbranch_execnz .LBB41_1104
.LBB41_132:                             ;   in Loop: Header=BB41_3 Depth=1
	s_or_b32 exec_lo, exec_lo, s47
	s_and_saveexec_b32 s47, s22
	s_cbranch_execnz .LBB41_1105
.LBB41_133:                             ;   in Loop: Header=BB41_3 Depth=1
	s_or_b32 exec_lo, exec_lo, s47
	s_and_saveexec_b32 s47, s2
	s_cbranch_execnz .LBB41_1106
.LBB41_134:                             ;   in Loop: Header=BB41_3 Depth=1
	s_or_b32 exec_lo, exec_lo, s47
	s_and_saveexec_b32 s47, s17
	s_cbranch_execz .LBB41_136
.LBB41_135:                             ;   in Loop: Header=BB41_3 Depth=1
	ds_load_b64 v[38:39], v71 offset:32640
	ds_load_b64 v[40:41], v3 offset:32760
	s_wait_dscnt 0x0
	v_fmac_f64_e32 v[36:37], v[38:39], v[40:41]
.LBB41_136:                             ;   in Loop: Header=BB41_3 Depth=1
	s_or_b32 exec_lo, exec_lo, s47
.LBB41_137:                             ;   in Loop: Header=BB41_3 Depth=1
	s_delay_alu instid0(SALU_CYCLE_1)
	s_or_b32 exec_lo, exec_lo, s65
	s_and_saveexec_b32 s65, s102
	s_cbranch_execz .LBB41_139
; %bb.138:                              ;   in Loop: Header=BB41_3 Depth=1
	ds_load_b64 v[38:39], v3 offset:28600
	s_wait_dscnt 0x0
	v_mul_f64_e32 v[36:37], v[36:37], v[38:39]
	s_delay_alu instid0(VALU_DEP_1) | instskip(NEXT) | instid1(VALU_DEP_2)
	v_xor_b32_e32 v39, 0x80000000, v37
	v_mov_b32_e32 v38, v36
	ds_store_b64 v53, v[38:39]
.LBB41_139:                             ;   in Loop: Header=BB41_3 Depth=1
	s_or_b32 exec_lo, exec_lo, s65
	s_wait_loadcnt_dscnt 0x0
	s_barrier_signal -1
	s_barrier_wait -1
	s_and_saveexec_b32 s47, s103
	s_cbranch_execz .LBB41_141
; %bb.140:                              ;   in Loop: Header=BB41_3 Depth=1
	ds_load_b64 v[38:39], v55 offset:28544
	ds_load_b64 v[40:41], v53
	s_wait_dscnt 0x0
	v_fma_f64 v[36:37], -v[38:39], v[40:41], v[36:37]
.LBB41_141:                             ;   in Loop: Header=BB41_3 Depth=1
	s_or_b32 exec_lo, exec_lo, s47
	s_barrier_signal -1
	s_barrier_wait -1
	s_and_saveexec_b32 s65, s104
	s_cbranch_execz .LBB41_143
; %bb.142:                              ;   in Loop: Header=BB41_3 Depth=1
	ds_load_b64 v[38:39], v3 offset:28080
	s_wait_dscnt 0x0
	v_mul_f64_e32 v[36:37], v[36:37], v[38:39]
	s_delay_alu instid0(VALU_DEP_1) | instskip(NEXT) | instid1(VALU_DEP_2)
	v_xor_b32_e32 v39, 0x80000000, v37
	v_mov_b32_e32 v38, v36
	ds_store_b64 v53, v[38:39]
.LBB41_143:                             ;   in Loop: Header=BB41_3 Depth=1
	s_or_b32 exec_lo, exec_lo, s65
	s_wait_dscnt 0x0
	s_barrier_signal -1
	s_barrier_wait -1
	s_and_saveexec_b32 s47, vcc_hi
	s_cbranch_execz .LBB41_145
; %bb.144:                              ;   in Loop: Header=BB41_3 Depth=1
	ds_load_b64 v[38:39], v55 offset:28032
	ds_load_b64 v[40:41], v53
	s_wait_dscnt 0x0
	v_fma_f64 v[36:37], -v[38:39], v[40:41], v[36:37]
.LBB41_145:                             ;   in Loop: Header=BB41_3 Depth=1
	s_or_b32 exec_lo, exec_lo, s47
	s_barrier_signal -1
	s_barrier_wait -1
	s_and_saveexec_b32 s65, s36
	s_cbranch_execz .LBB41_147
; %bb.146:                              ;   in Loop: Header=BB41_3 Depth=1
	ds_load_b64 v[38:39], v3 offset:27560
	s_wait_dscnt 0x0
	v_mul_f64_e32 v[36:37], v[36:37], v[38:39]
	s_delay_alu instid0(VALU_DEP_1) | instskip(NEXT) | instid1(VALU_DEP_2)
	v_xor_b32_e32 v39, 0x80000000, v37
	v_mov_b32_e32 v38, v36
	ds_store_b64 v53, v[38:39]
.LBB41_147:                             ;   in Loop: Header=BB41_3 Depth=1
	s_or_b32 exec_lo, exec_lo, s65
	s_wait_dscnt 0x0
	s_barrier_signal -1
	s_barrier_wait -1
	s_and_saveexec_b32 s47, s37
	s_cbranch_execz .LBB41_149
; %bb.148:                              ;   in Loop: Header=BB41_3 Depth=1
	ds_load_b64 v[38:39], v55 offset:27520
	ds_load_b64 v[40:41], v53
	s_wait_dscnt 0x0
	v_fma_f64 v[36:37], -v[38:39], v[40:41], v[36:37]
.LBB41_149:                             ;   in Loop: Header=BB41_3 Depth=1
	s_or_b32 exec_lo, exec_lo, s47
	s_barrier_signal -1
	s_barrier_wait -1
	s_and_saveexec_b32 s65, s38
	s_cbranch_execz .LBB41_151
; %bb.150:                              ;   in Loop: Header=BB41_3 Depth=1
	ds_load_b64 v[38:39], v3 offset:27040
	s_wait_dscnt 0x0
	v_mul_f64_e32 v[36:37], v[36:37], v[38:39]
	s_delay_alu instid0(VALU_DEP_1) | instskip(NEXT) | instid1(VALU_DEP_2)
	v_xor_b32_e32 v39, 0x80000000, v37
	v_mov_b32_e32 v38, v36
	ds_store_b64 v53, v[38:39]
.LBB41_151:                             ;   in Loop: Header=BB41_3 Depth=1
	s_or_b32 exec_lo, exec_lo, s65
	s_wait_dscnt 0x0
	s_barrier_signal -1
	s_barrier_wait -1
	s_and_saveexec_b32 s47, s39
	;; [unrolled: 26-line block ×5, first 2 shown]
	s_cbranch_execz .LBB41_165
; %bb.164:                              ;   in Loop: Header=BB41_3 Depth=1
	ds_load_b64 v[38:39], v3 offset:25472
	ds_load_b64 v[40:41], v53
	s_wait_dscnt 0x0
	v_fma_f64 v[36:37], -v[38:39], v[40:41], v[36:37]
.LBB41_165:                             ;   in Loop: Header=BB41_3 Depth=1
	s_or_b32 exec_lo, exec_lo, s47
	s_barrier_signal -1
	s_barrier_wait -1
	s_and_saveexec_b32 s65, s45
	s_cbranch_execz .LBB41_167
; %bb.166:                              ;   in Loop: Header=BB41_3 Depth=1
	ds_load_b64 v[38:39], v3 offset:24960
	s_wait_dscnt 0x0
	v_mul_f64_e32 v[36:37], v[36:37], v[38:39]
	s_delay_alu instid0(VALU_DEP_1) | instskip(NEXT) | instid1(VALU_DEP_2)
	v_xor_b32_e32 v39, 0x80000000, v37
	v_mov_b32_e32 v38, v36
	ds_store_b64 v53, v[38:39]
.LBB41_167:                             ;   in Loop: Header=BB41_3 Depth=1
	s_or_b32 exec_lo, exec_lo, s65
	s_wait_dscnt 0x0
	s_barrier_signal -1
	s_barrier_wait -1
	s_barrier_signal -1
	s_barrier_wait -1
	s_and_saveexec_b32 s47, s3
; %bb.168:                              ;   in Loop: Header=BB41_3 Depth=1
	ds_store_b64 v56, v[36:37] offset:32640
; %bb.169:                              ;   in Loop: Header=BB41_3 Depth=1
	s_or_b32 exec_lo, exec_lo, s47
	s_wait_dscnt 0x0
	s_barrier_signal -1
	s_barrier_wait -1
	s_barrier_signal -1
	s_barrier_wait -1
	s_and_saveexec_b32 s65, s46
	s_cbranch_execz .LBB41_171
; %bb.170:                              ;   in Loop: Header=BB41_3 Depth=1
	ds_load_b64 v[36:37], v72 offset:29056
	s_wait_dscnt 0x0
	ds_store_b64 v73, v[36:37] offset:25024
	ds_load_b64 v[36:37], v72 offset:29064
	s_wait_dscnt 0x0
	ds_store_b64 v73, v[36:37] offset:25536
	;; [unrolled: 3-line block ×8, first 2 shown]
.LBB41_171:                             ;   in Loop: Header=BB41_3 Depth=1
	s_or_b32 exec_lo, exec_lo, s65
	s_wait_dscnt 0x0
	s_barrier_signal -1
	s_barrier_wait -1
	s_and_saveexec_b32 s65, s14
	s_cbranch_execz .LBB41_173
; %bb.172:                              ;   in Loop: Header=BB41_3 Depth=1
	ds_load_b128 v[36:39], v3 offset:28592
	ds_load_b64 v[40:41], v3 offset:28080
	v_add_nc_u32_e64 v2, 0x6800, 0
	s_wait_dscnt 0x0
	v_mul_f64_e32 v[38:39], v[40:41], v[38:39]
	s_delay_alu instid0(VALU_DEP_1)
	v_mul_f64_e32 v[36:37], v[36:37], v[38:39]
	ds_store_2addr_b64 v2, v[36:37], v[36:37] offset0:183 offset1:246
.LBB41_173:                             ;   in Loop: Header=BB41_3 Depth=1
	s_or_b32 exec_lo, exec_lo, s65
	v_mov_b64_e32 v[36:37], 0
	s_wait_dscnt 0x0
	s_barrier_signal -1
	s_barrier_wait -1
	global_wb scope:SCOPE_DEV
	s_wait_storecnt 0x0
	global_inv scope:SCOPE_DEV
	s_and_saveexec_b32 s65, s0
	s_cbranch_execz .LBB41_177
; %bb.174:                              ;   in Loop: Header=BB41_3 Depth=1
	ds_load_b64 v[36:37], v45 offset:28064
	ds_load_b64 v[38:39], v44 offset:28592
	s_wait_dscnt 0x0
	v_fma_f64 v[36:37], v[36:37], v[38:39], 0
	s_and_saveexec_b32 s47, s15
	s_cbranch_execz .LBB41_176
; %bb.175:                              ;   in Loop: Header=BB41_3 Depth=1
	ds_load_b64 v[38:39], v73 offset:28576
	ds_load_b64 v[40:41], v3 offset:28600
	s_wait_dscnt 0x0
	v_fmac_f64_e32 v[36:37], v[38:39], v[40:41]
.LBB41_176:                             ;   in Loop: Header=BB41_3 Depth=1
	s_or_b32 exec_lo, exec_lo, s47
.LBB41_177:                             ;   in Loop: Header=BB41_3 Depth=1
	s_delay_alu instid0(SALU_CYCLE_1)
	s_or_b32 exec_lo, exec_lo, s65
	s_and_saveexec_b32 s65, s92
	s_cbranch_execz .LBB41_179
; %bb.178:                              ;   in Loop: Header=BB41_3 Depth=1
	ds_load_b64 v[38:39], v3 offset:27560
	s_wait_dscnt 0x0
	v_mul_f64_e32 v[36:37], v[36:37], v[38:39]
	s_delay_alu instid0(VALU_DEP_1) | instskip(NEXT) | instid1(VALU_DEP_2)
	v_xor_b32_e32 v39, 0x80000000, v37
	v_mov_b32_e32 v38, v36
	ds_store_b64 v5, v[38:39]
.LBB41_179:                             ;   in Loop: Header=BB41_3 Depth=1
	s_or_b32 exec_lo, exec_lo, s65
	s_wait_loadcnt_dscnt 0x0
	s_barrier_signal -1
	s_barrier_wait -1
	s_and_saveexec_b32 s47, s93
	s_cbranch_execz .LBB41_181
; %bb.180:                              ;   in Loop: Header=BB41_3 Depth=1
	ds_load_b64 v[38:39], v3 offset:27552
	ds_load_b64 v[40:41], v5
	s_wait_dscnt 0x0
	v_fma_f64 v[36:37], -v[38:39], v[40:41], v[36:37]
.LBB41_181:                             ;   in Loop: Header=BB41_3 Depth=1
	s_or_b32 exec_lo, exec_lo, s47
	s_barrier_signal -1
	s_barrier_wait -1
	s_and_saveexec_b32 s65, s93
	s_cbranch_execz .LBB41_183
; %bb.182:                              ;   in Loop: Header=BB41_3 Depth=1
	ds_load_b64 v[38:39], v3 offset:27040
	s_wait_dscnt 0x0
	v_mul_f64_e32 v[36:37], v[36:37], v[38:39]
	s_delay_alu instid0(VALU_DEP_1) | instskip(NEXT) | instid1(VALU_DEP_2)
	v_xor_b32_e32 v39, 0x80000000, v37
	v_mov_b32_e32 v38, v36
	ds_store_b64 v5, v[38:39]
.LBB41_183:                             ;   in Loop: Header=BB41_3 Depth=1
	s_or_b32 exec_lo, exec_lo, s65
	s_wait_dscnt 0x0
	s_barrier_signal -1
	s_barrier_wait -1
	s_barrier_signal -1
	s_barrier_wait -1
	s_and_saveexec_b32 s47, s0
; %bb.184:                              ;   in Loop: Header=BB41_3 Depth=1
	ds_store_b64 v47, v[36:37] offset:28576
; %bb.185:                              ;   in Loop: Header=BB41_3 Depth=1
	s_or_b32 exec_lo, exec_lo, s47
	s_wait_dscnt 0x0
	s_barrier_signal -1
	s_barrier_wait -1
	s_barrier_signal -1
	s_barrier_wait -1
	s_and_saveexec_b32 s47, s94
	s_cbranch_execz .LBB41_187
; %bb.186:                              ;   in Loop: Header=BB41_3 Depth=1
	ds_load_b64 v[36:37], v74 offset:28064
	s_wait_dscnt 0x0
	ds_store_b64 v73, v[36:37] offset:27056
	ds_load_b64 v[36:37], v74 offset:28072
	s_wait_dscnt 0x0
	ds_store_b64 v73, v[36:37] offset:27568
.LBB41_187:                             ;   in Loop: Header=BB41_3 Depth=1
	s_or_b32 exec_lo, exec_lo, s47
	s_wait_dscnt 0x0
	s_barrier_signal -1
	s_barrier_wait -1
	s_and_saveexec_b32 s65, s14
	s_cbranch_execz .LBB41_189
; %bb.188:                              ;   in Loop: Header=BB41_3 Depth=1
	ds_load_b128 v[36:39], v3 offset:27552
	ds_load_b64 v[40:41], v3 offset:27040
	v_add_nc_u32_e64 v2, 0x6800, 0
	s_wait_dscnt 0x0
	v_mul_f64_e32 v[38:39], v[40:41], v[38:39]
	s_delay_alu instid0(VALU_DEP_1)
	v_mul_f64_e32 v[36:37], v[36:37], v[38:39]
	ds_store_2addr_b64 v2, v[36:37], v[36:37] offset0:53 offset1:116
.LBB41_189:                             ;   in Loop: Header=BB41_3 Depth=1
	s_or_b32 exec_lo, exec_lo, s65
	v_mov_b64_e32 v[36:37], 0
	s_wait_dscnt 0x0
	s_barrier_signal -1
	s_barrier_wait -1
	global_wb scope:SCOPE_DEV
	s_wait_storecnt 0x0
	global_inv scope:SCOPE_DEV
	s_and_saveexec_b32 s65, s2
	s_cbranch_execz .LBB41_195
; %bb.190:                              ;   in Loop: Header=BB41_3 Depth=1
	ds_load_b64 v[36:37], v51 offset:27008
	ds_load_b64 v[38:39], v50 offset:28576
	s_wait_dscnt 0x0
	v_fma_f64 v[36:37], v[36:37], v[38:39], 0
	s_and_saveexec_b32 s47, s16
	s_cbranch_execnz .LBB41_1107
; %bb.191:                              ;   in Loop: Header=BB41_3 Depth=1
	s_or_b32 exec_lo, exec_lo, s47
	s_and_saveexec_b32 s47, s17
	s_cbranch_execnz .LBB41_1108
.LBB41_192:                             ;   in Loop: Header=BB41_3 Depth=1
	s_or_b32 exec_lo, exec_lo, s47
	s_and_saveexec_b32 s47, s0
	s_cbranch_execz .LBB41_194
.LBB41_193:                             ;   in Loop: Header=BB41_3 Depth=1
	ds_load_b64 v[38:39], v75 offset:28544
	ds_load_b64 v[40:41], v3 offset:28600
	s_wait_dscnt 0x0
	v_fmac_f64_e32 v[36:37], v[38:39], v[40:41]
.LBB41_194:                             ;   in Loop: Header=BB41_3 Depth=1
	s_or_b32 exec_lo, exec_lo, s47
.LBB41_195:                             ;   in Loop: Header=BB41_3 Depth=1
	s_delay_alu instid0(SALU_CYCLE_1)
	s_or_b32 exec_lo, exec_lo, s65
	s_and_saveexec_b32 s65, s95
	s_cbranch_execz .LBB41_197
; %bb.196:                              ;   in Loop: Header=BB41_3 Depth=1
	ds_load_b64 v[38:39], v3 offset:26520
	s_wait_dscnt 0x0
	v_mul_f64_e32 v[36:37], v[36:37], v[38:39]
	s_delay_alu instid0(VALU_DEP_1) | instskip(NEXT) | instid1(VALU_DEP_2)
	v_xor_b32_e32 v39, 0x80000000, v37
	v_mov_b32_e32 v38, v36
	ds_store_b64 v49, v[38:39]
.LBB41_197:                             ;   in Loop: Header=BB41_3 Depth=1
	s_or_b32 exec_lo, exec_lo, s65
	s_wait_loadcnt_dscnt 0x0
	s_barrier_signal -1
	s_barrier_wait -1
	s_and_saveexec_b32 s47, s96
	s_cbranch_execz .LBB41_199
; %bb.198:                              ;   in Loop: Header=BB41_3 Depth=1
	ds_load_b64 v[38:39], v51 offset:26496
	ds_load_b64 v[40:41], v49
	s_wait_dscnt 0x0
	v_fma_f64 v[36:37], -v[38:39], v[40:41], v[36:37]
.LBB41_199:                             ;   in Loop: Header=BB41_3 Depth=1
	s_or_b32 exec_lo, exec_lo, s47
	s_barrier_signal -1
	s_barrier_wait -1
	s_and_saveexec_b32 s65, s97
	s_cbranch_execz .LBB41_201
; %bb.200:                              ;   in Loop: Header=BB41_3 Depth=1
	ds_load_b64 v[38:39], v3 offset:26000
	s_wait_dscnt 0x0
	v_mul_f64_e32 v[36:37], v[36:37], v[38:39]
	s_delay_alu instid0(VALU_DEP_1) | instskip(NEXT) | instid1(VALU_DEP_2)
	v_xor_b32_e32 v39, 0x80000000, v37
	v_mov_b32_e32 v38, v36
	ds_store_b64 v49, v[38:39]
.LBB41_201:                             ;   in Loop: Header=BB41_3 Depth=1
	s_or_b32 exec_lo, exec_lo, s65
	s_wait_dscnt 0x0
	s_barrier_signal -1
	s_barrier_wait -1
	s_and_saveexec_b32 s47, s98
	s_cbranch_execz .LBB41_203
; %bb.202:                              ;   in Loop: Header=BB41_3 Depth=1
	ds_load_b64 v[38:39], v51 offset:25984
	ds_load_b64 v[40:41], v49
	s_wait_dscnt 0x0
	v_fma_f64 v[36:37], -v[38:39], v[40:41], v[36:37]
.LBB41_203:                             ;   in Loop: Header=BB41_3 Depth=1
	s_or_b32 exec_lo, exec_lo, s47
	s_barrier_signal -1
	s_barrier_wait -1
	s_and_saveexec_b32 s65, s99
	s_cbranch_execz .LBB41_205
; %bb.204:                              ;   in Loop: Header=BB41_3 Depth=1
	ds_load_b64 v[38:39], v3 offset:25480
	s_wait_dscnt 0x0
	v_mul_f64_e32 v[36:37], v[36:37], v[38:39]
	s_delay_alu instid0(VALU_DEP_1) | instskip(NEXT) | instid1(VALU_DEP_2)
	v_xor_b32_e32 v39, 0x80000000, v37
	v_mov_b32_e32 v38, v36
	ds_store_b64 v49, v[38:39]
.LBB41_205:                             ;   in Loop: Header=BB41_3 Depth=1
	s_or_b32 exec_lo, exec_lo, s65
	s_wait_dscnt 0x0
	;; [unrolled: 26-line block ×3, first 2 shown]
	s_barrier_signal -1
	s_barrier_wait -1
	s_barrier_signal -1
	s_barrier_wait -1
	s_and_saveexec_b32 s47, s2
; %bb.210:                              ;   in Loop: Header=BB41_3 Depth=1
	ds_store_b64 v52, v[36:37] offset:28544
; %bb.211:                              ;   in Loop: Header=BB41_3 Depth=1
	s_or_b32 exec_lo, exec_lo, s47
	s_wait_dscnt 0x0
	s_barrier_signal -1
	s_barrier_wait -1
	s_barrier_signal -1
	s_barrier_wait -1
	s_and_saveexec_b32 s65, s101
	s_cbranch_execz .LBB41_213
; %bb.212:                              ;   in Loop: Header=BB41_3 Depth=1
	ds_load_b64 v[36:37], v79 offset:27008
	s_wait_dscnt 0x0
	ds_store_b64 v82, v[36:37] offset:24992
	ds_load_b64 v[36:37], v79 offset:27016
	s_wait_dscnt 0x0
	ds_store_b64 v82, v[36:37] offset:25504
	;; [unrolled: 3-line block ×4, first 2 shown]
.LBB41_213:                             ;   in Loop: Header=BB41_3 Depth=1
	s_or_b32 exec_lo, exec_lo, s65
	s_wait_dscnt 0x0
	s_barrier_signal -1
	s_barrier_wait -1
	s_and_saveexec_b32 s65, s14
	s_cbranch_execz .LBB41_215
; %bb.214:                              ;   in Loop: Header=BB41_3 Depth=1
	ds_load_b128 v[36:39], v3 offset:26512
	ds_load_b64 v[40:41], v3 offset:26000
	v_add_nc_u32_e64 v2, 0x6000, 0
	s_wait_dscnt 0x0
	v_mul_f64_e32 v[38:39], v[40:41], v[38:39]
	s_delay_alu instid0(VALU_DEP_1)
	v_mul_f64_e32 v[36:37], v[36:37], v[38:39]
	ds_store_2addr_b64 v2, v[36:37], v[36:37] offset0:179 offset1:242
.LBB41_215:                             ;   in Loop: Header=BB41_3 Depth=1
	s_or_b32 exec_lo, exec_lo, s65
	v_mov_b64_e32 v[36:37], 0
	s_wait_dscnt 0x0
	s_barrier_signal -1
	s_barrier_wait -1
	global_wb scope:SCOPE_DEV
	s_wait_storecnt 0x0
	global_inv scope:SCOPE_DEV
	s_and_saveexec_b32 s65, s0
	s_cbranch_execz .LBB41_219
; %bb.216:                              ;   in Loop: Header=BB41_3 Depth=1
	ds_load_b64 v[36:37], v45 offset:25984
	ds_load_b64 v[38:39], v44 offset:26512
	s_wait_dscnt 0x0
	v_fma_f64 v[36:37], v[36:37], v[38:39], 0
	s_and_saveexec_b32 s47, s15
	s_cbranch_execz .LBB41_218
; %bb.217:                              ;   in Loop: Header=BB41_3 Depth=1
	ds_load_b64 v[38:39], v82 offset:26496
	ds_load_b64 v[40:41], v3 offset:26520
	s_wait_dscnt 0x0
	v_fmac_f64_e32 v[36:37], v[38:39], v[40:41]
.LBB41_218:                             ;   in Loop: Header=BB41_3 Depth=1
	s_or_b32 exec_lo, exec_lo, s47
.LBB41_219:                             ;   in Loop: Header=BB41_3 Depth=1
	s_delay_alu instid0(SALU_CYCLE_1)
	s_or_b32 exec_lo, exec_lo, s65
	s_and_saveexec_b32 s65, s92
	s_cbranch_execz .LBB41_221
; %bb.220:                              ;   in Loop: Header=BB41_3 Depth=1
	ds_load_b64 v[38:39], v3 offset:25480
	s_wait_dscnt 0x0
	v_mul_f64_e32 v[36:37], v[36:37], v[38:39]
	s_delay_alu instid0(VALU_DEP_1) | instskip(NEXT) | instid1(VALU_DEP_2)
	v_xor_b32_e32 v39, 0x80000000, v37
	v_mov_b32_e32 v38, v36
	ds_store_b64 v5, v[38:39]
.LBB41_221:                             ;   in Loop: Header=BB41_3 Depth=1
	s_or_b32 exec_lo, exec_lo, s65
	s_wait_loadcnt_dscnt 0x0
	s_barrier_signal -1
	s_barrier_wait -1
	s_and_saveexec_b32 s47, s93
	s_cbranch_execz .LBB41_223
; %bb.222:                              ;   in Loop: Header=BB41_3 Depth=1
	ds_load_b64 v[38:39], v3 offset:25472
	ds_load_b64 v[40:41], v5
	s_wait_dscnt 0x0
	v_fma_f64 v[36:37], -v[38:39], v[40:41], v[36:37]
.LBB41_223:                             ;   in Loop: Header=BB41_3 Depth=1
	s_or_b32 exec_lo, exec_lo, s47
	s_barrier_signal -1
	s_barrier_wait -1
	s_and_saveexec_b32 s65, s93
	s_cbranch_execz .LBB41_225
; %bb.224:                              ;   in Loop: Header=BB41_3 Depth=1
	ds_load_b64 v[38:39], v3 offset:24960
	s_wait_dscnt 0x0
	v_mul_f64_e32 v[36:37], v[36:37], v[38:39]
	s_delay_alu instid0(VALU_DEP_1) | instskip(NEXT) | instid1(VALU_DEP_2)
	v_xor_b32_e32 v39, 0x80000000, v37
	v_mov_b32_e32 v38, v36
	ds_store_b64 v5, v[38:39]
.LBB41_225:                             ;   in Loop: Header=BB41_3 Depth=1
	s_or_b32 exec_lo, exec_lo, s65
	s_wait_dscnt 0x0
	s_barrier_signal -1
	s_barrier_wait -1
	s_barrier_signal -1
	s_barrier_wait -1
	s_and_saveexec_b32 s47, s0
; %bb.226:                              ;   in Loop: Header=BB41_3 Depth=1
	ds_store_b64 v47, v[36:37] offset:26496
; %bb.227:                              ;   in Loop: Header=BB41_3 Depth=1
	s_or_b32 exec_lo, exec_lo, s47
	s_wait_dscnt 0x0
	s_barrier_signal -1
	s_barrier_wait -1
	s_barrier_signal -1
	s_barrier_wait -1
	s_and_saveexec_b32 s47, s94
	s_cbranch_execz .LBB41_229
; %bb.228:                              ;   in Loop: Header=BB41_3 Depth=1
	ds_load_b64 v[36:37], v83 offset:25984
	s_wait_dscnt 0x0
	ds_store_b64 v82, v[36:37] offset:24976
	ds_load_b64 v[36:37], v83 offset:25992
	s_wait_dscnt 0x0
	ds_store_b64 v82, v[36:37] offset:25488
.LBB41_229:                             ;   in Loop: Header=BB41_3 Depth=1
	s_or_b32 exec_lo, exec_lo, s47
	s_wait_dscnt 0x0
	s_barrier_signal -1
	s_barrier_wait -1
	s_and_saveexec_b32 s65, s14
	s_cbranch_execz .LBB41_231
; %bb.230:                              ;   in Loop: Header=BB41_3 Depth=1
	ds_load_b128 v[36:39], v3 offset:25472
	ds_load_b64 v[40:41], v3 offset:24960
	v_add_nc_u32_e64 v2, 0x6000, 0
	s_wait_dscnt 0x0
	v_mul_f64_e32 v[38:39], v[40:41], v[38:39]
	s_delay_alu instid0(VALU_DEP_1)
	v_mul_f64_e32 v[36:37], v[36:37], v[38:39]
	ds_store_2addr_b64 v2, v[36:37], v[36:37] offset0:49 offset1:112
.LBB41_231:                             ;   in Loop: Header=BB41_3 Depth=1
	s_or_b32 exec_lo, exec_lo, s65
	v_mov_b64_e32 v[36:37], 0
	s_wait_dscnt 0x0
	s_barrier_signal -1
	s_barrier_wait -1
	global_wb scope:SCOPE_DEV
	s_wait_storecnt 0x0
	global_inv scope:SCOPE_DEV
	s_and_saveexec_b32 s65, s4
	s_cbranch_execz .LBB41_259
; %bb.232:                              ;   in Loop: Header=BB41_3 Depth=1
	ds_load_b64 v[36:37], v59 offset:24832
	ds_load_b64 v[38:39], v58 offset:32640
	s_wait_dscnt 0x0
	v_fma_f64 v[36:37], v[36:37], v[38:39], 0
	s_mov_b32 s47, exec_lo
	v_readlane_b32 s82, v97, 25
	s_and_b32 s82, s47, s82
	s_delay_alu instid0(SALU_CYCLE_1)
	s_mov_b32 exec_lo, s82
	s_cbranch_execz .LBB41_234
; %bb.233:                              ;   in Loop: Header=BB41_3 Depth=1
	ds_load_b64 v[38:39], v59 offset:25344
	ds_load_b64 v[40:41], v58 offset:32648
	s_wait_dscnt 0x0
	v_fmac_f64_e32 v[36:37], v[38:39], v[40:41]
.LBB41_234:                             ;   in Loop: Header=BB41_3 Depth=1
	s_or_b32 exec_lo, exec_lo, s47
	s_delay_alu instid0(SALU_CYCLE_1) | instskip(SKIP_2) | instid1(SALU_CYCLE_1)
	s_mov_b32 s47, exec_lo
	v_readlane_b32 s82, v97, 26
	s_and_b32 s82, s47, s82
	s_mov_b32 exec_lo, s82
	s_cbranch_execz .LBB41_236
; %bb.235:                              ;   in Loop: Header=BB41_3 Depth=1
	ds_load_b64 v[38:39], v59 offset:25856
	ds_load_b64 v[40:41], v58 offset:32656
	s_wait_dscnt 0x0
	v_fmac_f64_e32 v[36:37], v[38:39], v[40:41]
.LBB41_236:                             ;   in Loop: Header=BB41_3 Depth=1
	s_or_b32 exec_lo, exec_lo, s47
	s_delay_alu instid0(SALU_CYCLE_1) | instskip(SKIP_2) | instid1(SALU_CYCLE_1)
	s_mov_b32 s47, exec_lo
	v_readlane_b32 s82, v97, 27
	s_and_b32 s82, s47, s82
	s_mov_b32 exec_lo, s82
	s_cbranch_execz .LBB41_238
; %bb.237:                              ;   in Loop: Header=BB41_3 Depth=1
	ds_load_b64 v[38:39], v59 offset:26368
	ds_load_b64 v[40:41], v58 offset:32664
	s_wait_dscnt 0x0
	v_fmac_f64_e32 v[36:37], v[38:39], v[40:41]
.LBB41_238:                             ;   in Loop: Header=BB41_3 Depth=1
	s_or_b32 exec_lo, exec_lo, s47
	s_delay_alu instid0(SALU_CYCLE_1) | instskip(SKIP_2) | instid1(SALU_CYCLE_1)
	s_mov_b32 s47, exec_lo
	v_readlane_b32 s82, v97, 28
	s_and_b32 s82, s47, s82
	s_mov_b32 exec_lo, s82
	s_cbranch_execz .LBB41_240
; %bb.239:                              ;   in Loop: Header=BB41_3 Depth=1
	ds_load_b64 v[38:39], v59 offset:26880
	ds_load_b64 v[40:41], v58 offset:32672
	s_wait_dscnt 0x0
	v_fmac_f64_e32 v[36:37], v[38:39], v[40:41]
.LBB41_240:                             ;   in Loop: Header=BB41_3 Depth=1
	s_or_b32 exec_lo, exec_lo, s47
	s_delay_alu instid0(SALU_CYCLE_1) | instskip(SKIP_2) | instid1(SALU_CYCLE_1)
	s_mov_b32 s47, exec_lo
	v_readlane_b32 s82, v97, 29
	s_and_b32 s82, s47, s82
	s_mov_b32 exec_lo, s82
	s_cbranch_execz .LBB41_242
; %bb.241:                              ;   in Loop: Header=BB41_3 Depth=1
	ds_load_b64 v[38:39], v59 offset:27392
	ds_load_b64 v[40:41], v58 offset:32680
	s_wait_dscnt 0x0
	v_fmac_f64_e32 v[36:37], v[38:39], v[40:41]
.LBB41_242:                             ;   in Loop: Header=BB41_3 Depth=1
	s_or_b32 exec_lo, exec_lo, s47
	s_delay_alu instid0(SALU_CYCLE_1) | instskip(SKIP_2) | instid1(SALU_CYCLE_1)
	s_mov_b32 s47, exec_lo
	v_readlane_b32 s82, v97, 30
	s_and_b32 s82, s47, s82
	s_mov_b32 exec_lo, s82
	s_cbranch_execz .LBB41_244
; %bb.243:                              ;   in Loop: Header=BB41_3 Depth=1
	ds_load_b64 v[38:39], v59 offset:27904
	ds_load_b64 v[40:41], v58 offset:32688
	s_wait_dscnt 0x0
	v_fmac_f64_e32 v[36:37], v[38:39], v[40:41]
.LBB41_244:                             ;   in Loop: Header=BB41_3 Depth=1
	s_or_b32 exec_lo, exec_lo, s47
	s_delay_alu instid0(SALU_CYCLE_1) | instskip(SKIP_2) | instid1(SALU_CYCLE_1)
	s_mov_b32 s47, exec_lo
	v_readlane_b32 s82, v97, 31
	s_and_b32 s82, s47, s82
	s_mov_b32 exec_lo, s82
	s_cbranch_execz .LBB41_246
; %bb.245:                              ;   in Loop: Header=BB41_3 Depth=1
	ds_load_b64 v[38:39], v59 offset:28416
	ds_load_b64 v[40:41], v58 offset:32696
	s_wait_dscnt 0x0
	v_fmac_f64_e32 v[36:37], v[38:39], v[40:41]
.LBB41_246:                             ;   in Loop: Header=BB41_3 Depth=1
	s_or_b32 exec_lo, exec_lo, s47
	s_delay_alu instid0(SALU_CYCLE_1) | instskip(SKIP_2) | instid1(SALU_CYCLE_1)
	s_mov_b32 s47, exec_lo
	v_readlane_b32 s82, v96, 0
	s_and_b32 s82, s47, s82
	s_mov_b32 exec_lo, s82
	s_cbranch_execz .LBB41_248
; %bb.247:                              ;   in Loop: Header=BB41_3 Depth=1
	ds_load_b64 v[38:39], v59 offset:28928
	ds_load_b64 v[40:41], v58 offset:32704
	s_wait_dscnt 0x0
	v_fmac_f64_e32 v[36:37], v[38:39], v[40:41]
.LBB41_248:                             ;   in Loop: Header=BB41_3 Depth=1
	s_or_b32 exec_lo, exec_lo, s47
	s_delay_alu instid0(SALU_CYCLE_1) | instskip(SKIP_2) | instid1(SALU_CYCLE_1)
	s_mov_b32 s47, exec_lo
	v_readlane_b32 s82, v96, 1
	s_and_b32 s82, s47, s82
	s_mov_b32 exec_lo, s82
	s_cbranch_execz .LBB41_250
; %bb.249:                              ;   in Loop: Header=BB41_3 Depth=1
	ds_load_b64 v[38:39], v59 offset:29440
	ds_load_b64 v[40:41], v58 offset:32712
	s_wait_dscnt 0x0
	v_fmac_f64_e32 v[36:37], v[38:39], v[40:41]
.LBB41_250:                             ;   in Loop: Header=BB41_3 Depth=1
	s_or_b32 exec_lo, exec_lo, s47
	s_delay_alu instid0(SALU_CYCLE_1) | instskip(SKIP_2) | instid1(SALU_CYCLE_1)
	s_mov_b32 s47, exec_lo
	v_readlane_b32 s82, v96, 2
	s_and_b32 s82, s47, s82
	s_mov_b32 exec_lo, s82
	s_cbranch_execz .LBB41_252
; %bb.251:                              ;   in Loop: Header=BB41_3 Depth=1
	ds_load_b64 v[38:39], v59 offset:29952
	ds_load_b64 v[40:41], v58 offset:32720
	s_wait_dscnt 0x0
	v_fmac_f64_e32 v[36:37], v[38:39], v[40:41]
.LBB41_252:                             ;   in Loop: Header=BB41_3 Depth=1
	s_or_b32 exec_lo, exec_lo, s47
	s_delay_alu instid0(SALU_CYCLE_1) | instskip(SKIP_2) | instid1(SALU_CYCLE_1)
	s_mov_b32 s47, exec_lo
	v_readlane_b32 s82, v96, 3
	s_and_b32 s82, s47, s82
	s_mov_b32 exec_lo, s82
	s_cbranch_execnz .LBB41_1109
; %bb.253:                              ;   in Loop: Header=BB41_3 Depth=1
	s_or_b32 exec_lo, exec_lo, s47
	s_and_saveexec_b32 s47, s3
	s_cbranch_execnz .LBB41_1110
.LBB41_254:                             ;   in Loop: Header=BB41_3 Depth=1
	s_or_b32 exec_lo, exec_lo, s47
	s_and_saveexec_b32 s47, s19
	s_cbranch_execnz .LBB41_1111
.LBB41_255:                             ;   in Loop: Header=BB41_3 Depth=1
	s_or_b32 exec_lo, exec_lo, s47
	s_and_saveexec_b32 s47, s21
	s_cbranch_execnz .LBB41_1112
.LBB41_256:                             ;   in Loop: Header=BB41_3 Depth=1
	s_or_b32 exec_lo, exec_lo, s47
	s_and_saveexec_b32 s47, s2
	s_cbranch_execz .LBB41_258
.LBB41_257:                             ;   in Loop: Header=BB41_3 Depth=1
	ds_load_b64 v[38:39], v46 offset:32512
	ds_load_b64 v[40:41], v3 offset:32760
	s_wait_dscnt 0x0
	v_fmac_f64_e32 v[36:37], v[38:39], v[40:41]
.LBB41_258:                             ;   in Loop: Header=BB41_3 Depth=1
	s_or_b32 exec_lo, exec_lo, s47
.LBB41_259:                             ;   in Loop: Header=BB41_3 Depth=1
	s_delay_alu instid0(SALU_CYCLE_1) | instskip(NEXT) | instid1(SALU_CYCLE_1)
	s_or_b32 exec_lo, exec_lo, s65
	s_mov_b32 s65, exec_lo
	v_readlane_b32 s47, v97, 6
	s_and_b32 s47, s65, s47
	s_delay_alu instid0(SALU_CYCLE_1)
	s_mov_b32 exec_lo, s47
	s_cbranch_execz .LBB41_261
; %bb.260:                              ;   in Loop: Header=BB41_3 Depth=1
	ds_load_b64 v[38:39], v3 offset:24440
	s_wait_dscnt 0x0
	v_mul_f64_e32 v[36:37], v[36:37], v[38:39]
	s_delay_alu instid0(VALU_DEP_1) | instskip(NEXT) | instid1(VALU_DEP_2)
	v_xor_b32_e32 v39, 0x80000000, v37
	v_mov_b32_e32 v38, v36
	ds_store_b64 v57, v[38:39]
.LBB41_261:                             ;   in Loop: Header=BB41_3 Depth=1
	s_or_b32 exec_lo, exec_lo, s65
	s_wait_loadcnt_dscnt 0x0
	s_barrier_signal -1
	s_barrier_wait -1
	s_and_saveexec_b32 s47, s48
	s_cbranch_execz .LBB41_263
; %bb.262:                              ;   in Loop: Header=BB41_3 Depth=1
	ds_load_b64 v[38:39], v59 offset:24320
	ds_load_b64 v[40:41], v57
	s_wait_dscnt 0x0
	v_fma_f64 v[36:37], -v[38:39], v[40:41], v[36:37]
.LBB41_263:                             ;   in Loop: Header=BB41_3 Depth=1
	s_or_b32 exec_lo, exec_lo, s47
	s_barrier_signal -1
	s_barrier_wait -1
	s_and_saveexec_b32 s65, s49
	s_cbranch_execz .LBB41_265
; %bb.264:                              ;   in Loop: Header=BB41_3 Depth=1
	ds_load_b64 v[38:39], v3 offset:23920
	s_wait_dscnt 0x0
	v_mul_f64_e32 v[36:37], v[36:37], v[38:39]
	s_delay_alu instid0(VALU_DEP_1) | instskip(NEXT) | instid1(VALU_DEP_2)
	v_xor_b32_e32 v39, 0x80000000, v37
	v_mov_b32_e32 v38, v36
	ds_store_b64 v57, v[38:39]
.LBB41_265:                             ;   in Loop: Header=BB41_3 Depth=1
	s_or_b32 exec_lo, exec_lo, s65
	s_wait_dscnt 0x0
	s_barrier_signal -1
	s_barrier_wait -1
	s_and_saveexec_b32 s47, s50
	s_cbranch_execz .LBB41_267
; %bb.266:                              ;   in Loop: Header=BB41_3 Depth=1
	ds_load_b64 v[38:39], v59 offset:23808
	ds_load_b64 v[40:41], v57
	s_wait_dscnt 0x0
	v_fma_f64 v[36:37], -v[38:39], v[40:41], v[36:37]
.LBB41_267:                             ;   in Loop: Header=BB41_3 Depth=1
	s_or_b32 exec_lo, exec_lo, s47
	s_barrier_signal -1
	s_barrier_wait -1
	s_and_saveexec_b32 s65, s51
	s_cbranch_execz .LBB41_269
; %bb.268:                              ;   in Loop: Header=BB41_3 Depth=1
	ds_load_b64 v[38:39], v3 offset:23400
	s_wait_dscnt 0x0
	v_mul_f64_e32 v[36:37], v[36:37], v[38:39]
	s_delay_alu instid0(VALU_DEP_1) | instskip(NEXT) | instid1(VALU_DEP_2)
	v_xor_b32_e32 v39, 0x80000000, v37
	v_mov_b32_e32 v38, v36
	ds_store_b64 v57, v[38:39]
.LBB41_269:                             ;   in Loop: Header=BB41_3 Depth=1
	s_or_b32 exec_lo, exec_lo, s65
	s_wait_dscnt 0x0
	;; [unrolled: 26-line block ×15, first 2 shown]
	s_barrier_signal -1
	s_barrier_wait -1
	s_barrier_signal -1
	s_barrier_wait -1
	s_and_saveexec_b32 s47, s4
; %bb.322:                              ;   in Loop: Header=BB41_3 Depth=1
	ds_store_b64 v60, v[36:37] offset:32512
; %bb.323:                              ;   in Loop: Header=BB41_3 Depth=1
	s_or_b32 exec_lo, exec_lo, s47
	s_wait_dscnt 0x0
	s_barrier_signal -1
	s_barrier_wait -1
	s_barrier_signal -1
	s_barrier_wait -1
	s_and_saveexec_b32 s65, s10
	s_cbranch_execz .LBB41_325
; %bb.324:                              ;   in Loop: Header=BB41_3 Depth=1
	ds_load_b64 v[36:37], v48 offset:24832
	s_wait_dscnt 0x0
	ds_store_b64 v65, v[36:37] offset:16768
	ds_load_b64 v[36:37], v48 offset:24840
	s_wait_dscnt 0x0
	ds_store_b64 v65, v[36:37] offset:17280
	ds_load_b64 v[36:37], v48 offset:24848
	s_wait_dscnt 0x0
	ds_store_b64 v65, v[36:37] offset:17792
	ds_load_b64 v[36:37], v48 offset:24856
	s_wait_dscnt 0x0
	ds_store_b64 v65, v[36:37] offset:18304
	ds_load_b64 v[36:37], v48 offset:24864
	s_wait_dscnt 0x0
	ds_store_b64 v65, v[36:37] offset:18816
	ds_load_b64 v[36:37], v48 offset:24872
	s_wait_dscnt 0x0
	ds_store_b64 v65, v[36:37] offset:19328
	ds_load_b64 v[36:37], v48 offset:24880
	s_wait_dscnt 0x0
	ds_store_b64 v65, v[36:37] offset:19840
	ds_load_b64 v[36:37], v48 offset:24888
	s_wait_dscnt 0x0
	ds_store_b64 v65, v[36:37] offset:20352
	ds_load_b64 v[36:37], v48 offset:24896
	s_wait_dscnt 0x0
	ds_store_b64 v65, v[36:37] offset:20864
	ds_load_b64 v[36:37], v48 offset:24904
	s_wait_dscnt 0x0
	ds_store_b64 v65, v[36:37] offset:21376
	ds_load_b64 v[36:37], v48 offset:24912
	s_wait_dscnt 0x0
	ds_store_b64 v65, v[36:37] offset:21888
	ds_load_b64 v[36:37], v48 offset:24920
	s_wait_dscnt 0x0
	ds_store_b64 v65, v[36:37] offset:22400
	ds_load_b64 v[36:37], v48 offset:24928
	s_wait_dscnt 0x0
	ds_store_b64 v65, v[36:37] offset:22912
	ds_load_b64 v[36:37], v48 offset:24936
	s_wait_dscnt 0x0
	ds_store_b64 v65, v[36:37] offset:23424
	ds_load_b64 v[36:37], v48 offset:24944
	s_wait_dscnt 0x0
	ds_store_b64 v65, v[36:37] offset:23936
	ds_load_b64 v[36:37], v48 offset:24952
	s_wait_dscnt 0x0
	ds_store_b64 v65, v[36:37] offset:24448
.LBB41_325:                             ;   in Loop: Header=BB41_3 Depth=1
	s_or_b32 exec_lo, exec_lo, s65
	s_wait_dscnt 0x0
	s_barrier_signal -1
	s_barrier_wait -1
	s_and_saveexec_b32 s65, s14
	s_cbranch_execz .LBB41_327
; %bb.326:                              ;   in Loop: Header=BB41_3 Depth=1
	ds_load_b128 v[36:39], v3 offset:24432
	ds_load_b64 v[40:41], v3 offset:23920
	v_add_nc_u32_e64 v2, 0x5800, 0
	s_wait_dscnt 0x0
	v_mul_f64_e32 v[38:39], v[40:41], v[38:39]
	s_delay_alu instid0(VALU_DEP_1)
	v_mul_f64_e32 v[36:37], v[36:37], v[38:39]
	ds_store_2addr_b64 v2, v[36:37], v[36:37] offset0:175 offset1:238
.LBB41_327:                             ;   in Loop: Header=BB41_3 Depth=1
	s_or_b32 exec_lo, exec_lo, s65
	v_mov_b64_e32 v[36:37], 0
	s_wait_dscnt 0x0
	s_barrier_signal -1
	s_barrier_wait -1
	global_wb scope:SCOPE_DEV
	s_wait_storecnt 0x0
	global_inv scope:SCOPE_DEV
	s_and_saveexec_b32 s65, s0
	s_cbranch_execz .LBB41_331
; %bb.328:                              ;   in Loop: Header=BB41_3 Depth=1
	ds_load_b64 v[36:37], v45 offset:23904
	ds_load_b64 v[38:39], v44 offset:24432
	s_wait_dscnt 0x0
	v_fma_f64 v[36:37], v[36:37], v[38:39], 0
	s_and_saveexec_b32 s47, s15
	s_cbranch_execz .LBB41_330
; %bb.329:                              ;   in Loop: Header=BB41_3 Depth=1
	ds_load_b64 v[38:39], v46 offset:24416
	ds_load_b64 v[40:41], v3 offset:24440
	s_wait_dscnt 0x0
	v_fmac_f64_e32 v[36:37], v[38:39], v[40:41]
.LBB41_330:                             ;   in Loop: Header=BB41_3 Depth=1
	s_or_b32 exec_lo, exec_lo, s47
.LBB41_331:                             ;   in Loop: Header=BB41_3 Depth=1
	s_delay_alu instid0(SALU_CYCLE_1)
	s_or_b32 exec_lo, exec_lo, s65
	s_and_saveexec_b32 s65, s92
	s_cbranch_execz .LBB41_333
; %bb.332:                              ;   in Loop: Header=BB41_3 Depth=1
	ds_load_b64 v[38:39], v3 offset:23400
	s_wait_dscnt 0x0
	v_mul_f64_e32 v[36:37], v[36:37], v[38:39]
	s_delay_alu instid0(VALU_DEP_1) | instskip(NEXT) | instid1(VALU_DEP_2)
	v_xor_b32_e32 v39, 0x80000000, v37
	v_mov_b32_e32 v38, v36
	ds_store_b64 v5, v[38:39]
.LBB41_333:                             ;   in Loop: Header=BB41_3 Depth=1
	s_or_b32 exec_lo, exec_lo, s65
	s_wait_loadcnt_dscnt 0x0
	s_barrier_signal -1
	s_barrier_wait -1
	s_and_saveexec_b32 s47, s93
	s_cbranch_execz .LBB41_335
; %bb.334:                              ;   in Loop: Header=BB41_3 Depth=1
	ds_load_b64 v[38:39], v3 offset:23392
	ds_load_b64 v[40:41], v5
	s_wait_dscnt 0x0
	v_fma_f64 v[36:37], -v[38:39], v[40:41], v[36:37]
.LBB41_335:                             ;   in Loop: Header=BB41_3 Depth=1
	s_or_b32 exec_lo, exec_lo, s47
	s_barrier_signal -1
	s_barrier_wait -1
	s_and_saveexec_b32 s65, s93
	s_cbranch_execz .LBB41_337
; %bb.336:                              ;   in Loop: Header=BB41_3 Depth=1
	ds_load_b64 v[38:39], v3 offset:22880
	s_wait_dscnt 0x0
	v_mul_f64_e32 v[36:37], v[36:37], v[38:39]
	s_delay_alu instid0(VALU_DEP_1) | instskip(NEXT) | instid1(VALU_DEP_2)
	v_xor_b32_e32 v39, 0x80000000, v37
	v_mov_b32_e32 v38, v36
	ds_store_b64 v5, v[38:39]
.LBB41_337:                             ;   in Loop: Header=BB41_3 Depth=1
	s_or_b32 exec_lo, exec_lo, s65
	s_wait_dscnt 0x0
	s_barrier_signal -1
	s_barrier_wait -1
	s_barrier_signal -1
	s_barrier_wait -1
	s_and_saveexec_b32 s47, s0
; %bb.338:                              ;   in Loop: Header=BB41_3 Depth=1
	ds_store_b64 v47, v[36:37] offset:24416
; %bb.339:                              ;   in Loop: Header=BB41_3 Depth=1
	s_or_b32 exec_lo, exec_lo, s47
	s_wait_dscnt 0x0
	s_barrier_signal -1
	s_barrier_wait -1
	s_barrier_signal -1
	s_barrier_wait -1
	s_and_saveexec_b32 s47, s94
	s_cbranch_execz .LBB41_341
; %bb.340:                              ;   in Loop: Header=BB41_3 Depth=1
	ds_load_b64 v[36:37], v48 offset:23904
	s_wait_dscnt 0x0
	ds_store_b64 v46, v[36:37] offset:22896
	ds_load_b64 v[36:37], v48 offset:23912
	s_wait_dscnt 0x0
	ds_store_b64 v46, v[36:37] offset:23408
.LBB41_341:                             ;   in Loop: Header=BB41_3 Depth=1
	s_or_b32 exec_lo, exec_lo, s47
	s_wait_dscnt 0x0
	s_barrier_signal -1
	s_barrier_wait -1
	s_and_saveexec_b32 s65, s14
	s_cbranch_execz .LBB41_343
; %bb.342:                              ;   in Loop: Header=BB41_3 Depth=1
	ds_load_b128 v[36:39], v3 offset:23392
	ds_load_b64 v[40:41], v3 offset:22880
	v_add_nc_u32_e64 v2, 0x5800, 0
	s_wait_dscnt 0x0
	v_mul_f64_e32 v[38:39], v[40:41], v[38:39]
	s_delay_alu instid0(VALU_DEP_1)
	v_mul_f64_e32 v[36:37], v[36:37], v[38:39]
	ds_store_2addr_b64 v2, v[36:37], v[36:37] offset0:45 offset1:108
.LBB41_343:                             ;   in Loop: Header=BB41_3 Depth=1
	s_or_b32 exec_lo, exec_lo, s65
	v_mov_b64_e32 v[36:37], 0
	s_wait_dscnt 0x0
	s_barrier_signal -1
	s_barrier_wait -1
	global_wb scope:SCOPE_DEV
	s_wait_storecnt 0x0
	global_inv scope:SCOPE_DEV
	s_and_saveexec_b32 s65, s2
	s_cbranch_execz .LBB41_349
; %bb.344:                              ;   in Loop: Header=BB41_3 Depth=1
	ds_load_b64 v[36:37], v51 offset:22848
	ds_load_b64 v[38:39], v50 offset:24416
	s_wait_dscnt 0x0
	v_fma_f64 v[36:37], v[36:37], v[38:39], 0
	s_and_saveexec_b32 s47, s16
	s_cbranch_execnz .LBB41_1113
; %bb.345:                              ;   in Loop: Header=BB41_3 Depth=1
	s_or_b32 exec_lo, exec_lo, s47
	s_and_saveexec_b32 s47, s17
	s_cbranch_execnz .LBB41_1114
.LBB41_346:                             ;   in Loop: Header=BB41_3 Depth=1
	s_or_b32 exec_lo, exec_lo, s47
	s_and_saveexec_b32 s47, s0
	s_cbranch_execz .LBB41_348
.LBB41_347:                             ;   in Loop: Header=BB41_3 Depth=1
	ds_load_b64 v[38:39], v65 offset:24384
	ds_load_b64 v[40:41], v3 offset:24440
	s_wait_dscnt 0x0
	v_fmac_f64_e32 v[36:37], v[38:39], v[40:41]
.LBB41_348:                             ;   in Loop: Header=BB41_3 Depth=1
	s_or_b32 exec_lo, exec_lo, s47
.LBB41_349:                             ;   in Loop: Header=BB41_3 Depth=1
	s_delay_alu instid0(SALU_CYCLE_1)
	s_or_b32 exec_lo, exec_lo, s65
	s_and_saveexec_b32 s65, s95
	s_cbranch_execz .LBB41_351
; %bb.350:                              ;   in Loop: Header=BB41_3 Depth=1
	ds_load_b64 v[38:39], v3 offset:22360
	s_wait_dscnt 0x0
	v_mul_f64_e32 v[36:37], v[36:37], v[38:39]
	s_delay_alu instid0(VALU_DEP_1) | instskip(NEXT) | instid1(VALU_DEP_2)
	v_xor_b32_e32 v39, 0x80000000, v37
	v_mov_b32_e32 v38, v36
	ds_store_b64 v49, v[38:39]
.LBB41_351:                             ;   in Loop: Header=BB41_3 Depth=1
	s_or_b32 exec_lo, exec_lo, s65
	s_wait_loadcnt_dscnt 0x0
	s_barrier_signal -1
	s_barrier_wait -1
	s_and_saveexec_b32 s47, s96
	s_cbranch_execz .LBB41_353
; %bb.352:                              ;   in Loop: Header=BB41_3 Depth=1
	ds_load_b64 v[38:39], v51 offset:22336
	ds_load_b64 v[40:41], v49
	s_wait_dscnt 0x0
	v_fma_f64 v[36:37], -v[38:39], v[40:41], v[36:37]
.LBB41_353:                             ;   in Loop: Header=BB41_3 Depth=1
	s_or_b32 exec_lo, exec_lo, s47
	s_barrier_signal -1
	s_barrier_wait -1
	s_and_saveexec_b32 s65, s97
	s_cbranch_execz .LBB41_355
; %bb.354:                              ;   in Loop: Header=BB41_3 Depth=1
	ds_load_b64 v[38:39], v3 offset:21840
	s_wait_dscnt 0x0
	v_mul_f64_e32 v[36:37], v[36:37], v[38:39]
	s_delay_alu instid0(VALU_DEP_1) | instskip(NEXT) | instid1(VALU_DEP_2)
	v_xor_b32_e32 v39, 0x80000000, v37
	v_mov_b32_e32 v38, v36
	ds_store_b64 v49, v[38:39]
.LBB41_355:                             ;   in Loop: Header=BB41_3 Depth=1
	s_or_b32 exec_lo, exec_lo, s65
	s_wait_dscnt 0x0
	s_barrier_signal -1
	s_barrier_wait -1
	s_and_saveexec_b32 s47, s98
	s_cbranch_execz .LBB41_357
; %bb.356:                              ;   in Loop: Header=BB41_3 Depth=1
	ds_load_b64 v[38:39], v51 offset:21824
	ds_load_b64 v[40:41], v49
	s_wait_dscnt 0x0
	v_fma_f64 v[36:37], -v[38:39], v[40:41], v[36:37]
.LBB41_357:                             ;   in Loop: Header=BB41_3 Depth=1
	s_or_b32 exec_lo, exec_lo, s47
	s_barrier_signal -1
	s_barrier_wait -1
	s_and_saveexec_b32 s65, s99
	s_cbranch_execz .LBB41_359
; %bb.358:                              ;   in Loop: Header=BB41_3 Depth=1
	ds_load_b64 v[38:39], v3 offset:21320
	s_wait_dscnt 0x0
	v_mul_f64_e32 v[36:37], v[36:37], v[38:39]
	s_delay_alu instid0(VALU_DEP_1) | instskip(NEXT) | instid1(VALU_DEP_2)
	v_xor_b32_e32 v39, 0x80000000, v37
	v_mov_b32_e32 v38, v36
	ds_store_b64 v49, v[38:39]
.LBB41_359:                             ;   in Loop: Header=BB41_3 Depth=1
	s_or_b32 exec_lo, exec_lo, s65
	s_wait_dscnt 0x0
	;; [unrolled: 26-line block ×3, first 2 shown]
	s_barrier_signal -1
	s_barrier_wait -1
	s_barrier_signal -1
	s_barrier_wait -1
	s_and_saveexec_b32 s47, s2
; %bb.364:                              ;   in Loop: Header=BB41_3 Depth=1
	ds_store_b64 v52, v[36:37] offset:24384
; %bb.365:                              ;   in Loop: Header=BB41_3 Depth=1
	s_or_b32 exec_lo, exec_lo, s47
	s_wait_dscnt 0x0
	s_barrier_signal -1
	s_barrier_wait -1
	s_barrier_signal -1
	s_barrier_wait -1
	s_and_saveexec_b32 s65, s101
	s_cbranch_execz .LBB41_367
; %bb.366:                              ;   in Loop: Header=BB41_3 Depth=1
	ds_load_b64 v[36:37], v68 offset:22848
	s_wait_dscnt 0x0
	ds_store_b64 v69, v[36:37] offset:20832
	ds_load_b64 v[36:37], v68 offset:22856
	s_wait_dscnt 0x0
	ds_store_b64 v69, v[36:37] offset:21344
	;; [unrolled: 3-line block ×4, first 2 shown]
.LBB41_367:                             ;   in Loop: Header=BB41_3 Depth=1
	s_or_b32 exec_lo, exec_lo, s65
	s_wait_dscnt 0x0
	s_barrier_signal -1
	s_barrier_wait -1
	s_and_saveexec_b32 s65, s14
	s_cbranch_execz .LBB41_369
; %bb.368:                              ;   in Loop: Header=BB41_3 Depth=1
	ds_load_b128 v[36:39], v3 offset:22352
	ds_load_b64 v[40:41], v3 offset:21840
	v_add_nc_u32_e64 v2, 0x5000, 0
	s_wait_dscnt 0x0
	v_mul_f64_e32 v[38:39], v[40:41], v[38:39]
	s_delay_alu instid0(VALU_DEP_1)
	v_mul_f64_e32 v[36:37], v[36:37], v[38:39]
	ds_store_2addr_b64 v2, v[36:37], v[36:37] offset0:171 offset1:234
.LBB41_369:                             ;   in Loop: Header=BB41_3 Depth=1
	s_or_b32 exec_lo, exec_lo, s65
	v_mov_b64_e32 v[36:37], 0
	s_wait_dscnt 0x0
	s_barrier_signal -1
	s_barrier_wait -1
	global_wb scope:SCOPE_DEV
	s_wait_storecnt 0x0
	global_inv scope:SCOPE_DEV
	s_and_saveexec_b32 s65, s0
	s_cbranch_execz .LBB41_373
; %bb.370:                              ;   in Loop: Header=BB41_3 Depth=1
	ds_load_b64 v[36:37], v45 offset:21824
	ds_load_b64 v[38:39], v44 offset:22352
	s_wait_dscnt 0x0
	v_fma_f64 v[36:37], v[36:37], v[38:39], 0
	s_and_saveexec_b32 s47, s15
	s_cbranch_execz .LBB41_372
; %bb.371:                              ;   in Loop: Header=BB41_3 Depth=1
	ds_load_b64 v[38:39], v69 offset:22336
	ds_load_b64 v[40:41], v3 offset:22360
	s_wait_dscnt 0x0
	v_fmac_f64_e32 v[36:37], v[38:39], v[40:41]
.LBB41_372:                             ;   in Loop: Header=BB41_3 Depth=1
	s_or_b32 exec_lo, exec_lo, s47
.LBB41_373:                             ;   in Loop: Header=BB41_3 Depth=1
	s_delay_alu instid0(SALU_CYCLE_1)
	s_or_b32 exec_lo, exec_lo, s65
	s_and_saveexec_b32 s65, s92
	s_cbranch_execz .LBB41_375
; %bb.374:                              ;   in Loop: Header=BB41_3 Depth=1
	ds_load_b64 v[38:39], v3 offset:21320
	s_wait_dscnt 0x0
	v_mul_f64_e32 v[36:37], v[36:37], v[38:39]
	s_delay_alu instid0(VALU_DEP_1) | instskip(NEXT) | instid1(VALU_DEP_2)
	v_xor_b32_e32 v39, 0x80000000, v37
	v_mov_b32_e32 v38, v36
	ds_store_b64 v5, v[38:39]
.LBB41_375:                             ;   in Loop: Header=BB41_3 Depth=1
	s_or_b32 exec_lo, exec_lo, s65
	s_wait_loadcnt_dscnt 0x0
	s_barrier_signal -1
	s_barrier_wait -1
	s_and_saveexec_b32 s47, s93
	s_cbranch_execz .LBB41_377
; %bb.376:                              ;   in Loop: Header=BB41_3 Depth=1
	ds_load_b64 v[38:39], v3 offset:21312
	ds_load_b64 v[40:41], v5
	s_wait_dscnt 0x0
	v_fma_f64 v[36:37], -v[38:39], v[40:41], v[36:37]
.LBB41_377:                             ;   in Loop: Header=BB41_3 Depth=1
	s_or_b32 exec_lo, exec_lo, s47
	s_barrier_signal -1
	s_barrier_wait -1
	s_and_saveexec_b32 s65, s93
	s_cbranch_execz .LBB41_379
; %bb.378:                              ;   in Loop: Header=BB41_3 Depth=1
	ds_load_b64 v[38:39], v3 offset:20800
	s_wait_dscnt 0x0
	v_mul_f64_e32 v[36:37], v[36:37], v[38:39]
	s_delay_alu instid0(VALU_DEP_1) | instskip(NEXT) | instid1(VALU_DEP_2)
	v_xor_b32_e32 v39, 0x80000000, v37
	v_mov_b32_e32 v38, v36
	ds_store_b64 v5, v[38:39]
.LBB41_379:                             ;   in Loop: Header=BB41_3 Depth=1
	s_or_b32 exec_lo, exec_lo, s65
	s_wait_dscnt 0x0
	s_barrier_signal -1
	s_barrier_wait -1
	s_barrier_signal -1
	s_barrier_wait -1
	s_and_saveexec_b32 s47, s0
; %bb.380:                              ;   in Loop: Header=BB41_3 Depth=1
	ds_store_b64 v47, v[36:37] offset:22336
; %bb.381:                              ;   in Loop: Header=BB41_3 Depth=1
	s_or_b32 exec_lo, exec_lo, s47
	s_wait_dscnt 0x0
	s_barrier_signal -1
	s_barrier_wait -1
	s_barrier_signal -1
	s_barrier_wait -1
	s_and_saveexec_b32 s47, s94
	s_cbranch_execz .LBB41_383
; %bb.382:                              ;   in Loop: Header=BB41_3 Depth=1
	ds_load_b64 v[36:37], v70 offset:21824
	s_wait_dscnt 0x0
	ds_store_b64 v69, v[36:37] offset:20816
	ds_load_b64 v[36:37], v70 offset:21832
	s_wait_dscnt 0x0
	ds_store_b64 v69, v[36:37] offset:21328
.LBB41_383:                             ;   in Loop: Header=BB41_3 Depth=1
	s_or_b32 exec_lo, exec_lo, s47
	s_wait_dscnt 0x0
	s_barrier_signal -1
	s_barrier_wait -1
	s_and_saveexec_b32 s65, s14
	s_cbranch_execz .LBB41_385
; %bb.384:                              ;   in Loop: Header=BB41_3 Depth=1
	ds_load_b128 v[36:39], v3 offset:21312
	ds_load_b64 v[40:41], v3 offset:20800
	v_add_nc_u32_e64 v2, 0x5000, 0
	s_wait_dscnt 0x0
	v_mul_f64_e32 v[38:39], v[40:41], v[38:39]
	s_delay_alu instid0(VALU_DEP_1)
	v_mul_f64_e32 v[36:37], v[36:37], v[38:39]
	ds_store_2addr_b64 v2, v[36:37], v[36:37] offset0:41 offset1:104
.LBB41_385:                             ;   in Loop: Header=BB41_3 Depth=1
	s_or_b32 exec_lo, exec_lo, s65
	v_mov_b64_e32 v[36:37], 0
	s_wait_dscnt 0x0
	s_barrier_signal -1
	s_barrier_wait -1
	global_wb scope:SCOPE_DEV
	s_wait_storecnt 0x0
	global_inv scope:SCOPE_DEV
	s_and_saveexec_b32 s65, s3
	s_cbranch_execz .LBB41_395
; %bb.386:                              ;   in Loop: Header=BB41_3 Depth=1
	ds_load_b64 v[36:37], v55 offset:20736
	ds_load_b64 v[38:39], v54 offset:24384
	s_wait_dscnt 0x0
	v_fma_f64 v[36:37], v[36:37], v[38:39], 0
	s_and_saveexec_b32 s47, s18
	s_cbranch_execnz .LBB41_1115
; %bb.387:                              ;   in Loop: Header=BB41_3 Depth=1
	s_or_b32 exec_lo, exec_lo, s47
	s_and_saveexec_b32 s47, s19
	s_cbranch_execnz .LBB41_1116
.LBB41_388:                             ;   in Loop: Header=BB41_3 Depth=1
	s_or_b32 exec_lo, exec_lo, s47
	s_and_saveexec_b32 s47, s20
	s_cbranch_execnz .LBB41_1117
.LBB41_389:                             ;   in Loop: Header=BB41_3 Depth=1
	s_or_b32 exec_lo, exec_lo, s47
	s_and_saveexec_b32 s47, s21
	s_cbranch_execnz .LBB41_1118
.LBB41_390:                             ;   in Loop: Header=BB41_3 Depth=1
	s_or_b32 exec_lo, exec_lo, s47
	s_and_saveexec_b32 s47, s22
	s_cbranch_execnz .LBB41_1119
.LBB41_391:                             ;   in Loop: Header=BB41_3 Depth=1
	s_or_b32 exec_lo, exec_lo, s47
	s_and_saveexec_b32 s47, s2
	s_cbranch_execnz .LBB41_1120
.LBB41_392:                             ;   in Loop: Header=BB41_3 Depth=1
	s_or_b32 exec_lo, exec_lo, s47
	s_and_saveexec_b32 s47, s17
	s_cbranch_execz .LBB41_394
.LBB41_393:                             ;   in Loop: Header=BB41_3 Depth=1
	ds_load_b64 v[38:39], v71 offset:24320
	ds_load_b64 v[40:41], v3 offset:24440
	s_wait_dscnt 0x0
	v_fmac_f64_e32 v[36:37], v[38:39], v[40:41]
.LBB41_394:                             ;   in Loop: Header=BB41_3 Depth=1
	s_or_b32 exec_lo, exec_lo, s47
.LBB41_395:                             ;   in Loop: Header=BB41_3 Depth=1
	s_delay_alu instid0(SALU_CYCLE_1)
	s_or_b32 exec_lo, exec_lo, s65
	s_and_saveexec_b32 s65, s102
	s_cbranch_execz .LBB41_397
; %bb.396:                              ;   in Loop: Header=BB41_3 Depth=1
	ds_load_b64 v[38:39], v3 offset:20280
	s_wait_dscnt 0x0
	v_mul_f64_e32 v[36:37], v[36:37], v[38:39]
	s_delay_alu instid0(VALU_DEP_1) | instskip(NEXT) | instid1(VALU_DEP_2)
	v_xor_b32_e32 v39, 0x80000000, v37
	v_mov_b32_e32 v38, v36
	ds_store_b64 v53, v[38:39]
.LBB41_397:                             ;   in Loop: Header=BB41_3 Depth=1
	s_or_b32 exec_lo, exec_lo, s65
	s_wait_loadcnt_dscnt 0x0
	s_barrier_signal -1
	s_barrier_wait -1
	s_and_saveexec_b32 s47, s103
	s_cbranch_execz .LBB41_399
; %bb.398:                              ;   in Loop: Header=BB41_3 Depth=1
	ds_load_b64 v[38:39], v55 offset:20224
	ds_load_b64 v[40:41], v53
	s_wait_dscnt 0x0
	v_fma_f64 v[36:37], -v[38:39], v[40:41], v[36:37]
.LBB41_399:                             ;   in Loop: Header=BB41_3 Depth=1
	s_or_b32 exec_lo, exec_lo, s47
	s_barrier_signal -1
	s_barrier_wait -1
	s_and_saveexec_b32 s65, s104
	s_cbranch_execz .LBB41_401
; %bb.400:                              ;   in Loop: Header=BB41_3 Depth=1
	ds_load_b64 v[38:39], v3 offset:19760
	s_wait_dscnt 0x0
	v_mul_f64_e32 v[36:37], v[36:37], v[38:39]
	s_delay_alu instid0(VALU_DEP_1) | instskip(NEXT) | instid1(VALU_DEP_2)
	v_xor_b32_e32 v39, 0x80000000, v37
	v_mov_b32_e32 v38, v36
	ds_store_b64 v53, v[38:39]
.LBB41_401:                             ;   in Loop: Header=BB41_3 Depth=1
	s_or_b32 exec_lo, exec_lo, s65
	s_wait_dscnt 0x0
	s_barrier_signal -1
	s_barrier_wait -1
	s_and_saveexec_b32 s47, vcc_hi
	s_cbranch_execz .LBB41_403
; %bb.402:                              ;   in Loop: Header=BB41_3 Depth=1
	ds_load_b64 v[38:39], v55 offset:19712
	ds_load_b64 v[40:41], v53
	s_wait_dscnt 0x0
	v_fma_f64 v[36:37], -v[38:39], v[40:41], v[36:37]
.LBB41_403:                             ;   in Loop: Header=BB41_3 Depth=1
	s_or_b32 exec_lo, exec_lo, s47
	s_barrier_signal -1
	s_barrier_wait -1
	s_and_saveexec_b32 s65, s36
	s_cbranch_execz .LBB41_405
; %bb.404:                              ;   in Loop: Header=BB41_3 Depth=1
	ds_load_b64 v[38:39], v3 offset:19240
	s_wait_dscnt 0x0
	v_mul_f64_e32 v[36:37], v[36:37], v[38:39]
	s_delay_alu instid0(VALU_DEP_1) | instskip(NEXT) | instid1(VALU_DEP_2)
	v_xor_b32_e32 v39, 0x80000000, v37
	v_mov_b32_e32 v38, v36
	ds_store_b64 v53, v[38:39]
.LBB41_405:                             ;   in Loop: Header=BB41_3 Depth=1
	s_or_b32 exec_lo, exec_lo, s65
	s_wait_dscnt 0x0
	s_barrier_signal -1
	s_barrier_wait -1
	s_and_saveexec_b32 s47, s37
	s_cbranch_execz .LBB41_407
; %bb.406:                              ;   in Loop: Header=BB41_3 Depth=1
	ds_load_b64 v[38:39], v55 offset:19200
	ds_load_b64 v[40:41], v53
	s_wait_dscnt 0x0
	v_fma_f64 v[36:37], -v[38:39], v[40:41], v[36:37]
.LBB41_407:                             ;   in Loop: Header=BB41_3 Depth=1
	s_or_b32 exec_lo, exec_lo, s47
	s_barrier_signal -1
	s_barrier_wait -1
	s_and_saveexec_b32 s65, s38
	s_cbranch_execz .LBB41_409
; %bb.408:                              ;   in Loop: Header=BB41_3 Depth=1
	ds_load_b64 v[38:39], v3 offset:18720
	s_wait_dscnt 0x0
	v_mul_f64_e32 v[36:37], v[36:37], v[38:39]
	s_delay_alu instid0(VALU_DEP_1) | instskip(NEXT) | instid1(VALU_DEP_2)
	v_xor_b32_e32 v39, 0x80000000, v37
	v_mov_b32_e32 v38, v36
	ds_store_b64 v53, v[38:39]
.LBB41_409:                             ;   in Loop: Header=BB41_3 Depth=1
	s_or_b32 exec_lo, exec_lo, s65
	s_wait_dscnt 0x0
	s_barrier_signal -1
	s_barrier_wait -1
	s_and_saveexec_b32 s47, s39
	;; [unrolled: 26-line block ×5, first 2 shown]
	s_cbranch_execz .LBB41_423
; %bb.422:                              ;   in Loop: Header=BB41_3 Depth=1
	ds_load_b64 v[38:39], v3 offset:17152
	ds_load_b64 v[40:41], v53
	s_wait_dscnt 0x0
	v_fma_f64 v[36:37], -v[38:39], v[40:41], v[36:37]
.LBB41_423:                             ;   in Loop: Header=BB41_3 Depth=1
	s_or_b32 exec_lo, exec_lo, s47
	s_barrier_signal -1
	s_barrier_wait -1
	s_and_saveexec_b32 s65, s45
	s_cbranch_execz .LBB41_425
; %bb.424:                              ;   in Loop: Header=BB41_3 Depth=1
	ds_load_b64 v[38:39], v3 offset:16640
	s_wait_dscnt 0x0
	v_mul_f64_e32 v[36:37], v[36:37], v[38:39]
	s_delay_alu instid0(VALU_DEP_1) | instskip(NEXT) | instid1(VALU_DEP_2)
	v_xor_b32_e32 v39, 0x80000000, v37
	v_mov_b32_e32 v38, v36
	ds_store_b64 v53, v[38:39]
.LBB41_425:                             ;   in Loop: Header=BB41_3 Depth=1
	s_or_b32 exec_lo, exec_lo, s65
	s_wait_dscnt 0x0
	s_barrier_signal -1
	s_barrier_wait -1
	s_barrier_signal -1
	s_barrier_wait -1
	s_and_saveexec_b32 s47, s3
; %bb.426:                              ;   in Loop: Header=BB41_3 Depth=1
	ds_store_b64 v56, v[36:37] offset:24320
; %bb.427:                              ;   in Loop: Header=BB41_3 Depth=1
	s_or_b32 exec_lo, exec_lo, s47
	s_wait_dscnt 0x0
	s_barrier_signal -1
	s_barrier_wait -1
	s_barrier_signal -1
	s_barrier_wait -1
	s_and_saveexec_b32 s65, s46
	s_cbranch_execz .LBB41_429
; %bb.428:                              ;   in Loop: Header=BB41_3 Depth=1
	ds_load_b64 v[36:37], v72 offset:20736
	s_wait_dscnt 0x0
	ds_store_b64 v73, v[36:37] offset:16704
	ds_load_b64 v[36:37], v72 offset:20744
	s_wait_dscnt 0x0
	ds_store_b64 v73, v[36:37] offset:17216
	;; [unrolled: 3-line block ×8, first 2 shown]
.LBB41_429:                             ;   in Loop: Header=BB41_3 Depth=1
	s_or_b32 exec_lo, exec_lo, s65
	s_wait_dscnt 0x0
	s_barrier_signal -1
	s_barrier_wait -1
	s_and_saveexec_b32 s65, s14
	s_cbranch_execz .LBB41_431
; %bb.430:                              ;   in Loop: Header=BB41_3 Depth=1
	ds_load_b128 v[36:39], v3 offset:20272
	ds_load_b64 v[40:41], v3 offset:19760
	v_add_nc_u32_e64 v2, 0x4800, 0
	s_wait_dscnt 0x0
	v_mul_f64_e32 v[38:39], v[40:41], v[38:39]
	s_delay_alu instid0(VALU_DEP_1)
	v_mul_f64_e32 v[36:37], v[36:37], v[38:39]
	ds_store_2addr_b64 v2, v[36:37], v[36:37] offset0:167 offset1:230
.LBB41_431:                             ;   in Loop: Header=BB41_3 Depth=1
	s_or_b32 exec_lo, exec_lo, s65
	v_mov_b64_e32 v[36:37], 0
	s_wait_dscnt 0x0
	s_barrier_signal -1
	s_barrier_wait -1
	global_wb scope:SCOPE_DEV
	s_wait_storecnt 0x0
	global_inv scope:SCOPE_DEV
	s_and_saveexec_b32 s65, s0
	s_cbranch_execz .LBB41_435
; %bb.432:                              ;   in Loop: Header=BB41_3 Depth=1
	ds_load_b64 v[36:37], v45 offset:19744
	ds_load_b64 v[38:39], v44 offset:20272
	s_wait_dscnt 0x0
	v_fma_f64 v[36:37], v[36:37], v[38:39], 0
	s_and_saveexec_b32 s47, s15
	s_cbranch_execz .LBB41_434
; %bb.433:                              ;   in Loop: Header=BB41_3 Depth=1
	ds_load_b64 v[38:39], v73 offset:20256
	ds_load_b64 v[40:41], v3 offset:20280
	s_wait_dscnt 0x0
	v_fmac_f64_e32 v[36:37], v[38:39], v[40:41]
.LBB41_434:                             ;   in Loop: Header=BB41_3 Depth=1
	s_or_b32 exec_lo, exec_lo, s47
.LBB41_435:                             ;   in Loop: Header=BB41_3 Depth=1
	s_delay_alu instid0(SALU_CYCLE_1)
	s_or_b32 exec_lo, exec_lo, s65
	s_and_saveexec_b32 s65, s92
	s_cbranch_execz .LBB41_437
; %bb.436:                              ;   in Loop: Header=BB41_3 Depth=1
	ds_load_b64 v[38:39], v3 offset:19240
	s_wait_dscnt 0x0
	v_mul_f64_e32 v[36:37], v[36:37], v[38:39]
	s_delay_alu instid0(VALU_DEP_1) | instskip(NEXT) | instid1(VALU_DEP_2)
	v_xor_b32_e32 v39, 0x80000000, v37
	v_mov_b32_e32 v38, v36
	ds_store_b64 v5, v[38:39]
.LBB41_437:                             ;   in Loop: Header=BB41_3 Depth=1
	s_or_b32 exec_lo, exec_lo, s65
	s_wait_loadcnt_dscnt 0x0
	s_barrier_signal -1
	s_barrier_wait -1
	s_and_saveexec_b32 s47, s93
	s_cbranch_execz .LBB41_439
; %bb.438:                              ;   in Loop: Header=BB41_3 Depth=1
	ds_load_b64 v[38:39], v3 offset:19232
	ds_load_b64 v[40:41], v5
	s_wait_dscnt 0x0
	v_fma_f64 v[36:37], -v[38:39], v[40:41], v[36:37]
.LBB41_439:                             ;   in Loop: Header=BB41_3 Depth=1
	s_or_b32 exec_lo, exec_lo, s47
	s_barrier_signal -1
	s_barrier_wait -1
	s_and_saveexec_b32 s65, s93
	s_cbranch_execz .LBB41_441
; %bb.440:                              ;   in Loop: Header=BB41_3 Depth=1
	ds_load_b64 v[38:39], v3 offset:18720
	s_wait_dscnt 0x0
	v_mul_f64_e32 v[36:37], v[36:37], v[38:39]
	s_delay_alu instid0(VALU_DEP_1) | instskip(NEXT) | instid1(VALU_DEP_2)
	v_xor_b32_e32 v39, 0x80000000, v37
	v_mov_b32_e32 v38, v36
	ds_store_b64 v5, v[38:39]
.LBB41_441:                             ;   in Loop: Header=BB41_3 Depth=1
	s_or_b32 exec_lo, exec_lo, s65
	s_wait_dscnt 0x0
	s_barrier_signal -1
	s_barrier_wait -1
	s_barrier_signal -1
	s_barrier_wait -1
	s_and_saveexec_b32 s47, s0
; %bb.442:                              ;   in Loop: Header=BB41_3 Depth=1
	ds_store_b64 v47, v[36:37] offset:20256
; %bb.443:                              ;   in Loop: Header=BB41_3 Depth=1
	s_or_b32 exec_lo, exec_lo, s47
	s_wait_dscnt 0x0
	s_barrier_signal -1
	s_barrier_wait -1
	s_barrier_signal -1
	s_barrier_wait -1
	s_and_saveexec_b32 s47, s94
	s_cbranch_execz .LBB41_445
; %bb.444:                              ;   in Loop: Header=BB41_3 Depth=1
	ds_load_b64 v[36:37], v74 offset:19744
	s_wait_dscnt 0x0
	ds_store_b64 v73, v[36:37] offset:18736
	ds_load_b64 v[36:37], v74 offset:19752
	s_wait_dscnt 0x0
	ds_store_b64 v73, v[36:37] offset:19248
.LBB41_445:                             ;   in Loop: Header=BB41_3 Depth=1
	s_or_b32 exec_lo, exec_lo, s47
	s_wait_dscnt 0x0
	s_barrier_signal -1
	s_barrier_wait -1
	s_and_saveexec_b32 s65, s14
	s_cbranch_execz .LBB41_447
; %bb.446:                              ;   in Loop: Header=BB41_3 Depth=1
	ds_load_b128 v[36:39], v3 offset:19232
	ds_load_b64 v[40:41], v3 offset:18720
	v_add_nc_u32_e64 v2, 0x4800, 0
	s_wait_dscnt 0x0
	v_mul_f64_e32 v[38:39], v[40:41], v[38:39]
	s_delay_alu instid0(VALU_DEP_1)
	v_mul_f64_e32 v[36:37], v[36:37], v[38:39]
	ds_store_2addr_b64 v2, v[36:37], v[36:37] offset0:37 offset1:100
.LBB41_447:                             ;   in Loop: Header=BB41_3 Depth=1
	s_or_b32 exec_lo, exec_lo, s65
	v_mov_b64_e32 v[36:37], 0
	s_wait_dscnt 0x0
	s_barrier_signal -1
	s_barrier_wait -1
	global_wb scope:SCOPE_DEV
	s_wait_storecnt 0x0
	global_inv scope:SCOPE_DEV
	s_and_saveexec_b32 s65, s2
	s_cbranch_execz .LBB41_453
; %bb.448:                              ;   in Loop: Header=BB41_3 Depth=1
	ds_load_b64 v[36:37], v51 offset:18688
	ds_load_b64 v[38:39], v50 offset:20256
	s_wait_dscnt 0x0
	v_fma_f64 v[36:37], v[36:37], v[38:39], 0
	s_and_saveexec_b32 s47, s16
	s_cbranch_execnz .LBB41_1121
; %bb.449:                              ;   in Loop: Header=BB41_3 Depth=1
	s_or_b32 exec_lo, exec_lo, s47
	s_and_saveexec_b32 s47, s17
	s_cbranch_execnz .LBB41_1122
.LBB41_450:                             ;   in Loop: Header=BB41_3 Depth=1
	s_or_b32 exec_lo, exec_lo, s47
	s_and_saveexec_b32 s47, s0
	s_cbranch_execz .LBB41_452
.LBB41_451:                             ;   in Loop: Header=BB41_3 Depth=1
	ds_load_b64 v[38:39], v75 offset:20224
	ds_load_b64 v[40:41], v3 offset:20280
	s_wait_dscnt 0x0
	v_fmac_f64_e32 v[36:37], v[38:39], v[40:41]
.LBB41_452:                             ;   in Loop: Header=BB41_3 Depth=1
	s_or_b32 exec_lo, exec_lo, s47
.LBB41_453:                             ;   in Loop: Header=BB41_3 Depth=1
	s_delay_alu instid0(SALU_CYCLE_1)
	s_or_b32 exec_lo, exec_lo, s65
	s_and_saveexec_b32 s65, s95
	s_cbranch_execz .LBB41_455
; %bb.454:                              ;   in Loop: Header=BB41_3 Depth=1
	ds_load_b64 v[38:39], v3 offset:18200
	s_wait_dscnt 0x0
	v_mul_f64_e32 v[36:37], v[36:37], v[38:39]
	s_delay_alu instid0(VALU_DEP_1) | instskip(NEXT) | instid1(VALU_DEP_2)
	v_xor_b32_e32 v39, 0x80000000, v37
	v_mov_b32_e32 v38, v36
	ds_store_b64 v49, v[38:39]
.LBB41_455:                             ;   in Loop: Header=BB41_3 Depth=1
	s_or_b32 exec_lo, exec_lo, s65
	s_wait_loadcnt_dscnt 0x0
	s_barrier_signal -1
	s_barrier_wait -1
	s_and_saveexec_b32 s47, s96
	s_cbranch_execz .LBB41_457
; %bb.456:                              ;   in Loop: Header=BB41_3 Depth=1
	ds_load_b64 v[38:39], v51 offset:18176
	ds_load_b64 v[40:41], v49
	s_wait_dscnt 0x0
	v_fma_f64 v[36:37], -v[38:39], v[40:41], v[36:37]
.LBB41_457:                             ;   in Loop: Header=BB41_3 Depth=1
	s_or_b32 exec_lo, exec_lo, s47
	s_barrier_signal -1
	s_barrier_wait -1
	s_and_saveexec_b32 s65, s97
	s_cbranch_execz .LBB41_459
; %bb.458:                              ;   in Loop: Header=BB41_3 Depth=1
	ds_load_b64 v[38:39], v3 offset:17680
	s_wait_dscnt 0x0
	v_mul_f64_e32 v[36:37], v[36:37], v[38:39]
	s_delay_alu instid0(VALU_DEP_1) | instskip(NEXT) | instid1(VALU_DEP_2)
	v_xor_b32_e32 v39, 0x80000000, v37
	v_mov_b32_e32 v38, v36
	ds_store_b64 v49, v[38:39]
.LBB41_459:                             ;   in Loop: Header=BB41_3 Depth=1
	s_or_b32 exec_lo, exec_lo, s65
	s_wait_dscnt 0x0
	s_barrier_signal -1
	s_barrier_wait -1
	s_and_saveexec_b32 s47, s98
	s_cbranch_execz .LBB41_461
; %bb.460:                              ;   in Loop: Header=BB41_3 Depth=1
	ds_load_b64 v[38:39], v51 offset:17664
	ds_load_b64 v[40:41], v49
	s_wait_dscnt 0x0
	v_fma_f64 v[36:37], -v[38:39], v[40:41], v[36:37]
.LBB41_461:                             ;   in Loop: Header=BB41_3 Depth=1
	s_or_b32 exec_lo, exec_lo, s47
	s_barrier_signal -1
	s_barrier_wait -1
	s_and_saveexec_b32 s65, s99
	s_cbranch_execz .LBB41_463
; %bb.462:                              ;   in Loop: Header=BB41_3 Depth=1
	ds_load_b64 v[38:39], v3 offset:17160
	s_wait_dscnt 0x0
	v_mul_f64_e32 v[36:37], v[36:37], v[38:39]
	s_delay_alu instid0(VALU_DEP_1) | instskip(NEXT) | instid1(VALU_DEP_2)
	v_xor_b32_e32 v39, 0x80000000, v37
	v_mov_b32_e32 v38, v36
	ds_store_b64 v49, v[38:39]
.LBB41_463:                             ;   in Loop: Header=BB41_3 Depth=1
	s_or_b32 exec_lo, exec_lo, s65
	s_wait_dscnt 0x0
	;; [unrolled: 26-line block ×3, first 2 shown]
	s_barrier_signal -1
	s_barrier_wait -1
	s_barrier_signal -1
	s_barrier_wait -1
	s_and_saveexec_b32 s47, s2
; %bb.468:                              ;   in Loop: Header=BB41_3 Depth=1
	ds_store_b64 v52, v[36:37] offset:20224
; %bb.469:                              ;   in Loop: Header=BB41_3 Depth=1
	s_or_b32 exec_lo, exec_lo, s47
	s_wait_dscnt 0x0
	s_barrier_signal -1
	s_barrier_wait -1
	s_barrier_signal -1
	s_barrier_wait -1
	s_and_saveexec_b32 s65, s101
	s_cbranch_execz .LBB41_471
; %bb.470:                              ;   in Loop: Header=BB41_3 Depth=1
	ds_load_b64 v[36:37], v79 offset:18688
	s_wait_dscnt 0x0
	ds_store_b64 v82, v[36:37] offset:16672
	ds_load_b64 v[36:37], v79 offset:18696
	s_wait_dscnt 0x0
	ds_store_b64 v82, v[36:37] offset:17184
	;; [unrolled: 3-line block ×4, first 2 shown]
.LBB41_471:                             ;   in Loop: Header=BB41_3 Depth=1
	s_or_b32 exec_lo, exec_lo, s65
	s_wait_dscnt 0x0
	s_barrier_signal -1
	s_barrier_wait -1
	s_and_saveexec_b32 s65, s14
	s_cbranch_execz .LBB41_473
; %bb.472:                              ;   in Loop: Header=BB41_3 Depth=1
	ds_load_b128 v[36:39], v3 offset:18192
	ds_load_b64 v[40:41], v3 offset:17680
	v_add_nc_u32_e64 v2, 0x4000, 0
	s_wait_dscnt 0x0
	v_mul_f64_e32 v[38:39], v[40:41], v[38:39]
	s_delay_alu instid0(VALU_DEP_1)
	v_mul_f64_e32 v[36:37], v[36:37], v[38:39]
	ds_store_2addr_b64 v2, v[36:37], v[36:37] offset0:163 offset1:226
.LBB41_473:                             ;   in Loop: Header=BB41_3 Depth=1
	s_or_b32 exec_lo, exec_lo, s65
	v_mov_b64_e32 v[36:37], 0
	s_wait_dscnt 0x0
	s_barrier_signal -1
	s_barrier_wait -1
	global_wb scope:SCOPE_DEV
	s_wait_storecnt 0x0
	global_inv scope:SCOPE_DEV
	s_and_saveexec_b32 s65, s0
	s_cbranch_execz .LBB41_477
; %bb.474:                              ;   in Loop: Header=BB41_3 Depth=1
	ds_load_b64 v[36:37], v45 offset:17664
	ds_load_b64 v[38:39], v44 offset:18192
	s_wait_dscnt 0x0
	v_fma_f64 v[36:37], v[36:37], v[38:39], 0
	s_and_saveexec_b32 s47, s15
	s_cbranch_execz .LBB41_476
; %bb.475:                              ;   in Loop: Header=BB41_3 Depth=1
	ds_load_b64 v[38:39], v82 offset:18176
	ds_load_b64 v[40:41], v3 offset:18200
	s_wait_dscnt 0x0
	v_fmac_f64_e32 v[36:37], v[38:39], v[40:41]
.LBB41_476:                             ;   in Loop: Header=BB41_3 Depth=1
	s_or_b32 exec_lo, exec_lo, s47
.LBB41_477:                             ;   in Loop: Header=BB41_3 Depth=1
	s_delay_alu instid0(SALU_CYCLE_1)
	s_or_b32 exec_lo, exec_lo, s65
	s_and_saveexec_b32 s65, s92
	s_cbranch_execz .LBB41_479
; %bb.478:                              ;   in Loop: Header=BB41_3 Depth=1
	ds_load_b64 v[38:39], v3 offset:17160
	s_wait_dscnt 0x0
	v_mul_f64_e32 v[36:37], v[36:37], v[38:39]
	s_delay_alu instid0(VALU_DEP_1) | instskip(NEXT) | instid1(VALU_DEP_2)
	v_xor_b32_e32 v39, 0x80000000, v37
	v_mov_b32_e32 v38, v36
	ds_store_b64 v5, v[38:39]
.LBB41_479:                             ;   in Loop: Header=BB41_3 Depth=1
	s_or_b32 exec_lo, exec_lo, s65
	s_wait_loadcnt_dscnt 0x0
	s_barrier_signal -1
	s_barrier_wait -1
	s_and_saveexec_b32 s47, s93
	s_cbranch_execz .LBB41_481
; %bb.480:                              ;   in Loop: Header=BB41_3 Depth=1
	ds_load_b64 v[38:39], v3 offset:17152
	ds_load_b64 v[40:41], v5
	s_wait_dscnt 0x0
	v_fma_f64 v[36:37], -v[38:39], v[40:41], v[36:37]
.LBB41_481:                             ;   in Loop: Header=BB41_3 Depth=1
	s_or_b32 exec_lo, exec_lo, s47
	s_barrier_signal -1
	s_barrier_wait -1
	s_and_saveexec_b32 s65, s93
	s_cbranch_execz .LBB41_483
; %bb.482:                              ;   in Loop: Header=BB41_3 Depth=1
	ds_load_b64 v[38:39], v3 offset:16640
	s_wait_dscnt 0x0
	v_mul_f64_e32 v[36:37], v[36:37], v[38:39]
	s_delay_alu instid0(VALU_DEP_1) | instskip(NEXT) | instid1(VALU_DEP_2)
	v_xor_b32_e32 v39, 0x80000000, v37
	v_mov_b32_e32 v38, v36
	ds_store_b64 v5, v[38:39]
.LBB41_483:                             ;   in Loop: Header=BB41_3 Depth=1
	s_or_b32 exec_lo, exec_lo, s65
	s_wait_dscnt 0x0
	s_barrier_signal -1
	s_barrier_wait -1
	s_barrier_signal -1
	s_barrier_wait -1
	s_and_saveexec_b32 s47, s0
; %bb.484:                              ;   in Loop: Header=BB41_3 Depth=1
	ds_store_b64 v47, v[36:37] offset:18176
; %bb.485:                              ;   in Loop: Header=BB41_3 Depth=1
	s_or_b32 exec_lo, exec_lo, s47
	s_wait_dscnt 0x0
	s_barrier_signal -1
	s_barrier_wait -1
	s_barrier_signal -1
	s_barrier_wait -1
	s_and_saveexec_b32 s47, s94
	s_cbranch_execz .LBB41_487
; %bb.486:                              ;   in Loop: Header=BB41_3 Depth=1
	ds_load_b64 v[36:37], v83 offset:17664
	s_wait_dscnt 0x0
	ds_store_b64 v82, v[36:37] offset:16656
	ds_load_b64 v[36:37], v83 offset:17672
	s_wait_dscnt 0x0
	ds_store_b64 v82, v[36:37] offset:17168
.LBB41_487:                             ;   in Loop: Header=BB41_3 Depth=1
	s_or_b32 exec_lo, exec_lo, s47
	s_wait_dscnt 0x0
	s_barrier_signal -1
	s_barrier_wait -1
	s_and_saveexec_b32 s65, s14
	s_cbranch_execz .LBB41_489
; %bb.488:                              ;   in Loop: Header=BB41_3 Depth=1
	ds_load_b128 v[36:39], v3 offset:17152
	ds_load_b64 v[40:41], v3 offset:16640
	v_add_nc_u32_e64 v2, 0x4000, 0
	s_wait_dscnt 0x0
	v_mul_f64_e32 v[38:39], v[40:41], v[38:39]
	s_delay_alu instid0(VALU_DEP_1)
	v_mul_f64_e32 v[36:37], v[36:37], v[38:39]
	ds_store_2addr_b64 v2, v[36:37], v[36:37] offset0:33 offset1:96
.LBB41_489:                             ;   in Loop: Header=BB41_3 Depth=1
	s_or_b32 exec_lo, exec_lo, s65
	v_mov_b64_e32 v[36:37], 0
	s_wait_dscnt 0x0
	s_barrier_signal -1
	s_barrier_wait -1
	global_wb scope:SCOPE_DEV
	s_wait_storecnt 0x0
	global_inv scope:SCOPE_DEV
	s_and_saveexec_b32 s65, s35
	s_cbranch_execz .LBB41_551
; %bb.490:                              ;   in Loop: Header=BB41_3 Depth=1
	ds_load_b64 v[36:37], v62 offset:16384
	ds_load_b64 v[38:39], v63 offset:32512
	s_wait_dscnt 0x0
	v_fma_f64 v[36:37], v[36:37], v[38:39], 0
	s_mov_b32 s47, exec_lo
	v_readlane_b32 s82, v96, 4
	s_and_b32 s82, s47, s82
	s_delay_alu instid0(SALU_CYCLE_1)
	s_mov_b32 exec_lo, s82
	s_cbranch_execz .LBB41_492
; %bb.491:                              ;   in Loop: Header=BB41_3 Depth=1
	ds_load_b64 v[38:39], v62 offset:16896
	ds_load_b64 v[40:41], v63 offset:32520
	s_wait_dscnt 0x0
	v_fmac_f64_e32 v[36:37], v[38:39], v[40:41]
.LBB41_492:                             ;   in Loop: Header=BB41_3 Depth=1
	s_or_b32 exec_lo, exec_lo, s47
	s_delay_alu instid0(SALU_CYCLE_1) | instskip(SKIP_2) | instid1(SALU_CYCLE_1)
	s_mov_b32 s47, exec_lo
	v_readlane_b32 s82, v96, 5
	s_and_b32 s82, s47, s82
	s_mov_b32 exec_lo, s82
	s_cbranch_execz .LBB41_494
; %bb.493:                              ;   in Loop: Header=BB41_3 Depth=1
	ds_load_b64 v[38:39], v62 offset:17408
	ds_load_b64 v[40:41], v63 offset:32528
	s_wait_dscnt 0x0
	v_fmac_f64_e32 v[36:37], v[38:39], v[40:41]
.LBB41_494:                             ;   in Loop: Header=BB41_3 Depth=1
	s_or_b32 exec_lo, exec_lo, s47
	s_delay_alu instid0(SALU_CYCLE_1) | instskip(SKIP_2) | instid1(SALU_CYCLE_1)
	s_mov_b32 s47, exec_lo
	v_readlane_b32 s82, v96, 6
	s_and_b32 s82, s47, s82
	;; [unrolled: 13-line block ×22, first 2 shown]
	s_mov_b32 exec_lo, s82
	s_cbranch_execz .LBB41_536
; %bb.535:                              ;   in Loop: Header=BB41_3 Depth=1
	ds_load_b64 v[38:39], v62 offset:28160
	ds_load_b64 v[40:41], v63 offset:32696
	s_wait_dscnt 0x0
	v_fmac_f64_e32 v[36:37], v[38:39], v[40:41]
.LBB41_536:                             ;   in Loop: Header=BB41_3 Depth=1
	s_or_b32 exec_lo, exec_lo, s47
	s_and_saveexec_b32 s47, s4
	s_cbranch_execz .LBB41_538
; %bb.537:                              ;   in Loop: Header=BB41_3 Depth=1
	ds_load_b64 v[38:39], v62 offset:28672
	ds_load_b64 v[40:41], v63 offset:32704
	s_wait_dscnt 0x0
	v_fmac_f64_e32 v[36:37], v[38:39], v[40:41]
.LBB41_538:                             ;   in Loop: Header=BB41_3 Depth=1
	s_or_b32 exec_lo, exec_lo, s47
	s_delay_alu instid0(SALU_CYCLE_1) | instskip(SKIP_2) | instid1(SALU_CYCLE_1)
	s_mov_b32 s47, exec_lo
	v_readlane_b32 s82, v97, 26
	s_and_b32 s82, s47, s82
	s_mov_b32 exec_lo, s82
	s_cbranch_execz .LBB41_540
; %bb.539:                              ;   in Loop: Header=BB41_3 Depth=1
	ds_load_b64 v[38:39], v62 offset:29184
	ds_load_b64 v[40:41], v63 offset:32712
	s_wait_dscnt 0x0
	v_fmac_f64_e32 v[36:37], v[38:39], v[40:41]
.LBB41_540:                             ;   in Loop: Header=BB41_3 Depth=1
	s_or_b32 exec_lo, exec_lo, s47
	s_delay_alu instid0(SALU_CYCLE_1) | instskip(SKIP_2) | instid1(SALU_CYCLE_1)
	s_mov_b32 s47, exec_lo
	v_readlane_b32 s82, v97, 28
	s_and_b32 s82, s47, s82
	s_mov_b32 exec_lo, s82
	;; [unrolled: 13-line block ×5, first 2 shown]
	s_cbranch_execnz .LBB41_1123
; %bb.547:                              ;   in Loop: Header=BB41_3 Depth=1
	s_or_b32 exec_lo, exec_lo, s47
	s_and_saveexec_b32 s47, s3
	s_cbranch_execnz .LBB41_1124
.LBB41_548:                             ;   in Loop: Header=BB41_3 Depth=1
	s_or_b32 exec_lo, exec_lo, s47
	s_and_saveexec_b32 s47, s21
	s_delay_alu instid0(SALU_CYCLE_1)
	s_xor_b32 s47, exec_lo, s47
	s_cbranch_execz .LBB41_550
.LBB41_549:                             ;   in Loop: Header=BB41_3 Depth=1
	ds_load_b64 v[38:39], v46 offset:32256
	ds_load_b64 v[40:41], v3 offset:32760
	s_wait_dscnt 0x0
	v_fmac_f64_e32 v[36:37], v[38:39], v[40:41]
.LBB41_550:                             ;   in Loop: Header=BB41_3 Depth=1
	s_or_b32 exec_lo, exec_lo, s47
.LBB41_551:                             ;   in Loop: Header=BB41_3 Depth=1
	s_delay_alu instid0(SALU_CYCLE_1)
	s_or_b32 exec_lo, exec_lo, s65
	v_mov_b32_e32 v2, v66
	s_mov_b32 s65, 31
	s_branch .LBB41_553
.LBB41_552:                             ;   in Loop: Header=BB41_553 Depth=2
	s_or_b32 exec_lo, exec_lo, s47
	v_add_nc_u32_e32 v2, 0xfffff800, v2
	s_add_co_i32 s65, s65, -4
	s_cmp_eq_u32 s82, 0
	s_barrier_signal -1
	s_barrier_wait -1
	s_cbranch_scc1 .LBB41_569
.LBB41_553:                             ;   Parent Loop BB41_3 Depth=1
                                        ; =>  This Inner Loop Header: Depth=2
	s_delay_alu instid0(VALU_DEP_1) | instskip(SKIP_1) | instid1(SALU_CYCLE_1)
	v_cmp_eq_u32_e32 vcc_lo, 0xffffc200, v2
	s_and_b32 s47, s64, vcc_lo
	s_and_saveexec_b32 s82, s47
	s_cbranch_execz .LBB41_555
; %bb.554:                              ;   in Loop: Header=BB41_553 Depth=2
	ds_load_b64 v[38:39], v86
	s_wait_dscnt 0x0
	v_mul_f64_e32 v[36:37], v[36:37], v[38:39]
	s_delay_alu instid0(VALU_DEP_1) | instskip(NEXT) | instid1(VALU_DEP_2)
	v_xor_b32_e32 v39, 0x80000000, v37
	v_mov_b32_e32 v38, v36
	ds_store_b64 v61, v[38:39]
.LBB41_555:                             ;   in Loop: Header=BB41_553 Depth=2
	s_or_b32 exec_lo, exec_lo, s82
	v_cmp_gt_u32_e32 vcc_lo, s65, v7
	v_add_nc_u32_e32 v38, v64, v2
	s_wait_loadcnt_dscnt 0x0
	s_barrier_signal -1
	s_barrier_wait -1
	s_and_b32 s82, s64, vcc_lo
	s_delay_alu instid0(SALU_CYCLE_1)
	s_and_saveexec_b32 s47, s82
	s_cbranch_execz .LBB41_557
; %bb.556:                              ;   in Loop: Header=BB41_553 Depth=2
	ds_load_b64 v[40:41], v38 offset:1536
	ds_load_b64 v[92:93], v61
	s_wait_dscnt 0x0
	v_fma_f64 v[36:37], -v[40:41], v[92:93], v[36:37]
.LBB41_557:                             ;   in Loop: Header=BB41_553 Depth=2
	s_or_b32 exec_lo, exec_lo, s47
	s_add_co_i32 s82, s65, -1
	s_delay_alu instid0(SALU_CYCLE_1) | instskip(SKIP_3) | instid1(SALU_CYCLE_1)
	v_cmp_eq_u32_e32 vcc_lo, s82, v7
	s_barrier_signal -1
	s_barrier_wait -1
	s_and_b32 s47, s64, vcc_lo
	s_and_saveexec_b32 s83, s47
	s_cbranch_execz .LBB41_559
; %bb.558:                              ;   in Loop: Header=BB41_553 Depth=2
	ds_load_b64 v[40:41], v86
	s_wait_dscnt 0x0
	v_mul_f64_e32 v[36:37], v[36:37], v[40:41]
	s_delay_alu instid0(VALU_DEP_1) | instskip(NEXT) | instid1(VALU_DEP_2)
	v_xor_b32_e32 v41, 0x80000000, v37
	v_mov_b32_e32 v40, v36
	ds_store_b64 v61, v[40:41]
.LBB41_559:                             ;   in Loop: Header=BB41_553 Depth=2
	s_or_b32 exec_lo, exec_lo, s83
	v_cmp_gt_u32_e32 vcc_lo, s82, v7
	s_wait_dscnt 0x0
	s_barrier_signal -1
	s_barrier_wait -1
	s_and_b32 s82, s64, vcc_lo
	s_delay_alu instid0(SALU_CYCLE_1)
	s_and_saveexec_b32 s47, s82
	s_cbranch_execz .LBB41_561
; %bb.560:                              ;   in Loop: Header=BB41_553 Depth=2
	ds_load_b64 v[40:41], v38 offset:1024
	ds_load_b64 v[92:93], v61
	s_wait_dscnt 0x0
	v_fma_f64 v[36:37], -v[40:41], v[92:93], v[36:37]
.LBB41_561:                             ;   in Loop: Header=BB41_553 Depth=2
	s_or_b32 exec_lo, exec_lo, s47
	s_add_co_i32 s82, s65, -2
	s_delay_alu instid0(SALU_CYCLE_1) | instskip(SKIP_3) | instid1(SALU_CYCLE_1)
	v_cmp_eq_u32_e32 vcc_lo, s82, v7
	s_barrier_signal -1
	s_barrier_wait -1
	s_and_b32 s47, s64, vcc_lo
	s_and_saveexec_b32 s83, s47
	s_cbranch_execz .LBB41_563
; %bb.562:                              ;   in Loop: Header=BB41_553 Depth=2
	ds_load_b64 v[40:41], v86
	s_wait_dscnt 0x0
	v_mul_f64_e32 v[36:37], v[36:37], v[40:41]
	s_delay_alu instid0(VALU_DEP_1) | instskip(NEXT) | instid1(VALU_DEP_2)
	v_xor_b32_e32 v41, 0x80000000, v37
	v_mov_b32_e32 v40, v36
	ds_store_b64 v61, v[40:41]
.LBB41_563:                             ;   in Loop: Header=BB41_553 Depth=2
	s_or_b32 exec_lo, exec_lo, s83
	v_cmp_gt_u32_e32 vcc_lo, s82, v7
	s_wait_dscnt 0x0
	;; [unrolled: 33-line block ×3, first 2 shown]
	s_barrier_signal -1
	s_barrier_wait -1
	s_and_b32 s83, s64, vcc_lo
	s_delay_alu instid0(SALU_CYCLE_1)
	s_and_saveexec_b32 s47, s83
	s_cbranch_execz .LBB41_552
; %bb.568:                              ;   in Loop: Header=BB41_553 Depth=2
	ds_load_b64 v[38:39], v38
	ds_load_b64 v[40:41], v61
	s_wait_dscnt 0x0
	v_fma_f64 v[36:37], -v[38:39], v[40:41], v[36:37]
	s_branch .LBB41_552
.LBB41_569:                             ;   in Loop: Header=BB41_3 Depth=1
	s_and_saveexec_b32 s47, s35
; %bb.570:                              ;   in Loop: Header=BB41_3 Depth=1
	ds_store_b64 v67, v[36:37] offset:32256
; %bb.571:                              ;   in Loop: Header=BB41_3 Depth=1
	s_or_b32 exec_lo, exec_lo, s47
	s_wait_dscnt 0x0
	s_barrier_signal -1
	s_barrier_wait -1
	s_barrier_signal -1
	s_barrier_wait -1
	s_mov_b32 s65, exec_lo
	v_readlane_b32 s47, v97, 7
	s_and_b32 s47, s65, s47
	s_delay_alu instid0(SALU_CYCLE_1)
	s_mov_b32 exec_lo, s47
	s_cbranch_execz .LBB41_573
; %bb.572:                              ;   in Loop: Header=BB41_3 Depth=1
	ds_load_b64 v[36:37], v48 offset:16384
	s_wait_dscnt 0x0
	ds_store_b64 v65, v[36:37] offset:256
	ds_load_b64 v[36:37], v48 offset:16392
	s_wait_dscnt 0x0
	ds_store_b64 v65, v[36:37] offset:768
	;; [unrolled: 3-line block ×32, first 2 shown]
.LBB41_573:                             ;   in Loop: Header=BB41_3 Depth=1
	s_or_b32 exec_lo, exec_lo, s65
	s_wait_dscnt 0x0
	s_barrier_signal -1
	s_barrier_wait -1
	s_and_saveexec_b32 s65, s14
	s_cbranch_execz .LBB41_575
; %bb.574:                              ;   in Loop: Header=BB41_3 Depth=1
	ds_load_b128 v[36:39], v3 offset:16112
	ds_load_b64 v[40:41], v3 offset:15600
	v_add_nc_u32_e64 v2, 0x3800, 0
	s_wait_dscnt 0x0
	v_mul_f64_e32 v[38:39], v[40:41], v[38:39]
	s_delay_alu instid0(VALU_DEP_1)
	v_mul_f64_e32 v[36:37], v[36:37], v[38:39]
	ds_store_2addr_b64 v2, v[36:37], v[36:37] offset0:159 offset1:222
.LBB41_575:                             ;   in Loop: Header=BB41_3 Depth=1
	s_or_b32 exec_lo, exec_lo, s65
	v_mov_b64_e32 v[36:37], 0
	s_wait_dscnt 0x0
	s_barrier_signal -1
	s_barrier_wait -1
	global_wb scope:SCOPE_DEV
	s_wait_storecnt 0x0
	global_inv scope:SCOPE_DEV
	s_and_saveexec_b32 s65, s0
	s_cbranch_execz .LBB41_579
; %bb.576:                              ;   in Loop: Header=BB41_3 Depth=1
	ds_load_b64 v[36:37], v45 offset:15584
	ds_load_b64 v[38:39], v44 offset:16112
	s_wait_dscnt 0x0
	v_fma_f64 v[36:37], v[36:37], v[38:39], 0
	s_and_saveexec_b32 s47, s15
	s_cbranch_execz .LBB41_578
; %bb.577:                              ;   in Loop: Header=BB41_3 Depth=1
	ds_load_b64 v[38:39], v46 offset:16096
	ds_load_b64 v[40:41], v3 offset:16120
	s_wait_dscnt 0x0
	v_fmac_f64_e32 v[36:37], v[38:39], v[40:41]
.LBB41_578:                             ;   in Loop: Header=BB41_3 Depth=1
	s_or_b32 exec_lo, exec_lo, s47
.LBB41_579:                             ;   in Loop: Header=BB41_3 Depth=1
	s_delay_alu instid0(SALU_CYCLE_1)
	s_or_b32 exec_lo, exec_lo, s65
	s_and_saveexec_b32 s65, s92
	s_cbranch_execz .LBB41_581
; %bb.580:                              ;   in Loop: Header=BB41_3 Depth=1
	ds_load_b64 v[38:39], v3 offset:15080
	s_wait_dscnt 0x0
	v_mul_f64_e32 v[36:37], v[36:37], v[38:39]
	s_delay_alu instid0(VALU_DEP_1) | instskip(NEXT) | instid1(VALU_DEP_2)
	v_xor_b32_e32 v39, 0x80000000, v37
	v_mov_b32_e32 v38, v36
	ds_store_b64 v5, v[38:39]
.LBB41_581:                             ;   in Loop: Header=BB41_3 Depth=1
	s_or_b32 exec_lo, exec_lo, s65
	s_wait_loadcnt_dscnt 0x0
	s_barrier_signal -1
	s_barrier_wait -1
	s_and_saveexec_b32 s47, s93
	s_cbranch_execz .LBB41_583
; %bb.582:                              ;   in Loop: Header=BB41_3 Depth=1
	ds_load_b64 v[38:39], v3 offset:15072
	ds_load_b64 v[40:41], v5
	s_wait_dscnt 0x0
	v_fma_f64 v[36:37], -v[38:39], v[40:41], v[36:37]
.LBB41_583:                             ;   in Loop: Header=BB41_3 Depth=1
	s_or_b32 exec_lo, exec_lo, s47
	s_barrier_signal -1
	s_barrier_wait -1
	s_and_saveexec_b32 s65, s93
	s_cbranch_execz .LBB41_585
; %bb.584:                              ;   in Loop: Header=BB41_3 Depth=1
	ds_load_b64 v[38:39], v3 offset:14560
	s_wait_dscnt 0x0
	v_mul_f64_e32 v[36:37], v[36:37], v[38:39]
	s_delay_alu instid0(VALU_DEP_1) | instskip(NEXT) | instid1(VALU_DEP_2)
	v_xor_b32_e32 v39, 0x80000000, v37
	v_mov_b32_e32 v38, v36
	ds_store_b64 v5, v[38:39]
.LBB41_585:                             ;   in Loop: Header=BB41_3 Depth=1
	s_or_b32 exec_lo, exec_lo, s65
	s_wait_dscnt 0x0
	s_barrier_signal -1
	s_barrier_wait -1
	s_barrier_signal -1
	s_barrier_wait -1
	s_and_saveexec_b32 s47, s0
; %bb.586:                              ;   in Loop: Header=BB41_3 Depth=1
	ds_store_b64 v47, v[36:37] offset:16096
; %bb.587:                              ;   in Loop: Header=BB41_3 Depth=1
	s_or_b32 exec_lo, exec_lo, s47
	s_wait_dscnt 0x0
	s_barrier_signal -1
	s_barrier_wait -1
	s_barrier_signal -1
	s_barrier_wait -1
	s_and_saveexec_b32 s47, s94
	s_cbranch_execz .LBB41_589
; %bb.588:                              ;   in Loop: Header=BB41_3 Depth=1
	ds_load_b64 v[36:37], v48 offset:15584
	s_wait_dscnt 0x0
	ds_store_b64 v46, v[36:37] offset:14576
	ds_load_b64 v[36:37], v48 offset:15592
	s_wait_dscnt 0x0
	ds_store_b64 v46, v[36:37] offset:15088
.LBB41_589:                             ;   in Loop: Header=BB41_3 Depth=1
	s_or_b32 exec_lo, exec_lo, s47
	s_wait_dscnt 0x0
	s_barrier_signal -1
	s_barrier_wait -1
	s_and_saveexec_b32 s65, s14
	s_cbranch_execz .LBB41_591
; %bb.590:                              ;   in Loop: Header=BB41_3 Depth=1
	ds_load_b128 v[36:39], v3 offset:15072
	ds_load_b64 v[40:41], v3 offset:14560
	v_add_nc_u32_e64 v2, 0x3800, 0
	s_wait_dscnt 0x0
	v_mul_f64_e32 v[38:39], v[40:41], v[38:39]
	s_delay_alu instid0(VALU_DEP_1)
	v_mul_f64_e32 v[36:37], v[36:37], v[38:39]
	ds_store_2addr_b64 v2, v[36:37], v[36:37] offset0:29 offset1:92
.LBB41_591:                             ;   in Loop: Header=BB41_3 Depth=1
	s_or_b32 exec_lo, exec_lo, s65
	v_mov_b64_e32 v[36:37], 0
	s_wait_dscnt 0x0
	s_barrier_signal -1
	s_barrier_wait -1
	global_wb scope:SCOPE_DEV
	s_wait_storecnt 0x0
	global_inv scope:SCOPE_DEV
	s_and_saveexec_b32 s65, s2
	s_cbranch_execz .LBB41_597
; %bb.592:                              ;   in Loop: Header=BB41_3 Depth=1
	ds_load_b64 v[36:37], v51 offset:14528
	ds_load_b64 v[38:39], v50 offset:16096
	s_wait_dscnt 0x0
	v_fma_f64 v[36:37], v[36:37], v[38:39], 0
	s_and_saveexec_b32 s47, s16
	s_cbranch_execnz .LBB41_1125
; %bb.593:                              ;   in Loop: Header=BB41_3 Depth=1
	s_or_b32 exec_lo, exec_lo, s47
	s_and_saveexec_b32 s47, s17
	s_cbranch_execnz .LBB41_1126
.LBB41_594:                             ;   in Loop: Header=BB41_3 Depth=1
	s_or_b32 exec_lo, exec_lo, s47
	s_and_saveexec_b32 s47, s0
	s_cbranch_execz .LBB41_596
.LBB41_595:                             ;   in Loop: Header=BB41_3 Depth=1
	ds_load_b64 v[38:39], v65 offset:16064
	ds_load_b64 v[40:41], v3 offset:16120
	s_wait_dscnt 0x0
	v_fmac_f64_e32 v[36:37], v[38:39], v[40:41]
.LBB41_596:                             ;   in Loop: Header=BB41_3 Depth=1
	s_or_b32 exec_lo, exec_lo, s47
.LBB41_597:                             ;   in Loop: Header=BB41_3 Depth=1
	s_delay_alu instid0(SALU_CYCLE_1)
	s_or_b32 exec_lo, exec_lo, s65
	s_and_saveexec_b32 s65, s95
	s_cbranch_execz .LBB41_599
; %bb.598:                              ;   in Loop: Header=BB41_3 Depth=1
	ds_load_b64 v[38:39], v3 offset:14040
	s_wait_dscnt 0x0
	v_mul_f64_e32 v[36:37], v[36:37], v[38:39]
	s_delay_alu instid0(VALU_DEP_1) | instskip(NEXT) | instid1(VALU_DEP_2)
	v_xor_b32_e32 v39, 0x80000000, v37
	v_mov_b32_e32 v38, v36
	ds_store_b64 v49, v[38:39]
.LBB41_599:                             ;   in Loop: Header=BB41_3 Depth=1
	s_or_b32 exec_lo, exec_lo, s65
	s_wait_loadcnt_dscnt 0x0
	s_barrier_signal -1
	s_barrier_wait -1
	s_and_saveexec_b32 s47, s96
	s_cbranch_execz .LBB41_601
; %bb.600:                              ;   in Loop: Header=BB41_3 Depth=1
	ds_load_b64 v[38:39], v51 offset:14016
	ds_load_b64 v[40:41], v49
	s_wait_dscnt 0x0
	v_fma_f64 v[36:37], -v[38:39], v[40:41], v[36:37]
.LBB41_601:                             ;   in Loop: Header=BB41_3 Depth=1
	s_or_b32 exec_lo, exec_lo, s47
	s_barrier_signal -1
	s_barrier_wait -1
	s_and_saveexec_b32 s65, s97
	s_cbranch_execz .LBB41_603
; %bb.602:                              ;   in Loop: Header=BB41_3 Depth=1
	ds_load_b64 v[38:39], v3 offset:13520
	s_wait_dscnt 0x0
	v_mul_f64_e32 v[36:37], v[36:37], v[38:39]
	s_delay_alu instid0(VALU_DEP_1) | instskip(NEXT) | instid1(VALU_DEP_2)
	v_xor_b32_e32 v39, 0x80000000, v37
	v_mov_b32_e32 v38, v36
	ds_store_b64 v49, v[38:39]
.LBB41_603:                             ;   in Loop: Header=BB41_3 Depth=1
	s_or_b32 exec_lo, exec_lo, s65
	s_wait_dscnt 0x0
	s_barrier_signal -1
	s_barrier_wait -1
	s_and_saveexec_b32 s47, s98
	s_cbranch_execz .LBB41_605
; %bb.604:                              ;   in Loop: Header=BB41_3 Depth=1
	ds_load_b64 v[38:39], v51 offset:13504
	ds_load_b64 v[40:41], v49
	s_wait_dscnt 0x0
	v_fma_f64 v[36:37], -v[38:39], v[40:41], v[36:37]
.LBB41_605:                             ;   in Loop: Header=BB41_3 Depth=1
	s_or_b32 exec_lo, exec_lo, s47
	s_barrier_signal -1
	s_barrier_wait -1
	s_and_saveexec_b32 s65, s99
	s_cbranch_execz .LBB41_607
; %bb.606:                              ;   in Loop: Header=BB41_3 Depth=1
	ds_load_b64 v[38:39], v3 offset:13000
	s_wait_dscnt 0x0
	v_mul_f64_e32 v[36:37], v[36:37], v[38:39]
	s_delay_alu instid0(VALU_DEP_1) | instskip(NEXT) | instid1(VALU_DEP_2)
	v_xor_b32_e32 v39, 0x80000000, v37
	v_mov_b32_e32 v38, v36
	ds_store_b64 v49, v[38:39]
.LBB41_607:                             ;   in Loop: Header=BB41_3 Depth=1
	s_or_b32 exec_lo, exec_lo, s65
	s_wait_dscnt 0x0
	;; [unrolled: 26-line block ×3, first 2 shown]
	s_barrier_signal -1
	s_barrier_wait -1
	s_barrier_signal -1
	s_barrier_wait -1
	s_and_saveexec_b32 s47, s2
; %bb.612:                              ;   in Loop: Header=BB41_3 Depth=1
	ds_store_b64 v52, v[36:37] offset:16064
; %bb.613:                              ;   in Loop: Header=BB41_3 Depth=1
	s_or_b32 exec_lo, exec_lo, s47
	s_wait_dscnt 0x0
	s_barrier_signal -1
	s_barrier_wait -1
	s_barrier_signal -1
	s_barrier_wait -1
	s_and_saveexec_b32 s65, s101
	s_cbranch_execz .LBB41_615
; %bb.614:                              ;   in Loop: Header=BB41_3 Depth=1
	ds_load_b64 v[36:37], v68 offset:14528
	s_wait_dscnt 0x0
	ds_store_b64 v69, v[36:37] offset:12512
	ds_load_b64 v[36:37], v68 offset:14536
	s_wait_dscnt 0x0
	ds_store_b64 v69, v[36:37] offset:13024
	ds_load_b64 v[36:37], v68 offset:14544
	s_wait_dscnt 0x0
	ds_store_b64 v69, v[36:37] offset:13536
	ds_load_b64 v[36:37], v68 offset:14552
	s_wait_dscnt 0x0
	ds_store_b64 v69, v[36:37] offset:14048
.LBB41_615:                             ;   in Loop: Header=BB41_3 Depth=1
	s_or_b32 exec_lo, exec_lo, s65
	s_wait_dscnt 0x0
	s_barrier_signal -1
	s_barrier_wait -1
	s_and_saveexec_b32 s65, s14
	s_cbranch_execz .LBB41_617
; %bb.616:                              ;   in Loop: Header=BB41_3 Depth=1
	ds_load_b128 v[36:39], v3 offset:14032
	ds_load_b64 v[40:41], v3 offset:13520
	v_add_nc_u32_e64 v2, 0x3000, 0
	s_wait_dscnt 0x0
	v_mul_f64_e32 v[38:39], v[40:41], v[38:39]
	s_delay_alu instid0(VALU_DEP_1)
	v_mul_f64_e32 v[36:37], v[36:37], v[38:39]
	ds_store_2addr_b64 v2, v[36:37], v[36:37] offset0:155 offset1:218
.LBB41_617:                             ;   in Loop: Header=BB41_3 Depth=1
	s_or_b32 exec_lo, exec_lo, s65
	v_mov_b64_e32 v[36:37], 0
	s_wait_dscnt 0x0
	s_barrier_signal -1
	s_barrier_wait -1
	global_wb scope:SCOPE_DEV
	s_wait_storecnt 0x0
	global_inv scope:SCOPE_DEV
	s_and_saveexec_b32 s65, s0
	s_cbranch_execz .LBB41_621
; %bb.618:                              ;   in Loop: Header=BB41_3 Depth=1
	ds_load_b64 v[36:37], v45 offset:13504
	ds_load_b64 v[38:39], v44 offset:14032
	s_wait_dscnt 0x0
	v_fma_f64 v[36:37], v[36:37], v[38:39], 0
	s_and_saveexec_b32 s47, s15
	s_cbranch_execz .LBB41_620
; %bb.619:                              ;   in Loop: Header=BB41_3 Depth=1
	ds_load_b64 v[38:39], v69 offset:14016
	ds_load_b64 v[40:41], v3 offset:14040
	s_wait_dscnt 0x0
	v_fmac_f64_e32 v[36:37], v[38:39], v[40:41]
.LBB41_620:                             ;   in Loop: Header=BB41_3 Depth=1
	s_or_b32 exec_lo, exec_lo, s47
.LBB41_621:                             ;   in Loop: Header=BB41_3 Depth=1
	s_delay_alu instid0(SALU_CYCLE_1)
	s_or_b32 exec_lo, exec_lo, s65
	s_and_saveexec_b32 s65, s92
	s_cbranch_execz .LBB41_623
; %bb.622:                              ;   in Loop: Header=BB41_3 Depth=1
	ds_load_b64 v[38:39], v3 offset:13000
	s_wait_dscnt 0x0
	v_mul_f64_e32 v[36:37], v[36:37], v[38:39]
	s_delay_alu instid0(VALU_DEP_1) | instskip(NEXT) | instid1(VALU_DEP_2)
	v_xor_b32_e32 v39, 0x80000000, v37
	v_mov_b32_e32 v38, v36
	ds_store_b64 v5, v[38:39]
.LBB41_623:                             ;   in Loop: Header=BB41_3 Depth=1
	s_or_b32 exec_lo, exec_lo, s65
	s_wait_loadcnt_dscnt 0x0
	s_barrier_signal -1
	s_barrier_wait -1
	s_and_saveexec_b32 s47, s93
	s_cbranch_execz .LBB41_625
; %bb.624:                              ;   in Loop: Header=BB41_3 Depth=1
	ds_load_b64 v[38:39], v3 offset:12992
	ds_load_b64 v[40:41], v5
	s_wait_dscnt 0x0
	v_fma_f64 v[36:37], -v[38:39], v[40:41], v[36:37]
.LBB41_625:                             ;   in Loop: Header=BB41_3 Depth=1
	s_or_b32 exec_lo, exec_lo, s47
	s_barrier_signal -1
	s_barrier_wait -1
	s_and_saveexec_b32 s65, s93
	s_cbranch_execz .LBB41_627
; %bb.626:                              ;   in Loop: Header=BB41_3 Depth=1
	ds_load_b64 v[38:39], v3 offset:12480
	s_wait_dscnt 0x0
	v_mul_f64_e32 v[36:37], v[36:37], v[38:39]
	s_delay_alu instid0(VALU_DEP_1) | instskip(NEXT) | instid1(VALU_DEP_2)
	v_xor_b32_e32 v39, 0x80000000, v37
	v_mov_b32_e32 v38, v36
	ds_store_b64 v5, v[38:39]
.LBB41_627:                             ;   in Loop: Header=BB41_3 Depth=1
	s_or_b32 exec_lo, exec_lo, s65
	s_wait_dscnt 0x0
	s_barrier_signal -1
	s_barrier_wait -1
	s_barrier_signal -1
	s_barrier_wait -1
	s_and_saveexec_b32 s47, s0
; %bb.628:                              ;   in Loop: Header=BB41_3 Depth=1
	ds_store_b64 v47, v[36:37] offset:14016
; %bb.629:                              ;   in Loop: Header=BB41_3 Depth=1
	s_or_b32 exec_lo, exec_lo, s47
	s_wait_dscnt 0x0
	s_barrier_signal -1
	s_barrier_wait -1
	s_barrier_signal -1
	s_barrier_wait -1
	s_and_saveexec_b32 s47, s94
	s_cbranch_execz .LBB41_631
; %bb.630:                              ;   in Loop: Header=BB41_3 Depth=1
	ds_load_b64 v[36:37], v70 offset:13504
	s_wait_dscnt 0x0
	ds_store_b64 v69, v[36:37] offset:12496
	ds_load_b64 v[36:37], v70 offset:13512
	s_wait_dscnt 0x0
	ds_store_b64 v69, v[36:37] offset:13008
.LBB41_631:                             ;   in Loop: Header=BB41_3 Depth=1
	s_or_b32 exec_lo, exec_lo, s47
	s_wait_dscnt 0x0
	s_barrier_signal -1
	s_barrier_wait -1
	s_and_saveexec_b32 s65, s14
	s_cbranch_execz .LBB41_633
; %bb.632:                              ;   in Loop: Header=BB41_3 Depth=1
	ds_load_b128 v[36:39], v3 offset:12992
	ds_load_b64 v[40:41], v3 offset:12480
	v_add_nc_u32_e64 v2, 0x3000, 0
	s_wait_dscnt 0x0
	v_mul_f64_e32 v[38:39], v[40:41], v[38:39]
	s_delay_alu instid0(VALU_DEP_1)
	v_mul_f64_e32 v[36:37], v[36:37], v[38:39]
	ds_store_2addr_b64 v2, v[36:37], v[36:37] offset0:25 offset1:88
.LBB41_633:                             ;   in Loop: Header=BB41_3 Depth=1
	s_or_b32 exec_lo, exec_lo, s65
	v_mov_b64_e32 v[36:37], 0
	s_wait_dscnt 0x0
	s_barrier_signal -1
	s_barrier_wait -1
	global_wb scope:SCOPE_DEV
	s_wait_storecnt 0x0
	global_inv scope:SCOPE_DEV
	s_and_saveexec_b32 s65, s3
	s_cbranch_execz .LBB41_643
; %bb.634:                              ;   in Loop: Header=BB41_3 Depth=1
	ds_load_b64 v[36:37], v55 offset:12416
	ds_load_b64 v[38:39], v54 offset:16064
	s_wait_dscnt 0x0
	v_fma_f64 v[36:37], v[36:37], v[38:39], 0
	s_and_saveexec_b32 s47, s18
	s_cbranch_execnz .LBB41_1127
; %bb.635:                              ;   in Loop: Header=BB41_3 Depth=1
	s_or_b32 exec_lo, exec_lo, s47
	s_and_saveexec_b32 s47, s19
	s_cbranch_execnz .LBB41_1128
.LBB41_636:                             ;   in Loop: Header=BB41_3 Depth=1
	s_or_b32 exec_lo, exec_lo, s47
	s_and_saveexec_b32 s47, s20
	s_cbranch_execnz .LBB41_1129
.LBB41_637:                             ;   in Loop: Header=BB41_3 Depth=1
	s_or_b32 exec_lo, exec_lo, s47
	s_and_saveexec_b32 s47, s21
	s_cbranch_execnz .LBB41_1130
.LBB41_638:                             ;   in Loop: Header=BB41_3 Depth=1
	s_or_b32 exec_lo, exec_lo, s47
	s_and_saveexec_b32 s47, s22
	s_cbranch_execnz .LBB41_1131
.LBB41_639:                             ;   in Loop: Header=BB41_3 Depth=1
	s_or_b32 exec_lo, exec_lo, s47
	s_and_saveexec_b32 s47, s2
	s_cbranch_execnz .LBB41_1132
.LBB41_640:                             ;   in Loop: Header=BB41_3 Depth=1
	s_or_b32 exec_lo, exec_lo, s47
	s_and_saveexec_b32 s47, s17
	s_cbranch_execz .LBB41_642
.LBB41_641:                             ;   in Loop: Header=BB41_3 Depth=1
	ds_load_b64 v[38:39], v71 offset:16000
	ds_load_b64 v[40:41], v3 offset:16120
	s_wait_dscnt 0x0
	v_fmac_f64_e32 v[36:37], v[38:39], v[40:41]
.LBB41_642:                             ;   in Loop: Header=BB41_3 Depth=1
	s_or_b32 exec_lo, exec_lo, s47
.LBB41_643:                             ;   in Loop: Header=BB41_3 Depth=1
	s_delay_alu instid0(SALU_CYCLE_1)
	s_or_b32 exec_lo, exec_lo, s65
	s_and_saveexec_b32 s65, s102
	s_cbranch_execz .LBB41_645
; %bb.644:                              ;   in Loop: Header=BB41_3 Depth=1
	ds_load_b64 v[38:39], v3 offset:11960
	s_wait_dscnt 0x0
	v_mul_f64_e32 v[36:37], v[36:37], v[38:39]
	s_delay_alu instid0(VALU_DEP_1) | instskip(NEXT) | instid1(VALU_DEP_2)
	v_xor_b32_e32 v39, 0x80000000, v37
	v_mov_b32_e32 v38, v36
	ds_store_b64 v53, v[38:39]
.LBB41_645:                             ;   in Loop: Header=BB41_3 Depth=1
	s_or_b32 exec_lo, exec_lo, s65
	s_wait_loadcnt_dscnt 0x0
	s_barrier_signal -1
	s_barrier_wait -1
	s_and_saveexec_b32 s47, s103
	s_cbranch_execz .LBB41_647
; %bb.646:                              ;   in Loop: Header=BB41_3 Depth=1
	ds_load_b64 v[38:39], v55 offset:11904
	ds_load_b64 v[40:41], v53
	s_wait_dscnt 0x0
	v_fma_f64 v[36:37], -v[38:39], v[40:41], v[36:37]
.LBB41_647:                             ;   in Loop: Header=BB41_3 Depth=1
	s_or_b32 exec_lo, exec_lo, s47
	s_barrier_signal -1
	s_barrier_wait -1
	s_and_saveexec_b32 s65, s104
	s_cbranch_execz .LBB41_649
; %bb.648:                              ;   in Loop: Header=BB41_3 Depth=1
	ds_load_b64 v[38:39], v3 offset:11440
	s_wait_dscnt 0x0
	v_mul_f64_e32 v[36:37], v[36:37], v[38:39]
	s_delay_alu instid0(VALU_DEP_1) | instskip(NEXT) | instid1(VALU_DEP_2)
	v_xor_b32_e32 v39, 0x80000000, v37
	v_mov_b32_e32 v38, v36
	ds_store_b64 v53, v[38:39]
.LBB41_649:                             ;   in Loop: Header=BB41_3 Depth=1
	s_or_b32 exec_lo, exec_lo, s65
	s_wait_dscnt 0x0
	s_barrier_signal -1
	s_barrier_wait -1
	s_and_saveexec_b32 s47, vcc_hi
	s_cbranch_execz .LBB41_651
; %bb.650:                              ;   in Loop: Header=BB41_3 Depth=1
	ds_load_b64 v[38:39], v55 offset:11392
	ds_load_b64 v[40:41], v53
	s_wait_dscnt 0x0
	v_fma_f64 v[36:37], -v[38:39], v[40:41], v[36:37]
.LBB41_651:                             ;   in Loop: Header=BB41_3 Depth=1
	s_or_b32 exec_lo, exec_lo, s47
	s_barrier_signal -1
	s_barrier_wait -1
	s_and_saveexec_b32 s65, s36
	s_cbranch_execz .LBB41_653
; %bb.652:                              ;   in Loop: Header=BB41_3 Depth=1
	ds_load_b64 v[38:39], v3 offset:10920
	s_wait_dscnt 0x0
	v_mul_f64_e32 v[36:37], v[36:37], v[38:39]
	s_delay_alu instid0(VALU_DEP_1) | instskip(NEXT) | instid1(VALU_DEP_2)
	v_xor_b32_e32 v39, 0x80000000, v37
	v_mov_b32_e32 v38, v36
	ds_store_b64 v53, v[38:39]
.LBB41_653:                             ;   in Loop: Header=BB41_3 Depth=1
	s_or_b32 exec_lo, exec_lo, s65
	s_wait_dscnt 0x0
	s_barrier_signal -1
	s_barrier_wait -1
	s_and_saveexec_b32 s47, s37
	s_cbranch_execz .LBB41_655
; %bb.654:                              ;   in Loop: Header=BB41_3 Depth=1
	ds_load_b64 v[38:39], v55 offset:10880
	ds_load_b64 v[40:41], v53
	s_wait_dscnt 0x0
	v_fma_f64 v[36:37], -v[38:39], v[40:41], v[36:37]
.LBB41_655:                             ;   in Loop: Header=BB41_3 Depth=1
	s_or_b32 exec_lo, exec_lo, s47
	s_barrier_signal -1
	s_barrier_wait -1
	s_and_saveexec_b32 s65, s38
	s_cbranch_execz .LBB41_657
; %bb.656:                              ;   in Loop: Header=BB41_3 Depth=1
	ds_load_b64 v[38:39], v3 offset:10400
	s_wait_dscnt 0x0
	v_mul_f64_e32 v[36:37], v[36:37], v[38:39]
	s_delay_alu instid0(VALU_DEP_1) | instskip(NEXT) | instid1(VALU_DEP_2)
	v_xor_b32_e32 v39, 0x80000000, v37
	v_mov_b32_e32 v38, v36
	ds_store_b64 v53, v[38:39]
.LBB41_657:                             ;   in Loop: Header=BB41_3 Depth=1
	s_or_b32 exec_lo, exec_lo, s65
	s_wait_dscnt 0x0
	s_barrier_signal -1
	s_barrier_wait -1
	s_and_saveexec_b32 s47, s39
	;; [unrolled: 26-line block ×5, first 2 shown]
	s_cbranch_execz .LBB41_671
; %bb.670:                              ;   in Loop: Header=BB41_3 Depth=1
	ds_load_b64 v[38:39], v3 offset:8832
	ds_load_b64 v[40:41], v53
	s_wait_dscnt 0x0
	v_fma_f64 v[36:37], -v[38:39], v[40:41], v[36:37]
.LBB41_671:                             ;   in Loop: Header=BB41_3 Depth=1
	s_or_b32 exec_lo, exec_lo, s47
	s_barrier_signal -1
	s_barrier_wait -1
	s_and_saveexec_b32 s65, s45
	s_cbranch_execz .LBB41_673
; %bb.672:                              ;   in Loop: Header=BB41_3 Depth=1
	ds_load_b64 v[38:39], v3 offset:8320
	s_wait_dscnt 0x0
	v_mul_f64_e32 v[36:37], v[36:37], v[38:39]
	s_delay_alu instid0(VALU_DEP_1) | instskip(NEXT) | instid1(VALU_DEP_2)
	v_xor_b32_e32 v39, 0x80000000, v37
	v_mov_b32_e32 v38, v36
	ds_store_b64 v53, v[38:39]
.LBB41_673:                             ;   in Loop: Header=BB41_3 Depth=1
	s_or_b32 exec_lo, exec_lo, s65
	s_wait_dscnt 0x0
	s_barrier_signal -1
	s_barrier_wait -1
	s_barrier_signal -1
	s_barrier_wait -1
	s_and_saveexec_b32 s47, s3
; %bb.674:                              ;   in Loop: Header=BB41_3 Depth=1
	ds_store_b64 v56, v[36:37] offset:16000
; %bb.675:                              ;   in Loop: Header=BB41_3 Depth=1
	s_or_b32 exec_lo, exec_lo, s47
	s_wait_dscnt 0x0
	s_barrier_signal -1
	s_barrier_wait -1
	s_barrier_signal -1
	s_barrier_wait -1
	s_and_saveexec_b32 s65, s46
	s_cbranch_execz .LBB41_677
; %bb.676:                              ;   in Loop: Header=BB41_3 Depth=1
	ds_load_b64 v[36:37], v72 offset:12416
	s_wait_dscnt 0x0
	ds_store_b64 v73, v[36:37] offset:8384
	ds_load_b64 v[36:37], v72 offset:12424
	s_wait_dscnt 0x0
	ds_store_b64 v73, v[36:37] offset:8896
	;; [unrolled: 3-line block ×8, first 2 shown]
.LBB41_677:                             ;   in Loop: Header=BB41_3 Depth=1
	s_or_b32 exec_lo, exec_lo, s65
	s_wait_dscnt 0x0
	s_barrier_signal -1
	s_barrier_wait -1
	s_and_saveexec_b32 s65, s14
	s_cbranch_execz .LBB41_679
; %bb.678:                              ;   in Loop: Header=BB41_3 Depth=1
	ds_load_b128 v[36:39], v3 offset:11952
	ds_load_b64 v[40:41], v3 offset:11440
	v_add_nc_u32_e64 v2, 0x2800, 0
	s_wait_dscnt 0x0
	v_mul_f64_e32 v[38:39], v[40:41], v[38:39]
	s_delay_alu instid0(VALU_DEP_1)
	v_mul_f64_e32 v[36:37], v[36:37], v[38:39]
	ds_store_2addr_b64 v2, v[36:37], v[36:37] offset0:151 offset1:214
.LBB41_679:                             ;   in Loop: Header=BB41_3 Depth=1
	s_or_b32 exec_lo, exec_lo, s65
	v_mov_b64_e32 v[36:37], 0
	s_wait_dscnt 0x0
	s_barrier_signal -1
	s_barrier_wait -1
	global_wb scope:SCOPE_DEV
	s_wait_storecnt 0x0
	global_inv scope:SCOPE_DEV
	s_and_saveexec_b32 s65, s0
	s_cbranch_execz .LBB41_683
; %bb.680:                              ;   in Loop: Header=BB41_3 Depth=1
	ds_load_b64 v[36:37], v45 offset:11424
	ds_load_b64 v[38:39], v44 offset:11952
	s_wait_dscnt 0x0
	v_fma_f64 v[36:37], v[36:37], v[38:39], 0
	s_and_saveexec_b32 s47, s15
	s_cbranch_execz .LBB41_682
; %bb.681:                              ;   in Loop: Header=BB41_3 Depth=1
	ds_load_b64 v[38:39], v73 offset:11936
	ds_load_b64 v[40:41], v3 offset:11960
	s_wait_dscnt 0x0
	v_fmac_f64_e32 v[36:37], v[38:39], v[40:41]
.LBB41_682:                             ;   in Loop: Header=BB41_3 Depth=1
	s_or_b32 exec_lo, exec_lo, s47
.LBB41_683:                             ;   in Loop: Header=BB41_3 Depth=1
	s_delay_alu instid0(SALU_CYCLE_1)
	s_or_b32 exec_lo, exec_lo, s65
	s_and_saveexec_b32 s65, s92
	s_cbranch_execz .LBB41_685
; %bb.684:                              ;   in Loop: Header=BB41_3 Depth=1
	ds_load_b64 v[38:39], v3 offset:10920
	s_wait_dscnt 0x0
	v_mul_f64_e32 v[36:37], v[36:37], v[38:39]
	s_delay_alu instid0(VALU_DEP_1) | instskip(NEXT) | instid1(VALU_DEP_2)
	v_xor_b32_e32 v39, 0x80000000, v37
	v_mov_b32_e32 v38, v36
	ds_store_b64 v5, v[38:39]
.LBB41_685:                             ;   in Loop: Header=BB41_3 Depth=1
	s_or_b32 exec_lo, exec_lo, s65
	s_wait_loadcnt_dscnt 0x0
	s_barrier_signal -1
	s_barrier_wait -1
	s_and_saveexec_b32 s47, s93
	s_cbranch_execz .LBB41_687
; %bb.686:                              ;   in Loop: Header=BB41_3 Depth=1
	ds_load_b64 v[38:39], v3 offset:10912
	ds_load_b64 v[40:41], v5
	s_wait_dscnt 0x0
	v_fma_f64 v[36:37], -v[38:39], v[40:41], v[36:37]
.LBB41_687:                             ;   in Loop: Header=BB41_3 Depth=1
	s_or_b32 exec_lo, exec_lo, s47
	s_barrier_signal -1
	s_barrier_wait -1
	s_and_saveexec_b32 s65, s93
	s_cbranch_execz .LBB41_689
; %bb.688:                              ;   in Loop: Header=BB41_3 Depth=1
	ds_load_b64 v[38:39], v3 offset:10400
	s_wait_dscnt 0x0
	v_mul_f64_e32 v[36:37], v[36:37], v[38:39]
	s_delay_alu instid0(VALU_DEP_1) | instskip(NEXT) | instid1(VALU_DEP_2)
	v_xor_b32_e32 v39, 0x80000000, v37
	v_mov_b32_e32 v38, v36
	ds_store_b64 v5, v[38:39]
.LBB41_689:                             ;   in Loop: Header=BB41_3 Depth=1
	s_or_b32 exec_lo, exec_lo, s65
	s_wait_dscnt 0x0
	s_barrier_signal -1
	s_barrier_wait -1
	s_barrier_signal -1
	s_barrier_wait -1
	s_and_saveexec_b32 s47, s0
; %bb.690:                              ;   in Loop: Header=BB41_3 Depth=1
	ds_store_b64 v47, v[36:37] offset:11936
; %bb.691:                              ;   in Loop: Header=BB41_3 Depth=1
	s_or_b32 exec_lo, exec_lo, s47
	s_wait_dscnt 0x0
	s_barrier_signal -1
	s_barrier_wait -1
	s_barrier_signal -1
	s_barrier_wait -1
	s_and_saveexec_b32 s47, s94
	s_cbranch_execz .LBB41_693
; %bb.692:                              ;   in Loop: Header=BB41_3 Depth=1
	ds_load_b64 v[36:37], v74 offset:11424
	s_wait_dscnt 0x0
	ds_store_b64 v73, v[36:37] offset:10416
	ds_load_b64 v[36:37], v74 offset:11432
	s_wait_dscnt 0x0
	ds_store_b64 v73, v[36:37] offset:10928
.LBB41_693:                             ;   in Loop: Header=BB41_3 Depth=1
	s_or_b32 exec_lo, exec_lo, s47
	s_wait_dscnt 0x0
	s_barrier_signal -1
	s_barrier_wait -1
	s_and_saveexec_b32 s65, s14
	s_cbranch_execz .LBB41_695
; %bb.694:                              ;   in Loop: Header=BB41_3 Depth=1
	ds_load_b128 v[36:39], v3 offset:10912
	ds_load_b64 v[40:41], v3 offset:10400
	v_add_nc_u32_e64 v2, 0x2800, 0
	s_wait_dscnt 0x0
	v_mul_f64_e32 v[38:39], v[40:41], v[38:39]
	s_delay_alu instid0(VALU_DEP_1)
	v_mul_f64_e32 v[36:37], v[36:37], v[38:39]
	ds_store_2addr_b64 v2, v[36:37], v[36:37] offset0:21 offset1:84
.LBB41_695:                             ;   in Loop: Header=BB41_3 Depth=1
	s_or_b32 exec_lo, exec_lo, s65
	v_mov_b64_e32 v[36:37], 0
	s_wait_dscnt 0x0
	s_barrier_signal -1
	s_barrier_wait -1
	global_wb scope:SCOPE_DEV
	s_wait_storecnt 0x0
	global_inv scope:SCOPE_DEV
	s_and_saveexec_b32 s65, s2
	s_cbranch_execz .LBB41_701
; %bb.696:                              ;   in Loop: Header=BB41_3 Depth=1
	ds_load_b64 v[36:37], v51 offset:10368
	ds_load_b64 v[38:39], v50 offset:11936
	s_wait_dscnt 0x0
	v_fma_f64 v[36:37], v[36:37], v[38:39], 0
	s_and_saveexec_b32 s47, s16
	s_cbranch_execnz .LBB41_1133
; %bb.697:                              ;   in Loop: Header=BB41_3 Depth=1
	s_or_b32 exec_lo, exec_lo, s47
	s_and_saveexec_b32 s47, s17
	s_cbranch_execnz .LBB41_1134
.LBB41_698:                             ;   in Loop: Header=BB41_3 Depth=1
	s_or_b32 exec_lo, exec_lo, s47
	s_and_saveexec_b32 s47, s0
	s_cbranch_execz .LBB41_700
.LBB41_699:                             ;   in Loop: Header=BB41_3 Depth=1
	ds_load_b64 v[38:39], v75 offset:11904
	ds_load_b64 v[40:41], v3 offset:11960
	s_wait_dscnt 0x0
	v_fmac_f64_e32 v[36:37], v[38:39], v[40:41]
.LBB41_700:                             ;   in Loop: Header=BB41_3 Depth=1
	s_or_b32 exec_lo, exec_lo, s47
.LBB41_701:                             ;   in Loop: Header=BB41_3 Depth=1
	s_delay_alu instid0(SALU_CYCLE_1)
	s_or_b32 exec_lo, exec_lo, s65
	s_and_saveexec_b32 s65, s95
	s_cbranch_execz .LBB41_703
; %bb.702:                              ;   in Loop: Header=BB41_3 Depth=1
	ds_load_b64 v[38:39], v3 offset:9880
	s_wait_dscnt 0x0
	v_mul_f64_e32 v[36:37], v[36:37], v[38:39]
	s_delay_alu instid0(VALU_DEP_1) | instskip(NEXT) | instid1(VALU_DEP_2)
	v_xor_b32_e32 v39, 0x80000000, v37
	v_mov_b32_e32 v38, v36
	ds_store_b64 v49, v[38:39]
.LBB41_703:                             ;   in Loop: Header=BB41_3 Depth=1
	s_or_b32 exec_lo, exec_lo, s65
	s_wait_loadcnt_dscnt 0x0
	s_barrier_signal -1
	s_barrier_wait -1
	s_and_saveexec_b32 s47, s96
	s_cbranch_execz .LBB41_705
; %bb.704:                              ;   in Loop: Header=BB41_3 Depth=1
	ds_load_b64 v[38:39], v51 offset:9856
	ds_load_b64 v[40:41], v49
	s_wait_dscnt 0x0
	v_fma_f64 v[36:37], -v[38:39], v[40:41], v[36:37]
.LBB41_705:                             ;   in Loop: Header=BB41_3 Depth=1
	s_or_b32 exec_lo, exec_lo, s47
	s_barrier_signal -1
	s_barrier_wait -1
	s_and_saveexec_b32 s65, s97
	s_cbranch_execz .LBB41_707
; %bb.706:                              ;   in Loop: Header=BB41_3 Depth=1
	ds_load_b64 v[38:39], v3 offset:9360
	s_wait_dscnt 0x0
	v_mul_f64_e32 v[36:37], v[36:37], v[38:39]
	s_delay_alu instid0(VALU_DEP_1) | instskip(NEXT) | instid1(VALU_DEP_2)
	v_xor_b32_e32 v39, 0x80000000, v37
	v_mov_b32_e32 v38, v36
	ds_store_b64 v49, v[38:39]
.LBB41_707:                             ;   in Loop: Header=BB41_3 Depth=1
	s_or_b32 exec_lo, exec_lo, s65
	s_wait_dscnt 0x0
	s_barrier_signal -1
	s_barrier_wait -1
	s_and_saveexec_b32 s47, s98
	s_cbranch_execz .LBB41_709
; %bb.708:                              ;   in Loop: Header=BB41_3 Depth=1
	ds_load_b64 v[38:39], v51 offset:9344
	ds_load_b64 v[40:41], v49
	s_wait_dscnt 0x0
	v_fma_f64 v[36:37], -v[38:39], v[40:41], v[36:37]
.LBB41_709:                             ;   in Loop: Header=BB41_3 Depth=1
	s_or_b32 exec_lo, exec_lo, s47
	s_barrier_signal -1
	s_barrier_wait -1
	s_and_saveexec_b32 s65, s99
	s_cbranch_execz .LBB41_711
; %bb.710:                              ;   in Loop: Header=BB41_3 Depth=1
	ds_load_b64 v[38:39], v3 offset:8840
	s_wait_dscnt 0x0
	v_mul_f64_e32 v[36:37], v[36:37], v[38:39]
	s_delay_alu instid0(VALU_DEP_1) | instskip(NEXT) | instid1(VALU_DEP_2)
	v_xor_b32_e32 v39, 0x80000000, v37
	v_mov_b32_e32 v38, v36
	ds_store_b64 v49, v[38:39]
.LBB41_711:                             ;   in Loop: Header=BB41_3 Depth=1
	s_or_b32 exec_lo, exec_lo, s65
	s_wait_dscnt 0x0
	;; [unrolled: 26-line block ×3, first 2 shown]
	s_barrier_signal -1
	s_barrier_wait -1
	s_barrier_signal -1
	s_barrier_wait -1
	s_and_saveexec_b32 s47, s2
; %bb.716:                              ;   in Loop: Header=BB41_3 Depth=1
	ds_store_b64 v52, v[36:37] offset:11904
; %bb.717:                              ;   in Loop: Header=BB41_3 Depth=1
	s_or_b32 exec_lo, exec_lo, s47
	s_wait_dscnt 0x0
	s_barrier_signal -1
	s_barrier_wait -1
	s_barrier_signal -1
	s_barrier_wait -1
	s_and_saveexec_b32 s65, s101
	s_cbranch_execz .LBB41_719
; %bb.718:                              ;   in Loop: Header=BB41_3 Depth=1
	ds_load_b64 v[36:37], v79 offset:10368
	s_wait_dscnt 0x0
	ds_store_b64 v82, v[36:37] offset:8352
	ds_load_b64 v[36:37], v79 offset:10376
	s_wait_dscnt 0x0
	ds_store_b64 v82, v[36:37] offset:8864
	;; [unrolled: 3-line block ×4, first 2 shown]
.LBB41_719:                             ;   in Loop: Header=BB41_3 Depth=1
	s_or_b32 exec_lo, exec_lo, s65
	s_wait_dscnt 0x0
	s_barrier_signal -1
	s_barrier_wait -1
	s_and_saveexec_b32 s65, s14
	s_cbranch_execz .LBB41_721
; %bb.720:                              ;   in Loop: Header=BB41_3 Depth=1
	ds_load_b128 v[36:39], v3 offset:9872
	ds_load_b64 v[40:41], v3 offset:9360
	v_add_nc_u32_e64 v2, 0x2000, 0
	s_wait_dscnt 0x0
	v_mul_f64_e32 v[38:39], v[40:41], v[38:39]
	s_delay_alu instid0(VALU_DEP_1)
	v_mul_f64_e32 v[36:37], v[36:37], v[38:39]
	ds_store_2addr_b64 v2, v[36:37], v[36:37] offset0:147 offset1:210
.LBB41_721:                             ;   in Loop: Header=BB41_3 Depth=1
	s_or_b32 exec_lo, exec_lo, s65
	v_mov_b64_e32 v[36:37], 0
	s_wait_dscnt 0x0
	s_barrier_signal -1
	s_barrier_wait -1
	global_wb scope:SCOPE_DEV
	s_wait_storecnt 0x0
	global_inv scope:SCOPE_DEV
	s_and_saveexec_b32 s65, s0
	s_cbranch_execz .LBB41_725
; %bb.722:                              ;   in Loop: Header=BB41_3 Depth=1
	ds_load_b64 v[36:37], v45 offset:9344
	ds_load_b64 v[38:39], v44 offset:9872
	s_wait_dscnt 0x0
	v_fma_f64 v[36:37], v[36:37], v[38:39], 0
	s_and_saveexec_b32 s47, s15
	s_cbranch_execz .LBB41_724
; %bb.723:                              ;   in Loop: Header=BB41_3 Depth=1
	ds_load_b64 v[38:39], v82 offset:9856
	ds_load_b64 v[40:41], v3 offset:9880
	s_wait_dscnt 0x0
	v_fmac_f64_e32 v[36:37], v[38:39], v[40:41]
.LBB41_724:                             ;   in Loop: Header=BB41_3 Depth=1
	s_or_b32 exec_lo, exec_lo, s47
.LBB41_725:                             ;   in Loop: Header=BB41_3 Depth=1
	s_delay_alu instid0(SALU_CYCLE_1)
	s_or_b32 exec_lo, exec_lo, s65
	s_and_saveexec_b32 s65, s92
	s_cbranch_execz .LBB41_727
; %bb.726:                              ;   in Loop: Header=BB41_3 Depth=1
	ds_load_b64 v[38:39], v3 offset:8840
	s_wait_dscnt 0x0
	v_mul_f64_e32 v[36:37], v[36:37], v[38:39]
	s_delay_alu instid0(VALU_DEP_1) | instskip(NEXT) | instid1(VALU_DEP_2)
	v_xor_b32_e32 v39, 0x80000000, v37
	v_mov_b32_e32 v38, v36
	ds_store_b64 v5, v[38:39]
.LBB41_727:                             ;   in Loop: Header=BB41_3 Depth=1
	s_or_b32 exec_lo, exec_lo, s65
	s_wait_loadcnt_dscnt 0x0
	s_barrier_signal -1
	s_barrier_wait -1
	s_and_saveexec_b32 s47, s93
	s_cbranch_execz .LBB41_729
; %bb.728:                              ;   in Loop: Header=BB41_3 Depth=1
	ds_load_b64 v[38:39], v3 offset:8832
	ds_load_b64 v[40:41], v5
	s_wait_dscnt 0x0
	v_fma_f64 v[36:37], -v[38:39], v[40:41], v[36:37]
.LBB41_729:                             ;   in Loop: Header=BB41_3 Depth=1
	s_or_b32 exec_lo, exec_lo, s47
	s_barrier_signal -1
	s_barrier_wait -1
	s_and_saveexec_b32 s65, s93
	s_cbranch_execz .LBB41_731
; %bb.730:                              ;   in Loop: Header=BB41_3 Depth=1
	ds_load_b64 v[38:39], v3 offset:8320
	s_wait_dscnt 0x0
	v_mul_f64_e32 v[36:37], v[36:37], v[38:39]
	s_delay_alu instid0(VALU_DEP_1) | instskip(NEXT) | instid1(VALU_DEP_2)
	v_xor_b32_e32 v39, 0x80000000, v37
	v_mov_b32_e32 v38, v36
	ds_store_b64 v5, v[38:39]
.LBB41_731:                             ;   in Loop: Header=BB41_3 Depth=1
	s_or_b32 exec_lo, exec_lo, s65
	s_wait_dscnt 0x0
	s_barrier_signal -1
	s_barrier_wait -1
	s_barrier_signal -1
	s_barrier_wait -1
	s_and_saveexec_b32 s47, s0
; %bb.732:                              ;   in Loop: Header=BB41_3 Depth=1
	ds_store_b64 v47, v[36:37] offset:9856
; %bb.733:                              ;   in Loop: Header=BB41_3 Depth=1
	s_or_b32 exec_lo, exec_lo, s47
	s_wait_dscnt 0x0
	s_barrier_signal -1
	s_barrier_wait -1
	s_barrier_signal -1
	s_barrier_wait -1
	s_and_saveexec_b32 s47, s94
	s_cbranch_execz .LBB41_735
; %bb.734:                              ;   in Loop: Header=BB41_3 Depth=1
	ds_load_b64 v[36:37], v83 offset:9344
	s_wait_dscnt 0x0
	ds_store_b64 v82, v[36:37] offset:8336
	ds_load_b64 v[36:37], v83 offset:9352
	s_wait_dscnt 0x0
	ds_store_b64 v82, v[36:37] offset:8848
.LBB41_735:                             ;   in Loop: Header=BB41_3 Depth=1
	s_or_b32 exec_lo, exec_lo, s47
	s_wait_dscnt 0x0
	s_barrier_signal -1
	s_barrier_wait -1
	s_and_saveexec_b32 s65, s14
	s_cbranch_execz .LBB41_737
; %bb.736:                              ;   in Loop: Header=BB41_3 Depth=1
	ds_load_b128 v[36:39], v3 offset:8832
	ds_load_b64 v[40:41], v3 offset:8320
	v_add_nc_u32_e64 v2, 0x2000, 0
	s_wait_dscnt 0x0
	v_mul_f64_e32 v[38:39], v[40:41], v[38:39]
	s_delay_alu instid0(VALU_DEP_1)
	v_mul_f64_e32 v[36:37], v[36:37], v[38:39]
	ds_store_2addr_b64 v2, v[36:37], v[36:37] offset0:17 offset1:80
.LBB41_737:                             ;   in Loop: Header=BB41_3 Depth=1
	s_or_b32 exec_lo, exec_lo, s65
	v_mov_b64_e32 v[36:37], 0
	s_wait_dscnt 0x0
	s_barrier_signal -1
	s_barrier_wait -1
	global_wb scope:SCOPE_DEV
	s_wait_storecnt 0x0
	global_inv scope:SCOPE_DEV
	s_and_saveexec_b32 s65, s4
	s_cbranch_execz .LBB41_765
; %bb.738:                              ;   in Loop: Header=BB41_3 Depth=1
	ds_load_b64 v[36:37], v59 offset:8192
	ds_load_b64 v[38:39], v58 offset:16000
	s_wait_dscnt 0x0
	v_fma_f64 v[36:37], v[36:37], v[38:39], 0
	s_mov_b32 s47, exec_lo
	v_readlane_b32 s82, v97, 25
	s_and_b32 s82, s47, s82
	s_delay_alu instid0(SALU_CYCLE_1)
	s_mov_b32 exec_lo, s82
	s_cbranch_execz .LBB41_740
; %bb.739:                              ;   in Loop: Header=BB41_3 Depth=1
	ds_load_b64 v[38:39], v59 offset:8704
	ds_load_b64 v[40:41], v58 offset:16008
	s_wait_dscnt 0x0
	v_fmac_f64_e32 v[36:37], v[38:39], v[40:41]
.LBB41_740:                             ;   in Loop: Header=BB41_3 Depth=1
	s_or_b32 exec_lo, exec_lo, s47
	s_delay_alu instid0(SALU_CYCLE_1) | instskip(SKIP_2) | instid1(SALU_CYCLE_1)
	s_mov_b32 s47, exec_lo
	v_readlane_b32 s82, v97, 26
	s_and_b32 s82, s47, s82
	s_mov_b32 exec_lo, s82
	s_cbranch_execz .LBB41_742
; %bb.741:                              ;   in Loop: Header=BB41_3 Depth=1
	ds_load_b64 v[38:39], v59 offset:9216
	ds_load_b64 v[40:41], v58 offset:16016
	s_wait_dscnt 0x0
	v_fmac_f64_e32 v[36:37], v[38:39], v[40:41]
.LBB41_742:                             ;   in Loop: Header=BB41_3 Depth=1
	s_or_b32 exec_lo, exec_lo, s47
	s_delay_alu instid0(SALU_CYCLE_1) | instskip(SKIP_2) | instid1(SALU_CYCLE_1)
	s_mov_b32 s47, exec_lo
	v_readlane_b32 s82, v97, 27
	s_and_b32 s82, s47, s82
	;; [unrolled: 13-line block ×10, first 2 shown]
	s_mov_b32 exec_lo, s82
	s_cbranch_execnz .LBB41_1135
; %bb.759:                              ;   in Loop: Header=BB41_3 Depth=1
	s_or_b32 exec_lo, exec_lo, s47
	s_and_saveexec_b32 s47, s3
	s_cbranch_execnz .LBB41_1136
.LBB41_760:                             ;   in Loop: Header=BB41_3 Depth=1
	s_or_b32 exec_lo, exec_lo, s47
	s_and_saveexec_b32 s47, s19
	s_cbranch_execnz .LBB41_1137
.LBB41_761:                             ;   in Loop: Header=BB41_3 Depth=1
	s_or_b32 exec_lo, exec_lo, s47
	s_and_saveexec_b32 s47, s21
	s_cbranch_execnz .LBB41_1138
.LBB41_762:                             ;   in Loop: Header=BB41_3 Depth=1
	s_or_b32 exec_lo, exec_lo, s47
	s_and_saveexec_b32 s47, s2
	s_cbranch_execz .LBB41_764
.LBB41_763:                             ;   in Loop: Header=BB41_3 Depth=1
	ds_load_b64 v[38:39], v46 offset:15872
	ds_load_b64 v[40:41], v3 offset:16120
	s_wait_dscnt 0x0
	v_fmac_f64_e32 v[36:37], v[38:39], v[40:41]
.LBB41_764:                             ;   in Loop: Header=BB41_3 Depth=1
	s_or_b32 exec_lo, exec_lo, s47
.LBB41_765:                             ;   in Loop: Header=BB41_3 Depth=1
	s_delay_alu instid0(SALU_CYCLE_1) | instskip(NEXT) | instid1(SALU_CYCLE_1)
	s_or_b32 exec_lo, exec_lo, s65
	s_mov_b32 s65, exec_lo
	v_readlane_b32 s47, v97, 6
	s_and_b32 s47, s65, s47
	s_delay_alu instid0(SALU_CYCLE_1)
	s_mov_b32 exec_lo, s47
	s_cbranch_execz .LBB41_767
; %bb.766:                              ;   in Loop: Header=BB41_3 Depth=1
	ds_load_b64 v[38:39], v3 offset:7800
	s_wait_dscnt 0x0
	v_mul_f64_e32 v[36:37], v[36:37], v[38:39]
	s_delay_alu instid0(VALU_DEP_1) | instskip(NEXT) | instid1(VALU_DEP_2)
	v_xor_b32_e32 v39, 0x80000000, v37
	v_mov_b32_e32 v38, v36
	ds_store_b64 v57, v[38:39]
.LBB41_767:                             ;   in Loop: Header=BB41_3 Depth=1
	s_or_b32 exec_lo, exec_lo, s65
	s_wait_loadcnt_dscnt 0x0
	s_barrier_signal -1
	s_barrier_wait -1
	s_and_saveexec_b32 s47, s48
	s_cbranch_execz .LBB41_769
; %bb.768:                              ;   in Loop: Header=BB41_3 Depth=1
	ds_load_b64 v[38:39], v59 offset:7680
	ds_load_b64 v[40:41], v57
	s_wait_dscnt 0x0
	v_fma_f64 v[36:37], -v[38:39], v[40:41], v[36:37]
.LBB41_769:                             ;   in Loop: Header=BB41_3 Depth=1
	s_or_b32 exec_lo, exec_lo, s47
	s_barrier_signal -1
	s_barrier_wait -1
	s_and_saveexec_b32 s65, s49
	s_cbranch_execz .LBB41_771
; %bb.770:                              ;   in Loop: Header=BB41_3 Depth=1
	ds_load_b64 v[38:39], v3 offset:7280
	s_wait_dscnt 0x0
	v_mul_f64_e32 v[36:37], v[36:37], v[38:39]
	s_delay_alu instid0(VALU_DEP_1) | instskip(NEXT) | instid1(VALU_DEP_2)
	v_xor_b32_e32 v39, 0x80000000, v37
	v_mov_b32_e32 v38, v36
	ds_store_b64 v57, v[38:39]
.LBB41_771:                             ;   in Loop: Header=BB41_3 Depth=1
	s_or_b32 exec_lo, exec_lo, s65
	s_wait_dscnt 0x0
	s_barrier_signal -1
	s_barrier_wait -1
	s_and_saveexec_b32 s47, s50
	s_cbranch_execz .LBB41_773
; %bb.772:                              ;   in Loop: Header=BB41_3 Depth=1
	ds_load_b64 v[38:39], v59 offset:7168
	ds_load_b64 v[40:41], v57
	s_wait_dscnt 0x0
	v_fma_f64 v[36:37], -v[38:39], v[40:41], v[36:37]
.LBB41_773:                             ;   in Loop: Header=BB41_3 Depth=1
	s_or_b32 exec_lo, exec_lo, s47
	s_barrier_signal -1
	s_barrier_wait -1
	s_and_saveexec_b32 s65, s51
	s_cbranch_execz .LBB41_775
; %bb.774:                              ;   in Loop: Header=BB41_3 Depth=1
	ds_load_b64 v[38:39], v3 offset:6760
	s_wait_dscnt 0x0
	v_mul_f64_e32 v[36:37], v[36:37], v[38:39]
	s_delay_alu instid0(VALU_DEP_1) | instskip(NEXT) | instid1(VALU_DEP_2)
	v_xor_b32_e32 v39, 0x80000000, v37
	v_mov_b32_e32 v38, v36
	ds_store_b64 v57, v[38:39]
.LBB41_775:                             ;   in Loop: Header=BB41_3 Depth=1
	s_or_b32 exec_lo, exec_lo, s65
	s_wait_dscnt 0x0
	;; [unrolled: 26-line block ×14, first 2 shown]
	s_barrier_signal -1
	s_barrier_wait -1
	s_and_saveexec_b32 s47, s73
	s_cbranch_execz .LBB41_825
; %bb.824:                              ;   in Loop: Header=BB41_3 Depth=1
	ds_load_b64 v[38:39], v3 offset:512
	ds_load_b64 v[40:41], v57
	s_wait_dscnt 0x0
	v_fma_f64 v[36:37], -v[38:39], v[40:41], v[36:37]
.LBB41_825:                             ;   in Loop: Header=BB41_3 Depth=1
	s_or_b32 exec_lo, exec_lo, s47
	s_barrier_signal -1
	s_barrier_wait -1
	s_and_saveexec_b32 s65, s73
	s_cbranch_execz .LBB41_827
; %bb.826:                              ;   in Loop: Header=BB41_3 Depth=1
	ds_load_b64 v[38:39], v3
	s_wait_dscnt 0x0
	v_mul_f64_e32 v[36:37], v[36:37], v[38:39]
	s_delay_alu instid0(VALU_DEP_1) | instskip(NEXT) | instid1(VALU_DEP_2)
	v_xor_b32_e32 v39, 0x80000000, v37
	v_mov_b32_e32 v38, v36
	ds_store_b64 v57, v[38:39]
.LBB41_827:                             ;   in Loop: Header=BB41_3 Depth=1
	s_or_b32 exec_lo, exec_lo, s65
	s_wait_dscnt 0x0
	s_barrier_signal -1
	s_barrier_wait -1
	s_barrier_signal -1
	s_barrier_wait -1
	s_and_saveexec_b32 s47, s4
; %bb.828:                              ;   in Loop: Header=BB41_3 Depth=1
	ds_store_b64 v60, v[36:37] offset:15872
; %bb.829:                              ;   in Loop: Header=BB41_3 Depth=1
	s_or_b32 exec_lo, exec_lo, s47
	s_wait_dscnt 0x0
	s_barrier_signal -1
	s_barrier_wait -1
	s_barrier_signal -1
	s_barrier_wait -1
	s_and_saveexec_b32 s65, s10
	s_cbranch_execz .LBB41_831
; %bb.830:                              ;   in Loop: Header=BB41_3 Depth=1
	ds_load_b64 v[36:37], v48 offset:8192
	s_wait_dscnt 0x0
	ds_store_b64 v65, v[36:37] offset:128
	ds_load_b64 v[36:37], v48 offset:8200
	s_wait_dscnt 0x0
	ds_store_b64 v65, v[36:37] offset:640
	;; [unrolled: 3-line block ×16, first 2 shown]
.LBB41_831:                             ;   in Loop: Header=BB41_3 Depth=1
	s_or_b32 exec_lo, exec_lo, s65
	s_wait_dscnt 0x0
	s_barrier_signal -1
	s_barrier_wait -1
	s_and_saveexec_b32 s65, s14
	s_cbranch_execz .LBB41_833
; %bb.832:                              ;   in Loop: Header=BB41_3 Depth=1
	ds_load_b128 v[36:39], v3 offset:7792
	ds_load_b64 v[40:41], v3 offset:7280
	v_add_nc_u32_e64 v2, 0x1800, 0
	s_wait_dscnt 0x0
	v_mul_f64_e32 v[38:39], v[40:41], v[38:39]
	s_delay_alu instid0(VALU_DEP_1)
	v_mul_f64_e32 v[36:37], v[36:37], v[38:39]
	ds_store_2addr_b64 v2, v[36:37], v[36:37] offset0:143 offset1:206
.LBB41_833:                             ;   in Loop: Header=BB41_3 Depth=1
	s_or_b32 exec_lo, exec_lo, s65
	v_mov_b64_e32 v[36:37], 0
	s_wait_dscnt 0x0
	s_barrier_signal -1
	s_barrier_wait -1
	global_wb scope:SCOPE_DEV
	s_wait_storecnt 0x0
	global_inv scope:SCOPE_DEV
	s_and_saveexec_b32 s65, s0
	s_cbranch_execz .LBB41_837
; %bb.834:                              ;   in Loop: Header=BB41_3 Depth=1
	ds_load_b64 v[36:37], v45 offset:7264
	ds_load_b64 v[38:39], v44 offset:7792
	s_wait_dscnt 0x0
	v_fma_f64 v[36:37], v[36:37], v[38:39], 0
	s_and_saveexec_b32 s47, s15
	s_cbranch_execz .LBB41_836
; %bb.835:                              ;   in Loop: Header=BB41_3 Depth=1
	ds_load_b64 v[38:39], v46 offset:7776
	ds_load_b64 v[40:41], v3 offset:7800
	s_wait_dscnt 0x0
	v_fmac_f64_e32 v[36:37], v[38:39], v[40:41]
.LBB41_836:                             ;   in Loop: Header=BB41_3 Depth=1
	s_or_b32 exec_lo, exec_lo, s47
.LBB41_837:                             ;   in Loop: Header=BB41_3 Depth=1
	s_delay_alu instid0(SALU_CYCLE_1)
	s_or_b32 exec_lo, exec_lo, s65
	s_and_saveexec_b32 s65, s92
	s_cbranch_execz .LBB41_839
; %bb.838:                              ;   in Loop: Header=BB41_3 Depth=1
	ds_load_b64 v[38:39], v3 offset:6760
	s_wait_dscnt 0x0
	v_mul_f64_e32 v[36:37], v[36:37], v[38:39]
	s_delay_alu instid0(VALU_DEP_1) | instskip(NEXT) | instid1(VALU_DEP_2)
	v_xor_b32_e32 v39, 0x80000000, v37
	v_mov_b32_e32 v38, v36
	ds_store_b64 v5, v[38:39]
.LBB41_839:                             ;   in Loop: Header=BB41_3 Depth=1
	s_or_b32 exec_lo, exec_lo, s65
	s_wait_loadcnt_dscnt 0x0
	s_barrier_signal -1
	s_barrier_wait -1
	s_and_saveexec_b32 s47, s93
	s_cbranch_execz .LBB41_841
; %bb.840:                              ;   in Loop: Header=BB41_3 Depth=1
	ds_load_b64 v[38:39], v3 offset:6752
	ds_load_b64 v[40:41], v5
	s_wait_dscnt 0x0
	v_fma_f64 v[36:37], -v[38:39], v[40:41], v[36:37]
.LBB41_841:                             ;   in Loop: Header=BB41_3 Depth=1
	s_or_b32 exec_lo, exec_lo, s47
	s_barrier_signal -1
	s_barrier_wait -1
	s_and_saveexec_b32 s65, s93
	s_cbranch_execz .LBB41_843
; %bb.842:                              ;   in Loop: Header=BB41_3 Depth=1
	ds_load_b64 v[38:39], v3 offset:6240
	s_wait_dscnt 0x0
	v_mul_f64_e32 v[36:37], v[36:37], v[38:39]
	s_delay_alu instid0(VALU_DEP_1) | instskip(NEXT) | instid1(VALU_DEP_2)
	v_xor_b32_e32 v39, 0x80000000, v37
	v_mov_b32_e32 v38, v36
	ds_store_b64 v5, v[38:39]
.LBB41_843:                             ;   in Loop: Header=BB41_3 Depth=1
	s_or_b32 exec_lo, exec_lo, s65
	s_wait_dscnt 0x0
	s_barrier_signal -1
	s_barrier_wait -1
	s_barrier_signal -1
	s_barrier_wait -1
	s_and_saveexec_b32 s47, s0
; %bb.844:                              ;   in Loop: Header=BB41_3 Depth=1
	ds_store_b64 v47, v[36:37] offset:7776
; %bb.845:                              ;   in Loop: Header=BB41_3 Depth=1
	s_or_b32 exec_lo, exec_lo, s47
	s_wait_dscnt 0x0
	s_barrier_signal -1
	s_barrier_wait -1
	s_barrier_signal -1
	s_barrier_wait -1
	s_and_saveexec_b32 s47, s94
	s_cbranch_execz .LBB41_847
; %bb.846:                              ;   in Loop: Header=BB41_3 Depth=1
	ds_load_b64 v[36:37], v48 offset:7264
	s_wait_dscnt 0x0
	ds_store_b64 v46, v[36:37] offset:6256
	ds_load_b64 v[36:37], v48 offset:7272
	s_wait_dscnt 0x0
	ds_store_b64 v46, v[36:37] offset:6768
.LBB41_847:                             ;   in Loop: Header=BB41_3 Depth=1
	s_or_b32 exec_lo, exec_lo, s47
	s_wait_dscnt 0x0
	s_barrier_signal -1
	s_barrier_wait -1
	s_and_saveexec_b32 s65, s14
	s_cbranch_execz .LBB41_849
; %bb.848:                              ;   in Loop: Header=BB41_3 Depth=1
	ds_load_b128 v[36:39], v3 offset:6752
	ds_load_b64 v[40:41], v3 offset:6240
	v_add_nc_u32_e64 v2, 0x1800, 0
	s_wait_dscnt 0x0
	v_mul_f64_e32 v[38:39], v[40:41], v[38:39]
	s_delay_alu instid0(VALU_DEP_1)
	v_mul_f64_e32 v[36:37], v[36:37], v[38:39]
	ds_store_2addr_b64 v2, v[36:37], v[36:37] offset0:13 offset1:76
.LBB41_849:                             ;   in Loop: Header=BB41_3 Depth=1
	s_or_b32 exec_lo, exec_lo, s65
	v_mov_b64_e32 v[36:37], 0
	s_wait_dscnt 0x0
	s_barrier_signal -1
	s_barrier_wait -1
	global_wb scope:SCOPE_DEV
	s_wait_storecnt 0x0
	global_inv scope:SCOPE_DEV
	s_and_saveexec_b32 s65, s2
	s_cbranch_execz .LBB41_855
; %bb.850:                              ;   in Loop: Header=BB41_3 Depth=1
	ds_load_b64 v[36:37], v51 offset:6208
	ds_load_b64 v[38:39], v50 offset:7776
	s_wait_dscnt 0x0
	v_fma_f64 v[36:37], v[36:37], v[38:39], 0
	s_and_saveexec_b32 s47, s16
	s_cbranch_execnz .LBB41_1139
; %bb.851:                              ;   in Loop: Header=BB41_3 Depth=1
	s_or_b32 exec_lo, exec_lo, s47
	s_and_saveexec_b32 s47, s17
	s_cbranch_execnz .LBB41_1140
.LBB41_852:                             ;   in Loop: Header=BB41_3 Depth=1
	s_or_b32 exec_lo, exec_lo, s47
	s_and_saveexec_b32 s47, s0
	s_cbranch_execz .LBB41_854
.LBB41_853:                             ;   in Loop: Header=BB41_3 Depth=1
	ds_load_b64 v[38:39], v65 offset:7744
	ds_load_b64 v[40:41], v3 offset:7800
	s_wait_dscnt 0x0
	v_fmac_f64_e32 v[36:37], v[38:39], v[40:41]
.LBB41_854:                             ;   in Loop: Header=BB41_3 Depth=1
	s_or_b32 exec_lo, exec_lo, s47
.LBB41_855:                             ;   in Loop: Header=BB41_3 Depth=1
	s_delay_alu instid0(SALU_CYCLE_1)
	s_or_b32 exec_lo, exec_lo, s65
	s_and_saveexec_b32 s65, s95
	s_cbranch_execz .LBB41_857
; %bb.856:                              ;   in Loop: Header=BB41_3 Depth=1
	ds_load_b64 v[38:39], v3 offset:5720
	s_wait_dscnt 0x0
	v_mul_f64_e32 v[36:37], v[36:37], v[38:39]
	s_delay_alu instid0(VALU_DEP_1) | instskip(NEXT) | instid1(VALU_DEP_2)
	v_xor_b32_e32 v39, 0x80000000, v37
	v_mov_b32_e32 v38, v36
	ds_store_b64 v49, v[38:39]
.LBB41_857:                             ;   in Loop: Header=BB41_3 Depth=1
	s_or_b32 exec_lo, exec_lo, s65
	s_wait_loadcnt_dscnt 0x0
	s_barrier_signal -1
	s_barrier_wait -1
	s_and_saveexec_b32 s47, s96
	s_cbranch_execz .LBB41_859
; %bb.858:                              ;   in Loop: Header=BB41_3 Depth=1
	ds_load_b64 v[38:39], v51 offset:5696
	ds_load_b64 v[40:41], v49
	s_wait_dscnt 0x0
	v_fma_f64 v[36:37], -v[38:39], v[40:41], v[36:37]
.LBB41_859:                             ;   in Loop: Header=BB41_3 Depth=1
	s_or_b32 exec_lo, exec_lo, s47
	s_barrier_signal -1
	s_barrier_wait -1
	s_and_saveexec_b32 s65, s97
	s_cbranch_execz .LBB41_861
; %bb.860:                              ;   in Loop: Header=BB41_3 Depth=1
	ds_load_b64 v[38:39], v3 offset:5200
	s_wait_dscnt 0x0
	v_mul_f64_e32 v[36:37], v[36:37], v[38:39]
	s_delay_alu instid0(VALU_DEP_1) | instskip(NEXT) | instid1(VALU_DEP_2)
	v_xor_b32_e32 v39, 0x80000000, v37
	v_mov_b32_e32 v38, v36
	ds_store_b64 v49, v[38:39]
.LBB41_861:                             ;   in Loop: Header=BB41_3 Depth=1
	s_or_b32 exec_lo, exec_lo, s65
	s_wait_dscnt 0x0
	s_barrier_signal -1
	s_barrier_wait -1
	s_and_saveexec_b32 s47, s98
	s_cbranch_execz .LBB41_863
; %bb.862:                              ;   in Loop: Header=BB41_3 Depth=1
	ds_load_b64 v[38:39], v51 offset:5184
	ds_load_b64 v[40:41], v49
	s_wait_dscnt 0x0
	v_fma_f64 v[36:37], -v[38:39], v[40:41], v[36:37]
.LBB41_863:                             ;   in Loop: Header=BB41_3 Depth=1
	s_or_b32 exec_lo, exec_lo, s47
	s_barrier_signal -1
	s_barrier_wait -1
	s_and_saveexec_b32 s65, s99
	s_cbranch_execz .LBB41_865
; %bb.864:                              ;   in Loop: Header=BB41_3 Depth=1
	ds_load_b64 v[38:39], v3 offset:4680
	s_wait_dscnt 0x0
	v_mul_f64_e32 v[36:37], v[36:37], v[38:39]
	s_delay_alu instid0(VALU_DEP_1) | instskip(NEXT) | instid1(VALU_DEP_2)
	v_xor_b32_e32 v39, 0x80000000, v37
	v_mov_b32_e32 v38, v36
	ds_store_b64 v49, v[38:39]
.LBB41_865:                             ;   in Loop: Header=BB41_3 Depth=1
	s_or_b32 exec_lo, exec_lo, s65
	s_wait_dscnt 0x0
	;; [unrolled: 26-line block ×3, first 2 shown]
	s_barrier_signal -1
	s_barrier_wait -1
	s_barrier_signal -1
	s_barrier_wait -1
	s_and_saveexec_b32 s47, s2
; %bb.870:                              ;   in Loop: Header=BB41_3 Depth=1
	ds_store_b64 v52, v[36:37] offset:7744
; %bb.871:                              ;   in Loop: Header=BB41_3 Depth=1
	s_or_b32 exec_lo, exec_lo, s47
	s_wait_dscnt 0x0
	s_barrier_signal -1
	s_barrier_wait -1
	s_barrier_signal -1
	s_barrier_wait -1
	s_and_saveexec_b32 s65, s101
	s_cbranch_execz .LBB41_873
; %bb.872:                              ;   in Loop: Header=BB41_3 Depth=1
	ds_load_b64 v[36:37], v68 offset:6208
	s_wait_dscnt 0x0
	ds_store_b64 v69, v[36:37] offset:4192
	ds_load_b64 v[36:37], v68 offset:6216
	s_wait_dscnt 0x0
	ds_store_b64 v69, v[36:37] offset:4704
	;; [unrolled: 3-line block ×4, first 2 shown]
.LBB41_873:                             ;   in Loop: Header=BB41_3 Depth=1
	s_or_b32 exec_lo, exec_lo, s65
	s_wait_dscnt 0x0
	s_barrier_signal -1
	s_barrier_wait -1
	s_and_saveexec_b32 s65, s14
	s_cbranch_execz .LBB41_875
; %bb.874:                              ;   in Loop: Header=BB41_3 Depth=1
	ds_load_b128 v[36:39], v3 offset:5712
	ds_load_b64 v[40:41], v3 offset:5200
	v_add_nc_u32_e64 v2, 0x1000, 0
	s_wait_dscnt 0x0
	v_mul_f64_e32 v[38:39], v[40:41], v[38:39]
	s_delay_alu instid0(VALU_DEP_1)
	v_mul_f64_e32 v[36:37], v[36:37], v[38:39]
	ds_store_2addr_b64 v2, v[36:37], v[36:37] offset0:139 offset1:202
.LBB41_875:                             ;   in Loop: Header=BB41_3 Depth=1
	s_or_b32 exec_lo, exec_lo, s65
	v_mov_b64_e32 v[36:37], 0
	s_wait_dscnt 0x0
	s_barrier_signal -1
	s_barrier_wait -1
	global_wb scope:SCOPE_DEV
	s_wait_storecnt 0x0
	global_inv scope:SCOPE_DEV
	s_and_saveexec_b32 s65, s0
	s_cbranch_execz .LBB41_879
; %bb.876:                              ;   in Loop: Header=BB41_3 Depth=1
	ds_load_b64 v[36:37], v45 offset:5184
	ds_load_b64 v[38:39], v44 offset:5712
	s_wait_dscnt 0x0
	v_fma_f64 v[36:37], v[36:37], v[38:39], 0
	s_and_saveexec_b32 s47, s15
	s_cbranch_execz .LBB41_878
; %bb.877:                              ;   in Loop: Header=BB41_3 Depth=1
	ds_load_b64 v[38:39], v69 offset:5696
	ds_load_b64 v[40:41], v3 offset:5720
	s_wait_dscnt 0x0
	v_fmac_f64_e32 v[36:37], v[38:39], v[40:41]
.LBB41_878:                             ;   in Loop: Header=BB41_3 Depth=1
	s_or_b32 exec_lo, exec_lo, s47
.LBB41_879:                             ;   in Loop: Header=BB41_3 Depth=1
	s_delay_alu instid0(SALU_CYCLE_1)
	s_or_b32 exec_lo, exec_lo, s65
	s_and_saveexec_b32 s65, s92
	s_cbranch_execz .LBB41_881
; %bb.880:                              ;   in Loop: Header=BB41_3 Depth=1
	ds_load_b64 v[38:39], v3 offset:4680
	s_wait_dscnt 0x0
	v_mul_f64_e32 v[36:37], v[36:37], v[38:39]
	s_delay_alu instid0(VALU_DEP_1) | instskip(NEXT) | instid1(VALU_DEP_2)
	v_xor_b32_e32 v39, 0x80000000, v37
	v_mov_b32_e32 v38, v36
	ds_store_b64 v5, v[38:39]
.LBB41_881:                             ;   in Loop: Header=BB41_3 Depth=1
	s_or_b32 exec_lo, exec_lo, s65
	s_wait_loadcnt_dscnt 0x0
	s_barrier_signal -1
	s_barrier_wait -1
	s_and_saveexec_b32 s47, s93
	s_cbranch_execz .LBB41_883
; %bb.882:                              ;   in Loop: Header=BB41_3 Depth=1
	ds_load_b64 v[38:39], v3 offset:4672
	ds_load_b64 v[40:41], v5
	s_wait_dscnt 0x0
	v_fma_f64 v[36:37], -v[38:39], v[40:41], v[36:37]
.LBB41_883:                             ;   in Loop: Header=BB41_3 Depth=1
	s_or_b32 exec_lo, exec_lo, s47
	s_barrier_signal -1
	s_barrier_wait -1
	s_and_saveexec_b32 s65, s93
	s_cbranch_execz .LBB41_885
; %bb.884:                              ;   in Loop: Header=BB41_3 Depth=1
	ds_load_b64 v[38:39], v3 offset:4160
	s_wait_dscnt 0x0
	v_mul_f64_e32 v[36:37], v[36:37], v[38:39]
	s_delay_alu instid0(VALU_DEP_1) | instskip(NEXT) | instid1(VALU_DEP_2)
	v_xor_b32_e32 v39, 0x80000000, v37
	v_mov_b32_e32 v38, v36
	ds_store_b64 v5, v[38:39]
.LBB41_885:                             ;   in Loop: Header=BB41_3 Depth=1
	s_or_b32 exec_lo, exec_lo, s65
	s_wait_dscnt 0x0
	s_barrier_signal -1
	s_barrier_wait -1
	s_barrier_signal -1
	s_barrier_wait -1
	s_and_saveexec_b32 s47, s0
; %bb.886:                              ;   in Loop: Header=BB41_3 Depth=1
	ds_store_b64 v47, v[36:37] offset:5696
; %bb.887:                              ;   in Loop: Header=BB41_3 Depth=1
	s_or_b32 exec_lo, exec_lo, s47
	s_wait_dscnt 0x0
	s_barrier_signal -1
	s_barrier_wait -1
	s_barrier_signal -1
	s_barrier_wait -1
	s_and_saveexec_b32 s47, s94
	s_cbranch_execz .LBB41_889
; %bb.888:                              ;   in Loop: Header=BB41_3 Depth=1
	ds_load_b64 v[36:37], v70 offset:5184
	s_wait_dscnt 0x0
	ds_store_b64 v69, v[36:37] offset:4176
	ds_load_b64 v[36:37], v70 offset:5192
	s_wait_dscnt 0x0
	ds_store_b64 v69, v[36:37] offset:4688
.LBB41_889:                             ;   in Loop: Header=BB41_3 Depth=1
	s_or_b32 exec_lo, exec_lo, s47
	s_wait_dscnt 0x0
	s_barrier_signal -1
	s_barrier_wait -1
	s_and_saveexec_b32 s65, s14
	s_cbranch_execz .LBB41_891
; %bb.890:                              ;   in Loop: Header=BB41_3 Depth=1
	ds_load_b128 v[36:39], v3 offset:4672
	ds_load_b64 v[40:41], v3 offset:4160
	v_add_nc_u32_e64 v2, 0x1000, 0
	s_wait_dscnt 0x0
	v_mul_f64_e32 v[38:39], v[40:41], v[38:39]
	s_delay_alu instid0(VALU_DEP_1)
	v_mul_f64_e32 v[36:37], v[36:37], v[38:39]
	ds_store_2addr_b64 v2, v[36:37], v[36:37] offset0:9 offset1:72
.LBB41_891:                             ;   in Loop: Header=BB41_3 Depth=1
	s_or_b32 exec_lo, exec_lo, s65
	v_mov_b64_e32 v[36:37], 0
	s_wait_dscnt 0x0
	s_barrier_signal -1
	s_barrier_wait -1
	global_wb scope:SCOPE_DEV
	s_wait_storecnt 0x0
	global_inv scope:SCOPE_DEV
	s_and_saveexec_b32 s65, s3
	s_cbranch_execz .LBB41_901
; %bb.892:                              ;   in Loop: Header=BB41_3 Depth=1
	ds_load_b64 v[36:37], v55 offset:4096
	ds_load_b64 v[38:39], v54 offset:7744
	s_wait_dscnt 0x0
	v_fma_f64 v[36:37], v[36:37], v[38:39], 0
	s_and_saveexec_b32 s47, s18
	s_cbranch_execnz .LBB41_1141
; %bb.893:                              ;   in Loop: Header=BB41_3 Depth=1
	s_or_b32 exec_lo, exec_lo, s47
	s_and_saveexec_b32 s47, s19
	s_cbranch_execnz .LBB41_1142
.LBB41_894:                             ;   in Loop: Header=BB41_3 Depth=1
	s_or_b32 exec_lo, exec_lo, s47
	s_and_saveexec_b32 s47, s20
	s_cbranch_execnz .LBB41_1143
.LBB41_895:                             ;   in Loop: Header=BB41_3 Depth=1
	s_or_b32 exec_lo, exec_lo, s47
	s_and_saveexec_b32 s47, s21
	s_cbranch_execnz .LBB41_1144
.LBB41_896:                             ;   in Loop: Header=BB41_3 Depth=1
	s_or_b32 exec_lo, exec_lo, s47
	s_and_saveexec_b32 s47, s22
	s_cbranch_execnz .LBB41_1145
.LBB41_897:                             ;   in Loop: Header=BB41_3 Depth=1
	s_or_b32 exec_lo, exec_lo, s47
	s_and_saveexec_b32 s47, s2
	s_cbranch_execnz .LBB41_1146
.LBB41_898:                             ;   in Loop: Header=BB41_3 Depth=1
	s_or_b32 exec_lo, exec_lo, s47
	s_and_saveexec_b32 s47, s17
	s_cbranch_execz .LBB41_900
.LBB41_899:                             ;   in Loop: Header=BB41_3 Depth=1
	ds_load_b64 v[38:39], v71 offset:7680
	ds_load_b64 v[40:41], v3 offset:7800
	s_wait_dscnt 0x0
	v_fmac_f64_e32 v[36:37], v[38:39], v[40:41]
.LBB41_900:                             ;   in Loop: Header=BB41_3 Depth=1
	s_or_b32 exec_lo, exec_lo, s47
.LBB41_901:                             ;   in Loop: Header=BB41_3 Depth=1
	s_delay_alu instid0(SALU_CYCLE_1)
	s_or_b32 exec_lo, exec_lo, s65
	s_and_saveexec_b32 s65, s102
	s_cbranch_execz .LBB41_903
; %bb.902:                              ;   in Loop: Header=BB41_3 Depth=1
	ds_load_b64 v[38:39], v3 offset:3640
	s_wait_dscnt 0x0
	v_mul_f64_e32 v[36:37], v[36:37], v[38:39]
	s_delay_alu instid0(VALU_DEP_1) | instskip(NEXT) | instid1(VALU_DEP_2)
	v_xor_b32_e32 v39, 0x80000000, v37
	v_mov_b32_e32 v38, v36
	ds_store_b64 v53, v[38:39]
.LBB41_903:                             ;   in Loop: Header=BB41_3 Depth=1
	s_or_b32 exec_lo, exec_lo, s65
	s_wait_loadcnt_dscnt 0x0
	s_barrier_signal -1
	s_barrier_wait -1
	s_and_saveexec_b32 s47, s103
	s_cbranch_execz .LBB41_905
; %bb.904:                              ;   in Loop: Header=BB41_3 Depth=1
	ds_load_b64 v[38:39], v55 offset:3584
	ds_load_b64 v[40:41], v53
	s_wait_dscnt 0x0
	v_fma_f64 v[36:37], -v[38:39], v[40:41], v[36:37]
.LBB41_905:                             ;   in Loop: Header=BB41_3 Depth=1
	s_or_b32 exec_lo, exec_lo, s47
	s_barrier_signal -1
	s_barrier_wait -1
	s_and_saveexec_b32 s65, s104
	s_cbranch_execz .LBB41_907
; %bb.906:                              ;   in Loop: Header=BB41_3 Depth=1
	ds_load_b64 v[38:39], v3 offset:3120
	s_wait_dscnt 0x0
	v_mul_f64_e32 v[36:37], v[36:37], v[38:39]
	s_delay_alu instid0(VALU_DEP_1) | instskip(NEXT) | instid1(VALU_DEP_2)
	v_xor_b32_e32 v39, 0x80000000, v37
	v_mov_b32_e32 v38, v36
	ds_store_b64 v53, v[38:39]
.LBB41_907:                             ;   in Loop: Header=BB41_3 Depth=1
	s_or_b32 exec_lo, exec_lo, s65
	s_wait_dscnt 0x0
	s_barrier_signal -1
	s_barrier_wait -1
	s_and_saveexec_b32 s47, vcc_hi
	s_cbranch_execz .LBB41_909
; %bb.908:                              ;   in Loop: Header=BB41_3 Depth=1
	ds_load_b64 v[38:39], v55 offset:3072
	ds_load_b64 v[40:41], v53
	s_wait_dscnt 0x0
	v_fma_f64 v[36:37], -v[38:39], v[40:41], v[36:37]
.LBB41_909:                             ;   in Loop: Header=BB41_3 Depth=1
	s_or_b32 exec_lo, exec_lo, s47
	s_barrier_signal -1
	s_barrier_wait -1
	s_and_saveexec_b32 s65, s36
	s_cbranch_execz .LBB41_911
; %bb.910:                              ;   in Loop: Header=BB41_3 Depth=1
	ds_load_b64 v[38:39], v3 offset:2600
	s_wait_dscnt 0x0
	v_mul_f64_e32 v[36:37], v[36:37], v[38:39]
	s_delay_alu instid0(VALU_DEP_1) | instskip(NEXT) | instid1(VALU_DEP_2)
	v_xor_b32_e32 v39, 0x80000000, v37
	v_mov_b32_e32 v38, v36
	ds_store_b64 v53, v[38:39]
.LBB41_911:                             ;   in Loop: Header=BB41_3 Depth=1
	s_or_b32 exec_lo, exec_lo, s65
	s_wait_dscnt 0x0
	s_barrier_signal -1
	s_barrier_wait -1
	s_and_saveexec_b32 s47, s37
	s_cbranch_execz .LBB41_913
; %bb.912:                              ;   in Loop: Header=BB41_3 Depth=1
	ds_load_b64 v[38:39], v55 offset:2560
	ds_load_b64 v[40:41], v53
	s_wait_dscnt 0x0
	v_fma_f64 v[36:37], -v[38:39], v[40:41], v[36:37]
.LBB41_913:                             ;   in Loop: Header=BB41_3 Depth=1
	s_or_b32 exec_lo, exec_lo, s47
	s_barrier_signal -1
	s_barrier_wait -1
	s_and_saveexec_b32 s65, s38
	s_cbranch_execz .LBB41_915
; %bb.914:                              ;   in Loop: Header=BB41_3 Depth=1
	ds_load_b64 v[38:39], v3 offset:2080
	s_wait_dscnt 0x0
	v_mul_f64_e32 v[36:37], v[36:37], v[38:39]
	s_delay_alu instid0(VALU_DEP_1) | instskip(NEXT) | instid1(VALU_DEP_2)
	v_xor_b32_e32 v39, 0x80000000, v37
	v_mov_b32_e32 v38, v36
	ds_store_b64 v53, v[38:39]
.LBB41_915:                             ;   in Loop: Header=BB41_3 Depth=1
	s_or_b32 exec_lo, exec_lo, s65
	s_wait_dscnt 0x0
	s_barrier_signal -1
	s_barrier_wait -1
	s_and_saveexec_b32 s47, s39
	;; [unrolled: 26-line block ×5, first 2 shown]
	s_cbranch_execz .LBB41_929
; %bb.928:                              ;   in Loop: Header=BB41_3 Depth=1
	ds_load_b64 v[38:39], v3 offset:512
	ds_load_b64 v[40:41], v53
	s_wait_dscnt 0x0
	v_fma_f64 v[36:37], -v[38:39], v[40:41], v[36:37]
.LBB41_929:                             ;   in Loop: Header=BB41_3 Depth=1
	s_or_b32 exec_lo, exec_lo, s47
	s_barrier_signal -1
	s_barrier_wait -1
	s_and_saveexec_b32 s65, s45
	s_cbranch_execz .LBB41_931
; %bb.930:                              ;   in Loop: Header=BB41_3 Depth=1
	ds_load_b64 v[38:39], v3
	s_wait_dscnt 0x0
	v_mul_f64_e32 v[36:37], v[36:37], v[38:39]
	s_delay_alu instid0(VALU_DEP_1) | instskip(NEXT) | instid1(VALU_DEP_2)
	v_xor_b32_e32 v39, 0x80000000, v37
	v_mov_b32_e32 v38, v36
	ds_store_b64 v53, v[38:39]
.LBB41_931:                             ;   in Loop: Header=BB41_3 Depth=1
	s_or_b32 exec_lo, exec_lo, s65
	s_wait_dscnt 0x0
	s_barrier_signal -1
	s_barrier_wait -1
	s_barrier_signal -1
	s_barrier_wait -1
	s_and_saveexec_b32 s47, s3
; %bb.932:                              ;   in Loop: Header=BB41_3 Depth=1
	ds_store_b64 v56, v[36:37] offset:7680
; %bb.933:                              ;   in Loop: Header=BB41_3 Depth=1
	s_or_b32 exec_lo, exec_lo, s47
	s_wait_dscnt 0x0
	s_barrier_signal -1
	s_barrier_wait -1
	s_barrier_signal -1
	s_barrier_wait -1
	s_and_saveexec_b32 s65, s46
	s_cbranch_execz .LBB41_935
; %bb.934:                              ;   in Loop: Header=BB41_3 Depth=1
	ds_load_b64 v[36:37], v72 offset:4096
	s_wait_dscnt 0x0
	ds_store_b64 v73, v[36:37] offset:64
	ds_load_b64 v[36:37], v72 offset:4104
	s_wait_dscnt 0x0
	ds_store_b64 v73, v[36:37] offset:576
	;; [unrolled: 3-line block ×8, first 2 shown]
.LBB41_935:                             ;   in Loop: Header=BB41_3 Depth=1
	s_or_b32 exec_lo, exec_lo, s65
	s_wait_dscnt 0x0
	s_barrier_signal -1
	s_barrier_wait -1
	s_and_saveexec_b32 s65, s14
	s_cbranch_execz .LBB41_937
; %bb.936:                              ;   in Loop: Header=BB41_3 Depth=1
	ds_load_b128 v[36:39], v3 offset:3632
	ds_load_b64 v[40:41], v3 offset:3120
	v_add_nc_u32_e64 v2, 0x800, 0
	s_wait_dscnt 0x0
	v_mul_f64_e32 v[38:39], v[40:41], v[38:39]
	s_delay_alu instid0(VALU_DEP_1)
	v_mul_f64_e32 v[36:37], v[36:37], v[38:39]
	ds_store_2addr_b64 v2, v[36:37], v[36:37] offset0:135 offset1:198
.LBB41_937:                             ;   in Loop: Header=BB41_3 Depth=1
	s_or_b32 exec_lo, exec_lo, s65
	v_mov_b64_e32 v[36:37], 0
	s_wait_dscnt 0x0
	s_barrier_signal -1
	s_barrier_wait -1
	global_wb scope:SCOPE_DEV
	s_wait_storecnt 0x0
	global_inv scope:SCOPE_DEV
	s_and_saveexec_b32 s65, s0
	s_cbranch_execz .LBB41_941
; %bb.938:                              ;   in Loop: Header=BB41_3 Depth=1
	ds_load_b64 v[36:37], v45 offset:3104
	ds_load_b64 v[38:39], v44 offset:3632
	s_wait_dscnt 0x0
	v_fma_f64 v[36:37], v[36:37], v[38:39], 0
	s_and_saveexec_b32 s47, s15
	s_cbranch_execz .LBB41_940
; %bb.939:                              ;   in Loop: Header=BB41_3 Depth=1
	ds_load_b64 v[38:39], v73 offset:3616
	ds_load_b64 v[40:41], v3 offset:3640
	s_wait_dscnt 0x0
	v_fmac_f64_e32 v[36:37], v[38:39], v[40:41]
.LBB41_940:                             ;   in Loop: Header=BB41_3 Depth=1
	s_or_b32 exec_lo, exec_lo, s47
.LBB41_941:                             ;   in Loop: Header=BB41_3 Depth=1
	s_delay_alu instid0(SALU_CYCLE_1)
	s_or_b32 exec_lo, exec_lo, s65
	s_and_saveexec_b32 s65, s92
	s_cbranch_execz .LBB41_943
; %bb.942:                              ;   in Loop: Header=BB41_3 Depth=1
	ds_load_b64 v[38:39], v3 offset:2600
	s_wait_dscnt 0x0
	v_mul_f64_e32 v[36:37], v[36:37], v[38:39]
	s_delay_alu instid0(VALU_DEP_1) | instskip(NEXT) | instid1(VALU_DEP_2)
	v_xor_b32_e32 v39, 0x80000000, v37
	v_mov_b32_e32 v38, v36
	ds_store_b64 v5, v[38:39]
.LBB41_943:                             ;   in Loop: Header=BB41_3 Depth=1
	s_or_b32 exec_lo, exec_lo, s65
	s_wait_loadcnt_dscnt 0x0
	s_barrier_signal -1
	s_barrier_wait -1
	s_and_saveexec_b32 s47, s93
	s_cbranch_execz .LBB41_945
; %bb.944:                              ;   in Loop: Header=BB41_3 Depth=1
	ds_load_b64 v[38:39], v3 offset:2592
	ds_load_b64 v[40:41], v5
	s_wait_dscnt 0x0
	v_fma_f64 v[36:37], -v[38:39], v[40:41], v[36:37]
.LBB41_945:                             ;   in Loop: Header=BB41_3 Depth=1
	s_or_b32 exec_lo, exec_lo, s47
	s_barrier_signal -1
	s_barrier_wait -1
	s_and_saveexec_b32 s65, s93
	s_cbranch_execz .LBB41_947
; %bb.946:                              ;   in Loop: Header=BB41_3 Depth=1
	ds_load_b64 v[38:39], v3 offset:2080
	s_wait_dscnt 0x0
	v_mul_f64_e32 v[36:37], v[36:37], v[38:39]
	s_delay_alu instid0(VALU_DEP_1) | instskip(NEXT) | instid1(VALU_DEP_2)
	v_xor_b32_e32 v39, 0x80000000, v37
	v_mov_b32_e32 v38, v36
	ds_store_b64 v5, v[38:39]
.LBB41_947:                             ;   in Loop: Header=BB41_3 Depth=1
	s_or_b32 exec_lo, exec_lo, s65
	s_wait_dscnt 0x0
	s_barrier_signal -1
	s_barrier_wait -1
	s_barrier_signal -1
	s_barrier_wait -1
	s_and_saveexec_b32 s47, s0
; %bb.948:                              ;   in Loop: Header=BB41_3 Depth=1
	ds_store_b64 v47, v[36:37] offset:3616
; %bb.949:                              ;   in Loop: Header=BB41_3 Depth=1
	s_or_b32 exec_lo, exec_lo, s47
	s_wait_dscnt 0x0
	s_barrier_signal -1
	s_barrier_wait -1
	s_barrier_signal -1
	s_barrier_wait -1
	s_and_saveexec_b32 s47, s94
	s_cbranch_execz .LBB41_951
; %bb.950:                              ;   in Loop: Header=BB41_3 Depth=1
	ds_load_b64 v[36:37], v74 offset:3104
	s_wait_dscnt 0x0
	ds_store_b64 v73, v[36:37] offset:2096
	ds_load_b64 v[36:37], v74 offset:3112
	s_wait_dscnt 0x0
	ds_store_b64 v73, v[36:37] offset:2608
.LBB41_951:                             ;   in Loop: Header=BB41_3 Depth=1
	s_or_b32 exec_lo, exec_lo, s47
	s_wait_dscnt 0x0
	s_barrier_signal -1
	s_barrier_wait -1
	s_and_saveexec_b32 s65, s14
	s_cbranch_execz .LBB41_953
; %bb.952:                              ;   in Loop: Header=BB41_3 Depth=1
	ds_load_b128 v[36:39], v3 offset:2592
	ds_load_b64 v[40:41], v3 offset:2080
	v_add_nc_u32_e64 v2, 0x800, 0
	s_wait_dscnt 0x0
	v_mul_f64_e32 v[38:39], v[40:41], v[38:39]
	s_delay_alu instid0(VALU_DEP_1)
	v_mul_f64_e32 v[36:37], v[36:37], v[38:39]
	ds_store_2addr_b64 v2, v[36:37], v[36:37] offset0:5 offset1:68
.LBB41_953:                             ;   in Loop: Header=BB41_3 Depth=1
	s_or_b32 exec_lo, exec_lo, s65
	v_mov_b64_e32 v[36:37], 0
	s_wait_dscnt 0x0
	s_barrier_signal -1
	s_barrier_wait -1
	global_wb scope:SCOPE_DEV
	s_wait_storecnt 0x0
	global_inv scope:SCOPE_DEV
	s_and_saveexec_b32 s65, s2
	s_cbranch_execz .LBB41_959
; %bb.954:                              ;   in Loop: Header=BB41_3 Depth=1
	ds_load_b64 v[36:37], v51 offset:2048
	ds_load_b64 v[38:39], v50 offset:3616
	s_wait_dscnt 0x0
	v_fma_f64 v[36:37], v[36:37], v[38:39], 0
	s_and_saveexec_b32 s47, s16
	s_cbranch_execnz .LBB41_1147
; %bb.955:                              ;   in Loop: Header=BB41_3 Depth=1
	s_or_b32 exec_lo, exec_lo, s47
	s_and_saveexec_b32 s47, s17
	s_cbranch_execnz .LBB41_1148
.LBB41_956:                             ;   in Loop: Header=BB41_3 Depth=1
	s_or_b32 exec_lo, exec_lo, s47
	s_and_saveexec_b32 s47, s0
	s_cbranch_execz .LBB41_958
.LBB41_957:                             ;   in Loop: Header=BB41_3 Depth=1
	ds_load_b64 v[38:39], v75 offset:3584
	ds_load_b64 v[40:41], v3 offset:3640
	s_wait_dscnt 0x0
	v_fmac_f64_e32 v[36:37], v[38:39], v[40:41]
.LBB41_958:                             ;   in Loop: Header=BB41_3 Depth=1
	s_or_b32 exec_lo, exec_lo, s47
.LBB41_959:                             ;   in Loop: Header=BB41_3 Depth=1
	s_delay_alu instid0(SALU_CYCLE_1)
	s_or_b32 exec_lo, exec_lo, s65
	s_and_saveexec_b32 s65, s95
	s_cbranch_execz .LBB41_961
; %bb.960:                              ;   in Loop: Header=BB41_3 Depth=1
	ds_load_b64 v[38:39], v3 offset:1560
	s_wait_dscnt 0x0
	v_mul_f64_e32 v[36:37], v[36:37], v[38:39]
	s_delay_alu instid0(VALU_DEP_1) | instskip(NEXT) | instid1(VALU_DEP_2)
	v_xor_b32_e32 v39, 0x80000000, v37
	v_mov_b32_e32 v38, v36
	ds_store_b64 v49, v[38:39]
.LBB41_961:                             ;   in Loop: Header=BB41_3 Depth=1
	s_or_b32 exec_lo, exec_lo, s65
	s_wait_loadcnt_dscnt 0x0
	s_barrier_signal -1
	s_barrier_wait -1
	s_and_saveexec_b32 s47, s96
	s_cbranch_execz .LBB41_963
; %bb.962:                              ;   in Loop: Header=BB41_3 Depth=1
	ds_load_b64 v[38:39], v51 offset:1536
	ds_load_b64 v[40:41], v49
	s_wait_dscnt 0x0
	v_fma_f64 v[36:37], -v[38:39], v[40:41], v[36:37]
.LBB41_963:                             ;   in Loop: Header=BB41_3 Depth=1
	s_or_b32 exec_lo, exec_lo, s47
	s_barrier_signal -1
	s_barrier_wait -1
	s_and_saveexec_b32 s65, s97
	s_cbranch_execz .LBB41_965
; %bb.964:                              ;   in Loop: Header=BB41_3 Depth=1
	ds_load_b64 v[38:39], v3 offset:1040
	s_wait_dscnt 0x0
	v_mul_f64_e32 v[36:37], v[36:37], v[38:39]
	s_delay_alu instid0(VALU_DEP_1) | instskip(NEXT) | instid1(VALU_DEP_2)
	v_xor_b32_e32 v39, 0x80000000, v37
	v_mov_b32_e32 v38, v36
	ds_store_b64 v49, v[38:39]
.LBB41_965:                             ;   in Loop: Header=BB41_3 Depth=1
	s_or_b32 exec_lo, exec_lo, s65
	s_wait_dscnt 0x0
	s_barrier_signal -1
	s_barrier_wait -1
	s_and_saveexec_b32 s47, s98
	s_cbranch_execz .LBB41_967
; %bb.966:                              ;   in Loop: Header=BB41_3 Depth=1
	ds_load_b64 v[38:39], v51 offset:1024
	ds_load_b64 v[40:41], v49
	s_wait_dscnt 0x0
	v_fma_f64 v[36:37], -v[38:39], v[40:41], v[36:37]
.LBB41_967:                             ;   in Loop: Header=BB41_3 Depth=1
	s_or_b32 exec_lo, exec_lo, s47
	s_barrier_signal -1
	s_barrier_wait -1
	s_and_saveexec_b32 s65, s99
	s_cbranch_execz .LBB41_969
; %bb.968:                              ;   in Loop: Header=BB41_3 Depth=1
	ds_load_b64 v[38:39], v3 offset:520
	s_wait_dscnt 0x0
	v_mul_f64_e32 v[36:37], v[36:37], v[38:39]
	s_delay_alu instid0(VALU_DEP_1) | instskip(NEXT) | instid1(VALU_DEP_2)
	v_xor_b32_e32 v39, 0x80000000, v37
	v_mov_b32_e32 v38, v36
	ds_store_b64 v49, v[38:39]
.LBB41_969:                             ;   in Loop: Header=BB41_3 Depth=1
	s_or_b32 exec_lo, exec_lo, s65
	s_wait_dscnt 0x0
	s_barrier_signal -1
	s_barrier_wait -1
	s_and_saveexec_b32 s47, s100
	s_cbranch_execz .LBB41_971
; %bb.970:                              ;   in Loop: Header=BB41_3 Depth=1
	ds_load_b64 v[38:39], v3 offset:512
	ds_load_b64 v[40:41], v49
	s_wait_dscnt 0x0
	v_fma_f64 v[36:37], -v[38:39], v[40:41], v[36:37]
.LBB41_971:                             ;   in Loop: Header=BB41_3 Depth=1
	s_or_b32 exec_lo, exec_lo, s47
	s_barrier_signal -1
	s_barrier_wait -1
	s_and_saveexec_b32 s65, s100
	s_cbranch_execz .LBB41_973
; %bb.972:                              ;   in Loop: Header=BB41_3 Depth=1
	ds_load_b64 v[38:39], v3
	s_wait_dscnt 0x0
	v_mul_f64_e32 v[36:37], v[36:37], v[38:39]
	s_delay_alu instid0(VALU_DEP_1) | instskip(NEXT) | instid1(VALU_DEP_2)
	v_xor_b32_e32 v39, 0x80000000, v37
	v_mov_b32_e32 v38, v36
	ds_store_b64 v49, v[38:39]
.LBB41_973:                             ;   in Loop: Header=BB41_3 Depth=1
	s_or_b32 exec_lo, exec_lo, s65
	s_wait_dscnt 0x0
	s_barrier_signal -1
	s_barrier_wait -1
	s_barrier_signal -1
	s_barrier_wait -1
	s_and_saveexec_b32 s47, s2
; %bb.974:                              ;   in Loop: Header=BB41_3 Depth=1
	ds_store_b64 v52, v[36:37] offset:3584
; %bb.975:                              ;   in Loop: Header=BB41_3 Depth=1
	s_or_b32 exec_lo, exec_lo, s47
	s_wait_dscnt 0x0
	s_barrier_signal -1
	s_barrier_wait -1
	s_barrier_signal -1
	s_barrier_wait -1
	s_and_saveexec_b32 s65, s101
	s_cbranch_execz .LBB41_977
; %bb.976:                              ;   in Loop: Header=BB41_3 Depth=1
	ds_load_b64 v[36:37], v79 offset:2048
	s_wait_dscnt 0x0
	ds_store_b64 v82, v[36:37] offset:32
	ds_load_b64 v[36:37], v79 offset:2056
	s_wait_dscnt 0x0
	ds_store_b64 v82, v[36:37] offset:544
	ds_load_b64 v[36:37], v79 offset:2064
	s_wait_dscnt 0x0
	ds_store_b64 v82, v[36:37] offset:1056
	ds_load_b64 v[36:37], v79 offset:2072
	s_wait_dscnt 0x0
	ds_store_b64 v82, v[36:37] offset:1568
.LBB41_977:                             ;   in Loop: Header=BB41_3 Depth=1
	s_or_b32 exec_lo, exec_lo, s65
	s_wait_dscnt 0x0
	s_barrier_signal -1
	s_barrier_wait -1
	s_and_saveexec_b32 s65, s14
	s_cbranch_execz .LBB41_979
; %bb.978:                              ;   in Loop: Header=BB41_3 Depth=1
	ds_load_b128 v[36:39], v3 offset:1552
	ds_load_b64 v[40:41], v3 offset:1040
	s_wait_dscnt 0x0
	v_mul_f64_e32 v[38:39], v[40:41], v[38:39]
	s_delay_alu instid0(VALU_DEP_1)
	v_mul_f64_e32 v[36:37], v[36:37], v[38:39]
	ds_store_2addr_b64 v3, v[36:37], v[36:37] offset0:131 offset1:194
.LBB41_979:                             ;   in Loop: Header=BB41_3 Depth=1
	s_or_b32 exec_lo, exec_lo, s65
	v_mov_b64_e32 v[36:37], 0
	s_wait_dscnt 0x0
	s_barrier_signal -1
	s_barrier_wait -1
	global_wb scope:SCOPE_DEV
	s_wait_storecnt 0x0
	global_inv scope:SCOPE_DEV
	s_and_saveexec_b32 s65, s0
	s_cbranch_execz .LBB41_983
; %bb.980:                              ;   in Loop: Header=BB41_3 Depth=1
	ds_load_b64 v[36:37], v45 offset:1024
	ds_load_b64 v[38:39], v44 offset:1552
	s_wait_dscnt 0x0
	v_fma_f64 v[36:37], v[36:37], v[38:39], 0
	s_and_saveexec_b32 s47, s15
	s_cbranch_execz .LBB41_982
; %bb.981:                              ;   in Loop: Header=BB41_3 Depth=1
	ds_load_b64 v[38:39], v82 offset:1536
	ds_load_b64 v[40:41], v3 offset:1560
	s_wait_dscnt 0x0
	v_fmac_f64_e32 v[36:37], v[38:39], v[40:41]
.LBB41_982:                             ;   in Loop: Header=BB41_3 Depth=1
	s_or_b32 exec_lo, exec_lo, s47
.LBB41_983:                             ;   in Loop: Header=BB41_3 Depth=1
	s_delay_alu instid0(SALU_CYCLE_1)
	s_or_b32 exec_lo, exec_lo, s65
	s_and_saveexec_b32 s65, s92
	s_cbranch_execz .LBB41_985
; %bb.984:                              ;   in Loop: Header=BB41_3 Depth=1
	ds_load_b64 v[38:39], v3 offset:520
	s_wait_dscnt 0x0
	v_mul_f64_e32 v[36:37], v[36:37], v[38:39]
	s_delay_alu instid0(VALU_DEP_1) | instskip(NEXT) | instid1(VALU_DEP_2)
	v_xor_b32_e32 v39, 0x80000000, v37
	v_mov_b32_e32 v38, v36
	ds_store_b64 v5, v[38:39]
.LBB41_985:                             ;   in Loop: Header=BB41_3 Depth=1
	s_or_b32 exec_lo, exec_lo, s65
	s_wait_loadcnt_dscnt 0x0
	s_barrier_signal -1
	s_barrier_wait -1
	s_and_saveexec_b32 s47, s93
	s_cbranch_execz .LBB41_987
; %bb.986:                              ;   in Loop: Header=BB41_3 Depth=1
	ds_load_b64 v[38:39], v3 offset:512
	ds_load_b64 v[40:41], v5
	s_wait_dscnt 0x0
	v_fma_f64 v[36:37], -v[38:39], v[40:41], v[36:37]
.LBB41_987:                             ;   in Loop: Header=BB41_3 Depth=1
	s_or_b32 exec_lo, exec_lo, s47
	s_barrier_signal -1
	s_barrier_wait -1
	s_and_saveexec_b32 s65, s93
	s_cbranch_execz .LBB41_989
; %bb.988:                              ;   in Loop: Header=BB41_3 Depth=1
	ds_load_b64 v[38:39], v3
	s_wait_dscnt 0x0
	v_mul_f64_e32 v[36:37], v[36:37], v[38:39]
	s_delay_alu instid0(VALU_DEP_1) | instskip(NEXT) | instid1(VALU_DEP_2)
	v_xor_b32_e32 v39, 0x80000000, v37
	v_mov_b32_e32 v38, v36
	ds_store_b64 v5, v[38:39]
.LBB41_989:                             ;   in Loop: Header=BB41_3 Depth=1
	s_or_b32 exec_lo, exec_lo, s65
	s_wait_dscnt 0x0
	s_barrier_signal -1
	s_barrier_wait -1
	s_barrier_signal -1
	s_barrier_wait -1
	s_and_saveexec_b32 s47, s0
; %bb.990:                              ;   in Loop: Header=BB41_3 Depth=1
	ds_store_b64 v47, v[36:37] offset:1536
; %bb.991:                              ;   in Loop: Header=BB41_3 Depth=1
	s_or_b32 exec_lo, exec_lo, s47
	s_wait_dscnt 0x0
	s_barrier_signal -1
	s_barrier_wait -1
	s_barrier_signal -1
	s_barrier_wait -1
	s_and_saveexec_b32 s47, s94
	s_cbranch_execz .LBB41_993
; %bb.992:                              ;   in Loop: Header=BB41_3 Depth=1
	ds_load_b64 v[36:37], v83 offset:1024
	s_wait_dscnt 0x0
	ds_store_b64 v82, v[36:37] offset:16
	ds_load_b64 v[36:37], v83 offset:1032
	s_wait_dscnt 0x0
	ds_store_b64 v82, v[36:37] offset:528
.LBB41_993:                             ;   in Loop: Header=BB41_3 Depth=1
	s_or_b32 exec_lo, exec_lo, s47
	s_wait_dscnt 0x0
	s_barrier_signal -1
	s_barrier_wait -1
	s_and_saveexec_b32 s65, s14
	s_cbranch_execz .LBB41_995
; %bb.994:                              ;   in Loop: Header=BB41_3 Depth=1
	ds_load_b128 v[36:39], v3 offset:512
	ds_load_b64 v[40:41], v3
	s_wait_dscnt 0x0
	v_mul_f64_e32 v[38:39], v[40:41], v[38:39]
	s_delay_alu instid0(VALU_DEP_1)
	v_mul_f64_e32 v[36:37], v[36:37], v[38:39]
	ds_store_2addr_b64 v3, v[36:37], v[36:37] offset0:1 offset1:64
.LBB41_995:                             ;   in Loop: Header=BB41_3 Depth=1
	s_or_b32 exec_lo, exec_lo, s65
.LBB41_996:                             ;   in Loop: Header=BB41_3 Depth=1
	v_readlane_b32 s84, v97, 3
	v_mov_b64_e32 v[36:37], 0
	v_readlane_b32 s85, v97, 4
	s_mul_u64 s[82:83], s[76:77], s[80:81]
	s_wait_dscnt 0x0
	s_lshl_b64 s[82:83], s[82:83], 3
	s_barrier_signal -1
	s_add_nc_u64 s[82:83], s[84:85], s[82:83]
	s_barrier_wait -1
	s_and_saveexec_b32 s47, s70
	s_cbranch_execz .LBB41_998
; %bb.997:                              ;   in Loop: Header=BB41_3 Depth=1
	v_lshl_add_u64 v[36:37], v[0:1], 3, s[82:83]
	global_load_b64 v[36:37], v[36:37], off
	s_wait_loadcnt 0x0
	v_mul_f64_e64 v[36:37], v[36:37], -s[68:69]
.LBB41_998:                             ;   in Loop: Header=BB41_3 Depth=1
	s_or_b32 exec_lo, exec_lo, s47
	s_delay_alu instid0(SALU_CYCLE_1)
	s_and_not1_b32 vcc_lo, exec_lo, s71
	s_cbranch_vccnz .LBB41_1024
; %bb.999:                              ;   in Loop: Header=BB41_3 Depth=1
	v_mov_b32_e32 v92, -1
	s_lshl_b64 s[84:85], s[80:81], 2
	s_mov_b32 s89, 0
	s_add_nc_u64 s[84:85], s[78:79], s[84:85]
	s_branch .LBB41_1002
.LBB41_1000:                            ;   in Loop: Header=BB41_1002 Depth=2
	s_wait_xcnt 0x0
	ds_load_b64 v[38:39], v84 offset:384
	s_wait_loadcnt_dscnt 0x0
	v_fmac_f64_e32 v[36:37], v[40:41], v[38:39]
.LBB41_1001:                            ;   in Loop: Header=BB41_1002 Depth=2
	s_or_b32 exec_lo, exec_lo, s65
	s_add_co_i32 s89, s89, 1
	s_delay_alu instid0(SALU_CYCLE_1)
	s_cmp_eq_u32 s89, s88
	s_cbranch_scc1 .LBB41_1024
.LBB41_1002:                            ;   Parent Loop BB41_3 Depth=1
                                        ; =>  This Loop Header: Depth=2
                                        ;       Child Loop BB41_1004 Depth 3
	v_cmp_gt_i32_e32 vcc_lo, s89, v92
	s_and_b32 s47, s59, vcc_lo
	s_delay_alu instid0(SALU_CYCLE_1)
	s_and_saveexec_b32 s65, s47
	s_cbranch_execz .LBB41_1005
; %bb.1003:                             ;   in Loop: Header=BB41_1002 Depth=2
	global_load_b32 v92, v3, s[84:85]
	s_wait_loadcnt 0x0
	v_cmp_le_i32_e32 vcc_lo, s89, v92
	s_cbranch_vccnz .LBB41_1005
.LBB41_1004:                            ;   Parent Loop BB41_3 Depth=1
                                        ;     Parent Loop BB41_1002 Depth=2
                                        ; =>    This Inner Loop Header: Depth=3
	global_wb scope:SCOPE_DEV
	s_wait_storecnt 0x0
	global_inv scope:SCOPE_DEV
	global_load_b32 v92, v3, s[84:85]
	s_wait_loadcnt 0x0
	v_cmp_gt_i32_e32 vcc_lo, s89, v92
	s_cbranch_vccnz .LBB41_1004
.LBB41_1005:                            ;   in Loop: Header=BB41_1002 Depth=2
	s_or_b32 exec_lo, exec_lo, s65
	s_lshl_b32 s65, s89, 6
	global_wb scope:SCOPE_DEV
	s_wait_storecnt 0x0
	global_inv scope:SCOPE_DEV
	s_wait_loadcnt 0x0
	s_barrier_signal -1
	s_barrier_wait -1
	s_and_saveexec_b32 s86, s60
	s_cbranch_execz .LBB41_1009
; %bb.1006:                             ;   in Loop: Header=BB41_1002 Depth=2
	v_mov_b64_e32 v[38:39], 0
	v_or_b32_e32 v2, s65, v6
	s_mov_b32 s47, exec_lo
	s_delay_alu instid0(VALU_DEP_1)
	v_cmpx_gt_i32_e64 s87, v2
	s_cbranch_execz .LBB41_1008
; %bb.1007:                             ;   in Loop: Header=BB41_1002 Depth=2
	v_mul_u64_e32 v[38:39], s[74:75], v[2:3]
	s_delay_alu instid0(VALU_DEP_1)
	v_lshl_add_u64 v[38:39], v[38:39], 3, s[82:83]
	global_load_b64 v[38:39], v[38:39], off
.LBB41_1008:                            ;   in Loop: Header=BB41_1002 Depth=2
	s_wait_xcnt 0x0
	s_or_b32 exec_lo, exec_lo, s47
	s_wait_loadcnt 0x0
	ds_store_b64 v87, v[38:39]
.LBB41_1009:                            ;   in Loop: Header=BB41_1002 Depth=2
	s_or_b32 exec_lo, exec_lo, s86
	v_add_nc_u32_e32 v2, s65, v42
	v_cmp_ne_u32_e32 vcc_lo, s89, v43
	s_wait_dscnt 0x0
	s_barrier_signal -1
	s_barrier_wait -1
	v_cmp_gt_i32_e64 s65, s87, v2
	v_lshl_add_u64 v[38:39], v[2:3], 3, v[34:35]
	v_cndmask_b32_e64 v93, 0, 1, vcc_lo
	s_and_b32 s47, s65, s5
	s_delay_alu instid0(SALU_CYCLE_1)
	s_and_saveexec_b32 s65, s47
	s_cbranch_execz .LBB41_1013
; %bb.1010:                             ;   in Loop: Header=BB41_1002 Depth=2
	v_mov_b64_e32 v[40:41], v[26:27]
	s_and_not1_b32 vcc_lo, exec_lo, vcc_lo
	s_cbranch_vccnz .LBB41_1012
; %bb.1011:                             ;   in Loop: Header=BB41_1002 Depth=2
	global_load_b64 v[40:41], v[38:39], off
.LBB41_1012:                            ;   in Loop: Header=BB41_1002 Depth=2
	ds_load_b64 v[94:95], v84
	s_wait_loadcnt_dscnt 0x0
	v_fmac_f64_e32 v[36:37], v[40:41], v[94:95]
.LBB41_1013:                            ;   in Loop: Header=BB41_1002 Depth=2
	s_or_b32 exec_lo, exec_lo, s65
	v_add_nc_u32_e32 v40, 16, v2
	s_delay_alu instid0(VALU_DEP_1) | instskip(SKIP_1) | instid1(SALU_CYCLE_1)
	v_cmp_gt_i32_e32 vcc_lo, s87, v40
	s_and_b32 s47, vcc_lo, s5
	s_and_saveexec_b32 s65, s47
	s_cbranch_execz .LBB41_1017
; %bb.1014:                             ;   in Loop: Header=BB41_1002 Depth=2
	v_cmp_ne_u32_e32 vcc_lo, 1, v93
	v_mov_b64_e32 v[40:41], v[28:29]
	s_cbranch_vccnz .LBB41_1016
; %bb.1015:                             ;   in Loop: Header=BB41_1002 Depth=2
	global_load_b64 v[40:41], v[38:39], off offset:128
.LBB41_1016:                            ;   in Loop: Header=BB41_1002 Depth=2
	ds_load_b64 v[94:95], v84 offset:128
	s_wait_loadcnt_dscnt 0x0
	v_fmac_f64_e32 v[36:37], v[40:41], v[94:95]
.LBB41_1017:                            ;   in Loop: Header=BB41_1002 Depth=2
	s_or_b32 exec_lo, exec_lo, s65
	v_add_nc_u32_e32 v40, 32, v2
	s_delay_alu instid0(VALU_DEP_1) | instskip(SKIP_1) | instid1(SALU_CYCLE_1)
	v_cmp_gt_i32_e32 vcc_lo, s87, v40
	s_and_b32 s47, vcc_lo, s5
	s_and_saveexec_b32 s65, s47
	s_cbranch_execz .LBB41_1021
; %bb.1018:                             ;   in Loop: Header=BB41_1002 Depth=2
	v_cmp_ne_u32_e32 vcc_lo, 1, v93
	v_mov_b64_e32 v[40:41], v[30:31]
	s_cbranch_vccnz .LBB41_1020
; %bb.1019:                             ;   in Loop: Header=BB41_1002 Depth=2
	global_load_b64 v[40:41], v[38:39], off offset:256
.LBB41_1020:                            ;   in Loop: Header=BB41_1002 Depth=2
	ds_load_b64 v[94:95], v84 offset:256
	s_wait_loadcnt_dscnt 0x0
	v_fmac_f64_e32 v[36:37], v[40:41], v[94:95]
.LBB41_1021:                            ;   in Loop: Header=BB41_1002 Depth=2
	s_or_b32 exec_lo, exec_lo, s65
	v_add_nc_u32_e32 v2, 48, v2
	s_delay_alu instid0(VALU_DEP_1) | instskip(SKIP_1) | instid1(SALU_CYCLE_1)
	v_cmp_gt_i32_e32 vcc_lo, s87, v2
	s_and_b32 s47, vcc_lo, s5
	s_and_saveexec_b32 s65, s47
	s_cbranch_execz .LBB41_1001
; %bb.1022:                             ;   in Loop: Header=BB41_1002 Depth=2
	v_cmp_ne_u32_e32 vcc_lo, 1, v93
	v_mov_b64_e32 v[40:41], v[32:33]
	s_cbranch_vccnz .LBB41_1000
; %bb.1023:                             ;   in Loop: Header=BB41_1002 Depth=2
	global_load_b64 v[40:41], v[38:39], off offset:384
	s_branch .LBB41_1000
.LBB41_1024:                            ;   in Loop: Header=BB41_3 Depth=1
	ds_store_b64 v88, v[36:37]
	s_wait_dscnt 0x0
	s_barrier_signal -1
	s_barrier_wait -1
	s_and_saveexec_b32 s65, s1
	s_cbranch_execz .LBB41_1026
; %bb.1025:                             ;   in Loop: Header=BB41_3 Depth=1
	ds_load_2addr_stride64_b64 v[38:41], v89 offset0:1 offset1:2
	ds_load_2addr_stride64_b64 v[92:95], v89 offset0:3 offset1:4
	s_wait_dscnt 0x1
	v_add_f64_e32 v[34:35], v[36:37], v[38:39]
	s_delay_alu instid0(VALU_DEP_1) | instskip(SKIP_1) | instid1(VALU_DEP_1)
	v_add_f64_e32 v[34:35], v[34:35], v[40:41]
	s_wait_dscnt 0x0
	v_add_f64_e32 v[34:35], v[34:35], v[92:93]
	s_delay_alu instid0(VALU_DEP_1) | instskip(SKIP_4) | instid1(VALU_DEP_1)
	v_add_f64_e32 v[92:93], v[34:35], v[94:95]
	ds_load_2addr_stride64_b64 v[34:37], v89 offset0:5 offset1:6
	ds_load_2addr_stride64_b64 v[38:41], v89 offset0:7 offset1:8
	s_wait_dscnt 0x1
	v_add_f64_e32 v[34:35], v[92:93], v[34:35]
	v_add_f64_e32 v[34:35], v[34:35], v[36:37]
	s_wait_dscnt 0x0
	s_delay_alu instid0(VALU_DEP_1) | instskip(NEXT) | instid1(VALU_DEP_1)
	v_add_f64_e32 v[34:35], v[34:35], v[38:39]
	v_add_f64_e32 v[92:93], v[34:35], v[40:41]
	ds_load_2addr_stride64_b64 v[34:37], v89 offset0:9 offset1:10
	ds_load_2addr_stride64_b64 v[38:41], v89 offset0:11 offset1:12
	s_wait_dscnt 0x1
	v_add_f64_e32 v[34:35], v[92:93], v[34:35]
	s_delay_alu instid0(VALU_DEP_1) | instskip(SKIP_1) | instid1(VALU_DEP_1)
	v_add_f64_e32 v[34:35], v[34:35], v[36:37]
	s_wait_dscnt 0x0
	v_add_f64_e32 v[34:35], v[34:35], v[38:39]
	s_delay_alu instid0(VALU_DEP_1) | instskip(SKIP_4) | instid1(VALU_DEP_1)
	v_add_f64_e32 v[38:39], v[34:35], v[40:41]
	ds_load_2addr_stride64_b64 v[34:37], v89 offset0:13 offset1:14
	ds_load_b64 v[40:41], v89 offset:7680
	s_wait_dscnt 0x1
	v_add_f64_e32 v[34:35], v[38:39], v[34:35]
	v_add_f64_e32 v[34:35], v[34:35], v[36:37]
	s_wait_dscnt 0x0
	s_delay_alu instid0(VALU_DEP_1) | instskip(NEXT) | instid1(VALU_DEP_1)
	v_add_f64_e32 v[34:35], v[34:35], v[40:41]
	v_xor_b32_e32 v2, 0x80000000, v35
	s_delay_alu instid0(VALU_DEP_2) | instskip(NEXT) | instid1(VALU_DEP_2)
	v_cndmask_b32_e64 v36, v34, 0, s11
	v_cndmask_b32_e64 v37, v2, 0, s11
.LBB41_1026:                            ;   in Loop: Header=BB41_3 Depth=1
	s_or_b32 exec_lo, exec_lo, s65
	s_delay_alu instid0(SALU_CYCLE_1)
	s_and_not1_b32 vcc_lo, exec_lo, s91
	s_cbranch_vccnz .LBB41_1036
; %bb.1027:                             ;   in Loop: Header=BB41_3 Depth=1
	s_and_saveexec_b32 s47, s1
; %bb.1028:                             ;   in Loop: Header=BB41_3 Depth=1
	ds_store_b64 v91, v[36:37]
; %bb.1029:                             ;   in Loop: Header=BB41_3 Depth=1
	s_or_b32 exec_lo, exec_lo, s47
	v_mov_b64_e32 v[34:35], 0
	s_wait_dscnt 0x0
	s_barrier_signal -1
	s_barrier_wait -1
	s_and_saveexec_b32 s47, s6
	s_cbranch_execnz .LBB41_1091
; %bb.1030:                             ;   in Loop: Header=BB41_3 Depth=1
	s_or_b32 exec_lo, exec_lo, s47
	s_and_saveexec_b32 s47, s7
	s_cbranch_execnz .LBB41_1092
.LBB41_1031:                            ;   in Loop: Header=BB41_3 Depth=1
	s_or_b32 exec_lo, exec_lo, s47
	s_and_saveexec_b32 s47, s8
	s_cbranch_execnz .LBB41_1093
.LBB41_1032:                            ;   in Loop: Header=BB41_3 Depth=1
	s_or_b32 exec_lo, exec_lo, s47
	s_and_saveexec_b32 s47, s9
	s_cbranch_execz .LBB41_1034
.LBB41_1033:                            ;   in Loop: Header=BB41_3 Depth=1
	ds_load_b64 v[38:39], v90 offset:24576
	ds_load_b64 v[40:41], v84 offset:384
	s_wait_dscnt 0x0
	v_fmac_f64_e32 v[34:35], v[38:39], v[40:41]
.LBB41_1034:                            ;   in Loop: Header=BB41_3 Depth=1
	s_or_b32 exec_lo, exec_lo, s47
	s_mov_b32 s84, 0
	s_mov_b32 s65, 0
	ds_store_b64 v88, v[34:35]
	s_wait_dscnt 0x0
	s_barrier_signal -1
	s_barrier_wait -1
                                        ; implicit-def: $vgpr38_vgpr39
	s_and_saveexec_b32 s85, s1
	s_cbranch_execz .LBB41_1094
; %bb.1035:                             ;   in Loop: Header=BB41_3 Depth=1
	ds_load_2addr_stride64_b64 v[38:41], v89 offset0:1 offset1:2
	ds_load_2addr_stride64_b64 v[92:95], v89 offset0:3 offset1:4
	s_mov_b32 s65, exec_lo
	s_wait_dscnt 0x1
	v_add_f64_e32 v[34:35], v[34:35], v[38:39]
	s_delay_alu instid0(VALU_DEP_1) | instskip(SKIP_1) | instid1(VALU_DEP_1)
	v_add_f64_e32 v[34:35], v[40:41], v[34:35]
	s_wait_dscnt 0x0
	v_add_f64_e32 v[34:35], v[92:93], v[34:35]
	s_delay_alu instid0(VALU_DEP_1) | instskip(SKIP_4) | instid1(VALU_DEP_1)
	v_add_f64_e32 v[34:35], v[94:95], v[34:35]
	ds_load_2addr_stride64_b64 v[38:41], v89 offset0:5 offset1:6
	ds_load_2addr_stride64_b64 v[92:95], v89 offset0:7 offset1:8
	s_wait_dscnt 0x1
	v_add_f64_e32 v[34:35], v[38:39], v[34:35]
	v_add_f64_e32 v[34:35], v[40:41], v[34:35]
	s_wait_dscnt 0x0
	s_delay_alu instid0(VALU_DEP_1) | instskip(NEXT) | instid1(VALU_DEP_1)
	v_add_f64_e32 v[34:35], v[92:93], v[34:35]
	v_add_f64_e32 v[34:35], v[94:95], v[34:35]
	ds_load_2addr_stride64_b64 v[38:41], v89 offset0:9 offset1:10
	ds_load_2addr_stride64_b64 v[92:95], v89 offset0:11 offset1:12
	s_wait_dscnt 0x1
	v_add_f64_e32 v[34:35], v[38:39], v[34:35]
	s_delay_alu instid0(VALU_DEP_1) | instskip(SKIP_1) | instid1(VALU_DEP_1)
	v_add_f64_e32 v[34:35], v[40:41], v[34:35]
	s_wait_dscnt 0x0
	v_add_f64_e32 v[34:35], v[92:93], v[34:35]
	ds_load_2addr_stride64_b64 v[38:41], v89 offset0:13 offset1:14
	ds_load_b64 v[92:93], v89 offset:7680
	v_add_f64_e32 v[34:35], v[94:95], v[34:35]
	s_wait_dscnt 0x1
	s_delay_alu instid0(VALU_DEP_1) | instskip(NEXT) | instid1(VALU_DEP_1)
	v_add_f64_e32 v[34:35], v[38:39], v[34:35]
	v_add_f64_e32 v[34:35], v[40:41], v[34:35]
	s_wait_dscnt 0x0
	s_delay_alu instid0(VALU_DEP_1) | instskip(SKIP_1) | instid1(SALU_CYCLE_1)
	v_add_f64_e32 v[38:39], v[92:93], v[34:35]
	s_or_b32 exec_lo, exec_lo, s85
	s_and_b32 vcc_lo, exec_lo, s84
	s_cbranch_vccnz .LBB41_1037
	s_branch .LBB41_1095
.LBB41_1036:                            ;   in Loop: Header=BB41_3 Depth=1
	s_mov_b32 s65, 0
                                        ; implicit-def: $vgpr38_vgpr39
	s_cbranch_execz .LBB41_1095
.LBB41_1037:                            ;   in Loop: Header=BB41_3 Depth=1
	v_dual_mov_b32 v2, v4 :: v_dual_mov_b32 v34, v78
	s_mov_b32 s84, 0
	s_branch .LBB41_1039
.LBB41_1038:                            ;   in Loop: Header=BB41_1039 Depth=2
	s_or_b32 exec_lo, exec_lo, s47
	v_add_nc_u32_e32 v34, 0x800, v34
	v_add_nc_u32_e32 v2, -4, v2
	s_add_co_i32 s84, s84, 4
	s_delay_alu instid0(SALU_CYCLE_1)
	s_cmp_lg_u32 s84, 64
	s_barrier_signal -1
	s_barrier_wait -1
	s_cbranch_scc0 .LBB41_1055
.LBB41_1039:                            ;   Parent Loop BB41_3 Depth=1
                                        ; =>  This Inner Loop Header: Depth=2
	s_delay_alu instid0(VALU_DEP_1) | instskip(SKIP_2) | instid1(SALU_CYCLE_1)
	v_cmp_eq_u32_e32 vcc_lo, 0, v2
	v_add_nc_u32_e32 v35, v83, v46
	s_and_b32 s85, s1, vcc_lo
	s_and_saveexec_b32 s47, s85
	s_cbranch_execz .LBB41_1041
; %bb.1040:                             ;   in Loop: Header=BB41_1039 Depth=2
	ds_load_b64 v[38:39], v35
	s_wait_dscnt 0x0
	v_mul_f64_e32 v[36:37], v[36:37], v[38:39]
	ds_store_b64 v3, v[36:37] offset:41472
.LBB41_1041:                            ;   in Loop: Header=BB41_1039 Depth=2
	s_or_b32 exec_lo, exec_lo, s47
	v_cmp_lt_u32_e32 vcc_lo, s84, v4
	s_wait_dscnt 0x0
	s_barrier_signal -1
	s_barrier_wait -1
	s_and_b32 s85, s1, vcc_lo
	s_delay_alu instid0(SALU_CYCLE_1)
	s_and_saveexec_b32 s47, s85
	s_cbranch_execz .LBB41_1043
; %bb.1042:                             ;   in Loop: Header=BB41_1039 Depth=2
	ds_load_b64 v[38:39], v34
	ds_load_b64 v[40:41], v3 offset:41472
	s_wait_dscnt 0x0
	v_fmac_f64_e32 v[36:37], v[38:39], v[40:41]
.LBB41_1043:                            ;   in Loop: Header=BB41_1039 Depth=2
	s_or_b32 exec_lo, exec_lo, s47
	s_or_b32 s85, s84, 1
	s_delay_alu instid0(SALU_CYCLE_1) | instskip(SKIP_3) | instid1(SALU_CYCLE_1)
	v_cmp_eq_u32_e32 vcc_lo, s85, v4
	s_barrier_signal -1
	s_barrier_wait -1
	s_and_b32 s86, s1, vcc_lo
	s_and_saveexec_b32 s47, s86
	s_cbranch_execz .LBB41_1045
; %bb.1044:                             ;   in Loop: Header=BB41_1039 Depth=2
	ds_load_b64 v[38:39], v35
	s_wait_dscnt 0x0
	v_mul_f64_e32 v[36:37], v[36:37], v[38:39]
	ds_store_b64 v3, v[36:37] offset:41472
.LBB41_1045:                            ;   in Loop: Header=BB41_1039 Depth=2
	s_or_b32 exec_lo, exec_lo, s47
	v_cmp_lt_u32_e32 vcc_lo, s85, v4
	s_wait_dscnt 0x0
	s_barrier_signal -1
	s_barrier_wait -1
	s_and_b32 s85, s1, vcc_lo
	s_delay_alu instid0(SALU_CYCLE_1)
	s_and_saveexec_b32 s47, s85
	s_cbranch_execz .LBB41_1047
; %bb.1046:                             ;   in Loop: Header=BB41_1039 Depth=2
	ds_load_b64 v[38:39], v34 offset:512
	ds_load_b64 v[40:41], v3 offset:41472
	s_wait_dscnt 0x0
	v_fmac_f64_e32 v[36:37], v[38:39], v[40:41]
.LBB41_1047:                            ;   in Loop: Header=BB41_1039 Depth=2
	s_or_b32 exec_lo, exec_lo, s47
	s_or_b32 s85, s84, 2
	s_delay_alu instid0(SALU_CYCLE_1) | instskip(SKIP_3) | instid1(SALU_CYCLE_1)
	v_cmp_eq_u32_e32 vcc_lo, s85, v4
	s_barrier_signal -1
	s_barrier_wait -1
	s_and_b32 s86, s1, vcc_lo
	s_and_saveexec_b32 s47, s86
	s_cbranch_execz .LBB41_1049
; %bb.1048:                             ;   in Loop: Header=BB41_1039 Depth=2
	ds_load_b64 v[38:39], v35
	s_wait_dscnt 0x0
	v_mul_f64_e32 v[36:37], v[36:37], v[38:39]
	ds_store_b64 v3, v[36:37] offset:41472
.LBB41_1049:                            ;   in Loop: Header=BB41_1039 Depth=2
	s_or_b32 exec_lo, exec_lo, s47
	v_cmp_lt_u32_e32 vcc_lo, s85, v4
	s_wait_dscnt 0x0
	s_barrier_signal -1
	s_barrier_wait -1
	s_and_b32 s85, s1, vcc_lo
	s_delay_alu instid0(SALU_CYCLE_1)
	s_and_saveexec_b32 s47, s85
	s_cbranch_execz .LBB41_1051
; %bb.1050:                             ;   in Loop: Header=BB41_1039 Depth=2
	ds_load_b64 v[38:39], v34 offset:1024
	ds_load_b64 v[40:41], v3 offset:41472
	s_wait_dscnt 0x0
	v_fmac_f64_e32 v[36:37], v[38:39], v[40:41]
.LBB41_1051:                            ;   in Loop: Header=BB41_1039 Depth=2
	s_or_b32 exec_lo, exec_lo, s47
	s_or_b32 s85, s84, 3
	s_delay_alu instid0(SALU_CYCLE_1) | instskip(SKIP_3) | instid1(SALU_CYCLE_1)
	v_cmp_eq_u32_e32 vcc_lo, s85, v4
	s_barrier_signal -1
	s_barrier_wait -1
	s_and_b32 s86, s1, vcc_lo
	s_and_saveexec_b32 s47, s86
	s_cbranch_execz .LBB41_1053
; %bb.1052:                             ;   in Loop: Header=BB41_1039 Depth=2
	ds_load_b64 v[38:39], v35
	s_wait_dscnt 0x0
	v_mul_f64_e32 v[36:37], v[36:37], v[38:39]
	ds_store_b64 v3, v[36:37] offset:41472
.LBB41_1053:                            ;   in Loop: Header=BB41_1039 Depth=2
	s_or_b32 exec_lo, exec_lo, s47
	v_cmp_lt_u32_e32 vcc_lo, s85, v4
	s_wait_dscnt 0x0
	s_barrier_signal -1
	s_barrier_wait -1
	s_and_b32 s85, s1, vcc_lo
	s_delay_alu instid0(SALU_CYCLE_1)
	s_and_saveexec_b32 s47, s85
	s_cbranch_execz .LBB41_1038
; %bb.1054:                             ;   in Loop: Header=BB41_1039 Depth=2
	ds_load_b64 v[38:39], v34 offset:1536
	ds_load_b64 v[40:41], v3 offset:41472
	s_wait_dscnt 0x0
	v_fmac_f64_e32 v[36:37], v[38:39], v[40:41]
	s_branch .LBB41_1038
.LBB41_1055:                            ;   in Loop: Header=BB41_3 Depth=1
	s_and_b32 vcc_lo, exec_lo, s90
	s_mov_b32 s84, -1
	s_cbranch_vccz .LBB41_1057
; %bb.1056:                             ;   in Loop: Header=BB41_3 Depth=1
	s_and_not1_b32 s47, s65, exec_lo
	s_and_b32 s65, s1, exec_lo
	s_mov_b32 s84, 0
	s_or_b32 s65, s47, s65
.LBB41_1057:                            ;   in Loop: Header=BB41_3 Depth=1
	s_and_not1_b32 vcc_lo, exec_lo, s84
	s_cbranch_vccnz .LBB41_1059
; %bb.1058:                             ;   in Loop: Header=BB41_3 Depth=1
	s_and_not1_b32 s47, s65, exec_lo
	v_readlane_b32 s65, v97, 8
	s_and_b32 s65, s65, exec_lo
	s_delay_alu instid0(SALU_CYCLE_1)
	s_or_b32 s65, s47, s65
.LBB41_1059:                            ;   in Loop: Header=BB41_3 Depth=1
	v_mov_b64_e32 v[34:35], v[12:13]
	s_and_saveexec_b32 s47, s65
	s_cbranch_execnz .LBB41_1096
	s_branch .LBB41_1097
.LBB41_1060:                            ;   in Loop: Header=BB41_3 Depth=1
	v_readlane_b32 s84, v97, 17
	s_and_saveexec_b32 s47, s84
	s_delay_alu instid0(SALU_CYCLE_1)
	s_xor_b32 s84, exec_lo, s47
	s_cbranch_execz .LBB41_1064
; %bb.1061:                             ;   in Loop: Header=BB41_3 Depth=1
	s_mov_b32 s47, exec_lo
	v_readlane_b32 s85, v96, 27
	s_and_b32 s85, s47, s85
	s_delay_alu instid0(SALU_CYCLE_1)
	s_mov_b32 exec_lo, s85
; %bb.1062:                             ;   in Loop: Header=BB41_3 Depth=1
	ds_store_b64 v76, v[24:25]
; %bb.1063:                             ;   in Loop: Header=BB41_3 Depth=1
	s_or_b32 exec_lo, exec_lo, s47
.LBB41_1064:                            ;   in Loop: Header=BB41_3 Depth=1
	s_and_not1_saveexec_b32 s84, s84
	s_cbranch_execz .LBB41_1066
; %bb.1065:                             ;   in Loop: Header=BB41_3 Depth=1
	v_lshl_add_u64 v[36:37], v[14:15], 3, s[82:83]
	global_load_b64 v[36:37], v[36:37], off
	s_wait_loadcnt 0x0
	v_div_scale_f64 v[38:39], null, v[36:37], v[36:37], 1.0
	s_delay_alu instid0(VALU_DEP_1) | instskip(SKIP_1) | instid1(TRANS32_DEP_1)
	v_rcp_f64_e32 v[40:41], v[38:39]
	v_nop
	v_fma_f64 v[92:93], -v[38:39], v[40:41], 1.0
	s_delay_alu instid0(VALU_DEP_1) | instskip(NEXT) | instid1(VALU_DEP_1)
	v_fmac_f64_e32 v[40:41], v[40:41], v[92:93]
	v_fma_f64 v[92:93], -v[38:39], v[40:41], 1.0
	s_delay_alu instid0(VALU_DEP_1) | instskip(SKIP_1) | instid1(VALU_DEP_1)
	v_fmac_f64_e32 v[40:41], v[40:41], v[92:93]
	v_div_scale_f64 v[92:93], vcc_lo, 1.0, v[36:37], 1.0
	v_mul_f64_e32 v[94:95], v[92:93], v[40:41]
	s_delay_alu instid0(VALU_DEP_1) | instskip(NEXT) | instid1(VALU_DEP_1)
	v_fma_f64 v[38:39], -v[38:39], v[94:95], v[92:93]
	v_div_fmas_f64 v[38:39], v[38:39], v[40:41], v[94:95]
	s_delay_alu instid0(VALU_DEP_1)
	v_div_fixup_f64 v[36:37], v[38:39], v[36:37], 1.0
	ds_store_b64 v76, v[36:37]
.LBB41_1066:                            ;   in Loop: Header=BB41_3 Depth=1
	s_or_b32 exec_lo, exec_lo, s84
	s_and_not1_saveexec_b32 s65, s65
	s_cbranch_execz .LBB41_17
.LBB41_1067:                            ;   in Loop: Header=BB41_3 Depth=1
	v_lshl_add_u64 v[36:37], v[14:15], 3, s[82:83]
	global_load_b64 v[36:37], v[36:37], off
	s_wait_loadcnt 0x0
	v_xor_b32_e32 v37, 0x80000000, v37
	ds_store_b64 v76, v[36:37]
	s_or_b32 exec_lo, exec_lo, s65
	s_and_saveexec_b32 s47, s7
	s_delay_alu instid0(SALU_CYCLE_1)
	s_xor_b32 s65, exec_lo, s47
	s_cbranch_execz .LBB41_18
.LBB41_1068:                            ;   in Loop: Header=BB41_3 Depth=1
	v_readlane_b32 s84, v97, 19
	s_and_saveexec_b32 s47, s84
	s_delay_alu instid0(SALU_CYCLE_1)
	s_xor_b32 s84, exec_lo, s47
	s_cbranch_execz .LBB41_1072
; %bb.1069:                             ;   in Loop: Header=BB41_3 Depth=1
	s_mov_b32 s47, exec_lo
	v_readlane_b32 s85, v96, 28
	s_and_b32 s85, s47, s85
	s_delay_alu instid0(SALU_CYCLE_1)
	s_mov_b32 exec_lo, s85
; %bb.1070:                             ;   in Loop: Header=BB41_3 Depth=1
	ds_store_b64 v77, v[24:25]
; %bb.1071:                             ;   in Loop: Header=BB41_3 Depth=1
	s_or_b32 exec_lo, exec_lo, s47
.LBB41_1072:                            ;   in Loop: Header=BB41_3 Depth=1
	s_and_not1_saveexec_b32 s84, s84
	s_cbranch_execz .LBB41_1074
; %bb.1073:                             ;   in Loop: Header=BB41_3 Depth=1
	v_lshl_add_u64 v[36:37], v[16:17], 3, s[82:83]
	global_load_b64 v[36:37], v[36:37], off
	s_wait_loadcnt 0x0
	v_div_scale_f64 v[38:39], null, v[36:37], v[36:37], 1.0
	s_delay_alu instid0(VALU_DEP_1) | instskip(SKIP_1) | instid1(TRANS32_DEP_1)
	v_rcp_f64_e32 v[40:41], v[38:39]
	v_nop
	v_fma_f64 v[92:93], -v[38:39], v[40:41], 1.0
	s_delay_alu instid0(VALU_DEP_1) | instskip(NEXT) | instid1(VALU_DEP_1)
	v_fmac_f64_e32 v[40:41], v[40:41], v[92:93]
	v_fma_f64 v[92:93], -v[38:39], v[40:41], 1.0
	s_delay_alu instid0(VALU_DEP_1) | instskip(SKIP_1) | instid1(VALU_DEP_1)
	v_fmac_f64_e32 v[40:41], v[40:41], v[92:93]
	v_div_scale_f64 v[92:93], vcc_lo, 1.0, v[36:37], 1.0
	v_mul_f64_e32 v[94:95], v[92:93], v[40:41]
	s_delay_alu instid0(VALU_DEP_1) | instskip(NEXT) | instid1(VALU_DEP_1)
	v_fma_f64 v[38:39], -v[38:39], v[94:95], v[92:93]
	v_div_fmas_f64 v[38:39], v[38:39], v[40:41], v[94:95]
	s_delay_alu instid0(VALU_DEP_1)
	v_div_fixup_f64 v[36:37], v[38:39], v[36:37], 1.0
	ds_store_b64 v77, v[36:37]
.LBB41_1074:                            ;   in Loop: Header=BB41_3 Depth=1
	s_or_b32 exec_lo, exec_lo, s84
	s_and_not1_saveexec_b32 s65, s65
	s_cbranch_execz .LBB41_19
.LBB41_1075:                            ;   in Loop: Header=BB41_3 Depth=1
	v_lshl_add_u64 v[36:37], v[16:17], 3, s[82:83]
	global_load_b64 v[36:37], v[36:37], off
	s_wait_loadcnt 0x0
	v_xor_b32_e32 v37, 0x80000000, v37
	ds_store_b64 v77, v[36:37]
	s_or_b32 exec_lo, exec_lo, s65
	s_and_saveexec_b32 s47, s8
	s_delay_alu instid0(SALU_CYCLE_1)
	s_xor_b32 s65, exec_lo, s47
	s_cbranch_execz .LBB41_20
.LBB41_1076:                            ;   in Loop: Header=BB41_3 Depth=1
	v_readlane_b32 s84, v97, 21
	s_and_saveexec_b32 s47, s84
	s_delay_alu instid0(SALU_CYCLE_1)
	s_xor_b32 s84, exec_lo, s47
	s_cbranch_execz .LBB41_1080
; %bb.1077:                             ;   in Loop: Header=BB41_3 Depth=1
	s_mov_b32 s47, exec_lo
	v_readlane_b32 s85, v96, 29
	s_and_b32 s85, s47, s85
	s_delay_alu instid0(SALU_CYCLE_1)
	s_mov_b32 exec_lo, s85
; %bb.1078:                             ;   in Loop: Header=BB41_3 Depth=1
	ds_store_b64 v80, v[24:25]
; %bb.1079:                             ;   in Loop: Header=BB41_3 Depth=1
	s_or_b32 exec_lo, exec_lo, s47
.LBB41_1080:                            ;   in Loop: Header=BB41_3 Depth=1
	s_and_not1_saveexec_b32 s84, s84
	s_cbranch_execz .LBB41_1082
; %bb.1081:                             ;   in Loop: Header=BB41_3 Depth=1
	v_lshl_add_u64 v[36:37], v[18:19], 3, s[82:83]
	global_load_b64 v[36:37], v[36:37], off
	s_wait_loadcnt 0x0
	v_div_scale_f64 v[38:39], null, v[36:37], v[36:37], 1.0
	s_delay_alu instid0(VALU_DEP_1) | instskip(SKIP_1) | instid1(TRANS32_DEP_1)
	v_rcp_f64_e32 v[40:41], v[38:39]
	v_nop
	v_fma_f64 v[92:93], -v[38:39], v[40:41], 1.0
	s_delay_alu instid0(VALU_DEP_1) | instskip(NEXT) | instid1(VALU_DEP_1)
	v_fmac_f64_e32 v[40:41], v[40:41], v[92:93]
	v_fma_f64 v[92:93], -v[38:39], v[40:41], 1.0
	s_delay_alu instid0(VALU_DEP_1) | instskip(SKIP_1) | instid1(VALU_DEP_1)
	v_fmac_f64_e32 v[40:41], v[40:41], v[92:93]
	v_div_scale_f64 v[92:93], vcc_lo, 1.0, v[36:37], 1.0
	v_mul_f64_e32 v[94:95], v[92:93], v[40:41]
	s_delay_alu instid0(VALU_DEP_1) | instskip(NEXT) | instid1(VALU_DEP_1)
	v_fma_f64 v[38:39], -v[38:39], v[94:95], v[92:93]
	v_div_fmas_f64 v[38:39], v[38:39], v[40:41], v[94:95]
	s_delay_alu instid0(VALU_DEP_1)
	v_div_fixup_f64 v[36:37], v[38:39], v[36:37], 1.0
	ds_store_b64 v80, v[36:37]
.LBB41_1082:                            ;   in Loop: Header=BB41_3 Depth=1
	s_or_b32 exec_lo, exec_lo, s84
	s_and_not1_saveexec_b32 s65, s65
	s_cbranch_execz .LBB41_21
.LBB41_1083:                            ;   in Loop: Header=BB41_3 Depth=1
	v_lshl_add_u64 v[36:37], v[18:19], 3, s[82:83]
	global_load_b64 v[36:37], v[36:37], off
	s_wait_loadcnt 0x0
	v_xor_b32_e32 v37, 0x80000000, v37
	ds_store_b64 v80, v[36:37]
	s_or_b32 exec_lo, exec_lo, s65
	s_and_saveexec_b32 s47, s9
	s_delay_alu instid0(SALU_CYCLE_1)
	s_xor_b32 s65, exec_lo, s47
	s_cbranch_execz .LBB41_22
.LBB41_1084:                            ;   in Loop: Header=BB41_3 Depth=1
	v_readlane_b32 s84, v97, 23
	s_and_saveexec_b32 s47, s84
	s_delay_alu instid0(SALU_CYCLE_1)
	s_xor_b32 s84, exec_lo, s47
	s_cbranch_execz .LBB41_1088
; %bb.1085:                             ;   in Loop: Header=BB41_3 Depth=1
	s_mov_b32 s47, exec_lo
	v_readlane_b32 s85, v96, 30
	s_and_b32 s85, s47, s85
	s_delay_alu instid0(SALU_CYCLE_1)
	s_mov_b32 exec_lo, s85
; %bb.1086:                             ;   in Loop: Header=BB41_3 Depth=1
	ds_store_b64 v81, v[24:25]
; %bb.1087:                             ;   in Loop: Header=BB41_3 Depth=1
	s_or_b32 exec_lo, exec_lo, s47
.LBB41_1088:                            ;   in Loop: Header=BB41_3 Depth=1
	s_and_not1_saveexec_b32 s84, s84
	s_cbranch_execz .LBB41_1090
; %bb.1089:                             ;   in Loop: Header=BB41_3 Depth=1
	v_lshl_add_u64 v[36:37], v[20:21], 3, s[82:83]
	global_load_b64 v[36:37], v[36:37], off
	s_wait_loadcnt 0x0
	v_div_scale_f64 v[38:39], null, v[36:37], v[36:37], 1.0
	s_delay_alu instid0(VALU_DEP_1) | instskip(SKIP_1) | instid1(TRANS32_DEP_1)
	v_rcp_f64_e32 v[40:41], v[38:39]
	v_nop
	v_fma_f64 v[92:93], -v[38:39], v[40:41], 1.0
	s_delay_alu instid0(VALU_DEP_1) | instskip(NEXT) | instid1(VALU_DEP_1)
	v_fmac_f64_e32 v[40:41], v[40:41], v[92:93]
	v_fma_f64 v[92:93], -v[38:39], v[40:41], 1.0
	s_delay_alu instid0(VALU_DEP_1) | instskip(SKIP_1) | instid1(VALU_DEP_1)
	v_fmac_f64_e32 v[40:41], v[40:41], v[92:93]
	v_div_scale_f64 v[92:93], vcc_lo, 1.0, v[36:37], 1.0
	v_mul_f64_e32 v[94:95], v[92:93], v[40:41]
	s_delay_alu instid0(VALU_DEP_1) | instskip(NEXT) | instid1(VALU_DEP_1)
	v_fma_f64 v[38:39], -v[38:39], v[94:95], v[92:93]
	v_div_fmas_f64 v[38:39], v[38:39], v[40:41], v[94:95]
	s_delay_alu instid0(VALU_DEP_1)
	v_div_fixup_f64 v[36:37], v[38:39], v[36:37], 1.0
	ds_store_b64 v81, v[36:37]
.LBB41_1090:                            ;   in Loop: Header=BB41_3 Depth=1
	s_or_b32 exec_lo, exec_lo, s84
	s_and_not1_saveexec_b32 s65, s65
	s_cbranch_execnz .LBB41_23
	s_branch .LBB41_24
.LBB41_1091:                            ;   in Loop: Header=BB41_3 Depth=1
	ds_load_b64 v[34:35], v90
	ds_load_b64 v[38:39], v84
	s_wait_dscnt 0x0
	v_fma_f64 v[34:35], v[34:35], v[38:39], 0
	s_or_b32 exec_lo, exec_lo, s47
	s_and_saveexec_b32 s47, s7
	s_cbranch_execz .LBB41_1031
.LBB41_1092:                            ;   in Loop: Header=BB41_3 Depth=1
	ds_load_b64 v[38:39], v90 offset:8192
	ds_load_b64 v[40:41], v84 offset:128
	s_wait_dscnt 0x0
	v_fmac_f64_e32 v[34:35], v[38:39], v[40:41]
	s_or_b32 exec_lo, exec_lo, s47
	s_and_saveexec_b32 s47, s8
	s_cbranch_execz .LBB41_1032
.LBB41_1093:                            ;   in Loop: Header=BB41_3 Depth=1
	ds_load_b64 v[38:39], v90 offset:16384
	ds_load_b64 v[40:41], v84 offset:256
	s_wait_dscnt 0x0
	v_fmac_f64_e32 v[34:35], v[38:39], v[40:41]
	s_or_b32 exec_lo, exec_lo, s47
	s_and_saveexec_b32 s47, s9
	s_cbranch_execnz .LBB41_1033
	s_branch .LBB41_1034
.LBB41_1094:                            ;   in Loop: Header=BB41_3 Depth=1
	s_or_b32 exec_lo, exec_lo, s85
	s_delay_alu instid0(SALU_CYCLE_1)
	s_and_b32 vcc_lo, exec_lo, s84
	s_cbranch_vccnz .LBB41_1037
.LBB41_1095:                            ;   in Loop: Header=BB41_3 Depth=1
	s_delay_alu instid0(VALU_DEP_1)
	v_mov_b64_e32 v[36:37], v[38:39]
	v_mov_b64_e32 v[34:35], v[22:23]
	s_and_saveexec_b32 s47, s65
	s_cbranch_execz .LBB41_1097
.LBB41_1096:                            ;   in Loop: Header=BB41_3 Depth=1
	s_delay_alu instid0(VALU_DEP_1)
	v_lshl_add_u64 v[34:35], v[34:35], 3, s[82:83]
	global_store_b64 v[34:35], v[36:37], off
.LBB41_1097:                            ;   in Loop: Header=BB41_3 Depth=1
	s_wait_xcnt 0x0
	s_or_b32 exec_lo, exec_lo, s47
	global_wb scope:SCOPE_DEV
	s_wait_storecnt 0x0
	global_inv scope:SCOPE_DEV
	s_wait_loadcnt 0x0
	s_barrier_signal -1
	s_barrier_wait -1
	s_and_saveexec_b32 s47, s59
	s_cbranch_execz .LBB41_2
; %bb.1098:                             ;   in Loop: Header=BB41_3 Depth=1
	s_lshl_b64 s[82:83], s[80:81], 2
	s_delay_alu instid0(SALU_CYCLE_1)
	s_add_nc_u64 s[82:83], s[78:79], s[82:83]
	global_load_b32 v2, v3, s[82:83]
	s_wait_loadcnt 0x0
	v_add_nc_u32_e32 v2, 1, v2
	global_store_b32 v3, v2, s[82:83]
	s_branch .LBB41_2
.LBB41_1099:                            ;   in Loop: Header=BB41_3 Depth=1
	ds_load_b64 v[38:39], v51 offset:31680
	ds_load_b64 v[40:41], v50 offset:32744
	s_wait_dscnt 0x0
	v_fmac_f64_e32 v[36:37], v[38:39], v[40:41]
	s_or_b32 exec_lo, exec_lo, s47
	s_and_saveexec_b32 s47, s17
	s_cbranch_execz .LBB41_88
.LBB41_1100:                            ;   in Loop: Header=BB41_3 Depth=1
	ds_load_b64 v[38:39], v51 offset:32192
	ds_load_b64 v[40:41], v50 offset:32752
	s_wait_dscnt 0x0
	v_fmac_f64_e32 v[36:37], v[38:39], v[40:41]
	s_or_b32 exec_lo, exec_lo, s47
	s_and_saveexec_b32 s47, s0
	s_cbranch_execnz .LBB41_89
	s_branch .LBB41_90
.LBB41_1101:                            ;   in Loop: Header=BB41_3 Depth=1
	ds_load_b64 v[38:39], v55 offset:29568
	ds_load_b64 v[40:41], v54 offset:32712
	s_wait_dscnt 0x0
	v_fmac_f64_e32 v[36:37], v[38:39], v[40:41]
	s_or_b32 exec_lo, exec_lo, s47
	s_and_saveexec_b32 s47, s19
	s_cbranch_execz .LBB41_130
.LBB41_1102:                            ;   in Loop: Header=BB41_3 Depth=1
	ds_load_b64 v[38:39], v55 offset:30080
	ds_load_b64 v[40:41], v54 offset:32720
	s_wait_dscnt 0x0
	v_fmac_f64_e32 v[36:37], v[38:39], v[40:41]
	s_or_b32 exec_lo, exec_lo, s47
	s_and_saveexec_b32 s47, s20
	s_cbranch_execz .LBB41_131
.LBB41_1103:                            ;   in Loop: Header=BB41_3 Depth=1
	ds_load_b64 v[38:39], v55 offset:30592
	ds_load_b64 v[40:41], v54 offset:32728
	s_wait_dscnt 0x0
	v_fmac_f64_e32 v[36:37], v[38:39], v[40:41]
	s_or_b32 exec_lo, exec_lo, s47
	s_and_saveexec_b32 s47, s21
	s_cbranch_execz .LBB41_132
.LBB41_1104:                            ;   in Loop: Header=BB41_3 Depth=1
	ds_load_b64 v[38:39], v55 offset:31104
	ds_load_b64 v[40:41], v54 offset:32736
	s_wait_dscnt 0x0
	v_fmac_f64_e32 v[36:37], v[38:39], v[40:41]
	s_or_b32 exec_lo, exec_lo, s47
	s_and_saveexec_b32 s47, s22
	s_cbranch_execz .LBB41_133
.LBB41_1105:                            ;   in Loop: Header=BB41_3 Depth=1
	ds_load_b64 v[38:39], v55 offset:31616
	ds_load_b64 v[40:41], v54 offset:32744
	s_wait_dscnt 0x0
	v_fmac_f64_e32 v[36:37], v[38:39], v[40:41]
	s_or_b32 exec_lo, exec_lo, s47
	s_and_saveexec_b32 s47, s2
	s_cbranch_execz .LBB41_134
.LBB41_1106:                            ;   in Loop: Header=BB41_3 Depth=1
	ds_load_b64 v[38:39], v55 offset:32128
	ds_load_b64 v[40:41], v54 offset:32752
	s_wait_dscnt 0x0
	v_fmac_f64_e32 v[36:37], v[38:39], v[40:41]
	s_or_b32 exec_lo, exec_lo, s47
	s_and_saveexec_b32 s47, s17
	s_cbranch_execnz .LBB41_135
	s_branch .LBB41_136
.LBB41_1107:                            ;   in Loop: Header=BB41_3 Depth=1
	ds_load_b64 v[38:39], v51 offset:27520
	ds_load_b64 v[40:41], v50 offset:28584
	s_wait_dscnt 0x0
	v_fmac_f64_e32 v[36:37], v[38:39], v[40:41]
	s_or_b32 exec_lo, exec_lo, s47
	s_and_saveexec_b32 s47, s17
	s_cbranch_execz .LBB41_192
.LBB41_1108:                            ;   in Loop: Header=BB41_3 Depth=1
	ds_load_b64 v[38:39], v51 offset:28032
	ds_load_b64 v[40:41], v50 offset:28592
	s_wait_dscnt 0x0
	v_fmac_f64_e32 v[36:37], v[38:39], v[40:41]
	s_or_b32 exec_lo, exec_lo, s47
	s_and_saveexec_b32 s47, s0
	s_cbranch_execnz .LBB41_193
	s_branch .LBB41_194
.LBB41_1109:                            ;   in Loop: Header=BB41_3 Depth=1
	ds_load_b64 v[38:39], v59 offset:30464
	ds_load_b64 v[40:41], v58 offset:32728
	s_wait_dscnt 0x0
	v_fmac_f64_e32 v[36:37], v[38:39], v[40:41]
	s_or_b32 exec_lo, exec_lo, s47
	s_and_saveexec_b32 s47, s3
	s_cbranch_execz .LBB41_254
.LBB41_1110:                            ;   in Loop: Header=BB41_3 Depth=1
	ds_load_b64 v[38:39], v59 offset:30976
	ds_load_b64 v[40:41], v58 offset:32736
	s_wait_dscnt 0x0
	v_fmac_f64_e32 v[36:37], v[38:39], v[40:41]
	s_or_b32 exec_lo, exec_lo, s47
	s_and_saveexec_b32 s47, s19
	s_cbranch_execz .LBB41_255
.LBB41_1111:                            ;   in Loop: Header=BB41_3 Depth=1
	ds_load_b64 v[38:39], v59 offset:31488
	ds_load_b64 v[40:41], v58 offset:32744
	s_wait_dscnt 0x0
	v_fmac_f64_e32 v[36:37], v[38:39], v[40:41]
	s_or_b32 exec_lo, exec_lo, s47
	s_and_saveexec_b32 s47, s21
	s_cbranch_execz .LBB41_256
.LBB41_1112:                            ;   in Loop: Header=BB41_3 Depth=1
	ds_load_b64 v[38:39], v59 offset:32000
	ds_load_b64 v[40:41], v58 offset:32752
	s_wait_dscnt 0x0
	v_fmac_f64_e32 v[36:37], v[38:39], v[40:41]
	s_or_b32 exec_lo, exec_lo, s47
	s_and_saveexec_b32 s47, s2
	s_cbranch_execnz .LBB41_257
	s_branch .LBB41_258
.LBB41_1113:                            ;   in Loop: Header=BB41_3 Depth=1
	ds_load_b64 v[38:39], v51 offset:23360
	ds_load_b64 v[40:41], v50 offset:24424
	s_wait_dscnt 0x0
	v_fmac_f64_e32 v[36:37], v[38:39], v[40:41]
	s_or_b32 exec_lo, exec_lo, s47
	s_and_saveexec_b32 s47, s17
	s_cbranch_execz .LBB41_346
.LBB41_1114:                            ;   in Loop: Header=BB41_3 Depth=1
	ds_load_b64 v[38:39], v51 offset:23872
	ds_load_b64 v[40:41], v50 offset:24432
	s_wait_dscnt 0x0
	v_fmac_f64_e32 v[36:37], v[38:39], v[40:41]
	s_or_b32 exec_lo, exec_lo, s47
	s_and_saveexec_b32 s47, s0
	s_cbranch_execnz .LBB41_347
	s_branch .LBB41_348
.LBB41_1115:                            ;   in Loop: Header=BB41_3 Depth=1
	ds_load_b64 v[38:39], v55 offset:21248
	ds_load_b64 v[40:41], v54 offset:24392
	s_wait_dscnt 0x0
	v_fmac_f64_e32 v[36:37], v[38:39], v[40:41]
	s_or_b32 exec_lo, exec_lo, s47
	s_and_saveexec_b32 s47, s19
	s_cbranch_execz .LBB41_388
.LBB41_1116:                            ;   in Loop: Header=BB41_3 Depth=1
	ds_load_b64 v[38:39], v55 offset:21760
	ds_load_b64 v[40:41], v54 offset:24400
	s_wait_dscnt 0x0
	v_fmac_f64_e32 v[36:37], v[38:39], v[40:41]
	s_or_b32 exec_lo, exec_lo, s47
	s_and_saveexec_b32 s47, s20
	s_cbranch_execz .LBB41_389
.LBB41_1117:                            ;   in Loop: Header=BB41_3 Depth=1
	ds_load_b64 v[38:39], v55 offset:22272
	ds_load_b64 v[40:41], v54 offset:24408
	s_wait_dscnt 0x0
	v_fmac_f64_e32 v[36:37], v[38:39], v[40:41]
	s_or_b32 exec_lo, exec_lo, s47
	s_and_saveexec_b32 s47, s21
	s_cbranch_execz .LBB41_390
.LBB41_1118:                            ;   in Loop: Header=BB41_3 Depth=1
	ds_load_b64 v[38:39], v55 offset:22784
	ds_load_b64 v[40:41], v54 offset:24416
	s_wait_dscnt 0x0
	v_fmac_f64_e32 v[36:37], v[38:39], v[40:41]
	s_or_b32 exec_lo, exec_lo, s47
	s_and_saveexec_b32 s47, s22
	s_cbranch_execz .LBB41_391
.LBB41_1119:                            ;   in Loop: Header=BB41_3 Depth=1
	ds_load_b64 v[38:39], v55 offset:23296
	ds_load_b64 v[40:41], v54 offset:24424
	s_wait_dscnt 0x0
	v_fmac_f64_e32 v[36:37], v[38:39], v[40:41]
	s_or_b32 exec_lo, exec_lo, s47
	s_and_saveexec_b32 s47, s2
	s_cbranch_execz .LBB41_392
.LBB41_1120:                            ;   in Loop: Header=BB41_3 Depth=1
	ds_load_b64 v[38:39], v55 offset:23808
	ds_load_b64 v[40:41], v54 offset:24432
	s_wait_dscnt 0x0
	v_fmac_f64_e32 v[36:37], v[38:39], v[40:41]
	s_or_b32 exec_lo, exec_lo, s47
	s_and_saveexec_b32 s47, s17
	s_cbranch_execnz .LBB41_393
	s_branch .LBB41_394
.LBB41_1121:                            ;   in Loop: Header=BB41_3 Depth=1
	ds_load_b64 v[38:39], v51 offset:19200
	ds_load_b64 v[40:41], v50 offset:20264
	s_wait_dscnt 0x0
	v_fmac_f64_e32 v[36:37], v[38:39], v[40:41]
	s_or_b32 exec_lo, exec_lo, s47
	s_and_saveexec_b32 s47, s17
	s_cbranch_execz .LBB41_450
.LBB41_1122:                            ;   in Loop: Header=BB41_3 Depth=1
	ds_load_b64 v[38:39], v51 offset:19712
	ds_load_b64 v[40:41], v50 offset:20272
	s_wait_dscnt 0x0
	v_fmac_f64_e32 v[36:37], v[38:39], v[40:41]
	s_or_b32 exec_lo, exec_lo, s47
	s_and_saveexec_b32 s47, s0
	s_cbranch_execnz .LBB41_451
	s_branch .LBB41_452
.LBB41_1123:                            ;   in Loop: Header=BB41_3 Depth=1
	ds_load_b64 v[38:39], v62 offset:31232
	ds_load_b64 v[40:41], v63 offset:32744
	s_wait_dscnt 0x0
	v_fmac_f64_e32 v[36:37], v[38:39], v[40:41]
	s_or_b32 exec_lo, exec_lo, s47
	s_and_saveexec_b32 s47, s3
	s_cbranch_execz .LBB41_548
.LBB41_1124:                            ;   in Loop: Header=BB41_3 Depth=1
	ds_load_b64 v[38:39], v62 offset:31744
	ds_load_b64 v[40:41], v63 offset:32752
	s_wait_dscnt 0x0
	v_fmac_f64_e32 v[36:37], v[38:39], v[40:41]
	s_or_b32 exec_lo, exec_lo, s47
	s_and_saveexec_b32 s47, s21
	s_delay_alu instid0(SALU_CYCLE_1)
	s_xor_b32 s47, exec_lo, s47
	s_cbranch_execnz .LBB41_549
	s_branch .LBB41_550
.LBB41_1125:                            ;   in Loop: Header=BB41_3 Depth=1
	ds_load_b64 v[38:39], v51 offset:15040
	ds_load_b64 v[40:41], v50 offset:16104
	s_wait_dscnt 0x0
	v_fmac_f64_e32 v[36:37], v[38:39], v[40:41]
	s_or_b32 exec_lo, exec_lo, s47
	s_and_saveexec_b32 s47, s17
	s_cbranch_execz .LBB41_594
.LBB41_1126:                            ;   in Loop: Header=BB41_3 Depth=1
	ds_load_b64 v[38:39], v51 offset:15552
	ds_load_b64 v[40:41], v50 offset:16112
	s_wait_dscnt 0x0
	v_fmac_f64_e32 v[36:37], v[38:39], v[40:41]
	s_or_b32 exec_lo, exec_lo, s47
	s_and_saveexec_b32 s47, s0
	s_cbranch_execnz .LBB41_595
	s_branch .LBB41_596
.LBB41_1127:                            ;   in Loop: Header=BB41_3 Depth=1
	ds_load_b64 v[38:39], v55 offset:12928
	ds_load_b64 v[40:41], v54 offset:16072
	s_wait_dscnt 0x0
	v_fmac_f64_e32 v[36:37], v[38:39], v[40:41]
	s_or_b32 exec_lo, exec_lo, s47
	s_and_saveexec_b32 s47, s19
	s_cbranch_execz .LBB41_636
.LBB41_1128:                            ;   in Loop: Header=BB41_3 Depth=1
	ds_load_b64 v[38:39], v55 offset:13440
	ds_load_b64 v[40:41], v54 offset:16080
	s_wait_dscnt 0x0
	v_fmac_f64_e32 v[36:37], v[38:39], v[40:41]
	s_or_b32 exec_lo, exec_lo, s47
	s_and_saveexec_b32 s47, s20
	s_cbranch_execz .LBB41_637
.LBB41_1129:                            ;   in Loop: Header=BB41_3 Depth=1
	ds_load_b64 v[38:39], v55 offset:13952
	ds_load_b64 v[40:41], v54 offset:16088
	s_wait_dscnt 0x0
	v_fmac_f64_e32 v[36:37], v[38:39], v[40:41]
	s_or_b32 exec_lo, exec_lo, s47
	s_and_saveexec_b32 s47, s21
	s_cbranch_execz .LBB41_638
.LBB41_1130:                            ;   in Loop: Header=BB41_3 Depth=1
	ds_load_b64 v[38:39], v55 offset:14464
	ds_load_b64 v[40:41], v54 offset:16096
	s_wait_dscnt 0x0
	v_fmac_f64_e32 v[36:37], v[38:39], v[40:41]
	s_or_b32 exec_lo, exec_lo, s47
	s_and_saveexec_b32 s47, s22
	s_cbranch_execz .LBB41_639
.LBB41_1131:                            ;   in Loop: Header=BB41_3 Depth=1
	ds_load_b64 v[38:39], v55 offset:14976
	ds_load_b64 v[40:41], v54 offset:16104
	s_wait_dscnt 0x0
	v_fmac_f64_e32 v[36:37], v[38:39], v[40:41]
	s_or_b32 exec_lo, exec_lo, s47
	s_and_saveexec_b32 s47, s2
	s_cbranch_execz .LBB41_640
.LBB41_1132:                            ;   in Loop: Header=BB41_3 Depth=1
	ds_load_b64 v[38:39], v55 offset:15488
	ds_load_b64 v[40:41], v54 offset:16112
	s_wait_dscnt 0x0
	v_fmac_f64_e32 v[36:37], v[38:39], v[40:41]
	s_or_b32 exec_lo, exec_lo, s47
	s_and_saveexec_b32 s47, s17
	s_cbranch_execnz .LBB41_641
	s_branch .LBB41_642
.LBB41_1133:                            ;   in Loop: Header=BB41_3 Depth=1
	ds_load_b64 v[38:39], v51 offset:10880
	ds_load_b64 v[40:41], v50 offset:11944
	s_wait_dscnt 0x0
	v_fmac_f64_e32 v[36:37], v[38:39], v[40:41]
	s_or_b32 exec_lo, exec_lo, s47
	s_and_saveexec_b32 s47, s17
	s_cbranch_execz .LBB41_698
.LBB41_1134:                            ;   in Loop: Header=BB41_3 Depth=1
	ds_load_b64 v[38:39], v51 offset:11392
	ds_load_b64 v[40:41], v50 offset:11952
	s_wait_dscnt 0x0
	v_fmac_f64_e32 v[36:37], v[38:39], v[40:41]
	s_or_b32 exec_lo, exec_lo, s47
	s_and_saveexec_b32 s47, s0
	s_cbranch_execnz .LBB41_699
	s_branch .LBB41_700
.LBB41_1135:                            ;   in Loop: Header=BB41_3 Depth=1
	ds_load_b64 v[38:39], v59 offset:13824
	ds_load_b64 v[40:41], v58 offset:16088
	s_wait_dscnt 0x0
	v_fmac_f64_e32 v[36:37], v[38:39], v[40:41]
	s_or_b32 exec_lo, exec_lo, s47
	s_and_saveexec_b32 s47, s3
	s_cbranch_execz .LBB41_760
.LBB41_1136:                            ;   in Loop: Header=BB41_3 Depth=1
	ds_load_b64 v[38:39], v59 offset:14336
	ds_load_b64 v[40:41], v58 offset:16096
	s_wait_dscnt 0x0
	v_fmac_f64_e32 v[36:37], v[38:39], v[40:41]
	s_or_b32 exec_lo, exec_lo, s47
	s_and_saveexec_b32 s47, s19
	s_cbranch_execz .LBB41_761
.LBB41_1137:                            ;   in Loop: Header=BB41_3 Depth=1
	ds_load_b64 v[38:39], v59 offset:14848
	ds_load_b64 v[40:41], v58 offset:16104
	s_wait_dscnt 0x0
	v_fmac_f64_e32 v[36:37], v[38:39], v[40:41]
	s_or_b32 exec_lo, exec_lo, s47
	s_and_saveexec_b32 s47, s21
	s_cbranch_execz .LBB41_762
.LBB41_1138:                            ;   in Loop: Header=BB41_3 Depth=1
	ds_load_b64 v[38:39], v59 offset:15360
	ds_load_b64 v[40:41], v58 offset:16112
	s_wait_dscnt 0x0
	v_fmac_f64_e32 v[36:37], v[38:39], v[40:41]
	s_or_b32 exec_lo, exec_lo, s47
	s_and_saveexec_b32 s47, s2
	s_cbranch_execnz .LBB41_763
	s_branch .LBB41_764
.LBB41_1139:                            ;   in Loop: Header=BB41_3 Depth=1
	ds_load_b64 v[38:39], v51 offset:6720
	ds_load_b64 v[40:41], v50 offset:7784
	s_wait_dscnt 0x0
	v_fmac_f64_e32 v[36:37], v[38:39], v[40:41]
	s_or_b32 exec_lo, exec_lo, s47
	s_and_saveexec_b32 s47, s17
	s_cbranch_execz .LBB41_852
.LBB41_1140:                            ;   in Loop: Header=BB41_3 Depth=1
	ds_load_b64 v[38:39], v51 offset:7232
	ds_load_b64 v[40:41], v50 offset:7792
	s_wait_dscnt 0x0
	v_fmac_f64_e32 v[36:37], v[38:39], v[40:41]
	s_or_b32 exec_lo, exec_lo, s47
	s_and_saveexec_b32 s47, s0
	s_cbranch_execnz .LBB41_853
	s_branch .LBB41_854
.LBB41_1141:                            ;   in Loop: Header=BB41_3 Depth=1
	ds_load_b64 v[38:39], v55 offset:4608
	ds_load_b64 v[40:41], v54 offset:7752
	s_wait_dscnt 0x0
	v_fmac_f64_e32 v[36:37], v[38:39], v[40:41]
	s_or_b32 exec_lo, exec_lo, s47
	s_and_saveexec_b32 s47, s19
	s_cbranch_execz .LBB41_894
.LBB41_1142:                            ;   in Loop: Header=BB41_3 Depth=1
	ds_load_b64 v[38:39], v55 offset:5120
	ds_load_b64 v[40:41], v54 offset:7760
	s_wait_dscnt 0x0
	v_fmac_f64_e32 v[36:37], v[38:39], v[40:41]
	s_or_b32 exec_lo, exec_lo, s47
	s_and_saveexec_b32 s47, s20
	s_cbranch_execz .LBB41_895
.LBB41_1143:                            ;   in Loop: Header=BB41_3 Depth=1
	ds_load_b64 v[38:39], v55 offset:5632
	ds_load_b64 v[40:41], v54 offset:7768
	s_wait_dscnt 0x0
	v_fmac_f64_e32 v[36:37], v[38:39], v[40:41]
	s_or_b32 exec_lo, exec_lo, s47
	s_and_saveexec_b32 s47, s21
	s_cbranch_execz .LBB41_896
.LBB41_1144:                            ;   in Loop: Header=BB41_3 Depth=1
	ds_load_b64 v[38:39], v55 offset:6144
	ds_load_b64 v[40:41], v54 offset:7776
	s_wait_dscnt 0x0
	v_fmac_f64_e32 v[36:37], v[38:39], v[40:41]
	s_or_b32 exec_lo, exec_lo, s47
	s_and_saveexec_b32 s47, s22
	s_cbranch_execz .LBB41_897
.LBB41_1145:                            ;   in Loop: Header=BB41_3 Depth=1
	ds_load_b64 v[38:39], v55 offset:6656
	ds_load_b64 v[40:41], v54 offset:7784
	s_wait_dscnt 0x0
	v_fmac_f64_e32 v[36:37], v[38:39], v[40:41]
	s_or_b32 exec_lo, exec_lo, s47
	s_and_saveexec_b32 s47, s2
	s_cbranch_execz .LBB41_898
.LBB41_1146:                            ;   in Loop: Header=BB41_3 Depth=1
	ds_load_b64 v[38:39], v55 offset:7168
	ds_load_b64 v[40:41], v54 offset:7792
	s_wait_dscnt 0x0
	v_fmac_f64_e32 v[36:37], v[38:39], v[40:41]
	s_or_b32 exec_lo, exec_lo, s47
	s_and_saveexec_b32 s47, s17
	s_cbranch_execnz .LBB41_899
	s_branch .LBB41_900
.LBB41_1147:                            ;   in Loop: Header=BB41_3 Depth=1
	ds_load_b64 v[38:39], v51 offset:2560
	ds_load_b64 v[40:41], v50 offset:3624
	s_wait_dscnt 0x0
	v_fmac_f64_e32 v[36:37], v[38:39], v[40:41]
	s_or_b32 exec_lo, exec_lo, s47
	s_and_saveexec_b32 s47, s17
	s_cbranch_execz .LBB41_956
.LBB41_1148:                            ;   in Loop: Header=BB41_3 Depth=1
	ds_load_b64 v[38:39], v51 offset:3072
	ds_load_b64 v[40:41], v50 offset:3632
	s_wait_dscnt 0x0
	v_fmac_f64_e32 v[36:37], v[38:39], v[40:41]
	s_or_b32 exec_lo, exec_lo, s47
	s_and_saveexec_b32 s47, s0
	s_cbranch_execnz .LBB41_957
	s_branch .LBB41_958
.LBB41_1149:
	s_endpgm
	.section	.rodata,"a",@progbits
	.p2align	6, 0x0
	.amdhsa_kernel _ZL19rocblas_trsv_deviceILi64ELi16ELb0ELb1ELb0ELb0EddPKdPdEviT7_lllT6_T8_lllPii
		.amdhsa_group_segment_fixed_size 41480
		.amdhsa_private_segment_fixed_size 0
		.amdhsa_kernarg_size 352
		.amdhsa_user_sgpr_count 2
		.amdhsa_user_sgpr_dispatch_ptr 0
		.amdhsa_user_sgpr_queue_ptr 0
		.amdhsa_user_sgpr_kernarg_segment_ptr 1
		.amdhsa_user_sgpr_dispatch_id 0
		.amdhsa_user_sgpr_kernarg_preload_length 0
		.amdhsa_user_sgpr_kernarg_preload_offset 0
		.amdhsa_user_sgpr_private_segment_size 0
		.amdhsa_wavefront_size32 1
		.amdhsa_uses_dynamic_stack 0
		.amdhsa_enable_private_segment 0
		.amdhsa_system_sgpr_workgroup_id_x 1
		.amdhsa_system_sgpr_workgroup_id_y 0
		.amdhsa_system_sgpr_workgroup_id_z 1
		.amdhsa_system_sgpr_workgroup_info 0
		.amdhsa_system_vgpr_workitem_id 1
		.amdhsa_next_free_vgpr 98
		.amdhsa_next_free_sgpr 105
		.amdhsa_named_barrier_count 0
		.amdhsa_reserve_vcc 1
		.amdhsa_float_round_mode_32 0
		.amdhsa_float_round_mode_16_64 0
		.amdhsa_float_denorm_mode_32 3
		.amdhsa_float_denorm_mode_16_64 3
		.amdhsa_fp16_overflow 0
		.amdhsa_memory_ordered 1
		.amdhsa_forward_progress 1
		.amdhsa_inst_pref_size 255
		.amdhsa_round_robin_scheduling 0
		.amdhsa_exception_fp_ieee_invalid_op 0
		.amdhsa_exception_fp_denorm_src 0
		.amdhsa_exception_fp_ieee_div_zero 0
		.amdhsa_exception_fp_ieee_overflow 0
		.amdhsa_exception_fp_ieee_underflow 0
		.amdhsa_exception_fp_ieee_inexact 0
		.amdhsa_exception_int_div_zero 0
	.end_amdhsa_kernel
	.section	.text._ZL19rocblas_trsv_deviceILi64ELi16ELb0ELb1ELb0ELb0EddPKdPdEviT7_lllT6_T8_lllPii,"axG",@progbits,_ZL19rocblas_trsv_deviceILi64ELi16ELb0ELb1ELb0ELb0EddPKdPdEviT7_lllT6_T8_lllPii,comdat
.Lfunc_end41:
	.size	_ZL19rocblas_trsv_deviceILi64ELi16ELb0ELb1ELb0ELb0EddPKdPdEviT7_lllT6_T8_lllPii, .Lfunc_end41-_ZL19rocblas_trsv_deviceILi64ELi16ELb0ELb1ELb0ELb0EddPKdPdEviT7_lllT6_T8_lllPii
                                        ; -- End function
	.set _ZL19rocblas_trsv_deviceILi64ELi16ELb0ELb1ELb0ELb0EddPKdPdEviT7_lllT6_T8_lllPii.num_vgpr, 98
	.set _ZL19rocblas_trsv_deviceILi64ELi16ELb0ELb1ELb0ELb0EddPKdPdEviT7_lllT6_T8_lllPii.num_agpr, 0
	.set _ZL19rocblas_trsv_deviceILi64ELi16ELb0ELb1ELb0ELb0EddPKdPdEviT7_lllT6_T8_lllPii.numbered_sgpr, 105
	.set _ZL19rocblas_trsv_deviceILi64ELi16ELb0ELb1ELb0ELb0EddPKdPdEviT7_lllT6_T8_lllPii.num_named_barrier, 0
	.set _ZL19rocblas_trsv_deviceILi64ELi16ELb0ELb1ELb0ELb0EddPKdPdEviT7_lllT6_T8_lllPii.private_seg_size, 0
	.set _ZL19rocblas_trsv_deviceILi64ELi16ELb0ELb1ELb0ELb0EddPKdPdEviT7_lllT6_T8_lllPii.uses_vcc, 1
	.set _ZL19rocblas_trsv_deviceILi64ELi16ELb0ELb1ELb0ELb0EddPKdPdEviT7_lllT6_T8_lllPii.uses_flat_scratch, 0
	.set _ZL19rocblas_trsv_deviceILi64ELi16ELb0ELb1ELb0ELb0EddPKdPdEviT7_lllT6_T8_lllPii.has_dyn_sized_stack, 0
	.set _ZL19rocblas_trsv_deviceILi64ELi16ELb0ELb1ELb0ELb0EddPKdPdEviT7_lllT6_T8_lllPii.has_recursion, 0
	.set _ZL19rocblas_trsv_deviceILi64ELi16ELb0ELb1ELb0ELb0EddPKdPdEviT7_lllT6_T8_lllPii.has_indirect_call, 0
	.section	.AMDGPU.csdata,"",@progbits
; Kernel info:
; codeLenInByte = 38056
; TotalNumSgprs: 107
; NumVgprs: 98
; ScratchSize: 0
; MemoryBound: 0
; FloatMode: 240
; IeeeMode: 1
; LDSByteSize: 41480 bytes/workgroup (compile time only)
; SGPRBlocks: 0
; VGPRBlocks: 6
; NumSGPRsForWavesPerEU: 107
; NumVGPRsForWavesPerEU: 98
; NamedBarCnt: 0
; Occupancy: 9
; WaveLimiterHint : 0
; COMPUTE_PGM_RSRC2:SCRATCH_EN: 0
; COMPUTE_PGM_RSRC2:USER_SGPR: 2
; COMPUTE_PGM_RSRC2:TRAP_HANDLER: 0
; COMPUTE_PGM_RSRC2:TGID_X_EN: 1
; COMPUTE_PGM_RSRC2:TGID_Y_EN: 0
; COMPUTE_PGM_RSRC2:TGID_Z_EN: 1
; COMPUTE_PGM_RSRC2:TIDIG_COMP_CNT: 1
	.section	.text._ZL19rocblas_trsv_deviceILi64ELi16ELb0ELb1ELb1ELb0EddPKdPdEviT7_lllT6_T8_lllPii,"axG",@progbits,_ZL19rocblas_trsv_deviceILi64ELi16ELb0ELb1ELb1ELb0EddPKdPdEviT7_lllT6_T8_lllPii,comdat
	.globl	_ZL19rocblas_trsv_deviceILi64ELi16ELb0ELb1ELb1ELb0EddPKdPdEviT7_lllT6_T8_lllPii ; -- Begin function _ZL19rocblas_trsv_deviceILi64ELi16ELb0ELb1ELb1ELb0EddPKdPdEviT7_lllT6_T8_lllPii
	.p2align	8
	.type	_ZL19rocblas_trsv_deviceILi64ELi16ELb0ELb1ELb1ELb0EddPKdPdEviT7_lllT6_T8_lllPii,@function
_ZL19rocblas_trsv_deviceILi64ELi16ELb0ELb1ELb1ELb0EddPKdPdEviT7_lllT6_T8_lllPii: ; @_ZL19rocblas_trsv_deviceILi64ELi16ELb0ELb1ELb1ELb0EddPKdPdEviT7_lllT6_T8_lllPii
; %bb.0:
	s_load_b32 s6, s[0:1], 0x58
	s_bfe_u32 s2, ttmp6, 0x40014
	s_lshr_b32 s3, ttmp7, 16
	s_add_co_i32 s2, s2, 1
	s_bfe_u32 s5, ttmp6, 0x40008
	s_mul_i32 s4, s3, s2
	s_getreg_b32 s2, hwreg(HW_REG_IB_STS2, 6, 4)
	s_add_co_i32 s5, s5, s4
	s_cmp_eq_u32 s2, 0
	s_mov_b32 s81, 0
	s_cselect_b32 s80, s3, s5
                                        ; implicit-def: $vgpr97 : SGPR spill to VGPR lane
	s_wait_kmcnt 0x0
	s_cmp_ge_u32 s80, s6
	v_writelane_b32 v97, s6, 0
	s_cbranch_scc1 .LBB42_1149
; %bb.1:
	s_clause 0x2
	s_load_b512 s[60:75], s[0:1], 0x8
	s_load_b32 s3, s[0:1], 0x6c
	s_load_b32 s87, s[0:1], 0x0
	s_bfe_u32 s5, ttmp6, 0x4000c
	s_and_b32 s4, ttmp6, 15
	s_add_co_i32 s5, s5, 1
	s_load_b128 s[76:79], s[0:1], 0x48
	s_wait_xcnt 0x0
	s_mul_i32 s0, ttmp9, s5
	v_and_b32_e32 v4, 0x3ff, v0
	s_add_co_i32 s6, s4, s0
	v_bfe_u32 v42, v0, 10, 10
	v_mov_b32_e32 v3, 0
                                        ; implicit-def: $vgpr96 : SGPR spill to VGPR lane
                                        ; implicit-def: $vgpr32_vgpr33
	s_delay_alu instid0(VALU_DEP_3) | instskip(SKIP_1) | instid1(VALU_DEP_4)
	v_lshlrev_b32_e32 v1, 6, v4
	v_mul_i32_i24_e32 v17, 0xfffffe08, v4
	v_lshl_add_u32 v34, v42, 6, v4
	s_delay_alu instid0(VALU_DEP_4)
	v_dual_mov_b32 v7, v3 :: v_dual_mov_b32 v5, v3
	v_dual_add_nc_u32 v26, 32, v42 :: v_dual_add_nc_u32 v27, 48, v42
	s_wait_kmcnt 0x0
	s_lshl_b64 s[0:1], s[62:63], 3
	s_lshl_b64 s[4:5], s[72:73], 3
	s_cmp_eq_u32 s2, 0
	s_add_nc_u64 s[0:1], s[60:61], s[0:1]
	s_cselect_b32 s88, ttmp9, s6
	s_add_co_i32 s2, s87, -1
	s_and_b32 s6, s3, 0xffff
	s_ashr_i32 s3, s87, 31
	s_ashr_i32 s7, s2, 31
	s_lshr_b32 s3, s3, 26
	s_lshr_b32 s7, s7, 26
	s_add_co_i32 s3, s87, s3
	s_add_co_i32 s2, s2, s7
	s_and_not1_b32 s3, s3, 63
	s_ashr_i32 s2, s2, 6
	s_sub_co_i32 s15, s87, s3
	v_writelane_b32 v97, s0, 1
	s_cmp_eq_u32 s2, s88
	s_add_nc_u64 s[2:3], s[64:65], 1
	s_cselect_b32 s7, -1, 0
	s_cmp_lg_u32 s15, 0
	v_writelane_b32 v97, s1, 2
	s_cselect_b32 s0, -1, 0
	s_lshl_b32 s10, s88, 6
	s_delay_alu instid0(SALU_CYCLE_1)
	v_dual_add_nc_u32 v22, 16, v42 :: v_dual_add_nc_u32 v16, s10, v42
	v_dual_add_nc_u32 v12, s10, v4 :: v_dual_add_nc_u32 v2, v42, v1
	v_sub_co_u32 v43, s1, s88, 1
	s_and_b32 s16, s0, s7
	v_subrev_nc_u32_e32 v8, 64, v16
	s_xor_b32 s0, s1, -1
	s_xor_b32 s90, s16, -1
	s_cmp_lt_i32 s88, 5
	v_ashrrev_i32_e32 v13, 31, v12
	v_mad_nc_u64_u32 v[20:21], s2, s10, v[4:5]
	v_add_nc_u32_e32 v5, v22, v1
	v_lshl_add_u32 v14, v22, 6, v4
	s_cselect_b32 vcc_lo, -1, 0
	s_delay_alu instid0(SALU_CYCLE_1)
	v_dual_ashrrev_i32 v9, 31, v8 :: v_dual_cndmask_b32 v23, v34, v2, vcc_lo
	s_or_b32 vcc_lo, vcc_lo, s16
	s_delay_alu instid0(VALU_DEP_2) | instid1(SALU_CYCLE_1)
	v_dual_lshrrev_b32 v2, 1, v34 :: v_dual_cndmask_b32 v24, v14, v5, vcc_lo
	s_add_nc_u64 s[4:5], s[70:71], s[4:5]
	v_lshrrev_b32_e32 v5, 10, v0
	v_writelane_b32 v97, s4, 3
	s_delay_alu instid0(VALU_DEP_3) | instskip(SKIP_3) | instid1(VALU_DEP_2)
	v_dual_lshlrev_b32 v14, 9, v2 :: v_dual_bitop2_b32 v15, 1, v0 bitop3:0x40
	s_ashr_i32 s11, s10, 31
	s_mul_i32 s1, s3, s10
	v_writelane_b32 v97, s5, 4
	v_dual_sub_nc_u32 v44, 0, v14 :: v_dual_lshlrev_b32 v45, 3, v15
	v_lshlrev_b32_e32 v46, 3, v4
	v_bitop3_b32 v35, v0, v5, 0x3ff bitop3:0xa8
	v_writelane_b32 v97, s0, 5
	s_mul_i32 s0, s2, s11
	v_lshl_add_u32 v5, v2, 3, 0x8000
	v_add3_u32 v21, s0, s1, v21
	v_cmp_gt_u32_e64 s0, 4, v34
	v_cmp_eq_u32_e64 s2, 1, v15
	v_cmp_eq_u32_e64 s3, 0, v15
	v_lshrrev_b32_e32 v2, 2, v34
	v_dual_sub_nc_u32 v47, v45, v14 :: v_dual_bitop2_b32 v14, 3, v0 bitop3:0x40
	v_cmp_eq_u32_e64 s1, 0, v42
	v_cmp_gt_u32_e64 s4, 2, v4
	s_and_b32 s92, s2, s0
	s_and_b32 s93, s3, s0
	v_lshlrev_b32_e32 v15, 9, v2
	v_lshl_add_u32 v49, v2, 3, 0x8000
	v_cmp_gt_u32_e64 s2, 16, v34
	v_cmp_eq_u32_e64 s3, 3, v14
	v_lshlrev_b32_e32 v2, 6, v34
	s_and_b32 s94, s1, s4
	v_lshlrev_b32_e32 v51, 3, v14
	v_cmp_ne_u32_e64 s4, 3, v14
	s_and_b32 s95, s3, s2
	v_cmp_eq_u32_e64 s3, 2, v14
	v_cmp_gt_u32_e64 s5, 2, v14
	v_cmp_eq_u32_e64 s7, 1, v14
	v_cmp_eq_u32_e64 s8, 0, v14
	v_and_b32_e32 v14, -8, v34
	v_and_b32_e32 v2, 0xfffffe00, v2
	s_and_b32 s97, s3, s2
	v_cmp_gt_u32_e64 s3, 4, v4
	s_and_b32 s96, s4, s2
	s_and_b32 s98, s5, s2
	v_dual_sub_nc_u32 v54, 0, v2 :: v_dual_sub_nc_u32 v50, 0, v15
	v_dual_sub_nc_u32 v52, v51, v15 :: v_dual_bitop2_b32 v15, 7, v0 bitop3:0x40
	s_and_b32 s101, s1, s3
	v_cmp_gt_u32_e64 s3, 64, v34
	s_and_b32 s99, s7, s2
	v_lshl_add_u32 v28, v27, 6, v4
	v_cmp_eq_u32_e64 s4, 7, v15
	v_cmp_ne_u32_e64 s5, 7, v15
	v_cmp_eq_u32_e64 s7, 6, v15
	v_lshlrev_b32_e32 v55, 3, v15
	v_add_nc_u32_e32 v53, 0x8000, v14
	s_and_b32 s102, s4, s3
	v_cmp_gt_u32_e64 s4, 6, v15
	s_and_b32 s103, s5, s3
	v_cmp_eq_u32_e64 s5, 5, v15
	s_and_b32 s104, s7, s3
	v_cmp_gt_u32_e64 s7, 5, v15
	s_and_b32 vcc_hi, s4, s3
	v_cmp_eq_u32_e64 s4, 4, v15
	s_and_b32 s36, s5, s3
	v_cmp_gt_u32_e64 s5, 4, v15
	s_and_b32 s37, s7, s3
	v_cmp_eq_u32_e64 s7, 3, v15
	s_and_b32 s38, s4, s3
	v_cmp_gt_u32_e64 s4, 3, v15
	s_and_b32 s39, s5, s3
	v_cmp_eq_u32_e64 s5, 2, v15
	v_lshrrev_b32_e32 v14, 4, v34
	v_sub_nc_u32_e32 v56, v55, v2
	s_and_b32 s41, s4, s3
	v_cmp_eq_u32_e64 s4, 1, v15
	s_and_b32 s42, s5, s3
	v_cmp_eq_u32_e64 s5, 0, v15
	v_and_b32_e32 v2, 15, v0
	s_and_b32 s40, s7, s3
	s_and_b32 s44, s4, s3
	v_cmp_gt_u32_e64 s4, 8, v4
	v_cmp_gt_u32_e64 s7, 2, v15
	s_and_b32 s45, s5, s3
	v_cmp_eq_u32_e64 s5, 15, v2
	s_and_b32 s100, s8, s2
	s_and_b32 s46, s1, s4
	v_cmp_gt_u32_e64 s4, 0x100, v34
	s_and_b32 s43, s7, s3
	v_cmp_ne_u32_e64 s7, 15, v2
	v_cmp_eq_u32_e64 s8, 14, v2
	v_cmp_gt_u32_e64 s9, 14, v2
	s_and_b32 s5, s5, s4
	v_mad_u32_u24 v6, v42, s6, v4
	v_writelane_b32 v97, s5, 6
	v_cmp_eq_u32_e64 s5, 13, v2
	s_and_b32 s48, s7, s4
	v_cmp_gt_u32_e64 s7, 13, v2
	s_and_b32 s49, s8, s4
	s_and_b32 s50, s9, s4
	;; [unrolled: 1-line block ×3, first 2 shown]
	v_cmp_gt_u32_e64 s5, 12, v2
	s_and_b32 s52, s7, s4
	v_cmp_gt_u32_e64 s7, 11, v2
	v_cmp_eq_u32_e64 s8, 12, v2
	v_cmp_eq_u32_e64 s9, 11, v2
	s_and_b32 s54, s5, s4
	v_cmp_eq_u32_e64 s5, 10, v2
	s_and_b32 s56, s7, s4
	;; [unrolled: 2-line block ×3, first 2 shown]
	s_and_b32 s55, s9, s4
	s_and_b32 s57, s5, s4
	v_cmp_eq_u32_e64 s5, 8, v2
	s_and_b32 s61, s7, s4
	v_cmp_gt_u32_e64 s7, 8, v2
	v_cmp_gt_u32_e64 s8, 10, v2
	;; [unrolled: 1-line block ×3, first 2 shown]
	s_and_b32 s63, s5, s4
	v_cmp_gt_u32_e64 s5, 7, v2
	s_and_b32 s12, s7, s4
	v_cmp_gt_u32_e64 s7, 6, v2
	s_and_b32 s58, s8, s4
	s_and_b32 s62, s9, s4
	;; [unrolled: 1-line block ×3, first 2 shown]
	v_cmp_eq_u32_e64 s5, 5, v2
	v_cmp_eq_u32_e64 s8, 7, v2
	;; [unrolled: 1-line block ×3, first 2 shown]
	s_and_b32 s27, s7, s4
	v_cmp_eq_u32_e64 s7, 4, v2
	s_and_b32 s29, s5, s4
	v_cmp_eq_u32_e64 s5, 3, v2
	v_lshlrev_b32_e32 v19, 9, v14
	s_and_b32 s13, s8, s4
	s_and_b32 s25, s9, s4
	v_cmp_gt_u32_e64 s8, 5, v2
	v_cmp_gt_u32_e64 s9, 4, v2
	s_and_b32 s34, s7, s4
	v_cmp_gt_u32_e64 s7, 3, v2
	v_lshrrev_b32_e32 v25, 5, v34
	v_lshlrev_b32_e32 v59, 3, v2
	s_and_b32 s26, s5, s4
	v_cmp_gt_u32_e64 s5, 2, v2
	v_lshl_add_u32 v57, v14, 3, 0x8000
	s_and_b32 s31, s8, s4
	s_and_b32 s24, s9, s4
	v_cmp_eq_u32_e64 s8, 2, v2
	v_cmp_eq_u32_e64 s9, 1, v2
	s_and_b32 s28, s7, s4
	v_cmp_eq_u32_e64 s7, 0, v2
	v_add_nc_u64_e32 v[14:15], s[10:11], v[6:7]
	v_dual_sub_nc_u32 v58, 0, v19 :: v_dual_bitop2_b32 v7, 31, v0 bitop3:0x40
	v_dual_lshlrev_b32 v0, 9, v25 :: v_dual_add_nc_u32 v2, s10, v6
	v_dual_sub_nc_u32 v60, v59, v19 :: v_dual_add_nc_u32 v19, v26, v1
	v_lshl_add_u32 v61, v25, 3, 0x8000
	v_lshl_add_u32 v25, v26, 6, v4
	v_dual_add_nc_u32 v1, v27, v1 :: v_dual_lshlrev_b32 v29, 9, v7
	s_and_b32 s33, s5, s4
	v_cmp_gt_u32_e64 s5, 16, v4
	v_cmp_le_i32_e64 s14, s15, v4
	s_xor_b32 s91, vcc_lo, -1
	v_dual_cndmask_b32 v25, v25, v19 :: v_dual_sub_nc_u32 v66, 0, v29
	v_cndmask_b32_e32 v28, v28, v1, vcc_lo
	v_cmp_gt_u32_e32 vcc_lo, 32, v4
	s_and_b32 s10, s1, s5
	s_movk_i32 s5, 0x3800
	s_and_b32 s11, s14, s16
	v_cmp_gt_i32_e64 s6, s15, v4
	s_and_b32 s73, s7, s4
	v_mad_u32_u24 v64, 0x208, v7, s5
	s_xor_b32 s5, s11, -1
	s_and_b32 s7, s1, vcc_lo
	s_and_b32 s30, s8, s4
	s_and_b32 s72, s9, s4
	v_writelane_b32 v97, s7, 7
	s_and_b32 s70, s1, s5
	s_cmp_gt_i32 s88, 0
	v_subrev_nc_u32_e32 v19, 48, v16
	s_cselect_b32 s71, -1, 0
	v_cmp_gt_i32_e64 s5, s87, v12
	v_cmp_gt_i32_e32 vcc_lo, s87, v8
	s_and_b32 s6, s1, s6
	v_mul_lo_u32 v29, v17, 6
	v_writelane_b32 v97, s6, 8
	v_subrev_nc_u32_e32 v17, 32, v16
	s_and_b32 s6, vcc_lo, s5
	v_cmp_gt_i32_e32 vcc_lo, s87, v19
	v_dual_add_nc_u32 v30, -16, v16 :: v_dual_lshlrev_b32 v80, 3, v25
	v_writelane_b32 v97, s6, 9
	v_cmp_gt_i32_e64 s6, s87, v17
	s_and_b32 s7, vcc_lo, s5
	v_cmp_gt_i32_e32 vcc_lo, s87, v30
	v_cmp_ne_u32_e64 s16, v4, v22
	v_writelane_b32 v97, s7, 10
	s_and_b32 s6, s6, s5
	v_cmp_ne_u32_e64 s17, v4, v26
	v_cmp_ne_u32_e64 s18, v4, v27
	v_cmp_gt_u32_e64 s35, 0xf0, v34
	v_writelane_b32 v97, s6, 11
	s_and_b32 s6, vcc_lo, s5
	v_cmp_le_i32_e32 vcc_lo, s15, v42
	v_cmp_gt_u32_e64 s47, 0x3e0, v34
	v_mad_u32_u24 v48, 0x1f8, v4, v46
	v_writelane_b32 v97, s6, 12
	v_cmp_ge_u32_e64 s6, v4, v42
	s_or_b32 s7, vcc_lo, s14
	v_cmp_le_i32_e32 vcc_lo, s15, v22
	v_mad_i32_i24 v65, 0xfffffe08, v4, v48
	v_mad_nc_u64_u32 v[16:17], s64, v22, v[20:21]
	s_or_b32 s7, s7, s6
	v_dual_lshlrev_b32 v62, 3, v7 :: v_dual_sub_nc_u32 v63, 0, v0
	v_writelane_b32 v97, s7, 13
	v_cmp_ge_u32_e64 s7, v4, v22
	s_or_b32 s8, vcc_lo, s14
	v_cmp_le_i32_e32 vcc_lo, s15, v26
	v_mad_u32_u24 v68, 0x1f8, v4, v65
	v_dual_sub_nc_u32 v67, v62, v0 :: v_dual_lshlrev_b32 v76, 3, v23
	s_or_b32 s8, s8, s7
	s_or_b32 s9, vcc_lo, s14
	v_writelane_b32 v97, s8, 14
	v_cmp_ge_u32_e64 s8, v4, v26
	v_cmp_le_i32_e32 vcc_lo, s15, v27
	v_mad_i32_i24 v69, 0xfffffe08, v4, v68
	v_dual_lshlrev_b32 v81, 3, v28 :: v_dual_lshlrev_b32 v23, 3, v42
	s_or_b32 s9, s9, s8
	s_or_b32 s15, vcc_lo, s14
	v_writelane_b32 v97, s9, 15
	v_cmp_ge_u32_e64 s9, v4, v27
	v_mad_u32_u24 v70, 0x1f8, v4, v69
	v_mul_u64_e32 v[10:11], s[64:65], v[12:13]
	v_mul_u64_e32 v[0:1], s[74:75], v[12:13]
	;; [unrolled: 1-line block ×3, first 2 shown]
	s_or_b32 s15, s15, s9
	v_mad_i32_i24 v71, 0xfffffe08, v4, v70
	v_writelane_b32 v97, s15, 16
	v_cmp_ne_u32_e64 s15, v4, v42
	v_mad_u32 v17, s65, v22, v17
	v_or_b32_e32 v84, 0xa000, v23
	v_mad_u32_u24 v72, 0x1f8, v4, v71
	v_or_b32_e32 v36, v22, v4
	v_writelane_b32 v97, s15, 17
	s_or_b32 s15, s14, s15
	v_mul_u32_u24_e32 v18, 0x1f8, v4
	v_mad_i32_i24 v73, 0xfffffe08, v4, v72
	v_mad_nc_u64_u32 v[14:15], s64, v42, v[20:21]
	v_writelane_b32 v97, s15, 18
	s_or_b32 s15, s14, s16
	v_mad_u32 v29, v18, 7, v29
	v_mad_u32_u24 v74, 0x1f8, v4, v73
	v_mad_nc_u64_u32 v[18:19], s64, v26, v[20:21]
	v_writelane_b32 v97, s16, 19
	v_mad_nc_u64_u32 v[20:21], s64, v27, v[20:21]
	v_dual_add_nc_u32 v91, v84, v46 :: v_dual_bitop2_b32 v37, v26, v4 bitop3:0x54
	v_mad_i32_i24 v75, 0xfffffe08, v4, v74
	v_writelane_b32 v97, s15, 20
	s_or_b32 s15, s14, s17
	s_or_b32 s14, s14, s18
	v_mad_u32 v15, s65, v42, v15
	v_mad_u32_u24 v79, 0x1f8, v4, v75
	v_writelane_b32 v97, s17, 21
	v_mad_u32 v19, s65, v26, v19
	v_mad_u32 v21, s65, v27, v21
	v_mul_u32_u24_e32 v30, 0x1f0, v4
	v_mad_i32_i24 v82, 0xfffffe08, v4, v79
	v_writelane_b32 v97, s15, 22
	v_or_b32_e32 v38, v27, v4
	s_delay_alu instid0(VALU_DEP_4) | instskip(NEXT) | instid1(VALU_DEP_4)
	v_dual_lshlrev_b32 v77, 3, v24 :: v_dual_sub_nc_u32 v78, v29, v30
	v_mad_u32_u24 v83, 0x1f8, v4, v82
	v_writelane_b32 v97, s18, 23
	v_cmp_lt_u32_e32 vcc_lo, 0x3ff, v34
	v_mov_b64_e32 v[24:25], 0
	v_mul_u32_u24_e32 v86, 0x208, v7
	v_add_nc_u32_e32 v85, v83, v23
	v_writelane_b32 v97, s14, 24
	v_mul_u64_e32 v[22:23], s[74:75], v[2:3]
	v_lshl_add_u32 v87, v6, 3, 0xa000
	v_lshl_add_u32 v88, v34, 3, 0x8000
	v_add_nc_u32_e32 v89, 0x8000, v46
	v_writelane_b32 v97, s35, 25
	v_cmp_gt_u32_e64 s35, 0xe0, v34
	v_lshl_add_u32 v90, v42, 9, v75
	v_cmp_eq_u32_e64 s14, 0, v35
	v_cmp_gt_u32_e64 s15, 2, v34
	v_cmp_gt_u32_e64 s16, 12, v34
	v_writelane_b32 v97, s35, 26
	v_cmp_gt_u32_e64 s35, 0xd0, v34
	v_cmp_gt_u32_e64 s17, 8, v34
	;; [unrolled: 1-line block ×5, first 2 shown]
	v_writelane_b32 v97, s35, 27
	v_cmp_gt_u32_e64 s35, 0xc0, v34
	v_cmp_gt_u32_e64 s21, 32, v34
	;; [unrolled: 1-line block ×3, first 2 shown]
	v_cmp_eq_u32_e64 s59, 0, v6
	v_cmp_gt_u32_e64 s60, 64, v6
	v_writelane_b32 v97, s35, 28
	v_cmp_gt_u32_e64 s35, 0xb0, v34
	s_xor_b32 s64, vcc_lo, -1
                                        ; implicit-def: $vgpr26_vgpr27
                                        ; implicit-def: $vgpr28_vgpr29
                                        ; implicit-def: $vgpr30_vgpr31
	v_writelane_b32 v97, s35, 29
	v_cmp_gt_u32_e64 s35, 0xa0, v34
	s_delay_alu instid0(VALU_DEP_1) | instskip(SKIP_1) | instid1(VALU_DEP_1)
	v_writelane_b32 v97, s35, 30
	v_cmp_gt_u32_e64 s35, 0x90, v34
	v_writelane_b32 v97, s35, 31
	v_cmp_gt_u32_e64 s35, 0x80, v34
	s_delay_alu instid0(VALU_DEP_1) | instskip(SKIP_1) | instid1(VALU_DEP_1)
	v_writelane_b32 v96, s35, 0
	v_cmp_gt_u32_e64 s35, 0x70, v34
	;; [unrolled: 5-line block ×3, first 2 shown]
	v_writelane_b32 v96, s35, 3
	v_cmp_gt_u32_e64 s35, 0x400, v34
	v_writelane_b32 v96, s47, 4
	v_cmp_gt_u32_e64 s47, 0x3c0, v34
	s_delay_alu instid0(VALU_DEP_1) | instskip(SKIP_1) | instid1(VALU_DEP_1)
	v_writelane_b32 v96, s47, 5
	v_cmp_gt_u32_e64 s47, 0x3a0, v34
	v_writelane_b32 v96, s47, 6
	v_cmp_gt_u32_e64 s47, 0x380, v34
	s_delay_alu instid0(VALU_DEP_1) | instskip(SKIP_1) | instid1(VALU_DEP_1)
	v_writelane_b32 v96, s47, 7
	v_cmp_gt_u32_e64 s47, 0x360, v34
	v_writelane_b32 v96, s47, 8
	v_cmp_gt_u32_e64 s47, 0x340, v34
	s_delay_alu instid0(VALU_DEP_1) | instskip(SKIP_1) | instid1(VALU_DEP_1)
	v_writelane_b32 v96, s47, 9
	v_cmp_gt_u32_e64 s47, 0x320, v34
	v_writelane_b32 v96, s47, 10
	v_cmp_gt_u32_e64 s47, 0x300, v34
	s_delay_alu instid0(VALU_DEP_1) | instskip(SKIP_1) | instid1(VALU_DEP_1)
	v_writelane_b32 v96, s47, 11
	v_cmp_gt_u32_e64 s47, 0x2e0, v34
	v_writelane_b32 v96, s47, 12
	v_cmp_gt_u32_e64 s47, 0x2c0, v34
	s_delay_alu instid0(VALU_DEP_1) | instskip(SKIP_1) | instid1(VALU_DEP_1)
	v_writelane_b32 v96, s47, 13
	v_cmp_gt_u32_e64 s47, 0x2a0, v34
	v_writelane_b32 v96, s47, 14
	v_cmp_gt_u32_e64 s47, 0x280, v34
	s_delay_alu instid0(VALU_DEP_1) | instskip(SKIP_1) | instid1(VALU_DEP_1)
	v_writelane_b32 v96, s47, 15
	v_cmp_gt_u32_e64 s47, 0x260, v34
	v_writelane_b32 v96, s47, 16
	v_cmp_gt_u32_e64 s47, 0x240, v34
	s_delay_alu instid0(VALU_DEP_1) | instskip(SKIP_1) | instid1(VALU_DEP_1)
	v_writelane_b32 v96, s47, 17
	v_cmp_gt_u32_e64 s47, 0x220, v34
	v_writelane_b32 v96, s47, 18
	v_cmp_gt_u32_e64 s47, 0x200, v34
	s_delay_alu instid0(VALU_DEP_1) | instskip(SKIP_1) | instid1(VALU_DEP_1)
	v_writelane_b32 v96, s47, 19
	v_cmp_gt_u32_e64 s47, 0x1e0, v34
	v_writelane_b32 v96, s47, 20
	v_cmp_gt_u32_e64 s47, 0x1c0, v34
	s_delay_alu instid0(VALU_DEP_1) | instskip(SKIP_1) | instid1(VALU_DEP_1)
	v_writelane_b32 v96, s47, 21
	v_cmp_gt_u32_e64 s47, 0x1a0, v34
	v_writelane_b32 v96, s47, 22
	v_cmp_gt_u32_e64 s47, 0x180, v34
	s_delay_alu instid0(VALU_DEP_1) | instskip(SKIP_1) | instid1(VALU_DEP_1)
	v_writelane_b32 v96, s47, 23
	v_cmp_gt_u32_e64 s47, 0x160, v34
	v_writelane_b32 v96, s47, 24
	v_cmp_gt_u32_e64 s47, 0x140, v34
	s_delay_alu instid0(VALU_DEP_1) | instskip(SKIP_1) | instid1(VALU_DEP_1)
	v_writelane_b32 v96, s47, 25
	v_cmp_gt_u32_e64 s47, 0x120, v34
	v_writelane_b32 v96, s47, 26
	v_cmp_gt_u32_e64 s47, 64, v35
	s_delay_alu instid0(VALU_DEP_1) | instskip(SKIP_1) | instid1(VALU_DEP_1)
	v_writelane_b32 v96, s47, 27
	v_cmp_gt_u32_e64 s47, 64, v36
	v_writelane_b32 v96, s47, 28
	v_cmp_gt_u32_e64 s47, 64, v37
	s_delay_alu instid0(VALU_DEP_1) | instskip(SKIP_1) | instid1(VALU_DEP_1)
	v_writelane_b32 v96, s47, 29
	v_cmp_gt_u32_e64 s47, 64, v38
	v_writelane_b32 v96, s47, 30
	s_branch .LBB42_3
.LBB42_2:                               ;   in Loop: Header=BB42_3 Depth=1
	s_wait_xcnt 0x0
	s_or_b32 exec_lo, exec_lo, s47
	v_readlane_b32 s47, v97, 0
	s_add_co_i32 s80, s80, 0x10000
	global_wb scope:SCOPE_DEV
	s_wait_storecnt 0x0
	global_inv scope:SCOPE_DEV
	s_cmp_lt_u32 s80, s47
	s_cbranch_scc0 .LBB42_1149
.LBB42_3:                               ; =>This Loop Header: Depth=1
                                        ;     Child Loop BB42_553 Depth 2
                                        ;     Child Loop BB42_1002 Depth 2
                                        ;       Child Loop BB42_1004 Depth 3
                                        ;     Child Loop BB42_1039 Depth 2
	v_readlane_b32 s84, v97, 1
	v_readlane_b32 s85, v97, 2
	s_mul_u64 s[82:83], s[66:67], s[80:81]
	v_readlane_b32 s47, v97, 5
	s_lshl_b64 s[82:83], s[82:83], 3
	s_delay_alu instid0(SALU_CYCLE_1)
	s_add_nc_u64 s[82:83], s[84:85], s[82:83]
	s_and_not1_b32 vcc_lo, exec_lo, s47
	v_lshl_add_u64 v[34:35], v[10:11], 3, s[82:83]
	s_cbranch_vccz .LBB42_6
; %bb.4:                                ;   in Loop: Header=BB42_3 Depth=1
	s_and_not1_b32 vcc_lo, exec_lo, s90
	s_mov_b32 s47, -1
	s_cbranch_vccz .LBB42_15
.LBB42_5:                               ;   in Loop: Header=BB42_3 Depth=1
	s_and_b32 vcc_lo, exec_lo, s47
	s_cbranch_vccnz .LBB42_25
	s_branch .LBB42_66
.LBB42_6:                               ;   in Loop: Header=BB42_3 Depth=1
	v_mov_b64_e32 v[28:29], 0
	v_mov_b64_e32 v[26:27], 0
	s_delay_alu instid0(VALU_DEP_3)
	v_lshl_add_u64 v[36:37], v[8:9], 3, v[34:35]
	s_barrier_signal -1
	s_barrier_wait -1
	s_mov_b32 s47, exec_lo
	v_readlane_b32 s65, v97, 9
	s_and_b32 s65, s47, s65
	s_delay_alu instid0(SALU_CYCLE_1)
	s_mov_b32 exec_lo, s65
	s_cbranch_execz .LBB42_8
; %bb.7:                                ;   in Loop: Header=BB42_3 Depth=1
	global_load_b64 v[26:27], v[36:37], off
.LBB42_8:                               ;   in Loop: Header=BB42_3 Depth=1
	s_wait_xcnt 0x0
	s_or_b32 exec_lo, exec_lo, s47
	s_wait_loadcnt 0x0
	s_barrier_signal -1
	s_barrier_wait -1
	s_mov_b32 s47, exec_lo
	v_readlane_b32 s65, v97, 10
	s_and_b32 s65, s47, s65
	s_delay_alu instid0(SALU_CYCLE_1)
	s_mov_b32 exec_lo, s65
	s_cbranch_execz .LBB42_10
; %bb.9:                                ;   in Loop: Header=BB42_3 Depth=1
	global_load_b64 v[28:29], v[36:37], off offset:128
.LBB42_10:                              ;   in Loop: Header=BB42_3 Depth=1
	s_wait_xcnt 0x0
	s_or_b32 exec_lo, exec_lo, s47
	v_mov_b64_e32 v[32:33], 0
	v_mov_b64_e32 v[30:31], 0
	s_wait_loadcnt 0x0
	s_barrier_signal -1
	s_barrier_wait -1
	s_mov_b32 s47, exec_lo
	v_readlane_b32 s65, v97, 11
	s_and_b32 s65, s47, s65
	s_delay_alu instid0(SALU_CYCLE_1)
	s_mov_b32 exec_lo, s65
	s_cbranch_execz .LBB42_12
; %bb.11:                               ;   in Loop: Header=BB42_3 Depth=1
	global_load_b64 v[30:31], v[36:37], off offset:256
.LBB42_12:                              ;   in Loop: Header=BB42_3 Depth=1
	s_wait_xcnt 0x0
	s_or_b32 exec_lo, exec_lo, s47
	s_wait_loadcnt 0x0
	s_barrier_signal -1
	s_barrier_wait -1
	s_mov_b32 s47, exec_lo
	v_readlane_b32 s65, v97, 12
	s_and_b32 s65, s47, s65
	s_delay_alu instid0(SALU_CYCLE_1)
	s_mov_b32 exec_lo, s65
	s_cbranch_execz .LBB42_14
; %bb.13:                               ;   in Loop: Header=BB42_3 Depth=1
	global_load_b64 v[32:33], v[36:37], off offset:384
.LBB42_14:                              ;   in Loop: Header=BB42_3 Depth=1
	s_wait_xcnt 0x0
	s_or_b32 exec_lo, exec_lo, s47
	s_delay_alu instid0(SALU_CYCLE_1)
	s_and_not1_b32 vcc_lo, exec_lo, s90
	s_mov_b32 s47, -1
	s_cbranch_vccnz .LBB42_5
.LBB42_15:                              ;   in Loop: Header=BB42_3 Depth=1
	s_and_saveexec_b32 s47, s6
	s_delay_alu instid0(SALU_CYCLE_1)
	s_xor_b32 s65, exec_lo, s47
	s_cbranch_execnz .LBB42_1060
; %bb.16:                               ;   in Loop: Header=BB42_3 Depth=1
	s_and_not1_saveexec_b32 s65, s65
	s_cbranch_execnz .LBB42_1067
.LBB42_17:                              ;   in Loop: Header=BB42_3 Depth=1
	s_or_b32 exec_lo, exec_lo, s65
	s_and_saveexec_b32 s47, s7
	s_delay_alu instid0(SALU_CYCLE_1)
	s_xor_b32 s65, exec_lo, s47
	s_cbranch_execnz .LBB42_1068
.LBB42_18:                              ;   in Loop: Header=BB42_3 Depth=1
	s_and_not1_saveexec_b32 s65, s65
	s_cbranch_execnz .LBB42_1075
.LBB42_19:                              ;   in Loop: Header=BB42_3 Depth=1
	s_or_b32 exec_lo, exec_lo, s65
	s_and_saveexec_b32 s47, s8
	s_delay_alu instid0(SALU_CYCLE_1)
	s_xor_b32 s65, exec_lo, s47
	s_cbranch_execnz .LBB42_1076
.LBB42_20:                              ;   in Loop: Header=BB42_3 Depth=1
	s_and_not1_saveexec_b32 s65, s65
	s_cbranch_execnz .LBB42_1083
.LBB42_21:                              ;   in Loop: Header=BB42_3 Depth=1
	s_or_b32 exec_lo, exec_lo, s65
	s_and_saveexec_b32 s47, s9
	s_delay_alu instid0(SALU_CYCLE_1)
	s_xor_b32 s65, exec_lo, s47
	s_cbranch_execnz .LBB42_1084
.LBB42_22:                              ;   in Loop: Header=BB42_3 Depth=1
	s_and_not1_saveexec_b32 s65, s65
	s_cbranch_execz .LBB42_24
.LBB42_23:                              ;   in Loop: Header=BB42_3 Depth=1
	v_lshl_add_u64 v[36:37], v[20:21], 3, s[82:83]
	global_load_b64 v[36:37], v[36:37], off
	s_wait_loadcnt 0x0
	v_xor_b32_e32 v37, 0x80000000, v37
	ds_store_b64 v81, v[36:37]
.LBB42_24:                              ;   in Loop: Header=BB42_3 Depth=1
	s_or_b32 exec_lo, exec_lo, s65
	s_branch .LBB42_66
.LBB42_25:                              ;   in Loop: Header=BB42_3 Depth=1
	v_readlane_b32 s65, v97, 13
	s_and_saveexec_b32 s47, s65
	s_delay_alu instid0(SALU_CYCLE_1)
	s_xor_b32 s65, exec_lo, s47
	s_cbranch_execz .LBB42_33
; %bb.26:                               ;   in Loop: Header=BB42_3 Depth=1
	v_readlane_b32 s84, v97, 18
	s_and_saveexec_b32 s47, s84
	s_delay_alu instid0(SALU_CYCLE_1)
	s_xor_b32 s84, exec_lo, s47
	s_cbranch_execz .LBB42_30
; %bb.27:                               ;   in Loop: Header=BB42_3 Depth=1
	s_mov_b32 s47, exec_lo
	v_readlane_b32 s85, v96, 27
	s_and_b32 s85, s47, s85
	s_delay_alu instid0(SALU_CYCLE_1)
	s_mov_b32 exec_lo, s85
; %bb.28:                               ;   in Loop: Header=BB42_3 Depth=1
	ds_store_b64 v85, v[24:25]
; %bb.29:                               ;   in Loop: Header=BB42_3 Depth=1
	s_or_b32 exec_lo, exec_lo, s47
.LBB42_30:                              ;   in Loop: Header=BB42_3 Depth=1
	s_and_not1_saveexec_b32 s84, s84
	s_cbranch_execz .LBB42_32
; %bb.31:                               ;   in Loop: Header=BB42_3 Depth=1
	v_lshl_add_u64 v[36:37], v[14:15], 3, s[82:83]
	global_load_b64 v[36:37], v[36:37], off
	s_wait_loadcnt 0x0
	v_div_scale_f64 v[38:39], null, v[36:37], v[36:37], 1.0
	s_delay_alu instid0(VALU_DEP_1) | instskip(SKIP_1) | instid1(TRANS32_DEP_1)
	v_rcp_f64_e32 v[40:41], v[38:39]
	v_nop
	v_fma_f64 v[92:93], -v[38:39], v[40:41], 1.0
	s_delay_alu instid0(VALU_DEP_1) | instskip(NEXT) | instid1(VALU_DEP_1)
	v_fmac_f64_e32 v[40:41], v[40:41], v[92:93]
	v_fma_f64 v[92:93], -v[38:39], v[40:41], 1.0
	s_delay_alu instid0(VALU_DEP_1) | instskip(SKIP_1) | instid1(VALU_DEP_1)
	v_fmac_f64_e32 v[40:41], v[40:41], v[92:93]
	v_div_scale_f64 v[92:93], vcc_lo, 1.0, v[36:37], 1.0
	v_mul_f64_e32 v[94:95], v[92:93], v[40:41]
	s_delay_alu instid0(VALU_DEP_1) | instskip(NEXT) | instid1(VALU_DEP_1)
	v_fma_f64 v[38:39], -v[38:39], v[94:95], v[92:93]
	v_div_fmas_f64 v[38:39], v[38:39], v[40:41], v[94:95]
	s_delay_alu instid0(VALU_DEP_1)
	v_div_fixup_f64 v[36:37], v[38:39], v[36:37], 1.0
	ds_store_b64 v85, v[36:37]
.LBB42_32:                              ;   in Loop: Header=BB42_3 Depth=1
	s_or_b32 exec_lo, exec_lo, s84
.LBB42_33:                              ;   in Loop: Header=BB42_3 Depth=1
	s_and_not1_saveexec_b32 s65, s65
	s_cbranch_execz .LBB42_35
; %bb.34:                               ;   in Loop: Header=BB42_3 Depth=1
	v_lshl_add_u64 v[36:37], v[14:15], 3, s[82:83]
	global_load_b64 v[36:37], v[36:37], off
	s_wait_loadcnt 0x0
	v_xor_b32_e32 v37, 0x80000000, v37
	ds_store_b64 v85, v[36:37]
.LBB42_35:                              ;   in Loop: Header=BB42_3 Depth=1
	s_or_b32 exec_lo, exec_lo, s65
	v_readlane_b32 s65, v97, 14
	s_and_saveexec_b32 s47, s65
	s_delay_alu instid0(SALU_CYCLE_1)
	s_xor_b32 s65, exec_lo, s47
	s_cbranch_execz .LBB42_43
; %bb.36:                               ;   in Loop: Header=BB42_3 Depth=1
	v_readlane_b32 s84, v97, 20
	s_and_saveexec_b32 s47, s84
	s_delay_alu instid0(SALU_CYCLE_1)
	s_xor_b32 s84, exec_lo, s47
	s_cbranch_execz .LBB42_40
; %bb.37:                               ;   in Loop: Header=BB42_3 Depth=1
	s_mov_b32 s47, exec_lo
	v_readlane_b32 s85, v96, 28
	s_and_b32 s85, s47, s85
	s_delay_alu instid0(SALU_CYCLE_1)
	s_mov_b32 exec_lo, s85
; %bb.38:                               ;   in Loop: Header=BB42_3 Depth=1
	ds_store_b64 v77, v[24:25]
; %bb.39:                               ;   in Loop: Header=BB42_3 Depth=1
	s_or_b32 exec_lo, exec_lo, s47
.LBB42_40:                              ;   in Loop: Header=BB42_3 Depth=1
	s_and_not1_saveexec_b32 s84, s84
	s_cbranch_execz .LBB42_42
; %bb.41:                               ;   in Loop: Header=BB42_3 Depth=1
	v_lshl_add_u64 v[36:37], v[16:17], 3, s[82:83]
	global_load_b64 v[36:37], v[36:37], off
	s_wait_loadcnt 0x0
	v_div_scale_f64 v[38:39], null, v[36:37], v[36:37], 1.0
	s_delay_alu instid0(VALU_DEP_1) | instskip(SKIP_1) | instid1(TRANS32_DEP_1)
	v_rcp_f64_e32 v[40:41], v[38:39]
	v_nop
	v_fma_f64 v[92:93], -v[38:39], v[40:41], 1.0
	s_delay_alu instid0(VALU_DEP_1) | instskip(NEXT) | instid1(VALU_DEP_1)
	v_fmac_f64_e32 v[40:41], v[40:41], v[92:93]
	v_fma_f64 v[92:93], -v[38:39], v[40:41], 1.0
	s_delay_alu instid0(VALU_DEP_1) | instskip(SKIP_1) | instid1(VALU_DEP_1)
	v_fmac_f64_e32 v[40:41], v[40:41], v[92:93]
	v_div_scale_f64 v[92:93], vcc_lo, 1.0, v[36:37], 1.0
	v_mul_f64_e32 v[94:95], v[92:93], v[40:41]
	s_delay_alu instid0(VALU_DEP_1) | instskip(NEXT) | instid1(VALU_DEP_1)
	v_fma_f64 v[38:39], -v[38:39], v[94:95], v[92:93]
	v_div_fmas_f64 v[38:39], v[38:39], v[40:41], v[94:95]
	s_delay_alu instid0(VALU_DEP_1)
	v_div_fixup_f64 v[36:37], v[38:39], v[36:37], 1.0
	ds_store_b64 v77, v[36:37]
.LBB42_42:                              ;   in Loop: Header=BB42_3 Depth=1
	s_or_b32 exec_lo, exec_lo, s84
.LBB42_43:                              ;   in Loop: Header=BB42_3 Depth=1
	s_and_not1_saveexec_b32 s65, s65
	s_cbranch_execz .LBB42_45
; %bb.44:                               ;   in Loop: Header=BB42_3 Depth=1
	v_lshl_add_u64 v[36:37], v[16:17], 3, s[82:83]
	global_load_b64 v[36:37], v[36:37], off
	s_wait_loadcnt 0x0
	v_xor_b32_e32 v37, 0x80000000, v37
	ds_store_b64 v77, v[36:37]
.LBB42_45:                              ;   in Loop: Header=BB42_3 Depth=1
	s_or_b32 exec_lo, exec_lo, s65
	;; [unrolled: 59-line block ×4, first 2 shown]
.LBB42_66:                              ;   in Loop: Header=BB42_3 Depth=1
	s_delay_alu instid0(SALU_CYCLE_1)
	s_and_not1_b32 vcc_lo, exec_lo, s91
	s_wait_loadcnt_dscnt 0x0
	s_barrier_signal -1
	s_barrier_wait -1
	s_cbranch_vccnz .LBB42_996
; %bb.67:                               ;   in Loop: Header=BB42_3 Depth=1
	s_and_saveexec_b32 s65, s14
	s_cbranch_execz .LBB42_69
; %bb.68:                               ;   in Loop: Header=BB42_3 Depth=1
	ds_load_b128 v[36:39], v3 offset:32752
	ds_load_b64 v[40:41], v3 offset:32240
	v_add_nc_u32_e64 v2, 0x7800, 0
	s_wait_dscnt 0x0
	v_mul_f64_e32 v[38:39], v[40:41], v[38:39]
	s_delay_alu instid0(VALU_DEP_1)
	v_mul_f64_e32 v[36:37], v[36:37], v[38:39]
	ds_store_2addr_b64 v2, v[36:37], v[36:37] offset0:191 offset1:254
.LBB42_69:                              ;   in Loop: Header=BB42_3 Depth=1
	s_or_b32 exec_lo, exec_lo, s65
	v_mov_b64_e32 v[36:37], 0
	s_wait_dscnt 0x0
	s_barrier_signal -1
	s_barrier_wait -1
	global_wb scope:SCOPE_DEV
	s_wait_storecnt 0x0
	global_inv scope:SCOPE_DEV
	s_and_saveexec_b32 s65, s0
	s_cbranch_execz .LBB42_73
; %bb.70:                               ;   in Loop: Header=BB42_3 Depth=1
	ds_load_b64 v[36:37], v45 offset:32224
	ds_load_b64 v[38:39], v44 offset:32752
	s_wait_dscnt 0x0
	v_fma_f64 v[36:37], v[36:37], v[38:39], 0
	s_and_saveexec_b32 s47, s15
	s_cbranch_execz .LBB42_72
; %bb.71:                               ;   in Loop: Header=BB42_3 Depth=1
	ds_load_b64 v[38:39], v46 offset:32736
	ds_load_b64 v[40:41], v3 offset:32760
	s_wait_dscnt 0x0
	v_fmac_f64_e32 v[36:37], v[38:39], v[40:41]
.LBB42_72:                              ;   in Loop: Header=BB42_3 Depth=1
	s_or_b32 exec_lo, exec_lo, s47
.LBB42_73:                              ;   in Loop: Header=BB42_3 Depth=1
	s_delay_alu instid0(SALU_CYCLE_1)
	s_or_b32 exec_lo, exec_lo, s65
	s_and_saveexec_b32 s65, s92
	s_cbranch_execz .LBB42_75
; %bb.74:                               ;   in Loop: Header=BB42_3 Depth=1
	ds_load_b64 v[38:39], v3 offset:31720
	s_wait_dscnt 0x0
	v_mul_f64_e32 v[36:37], v[36:37], v[38:39]
	s_delay_alu instid0(VALU_DEP_1) | instskip(NEXT) | instid1(VALU_DEP_2)
	v_xor_b32_e32 v39, 0x80000000, v37
	v_mov_b32_e32 v38, v36
	ds_store_b64 v5, v[38:39]
.LBB42_75:                              ;   in Loop: Header=BB42_3 Depth=1
	s_or_b32 exec_lo, exec_lo, s65
	s_wait_loadcnt_dscnt 0x0
	s_barrier_signal -1
	s_barrier_wait -1
	s_and_saveexec_b32 s47, s93
	s_cbranch_execz .LBB42_77
; %bb.76:                               ;   in Loop: Header=BB42_3 Depth=1
	ds_load_b64 v[38:39], v3 offset:31712
	ds_load_b64 v[40:41], v5
	s_wait_dscnt 0x0
	v_fma_f64 v[36:37], -v[38:39], v[40:41], v[36:37]
.LBB42_77:                              ;   in Loop: Header=BB42_3 Depth=1
	s_or_b32 exec_lo, exec_lo, s47
	s_barrier_signal -1
	s_barrier_wait -1
	s_and_saveexec_b32 s65, s93
	s_cbranch_execz .LBB42_79
; %bb.78:                               ;   in Loop: Header=BB42_3 Depth=1
	ds_load_b64 v[38:39], v3 offset:31200
	s_wait_dscnt 0x0
	v_mul_f64_e32 v[36:37], v[36:37], v[38:39]
	s_delay_alu instid0(VALU_DEP_1) | instskip(NEXT) | instid1(VALU_DEP_2)
	v_xor_b32_e32 v39, 0x80000000, v37
	v_mov_b32_e32 v38, v36
	ds_store_b64 v5, v[38:39]
.LBB42_79:                              ;   in Loop: Header=BB42_3 Depth=1
	s_or_b32 exec_lo, exec_lo, s65
	s_wait_dscnt 0x0
	s_barrier_signal -1
	s_barrier_wait -1
	s_barrier_signal -1
	s_barrier_wait -1
	s_and_saveexec_b32 s47, s0
; %bb.80:                               ;   in Loop: Header=BB42_3 Depth=1
	ds_store_b64 v47, v[36:37] offset:32736
; %bb.81:                               ;   in Loop: Header=BB42_3 Depth=1
	s_or_b32 exec_lo, exec_lo, s47
	s_wait_dscnt 0x0
	s_barrier_signal -1
	s_barrier_wait -1
	s_barrier_signal -1
	s_barrier_wait -1
	s_and_saveexec_b32 s47, s94
	s_cbranch_execz .LBB42_83
; %bb.82:                               ;   in Loop: Header=BB42_3 Depth=1
	ds_load_b64 v[36:37], v48 offset:32224
	s_wait_dscnt 0x0
	ds_store_b64 v46, v[36:37] offset:31216
	ds_load_b64 v[36:37], v48 offset:32232
	s_wait_dscnt 0x0
	ds_store_b64 v46, v[36:37] offset:31728
.LBB42_83:                              ;   in Loop: Header=BB42_3 Depth=1
	s_or_b32 exec_lo, exec_lo, s47
	s_wait_dscnt 0x0
	s_barrier_signal -1
	s_barrier_wait -1
	s_and_saveexec_b32 s65, s14
	s_cbranch_execz .LBB42_85
; %bb.84:                               ;   in Loop: Header=BB42_3 Depth=1
	ds_load_b128 v[36:39], v3 offset:31712
	ds_load_b64 v[40:41], v3 offset:31200
	v_add_nc_u32_e64 v2, 0x7800, 0
	s_wait_dscnt 0x0
	v_mul_f64_e32 v[38:39], v[40:41], v[38:39]
	s_delay_alu instid0(VALU_DEP_1)
	v_mul_f64_e32 v[36:37], v[36:37], v[38:39]
	ds_store_2addr_b64 v2, v[36:37], v[36:37] offset0:61 offset1:124
.LBB42_85:                              ;   in Loop: Header=BB42_3 Depth=1
	s_or_b32 exec_lo, exec_lo, s65
	v_mov_b64_e32 v[36:37], 0
	s_wait_dscnt 0x0
	s_barrier_signal -1
	s_barrier_wait -1
	global_wb scope:SCOPE_DEV
	s_wait_storecnt 0x0
	global_inv scope:SCOPE_DEV
	s_and_saveexec_b32 s65, s2
	s_cbranch_execz .LBB42_91
; %bb.86:                               ;   in Loop: Header=BB42_3 Depth=1
	ds_load_b64 v[36:37], v51 offset:31168
	ds_load_b64 v[38:39], v50 offset:32736
	s_wait_dscnt 0x0
	v_fma_f64 v[36:37], v[36:37], v[38:39], 0
	s_and_saveexec_b32 s47, s16
	s_cbranch_execnz .LBB42_1099
; %bb.87:                               ;   in Loop: Header=BB42_3 Depth=1
	s_or_b32 exec_lo, exec_lo, s47
	s_and_saveexec_b32 s47, s17
	s_cbranch_execnz .LBB42_1100
.LBB42_88:                              ;   in Loop: Header=BB42_3 Depth=1
	s_or_b32 exec_lo, exec_lo, s47
	s_and_saveexec_b32 s47, s0
	s_cbranch_execz .LBB42_90
.LBB42_89:                              ;   in Loop: Header=BB42_3 Depth=1
	ds_load_b64 v[38:39], v65 offset:32704
	ds_load_b64 v[40:41], v3 offset:32760
	s_wait_dscnt 0x0
	v_fmac_f64_e32 v[36:37], v[38:39], v[40:41]
.LBB42_90:                              ;   in Loop: Header=BB42_3 Depth=1
	s_or_b32 exec_lo, exec_lo, s47
.LBB42_91:                              ;   in Loop: Header=BB42_3 Depth=1
	s_delay_alu instid0(SALU_CYCLE_1)
	s_or_b32 exec_lo, exec_lo, s65
	s_and_saveexec_b32 s65, s95
	s_cbranch_execz .LBB42_93
; %bb.92:                               ;   in Loop: Header=BB42_3 Depth=1
	ds_load_b64 v[38:39], v3 offset:30680
	s_wait_dscnt 0x0
	v_mul_f64_e32 v[36:37], v[36:37], v[38:39]
	s_delay_alu instid0(VALU_DEP_1) | instskip(NEXT) | instid1(VALU_DEP_2)
	v_xor_b32_e32 v39, 0x80000000, v37
	v_mov_b32_e32 v38, v36
	ds_store_b64 v49, v[38:39]
.LBB42_93:                              ;   in Loop: Header=BB42_3 Depth=1
	s_or_b32 exec_lo, exec_lo, s65
	s_wait_loadcnt_dscnt 0x0
	s_barrier_signal -1
	s_barrier_wait -1
	s_and_saveexec_b32 s47, s96
	s_cbranch_execz .LBB42_95
; %bb.94:                               ;   in Loop: Header=BB42_3 Depth=1
	ds_load_b64 v[38:39], v51 offset:30656
	ds_load_b64 v[40:41], v49
	s_wait_dscnt 0x0
	v_fma_f64 v[36:37], -v[38:39], v[40:41], v[36:37]
.LBB42_95:                              ;   in Loop: Header=BB42_3 Depth=1
	s_or_b32 exec_lo, exec_lo, s47
	s_barrier_signal -1
	s_barrier_wait -1
	s_and_saveexec_b32 s65, s97
	s_cbranch_execz .LBB42_97
; %bb.96:                               ;   in Loop: Header=BB42_3 Depth=1
	ds_load_b64 v[38:39], v3 offset:30160
	s_wait_dscnt 0x0
	v_mul_f64_e32 v[36:37], v[36:37], v[38:39]
	s_delay_alu instid0(VALU_DEP_1) | instskip(NEXT) | instid1(VALU_DEP_2)
	v_xor_b32_e32 v39, 0x80000000, v37
	v_mov_b32_e32 v38, v36
	ds_store_b64 v49, v[38:39]
.LBB42_97:                              ;   in Loop: Header=BB42_3 Depth=1
	s_or_b32 exec_lo, exec_lo, s65
	s_wait_dscnt 0x0
	s_barrier_signal -1
	s_barrier_wait -1
	s_and_saveexec_b32 s47, s98
	s_cbranch_execz .LBB42_99
; %bb.98:                               ;   in Loop: Header=BB42_3 Depth=1
	ds_load_b64 v[38:39], v51 offset:30144
	ds_load_b64 v[40:41], v49
	s_wait_dscnt 0x0
	v_fma_f64 v[36:37], -v[38:39], v[40:41], v[36:37]
.LBB42_99:                              ;   in Loop: Header=BB42_3 Depth=1
	s_or_b32 exec_lo, exec_lo, s47
	s_barrier_signal -1
	s_barrier_wait -1
	s_and_saveexec_b32 s65, s99
	s_cbranch_execz .LBB42_101
; %bb.100:                              ;   in Loop: Header=BB42_3 Depth=1
	ds_load_b64 v[38:39], v3 offset:29640
	s_wait_dscnt 0x0
	v_mul_f64_e32 v[36:37], v[36:37], v[38:39]
	s_delay_alu instid0(VALU_DEP_1) | instskip(NEXT) | instid1(VALU_DEP_2)
	v_xor_b32_e32 v39, 0x80000000, v37
	v_mov_b32_e32 v38, v36
	ds_store_b64 v49, v[38:39]
.LBB42_101:                             ;   in Loop: Header=BB42_3 Depth=1
	s_or_b32 exec_lo, exec_lo, s65
	s_wait_dscnt 0x0
	s_barrier_signal -1
	s_barrier_wait -1
	s_and_saveexec_b32 s47, s100
	s_cbranch_execz .LBB42_103
; %bb.102:                              ;   in Loop: Header=BB42_3 Depth=1
	ds_load_b64 v[38:39], v3 offset:29632
	ds_load_b64 v[40:41], v49
	s_wait_dscnt 0x0
	v_fma_f64 v[36:37], -v[38:39], v[40:41], v[36:37]
.LBB42_103:                             ;   in Loop: Header=BB42_3 Depth=1
	s_or_b32 exec_lo, exec_lo, s47
	s_barrier_signal -1
	s_barrier_wait -1
	s_and_saveexec_b32 s65, s100
	s_cbranch_execz .LBB42_105
; %bb.104:                              ;   in Loop: Header=BB42_3 Depth=1
	ds_load_b64 v[38:39], v3 offset:29120
	s_wait_dscnt 0x0
	v_mul_f64_e32 v[36:37], v[36:37], v[38:39]
	s_delay_alu instid0(VALU_DEP_1) | instskip(NEXT) | instid1(VALU_DEP_2)
	v_xor_b32_e32 v39, 0x80000000, v37
	v_mov_b32_e32 v38, v36
	ds_store_b64 v49, v[38:39]
.LBB42_105:                             ;   in Loop: Header=BB42_3 Depth=1
	s_or_b32 exec_lo, exec_lo, s65
	s_wait_dscnt 0x0
	s_barrier_signal -1
	s_barrier_wait -1
	s_barrier_signal -1
	s_barrier_wait -1
	s_and_saveexec_b32 s47, s2
; %bb.106:                              ;   in Loop: Header=BB42_3 Depth=1
	ds_store_b64 v52, v[36:37] offset:32704
; %bb.107:                              ;   in Loop: Header=BB42_3 Depth=1
	s_or_b32 exec_lo, exec_lo, s47
	s_wait_dscnt 0x0
	s_barrier_signal -1
	s_barrier_wait -1
	s_barrier_signal -1
	s_barrier_wait -1
	s_and_saveexec_b32 s65, s101
	s_cbranch_execz .LBB42_109
; %bb.108:                              ;   in Loop: Header=BB42_3 Depth=1
	ds_load_b64 v[36:37], v68 offset:31168
	s_wait_dscnt 0x0
	ds_store_b64 v69, v[36:37] offset:29152
	ds_load_b64 v[36:37], v68 offset:31176
	s_wait_dscnt 0x0
	ds_store_b64 v69, v[36:37] offset:29664
	;; [unrolled: 3-line block ×4, first 2 shown]
.LBB42_109:                             ;   in Loop: Header=BB42_3 Depth=1
	s_or_b32 exec_lo, exec_lo, s65
	s_wait_dscnt 0x0
	s_barrier_signal -1
	s_barrier_wait -1
	s_and_saveexec_b32 s65, s14
	s_cbranch_execz .LBB42_111
; %bb.110:                              ;   in Loop: Header=BB42_3 Depth=1
	ds_load_b128 v[36:39], v3 offset:30672
	ds_load_b64 v[40:41], v3 offset:30160
	v_add_nc_u32_e64 v2, 0x7000, 0
	s_wait_dscnt 0x0
	v_mul_f64_e32 v[38:39], v[40:41], v[38:39]
	s_delay_alu instid0(VALU_DEP_1)
	v_mul_f64_e32 v[36:37], v[36:37], v[38:39]
	ds_store_2addr_b64 v2, v[36:37], v[36:37] offset0:187 offset1:250
.LBB42_111:                             ;   in Loop: Header=BB42_3 Depth=1
	s_or_b32 exec_lo, exec_lo, s65
	v_mov_b64_e32 v[36:37], 0
	s_wait_dscnt 0x0
	s_barrier_signal -1
	s_barrier_wait -1
	global_wb scope:SCOPE_DEV
	s_wait_storecnt 0x0
	global_inv scope:SCOPE_DEV
	s_and_saveexec_b32 s65, s0
	s_cbranch_execz .LBB42_115
; %bb.112:                              ;   in Loop: Header=BB42_3 Depth=1
	ds_load_b64 v[36:37], v45 offset:30144
	ds_load_b64 v[38:39], v44 offset:30672
	s_wait_dscnt 0x0
	v_fma_f64 v[36:37], v[36:37], v[38:39], 0
	s_and_saveexec_b32 s47, s15
	s_cbranch_execz .LBB42_114
; %bb.113:                              ;   in Loop: Header=BB42_3 Depth=1
	ds_load_b64 v[38:39], v69 offset:30656
	ds_load_b64 v[40:41], v3 offset:30680
	s_wait_dscnt 0x0
	v_fmac_f64_e32 v[36:37], v[38:39], v[40:41]
.LBB42_114:                             ;   in Loop: Header=BB42_3 Depth=1
	s_or_b32 exec_lo, exec_lo, s47
.LBB42_115:                             ;   in Loop: Header=BB42_3 Depth=1
	s_delay_alu instid0(SALU_CYCLE_1)
	s_or_b32 exec_lo, exec_lo, s65
	s_and_saveexec_b32 s65, s92
	s_cbranch_execz .LBB42_117
; %bb.116:                              ;   in Loop: Header=BB42_3 Depth=1
	ds_load_b64 v[38:39], v3 offset:29640
	s_wait_dscnt 0x0
	v_mul_f64_e32 v[36:37], v[36:37], v[38:39]
	s_delay_alu instid0(VALU_DEP_1) | instskip(NEXT) | instid1(VALU_DEP_2)
	v_xor_b32_e32 v39, 0x80000000, v37
	v_mov_b32_e32 v38, v36
	ds_store_b64 v5, v[38:39]
.LBB42_117:                             ;   in Loop: Header=BB42_3 Depth=1
	s_or_b32 exec_lo, exec_lo, s65
	s_wait_loadcnt_dscnt 0x0
	s_barrier_signal -1
	s_barrier_wait -1
	s_and_saveexec_b32 s47, s93
	s_cbranch_execz .LBB42_119
; %bb.118:                              ;   in Loop: Header=BB42_3 Depth=1
	ds_load_b64 v[38:39], v3 offset:29632
	ds_load_b64 v[40:41], v5
	s_wait_dscnt 0x0
	v_fma_f64 v[36:37], -v[38:39], v[40:41], v[36:37]
.LBB42_119:                             ;   in Loop: Header=BB42_3 Depth=1
	s_or_b32 exec_lo, exec_lo, s47
	s_barrier_signal -1
	s_barrier_wait -1
	s_and_saveexec_b32 s65, s93
	s_cbranch_execz .LBB42_121
; %bb.120:                              ;   in Loop: Header=BB42_3 Depth=1
	ds_load_b64 v[38:39], v3 offset:29120
	s_wait_dscnt 0x0
	v_mul_f64_e32 v[36:37], v[36:37], v[38:39]
	s_delay_alu instid0(VALU_DEP_1) | instskip(NEXT) | instid1(VALU_DEP_2)
	v_xor_b32_e32 v39, 0x80000000, v37
	v_mov_b32_e32 v38, v36
	ds_store_b64 v5, v[38:39]
.LBB42_121:                             ;   in Loop: Header=BB42_3 Depth=1
	s_or_b32 exec_lo, exec_lo, s65
	s_wait_dscnt 0x0
	s_barrier_signal -1
	s_barrier_wait -1
	s_barrier_signal -1
	s_barrier_wait -1
	s_and_saveexec_b32 s47, s0
; %bb.122:                              ;   in Loop: Header=BB42_3 Depth=1
	ds_store_b64 v47, v[36:37] offset:30656
; %bb.123:                              ;   in Loop: Header=BB42_3 Depth=1
	s_or_b32 exec_lo, exec_lo, s47
	s_wait_dscnt 0x0
	s_barrier_signal -1
	s_barrier_wait -1
	s_barrier_signal -1
	s_barrier_wait -1
	s_and_saveexec_b32 s47, s94
	s_cbranch_execz .LBB42_125
; %bb.124:                              ;   in Loop: Header=BB42_3 Depth=1
	ds_load_b64 v[36:37], v70 offset:30144
	s_wait_dscnt 0x0
	ds_store_b64 v69, v[36:37] offset:29136
	ds_load_b64 v[36:37], v70 offset:30152
	s_wait_dscnt 0x0
	ds_store_b64 v69, v[36:37] offset:29648
.LBB42_125:                             ;   in Loop: Header=BB42_3 Depth=1
	s_or_b32 exec_lo, exec_lo, s47
	s_wait_dscnt 0x0
	s_barrier_signal -1
	s_barrier_wait -1
	s_and_saveexec_b32 s65, s14
	s_cbranch_execz .LBB42_127
; %bb.126:                              ;   in Loop: Header=BB42_3 Depth=1
	ds_load_b128 v[36:39], v3 offset:29632
	ds_load_b64 v[40:41], v3 offset:29120
	v_add_nc_u32_e64 v2, 0x7000, 0
	s_wait_dscnt 0x0
	v_mul_f64_e32 v[38:39], v[40:41], v[38:39]
	s_delay_alu instid0(VALU_DEP_1)
	v_mul_f64_e32 v[36:37], v[36:37], v[38:39]
	ds_store_2addr_b64 v2, v[36:37], v[36:37] offset0:57 offset1:120
.LBB42_127:                             ;   in Loop: Header=BB42_3 Depth=1
	s_or_b32 exec_lo, exec_lo, s65
	v_mov_b64_e32 v[36:37], 0
	s_wait_dscnt 0x0
	s_barrier_signal -1
	s_barrier_wait -1
	global_wb scope:SCOPE_DEV
	s_wait_storecnt 0x0
	global_inv scope:SCOPE_DEV
	s_and_saveexec_b32 s65, s3
	s_cbranch_execz .LBB42_137
; %bb.128:                              ;   in Loop: Header=BB42_3 Depth=1
	ds_load_b64 v[36:37], v55 offset:29056
	ds_load_b64 v[38:39], v54 offset:32704
	s_wait_dscnt 0x0
	v_fma_f64 v[36:37], v[36:37], v[38:39], 0
	s_and_saveexec_b32 s47, s18
	s_cbranch_execnz .LBB42_1101
; %bb.129:                              ;   in Loop: Header=BB42_3 Depth=1
	s_or_b32 exec_lo, exec_lo, s47
	s_and_saveexec_b32 s47, s19
	s_cbranch_execnz .LBB42_1102
.LBB42_130:                             ;   in Loop: Header=BB42_3 Depth=1
	s_or_b32 exec_lo, exec_lo, s47
	s_and_saveexec_b32 s47, s20
	s_cbranch_execnz .LBB42_1103
.LBB42_131:                             ;   in Loop: Header=BB42_3 Depth=1
	s_or_b32 exec_lo, exec_lo, s47
	s_and_saveexec_b32 s47, s21
	s_cbranch_execnz .LBB42_1104
.LBB42_132:                             ;   in Loop: Header=BB42_3 Depth=1
	s_or_b32 exec_lo, exec_lo, s47
	s_and_saveexec_b32 s47, s22
	s_cbranch_execnz .LBB42_1105
.LBB42_133:                             ;   in Loop: Header=BB42_3 Depth=1
	s_or_b32 exec_lo, exec_lo, s47
	s_and_saveexec_b32 s47, s2
	s_cbranch_execnz .LBB42_1106
.LBB42_134:                             ;   in Loop: Header=BB42_3 Depth=1
	s_or_b32 exec_lo, exec_lo, s47
	s_and_saveexec_b32 s47, s17
	s_cbranch_execz .LBB42_136
.LBB42_135:                             ;   in Loop: Header=BB42_3 Depth=1
	ds_load_b64 v[38:39], v71 offset:32640
	ds_load_b64 v[40:41], v3 offset:32760
	s_wait_dscnt 0x0
	v_fmac_f64_e32 v[36:37], v[38:39], v[40:41]
.LBB42_136:                             ;   in Loop: Header=BB42_3 Depth=1
	s_or_b32 exec_lo, exec_lo, s47
.LBB42_137:                             ;   in Loop: Header=BB42_3 Depth=1
	s_delay_alu instid0(SALU_CYCLE_1)
	s_or_b32 exec_lo, exec_lo, s65
	s_and_saveexec_b32 s65, s102
	s_cbranch_execz .LBB42_139
; %bb.138:                              ;   in Loop: Header=BB42_3 Depth=1
	ds_load_b64 v[38:39], v3 offset:28600
	s_wait_dscnt 0x0
	v_mul_f64_e32 v[36:37], v[36:37], v[38:39]
	s_delay_alu instid0(VALU_DEP_1) | instskip(NEXT) | instid1(VALU_DEP_2)
	v_xor_b32_e32 v39, 0x80000000, v37
	v_mov_b32_e32 v38, v36
	ds_store_b64 v53, v[38:39]
.LBB42_139:                             ;   in Loop: Header=BB42_3 Depth=1
	s_or_b32 exec_lo, exec_lo, s65
	s_wait_loadcnt_dscnt 0x0
	s_barrier_signal -1
	s_barrier_wait -1
	s_and_saveexec_b32 s47, s103
	s_cbranch_execz .LBB42_141
; %bb.140:                              ;   in Loop: Header=BB42_3 Depth=1
	ds_load_b64 v[38:39], v55 offset:28544
	ds_load_b64 v[40:41], v53
	s_wait_dscnt 0x0
	v_fma_f64 v[36:37], -v[38:39], v[40:41], v[36:37]
.LBB42_141:                             ;   in Loop: Header=BB42_3 Depth=1
	s_or_b32 exec_lo, exec_lo, s47
	s_barrier_signal -1
	s_barrier_wait -1
	s_and_saveexec_b32 s65, s104
	s_cbranch_execz .LBB42_143
; %bb.142:                              ;   in Loop: Header=BB42_3 Depth=1
	ds_load_b64 v[38:39], v3 offset:28080
	s_wait_dscnt 0x0
	v_mul_f64_e32 v[36:37], v[36:37], v[38:39]
	s_delay_alu instid0(VALU_DEP_1) | instskip(NEXT) | instid1(VALU_DEP_2)
	v_xor_b32_e32 v39, 0x80000000, v37
	v_mov_b32_e32 v38, v36
	ds_store_b64 v53, v[38:39]
.LBB42_143:                             ;   in Loop: Header=BB42_3 Depth=1
	s_or_b32 exec_lo, exec_lo, s65
	s_wait_dscnt 0x0
	s_barrier_signal -1
	s_barrier_wait -1
	s_and_saveexec_b32 s47, vcc_hi
	s_cbranch_execz .LBB42_145
; %bb.144:                              ;   in Loop: Header=BB42_3 Depth=1
	ds_load_b64 v[38:39], v55 offset:28032
	ds_load_b64 v[40:41], v53
	s_wait_dscnt 0x0
	v_fma_f64 v[36:37], -v[38:39], v[40:41], v[36:37]
.LBB42_145:                             ;   in Loop: Header=BB42_3 Depth=1
	s_or_b32 exec_lo, exec_lo, s47
	s_barrier_signal -1
	s_barrier_wait -1
	s_and_saveexec_b32 s65, s36
	s_cbranch_execz .LBB42_147
; %bb.146:                              ;   in Loop: Header=BB42_3 Depth=1
	ds_load_b64 v[38:39], v3 offset:27560
	s_wait_dscnt 0x0
	v_mul_f64_e32 v[36:37], v[36:37], v[38:39]
	s_delay_alu instid0(VALU_DEP_1) | instskip(NEXT) | instid1(VALU_DEP_2)
	v_xor_b32_e32 v39, 0x80000000, v37
	v_mov_b32_e32 v38, v36
	ds_store_b64 v53, v[38:39]
.LBB42_147:                             ;   in Loop: Header=BB42_3 Depth=1
	s_or_b32 exec_lo, exec_lo, s65
	s_wait_dscnt 0x0
	s_barrier_signal -1
	s_barrier_wait -1
	s_and_saveexec_b32 s47, s37
	s_cbranch_execz .LBB42_149
; %bb.148:                              ;   in Loop: Header=BB42_3 Depth=1
	ds_load_b64 v[38:39], v55 offset:27520
	ds_load_b64 v[40:41], v53
	s_wait_dscnt 0x0
	v_fma_f64 v[36:37], -v[38:39], v[40:41], v[36:37]
.LBB42_149:                             ;   in Loop: Header=BB42_3 Depth=1
	s_or_b32 exec_lo, exec_lo, s47
	s_barrier_signal -1
	s_barrier_wait -1
	s_and_saveexec_b32 s65, s38
	s_cbranch_execz .LBB42_151
; %bb.150:                              ;   in Loop: Header=BB42_3 Depth=1
	ds_load_b64 v[38:39], v3 offset:27040
	s_wait_dscnt 0x0
	v_mul_f64_e32 v[36:37], v[36:37], v[38:39]
	s_delay_alu instid0(VALU_DEP_1) | instskip(NEXT) | instid1(VALU_DEP_2)
	v_xor_b32_e32 v39, 0x80000000, v37
	v_mov_b32_e32 v38, v36
	ds_store_b64 v53, v[38:39]
.LBB42_151:                             ;   in Loop: Header=BB42_3 Depth=1
	s_or_b32 exec_lo, exec_lo, s65
	s_wait_dscnt 0x0
	s_barrier_signal -1
	s_barrier_wait -1
	s_and_saveexec_b32 s47, s39
	;; [unrolled: 26-line block ×5, first 2 shown]
	s_cbranch_execz .LBB42_165
; %bb.164:                              ;   in Loop: Header=BB42_3 Depth=1
	ds_load_b64 v[38:39], v3 offset:25472
	ds_load_b64 v[40:41], v53
	s_wait_dscnt 0x0
	v_fma_f64 v[36:37], -v[38:39], v[40:41], v[36:37]
.LBB42_165:                             ;   in Loop: Header=BB42_3 Depth=1
	s_or_b32 exec_lo, exec_lo, s47
	s_barrier_signal -1
	s_barrier_wait -1
	s_and_saveexec_b32 s65, s45
	s_cbranch_execz .LBB42_167
; %bb.166:                              ;   in Loop: Header=BB42_3 Depth=1
	ds_load_b64 v[38:39], v3 offset:24960
	s_wait_dscnt 0x0
	v_mul_f64_e32 v[36:37], v[36:37], v[38:39]
	s_delay_alu instid0(VALU_DEP_1) | instskip(NEXT) | instid1(VALU_DEP_2)
	v_xor_b32_e32 v39, 0x80000000, v37
	v_mov_b32_e32 v38, v36
	ds_store_b64 v53, v[38:39]
.LBB42_167:                             ;   in Loop: Header=BB42_3 Depth=1
	s_or_b32 exec_lo, exec_lo, s65
	s_wait_dscnt 0x0
	s_barrier_signal -1
	s_barrier_wait -1
	s_barrier_signal -1
	s_barrier_wait -1
	s_and_saveexec_b32 s47, s3
; %bb.168:                              ;   in Loop: Header=BB42_3 Depth=1
	ds_store_b64 v56, v[36:37] offset:32640
; %bb.169:                              ;   in Loop: Header=BB42_3 Depth=1
	s_or_b32 exec_lo, exec_lo, s47
	s_wait_dscnt 0x0
	s_barrier_signal -1
	s_barrier_wait -1
	s_barrier_signal -1
	s_barrier_wait -1
	s_and_saveexec_b32 s65, s46
	s_cbranch_execz .LBB42_171
; %bb.170:                              ;   in Loop: Header=BB42_3 Depth=1
	ds_load_b64 v[36:37], v72 offset:29056
	s_wait_dscnt 0x0
	ds_store_b64 v73, v[36:37] offset:25024
	ds_load_b64 v[36:37], v72 offset:29064
	s_wait_dscnt 0x0
	ds_store_b64 v73, v[36:37] offset:25536
	;; [unrolled: 3-line block ×8, first 2 shown]
.LBB42_171:                             ;   in Loop: Header=BB42_3 Depth=1
	s_or_b32 exec_lo, exec_lo, s65
	s_wait_dscnt 0x0
	s_barrier_signal -1
	s_barrier_wait -1
	s_and_saveexec_b32 s65, s14
	s_cbranch_execz .LBB42_173
; %bb.172:                              ;   in Loop: Header=BB42_3 Depth=1
	ds_load_b128 v[36:39], v3 offset:28592
	ds_load_b64 v[40:41], v3 offset:28080
	v_add_nc_u32_e64 v2, 0x6800, 0
	s_wait_dscnt 0x0
	v_mul_f64_e32 v[38:39], v[40:41], v[38:39]
	s_delay_alu instid0(VALU_DEP_1)
	v_mul_f64_e32 v[36:37], v[36:37], v[38:39]
	ds_store_2addr_b64 v2, v[36:37], v[36:37] offset0:183 offset1:246
.LBB42_173:                             ;   in Loop: Header=BB42_3 Depth=1
	s_or_b32 exec_lo, exec_lo, s65
	v_mov_b64_e32 v[36:37], 0
	s_wait_dscnt 0x0
	s_barrier_signal -1
	s_barrier_wait -1
	global_wb scope:SCOPE_DEV
	s_wait_storecnt 0x0
	global_inv scope:SCOPE_DEV
	s_and_saveexec_b32 s65, s0
	s_cbranch_execz .LBB42_177
; %bb.174:                              ;   in Loop: Header=BB42_3 Depth=1
	ds_load_b64 v[36:37], v45 offset:28064
	ds_load_b64 v[38:39], v44 offset:28592
	s_wait_dscnt 0x0
	v_fma_f64 v[36:37], v[36:37], v[38:39], 0
	s_and_saveexec_b32 s47, s15
	s_cbranch_execz .LBB42_176
; %bb.175:                              ;   in Loop: Header=BB42_3 Depth=1
	ds_load_b64 v[38:39], v73 offset:28576
	ds_load_b64 v[40:41], v3 offset:28600
	s_wait_dscnt 0x0
	v_fmac_f64_e32 v[36:37], v[38:39], v[40:41]
.LBB42_176:                             ;   in Loop: Header=BB42_3 Depth=1
	s_or_b32 exec_lo, exec_lo, s47
.LBB42_177:                             ;   in Loop: Header=BB42_3 Depth=1
	s_delay_alu instid0(SALU_CYCLE_1)
	s_or_b32 exec_lo, exec_lo, s65
	s_and_saveexec_b32 s65, s92
	s_cbranch_execz .LBB42_179
; %bb.178:                              ;   in Loop: Header=BB42_3 Depth=1
	ds_load_b64 v[38:39], v3 offset:27560
	s_wait_dscnt 0x0
	v_mul_f64_e32 v[36:37], v[36:37], v[38:39]
	s_delay_alu instid0(VALU_DEP_1) | instskip(NEXT) | instid1(VALU_DEP_2)
	v_xor_b32_e32 v39, 0x80000000, v37
	v_mov_b32_e32 v38, v36
	ds_store_b64 v5, v[38:39]
.LBB42_179:                             ;   in Loop: Header=BB42_3 Depth=1
	s_or_b32 exec_lo, exec_lo, s65
	s_wait_loadcnt_dscnt 0x0
	s_barrier_signal -1
	s_barrier_wait -1
	s_and_saveexec_b32 s47, s93
	s_cbranch_execz .LBB42_181
; %bb.180:                              ;   in Loop: Header=BB42_3 Depth=1
	ds_load_b64 v[38:39], v3 offset:27552
	ds_load_b64 v[40:41], v5
	s_wait_dscnt 0x0
	v_fma_f64 v[36:37], -v[38:39], v[40:41], v[36:37]
.LBB42_181:                             ;   in Loop: Header=BB42_3 Depth=1
	s_or_b32 exec_lo, exec_lo, s47
	s_barrier_signal -1
	s_barrier_wait -1
	s_and_saveexec_b32 s65, s93
	s_cbranch_execz .LBB42_183
; %bb.182:                              ;   in Loop: Header=BB42_3 Depth=1
	ds_load_b64 v[38:39], v3 offset:27040
	s_wait_dscnt 0x0
	v_mul_f64_e32 v[36:37], v[36:37], v[38:39]
	s_delay_alu instid0(VALU_DEP_1) | instskip(NEXT) | instid1(VALU_DEP_2)
	v_xor_b32_e32 v39, 0x80000000, v37
	v_mov_b32_e32 v38, v36
	ds_store_b64 v5, v[38:39]
.LBB42_183:                             ;   in Loop: Header=BB42_3 Depth=1
	s_or_b32 exec_lo, exec_lo, s65
	s_wait_dscnt 0x0
	s_barrier_signal -1
	s_barrier_wait -1
	s_barrier_signal -1
	s_barrier_wait -1
	s_and_saveexec_b32 s47, s0
; %bb.184:                              ;   in Loop: Header=BB42_3 Depth=1
	ds_store_b64 v47, v[36:37] offset:28576
; %bb.185:                              ;   in Loop: Header=BB42_3 Depth=1
	s_or_b32 exec_lo, exec_lo, s47
	s_wait_dscnt 0x0
	s_barrier_signal -1
	s_barrier_wait -1
	s_barrier_signal -1
	s_barrier_wait -1
	s_and_saveexec_b32 s47, s94
	s_cbranch_execz .LBB42_187
; %bb.186:                              ;   in Loop: Header=BB42_3 Depth=1
	ds_load_b64 v[36:37], v74 offset:28064
	s_wait_dscnt 0x0
	ds_store_b64 v73, v[36:37] offset:27056
	ds_load_b64 v[36:37], v74 offset:28072
	s_wait_dscnt 0x0
	ds_store_b64 v73, v[36:37] offset:27568
.LBB42_187:                             ;   in Loop: Header=BB42_3 Depth=1
	s_or_b32 exec_lo, exec_lo, s47
	s_wait_dscnt 0x0
	s_barrier_signal -1
	s_barrier_wait -1
	s_and_saveexec_b32 s65, s14
	s_cbranch_execz .LBB42_189
; %bb.188:                              ;   in Loop: Header=BB42_3 Depth=1
	ds_load_b128 v[36:39], v3 offset:27552
	ds_load_b64 v[40:41], v3 offset:27040
	v_add_nc_u32_e64 v2, 0x6800, 0
	s_wait_dscnt 0x0
	v_mul_f64_e32 v[38:39], v[40:41], v[38:39]
	s_delay_alu instid0(VALU_DEP_1)
	v_mul_f64_e32 v[36:37], v[36:37], v[38:39]
	ds_store_2addr_b64 v2, v[36:37], v[36:37] offset0:53 offset1:116
.LBB42_189:                             ;   in Loop: Header=BB42_3 Depth=1
	s_or_b32 exec_lo, exec_lo, s65
	v_mov_b64_e32 v[36:37], 0
	s_wait_dscnt 0x0
	s_barrier_signal -1
	s_barrier_wait -1
	global_wb scope:SCOPE_DEV
	s_wait_storecnt 0x0
	global_inv scope:SCOPE_DEV
	s_and_saveexec_b32 s65, s2
	s_cbranch_execz .LBB42_195
; %bb.190:                              ;   in Loop: Header=BB42_3 Depth=1
	ds_load_b64 v[36:37], v51 offset:27008
	ds_load_b64 v[38:39], v50 offset:28576
	s_wait_dscnt 0x0
	v_fma_f64 v[36:37], v[36:37], v[38:39], 0
	s_and_saveexec_b32 s47, s16
	s_cbranch_execnz .LBB42_1107
; %bb.191:                              ;   in Loop: Header=BB42_3 Depth=1
	s_or_b32 exec_lo, exec_lo, s47
	s_and_saveexec_b32 s47, s17
	s_cbranch_execnz .LBB42_1108
.LBB42_192:                             ;   in Loop: Header=BB42_3 Depth=1
	s_or_b32 exec_lo, exec_lo, s47
	s_and_saveexec_b32 s47, s0
	s_cbranch_execz .LBB42_194
.LBB42_193:                             ;   in Loop: Header=BB42_3 Depth=1
	ds_load_b64 v[38:39], v75 offset:28544
	ds_load_b64 v[40:41], v3 offset:28600
	s_wait_dscnt 0x0
	v_fmac_f64_e32 v[36:37], v[38:39], v[40:41]
.LBB42_194:                             ;   in Loop: Header=BB42_3 Depth=1
	s_or_b32 exec_lo, exec_lo, s47
.LBB42_195:                             ;   in Loop: Header=BB42_3 Depth=1
	s_delay_alu instid0(SALU_CYCLE_1)
	s_or_b32 exec_lo, exec_lo, s65
	s_and_saveexec_b32 s65, s95
	s_cbranch_execz .LBB42_197
; %bb.196:                              ;   in Loop: Header=BB42_3 Depth=1
	ds_load_b64 v[38:39], v3 offset:26520
	s_wait_dscnt 0x0
	v_mul_f64_e32 v[36:37], v[36:37], v[38:39]
	s_delay_alu instid0(VALU_DEP_1) | instskip(NEXT) | instid1(VALU_DEP_2)
	v_xor_b32_e32 v39, 0x80000000, v37
	v_mov_b32_e32 v38, v36
	ds_store_b64 v49, v[38:39]
.LBB42_197:                             ;   in Loop: Header=BB42_3 Depth=1
	s_or_b32 exec_lo, exec_lo, s65
	s_wait_loadcnt_dscnt 0x0
	s_barrier_signal -1
	s_barrier_wait -1
	s_and_saveexec_b32 s47, s96
	s_cbranch_execz .LBB42_199
; %bb.198:                              ;   in Loop: Header=BB42_3 Depth=1
	ds_load_b64 v[38:39], v51 offset:26496
	ds_load_b64 v[40:41], v49
	s_wait_dscnt 0x0
	v_fma_f64 v[36:37], -v[38:39], v[40:41], v[36:37]
.LBB42_199:                             ;   in Loop: Header=BB42_3 Depth=1
	s_or_b32 exec_lo, exec_lo, s47
	s_barrier_signal -1
	s_barrier_wait -1
	s_and_saveexec_b32 s65, s97
	s_cbranch_execz .LBB42_201
; %bb.200:                              ;   in Loop: Header=BB42_3 Depth=1
	ds_load_b64 v[38:39], v3 offset:26000
	s_wait_dscnt 0x0
	v_mul_f64_e32 v[36:37], v[36:37], v[38:39]
	s_delay_alu instid0(VALU_DEP_1) | instskip(NEXT) | instid1(VALU_DEP_2)
	v_xor_b32_e32 v39, 0x80000000, v37
	v_mov_b32_e32 v38, v36
	ds_store_b64 v49, v[38:39]
.LBB42_201:                             ;   in Loop: Header=BB42_3 Depth=1
	s_or_b32 exec_lo, exec_lo, s65
	s_wait_dscnt 0x0
	s_barrier_signal -1
	s_barrier_wait -1
	s_and_saveexec_b32 s47, s98
	s_cbranch_execz .LBB42_203
; %bb.202:                              ;   in Loop: Header=BB42_3 Depth=1
	ds_load_b64 v[38:39], v51 offset:25984
	ds_load_b64 v[40:41], v49
	s_wait_dscnt 0x0
	v_fma_f64 v[36:37], -v[38:39], v[40:41], v[36:37]
.LBB42_203:                             ;   in Loop: Header=BB42_3 Depth=1
	s_or_b32 exec_lo, exec_lo, s47
	s_barrier_signal -1
	s_barrier_wait -1
	s_and_saveexec_b32 s65, s99
	s_cbranch_execz .LBB42_205
; %bb.204:                              ;   in Loop: Header=BB42_3 Depth=1
	ds_load_b64 v[38:39], v3 offset:25480
	s_wait_dscnt 0x0
	v_mul_f64_e32 v[36:37], v[36:37], v[38:39]
	s_delay_alu instid0(VALU_DEP_1) | instskip(NEXT) | instid1(VALU_DEP_2)
	v_xor_b32_e32 v39, 0x80000000, v37
	v_mov_b32_e32 v38, v36
	ds_store_b64 v49, v[38:39]
.LBB42_205:                             ;   in Loop: Header=BB42_3 Depth=1
	s_or_b32 exec_lo, exec_lo, s65
	s_wait_dscnt 0x0
	;; [unrolled: 26-line block ×3, first 2 shown]
	s_barrier_signal -1
	s_barrier_wait -1
	s_barrier_signal -1
	s_barrier_wait -1
	s_and_saveexec_b32 s47, s2
; %bb.210:                              ;   in Loop: Header=BB42_3 Depth=1
	ds_store_b64 v52, v[36:37] offset:28544
; %bb.211:                              ;   in Loop: Header=BB42_3 Depth=1
	s_or_b32 exec_lo, exec_lo, s47
	s_wait_dscnt 0x0
	s_barrier_signal -1
	s_barrier_wait -1
	s_barrier_signal -1
	s_barrier_wait -1
	s_and_saveexec_b32 s65, s101
	s_cbranch_execz .LBB42_213
; %bb.212:                              ;   in Loop: Header=BB42_3 Depth=1
	ds_load_b64 v[36:37], v79 offset:27008
	s_wait_dscnt 0x0
	ds_store_b64 v82, v[36:37] offset:24992
	ds_load_b64 v[36:37], v79 offset:27016
	s_wait_dscnt 0x0
	ds_store_b64 v82, v[36:37] offset:25504
	;; [unrolled: 3-line block ×4, first 2 shown]
.LBB42_213:                             ;   in Loop: Header=BB42_3 Depth=1
	s_or_b32 exec_lo, exec_lo, s65
	s_wait_dscnt 0x0
	s_barrier_signal -1
	s_barrier_wait -1
	s_and_saveexec_b32 s65, s14
	s_cbranch_execz .LBB42_215
; %bb.214:                              ;   in Loop: Header=BB42_3 Depth=1
	ds_load_b128 v[36:39], v3 offset:26512
	ds_load_b64 v[40:41], v3 offset:26000
	v_add_nc_u32_e64 v2, 0x6000, 0
	s_wait_dscnt 0x0
	v_mul_f64_e32 v[38:39], v[40:41], v[38:39]
	s_delay_alu instid0(VALU_DEP_1)
	v_mul_f64_e32 v[36:37], v[36:37], v[38:39]
	ds_store_2addr_b64 v2, v[36:37], v[36:37] offset0:179 offset1:242
.LBB42_215:                             ;   in Loop: Header=BB42_3 Depth=1
	s_or_b32 exec_lo, exec_lo, s65
	v_mov_b64_e32 v[36:37], 0
	s_wait_dscnt 0x0
	s_barrier_signal -1
	s_barrier_wait -1
	global_wb scope:SCOPE_DEV
	s_wait_storecnt 0x0
	global_inv scope:SCOPE_DEV
	s_and_saveexec_b32 s65, s0
	s_cbranch_execz .LBB42_219
; %bb.216:                              ;   in Loop: Header=BB42_3 Depth=1
	ds_load_b64 v[36:37], v45 offset:25984
	ds_load_b64 v[38:39], v44 offset:26512
	s_wait_dscnt 0x0
	v_fma_f64 v[36:37], v[36:37], v[38:39], 0
	s_and_saveexec_b32 s47, s15
	s_cbranch_execz .LBB42_218
; %bb.217:                              ;   in Loop: Header=BB42_3 Depth=1
	ds_load_b64 v[38:39], v82 offset:26496
	ds_load_b64 v[40:41], v3 offset:26520
	s_wait_dscnt 0x0
	v_fmac_f64_e32 v[36:37], v[38:39], v[40:41]
.LBB42_218:                             ;   in Loop: Header=BB42_3 Depth=1
	s_or_b32 exec_lo, exec_lo, s47
.LBB42_219:                             ;   in Loop: Header=BB42_3 Depth=1
	s_delay_alu instid0(SALU_CYCLE_1)
	s_or_b32 exec_lo, exec_lo, s65
	s_and_saveexec_b32 s65, s92
	s_cbranch_execz .LBB42_221
; %bb.220:                              ;   in Loop: Header=BB42_3 Depth=1
	ds_load_b64 v[38:39], v3 offset:25480
	s_wait_dscnt 0x0
	v_mul_f64_e32 v[36:37], v[36:37], v[38:39]
	s_delay_alu instid0(VALU_DEP_1) | instskip(NEXT) | instid1(VALU_DEP_2)
	v_xor_b32_e32 v39, 0x80000000, v37
	v_mov_b32_e32 v38, v36
	ds_store_b64 v5, v[38:39]
.LBB42_221:                             ;   in Loop: Header=BB42_3 Depth=1
	s_or_b32 exec_lo, exec_lo, s65
	s_wait_loadcnt_dscnt 0x0
	s_barrier_signal -1
	s_barrier_wait -1
	s_and_saveexec_b32 s47, s93
	s_cbranch_execz .LBB42_223
; %bb.222:                              ;   in Loop: Header=BB42_3 Depth=1
	ds_load_b64 v[38:39], v3 offset:25472
	ds_load_b64 v[40:41], v5
	s_wait_dscnt 0x0
	v_fma_f64 v[36:37], -v[38:39], v[40:41], v[36:37]
.LBB42_223:                             ;   in Loop: Header=BB42_3 Depth=1
	s_or_b32 exec_lo, exec_lo, s47
	s_barrier_signal -1
	s_barrier_wait -1
	s_and_saveexec_b32 s65, s93
	s_cbranch_execz .LBB42_225
; %bb.224:                              ;   in Loop: Header=BB42_3 Depth=1
	ds_load_b64 v[38:39], v3 offset:24960
	s_wait_dscnt 0x0
	v_mul_f64_e32 v[36:37], v[36:37], v[38:39]
	s_delay_alu instid0(VALU_DEP_1) | instskip(NEXT) | instid1(VALU_DEP_2)
	v_xor_b32_e32 v39, 0x80000000, v37
	v_mov_b32_e32 v38, v36
	ds_store_b64 v5, v[38:39]
.LBB42_225:                             ;   in Loop: Header=BB42_3 Depth=1
	s_or_b32 exec_lo, exec_lo, s65
	s_wait_dscnt 0x0
	s_barrier_signal -1
	s_barrier_wait -1
	s_barrier_signal -1
	s_barrier_wait -1
	s_and_saveexec_b32 s47, s0
; %bb.226:                              ;   in Loop: Header=BB42_3 Depth=1
	ds_store_b64 v47, v[36:37] offset:26496
; %bb.227:                              ;   in Loop: Header=BB42_3 Depth=1
	s_or_b32 exec_lo, exec_lo, s47
	s_wait_dscnt 0x0
	s_barrier_signal -1
	s_barrier_wait -1
	s_barrier_signal -1
	s_barrier_wait -1
	s_and_saveexec_b32 s47, s94
	s_cbranch_execz .LBB42_229
; %bb.228:                              ;   in Loop: Header=BB42_3 Depth=1
	ds_load_b64 v[36:37], v83 offset:25984
	s_wait_dscnt 0x0
	ds_store_b64 v82, v[36:37] offset:24976
	ds_load_b64 v[36:37], v83 offset:25992
	s_wait_dscnt 0x0
	ds_store_b64 v82, v[36:37] offset:25488
.LBB42_229:                             ;   in Loop: Header=BB42_3 Depth=1
	s_or_b32 exec_lo, exec_lo, s47
	s_wait_dscnt 0x0
	s_barrier_signal -1
	s_barrier_wait -1
	s_and_saveexec_b32 s65, s14
	s_cbranch_execz .LBB42_231
; %bb.230:                              ;   in Loop: Header=BB42_3 Depth=1
	ds_load_b128 v[36:39], v3 offset:25472
	ds_load_b64 v[40:41], v3 offset:24960
	v_add_nc_u32_e64 v2, 0x6000, 0
	s_wait_dscnt 0x0
	v_mul_f64_e32 v[38:39], v[40:41], v[38:39]
	s_delay_alu instid0(VALU_DEP_1)
	v_mul_f64_e32 v[36:37], v[36:37], v[38:39]
	ds_store_2addr_b64 v2, v[36:37], v[36:37] offset0:49 offset1:112
.LBB42_231:                             ;   in Loop: Header=BB42_3 Depth=1
	s_or_b32 exec_lo, exec_lo, s65
	v_mov_b64_e32 v[36:37], 0
	s_wait_dscnt 0x0
	s_barrier_signal -1
	s_barrier_wait -1
	global_wb scope:SCOPE_DEV
	s_wait_storecnt 0x0
	global_inv scope:SCOPE_DEV
	s_and_saveexec_b32 s65, s4
	s_cbranch_execz .LBB42_259
; %bb.232:                              ;   in Loop: Header=BB42_3 Depth=1
	ds_load_b64 v[36:37], v59 offset:24832
	ds_load_b64 v[38:39], v58 offset:32640
	s_wait_dscnt 0x0
	v_fma_f64 v[36:37], v[36:37], v[38:39], 0
	s_mov_b32 s47, exec_lo
	v_readlane_b32 s82, v97, 25
	s_and_b32 s82, s47, s82
	s_delay_alu instid0(SALU_CYCLE_1)
	s_mov_b32 exec_lo, s82
	s_cbranch_execz .LBB42_234
; %bb.233:                              ;   in Loop: Header=BB42_3 Depth=1
	ds_load_b64 v[38:39], v59 offset:25344
	ds_load_b64 v[40:41], v58 offset:32648
	s_wait_dscnt 0x0
	v_fmac_f64_e32 v[36:37], v[38:39], v[40:41]
.LBB42_234:                             ;   in Loop: Header=BB42_3 Depth=1
	s_or_b32 exec_lo, exec_lo, s47
	s_delay_alu instid0(SALU_CYCLE_1) | instskip(SKIP_2) | instid1(SALU_CYCLE_1)
	s_mov_b32 s47, exec_lo
	v_readlane_b32 s82, v97, 26
	s_and_b32 s82, s47, s82
	s_mov_b32 exec_lo, s82
	s_cbranch_execz .LBB42_236
; %bb.235:                              ;   in Loop: Header=BB42_3 Depth=1
	ds_load_b64 v[38:39], v59 offset:25856
	ds_load_b64 v[40:41], v58 offset:32656
	s_wait_dscnt 0x0
	v_fmac_f64_e32 v[36:37], v[38:39], v[40:41]
.LBB42_236:                             ;   in Loop: Header=BB42_3 Depth=1
	s_or_b32 exec_lo, exec_lo, s47
	s_delay_alu instid0(SALU_CYCLE_1) | instskip(SKIP_2) | instid1(SALU_CYCLE_1)
	s_mov_b32 s47, exec_lo
	v_readlane_b32 s82, v97, 27
	s_and_b32 s82, s47, s82
	;; [unrolled: 13-line block ×10, first 2 shown]
	s_mov_b32 exec_lo, s82
	s_cbranch_execnz .LBB42_1109
; %bb.253:                              ;   in Loop: Header=BB42_3 Depth=1
	s_or_b32 exec_lo, exec_lo, s47
	s_and_saveexec_b32 s47, s3
	s_cbranch_execnz .LBB42_1110
.LBB42_254:                             ;   in Loop: Header=BB42_3 Depth=1
	s_or_b32 exec_lo, exec_lo, s47
	s_and_saveexec_b32 s47, s19
	s_cbranch_execnz .LBB42_1111
.LBB42_255:                             ;   in Loop: Header=BB42_3 Depth=1
	s_or_b32 exec_lo, exec_lo, s47
	s_and_saveexec_b32 s47, s21
	s_cbranch_execnz .LBB42_1112
.LBB42_256:                             ;   in Loop: Header=BB42_3 Depth=1
	s_or_b32 exec_lo, exec_lo, s47
	s_and_saveexec_b32 s47, s2
	s_cbranch_execz .LBB42_258
.LBB42_257:                             ;   in Loop: Header=BB42_3 Depth=1
	ds_load_b64 v[38:39], v46 offset:32512
	ds_load_b64 v[40:41], v3 offset:32760
	s_wait_dscnt 0x0
	v_fmac_f64_e32 v[36:37], v[38:39], v[40:41]
.LBB42_258:                             ;   in Loop: Header=BB42_3 Depth=1
	s_or_b32 exec_lo, exec_lo, s47
.LBB42_259:                             ;   in Loop: Header=BB42_3 Depth=1
	s_delay_alu instid0(SALU_CYCLE_1) | instskip(NEXT) | instid1(SALU_CYCLE_1)
	s_or_b32 exec_lo, exec_lo, s65
	s_mov_b32 s65, exec_lo
	v_readlane_b32 s47, v97, 6
	s_and_b32 s47, s65, s47
	s_delay_alu instid0(SALU_CYCLE_1)
	s_mov_b32 exec_lo, s47
	s_cbranch_execz .LBB42_261
; %bb.260:                              ;   in Loop: Header=BB42_3 Depth=1
	ds_load_b64 v[38:39], v3 offset:24440
	s_wait_dscnt 0x0
	v_mul_f64_e32 v[36:37], v[36:37], v[38:39]
	s_delay_alu instid0(VALU_DEP_1) | instskip(NEXT) | instid1(VALU_DEP_2)
	v_xor_b32_e32 v39, 0x80000000, v37
	v_mov_b32_e32 v38, v36
	ds_store_b64 v57, v[38:39]
.LBB42_261:                             ;   in Loop: Header=BB42_3 Depth=1
	s_or_b32 exec_lo, exec_lo, s65
	s_wait_loadcnt_dscnt 0x0
	s_barrier_signal -1
	s_barrier_wait -1
	s_and_saveexec_b32 s47, s48
	s_cbranch_execz .LBB42_263
; %bb.262:                              ;   in Loop: Header=BB42_3 Depth=1
	ds_load_b64 v[38:39], v59 offset:24320
	ds_load_b64 v[40:41], v57
	s_wait_dscnt 0x0
	v_fma_f64 v[36:37], -v[38:39], v[40:41], v[36:37]
.LBB42_263:                             ;   in Loop: Header=BB42_3 Depth=1
	s_or_b32 exec_lo, exec_lo, s47
	s_barrier_signal -1
	s_barrier_wait -1
	s_and_saveexec_b32 s65, s49
	s_cbranch_execz .LBB42_265
; %bb.264:                              ;   in Loop: Header=BB42_3 Depth=1
	ds_load_b64 v[38:39], v3 offset:23920
	s_wait_dscnt 0x0
	v_mul_f64_e32 v[36:37], v[36:37], v[38:39]
	s_delay_alu instid0(VALU_DEP_1) | instskip(NEXT) | instid1(VALU_DEP_2)
	v_xor_b32_e32 v39, 0x80000000, v37
	v_mov_b32_e32 v38, v36
	ds_store_b64 v57, v[38:39]
.LBB42_265:                             ;   in Loop: Header=BB42_3 Depth=1
	s_or_b32 exec_lo, exec_lo, s65
	s_wait_dscnt 0x0
	s_barrier_signal -1
	s_barrier_wait -1
	s_and_saveexec_b32 s47, s50
	s_cbranch_execz .LBB42_267
; %bb.266:                              ;   in Loop: Header=BB42_3 Depth=1
	ds_load_b64 v[38:39], v59 offset:23808
	ds_load_b64 v[40:41], v57
	s_wait_dscnt 0x0
	v_fma_f64 v[36:37], -v[38:39], v[40:41], v[36:37]
.LBB42_267:                             ;   in Loop: Header=BB42_3 Depth=1
	s_or_b32 exec_lo, exec_lo, s47
	s_barrier_signal -1
	s_barrier_wait -1
	s_and_saveexec_b32 s65, s51
	s_cbranch_execz .LBB42_269
; %bb.268:                              ;   in Loop: Header=BB42_3 Depth=1
	ds_load_b64 v[38:39], v3 offset:23400
	s_wait_dscnt 0x0
	v_mul_f64_e32 v[36:37], v[36:37], v[38:39]
	s_delay_alu instid0(VALU_DEP_1) | instskip(NEXT) | instid1(VALU_DEP_2)
	v_xor_b32_e32 v39, 0x80000000, v37
	v_mov_b32_e32 v38, v36
	ds_store_b64 v57, v[38:39]
.LBB42_269:                             ;   in Loop: Header=BB42_3 Depth=1
	s_or_b32 exec_lo, exec_lo, s65
	s_wait_dscnt 0x0
	;; [unrolled: 26-line block ×15, first 2 shown]
	s_barrier_signal -1
	s_barrier_wait -1
	s_barrier_signal -1
	s_barrier_wait -1
	s_and_saveexec_b32 s47, s4
; %bb.322:                              ;   in Loop: Header=BB42_3 Depth=1
	ds_store_b64 v60, v[36:37] offset:32512
; %bb.323:                              ;   in Loop: Header=BB42_3 Depth=1
	s_or_b32 exec_lo, exec_lo, s47
	s_wait_dscnt 0x0
	s_barrier_signal -1
	s_barrier_wait -1
	s_barrier_signal -1
	s_barrier_wait -1
	s_and_saveexec_b32 s65, s10
	s_cbranch_execz .LBB42_325
; %bb.324:                              ;   in Loop: Header=BB42_3 Depth=1
	ds_load_b64 v[36:37], v48 offset:24832
	s_wait_dscnt 0x0
	ds_store_b64 v65, v[36:37] offset:16768
	ds_load_b64 v[36:37], v48 offset:24840
	s_wait_dscnt 0x0
	ds_store_b64 v65, v[36:37] offset:17280
	;; [unrolled: 3-line block ×16, first 2 shown]
.LBB42_325:                             ;   in Loop: Header=BB42_3 Depth=1
	s_or_b32 exec_lo, exec_lo, s65
	s_wait_dscnt 0x0
	s_barrier_signal -1
	s_barrier_wait -1
	s_and_saveexec_b32 s65, s14
	s_cbranch_execz .LBB42_327
; %bb.326:                              ;   in Loop: Header=BB42_3 Depth=1
	ds_load_b128 v[36:39], v3 offset:24432
	ds_load_b64 v[40:41], v3 offset:23920
	v_add_nc_u32_e64 v2, 0x5800, 0
	s_wait_dscnt 0x0
	v_mul_f64_e32 v[38:39], v[40:41], v[38:39]
	s_delay_alu instid0(VALU_DEP_1)
	v_mul_f64_e32 v[36:37], v[36:37], v[38:39]
	ds_store_2addr_b64 v2, v[36:37], v[36:37] offset0:175 offset1:238
.LBB42_327:                             ;   in Loop: Header=BB42_3 Depth=1
	s_or_b32 exec_lo, exec_lo, s65
	v_mov_b64_e32 v[36:37], 0
	s_wait_dscnt 0x0
	s_barrier_signal -1
	s_barrier_wait -1
	global_wb scope:SCOPE_DEV
	s_wait_storecnt 0x0
	global_inv scope:SCOPE_DEV
	s_and_saveexec_b32 s65, s0
	s_cbranch_execz .LBB42_331
; %bb.328:                              ;   in Loop: Header=BB42_3 Depth=1
	ds_load_b64 v[36:37], v45 offset:23904
	ds_load_b64 v[38:39], v44 offset:24432
	s_wait_dscnt 0x0
	v_fma_f64 v[36:37], v[36:37], v[38:39], 0
	s_and_saveexec_b32 s47, s15
	s_cbranch_execz .LBB42_330
; %bb.329:                              ;   in Loop: Header=BB42_3 Depth=1
	ds_load_b64 v[38:39], v46 offset:24416
	ds_load_b64 v[40:41], v3 offset:24440
	s_wait_dscnt 0x0
	v_fmac_f64_e32 v[36:37], v[38:39], v[40:41]
.LBB42_330:                             ;   in Loop: Header=BB42_3 Depth=1
	s_or_b32 exec_lo, exec_lo, s47
.LBB42_331:                             ;   in Loop: Header=BB42_3 Depth=1
	s_delay_alu instid0(SALU_CYCLE_1)
	s_or_b32 exec_lo, exec_lo, s65
	s_and_saveexec_b32 s65, s92
	s_cbranch_execz .LBB42_333
; %bb.332:                              ;   in Loop: Header=BB42_3 Depth=1
	ds_load_b64 v[38:39], v3 offset:23400
	s_wait_dscnt 0x0
	v_mul_f64_e32 v[36:37], v[36:37], v[38:39]
	s_delay_alu instid0(VALU_DEP_1) | instskip(NEXT) | instid1(VALU_DEP_2)
	v_xor_b32_e32 v39, 0x80000000, v37
	v_mov_b32_e32 v38, v36
	ds_store_b64 v5, v[38:39]
.LBB42_333:                             ;   in Loop: Header=BB42_3 Depth=1
	s_or_b32 exec_lo, exec_lo, s65
	s_wait_loadcnt_dscnt 0x0
	s_barrier_signal -1
	s_barrier_wait -1
	s_and_saveexec_b32 s47, s93
	s_cbranch_execz .LBB42_335
; %bb.334:                              ;   in Loop: Header=BB42_3 Depth=1
	ds_load_b64 v[38:39], v3 offset:23392
	ds_load_b64 v[40:41], v5
	s_wait_dscnt 0x0
	v_fma_f64 v[36:37], -v[38:39], v[40:41], v[36:37]
.LBB42_335:                             ;   in Loop: Header=BB42_3 Depth=1
	s_or_b32 exec_lo, exec_lo, s47
	s_barrier_signal -1
	s_barrier_wait -1
	s_and_saveexec_b32 s65, s93
	s_cbranch_execz .LBB42_337
; %bb.336:                              ;   in Loop: Header=BB42_3 Depth=1
	ds_load_b64 v[38:39], v3 offset:22880
	s_wait_dscnt 0x0
	v_mul_f64_e32 v[36:37], v[36:37], v[38:39]
	s_delay_alu instid0(VALU_DEP_1) | instskip(NEXT) | instid1(VALU_DEP_2)
	v_xor_b32_e32 v39, 0x80000000, v37
	v_mov_b32_e32 v38, v36
	ds_store_b64 v5, v[38:39]
.LBB42_337:                             ;   in Loop: Header=BB42_3 Depth=1
	s_or_b32 exec_lo, exec_lo, s65
	s_wait_dscnt 0x0
	s_barrier_signal -1
	s_barrier_wait -1
	s_barrier_signal -1
	s_barrier_wait -1
	s_and_saveexec_b32 s47, s0
; %bb.338:                              ;   in Loop: Header=BB42_3 Depth=1
	ds_store_b64 v47, v[36:37] offset:24416
; %bb.339:                              ;   in Loop: Header=BB42_3 Depth=1
	s_or_b32 exec_lo, exec_lo, s47
	s_wait_dscnt 0x0
	s_barrier_signal -1
	s_barrier_wait -1
	s_barrier_signal -1
	s_barrier_wait -1
	s_and_saveexec_b32 s47, s94
	s_cbranch_execz .LBB42_341
; %bb.340:                              ;   in Loop: Header=BB42_3 Depth=1
	ds_load_b64 v[36:37], v48 offset:23904
	s_wait_dscnt 0x0
	ds_store_b64 v46, v[36:37] offset:22896
	ds_load_b64 v[36:37], v48 offset:23912
	s_wait_dscnt 0x0
	ds_store_b64 v46, v[36:37] offset:23408
.LBB42_341:                             ;   in Loop: Header=BB42_3 Depth=1
	s_or_b32 exec_lo, exec_lo, s47
	s_wait_dscnt 0x0
	s_barrier_signal -1
	s_barrier_wait -1
	s_and_saveexec_b32 s65, s14
	s_cbranch_execz .LBB42_343
; %bb.342:                              ;   in Loop: Header=BB42_3 Depth=1
	ds_load_b128 v[36:39], v3 offset:23392
	ds_load_b64 v[40:41], v3 offset:22880
	v_add_nc_u32_e64 v2, 0x5800, 0
	s_wait_dscnt 0x0
	v_mul_f64_e32 v[38:39], v[40:41], v[38:39]
	s_delay_alu instid0(VALU_DEP_1)
	v_mul_f64_e32 v[36:37], v[36:37], v[38:39]
	ds_store_2addr_b64 v2, v[36:37], v[36:37] offset0:45 offset1:108
.LBB42_343:                             ;   in Loop: Header=BB42_3 Depth=1
	s_or_b32 exec_lo, exec_lo, s65
	v_mov_b64_e32 v[36:37], 0
	s_wait_dscnt 0x0
	s_barrier_signal -1
	s_barrier_wait -1
	global_wb scope:SCOPE_DEV
	s_wait_storecnt 0x0
	global_inv scope:SCOPE_DEV
	s_and_saveexec_b32 s65, s2
	s_cbranch_execz .LBB42_349
; %bb.344:                              ;   in Loop: Header=BB42_3 Depth=1
	ds_load_b64 v[36:37], v51 offset:22848
	ds_load_b64 v[38:39], v50 offset:24416
	s_wait_dscnt 0x0
	v_fma_f64 v[36:37], v[36:37], v[38:39], 0
	s_and_saveexec_b32 s47, s16
	s_cbranch_execnz .LBB42_1113
; %bb.345:                              ;   in Loop: Header=BB42_3 Depth=1
	s_or_b32 exec_lo, exec_lo, s47
	s_and_saveexec_b32 s47, s17
	s_cbranch_execnz .LBB42_1114
.LBB42_346:                             ;   in Loop: Header=BB42_3 Depth=1
	s_or_b32 exec_lo, exec_lo, s47
	s_and_saveexec_b32 s47, s0
	s_cbranch_execz .LBB42_348
.LBB42_347:                             ;   in Loop: Header=BB42_3 Depth=1
	ds_load_b64 v[38:39], v65 offset:24384
	ds_load_b64 v[40:41], v3 offset:24440
	s_wait_dscnt 0x0
	v_fmac_f64_e32 v[36:37], v[38:39], v[40:41]
.LBB42_348:                             ;   in Loop: Header=BB42_3 Depth=1
	s_or_b32 exec_lo, exec_lo, s47
.LBB42_349:                             ;   in Loop: Header=BB42_3 Depth=1
	s_delay_alu instid0(SALU_CYCLE_1)
	s_or_b32 exec_lo, exec_lo, s65
	s_and_saveexec_b32 s65, s95
	s_cbranch_execz .LBB42_351
; %bb.350:                              ;   in Loop: Header=BB42_3 Depth=1
	ds_load_b64 v[38:39], v3 offset:22360
	s_wait_dscnt 0x0
	v_mul_f64_e32 v[36:37], v[36:37], v[38:39]
	s_delay_alu instid0(VALU_DEP_1) | instskip(NEXT) | instid1(VALU_DEP_2)
	v_xor_b32_e32 v39, 0x80000000, v37
	v_mov_b32_e32 v38, v36
	ds_store_b64 v49, v[38:39]
.LBB42_351:                             ;   in Loop: Header=BB42_3 Depth=1
	s_or_b32 exec_lo, exec_lo, s65
	s_wait_loadcnt_dscnt 0x0
	s_barrier_signal -1
	s_barrier_wait -1
	s_and_saveexec_b32 s47, s96
	s_cbranch_execz .LBB42_353
; %bb.352:                              ;   in Loop: Header=BB42_3 Depth=1
	ds_load_b64 v[38:39], v51 offset:22336
	ds_load_b64 v[40:41], v49
	s_wait_dscnt 0x0
	v_fma_f64 v[36:37], -v[38:39], v[40:41], v[36:37]
.LBB42_353:                             ;   in Loop: Header=BB42_3 Depth=1
	s_or_b32 exec_lo, exec_lo, s47
	s_barrier_signal -1
	s_barrier_wait -1
	s_and_saveexec_b32 s65, s97
	s_cbranch_execz .LBB42_355
; %bb.354:                              ;   in Loop: Header=BB42_3 Depth=1
	ds_load_b64 v[38:39], v3 offset:21840
	s_wait_dscnt 0x0
	v_mul_f64_e32 v[36:37], v[36:37], v[38:39]
	s_delay_alu instid0(VALU_DEP_1) | instskip(NEXT) | instid1(VALU_DEP_2)
	v_xor_b32_e32 v39, 0x80000000, v37
	v_mov_b32_e32 v38, v36
	ds_store_b64 v49, v[38:39]
.LBB42_355:                             ;   in Loop: Header=BB42_3 Depth=1
	s_or_b32 exec_lo, exec_lo, s65
	s_wait_dscnt 0x0
	s_barrier_signal -1
	s_barrier_wait -1
	s_and_saveexec_b32 s47, s98
	s_cbranch_execz .LBB42_357
; %bb.356:                              ;   in Loop: Header=BB42_3 Depth=1
	ds_load_b64 v[38:39], v51 offset:21824
	ds_load_b64 v[40:41], v49
	s_wait_dscnt 0x0
	v_fma_f64 v[36:37], -v[38:39], v[40:41], v[36:37]
.LBB42_357:                             ;   in Loop: Header=BB42_3 Depth=1
	s_or_b32 exec_lo, exec_lo, s47
	s_barrier_signal -1
	s_barrier_wait -1
	s_and_saveexec_b32 s65, s99
	s_cbranch_execz .LBB42_359
; %bb.358:                              ;   in Loop: Header=BB42_3 Depth=1
	ds_load_b64 v[38:39], v3 offset:21320
	s_wait_dscnt 0x0
	v_mul_f64_e32 v[36:37], v[36:37], v[38:39]
	s_delay_alu instid0(VALU_DEP_1) | instskip(NEXT) | instid1(VALU_DEP_2)
	v_xor_b32_e32 v39, 0x80000000, v37
	v_mov_b32_e32 v38, v36
	ds_store_b64 v49, v[38:39]
.LBB42_359:                             ;   in Loop: Header=BB42_3 Depth=1
	s_or_b32 exec_lo, exec_lo, s65
	s_wait_dscnt 0x0
	s_barrier_signal -1
	s_barrier_wait -1
	s_and_saveexec_b32 s47, s100
	s_cbranch_execz .LBB42_361
; %bb.360:                              ;   in Loop: Header=BB42_3 Depth=1
	ds_load_b64 v[38:39], v3 offset:21312
	ds_load_b64 v[40:41], v49
	s_wait_dscnt 0x0
	v_fma_f64 v[36:37], -v[38:39], v[40:41], v[36:37]
.LBB42_361:                             ;   in Loop: Header=BB42_3 Depth=1
	s_or_b32 exec_lo, exec_lo, s47
	s_barrier_signal -1
	s_barrier_wait -1
	s_and_saveexec_b32 s65, s100
	s_cbranch_execz .LBB42_363
; %bb.362:                              ;   in Loop: Header=BB42_3 Depth=1
	ds_load_b64 v[38:39], v3 offset:20800
	s_wait_dscnt 0x0
	v_mul_f64_e32 v[36:37], v[36:37], v[38:39]
	s_delay_alu instid0(VALU_DEP_1) | instskip(NEXT) | instid1(VALU_DEP_2)
	v_xor_b32_e32 v39, 0x80000000, v37
	v_mov_b32_e32 v38, v36
	ds_store_b64 v49, v[38:39]
.LBB42_363:                             ;   in Loop: Header=BB42_3 Depth=1
	s_or_b32 exec_lo, exec_lo, s65
	s_wait_dscnt 0x0
	s_barrier_signal -1
	s_barrier_wait -1
	s_barrier_signal -1
	s_barrier_wait -1
	s_and_saveexec_b32 s47, s2
; %bb.364:                              ;   in Loop: Header=BB42_3 Depth=1
	ds_store_b64 v52, v[36:37] offset:24384
; %bb.365:                              ;   in Loop: Header=BB42_3 Depth=1
	s_or_b32 exec_lo, exec_lo, s47
	s_wait_dscnt 0x0
	s_barrier_signal -1
	s_barrier_wait -1
	s_barrier_signal -1
	s_barrier_wait -1
	s_and_saveexec_b32 s65, s101
	s_cbranch_execz .LBB42_367
; %bb.366:                              ;   in Loop: Header=BB42_3 Depth=1
	ds_load_b64 v[36:37], v68 offset:22848
	s_wait_dscnt 0x0
	ds_store_b64 v69, v[36:37] offset:20832
	ds_load_b64 v[36:37], v68 offset:22856
	s_wait_dscnt 0x0
	ds_store_b64 v69, v[36:37] offset:21344
	;; [unrolled: 3-line block ×4, first 2 shown]
.LBB42_367:                             ;   in Loop: Header=BB42_3 Depth=1
	s_or_b32 exec_lo, exec_lo, s65
	s_wait_dscnt 0x0
	s_barrier_signal -1
	s_barrier_wait -1
	s_and_saveexec_b32 s65, s14
	s_cbranch_execz .LBB42_369
; %bb.368:                              ;   in Loop: Header=BB42_3 Depth=1
	ds_load_b128 v[36:39], v3 offset:22352
	ds_load_b64 v[40:41], v3 offset:21840
	v_add_nc_u32_e64 v2, 0x5000, 0
	s_wait_dscnt 0x0
	v_mul_f64_e32 v[38:39], v[40:41], v[38:39]
	s_delay_alu instid0(VALU_DEP_1)
	v_mul_f64_e32 v[36:37], v[36:37], v[38:39]
	ds_store_2addr_b64 v2, v[36:37], v[36:37] offset0:171 offset1:234
.LBB42_369:                             ;   in Loop: Header=BB42_3 Depth=1
	s_or_b32 exec_lo, exec_lo, s65
	v_mov_b64_e32 v[36:37], 0
	s_wait_dscnt 0x0
	s_barrier_signal -1
	s_barrier_wait -1
	global_wb scope:SCOPE_DEV
	s_wait_storecnt 0x0
	global_inv scope:SCOPE_DEV
	s_and_saveexec_b32 s65, s0
	s_cbranch_execz .LBB42_373
; %bb.370:                              ;   in Loop: Header=BB42_3 Depth=1
	ds_load_b64 v[36:37], v45 offset:21824
	ds_load_b64 v[38:39], v44 offset:22352
	s_wait_dscnt 0x0
	v_fma_f64 v[36:37], v[36:37], v[38:39], 0
	s_and_saveexec_b32 s47, s15
	s_cbranch_execz .LBB42_372
; %bb.371:                              ;   in Loop: Header=BB42_3 Depth=1
	ds_load_b64 v[38:39], v69 offset:22336
	ds_load_b64 v[40:41], v3 offset:22360
	s_wait_dscnt 0x0
	v_fmac_f64_e32 v[36:37], v[38:39], v[40:41]
.LBB42_372:                             ;   in Loop: Header=BB42_3 Depth=1
	s_or_b32 exec_lo, exec_lo, s47
.LBB42_373:                             ;   in Loop: Header=BB42_3 Depth=1
	s_delay_alu instid0(SALU_CYCLE_1)
	s_or_b32 exec_lo, exec_lo, s65
	s_and_saveexec_b32 s65, s92
	s_cbranch_execz .LBB42_375
; %bb.374:                              ;   in Loop: Header=BB42_3 Depth=1
	ds_load_b64 v[38:39], v3 offset:21320
	s_wait_dscnt 0x0
	v_mul_f64_e32 v[36:37], v[36:37], v[38:39]
	s_delay_alu instid0(VALU_DEP_1) | instskip(NEXT) | instid1(VALU_DEP_2)
	v_xor_b32_e32 v39, 0x80000000, v37
	v_mov_b32_e32 v38, v36
	ds_store_b64 v5, v[38:39]
.LBB42_375:                             ;   in Loop: Header=BB42_3 Depth=1
	s_or_b32 exec_lo, exec_lo, s65
	s_wait_loadcnt_dscnt 0x0
	s_barrier_signal -1
	s_barrier_wait -1
	s_and_saveexec_b32 s47, s93
	s_cbranch_execz .LBB42_377
; %bb.376:                              ;   in Loop: Header=BB42_3 Depth=1
	ds_load_b64 v[38:39], v3 offset:21312
	ds_load_b64 v[40:41], v5
	s_wait_dscnt 0x0
	v_fma_f64 v[36:37], -v[38:39], v[40:41], v[36:37]
.LBB42_377:                             ;   in Loop: Header=BB42_3 Depth=1
	s_or_b32 exec_lo, exec_lo, s47
	s_barrier_signal -1
	s_barrier_wait -1
	s_and_saveexec_b32 s65, s93
	s_cbranch_execz .LBB42_379
; %bb.378:                              ;   in Loop: Header=BB42_3 Depth=1
	ds_load_b64 v[38:39], v3 offset:20800
	s_wait_dscnt 0x0
	v_mul_f64_e32 v[36:37], v[36:37], v[38:39]
	s_delay_alu instid0(VALU_DEP_1) | instskip(NEXT) | instid1(VALU_DEP_2)
	v_xor_b32_e32 v39, 0x80000000, v37
	v_mov_b32_e32 v38, v36
	ds_store_b64 v5, v[38:39]
.LBB42_379:                             ;   in Loop: Header=BB42_3 Depth=1
	s_or_b32 exec_lo, exec_lo, s65
	s_wait_dscnt 0x0
	s_barrier_signal -1
	s_barrier_wait -1
	s_barrier_signal -1
	s_barrier_wait -1
	s_and_saveexec_b32 s47, s0
; %bb.380:                              ;   in Loop: Header=BB42_3 Depth=1
	ds_store_b64 v47, v[36:37] offset:22336
; %bb.381:                              ;   in Loop: Header=BB42_3 Depth=1
	s_or_b32 exec_lo, exec_lo, s47
	s_wait_dscnt 0x0
	s_barrier_signal -1
	s_barrier_wait -1
	s_barrier_signal -1
	s_barrier_wait -1
	s_and_saveexec_b32 s47, s94
	s_cbranch_execz .LBB42_383
; %bb.382:                              ;   in Loop: Header=BB42_3 Depth=1
	ds_load_b64 v[36:37], v70 offset:21824
	s_wait_dscnt 0x0
	ds_store_b64 v69, v[36:37] offset:20816
	ds_load_b64 v[36:37], v70 offset:21832
	s_wait_dscnt 0x0
	ds_store_b64 v69, v[36:37] offset:21328
.LBB42_383:                             ;   in Loop: Header=BB42_3 Depth=1
	s_or_b32 exec_lo, exec_lo, s47
	s_wait_dscnt 0x0
	s_barrier_signal -1
	s_barrier_wait -1
	s_and_saveexec_b32 s65, s14
	s_cbranch_execz .LBB42_385
; %bb.384:                              ;   in Loop: Header=BB42_3 Depth=1
	ds_load_b128 v[36:39], v3 offset:21312
	ds_load_b64 v[40:41], v3 offset:20800
	v_add_nc_u32_e64 v2, 0x5000, 0
	s_wait_dscnt 0x0
	v_mul_f64_e32 v[38:39], v[40:41], v[38:39]
	s_delay_alu instid0(VALU_DEP_1)
	v_mul_f64_e32 v[36:37], v[36:37], v[38:39]
	ds_store_2addr_b64 v2, v[36:37], v[36:37] offset0:41 offset1:104
.LBB42_385:                             ;   in Loop: Header=BB42_3 Depth=1
	s_or_b32 exec_lo, exec_lo, s65
	v_mov_b64_e32 v[36:37], 0
	s_wait_dscnt 0x0
	s_barrier_signal -1
	s_barrier_wait -1
	global_wb scope:SCOPE_DEV
	s_wait_storecnt 0x0
	global_inv scope:SCOPE_DEV
	s_and_saveexec_b32 s65, s3
	s_cbranch_execz .LBB42_395
; %bb.386:                              ;   in Loop: Header=BB42_3 Depth=1
	ds_load_b64 v[36:37], v55 offset:20736
	ds_load_b64 v[38:39], v54 offset:24384
	s_wait_dscnt 0x0
	v_fma_f64 v[36:37], v[36:37], v[38:39], 0
	s_and_saveexec_b32 s47, s18
	s_cbranch_execnz .LBB42_1115
; %bb.387:                              ;   in Loop: Header=BB42_3 Depth=1
	s_or_b32 exec_lo, exec_lo, s47
	s_and_saveexec_b32 s47, s19
	s_cbranch_execnz .LBB42_1116
.LBB42_388:                             ;   in Loop: Header=BB42_3 Depth=1
	s_or_b32 exec_lo, exec_lo, s47
	s_and_saveexec_b32 s47, s20
	s_cbranch_execnz .LBB42_1117
.LBB42_389:                             ;   in Loop: Header=BB42_3 Depth=1
	s_or_b32 exec_lo, exec_lo, s47
	s_and_saveexec_b32 s47, s21
	s_cbranch_execnz .LBB42_1118
.LBB42_390:                             ;   in Loop: Header=BB42_3 Depth=1
	s_or_b32 exec_lo, exec_lo, s47
	s_and_saveexec_b32 s47, s22
	s_cbranch_execnz .LBB42_1119
.LBB42_391:                             ;   in Loop: Header=BB42_3 Depth=1
	s_or_b32 exec_lo, exec_lo, s47
	s_and_saveexec_b32 s47, s2
	s_cbranch_execnz .LBB42_1120
.LBB42_392:                             ;   in Loop: Header=BB42_3 Depth=1
	s_or_b32 exec_lo, exec_lo, s47
	s_and_saveexec_b32 s47, s17
	s_cbranch_execz .LBB42_394
.LBB42_393:                             ;   in Loop: Header=BB42_3 Depth=1
	ds_load_b64 v[38:39], v71 offset:24320
	ds_load_b64 v[40:41], v3 offset:24440
	s_wait_dscnt 0x0
	v_fmac_f64_e32 v[36:37], v[38:39], v[40:41]
.LBB42_394:                             ;   in Loop: Header=BB42_3 Depth=1
	s_or_b32 exec_lo, exec_lo, s47
.LBB42_395:                             ;   in Loop: Header=BB42_3 Depth=1
	s_delay_alu instid0(SALU_CYCLE_1)
	s_or_b32 exec_lo, exec_lo, s65
	s_and_saveexec_b32 s65, s102
	s_cbranch_execz .LBB42_397
; %bb.396:                              ;   in Loop: Header=BB42_3 Depth=1
	ds_load_b64 v[38:39], v3 offset:20280
	s_wait_dscnt 0x0
	v_mul_f64_e32 v[36:37], v[36:37], v[38:39]
	s_delay_alu instid0(VALU_DEP_1) | instskip(NEXT) | instid1(VALU_DEP_2)
	v_xor_b32_e32 v39, 0x80000000, v37
	v_mov_b32_e32 v38, v36
	ds_store_b64 v53, v[38:39]
.LBB42_397:                             ;   in Loop: Header=BB42_3 Depth=1
	s_or_b32 exec_lo, exec_lo, s65
	s_wait_loadcnt_dscnt 0x0
	s_barrier_signal -1
	s_barrier_wait -1
	s_and_saveexec_b32 s47, s103
	s_cbranch_execz .LBB42_399
; %bb.398:                              ;   in Loop: Header=BB42_3 Depth=1
	ds_load_b64 v[38:39], v55 offset:20224
	ds_load_b64 v[40:41], v53
	s_wait_dscnt 0x0
	v_fma_f64 v[36:37], -v[38:39], v[40:41], v[36:37]
.LBB42_399:                             ;   in Loop: Header=BB42_3 Depth=1
	s_or_b32 exec_lo, exec_lo, s47
	s_barrier_signal -1
	s_barrier_wait -1
	s_and_saveexec_b32 s65, s104
	s_cbranch_execz .LBB42_401
; %bb.400:                              ;   in Loop: Header=BB42_3 Depth=1
	ds_load_b64 v[38:39], v3 offset:19760
	s_wait_dscnt 0x0
	v_mul_f64_e32 v[36:37], v[36:37], v[38:39]
	s_delay_alu instid0(VALU_DEP_1) | instskip(NEXT) | instid1(VALU_DEP_2)
	v_xor_b32_e32 v39, 0x80000000, v37
	v_mov_b32_e32 v38, v36
	ds_store_b64 v53, v[38:39]
.LBB42_401:                             ;   in Loop: Header=BB42_3 Depth=1
	s_or_b32 exec_lo, exec_lo, s65
	s_wait_dscnt 0x0
	s_barrier_signal -1
	s_barrier_wait -1
	s_and_saveexec_b32 s47, vcc_hi
	s_cbranch_execz .LBB42_403
; %bb.402:                              ;   in Loop: Header=BB42_3 Depth=1
	ds_load_b64 v[38:39], v55 offset:19712
	ds_load_b64 v[40:41], v53
	s_wait_dscnt 0x0
	v_fma_f64 v[36:37], -v[38:39], v[40:41], v[36:37]
.LBB42_403:                             ;   in Loop: Header=BB42_3 Depth=1
	s_or_b32 exec_lo, exec_lo, s47
	s_barrier_signal -1
	s_barrier_wait -1
	s_and_saveexec_b32 s65, s36
	s_cbranch_execz .LBB42_405
; %bb.404:                              ;   in Loop: Header=BB42_3 Depth=1
	ds_load_b64 v[38:39], v3 offset:19240
	s_wait_dscnt 0x0
	v_mul_f64_e32 v[36:37], v[36:37], v[38:39]
	s_delay_alu instid0(VALU_DEP_1) | instskip(NEXT) | instid1(VALU_DEP_2)
	v_xor_b32_e32 v39, 0x80000000, v37
	v_mov_b32_e32 v38, v36
	ds_store_b64 v53, v[38:39]
.LBB42_405:                             ;   in Loop: Header=BB42_3 Depth=1
	s_or_b32 exec_lo, exec_lo, s65
	s_wait_dscnt 0x0
	s_barrier_signal -1
	s_barrier_wait -1
	s_and_saveexec_b32 s47, s37
	s_cbranch_execz .LBB42_407
; %bb.406:                              ;   in Loop: Header=BB42_3 Depth=1
	ds_load_b64 v[38:39], v55 offset:19200
	ds_load_b64 v[40:41], v53
	s_wait_dscnt 0x0
	v_fma_f64 v[36:37], -v[38:39], v[40:41], v[36:37]
.LBB42_407:                             ;   in Loop: Header=BB42_3 Depth=1
	s_or_b32 exec_lo, exec_lo, s47
	s_barrier_signal -1
	s_barrier_wait -1
	s_and_saveexec_b32 s65, s38
	s_cbranch_execz .LBB42_409
; %bb.408:                              ;   in Loop: Header=BB42_3 Depth=1
	ds_load_b64 v[38:39], v3 offset:18720
	s_wait_dscnt 0x0
	v_mul_f64_e32 v[36:37], v[36:37], v[38:39]
	s_delay_alu instid0(VALU_DEP_1) | instskip(NEXT) | instid1(VALU_DEP_2)
	v_xor_b32_e32 v39, 0x80000000, v37
	v_mov_b32_e32 v38, v36
	ds_store_b64 v53, v[38:39]
.LBB42_409:                             ;   in Loop: Header=BB42_3 Depth=1
	s_or_b32 exec_lo, exec_lo, s65
	s_wait_dscnt 0x0
	s_barrier_signal -1
	s_barrier_wait -1
	s_and_saveexec_b32 s47, s39
	;; [unrolled: 26-line block ×5, first 2 shown]
	s_cbranch_execz .LBB42_423
; %bb.422:                              ;   in Loop: Header=BB42_3 Depth=1
	ds_load_b64 v[38:39], v3 offset:17152
	ds_load_b64 v[40:41], v53
	s_wait_dscnt 0x0
	v_fma_f64 v[36:37], -v[38:39], v[40:41], v[36:37]
.LBB42_423:                             ;   in Loop: Header=BB42_3 Depth=1
	s_or_b32 exec_lo, exec_lo, s47
	s_barrier_signal -1
	s_barrier_wait -1
	s_and_saveexec_b32 s65, s45
	s_cbranch_execz .LBB42_425
; %bb.424:                              ;   in Loop: Header=BB42_3 Depth=1
	ds_load_b64 v[38:39], v3 offset:16640
	s_wait_dscnt 0x0
	v_mul_f64_e32 v[36:37], v[36:37], v[38:39]
	s_delay_alu instid0(VALU_DEP_1) | instskip(NEXT) | instid1(VALU_DEP_2)
	v_xor_b32_e32 v39, 0x80000000, v37
	v_mov_b32_e32 v38, v36
	ds_store_b64 v53, v[38:39]
.LBB42_425:                             ;   in Loop: Header=BB42_3 Depth=1
	s_or_b32 exec_lo, exec_lo, s65
	s_wait_dscnt 0x0
	s_barrier_signal -1
	s_barrier_wait -1
	s_barrier_signal -1
	s_barrier_wait -1
	s_and_saveexec_b32 s47, s3
; %bb.426:                              ;   in Loop: Header=BB42_3 Depth=1
	ds_store_b64 v56, v[36:37] offset:24320
; %bb.427:                              ;   in Loop: Header=BB42_3 Depth=1
	s_or_b32 exec_lo, exec_lo, s47
	s_wait_dscnt 0x0
	s_barrier_signal -1
	s_barrier_wait -1
	s_barrier_signal -1
	s_barrier_wait -1
	s_and_saveexec_b32 s65, s46
	s_cbranch_execz .LBB42_429
; %bb.428:                              ;   in Loop: Header=BB42_3 Depth=1
	ds_load_b64 v[36:37], v72 offset:20736
	s_wait_dscnt 0x0
	ds_store_b64 v73, v[36:37] offset:16704
	ds_load_b64 v[36:37], v72 offset:20744
	s_wait_dscnt 0x0
	ds_store_b64 v73, v[36:37] offset:17216
	;; [unrolled: 3-line block ×8, first 2 shown]
.LBB42_429:                             ;   in Loop: Header=BB42_3 Depth=1
	s_or_b32 exec_lo, exec_lo, s65
	s_wait_dscnt 0x0
	s_barrier_signal -1
	s_barrier_wait -1
	s_and_saveexec_b32 s65, s14
	s_cbranch_execz .LBB42_431
; %bb.430:                              ;   in Loop: Header=BB42_3 Depth=1
	ds_load_b128 v[36:39], v3 offset:20272
	ds_load_b64 v[40:41], v3 offset:19760
	v_add_nc_u32_e64 v2, 0x4800, 0
	s_wait_dscnt 0x0
	v_mul_f64_e32 v[38:39], v[40:41], v[38:39]
	s_delay_alu instid0(VALU_DEP_1)
	v_mul_f64_e32 v[36:37], v[36:37], v[38:39]
	ds_store_2addr_b64 v2, v[36:37], v[36:37] offset0:167 offset1:230
.LBB42_431:                             ;   in Loop: Header=BB42_3 Depth=1
	s_or_b32 exec_lo, exec_lo, s65
	v_mov_b64_e32 v[36:37], 0
	s_wait_dscnt 0x0
	s_barrier_signal -1
	s_barrier_wait -1
	global_wb scope:SCOPE_DEV
	s_wait_storecnt 0x0
	global_inv scope:SCOPE_DEV
	s_and_saveexec_b32 s65, s0
	s_cbranch_execz .LBB42_435
; %bb.432:                              ;   in Loop: Header=BB42_3 Depth=1
	ds_load_b64 v[36:37], v45 offset:19744
	ds_load_b64 v[38:39], v44 offset:20272
	s_wait_dscnt 0x0
	v_fma_f64 v[36:37], v[36:37], v[38:39], 0
	s_and_saveexec_b32 s47, s15
	s_cbranch_execz .LBB42_434
; %bb.433:                              ;   in Loop: Header=BB42_3 Depth=1
	ds_load_b64 v[38:39], v73 offset:20256
	ds_load_b64 v[40:41], v3 offset:20280
	s_wait_dscnt 0x0
	v_fmac_f64_e32 v[36:37], v[38:39], v[40:41]
.LBB42_434:                             ;   in Loop: Header=BB42_3 Depth=1
	s_or_b32 exec_lo, exec_lo, s47
.LBB42_435:                             ;   in Loop: Header=BB42_3 Depth=1
	s_delay_alu instid0(SALU_CYCLE_1)
	s_or_b32 exec_lo, exec_lo, s65
	s_and_saveexec_b32 s65, s92
	s_cbranch_execz .LBB42_437
; %bb.436:                              ;   in Loop: Header=BB42_3 Depth=1
	ds_load_b64 v[38:39], v3 offset:19240
	s_wait_dscnt 0x0
	v_mul_f64_e32 v[36:37], v[36:37], v[38:39]
	s_delay_alu instid0(VALU_DEP_1) | instskip(NEXT) | instid1(VALU_DEP_2)
	v_xor_b32_e32 v39, 0x80000000, v37
	v_mov_b32_e32 v38, v36
	ds_store_b64 v5, v[38:39]
.LBB42_437:                             ;   in Loop: Header=BB42_3 Depth=1
	s_or_b32 exec_lo, exec_lo, s65
	s_wait_loadcnt_dscnt 0x0
	s_barrier_signal -1
	s_barrier_wait -1
	s_and_saveexec_b32 s47, s93
	s_cbranch_execz .LBB42_439
; %bb.438:                              ;   in Loop: Header=BB42_3 Depth=1
	ds_load_b64 v[38:39], v3 offset:19232
	ds_load_b64 v[40:41], v5
	s_wait_dscnt 0x0
	v_fma_f64 v[36:37], -v[38:39], v[40:41], v[36:37]
.LBB42_439:                             ;   in Loop: Header=BB42_3 Depth=1
	s_or_b32 exec_lo, exec_lo, s47
	s_barrier_signal -1
	s_barrier_wait -1
	s_and_saveexec_b32 s65, s93
	s_cbranch_execz .LBB42_441
; %bb.440:                              ;   in Loop: Header=BB42_3 Depth=1
	ds_load_b64 v[38:39], v3 offset:18720
	s_wait_dscnt 0x0
	v_mul_f64_e32 v[36:37], v[36:37], v[38:39]
	s_delay_alu instid0(VALU_DEP_1) | instskip(NEXT) | instid1(VALU_DEP_2)
	v_xor_b32_e32 v39, 0x80000000, v37
	v_mov_b32_e32 v38, v36
	ds_store_b64 v5, v[38:39]
.LBB42_441:                             ;   in Loop: Header=BB42_3 Depth=1
	s_or_b32 exec_lo, exec_lo, s65
	s_wait_dscnt 0x0
	s_barrier_signal -1
	s_barrier_wait -1
	s_barrier_signal -1
	s_barrier_wait -1
	s_and_saveexec_b32 s47, s0
; %bb.442:                              ;   in Loop: Header=BB42_3 Depth=1
	ds_store_b64 v47, v[36:37] offset:20256
; %bb.443:                              ;   in Loop: Header=BB42_3 Depth=1
	s_or_b32 exec_lo, exec_lo, s47
	s_wait_dscnt 0x0
	s_barrier_signal -1
	s_barrier_wait -1
	s_barrier_signal -1
	s_barrier_wait -1
	s_and_saveexec_b32 s47, s94
	s_cbranch_execz .LBB42_445
; %bb.444:                              ;   in Loop: Header=BB42_3 Depth=1
	ds_load_b64 v[36:37], v74 offset:19744
	s_wait_dscnt 0x0
	ds_store_b64 v73, v[36:37] offset:18736
	ds_load_b64 v[36:37], v74 offset:19752
	s_wait_dscnt 0x0
	ds_store_b64 v73, v[36:37] offset:19248
.LBB42_445:                             ;   in Loop: Header=BB42_3 Depth=1
	s_or_b32 exec_lo, exec_lo, s47
	s_wait_dscnt 0x0
	s_barrier_signal -1
	s_barrier_wait -1
	s_and_saveexec_b32 s65, s14
	s_cbranch_execz .LBB42_447
; %bb.446:                              ;   in Loop: Header=BB42_3 Depth=1
	ds_load_b128 v[36:39], v3 offset:19232
	ds_load_b64 v[40:41], v3 offset:18720
	v_add_nc_u32_e64 v2, 0x4800, 0
	s_wait_dscnt 0x0
	v_mul_f64_e32 v[38:39], v[40:41], v[38:39]
	s_delay_alu instid0(VALU_DEP_1)
	v_mul_f64_e32 v[36:37], v[36:37], v[38:39]
	ds_store_2addr_b64 v2, v[36:37], v[36:37] offset0:37 offset1:100
.LBB42_447:                             ;   in Loop: Header=BB42_3 Depth=1
	s_or_b32 exec_lo, exec_lo, s65
	v_mov_b64_e32 v[36:37], 0
	s_wait_dscnt 0x0
	s_barrier_signal -1
	s_barrier_wait -1
	global_wb scope:SCOPE_DEV
	s_wait_storecnt 0x0
	global_inv scope:SCOPE_DEV
	s_and_saveexec_b32 s65, s2
	s_cbranch_execz .LBB42_453
; %bb.448:                              ;   in Loop: Header=BB42_3 Depth=1
	ds_load_b64 v[36:37], v51 offset:18688
	ds_load_b64 v[38:39], v50 offset:20256
	s_wait_dscnt 0x0
	v_fma_f64 v[36:37], v[36:37], v[38:39], 0
	s_and_saveexec_b32 s47, s16
	s_cbranch_execnz .LBB42_1121
; %bb.449:                              ;   in Loop: Header=BB42_3 Depth=1
	s_or_b32 exec_lo, exec_lo, s47
	s_and_saveexec_b32 s47, s17
	s_cbranch_execnz .LBB42_1122
.LBB42_450:                             ;   in Loop: Header=BB42_3 Depth=1
	s_or_b32 exec_lo, exec_lo, s47
	s_and_saveexec_b32 s47, s0
	s_cbranch_execz .LBB42_452
.LBB42_451:                             ;   in Loop: Header=BB42_3 Depth=1
	ds_load_b64 v[38:39], v75 offset:20224
	ds_load_b64 v[40:41], v3 offset:20280
	s_wait_dscnt 0x0
	v_fmac_f64_e32 v[36:37], v[38:39], v[40:41]
.LBB42_452:                             ;   in Loop: Header=BB42_3 Depth=1
	s_or_b32 exec_lo, exec_lo, s47
.LBB42_453:                             ;   in Loop: Header=BB42_3 Depth=1
	s_delay_alu instid0(SALU_CYCLE_1)
	s_or_b32 exec_lo, exec_lo, s65
	s_and_saveexec_b32 s65, s95
	s_cbranch_execz .LBB42_455
; %bb.454:                              ;   in Loop: Header=BB42_3 Depth=1
	ds_load_b64 v[38:39], v3 offset:18200
	s_wait_dscnt 0x0
	v_mul_f64_e32 v[36:37], v[36:37], v[38:39]
	s_delay_alu instid0(VALU_DEP_1) | instskip(NEXT) | instid1(VALU_DEP_2)
	v_xor_b32_e32 v39, 0x80000000, v37
	v_mov_b32_e32 v38, v36
	ds_store_b64 v49, v[38:39]
.LBB42_455:                             ;   in Loop: Header=BB42_3 Depth=1
	s_or_b32 exec_lo, exec_lo, s65
	s_wait_loadcnt_dscnt 0x0
	s_barrier_signal -1
	s_barrier_wait -1
	s_and_saveexec_b32 s47, s96
	s_cbranch_execz .LBB42_457
; %bb.456:                              ;   in Loop: Header=BB42_3 Depth=1
	ds_load_b64 v[38:39], v51 offset:18176
	ds_load_b64 v[40:41], v49
	s_wait_dscnt 0x0
	v_fma_f64 v[36:37], -v[38:39], v[40:41], v[36:37]
.LBB42_457:                             ;   in Loop: Header=BB42_3 Depth=1
	s_or_b32 exec_lo, exec_lo, s47
	s_barrier_signal -1
	s_barrier_wait -1
	s_and_saveexec_b32 s65, s97
	s_cbranch_execz .LBB42_459
; %bb.458:                              ;   in Loop: Header=BB42_3 Depth=1
	ds_load_b64 v[38:39], v3 offset:17680
	s_wait_dscnt 0x0
	v_mul_f64_e32 v[36:37], v[36:37], v[38:39]
	s_delay_alu instid0(VALU_DEP_1) | instskip(NEXT) | instid1(VALU_DEP_2)
	v_xor_b32_e32 v39, 0x80000000, v37
	v_mov_b32_e32 v38, v36
	ds_store_b64 v49, v[38:39]
.LBB42_459:                             ;   in Loop: Header=BB42_3 Depth=1
	s_or_b32 exec_lo, exec_lo, s65
	s_wait_dscnt 0x0
	s_barrier_signal -1
	s_barrier_wait -1
	s_and_saveexec_b32 s47, s98
	s_cbranch_execz .LBB42_461
; %bb.460:                              ;   in Loop: Header=BB42_3 Depth=1
	ds_load_b64 v[38:39], v51 offset:17664
	ds_load_b64 v[40:41], v49
	s_wait_dscnt 0x0
	v_fma_f64 v[36:37], -v[38:39], v[40:41], v[36:37]
.LBB42_461:                             ;   in Loop: Header=BB42_3 Depth=1
	s_or_b32 exec_lo, exec_lo, s47
	s_barrier_signal -1
	s_barrier_wait -1
	s_and_saveexec_b32 s65, s99
	s_cbranch_execz .LBB42_463
; %bb.462:                              ;   in Loop: Header=BB42_3 Depth=1
	ds_load_b64 v[38:39], v3 offset:17160
	s_wait_dscnt 0x0
	v_mul_f64_e32 v[36:37], v[36:37], v[38:39]
	s_delay_alu instid0(VALU_DEP_1) | instskip(NEXT) | instid1(VALU_DEP_2)
	v_xor_b32_e32 v39, 0x80000000, v37
	v_mov_b32_e32 v38, v36
	ds_store_b64 v49, v[38:39]
.LBB42_463:                             ;   in Loop: Header=BB42_3 Depth=1
	s_or_b32 exec_lo, exec_lo, s65
	s_wait_dscnt 0x0
	;; [unrolled: 26-line block ×3, first 2 shown]
	s_barrier_signal -1
	s_barrier_wait -1
	s_barrier_signal -1
	s_barrier_wait -1
	s_and_saveexec_b32 s47, s2
; %bb.468:                              ;   in Loop: Header=BB42_3 Depth=1
	ds_store_b64 v52, v[36:37] offset:20224
; %bb.469:                              ;   in Loop: Header=BB42_3 Depth=1
	s_or_b32 exec_lo, exec_lo, s47
	s_wait_dscnt 0x0
	s_barrier_signal -1
	s_barrier_wait -1
	s_barrier_signal -1
	s_barrier_wait -1
	s_and_saveexec_b32 s65, s101
	s_cbranch_execz .LBB42_471
; %bb.470:                              ;   in Loop: Header=BB42_3 Depth=1
	ds_load_b64 v[36:37], v79 offset:18688
	s_wait_dscnt 0x0
	ds_store_b64 v82, v[36:37] offset:16672
	ds_load_b64 v[36:37], v79 offset:18696
	s_wait_dscnt 0x0
	ds_store_b64 v82, v[36:37] offset:17184
	;; [unrolled: 3-line block ×4, first 2 shown]
.LBB42_471:                             ;   in Loop: Header=BB42_3 Depth=1
	s_or_b32 exec_lo, exec_lo, s65
	s_wait_dscnt 0x0
	s_barrier_signal -1
	s_barrier_wait -1
	s_and_saveexec_b32 s65, s14
	s_cbranch_execz .LBB42_473
; %bb.472:                              ;   in Loop: Header=BB42_3 Depth=1
	ds_load_b128 v[36:39], v3 offset:18192
	ds_load_b64 v[40:41], v3 offset:17680
	v_add_nc_u32_e64 v2, 0x4000, 0
	s_wait_dscnt 0x0
	v_mul_f64_e32 v[38:39], v[40:41], v[38:39]
	s_delay_alu instid0(VALU_DEP_1)
	v_mul_f64_e32 v[36:37], v[36:37], v[38:39]
	ds_store_2addr_b64 v2, v[36:37], v[36:37] offset0:163 offset1:226
.LBB42_473:                             ;   in Loop: Header=BB42_3 Depth=1
	s_or_b32 exec_lo, exec_lo, s65
	v_mov_b64_e32 v[36:37], 0
	s_wait_dscnt 0x0
	s_barrier_signal -1
	s_barrier_wait -1
	global_wb scope:SCOPE_DEV
	s_wait_storecnt 0x0
	global_inv scope:SCOPE_DEV
	s_and_saveexec_b32 s65, s0
	s_cbranch_execz .LBB42_477
; %bb.474:                              ;   in Loop: Header=BB42_3 Depth=1
	ds_load_b64 v[36:37], v45 offset:17664
	ds_load_b64 v[38:39], v44 offset:18192
	s_wait_dscnt 0x0
	v_fma_f64 v[36:37], v[36:37], v[38:39], 0
	s_and_saveexec_b32 s47, s15
	s_cbranch_execz .LBB42_476
; %bb.475:                              ;   in Loop: Header=BB42_3 Depth=1
	ds_load_b64 v[38:39], v82 offset:18176
	ds_load_b64 v[40:41], v3 offset:18200
	s_wait_dscnt 0x0
	v_fmac_f64_e32 v[36:37], v[38:39], v[40:41]
.LBB42_476:                             ;   in Loop: Header=BB42_3 Depth=1
	s_or_b32 exec_lo, exec_lo, s47
.LBB42_477:                             ;   in Loop: Header=BB42_3 Depth=1
	s_delay_alu instid0(SALU_CYCLE_1)
	s_or_b32 exec_lo, exec_lo, s65
	s_and_saveexec_b32 s65, s92
	s_cbranch_execz .LBB42_479
; %bb.478:                              ;   in Loop: Header=BB42_3 Depth=1
	ds_load_b64 v[38:39], v3 offset:17160
	s_wait_dscnt 0x0
	v_mul_f64_e32 v[36:37], v[36:37], v[38:39]
	s_delay_alu instid0(VALU_DEP_1) | instskip(NEXT) | instid1(VALU_DEP_2)
	v_xor_b32_e32 v39, 0x80000000, v37
	v_mov_b32_e32 v38, v36
	ds_store_b64 v5, v[38:39]
.LBB42_479:                             ;   in Loop: Header=BB42_3 Depth=1
	s_or_b32 exec_lo, exec_lo, s65
	s_wait_loadcnt_dscnt 0x0
	s_barrier_signal -1
	s_barrier_wait -1
	s_and_saveexec_b32 s47, s93
	s_cbranch_execz .LBB42_481
; %bb.480:                              ;   in Loop: Header=BB42_3 Depth=1
	ds_load_b64 v[38:39], v3 offset:17152
	ds_load_b64 v[40:41], v5
	s_wait_dscnt 0x0
	v_fma_f64 v[36:37], -v[38:39], v[40:41], v[36:37]
.LBB42_481:                             ;   in Loop: Header=BB42_3 Depth=1
	s_or_b32 exec_lo, exec_lo, s47
	s_barrier_signal -1
	s_barrier_wait -1
	s_and_saveexec_b32 s65, s93
	s_cbranch_execz .LBB42_483
; %bb.482:                              ;   in Loop: Header=BB42_3 Depth=1
	ds_load_b64 v[38:39], v3 offset:16640
	s_wait_dscnt 0x0
	v_mul_f64_e32 v[36:37], v[36:37], v[38:39]
	s_delay_alu instid0(VALU_DEP_1) | instskip(NEXT) | instid1(VALU_DEP_2)
	v_xor_b32_e32 v39, 0x80000000, v37
	v_mov_b32_e32 v38, v36
	ds_store_b64 v5, v[38:39]
.LBB42_483:                             ;   in Loop: Header=BB42_3 Depth=1
	s_or_b32 exec_lo, exec_lo, s65
	s_wait_dscnt 0x0
	s_barrier_signal -1
	s_barrier_wait -1
	s_barrier_signal -1
	s_barrier_wait -1
	s_and_saveexec_b32 s47, s0
; %bb.484:                              ;   in Loop: Header=BB42_3 Depth=1
	ds_store_b64 v47, v[36:37] offset:18176
; %bb.485:                              ;   in Loop: Header=BB42_3 Depth=1
	s_or_b32 exec_lo, exec_lo, s47
	s_wait_dscnt 0x0
	s_barrier_signal -1
	s_barrier_wait -1
	s_barrier_signal -1
	s_barrier_wait -1
	s_and_saveexec_b32 s47, s94
	s_cbranch_execz .LBB42_487
; %bb.486:                              ;   in Loop: Header=BB42_3 Depth=1
	ds_load_b64 v[36:37], v83 offset:17664
	s_wait_dscnt 0x0
	ds_store_b64 v82, v[36:37] offset:16656
	ds_load_b64 v[36:37], v83 offset:17672
	s_wait_dscnt 0x0
	ds_store_b64 v82, v[36:37] offset:17168
.LBB42_487:                             ;   in Loop: Header=BB42_3 Depth=1
	s_or_b32 exec_lo, exec_lo, s47
	s_wait_dscnt 0x0
	s_barrier_signal -1
	s_barrier_wait -1
	s_and_saveexec_b32 s65, s14
	s_cbranch_execz .LBB42_489
; %bb.488:                              ;   in Loop: Header=BB42_3 Depth=1
	ds_load_b128 v[36:39], v3 offset:17152
	ds_load_b64 v[40:41], v3 offset:16640
	v_add_nc_u32_e64 v2, 0x4000, 0
	s_wait_dscnt 0x0
	v_mul_f64_e32 v[38:39], v[40:41], v[38:39]
	s_delay_alu instid0(VALU_DEP_1)
	v_mul_f64_e32 v[36:37], v[36:37], v[38:39]
	ds_store_2addr_b64 v2, v[36:37], v[36:37] offset0:33 offset1:96
.LBB42_489:                             ;   in Loop: Header=BB42_3 Depth=1
	s_or_b32 exec_lo, exec_lo, s65
	v_mov_b64_e32 v[36:37], 0
	s_wait_dscnt 0x0
	s_barrier_signal -1
	s_barrier_wait -1
	global_wb scope:SCOPE_DEV
	s_wait_storecnt 0x0
	global_inv scope:SCOPE_DEV
	s_and_saveexec_b32 s65, s35
	s_cbranch_execz .LBB42_551
; %bb.490:                              ;   in Loop: Header=BB42_3 Depth=1
	ds_load_b64 v[36:37], v62 offset:16384
	ds_load_b64 v[38:39], v63 offset:32512
	s_wait_dscnt 0x0
	v_fma_f64 v[36:37], v[36:37], v[38:39], 0
	s_mov_b32 s47, exec_lo
	v_readlane_b32 s82, v96, 4
	s_and_b32 s82, s47, s82
	s_delay_alu instid0(SALU_CYCLE_1)
	s_mov_b32 exec_lo, s82
	s_cbranch_execz .LBB42_492
; %bb.491:                              ;   in Loop: Header=BB42_3 Depth=1
	ds_load_b64 v[38:39], v62 offset:16896
	ds_load_b64 v[40:41], v63 offset:32520
	s_wait_dscnt 0x0
	v_fmac_f64_e32 v[36:37], v[38:39], v[40:41]
.LBB42_492:                             ;   in Loop: Header=BB42_3 Depth=1
	s_or_b32 exec_lo, exec_lo, s47
	s_delay_alu instid0(SALU_CYCLE_1) | instskip(SKIP_2) | instid1(SALU_CYCLE_1)
	s_mov_b32 s47, exec_lo
	v_readlane_b32 s82, v96, 5
	s_and_b32 s82, s47, s82
	s_mov_b32 exec_lo, s82
	s_cbranch_execz .LBB42_494
; %bb.493:                              ;   in Loop: Header=BB42_3 Depth=1
	ds_load_b64 v[38:39], v62 offset:17408
	ds_load_b64 v[40:41], v63 offset:32528
	s_wait_dscnt 0x0
	v_fmac_f64_e32 v[36:37], v[38:39], v[40:41]
.LBB42_494:                             ;   in Loop: Header=BB42_3 Depth=1
	s_or_b32 exec_lo, exec_lo, s47
	s_delay_alu instid0(SALU_CYCLE_1) | instskip(SKIP_2) | instid1(SALU_CYCLE_1)
	s_mov_b32 s47, exec_lo
	v_readlane_b32 s82, v96, 6
	s_and_b32 s82, s47, s82
	s_mov_b32 exec_lo, s82
	s_cbranch_execz .LBB42_496
; %bb.495:                              ;   in Loop: Header=BB42_3 Depth=1
	ds_load_b64 v[38:39], v62 offset:17920
	ds_load_b64 v[40:41], v63 offset:32536
	s_wait_dscnt 0x0
	v_fmac_f64_e32 v[36:37], v[38:39], v[40:41]
.LBB42_496:                             ;   in Loop: Header=BB42_3 Depth=1
	s_or_b32 exec_lo, exec_lo, s47
	s_delay_alu instid0(SALU_CYCLE_1) | instskip(SKIP_2) | instid1(SALU_CYCLE_1)
	s_mov_b32 s47, exec_lo
	v_readlane_b32 s82, v96, 7
	s_and_b32 s82, s47, s82
	s_mov_b32 exec_lo, s82
	s_cbranch_execz .LBB42_498
; %bb.497:                              ;   in Loop: Header=BB42_3 Depth=1
	ds_load_b64 v[38:39], v62 offset:18432
	ds_load_b64 v[40:41], v63 offset:32544
	s_wait_dscnt 0x0
	v_fmac_f64_e32 v[36:37], v[38:39], v[40:41]
.LBB42_498:                             ;   in Loop: Header=BB42_3 Depth=1
	s_or_b32 exec_lo, exec_lo, s47
	s_delay_alu instid0(SALU_CYCLE_1) | instskip(SKIP_2) | instid1(SALU_CYCLE_1)
	s_mov_b32 s47, exec_lo
	v_readlane_b32 s82, v96, 8
	s_and_b32 s82, s47, s82
	s_mov_b32 exec_lo, s82
	s_cbranch_execz .LBB42_500
; %bb.499:                              ;   in Loop: Header=BB42_3 Depth=1
	ds_load_b64 v[38:39], v62 offset:18944
	ds_load_b64 v[40:41], v63 offset:32552
	s_wait_dscnt 0x0
	v_fmac_f64_e32 v[36:37], v[38:39], v[40:41]
.LBB42_500:                             ;   in Loop: Header=BB42_3 Depth=1
	s_or_b32 exec_lo, exec_lo, s47
	s_delay_alu instid0(SALU_CYCLE_1) | instskip(SKIP_2) | instid1(SALU_CYCLE_1)
	s_mov_b32 s47, exec_lo
	v_readlane_b32 s82, v96, 9
	s_and_b32 s82, s47, s82
	s_mov_b32 exec_lo, s82
	s_cbranch_execz .LBB42_502
; %bb.501:                              ;   in Loop: Header=BB42_3 Depth=1
	ds_load_b64 v[38:39], v62 offset:19456
	ds_load_b64 v[40:41], v63 offset:32560
	s_wait_dscnt 0x0
	v_fmac_f64_e32 v[36:37], v[38:39], v[40:41]
.LBB42_502:                             ;   in Loop: Header=BB42_3 Depth=1
	s_or_b32 exec_lo, exec_lo, s47
	s_delay_alu instid0(SALU_CYCLE_1) | instskip(SKIP_2) | instid1(SALU_CYCLE_1)
	s_mov_b32 s47, exec_lo
	v_readlane_b32 s82, v96, 10
	s_and_b32 s82, s47, s82
	s_mov_b32 exec_lo, s82
	s_cbranch_execz .LBB42_504
; %bb.503:                              ;   in Loop: Header=BB42_3 Depth=1
	ds_load_b64 v[38:39], v62 offset:19968
	ds_load_b64 v[40:41], v63 offset:32568
	s_wait_dscnt 0x0
	v_fmac_f64_e32 v[36:37], v[38:39], v[40:41]
.LBB42_504:                             ;   in Loop: Header=BB42_3 Depth=1
	s_or_b32 exec_lo, exec_lo, s47
	s_delay_alu instid0(SALU_CYCLE_1) | instskip(SKIP_2) | instid1(SALU_CYCLE_1)
	s_mov_b32 s47, exec_lo
	v_readlane_b32 s82, v96, 11
	s_and_b32 s82, s47, s82
	s_mov_b32 exec_lo, s82
	s_cbranch_execz .LBB42_506
; %bb.505:                              ;   in Loop: Header=BB42_3 Depth=1
	ds_load_b64 v[38:39], v62 offset:20480
	ds_load_b64 v[40:41], v63 offset:32576
	s_wait_dscnt 0x0
	v_fmac_f64_e32 v[36:37], v[38:39], v[40:41]
.LBB42_506:                             ;   in Loop: Header=BB42_3 Depth=1
	s_or_b32 exec_lo, exec_lo, s47
	s_delay_alu instid0(SALU_CYCLE_1) | instskip(SKIP_2) | instid1(SALU_CYCLE_1)
	s_mov_b32 s47, exec_lo
	v_readlane_b32 s82, v96, 12
	s_and_b32 s82, s47, s82
	s_mov_b32 exec_lo, s82
	s_cbranch_execz .LBB42_508
; %bb.507:                              ;   in Loop: Header=BB42_3 Depth=1
	ds_load_b64 v[38:39], v62 offset:20992
	ds_load_b64 v[40:41], v63 offset:32584
	s_wait_dscnt 0x0
	v_fmac_f64_e32 v[36:37], v[38:39], v[40:41]
.LBB42_508:                             ;   in Loop: Header=BB42_3 Depth=1
	s_or_b32 exec_lo, exec_lo, s47
	s_delay_alu instid0(SALU_CYCLE_1) | instskip(SKIP_2) | instid1(SALU_CYCLE_1)
	s_mov_b32 s47, exec_lo
	v_readlane_b32 s82, v96, 13
	s_and_b32 s82, s47, s82
	s_mov_b32 exec_lo, s82
	s_cbranch_execz .LBB42_510
; %bb.509:                              ;   in Loop: Header=BB42_3 Depth=1
	ds_load_b64 v[38:39], v62 offset:21504
	ds_load_b64 v[40:41], v63 offset:32592
	s_wait_dscnt 0x0
	v_fmac_f64_e32 v[36:37], v[38:39], v[40:41]
.LBB42_510:                             ;   in Loop: Header=BB42_3 Depth=1
	s_or_b32 exec_lo, exec_lo, s47
	s_delay_alu instid0(SALU_CYCLE_1) | instskip(SKIP_2) | instid1(SALU_CYCLE_1)
	s_mov_b32 s47, exec_lo
	v_readlane_b32 s82, v96, 14
	s_and_b32 s82, s47, s82
	s_mov_b32 exec_lo, s82
	s_cbranch_execz .LBB42_512
; %bb.511:                              ;   in Loop: Header=BB42_3 Depth=1
	ds_load_b64 v[38:39], v62 offset:22016
	ds_load_b64 v[40:41], v63 offset:32600
	s_wait_dscnt 0x0
	v_fmac_f64_e32 v[36:37], v[38:39], v[40:41]
.LBB42_512:                             ;   in Loop: Header=BB42_3 Depth=1
	s_or_b32 exec_lo, exec_lo, s47
	s_delay_alu instid0(SALU_CYCLE_1) | instskip(SKIP_2) | instid1(SALU_CYCLE_1)
	s_mov_b32 s47, exec_lo
	v_readlane_b32 s82, v96, 15
	s_and_b32 s82, s47, s82
	s_mov_b32 exec_lo, s82
	s_cbranch_execz .LBB42_514
; %bb.513:                              ;   in Loop: Header=BB42_3 Depth=1
	ds_load_b64 v[38:39], v62 offset:22528
	ds_load_b64 v[40:41], v63 offset:32608
	s_wait_dscnt 0x0
	v_fmac_f64_e32 v[36:37], v[38:39], v[40:41]
.LBB42_514:                             ;   in Loop: Header=BB42_3 Depth=1
	s_or_b32 exec_lo, exec_lo, s47
	s_delay_alu instid0(SALU_CYCLE_1) | instskip(SKIP_2) | instid1(SALU_CYCLE_1)
	s_mov_b32 s47, exec_lo
	v_readlane_b32 s82, v96, 16
	s_and_b32 s82, s47, s82
	s_mov_b32 exec_lo, s82
	s_cbranch_execz .LBB42_516
; %bb.515:                              ;   in Loop: Header=BB42_3 Depth=1
	ds_load_b64 v[38:39], v62 offset:23040
	ds_load_b64 v[40:41], v63 offset:32616
	s_wait_dscnt 0x0
	v_fmac_f64_e32 v[36:37], v[38:39], v[40:41]
.LBB42_516:                             ;   in Loop: Header=BB42_3 Depth=1
	s_or_b32 exec_lo, exec_lo, s47
	s_delay_alu instid0(SALU_CYCLE_1) | instskip(SKIP_2) | instid1(SALU_CYCLE_1)
	s_mov_b32 s47, exec_lo
	v_readlane_b32 s82, v96, 17
	s_and_b32 s82, s47, s82
	s_mov_b32 exec_lo, s82
	s_cbranch_execz .LBB42_518
; %bb.517:                              ;   in Loop: Header=BB42_3 Depth=1
	ds_load_b64 v[38:39], v62 offset:23552
	ds_load_b64 v[40:41], v63 offset:32624
	s_wait_dscnt 0x0
	v_fmac_f64_e32 v[36:37], v[38:39], v[40:41]
.LBB42_518:                             ;   in Loop: Header=BB42_3 Depth=1
	s_or_b32 exec_lo, exec_lo, s47
	s_delay_alu instid0(SALU_CYCLE_1) | instskip(SKIP_2) | instid1(SALU_CYCLE_1)
	s_mov_b32 s47, exec_lo
	v_readlane_b32 s82, v96, 18
	s_and_b32 s82, s47, s82
	s_mov_b32 exec_lo, s82
	s_cbranch_execz .LBB42_520
; %bb.519:                              ;   in Loop: Header=BB42_3 Depth=1
	ds_load_b64 v[38:39], v62 offset:24064
	ds_load_b64 v[40:41], v63 offset:32632
	s_wait_dscnt 0x0
	v_fmac_f64_e32 v[36:37], v[38:39], v[40:41]
.LBB42_520:                             ;   in Loop: Header=BB42_3 Depth=1
	s_or_b32 exec_lo, exec_lo, s47
	s_delay_alu instid0(SALU_CYCLE_1) | instskip(SKIP_2) | instid1(SALU_CYCLE_1)
	s_mov_b32 s47, exec_lo
	v_readlane_b32 s82, v96, 19
	s_and_b32 s82, s47, s82
	s_mov_b32 exec_lo, s82
	s_cbranch_execz .LBB42_522
; %bb.521:                              ;   in Loop: Header=BB42_3 Depth=1
	ds_load_b64 v[38:39], v62 offset:24576
	ds_load_b64 v[40:41], v63 offset:32640
	s_wait_dscnt 0x0
	v_fmac_f64_e32 v[36:37], v[38:39], v[40:41]
.LBB42_522:                             ;   in Loop: Header=BB42_3 Depth=1
	s_or_b32 exec_lo, exec_lo, s47
	s_delay_alu instid0(SALU_CYCLE_1) | instskip(SKIP_2) | instid1(SALU_CYCLE_1)
	s_mov_b32 s47, exec_lo
	v_readlane_b32 s82, v96, 20
	s_and_b32 s82, s47, s82
	s_mov_b32 exec_lo, s82
	s_cbranch_execz .LBB42_524
; %bb.523:                              ;   in Loop: Header=BB42_3 Depth=1
	ds_load_b64 v[38:39], v62 offset:25088
	ds_load_b64 v[40:41], v63 offset:32648
	s_wait_dscnt 0x0
	v_fmac_f64_e32 v[36:37], v[38:39], v[40:41]
.LBB42_524:                             ;   in Loop: Header=BB42_3 Depth=1
	s_or_b32 exec_lo, exec_lo, s47
	s_delay_alu instid0(SALU_CYCLE_1) | instskip(SKIP_2) | instid1(SALU_CYCLE_1)
	s_mov_b32 s47, exec_lo
	v_readlane_b32 s82, v96, 21
	s_and_b32 s82, s47, s82
	s_mov_b32 exec_lo, s82
	s_cbranch_execz .LBB42_526
; %bb.525:                              ;   in Loop: Header=BB42_3 Depth=1
	ds_load_b64 v[38:39], v62 offset:25600
	ds_load_b64 v[40:41], v63 offset:32656
	s_wait_dscnt 0x0
	v_fmac_f64_e32 v[36:37], v[38:39], v[40:41]
.LBB42_526:                             ;   in Loop: Header=BB42_3 Depth=1
	s_or_b32 exec_lo, exec_lo, s47
	s_delay_alu instid0(SALU_CYCLE_1) | instskip(SKIP_2) | instid1(SALU_CYCLE_1)
	s_mov_b32 s47, exec_lo
	v_readlane_b32 s82, v96, 22
	s_and_b32 s82, s47, s82
	s_mov_b32 exec_lo, s82
	s_cbranch_execz .LBB42_528
; %bb.527:                              ;   in Loop: Header=BB42_3 Depth=1
	ds_load_b64 v[38:39], v62 offset:26112
	ds_load_b64 v[40:41], v63 offset:32664
	s_wait_dscnt 0x0
	v_fmac_f64_e32 v[36:37], v[38:39], v[40:41]
.LBB42_528:                             ;   in Loop: Header=BB42_3 Depth=1
	s_or_b32 exec_lo, exec_lo, s47
	s_delay_alu instid0(SALU_CYCLE_1) | instskip(SKIP_2) | instid1(SALU_CYCLE_1)
	s_mov_b32 s47, exec_lo
	v_readlane_b32 s82, v96, 23
	s_and_b32 s82, s47, s82
	s_mov_b32 exec_lo, s82
	s_cbranch_execz .LBB42_530
; %bb.529:                              ;   in Loop: Header=BB42_3 Depth=1
	ds_load_b64 v[38:39], v62 offset:26624
	ds_load_b64 v[40:41], v63 offset:32672
	s_wait_dscnt 0x0
	v_fmac_f64_e32 v[36:37], v[38:39], v[40:41]
.LBB42_530:                             ;   in Loop: Header=BB42_3 Depth=1
	s_or_b32 exec_lo, exec_lo, s47
	s_delay_alu instid0(SALU_CYCLE_1) | instskip(SKIP_2) | instid1(SALU_CYCLE_1)
	s_mov_b32 s47, exec_lo
	v_readlane_b32 s82, v96, 24
	s_and_b32 s82, s47, s82
	s_mov_b32 exec_lo, s82
	s_cbranch_execz .LBB42_532
; %bb.531:                              ;   in Loop: Header=BB42_3 Depth=1
	ds_load_b64 v[38:39], v62 offset:27136
	ds_load_b64 v[40:41], v63 offset:32680
	s_wait_dscnt 0x0
	v_fmac_f64_e32 v[36:37], v[38:39], v[40:41]
.LBB42_532:                             ;   in Loop: Header=BB42_3 Depth=1
	s_or_b32 exec_lo, exec_lo, s47
	s_delay_alu instid0(SALU_CYCLE_1) | instskip(SKIP_2) | instid1(SALU_CYCLE_1)
	s_mov_b32 s47, exec_lo
	v_readlane_b32 s82, v96, 25
	s_and_b32 s82, s47, s82
	s_mov_b32 exec_lo, s82
	s_cbranch_execz .LBB42_534
; %bb.533:                              ;   in Loop: Header=BB42_3 Depth=1
	ds_load_b64 v[38:39], v62 offset:27648
	ds_load_b64 v[40:41], v63 offset:32688
	s_wait_dscnt 0x0
	v_fmac_f64_e32 v[36:37], v[38:39], v[40:41]
.LBB42_534:                             ;   in Loop: Header=BB42_3 Depth=1
	s_or_b32 exec_lo, exec_lo, s47
	s_delay_alu instid0(SALU_CYCLE_1) | instskip(SKIP_2) | instid1(SALU_CYCLE_1)
	s_mov_b32 s47, exec_lo
	v_readlane_b32 s82, v96, 26
	s_and_b32 s82, s47, s82
	s_mov_b32 exec_lo, s82
	s_cbranch_execz .LBB42_536
; %bb.535:                              ;   in Loop: Header=BB42_3 Depth=1
	ds_load_b64 v[38:39], v62 offset:28160
	ds_load_b64 v[40:41], v63 offset:32696
	s_wait_dscnt 0x0
	v_fmac_f64_e32 v[36:37], v[38:39], v[40:41]
.LBB42_536:                             ;   in Loop: Header=BB42_3 Depth=1
	s_or_b32 exec_lo, exec_lo, s47
	s_and_saveexec_b32 s47, s4
	s_cbranch_execz .LBB42_538
; %bb.537:                              ;   in Loop: Header=BB42_3 Depth=1
	ds_load_b64 v[38:39], v62 offset:28672
	ds_load_b64 v[40:41], v63 offset:32704
	s_wait_dscnt 0x0
	v_fmac_f64_e32 v[36:37], v[38:39], v[40:41]
.LBB42_538:                             ;   in Loop: Header=BB42_3 Depth=1
	s_or_b32 exec_lo, exec_lo, s47
	s_delay_alu instid0(SALU_CYCLE_1) | instskip(SKIP_2) | instid1(SALU_CYCLE_1)
	s_mov_b32 s47, exec_lo
	v_readlane_b32 s82, v97, 26
	s_and_b32 s82, s47, s82
	s_mov_b32 exec_lo, s82
	s_cbranch_execz .LBB42_540
; %bb.539:                              ;   in Loop: Header=BB42_3 Depth=1
	ds_load_b64 v[38:39], v62 offset:29184
	ds_load_b64 v[40:41], v63 offset:32712
	s_wait_dscnt 0x0
	v_fmac_f64_e32 v[36:37], v[38:39], v[40:41]
.LBB42_540:                             ;   in Loop: Header=BB42_3 Depth=1
	s_or_b32 exec_lo, exec_lo, s47
	s_delay_alu instid0(SALU_CYCLE_1) | instskip(SKIP_2) | instid1(SALU_CYCLE_1)
	s_mov_b32 s47, exec_lo
	v_readlane_b32 s82, v97, 28
	s_and_b32 s82, s47, s82
	s_mov_b32 exec_lo, s82
	s_cbranch_execz .LBB42_542
; %bb.541:                              ;   in Loop: Header=BB42_3 Depth=1
	ds_load_b64 v[38:39], v62 offset:29696
	ds_load_b64 v[40:41], v63 offset:32720
	s_wait_dscnt 0x0
	v_fmac_f64_e32 v[36:37], v[38:39], v[40:41]
.LBB42_542:                             ;   in Loop: Header=BB42_3 Depth=1
	s_or_b32 exec_lo, exec_lo, s47
	s_delay_alu instid0(SALU_CYCLE_1) | instskip(SKIP_2) | instid1(SALU_CYCLE_1)
	s_mov_b32 s47, exec_lo
	v_readlane_b32 s82, v97, 30
	s_and_b32 s82, s47, s82
	s_mov_b32 exec_lo, s82
	s_cbranch_execz .LBB42_544
; %bb.543:                              ;   in Loop: Header=BB42_3 Depth=1
	ds_load_b64 v[38:39], v62 offset:30208
	ds_load_b64 v[40:41], v63 offset:32728
	s_wait_dscnt 0x0
	v_fmac_f64_e32 v[36:37], v[38:39], v[40:41]
.LBB42_544:                             ;   in Loop: Header=BB42_3 Depth=1
	s_or_b32 exec_lo, exec_lo, s47
	s_delay_alu instid0(SALU_CYCLE_1) | instskip(SKIP_2) | instid1(SALU_CYCLE_1)
	s_mov_b32 s47, exec_lo
	v_readlane_b32 s82, v96, 0
	s_and_b32 s82, s47, s82
	s_mov_b32 exec_lo, s82
	s_cbranch_execz .LBB42_546
; %bb.545:                              ;   in Loop: Header=BB42_3 Depth=1
	ds_load_b64 v[38:39], v62 offset:30720
	ds_load_b64 v[40:41], v63 offset:32736
	s_wait_dscnt 0x0
	v_fmac_f64_e32 v[36:37], v[38:39], v[40:41]
.LBB42_546:                             ;   in Loop: Header=BB42_3 Depth=1
	s_or_b32 exec_lo, exec_lo, s47
	s_delay_alu instid0(SALU_CYCLE_1) | instskip(SKIP_2) | instid1(SALU_CYCLE_1)
	s_mov_b32 s47, exec_lo
	v_readlane_b32 s82, v96, 2
	s_and_b32 s82, s47, s82
	s_mov_b32 exec_lo, s82
	s_cbranch_execnz .LBB42_1123
; %bb.547:                              ;   in Loop: Header=BB42_3 Depth=1
	s_or_b32 exec_lo, exec_lo, s47
	s_and_saveexec_b32 s47, s3
	s_cbranch_execnz .LBB42_1124
.LBB42_548:                             ;   in Loop: Header=BB42_3 Depth=1
	s_or_b32 exec_lo, exec_lo, s47
	s_and_saveexec_b32 s47, s21
	s_delay_alu instid0(SALU_CYCLE_1)
	s_xor_b32 s47, exec_lo, s47
	s_cbranch_execz .LBB42_550
.LBB42_549:                             ;   in Loop: Header=BB42_3 Depth=1
	ds_load_b64 v[38:39], v46 offset:32256
	ds_load_b64 v[40:41], v3 offset:32760
	s_wait_dscnt 0x0
	v_fmac_f64_e32 v[36:37], v[38:39], v[40:41]
.LBB42_550:                             ;   in Loop: Header=BB42_3 Depth=1
	s_or_b32 exec_lo, exec_lo, s47
.LBB42_551:                             ;   in Loop: Header=BB42_3 Depth=1
	s_delay_alu instid0(SALU_CYCLE_1)
	s_or_b32 exec_lo, exec_lo, s65
	v_mov_b32_e32 v2, v66
	s_mov_b32 s65, 31
	s_branch .LBB42_553
.LBB42_552:                             ;   in Loop: Header=BB42_553 Depth=2
	s_or_b32 exec_lo, exec_lo, s47
	v_add_nc_u32_e32 v2, 0xfffff800, v2
	s_add_co_i32 s65, s65, -4
	s_cmp_eq_u32 s82, 0
	s_barrier_signal -1
	s_barrier_wait -1
	s_cbranch_scc1 .LBB42_569
.LBB42_553:                             ;   Parent Loop BB42_3 Depth=1
                                        ; =>  This Inner Loop Header: Depth=2
	s_delay_alu instid0(VALU_DEP_1) | instskip(SKIP_1) | instid1(SALU_CYCLE_1)
	v_cmp_eq_u32_e32 vcc_lo, 0xffffc200, v2
	s_and_b32 s47, s64, vcc_lo
	s_and_saveexec_b32 s82, s47
	s_cbranch_execz .LBB42_555
; %bb.554:                              ;   in Loop: Header=BB42_553 Depth=2
	ds_load_b64 v[38:39], v86
	s_wait_dscnt 0x0
	v_mul_f64_e32 v[36:37], v[36:37], v[38:39]
	s_delay_alu instid0(VALU_DEP_1) | instskip(NEXT) | instid1(VALU_DEP_2)
	v_xor_b32_e32 v39, 0x80000000, v37
	v_mov_b32_e32 v38, v36
	ds_store_b64 v61, v[38:39]
.LBB42_555:                             ;   in Loop: Header=BB42_553 Depth=2
	s_or_b32 exec_lo, exec_lo, s82
	v_cmp_gt_u32_e32 vcc_lo, s65, v7
	v_add_nc_u32_e32 v38, v64, v2
	s_wait_loadcnt_dscnt 0x0
	s_barrier_signal -1
	s_barrier_wait -1
	s_and_b32 s82, s64, vcc_lo
	s_delay_alu instid0(SALU_CYCLE_1)
	s_and_saveexec_b32 s47, s82
	s_cbranch_execz .LBB42_557
; %bb.556:                              ;   in Loop: Header=BB42_553 Depth=2
	ds_load_b64 v[40:41], v38 offset:1536
	ds_load_b64 v[92:93], v61
	s_wait_dscnt 0x0
	v_fma_f64 v[36:37], -v[40:41], v[92:93], v[36:37]
.LBB42_557:                             ;   in Loop: Header=BB42_553 Depth=2
	s_or_b32 exec_lo, exec_lo, s47
	s_add_co_i32 s82, s65, -1
	s_delay_alu instid0(SALU_CYCLE_1) | instskip(SKIP_3) | instid1(SALU_CYCLE_1)
	v_cmp_eq_u32_e32 vcc_lo, s82, v7
	s_barrier_signal -1
	s_barrier_wait -1
	s_and_b32 s47, s64, vcc_lo
	s_and_saveexec_b32 s83, s47
	s_cbranch_execz .LBB42_559
; %bb.558:                              ;   in Loop: Header=BB42_553 Depth=2
	ds_load_b64 v[40:41], v86
	s_wait_dscnt 0x0
	v_mul_f64_e32 v[36:37], v[36:37], v[40:41]
	s_delay_alu instid0(VALU_DEP_1) | instskip(NEXT) | instid1(VALU_DEP_2)
	v_xor_b32_e32 v41, 0x80000000, v37
	v_mov_b32_e32 v40, v36
	ds_store_b64 v61, v[40:41]
.LBB42_559:                             ;   in Loop: Header=BB42_553 Depth=2
	s_or_b32 exec_lo, exec_lo, s83
	v_cmp_gt_u32_e32 vcc_lo, s82, v7
	s_wait_dscnt 0x0
	s_barrier_signal -1
	s_barrier_wait -1
	s_and_b32 s82, s64, vcc_lo
	s_delay_alu instid0(SALU_CYCLE_1)
	s_and_saveexec_b32 s47, s82
	s_cbranch_execz .LBB42_561
; %bb.560:                              ;   in Loop: Header=BB42_553 Depth=2
	ds_load_b64 v[40:41], v38 offset:1024
	ds_load_b64 v[92:93], v61
	s_wait_dscnt 0x0
	v_fma_f64 v[36:37], -v[40:41], v[92:93], v[36:37]
.LBB42_561:                             ;   in Loop: Header=BB42_553 Depth=2
	s_or_b32 exec_lo, exec_lo, s47
	s_add_co_i32 s82, s65, -2
	s_delay_alu instid0(SALU_CYCLE_1) | instskip(SKIP_3) | instid1(SALU_CYCLE_1)
	v_cmp_eq_u32_e32 vcc_lo, s82, v7
	s_barrier_signal -1
	s_barrier_wait -1
	s_and_b32 s47, s64, vcc_lo
	s_and_saveexec_b32 s83, s47
	s_cbranch_execz .LBB42_563
; %bb.562:                              ;   in Loop: Header=BB42_553 Depth=2
	ds_load_b64 v[40:41], v86
	s_wait_dscnt 0x0
	v_mul_f64_e32 v[36:37], v[36:37], v[40:41]
	s_delay_alu instid0(VALU_DEP_1) | instskip(NEXT) | instid1(VALU_DEP_2)
	v_xor_b32_e32 v41, 0x80000000, v37
	v_mov_b32_e32 v40, v36
	ds_store_b64 v61, v[40:41]
.LBB42_563:                             ;   in Loop: Header=BB42_553 Depth=2
	s_or_b32 exec_lo, exec_lo, s83
	v_cmp_gt_u32_e32 vcc_lo, s82, v7
	s_wait_dscnt 0x0
	;; [unrolled: 33-line block ×3, first 2 shown]
	s_barrier_signal -1
	s_barrier_wait -1
	s_and_b32 s83, s64, vcc_lo
	s_delay_alu instid0(SALU_CYCLE_1)
	s_and_saveexec_b32 s47, s83
	s_cbranch_execz .LBB42_552
; %bb.568:                              ;   in Loop: Header=BB42_553 Depth=2
	ds_load_b64 v[38:39], v38
	ds_load_b64 v[40:41], v61
	s_wait_dscnt 0x0
	v_fma_f64 v[36:37], -v[38:39], v[40:41], v[36:37]
	s_branch .LBB42_552
.LBB42_569:                             ;   in Loop: Header=BB42_3 Depth=1
	s_and_saveexec_b32 s47, s35
; %bb.570:                              ;   in Loop: Header=BB42_3 Depth=1
	ds_store_b64 v67, v[36:37] offset:32256
; %bb.571:                              ;   in Loop: Header=BB42_3 Depth=1
	s_or_b32 exec_lo, exec_lo, s47
	s_wait_dscnt 0x0
	s_barrier_signal -1
	s_barrier_wait -1
	s_barrier_signal -1
	s_barrier_wait -1
	s_mov_b32 s65, exec_lo
	v_readlane_b32 s47, v97, 7
	s_and_b32 s47, s65, s47
	s_delay_alu instid0(SALU_CYCLE_1)
	s_mov_b32 exec_lo, s47
	s_cbranch_execz .LBB42_573
; %bb.572:                              ;   in Loop: Header=BB42_3 Depth=1
	ds_load_b64 v[36:37], v48 offset:16384
	s_wait_dscnt 0x0
	ds_store_b64 v65, v[36:37] offset:256
	ds_load_b64 v[36:37], v48 offset:16392
	s_wait_dscnt 0x0
	ds_store_b64 v65, v[36:37] offset:768
	;; [unrolled: 3-line block ×32, first 2 shown]
.LBB42_573:                             ;   in Loop: Header=BB42_3 Depth=1
	s_or_b32 exec_lo, exec_lo, s65
	s_wait_dscnt 0x0
	s_barrier_signal -1
	s_barrier_wait -1
	s_and_saveexec_b32 s65, s14
	s_cbranch_execz .LBB42_575
; %bb.574:                              ;   in Loop: Header=BB42_3 Depth=1
	ds_load_b128 v[36:39], v3 offset:16112
	ds_load_b64 v[40:41], v3 offset:15600
	v_add_nc_u32_e64 v2, 0x3800, 0
	s_wait_dscnt 0x0
	v_mul_f64_e32 v[38:39], v[40:41], v[38:39]
	s_delay_alu instid0(VALU_DEP_1)
	v_mul_f64_e32 v[36:37], v[36:37], v[38:39]
	ds_store_2addr_b64 v2, v[36:37], v[36:37] offset0:159 offset1:222
.LBB42_575:                             ;   in Loop: Header=BB42_3 Depth=1
	s_or_b32 exec_lo, exec_lo, s65
	v_mov_b64_e32 v[36:37], 0
	s_wait_dscnt 0x0
	s_barrier_signal -1
	s_barrier_wait -1
	global_wb scope:SCOPE_DEV
	s_wait_storecnt 0x0
	global_inv scope:SCOPE_DEV
	s_and_saveexec_b32 s65, s0
	s_cbranch_execz .LBB42_579
; %bb.576:                              ;   in Loop: Header=BB42_3 Depth=1
	ds_load_b64 v[36:37], v45 offset:15584
	ds_load_b64 v[38:39], v44 offset:16112
	s_wait_dscnt 0x0
	v_fma_f64 v[36:37], v[36:37], v[38:39], 0
	s_and_saveexec_b32 s47, s15
	s_cbranch_execz .LBB42_578
; %bb.577:                              ;   in Loop: Header=BB42_3 Depth=1
	ds_load_b64 v[38:39], v46 offset:16096
	ds_load_b64 v[40:41], v3 offset:16120
	s_wait_dscnt 0x0
	v_fmac_f64_e32 v[36:37], v[38:39], v[40:41]
.LBB42_578:                             ;   in Loop: Header=BB42_3 Depth=1
	s_or_b32 exec_lo, exec_lo, s47
.LBB42_579:                             ;   in Loop: Header=BB42_3 Depth=1
	s_delay_alu instid0(SALU_CYCLE_1)
	s_or_b32 exec_lo, exec_lo, s65
	s_and_saveexec_b32 s65, s92
	s_cbranch_execz .LBB42_581
; %bb.580:                              ;   in Loop: Header=BB42_3 Depth=1
	ds_load_b64 v[38:39], v3 offset:15080
	s_wait_dscnt 0x0
	v_mul_f64_e32 v[36:37], v[36:37], v[38:39]
	s_delay_alu instid0(VALU_DEP_1) | instskip(NEXT) | instid1(VALU_DEP_2)
	v_xor_b32_e32 v39, 0x80000000, v37
	v_mov_b32_e32 v38, v36
	ds_store_b64 v5, v[38:39]
.LBB42_581:                             ;   in Loop: Header=BB42_3 Depth=1
	s_or_b32 exec_lo, exec_lo, s65
	s_wait_loadcnt_dscnt 0x0
	s_barrier_signal -1
	s_barrier_wait -1
	s_and_saveexec_b32 s47, s93
	s_cbranch_execz .LBB42_583
; %bb.582:                              ;   in Loop: Header=BB42_3 Depth=1
	ds_load_b64 v[38:39], v3 offset:15072
	ds_load_b64 v[40:41], v5
	s_wait_dscnt 0x0
	v_fma_f64 v[36:37], -v[38:39], v[40:41], v[36:37]
.LBB42_583:                             ;   in Loop: Header=BB42_3 Depth=1
	s_or_b32 exec_lo, exec_lo, s47
	s_barrier_signal -1
	s_barrier_wait -1
	s_and_saveexec_b32 s65, s93
	s_cbranch_execz .LBB42_585
; %bb.584:                              ;   in Loop: Header=BB42_3 Depth=1
	ds_load_b64 v[38:39], v3 offset:14560
	s_wait_dscnt 0x0
	v_mul_f64_e32 v[36:37], v[36:37], v[38:39]
	s_delay_alu instid0(VALU_DEP_1) | instskip(NEXT) | instid1(VALU_DEP_2)
	v_xor_b32_e32 v39, 0x80000000, v37
	v_mov_b32_e32 v38, v36
	ds_store_b64 v5, v[38:39]
.LBB42_585:                             ;   in Loop: Header=BB42_3 Depth=1
	s_or_b32 exec_lo, exec_lo, s65
	s_wait_dscnt 0x0
	s_barrier_signal -1
	s_barrier_wait -1
	s_barrier_signal -1
	s_barrier_wait -1
	s_and_saveexec_b32 s47, s0
; %bb.586:                              ;   in Loop: Header=BB42_3 Depth=1
	ds_store_b64 v47, v[36:37] offset:16096
; %bb.587:                              ;   in Loop: Header=BB42_3 Depth=1
	s_or_b32 exec_lo, exec_lo, s47
	s_wait_dscnt 0x0
	s_barrier_signal -1
	s_barrier_wait -1
	s_barrier_signal -1
	s_barrier_wait -1
	s_and_saveexec_b32 s47, s94
	s_cbranch_execz .LBB42_589
; %bb.588:                              ;   in Loop: Header=BB42_3 Depth=1
	ds_load_b64 v[36:37], v48 offset:15584
	s_wait_dscnt 0x0
	ds_store_b64 v46, v[36:37] offset:14576
	ds_load_b64 v[36:37], v48 offset:15592
	s_wait_dscnt 0x0
	ds_store_b64 v46, v[36:37] offset:15088
.LBB42_589:                             ;   in Loop: Header=BB42_3 Depth=1
	s_or_b32 exec_lo, exec_lo, s47
	s_wait_dscnt 0x0
	s_barrier_signal -1
	s_barrier_wait -1
	s_and_saveexec_b32 s65, s14
	s_cbranch_execz .LBB42_591
; %bb.590:                              ;   in Loop: Header=BB42_3 Depth=1
	ds_load_b128 v[36:39], v3 offset:15072
	ds_load_b64 v[40:41], v3 offset:14560
	v_add_nc_u32_e64 v2, 0x3800, 0
	s_wait_dscnt 0x0
	v_mul_f64_e32 v[38:39], v[40:41], v[38:39]
	s_delay_alu instid0(VALU_DEP_1)
	v_mul_f64_e32 v[36:37], v[36:37], v[38:39]
	ds_store_2addr_b64 v2, v[36:37], v[36:37] offset0:29 offset1:92
.LBB42_591:                             ;   in Loop: Header=BB42_3 Depth=1
	s_or_b32 exec_lo, exec_lo, s65
	v_mov_b64_e32 v[36:37], 0
	s_wait_dscnt 0x0
	s_barrier_signal -1
	s_barrier_wait -1
	global_wb scope:SCOPE_DEV
	s_wait_storecnt 0x0
	global_inv scope:SCOPE_DEV
	s_and_saveexec_b32 s65, s2
	s_cbranch_execz .LBB42_597
; %bb.592:                              ;   in Loop: Header=BB42_3 Depth=1
	ds_load_b64 v[36:37], v51 offset:14528
	ds_load_b64 v[38:39], v50 offset:16096
	s_wait_dscnt 0x0
	v_fma_f64 v[36:37], v[36:37], v[38:39], 0
	s_and_saveexec_b32 s47, s16
	s_cbranch_execnz .LBB42_1125
; %bb.593:                              ;   in Loop: Header=BB42_3 Depth=1
	s_or_b32 exec_lo, exec_lo, s47
	s_and_saveexec_b32 s47, s17
	s_cbranch_execnz .LBB42_1126
.LBB42_594:                             ;   in Loop: Header=BB42_3 Depth=1
	s_or_b32 exec_lo, exec_lo, s47
	s_and_saveexec_b32 s47, s0
	s_cbranch_execz .LBB42_596
.LBB42_595:                             ;   in Loop: Header=BB42_3 Depth=1
	ds_load_b64 v[38:39], v65 offset:16064
	ds_load_b64 v[40:41], v3 offset:16120
	s_wait_dscnt 0x0
	v_fmac_f64_e32 v[36:37], v[38:39], v[40:41]
.LBB42_596:                             ;   in Loop: Header=BB42_3 Depth=1
	s_or_b32 exec_lo, exec_lo, s47
.LBB42_597:                             ;   in Loop: Header=BB42_3 Depth=1
	s_delay_alu instid0(SALU_CYCLE_1)
	s_or_b32 exec_lo, exec_lo, s65
	s_and_saveexec_b32 s65, s95
	s_cbranch_execz .LBB42_599
; %bb.598:                              ;   in Loop: Header=BB42_3 Depth=1
	ds_load_b64 v[38:39], v3 offset:14040
	s_wait_dscnt 0x0
	v_mul_f64_e32 v[36:37], v[36:37], v[38:39]
	s_delay_alu instid0(VALU_DEP_1) | instskip(NEXT) | instid1(VALU_DEP_2)
	v_xor_b32_e32 v39, 0x80000000, v37
	v_mov_b32_e32 v38, v36
	ds_store_b64 v49, v[38:39]
.LBB42_599:                             ;   in Loop: Header=BB42_3 Depth=1
	s_or_b32 exec_lo, exec_lo, s65
	s_wait_loadcnt_dscnt 0x0
	s_barrier_signal -1
	s_barrier_wait -1
	s_and_saveexec_b32 s47, s96
	s_cbranch_execz .LBB42_601
; %bb.600:                              ;   in Loop: Header=BB42_3 Depth=1
	ds_load_b64 v[38:39], v51 offset:14016
	ds_load_b64 v[40:41], v49
	s_wait_dscnt 0x0
	v_fma_f64 v[36:37], -v[38:39], v[40:41], v[36:37]
.LBB42_601:                             ;   in Loop: Header=BB42_3 Depth=1
	s_or_b32 exec_lo, exec_lo, s47
	s_barrier_signal -1
	s_barrier_wait -1
	s_and_saveexec_b32 s65, s97
	s_cbranch_execz .LBB42_603
; %bb.602:                              ;   in Loop: Header=BB42_3 Depth=1
	ds_load_b64 v[38:39], v3 offset:13520
	s_wait_dscnt 0x0
	v_mul_f64_e32 v[36:37], v[36:37], v[38:39]
	s_delay_alu instid0(VALU_DEP_1) | instskip(NEXT) | instid1(VALU_DEP_2)
	v_xor_b32_e32 v39, 0x80000000, v37
	v_mov_b32_e32 v38, v36
	ds_store_b64 v49, v[38:39]
.LBB42_603:                             ;   in Loop: Header=BB42_3 Depth=1
	s_or_b32 exec_lo, exec_lo, s65
	s_wait_dscnt 0x0
	s_barrier_signal -1
	s_barrier_wait -1
	s_and_saveexec_b32 s47, s98
	s_cbranch_execz .LBB42_605
; %bb.604:                              ;   in Loop: Header=BB42_3 Depth=1
	ds_load_b64 v[38:39], v51 offset:13504
	ds_load_b64 v[40:41], v49
	s_wait_dscnt 0x0
	v_fma_f64 v[36:37], -v[38:39], v[40:41], v[36:37]
.LBB42_605:                             ;   in Loop: Header=BB42_3 Depth=1
	s_or_b32 exec_lo, exec_lo, s47
	s_barrier_signal -1
	s_barrier_wait -1
	s_and_saveexec_b32 s65, s99
	s_cbranch_execz .LBB42_607
; %bb.606:                              ;   in Loop: Header=BB42_3 Depth=1
	ds_load_b64 v[38:39], v3 offset:13000
	s_wait_dscnt 0x0
	v_mul_f64_e32 v[36:37], v[36:37], v[38:39]
	s_delay_alu instid0(VALU_DEP_1) | instskip(NEXT) | instid1(VALU_DEP_2)
	v_xor_b32_e32 v39, 0x80000000, v37
	v_mov_b32_e32 v38, v36
	ds_store_b64 v49, v[38:39]
.LBB42_607:                             ;   in Loop: Header=BB42_3 Depth=1
	s_or_b32 exec_lo, exec_lo, s65
	s_wait_dscnt 0x0
	;; [unrolled: 26-line block ×3, first 2 shown]
	s_barrier_signal -1
	s_barrier_wait -1
	s_barrier_signal -1
	s_barrier_wait -1
	s_and_saveexec_b32 s47, s2
; %bb.612:                              ;   in Loop: Header=BB42_3 Depth=1
	ds_store_b64 v52, v[36:37] offset:16064
; %bb.613:                              ;   in Loop: Header=BB42_3 Depth=1
	s_or_b32 exec_lo, exec_lo, s47
	s_wait_dscnt 0x0
	s_barrier_signal -1
	s_barrier_wait -1
	s_barrier_signal -1
	s_barrier_wait -1
	s_and_saveexec_b32 s65, s101
	s_cbranch_execz .LBB42_615
; %bb.614:                              ;   in Loop: Header=BB42_3 Depth=1
	ds_load_b64 v[36:37], v68 offset:14528
	s_wait_dscnt 0x0
	ds_store_b64 v69, v[36:37] offset:12512
	ds_load_b64 v[36:37], v68 offset:14536
	s_wait_dscnt 0x0
	ds_store_b64 v69, v[36:37] offset:13024
	;; [unrolled: 3-line block ×4, first 2 shown]
.LBB42_615:                             ;   in Loop: Header=BB42_3 Depth=1
	s_or_b32 exec_lo, exec_lo, s65
	s_wait_dscnt 0x0
	s_barrier_signal -1
	s_barrier_wait -1
	s_and_saveexec_b32 s65, s14
	s_cbranch_execz .LBB42_617
; %bb.616:                              ;   in Loop: Header=BB42_3 Depth=1
	ds_load_b128 v[36:39], v3 offset:14032
	ds_load_b64 v[40:41], v3 offset:13520
	v_add_nc_u32_e64 v2, 0x3000, 0
	s_wait_dscnt 0x0
	v_mul_f64_e32 v[38:39], v[40:41], v[38:39]
	s_delay_alu instid0(VALU_DEP_1)
	v_mul_f64_e32 v[36:37], v[36:37], v[38:39]
	ds_store_2addr_b64 v2, v[36:37], v[36:37] offset0:155 offset1:218
.LBB42_617:                             ;   in Loop: Header=BB42_3 Depth=1
	s_or_b32 exec_lo, exec_lo, s65
	v_mov_b64_e32 v[36:37], 0
	s_wait_dscnt 0x0
	s_barrier_signal -1
	s_barrier_wait -1
	global_wb scope:SCOPE_DEV
	s_wait_storecnt 0x0
	global_inv scope:SCOPE_DEV
	s_and_saveexec_b32 s65, s0
	s_cbranch_execz .LBB42_621
; %bb.618:                              ;   in Loop: Header=BB42_3 Depth=1
	ds_load_b64 v[36:37], v45 offset:13504
	ds_load_b64 v[38:39], v44 offset:14032
	s_wait_dscnt 0x0
	v_fma_f64 v[36:37], v[36:37], v[38:39], 0
	s_and_saveexec_b32 s47, s15
	s_cbranch_execz .LBB42_620
; %bb.619:                              ;   in Loop: Header=BB42_3 Depth=1
	ds_load_b64 v[38:39], v69 offset:14016
	ds_load_b64 v[40:41], v3 offset:14040
	s_wait_dscnt 0x0
	v_fmac_f64_e32 v[36:37], v[38:39], v[40:41]
.LBB42_620:                             ;   in Loop: Header=BB42_3 Depth=1
	s_or_b32 exec_lo, exec_lo, s47
.LBB42_621:                             ;   in Loop: Header=BB42_3 Depth=1
	s_delay_alu instid0(SALU_CYCLE_1)
	s_or_b32 exec_lo, exec_lo, s65
	s_and_saveexec_b32 s65, s92
	s_cbranch_execz .LBB42_623
; %bb.622:                              ;   in Loop: Header=BB42_3 Depth=1
	ds_load_b64 v[38:39], v3 offset:13000
	s_wait_dscnt 0x0
	v_mul_f64_e32 v[36:37], v[36:37], v[38:39]
	s_delay_alu instid0(VALU_DEP_1) | instskip(NEXT) | instid1(VALU_DEP_2)
	v_xor_b32_e32 v39, 0x80000000, v37
	v_mov_b32_e32 v38, v36
	ds_store_b64 v5, v[38:39]
.LBB42_623:                             ;   in Loop: Header=BB42_3 Depth=1
	s_or_b32 exec_lo, exec_lo, s65
	s_wait_loadcnt_dscnt 0x0
	s_barrier_signal -1
	s_barrier_wait -1
	s_and_saveexec_b32 s47, s93
	s_cbranch_execz .LBB42_625
; %bb.624:                              ;   in Loop: Header=BB42_3 Depth=1
	ds_load_b64 v[38:39], v3 offset:12992
	ds_load_b64 v[40:41], v5
	s_wait_dscnt 0x0
	v_fma_f64 v[36:37], -v[38:39], v[40:41], v[36:37]
.LBB42_625:                             ;   in Loop: Header=BB42_3 Depth=1
	s_or_b32 exec_lo, exec_lo, s47
	s_barrier_signal -1
	s_barrier_wait -1
	s_and_saveexec_b32 s65, s93
	s_cbranch_execz .LBB42_627
; %bb.626:                              ;   in Loop: Header=BB42_3 Depth=1
	ds_load_b64 v[38:39], v3 offset:12480
	s_wait_dscnt 0x0
	v_mul_f64_e32 v[36:37], v[36:37], v[38:39]
	s_delay_alu instid0(VALU_DEP_1) | instskip(NEXT) | instid1(VALU_DEP_2)
	v_xor_b32_e32 v39, 0x80000000, v37
	v_mov_b32_e32 v38, v36
	ds_store_b64 v5, v[38:39]
.LBB42_627:                             ;   in Loop: Header=BB42_3 Depth=1
	s_or_b32 exec_lo, exec_lo, s65
	s_wait_dscnt 0x0
	s_barrier_signal -1
	s_barrier_wait -1
	s_barrier_signal -1
	s_barrier_wait -1
	s_and_saveexec_b32 s47, s0
; %bb.628:                              ;   in Loop: Header=BB42_3 Depth=1
	ds_store_b64 v47, v[36:37] offset:14016
; %bb.629:                              ;   in Loop: Header=BB42_3 Depth=1
	s_or_b32 exec_lo, exec_lo, s47
	s_wait_dscnt 0x0
	s_barrier_signal -1
	s_barrier_wait -1
	s_barrier_signal -1
	s_barrier_wait -1
	s_and_saveexec_b32 s47, s94
	s_cbranch_execz .LBB42_631
; %bb.630:                              ;   in Loop: Header=BB42_3 Depth=1
	ds_load_b64 v[36:37], v70 offset:13504
	s_wait_dscnt 0x0
	ds_store_b64 v69, v[36:37] offset:12496
	ds_load_b64 v[36:37], v70 offset:13512
	s_wait_dscnt 0x0
	ds_store_b64 v69, v[36:37] offset:13008
.LBB42_631:                             ;   in Loop: Header=BB42_3 Depth=1
	s_or_b32 exec_lo, exec_lo, s47
	s_wait_dscnt 0x0
	s_barrier_signal -1
	s_barrier_wait -1
	s_and_saveexec_b32 s65, s14
	s_cbranch_execz .LBB42_633
; %bb.632:                              ;   in Loop: Header=BB42_3 Depth=1
	ds_load_b128 v[36:39], v3 offset:12992
	ds_load_b64 v[40:41], v3 offset:12480
	v_add_nc_u32_e64 v2, 0x3000, 0
	s_wait_dscnt 0x0
	v_mul_f64_e32 v[38:39], v[40:41], v[38:39]
	s_delay_alu instid0(VALU_DEP_1)
	v_mul_f64_e32 v[36:37], v[36:37], v[38:39]
	ds_store_2addr_b64 v2, v[36:37], v[36:37] offset0:25 offset1:88
.LBB42_633:                             ;   in Loop: Header=BB42_3 Depth=1
	s_or_b32 exec_lo, exec_lo, s65
	v_mov_b64_e32 v[36:37], 0
	s_wait_dscnt 0x0
	s_barrier_signal -1
	s_barrier_wait -1
	global_wb scope:SCOPE_DEV
	s_wait_storecnt 0x0
	global_inv scope:SCOPE_DEV
	s_and_saveexec_b32 s65, s3
	s_cbranch_execz .LBB42_643
; %bb.634:                              ;   in Loop: Header=BB42_3 Depth=1
	ds_load_b64 v[36:37], v55 offset:12416
	ds_load_b64 v[38:39], v54 offset:16064
	s_wait_dscnt 0x0
	v_fma_f64 v[36:37], v[36:37], v[38:39], 0
	s_and_saveexec_b32 s47, s18
	s_cbranch_execnz .LBB42_1127
; %bb.635:                              ;   in Loop: Header=BB42_3 Depth=1
	s_or_b32 exec_lo, exec_lo, s47
	s_and_saveexec_b32 s47, s19
	s_cbranch_execnz .LBB42_1128
.LBB42_636:                             ;   in Loop: Header=BB42_3 Depth=1
	s_or_b32 exec_lo, exec_lo, s47
	s_and_saveexec_b32 s47, s20
	s_cbranch_execnz .LBB42_1129
.LBB42_637:                             ;   in Loop: Header=BB42_3 Depth=1
	s_or_b32 exec_lo, exec_lo, s47
	s_and_saveexec_b32 s47, s21
	s_cbranch_execnz .LBB42_1130
.LBB42_638:                             ;   in Loop: Header=BB42_3 Depth=1
	s_or_b32 exec_lo, exec_lo, s47
	s_and_saveexec_b32 s47, s22
	s_cbranch_execnz .LBB42_1131
.LBB42_639:                             ;   in Loop: Header=BB42_3 Depth=1
	s_or_b32 exec_lo, exec_lo, s47
	s_and_saveexec_b32 s47, s2
	s_cbranch_execnz .LBB42_1132
.LBB42_640:                             ;   in Loop: Header=BB42_3 Depth=1
	s_or_b32 exec_lo, exec_lo, s47
	s_and_saveexec_b32 s47, s17
	s_cbranch_execz .LBB42_642
.LBB42_641:                             ;   in Loop: Header=BB42_3 Depth=1
	ds_load_b64 v[38:39], v71 offset:16000
	ds_load_b64 v[40:41], v3 offset:16120
	s_wait_dscnt 0x0
	v_fmac_f64_e32 v[36:37], v[38:39], v[40:41]
.LBB42_642:                             ;   in Loop: Header=BB42_3 Depth=1
	s_or_b32 exec_lo, exec_lo, s47
.LBB42_643:                             ;   in Loop: Header=BB42_3 Depth=1
	s_delay_alu instid0(SALU_CYCLE_1)
	s_or_b32 exec_lo, exec_lo, s65
	s_and_saveexec_b32 s65, s102
	s_cbranch_execz .LBB42_645
; %bb.644:                              ;   in Loop: Header=BB42_3 Depth=1
	ds_load_b64 v[38:39], v3 offset:11960
	s_wait_dscnt 0x0
	v_mul_f64_e32 v[36:37], v[36:37], v[38:39]
	s_delay_alu instid0(VALU_DEP_1) | instskip(NEXT) | instid1(VALU_DEP_2)
	v_xor_b32_e32 v39, 0x80000000, v37
	v_mov_b32_e32 v38, v36
	ds_store_b64 v53, v[38:39]
.LBB42_645:                             ;   in Loop: Header=BB42_3 Depth=1
	s_or_b32 exec_lo, exec_lo, s65
	s_wait_loadcnt_dscnt 0x0
	s_barrier_signal -1
	s_barrier_wait -1
	s_and_saveexec_b32 s47, s103
	s_cbranch_execz .LBB42_647
; %bb.646:                              ;   in Loop: Header=BB42_3 Depth=1
	ds_load_b64 v[38:39], v55 offset:11904
	ds_load_b64 v[40:41], v53
	s_wait_dscnt 0x0
	v_fma_f64 v[36:37], -v[38:39], v[40:41], v[36:37]
.LBB42_647:                             ;   in Loop: Header=BB42_3 Depth=1
	s_or_b32 exec_lo, exec_lo, s47
	s_barrier_signal -1
	s_barrier_wait -1
	s_and_saveexec_b32 s65, s104
	s_cbranch_execz .LBB42_649
; %bb.648:                              ;   in Loop: Header=BB42_3 Depth=1
	ds_load_b64 v[38:39], v3 offset:11440
	s_wait_dscnt 0x0
	v_mul_f64_e32 v[36:37], v[36:37], v[38:39]
	s_delay_alu instid0(VALU_DEP_1) | instskip(NEXT) | instid1(VALU_DEP_2)
	v_xor_b32_e32 v39, 0x80000000, v37
	v_mov_b32_e32 v38, v36
	ds_store_b64 v53, v[38:39]
.LBB42_649:                             ;   in Loop: Header=BB42_3 Depth=1
	s_or_b32 exec_lo, exec_lo, s65
	s_wait_dscnt 0x0
	s_barrier_signal -1
	s_barrier_wait -1
	s_and_saveexec_b32 s47, vcc_hi
	s_cbranch_execz .LBB42_651
; %bb.650:                              ;   in Loop: Header=BB42_3 Depth=1
	ds_load_b64 v[38:39], v55 offset:11392
	ds_load_b64 v[40:41], v53
	s_wait_dscnt 0x0
	v_fma_f64 v[36:37], -v[38:39], v[40:41], v[36:37]
.LBB42_651:                             ;   in Loop: Header=BB42_3 Depth=1
	s_or_b32 exec_lo, exec_lo, s47
	s_barrier_signal -1
	s_barrier_wait -1
	s_and_saveexec_b32 s65, s36
	s_cbranch_execz .LBB42_653
; %bb.652:                              ;   in Loop: Header=BB42_3 Depth=1
	ds_load_b64 v[38:39], v3 offset:10920
	s_wait_dscnt 0x0
	v_mul_f64_e32 v[36:37], v[36:37], v[38:39]
	s_delay_alu instid0(VALU_DEP_1) | instskip(NEXT) | instid1(VALU_DEP_2)
	v_xor_b32_e32 v39, 0x80000000, v37
	v_mov_b32_e32 v38, v36
	ds_store_b64 v53, v[38:39]
.LBB42_653:                             ;   in Loop: Header=BB42_3 Depth=1
	s_or_b32 exec_lo, exec_lo, s65
	s_wait_dscnt 0x0
	s_barrier_signal -1
	s_barrier_wait -1
	s_and_saveexec_b32 s47, s37
	s_cbranch_execz .LBB42_655
; %bb.654:                              ;   in Loop: Header=BB42_3 Depth=1
	ds_load_b64 v[38:39], v55 offset:10880
	ds_load_b64 v[40:41], v53
	s_wait_dscnt 0x0
	v_fma_f64 v[36:37], -v[38:39], v[40:41], v[36:37]
.LBB42_655:                             ;   in Loop: Header=BB42_3 Depth=1
	s_or_b32 exec_lo, exec_lo, s47
	s_barrier_signal -1
	s_barrier_wait -1
	s_and_saveexec_b32 s65, s38
	s_cbranch_execz .LBB42_657
; %bb.656:                              ;   in Loop: Header=BB42_3 Depth=1
	ds_load_b64 v[38:39], v3 offset:10400
	s_wait_dscnt 0x0
	v_mul_f64_e32 v[36:37], v[36:37], v[38:39]
	s_delay_alu instid0(VALU_DEP_1) | instskip(NEXT) | instid1(VALU_DEP_2)
	v_xor_b32_e32 v39, 0x80000000, v37
	v_mov_b32_e32 v38, v36
	ds_store_b64 v53, v[38:39]
.LBB42_657:                             ;   in Loop: Header=BB42_3 Depth=1
	s_or_b32 exec_lo, exec_lo, s65
	s_wait_dscnt 0x0
	s_barrier_signal -1
	s_barrier_wait -1
	s_and_saveexec_b32 s47, s39
	;; [unrolled: 26-line block ×5, first 2 shown]
	s_cbranch_execz .LBB42_671
; %bb.670:                              ;   in Loop: Header=BB42_3 Depth=1
	ds_load_b64 v[38:39], v3 offset:8832
	ds_load_b64 v[40:41], v53
	s_wait_dscnt 0x0
	v_fma_f64 v[36:37], -v[38:39], v[40:41], v[36:37]
.LBB42_671:                             ;   in Loop: Header=BB42_3 Depth=1
	s_or_b32 exec_lo, exec_lo, s47
	s_barrier_signal -1
	s_barrier_wait -1
	s_and_saveexec_b32 s65, s45
	s_cbranch_execz .LBB42_673
; %bb.672:                              ;   in Loop: Header=BB42_3 Depth=1
	ds_load_b64 v[38:39], v3 offset:8320
	s_wait_dscnt 0x0
	v_mul_f64_e32 v[36:37], v[36:37], v[38:39]
	s_delay_alu instid0(VALU_DEP_1) | instskip(NEXT) | instid1(VALU_DEP_2)
	v_xor_b32_e32 v39, 0x80000000, v37
	v_mov_b32_e32 v38, v36
	ds_store_b64 v53, v[38:39]
.LBB42_673:                             ;   in Loop: Header=BB42_3 Depth=1
	s_or_b32 exec_lo, exec_lo, s65
	s_wait_dscnt 0x0
	s_barrier_signal -1
	s_barrier_wait -1
	s_barrier_signal -1
	s_barrier_wait -1
	s_and_saveexec_b32 s47, s3
; %bb.674:                              ;   in Loop: Header=BB42_3 Depth=1
	ds_store_b64 v56, v[36:37] offset:16000
; %bb.675:                              ;   in Loop: Header=BB42_3 Depth=1
	s_or_b32 exec_lo, exec_lo, s47
	s_wait_dscnt 0x0
	s_barrier_signal -1
	s_barrier_wait -1
	s_barrier_signal -1
	s_barrier_wait -1
	s_and_saveexec_b32 s65, s46
	s_cbranch_execz .LBB42_677
; %bb.676:                              ;   in Loop: Header=BB42_3 Depth=1
	ds_load_b64 v[36:37], v72 offset:12416
	s_wait_dscnt 0x0
	ds_store_b64 v73, v[36:37] offset:8384
	ds_load_b64 v[36:37], v72 offset:12424
	s_wait_dscnt 0x0
	ds_store_b64 v73, v[36:37] offset:8896
	;; [unrolled: 3-line block ×8, first 2 shown]
.LBB42_677:                             ;   in Loop: Header=BB42_3 Depth=1
	s_or_b32 exec_lo, exec_lo, s65
	s_wait_dscnt 0x0
	s_barrier_signal -1
	s_barrier_wait -1
	s_and_saveexec_b32 s65, s14
	s_cbranch_execz .LBB42_679
; %bb.678:                              ;   in Loop: Header=BB42_3 Depth=1
	ds_load_b128 v[36:39], v3 offset:11952
	ds_load_b64 v[40:41], v3 offset:11440
	v_add_nc_u32_e64 v2, 0x2800, 0
	s_wait_dscnt 0x0
	v_mul_f64_e32 v[38:39], v[40:41], v[38:39]
	s_delay_alu instid0(VALU_DEP_1)
	v_mul_f64_e32 v[36:37], v[36:37], v[38:39]
	ds_store_2addr_b64 v2, v[36:37], v[36:37] offset0:151 offset1:214
.LBB42_679:                             ;   in Loop: Header=BB42_3 Depth=1
	s_or_b32 exec_lo, exec_lo, s65
	v_mov_b64_e32 v[36:37], 0
	s_wait_dscnt 0x0
	s_barrier_signal -1
	s_barrier_wait -1
	global_wb scope:SCOPE_DEV
	s_wait_storecnt 0x0
	global_inv scope:SCOPE_DEV
	s_and_saveexec_b32 s65, s0
	s_cbranch_execz .LBB42_683
; %bb.680:                              ;   in Loop: Header=BB42_3 Depth=1
	ds_load_b64 v[36:37], v45 offset:11424
	ds_load_b64 v[38:39], v44 offset:11952
	s_wait_dscnt 0x0
	v_fma_f64 v[36:37], v[36:37], v[38:39], 0
	s_and_saveexec_b32 s47, s15
	s_cbranch_execz .LBB42_682
; %bb.681:                              ;   in Loop: Header=BB42_3 Depth=1
	ds_load_b64 v[38:39], v73 offset:11936
	ds_load_b64 v[40:41], v3 offset:11960
	s_wait_dscnt 0x0
	v_fmac_f64_e32 v[36:37], v[38:39], v[40:41]
.LBB42_682:                             ;   in Loop: Header=BB42_3 Depth=1
	s_or_b32 exec_lo, exec_lo, s47
.LBB42_683:                             ;   in Loop: Header=BB42_3 Depth=1
	s_delay_alu instid0(SALU_CYCLE_1)
	s_or_b32 exec_lo, exec_lo, s65
	s_and_saveexec_b32 s65, s92
	s_cbranch_execz .LBB42_685
; %bb.684:                              ;   in Loop: Header=BB42_3 Depth=1
	ds_load_b64 v[38:39], v3 offset:10920
	s_wait_dscnt 0x0
	v_mul_f64_e32 v[36:37], v[36:37], v[38:39]
	s_delay_alu instid0(VALU_DEP_1) | instskip(NEXT) | instid1(VALU_DEP_2)
	v_xor_b32_e32 v39, 0x80000000, v37
	v_mov_b32_e32 v38, v36
	ds_store_b64 v5, v[38:39]
.LBB42_685:                             ;   in Loop: Header=BB42_3 Depth=1
	s_or_b32 exec_lo, exec_lo, s65
	s_wait_loadcnt_dscnt 0x0
	s_barrier_signal -1
	s_barrier_wait -1
	s_and_saveexec_b32 s47, s93
	s_cbranch_execz .LBB42_687
; %bb.686:                              ;   in Loop: Header=BB42_3 Depth=1
	ds_load_b64 v[38:39], v3 offset:10912
	ds_load_b64 v[40:41], v5
	s_wait_dscnt 0x0
	v_fma_f64 v[36:37], -v[38:39], v[40:41], v[36:37]
.LBB42_687:                             ;   in Loop: Header=BB42_3 Depth=1
	s_or_b32 exec_lo, exec_lo, s47
	s_barrier_signal -1
	s_barrier_wait -1
	s_and_saveexec_b32 s65, s93
	s_cbranch_execz .LBB42_689
; %bb.688:                              ;   in Loop: Header=BB42_3 Depth=1
	ds_load_b64 v[38:39], v3 offset:10400
	s_wait_dscnt 0x0
	v_mul_f64_e32 v[36:37], v[36:37], v[38:39]
	s_delay_alu instid0(VALU_DEP_1) | instskip(NEXT) | instid1(VALU_DEP_2)
	v_xor_b32_e32 v39, 0x80000000, v37
	v_mov_b32_e32 v38, v36
	ds_store_b64 v5, v[38:39]
.LBB42_689:                             ;   in Loop: Header=BB42_3 Depth=1
	s_or_b32 exec_lo, exec_lo, s65
	s_wait_dscnt 0x0
	s_barrier_signal -1
	s_barrier_wait -1
	s_barrier_signal -1
	s_barrier_wait -1
	s_and_saveexec_b32 s47, s0
; %bb.690:                              ;   in Loop: Header=BB42_3 Depth=1
	ds_store_b64 v47, v[36:37] offset:11936
; %bb.691:                              ;   in Loop: Header=BB42_3 Depth=1
	s_or_b32 exec_lo, exec_lo, s47
	s_wait_dscnt 0x0
	s_barrier_signal -1
	s_barrier_wait -1
	s_barrier_signal -1
	s_barrier_wait -1
	s_and_saveexec_b32 s47, s94
	s_cbranch_execz .LBB42_693
; %bb.692:                              ;   in Loop: Header=BB42_3 Depth=1
	ds_load_b64 v[36:37], v74 offset:11424
	s_wait_dscnt 0x0
	ds_store_b64 v73, v[36:37] offset:10416
	ds_load_b64 v[36:37], v74 offset:11432
	s_wait_dscnt 0x0
	ds_store_b64 v73, v[36:37] offset:10928
.LBB42_693:                             ;   in Loop: Header=BB42_3 Depth=1
	s_or_b32 exec_lo, exec_lo, s47
	s_wait_dscnt 0x0
	s_barrier_signal -1
	s_barrier_wait -1
	s_and_saveexec_b32 s65, s14
	s_cbranch_execz .LBB42_695
; %bb.694:                              ;   in Loop: Header=BB42_3 Depth=1
	ds_load_b128 v[36:39], v3 offset:10912
	ds_load_b64 v[40:41], v3 offset:10400
	v_add_nc_u32_e64 v2, 0x2800, 0
	s_wait_dscnt 0x0
	v_mul_f64_e32 v[38:39], v[40:41], v[38:39]
	s_delay_alu instid0(VALU_DEP_1)
	v_mul_f64_e32 v[36:37], v[36:37], v[38:39]
	ds_store_2addr_b64 v2, v[36:37], v[36:37] offset0:21 offset1:84
.LBB42_695:                             ;   in Loop: Header=BB42_3 Depth=1
	s_or_b32 exec_lo, exec_lo, s65
	v_mov_b64_e32 v[36:37], 0
	s_wait_dscnt 0x0
	s_barrier_signal -1
	s_barrier_wait -1
	global_wb scope:SCOPE_DEV
	s_wait_storecnt 0x0
	global_inv scope:SCOPE_DEV
	s_and_saveexec_b32 s65, s2
	s_cbranch_execz .LBB42_701
; %bb.696:                              ;   in Loop: Header=BB42_3 Depth=1
	ds_load_b64 v[36:37], v51 offset:10368
	ds_load_b64 v[38:39], v50 offset:11936
	s_wait_dscnt 0x0
	v_fma_f64 v[36:37], v[36:37], v[38:39], 0
	s_and_saveexec_b32 s47, s16
	s_cbranch_execnz .LBB42_1133
; %bb.697:                              ;   in Loop: Header=BB42_3 Depth=1
	s_or_b32 exec_lo, exec_lo, s47
	s_and_saveexec_b32 s47, s17
	s_cbranch_execnz .LBB42_1134
.LBB42_698:                             ;   in Loop: Header=BB42_3 Depth=1
	s_or_b32 exec_lo, exec_lo, s47
	s_and_saveexec_b32 s47, s0
	s_cbranch_execz .LBB42_700
.LBB42_699:                             ;   in Loop: Header=BB42_3 Depth=1
	ds_load_b64 v[38:39], v75 offset:11904
	ds_load_b64 v[40:41], v3 offset:11960
	s_wait_dscnt 0x0
	v_fmac_f64_e32 v[36:37], v[38:39], v[40:41]
.LBB42_700:                             ;   in Loop: Header=BB42_3 Depth=1
	s_or_b32 exec_lo, exec_lo, s47
.LBB42_701:                             ;   in Loop: Header=BB42_3 Depth=1
	s_delay_alu instid0(SALU_CYCLE_1)
	s_or_b32 exec_lo, exec_lo, s65
	s_and_saveexec_b32 s65, s95
	s_cbranch_execz .LBB42_703
; %bb.702:                              ;   in Loop: Header=BB42_3 Depth=1
	ds_load_b64 v[38:39], v3 offset:9880
	s_wait_dscnt 0x0
	v_mul_f64_e32 v[36:37], v[36:37], v[38:39]
	s_delay_alu instid0(VALU_DEP_1) | instskip(NEXT) | instid1(VALU_DEP_2)
	v_xor_b32_e32 v39, 0x80000000, v37
	v_mov_b32_e32 v38, v36
	ds_store_b64 v49, v[38:39]
.LBB42_703:                             ;   in Loop: Header=BB42_3 Depth=1
	s_or_b32 exec_lo, exec_lo, s65
	s_wait_loadcnt_dscnt 0x0
	s_barrier_signal -1
	s_barrier_wait -1
	s_and_saveexec_b32 s47, s96
	s_cbranch_execz .LBB42_705
; %bb.704:                              ;   in Loop: Header=BB42_3 Depth=1
	ds_load_b64 v[38:39], v51 offset:9856
	ds_load_b64 v[40:41], v49
	s_wait_dscnt 0x0
	v_fma_f64 v[36:37], -v[38:39], v[40:41], v[36:37]
.LBB42_705:                             ;   in Loop: Header=BB42_3 Depth=1
	s_or_b32 exec_lo, exec_lo, s47
	s_barrier_signal -1
	s_barrier_wait -1
	s_and_saveexec_b32 s65, s97
	s_cbranch_execz .LBB42_707
; %bb.706:                              ;   in Loop: Header=BB42_3 Depth=1
	ds_load_b64 v[38:39], v3 offset:9360
	s_wait_dscnt 0x0
	v_mul_f64_e32 v[36:37], v[36:37], v[38:39]
	s_delay_alu instid0(VALU_DEP_1) | instskip(NEXT) | instid1(VALU_DEP_2)
	v_xor_b32_e32 v39, 0x80000000, v37
	v_mov_b32_e32 v38, v36
	ds_store_b64 v49, v[38:39]
.LBB42_707:                             ;   in Loop: Header=BB42_3 Depth=1
	s_or_b32 exec_lo, exec_lo, s65
	s_wait_dscnt 0x0
	s_barrier_signal -1
	s_barrier_wait -1
	s_and_saveexec_b32 s47, s98
	s_cbranch_execz .LBB42_709
; %bb.708:                              ;   in Loop: Header=BB42_3 Depth=1
	ds_load_b64 v[38:39], v51 offset:9344
	ds_load_b64 v[40:41], v49
	s_wait_dscnt 0x0
	v_fma_f64 v[36:37], -v[38:39], v[40:41], v[36:37]
.LBB42_709:                             ;   in Loop: Header=BB42_3 Depth=1
	s_or_b32 exec_lo, exec_lo, s47
	s_barrier_signal -1
	s_barrier_wait -1
	s_and_saveexec_b32 s65, s99
	s_cbranch_execz .LBB42_711
; %bb.710:                              ;   in Loop: Header=BB42_3 Depth=1
	ds_load_b64 v[38:39], v3 offset:8840
	s_wait_dscnt 0x0
	v_mul_f64_e32 v[36:37], v[36:37], v[38:39]
	s_delay_alu instid0(VALU_DEP_1) | instskip(NEXT) | instid1(VALU_DEP_2)
	v_xor_b32_e32 v39, 0x80000000, v37
	v_mov_b32_e32 v38, v36
	ds_store_b64 v49, v[38:39]
.LBB42_711:                             ;   in Loop: Header=BB42_3 Depth=1
	s_or_b32 exec_lo, exec_lo, s65
	s_wait_dscnt 0x0
	;; [unrolled: 26-line block ×3, first 2 shown]
	s_barrier_signal -1
	s_barrier_wait -1
	s_barrier_signal -1
	s_barrier_wait -1
	s_and_saveexec_b32 s47, s2
; %bb.716:                              ;   in Loop: Header=BB42_3 Depth=1
	ds_store_b64 v52, v[36:37] offset:11904
; %bb.717:                              ;   in Loop: Header=BB42_3 Depth=1
	s_or_b32 exec_lo, exec_lo, s47
	s_wait_dscnt 0x0
	s_barrier_signal -1
	s_barrier_wait -1
	s_barrier_signal -1
	s_barrier_wait -1
	s_and_saveexec_b32 s65, s101
	s_cbranch_execz .LBB42_719
; %bb.718:                              ;   in Loop: Header=BB42_3 Depth=1
	ds_load_b64 v[36:37], v79 offset:10368
	s_wait_dscnt 0x0
	ds_store_b64 v82, v[36:37] offset:8352
	ds_load_b64 v[36:37], v79 offset:10376
	s_wait_dscnt 0x0
	ds_store_b64 v82, v[36:37] offset:8864
	;; [unrolled: 3-line block ×4, first 2 shown]
.LBB42_719:                             ;   in Loop: Header=BB42_3 Depth=1
	s_or_b32 exec_lo, exec_lo, s65
	s_wait_dscnt 0x0
	s_barrier_signal -1
	s_barrier_wait -1
	s_and_saveexec_b32 s65, s14
	s_cbranch_execz .LBB42_721
; %bb.720:                              ;   in Loop: Header=BB42_3 Depth=1
	ds_load_b128 v[36:39], v3 offset:9872
	ds_load_b64 v[40:41], v3 offset:9360
	v_add_nc_u32_e64 v2, 0x2000, 0
	s_wait_dscnt 0x0
	v_mul_f64_e32 v[38:39], v[40:41], v[38:39]
	s_delay_alu instid0(VALU_DEP_1)
	v_mul_f64_e32 v[36:37], v[36:37], v[38:39]
	ds_store_2addr_b64 v2, v[36:37], v[36:37] offset0:147 offset1:210
.LBB42_721:                             ;   in Loop: Header=BB42_3 Depth=1
	s_or_b32 exec_lo, exec_lo, s65
	v_mov_b64_e32 v[36:37], 0
	s_wait_dscnt 0x0
	s_barrier_signal -1
	s_barrier_wait -1
	global_wb scope:SCOPE_DEV
	s_wait_storecnt 0x0
	global_inv scope:SCOPE_DEV
	s_and_saveexec_b32 s65, s0
	s_cbranch_execz .LBB42_725
; %bb.722:                              ;   in Loop: Header=BB42_3 Depth=1
	ds_load_b64 v[36:37], v45 offset:9344
	ds_load_b64 v[38:39], v44 offset:9872
	s_wait_dscnt 0x0
	v_fma_f64 v[36:37], v[36:37], v[38:39], 0
	s_and_saveexec_b32 s47, s15
	s_cbranch_execz .LBB42_724
; %bb.723:                              ;   in Loop: Header=BB42_3 Depth=1
	ds_load_b64 v[38:39], v82 offset:9856
	ds_load_b64 v[40:41], v3 offset:9880
	s_wait_dscnt 0x0
	v_fmac_f64_e32 v[36:37], v[38:39], v[40:41]
.LBB42_724:                             ;   in Loop: Header=BB42_3 Depth=1
	s_or_b32 exec_lo, exec_lo, s47
.LBB42_725:                             ;   in Loop: Header=BB42_3 Depth=1
	s_delay_alu instid0(SALU_CYCLE_1)
	s_or_b32 exec_lo, exec_lo, s65
	s_and_saveexec_b32 s65, s92
	s_cbranch_execz .LBB42_727
; %bb.726:                              ;   in Loop: Header=BB42_3 Depth=1
	ds_load_b64 v[38:39], v3 offset:8840
	s_wait_dscnt 0x0
	v_mul_f64_e32 v[36:37], v[36:37], v[38:39]
	s_delay_alu instid0(VALU_DEP_1) | instskip(NEXT) | instid1(VALU_DEP_2)
	v_xor_b32_e32 v39, 0x80000000, v37
	v_mov_b32_e32 v38, v36
	ds_store_b64 v5, v[38:39]
.LBB42_727:                             ;   in Loop: Header=BB42_3 Depth=1
	s_or_b32 exec_lo, exec_lo, s65
	s_wait_loadcnt_dscnt 0x0
	s_barrier_signal -1
	s_barrier_wait -1
	s_and_saveexec_b32 s47, s93
	s_cbranch_execz .LBB42_729
; %bb.728:                              ;   in Loop: Header=BB42_3 Depth=1
	ds_load_b64 v[38:39], v3 offset:8832
	ds_load_b64 v[40:41], v5
	s_wait_dscnt 0x0
	v_fma_f64 v[36:37], -v[38:39], v[40:41], v[36:37]
.LBB42_729:                             ;   in Loop: Header=BB42_3 Depth=1
	s_or_b32 exec_lo, exec_lo, s47
	s_barrier_signal -1
	s_barrier_wait -1
	s_and_saveexec_b32 s65, s93
	s_cbranch_execz .LBB42_731
; %bb.730:                              ;   in Loop: Header=BB42_3 Depth=1
	ds_load_b64 v[38:39], v3 offset:8320
	s_wait_dscnt 0x0
	v_mul_f64_e32 v[36:37], v[36:37], v[38:39]
	s_delay_alu instid0(VALU_DEP_1) | instskip(NEXT) | instid1(VALU_DEP_2)
	v_xor_b32_e32 v39, 0x80000000, v37
	v_mov_b32_e32 v38, v36
	ds_store_b64 v5, v[38:39]
.LBB42_731:                             ;   in Loop: Header=BB42_3 Depth=1
	s_or_b32 exec_lo, exec_lo, s65
	s_wait_dscnt 0x0
	s_barrier_signal -1
	s_barrier_wait -1
	s_barrier_signal -1
	s_barrier_wait -1
	s_and_saveexec_b32 s47, s0
; %bb.732:                              ;   in Loop: Header=BB42_3 Depth=1
	ds_store_b64 v47, v[36:37] offset:9856
; %bb.733:                              ;   in Loop: Header=BB42_3 Depth=1
	s_or_b32 exec_lo, exec_lo, s47
	s_wait_dscnt 0x0
	s_barrier_signal -1
	s_barrier_wait -1
	s_barrier_signal -1
	s_barrier_wait -1
	s_and_saveexec_b32 s47, s94
	s_cbranch_execz .LBB42_735
; %bb.734:                              ;   in Loop: Header=BB42_3 Depth=1
	ds_load_b64 v[36:37], v83 offset:9344
	s_wait_dscnt 0x0
	ds_store_b64 v82, v[36:37] offset:8336
	ds_load_b64 v[36:37], v83 offset:9352
	s_wait_dscnt 0x0
	ds_store_b64 v82, v[36:37] offset:8848
.LBB42_735:                             ;   in Loop: Header=BB42_3 Depth=1
	s_or_b32 exec_lo, exec_lo, s47
	s_wait_dscnt 0x0
	s_barrier_signal -1
	s_barrier_wait -1
	s_and_saveexec_b32 s65, s14
	s_cbranch_execz .LBB42_737
; %bb.736:                              ;   in Loop: Header=BB42_3 Depth=1
	ds_load_b128 v[36:39], v3 offset:8832
	ds_load_b64 v[40:41], v3 offset:8320
	v_add_nc_u32_e64 v2, 0x2000, 0
	s_wait_dscnt 0x0
	v_mul_f64_e32 v[38:39], v[40:41], v[38:39]
	s_delay_alu instid0(VALU_DEP_1)
	v_mul_f64_e32 v[36:37], v[36:37], v[38:39]
	ds_store_2addr_b64 v2, v[36:37], v[36:37] offset0:17 offset1:80
.LBB42_737:                             ;   in Loop: Header=BB42_3 Depth=1
	s_or_b32 exec_lo, exec_lo, s65
	v_mov_b64_e32 v[36:37], 0
	s_wait_dscnt 0x0
	s_barrier_signal -1
	s_barrier_wait -1
	global_wb scope:SCOPE_DEV
	s_wait_storecnt 0x0
	global_inv scope:SCOPE_DEV
	s_and_saveexec_b32 s65, s4
	s_cbranch_execz .LBB42_765
; %bb.738:                              ;   in Loop: Header=BB42_3 Depth=1
	ds_load_b64 v[36:37], v59 offset:8192
	ds_load_b64 v[38:39], v58 offset:16000
	s_wait_dscnt 0x0
	v_fma_f64 v[36:37], v[36:37], v[38:39], 0
	s_mov_b32 s47, exec_lo
	v_readlane_b32 s82, v97, 25
	s_and_b32 s82, s47, s82
	s_delay_alu instid0(SALU_CYCLE_1)
	s_mov_b32 exec_lo, s82
	s_cbranch_execz .LBB42_740
; %bb.739:                              ;   in Loop: Header=BB42_3 Depth=1
	ds_load_b64 v[38:39], v59 offset:8704
	ds_load_b64 v[40:41], v58 offset:16008
	s_wait_dscnt 0x0
	v_fmac_f64_e32 v[36:37], v[38:39], v[40:41]
.LBB42_740:                             ;   in Loop: Header=BB42_3 Depth=1
	s_or_b32 exec_lo, exec_lo, s47
	s_delay_alu instid0(SALU_CYCLE_1) | instskip(SKIP_2) | instid1(SALU_CYCLE_1)
	s_mov_b32 s47, exec_lo
	v_readlane_b32 s82, v97, 26
	s_and_b32 s82, s47, s82
	s_mov_b32 exec_lo, s82
	s_cbranch_execz .LBB42_742
; %bb.741:                              ;   in Loop: Header=BB42_3 Depth=1
	ds_load_b64 v[38:39], v59 offset:9216
	ds_load_b64 v[40:41], v58 offset:16016
	s_wait_dscnt 0x0
	v_fmac_f64_e32 v[36:37], v[38:39], v[40:41]
.LBB42_742:                             ;   in Loop: Header=BB42_3 Depth=1
	s_or_b32 exec_lo, exec_lo, s47
	s_delay_alu instid0(SALU_CYCLE_1) | instskip(SKIP_2) | instid1(SALU_CYCLE_1)
	s_mov_b32 s47, exec_lo
	v_readlane_b32 s82, v97, 27
	s_and_b32 s82, s47, s82
	;; [unrolled: 13-line block ×10, first 2 shown]
	s_mov_b32 exec_lo, s82
	s_cbranch_execnz .LBB42_1135
; %bb.759:                              ;   in Loop: Header=BB42_3 Depth=1
	s_or_b32 exec_lo, exec_lo, s47
	s_and_saveexec_b32 s47, s3
	s_cbranch_execnz .LBB42_1136
.LBB42_760:                             ;   in Loop: Header=BB42_3 Depth=1
	s_or_b32 exec_lo, exec_lo, s47
	s_and_saveexec_b32 s47, s19
	s_cbranch_execnz .LBB42_1137
.LBB42_761:                             ;   in Loop: Header=BB42_3 Depth=1
	s_or_b32 exec_lo, exec_lo, s47
	s_and_saveexec_b32 s47, s21
	s_cbranch_execnz .LBB42_1138
.LBB42_762:                             ;   in Loop: Header=BB42_3 Depth=1
	s_or_b32 exec_lo, exec_lo, s47
	s_and_saveexec_b32 s47, s2
	s_cbranch_execz .LBB42_764
.LBB42_763:                             ;   in Loop: Header=BB42_3 Depth=1
	ds_load_b64 v[38:39], v46 offset:15872
	ds_load_b64 v[40:41], v3 offset:16120
	s_wait_dscnt 0x0
	v_fmac_f64_e32 v[36:37], v[38:39], v[40:41]
.LBB42_764:                             ;   in Loop: Header=BB42_3 Depth=1
	s_or_b32 exec_lo, exec_lo, s47
.LBB42_765:                             ;   in Loop: Header=BB42_3 Depth=1
	s_delay_alu instid0(SALU_CYCLE_1) | instskip(NEXT) | instid1(SALU_CYCLE_1)
	s_or_b32 exec_lo, exec_lo, s65
	s_mov_b32 s65, exec_lo
	v_readlane_b32 s47, v97, 6
	s_and_b32 s47, s65, s47
	s_delay_alu instid0(SALU_CYCLE_1)
	s_mov_b32 exec_lo, s47
	s_cbranch_execz .LBB42_767
; %bb.766:                              ;   in Loop: Header=BB42_3 Depth=1
	ds_load_b64 v[38:39], v3 offset:7800
	s_wait_dscnt 0x0
	v_mul_f64_e32 v[36:37], v[36:37], v[38:39]
	s_delay_alu instid0(VALU_DEP_1) | instskip(NEXT) | instid1(VALU_DEP_2)
	v_xor_b32_e32 v39, 0x80000000, v37
	v_mov_b32_e32 v38, v36
	ds_store_b64 v57, v[38:39]
.LBB42_767:                             ;   in Loop: Header=BB42_3 Depth=1
	s_or_b32 exec_lo, exec_lo, s65
	s_wait_loadcnt_dscnt 0x0
	s_barrier_signal -1
	s_barrier_wait -1
	s_and_saveexec_b32 s47, s48
	s_cbranch_execz .LBB42_769
; %bb.768:                              ;   in Loop: Header=BB42_3 Depth=1
	ds_load_b64 v[38:39], v59 offset:7680
	ds_load_b64 v[40:41], v57
	s_wait_dscnt 0x0
	v_fma_f64 v[36:37], -v[38:39], v[40:41], v[36:37]
.LBB42_769:                             ;   in Loop: Header=BB42_3 Depth=1
	s_or_b32 exec_lo, exec_lo, s47
	s_barrier_signal -1
	s_barrier_wait -1
	s_and_saveexec_b32 s65, s49
	s_cbranch_execz .LBB42_771
; %bb.770:                              ;   in Loop: Header=BB42_3 Depth=1
	ds_load_b64 v[38:39], v3 offset:7280
	s_wait_dscnt 0x0
	v_mul_f64_e32 v[36:37], v[36:37], v[38:39]
	s_delay_alu instid0(VALU_DEP_1) | instskip(NEXT) | instid1(VALU_DEP_2)
	v_xor_b32_e32 v39, 0x80000000, v37
	v_mov_b32_e32 v38, v36
	ds_store_b64 v57, v[38:39]
.LBB42_771:                             ;   in Loop: Header=BB42_3 Depth=1
	s_or_b32 exec_lo, exec_lo, s65
	s_wait_dscnt 0x0
	s_barrier_signal -1
	s_barrier_wait -1
	s_and_saveexec_b32 s47, s50
	s_cbranch_execz .LBB42_773
; %bb.772:                              ;   in Loop: Header=BB42_3 Depth=1
	ds_load_b64 v[38:39], v59 offset:7168
	ds_load_b64 v[40:41], v57
	s_wait_dscnt 0x0
	v_fma_f64 v[36:37], -v[38:39], v[40:41], v[36:37]
.LBB42_773:                             ;   in Loop: Header=BB42_3 Depth=1
	s_or_b32 exec_lo, exec_lo, s47
	s_barrier_signal -1
	s_barrier_wait -1
	s_and_saveexec_b32 s65, s51
	s_cbranch_execz .LBB42_775
; %bb.774:                              ;   in Loop: Header=BB42_3 Depth=1
	ds_load_b64 v[38:39], v3 offset:6760
	s_wait_dscnt 0x0
	v_mul_f64_e32 v[36:37], v[36:37], v[38:39]
	s_delay_alu instid0(VALU_DEP_1) | instskip(NEXT) | instid1(VALU_DEP_2)
	v_xor_b32_e32 v39, 0x80000000, v37
	v_mov_b32_e32 v38, v36
	ds_store_b64 v57, v[38:39]
.LBB42_775:                             ;   in Loop: Header=BB42_3 Depth=1
	s_or_b32 exec_lo, exec_lo, s65
	s_wait_dscnt 0x0
	;; [unrolled: 26-line block ×14, first 2 shown]
	s_barrier_signal -1
	s_barrier_wait -1
	s_and_saveexec_b32 s47, s73
	s_cbranch_execz .LBB42_825
; %bb.824:                              ;   in Loop: Header=BB42_3 Depth=1
	ds_load_b64 v[38:39], v3 offset:512
	ds_load_b64 v[40:41], v57
	s_wait_dscnt 0x0
	v_fma_f64 v[36:37], -v[38:39], v[40:41], v[36:37]
.LBB42_825:                             ;   in Loop: Header=BB42_3 Depth=1
	s_or_b32 exec_lo, exec_lo, s47
	s_barrier_signal -1
	s_barrier_wait -1
	s_and_saveexec_b32 s65, s73
	s_cbranch_execz .LBB42_827
; %bb.826:                              ;   in Loop: Header=BB42_3 Depth=1
	ds_load_b64 v[38:39], v3
	s_wait_dscnt 0x0
	v_mul_f64_e32 v[36:37], v[36:37], v[38:39]
	s_delay_alu instid0(VALU_DEP_1) | instskip(NEXT) | instid1(VALU_DEP_2)
	v_xor_b32_e32 v39, 0x80000000, v37
	v_mov_b32_e32 v38, v36
	ds_store_b64 v57, v[38:39]
.LBB42_827:                             ;   in Loop: Header=BB42_3 Depth=1
	s_or_b32 exec_lo, exec_lo, s65
	s_wait_dscnt 0x0
	s_barrier_signal -1
	s_barrier_wait -1
	s_barrier_signal -1
	s_barrier_wait -1
	s_and_saveexec_b32 s47, s4
; %bb.828:                              ;   in Loop: Header=BB42_3 Depth=1
	ds_store_b64 v60, v[36:37] offset:15872
; %bb.829:                              ;   in Loop: Header=BB42_3 Depth=1
	s_or_b32 exec_lo, exec_lo, s47
	s_wait_dscnt 0x0
	s_barrier_signal -1
	s_barrier_wait -1
	s_barrier_signal -1
	s_barrier_wait -1
	s_and_saveexec_b32 s65, s10
	s_cbranch_execz .LBB42_831
; %bb.830:                              ;   in Loop: Header=BB42_3 Depth=1
	ds_load_b64 v[36:37], v48 offset:8192
	s_wait_dscnt 0x0
	ds_store_b64 v65, v[36:37] offset:128
	ds_load_b64 v[36:37], v48 offset:8200
	s_wait_dscnt 0x0
	ds_store_b64 v65, v[36:37] offset:640
	;; [unrolled: 3-line block ×16, first 2 shown]
.LBB42_831:                             ;   in Loop: Header=BB42_3 Depth=1
	s_or_b32 exec_lo, exec_lo, s65
	s_wait_dscnt 0x0
	s_barrier_signal -1
	s_barrier_wait -1
	s_and_saveexec_b32 s65, s14
	s_cbranch_execz .LBB42_833
; %bb.832:                              ;   in Loop: Header=BB42_3 Depth=1
	ds_load_b128 v[36:39], v3 offset:7792
	ds_load_b64 v[40:41], v3 offset:7280
	v_add_nc_u32_e64 v2, 0x1800, 0
	s_wait_dscnt 0x0
	v_mul_f64_e32 v[38:39], v[40:41], v[38:39]
	s_delay_alu instid0(VALU_DEP_1)
	v_mul_f64_e32 v[36:37], v[36:37], v[38:39]
	ds_store_2addr_b64 v2, v[36:37], v[36:37] offset0:143 offset1:206
.LBB42_833:                             ;   in Loop: Header=BB42_3 Depth=1
	s_or_b32 exec_lo, exec_lo, s65
	v_mov_b64_e32 v[36:37], 0
	s_wait_dscnt 0x0
	s_barrier_signal -1
	s_barrier_wait -1
	global_wb scope:SCOPE_DEV
	s_wait_storecnt 0x0
	global_inv scope:SCOPE_DEV
	s_and_saveexec_b32 s65, s0
	s_cbranch_execz .LBB42_837
; %bb.834:                              ;   in Loop: Header=BB42_3 Depth=1
	ds_load_b64 v[36:37], v45 offset:7264
	ds_load_b64 v[38:39], v44 offset:7792
	s_wait_dscnt 0x0
	v_fma_f64 v[36:37], v[36:37], v[38:39], 0
	s_and_saveexec_b32 s47, s15
	s_cbranch_execz .LBB42_836
; %bb.835:                              ;   in Loop: Header=BB42_3 Depth=1
	ds_load_b64 v[38:39], v46 offset:7776
	ds_load_b64 v[40:41], v3 offset:7800
	s_wait_dscnt 0x0
	v_fmac_f64_e32 v[36:37], v[38:39], v[40:41]
.LBB42_836:                             ;   in Loop: Header=BB42_3 Depth=1
	s_or_b32 exec_lo, exec_lo, s47
.LBB42_837:                             ;   in Loop: Header=BB42_3 Depth=1
	s_delay_alu instid0(SALU_CYCLE_1)
	s_or_b32 exec_lo, exec_lo, s65
	s_and_saveexec_b32 s65, s92
	s_cbranch_execz .LBB42_839
; %bb.838:                              ;   in Loop: Header=BB42_3 Depth=1
	ds_load_b64 v[38:39], v3 offset:6760
	s_wait_dscnt 0x0
	v_mul_f64_e32 v[36:37], v[36:37], v[38:39]
	s_delay_alu instid0(VALU_DEP_1) | instskip(NEXT) | instid1(VALU_DEP_2)
	v_xor_b32_e32 v39, 0x80000000, v37
	v_mov_b32_e32 v38, v36
	ds_store_b64 v5, v[38:39]
.LBB42_839:                             ;   in Loop: Header=BB42_3 Depth=1
	s_or_b32 exec_lo, exec_lo, s65
	s_wait_loadcnt_dscnt 0x0
	s_barrier_signal -1
	s_barrier_wait -1
	s_and_saveexec_b32 s47, s93
	s_cbranch_execz .LBB42_841
; %bb.840:                              ;   in Loop: Header=BB42_3 Depth=1
	ds_load_b64 v[38:39], v3 offset:6752
	ds_load_b64 v[40:41], v5
	s_wait_dscnt 0x0
	v_fma_f64 v[36:37], -v[38:39], v[40:41], v[36:37]
.LBB42_841:                             ;   in Loop: Header=BB42_3 Depth=1
	s_or_b32 exec_lo, exec_lo, s47
	s_barrier_signal -1
	s_barrier_wait -1
	s_and_saveexec_b32 s65, s93
	s_cbranch_execz .LBB42_843
; %bb.842:                              ;   in Loop: Header=BB42_3 Depth=1
	ds_load_b64 v[38:39], v3 offset:6240
	s_wait_dscnt 0x0
	v_mul_f64_e32 v[36:37], v[36:37], v[38:39]
	s_delay_alu instid0(VALU_DEP_1) | instskip(NEXT) | instid1(VALU_DEP_2)
	v_xor_b32_e32 v39, 0x80000000, v37
	v_mov_b32_e32 v38, v36
	ds_store_b64 v5, v[38:39]
.LBB42_843:                             ;   in Loop: Header=BB42_3 Depth=1
	s_or_b32 exec_lo, exec_lo, s65
	s_wait_dscnt 0x0
	s_barrier_signal -1
	s_barrier_wait -1
	s_barrier_signal -1
	s_barrier_wait -1
	s_and_saveexec_b32 s47, s0
; %bb.844:                              ;   in Loop: Header=BB42_3 Depth=1
	ds_store_b64 v47, v[36:37] offset:7776
; %bb.845:                              ;   in Loop: Header=BB42_3 Depth=1
	s_or_b32 exec_lo, exec_lo, s47
	s_wait_dscnt 0x0
	s_barrier_signal -1
	s_barrier_wait -1
	s_barrier_signal -1
	s_barrier_wait -1
	s_and_saveexec_b32 s47, s94
	s_cbranch_execz .LBB42_847
; %bb.846:                              ;   in Loop: Header=BB42_3 Depth=1
	ds_load_b64 v[36:37], v48 offset:7264
	s_wait_dscnt 0x0
	ds_store_b64 v46, v[36:37] offset:6256
	ds_load_b64 v[36:37], v48 offset:7272
	s_wait_dscnt 0x0
	ds_store_b64 v46, v[36:37] offset:6768
.LBB42_847:                             ;   in Loop: Header=BB42_3 Depth=1
	s_or_b32 exec_lo, exec_lo, s47
	s_wait_dscnt 0x0
	s_barrier_signal -1
	s_barrier_wait -1
	s_and_saveexec_b32 s65, s14
	s_cbranch_execz .LBB42_849
; %bb.848:                              ;   in Loop: Header=BB42_3 Depth=1
	ds_load_b128 v[36:39], v3 offset:6752
	ds_load_b64 v[40:41], v3 offset:6240
	v_add_nc_u32_e64 v2, 0x1800, 0
	s_wait_dscnt 0x0
	v_mul_f64_e32 v[38:39], v[40:41], v[38:39]
	s_delay_alu instid0(VALU_DEP_1)
	v_mul_f64_e32 v[36:37], v[36:37], v[38:39]
	ds_store_2addr_b64 v2, v[36:37], v[36:37] offset0:13 offset1:76
.LBB42_849:                             ;   in Loop: Header=BB42_3 Depth=1
	s_or_b32 exec_lo, exec_lo, s65
	v_mov_b64_e32 v[36:37], 0
	s_wait_dscnt 0x0
	s_barrier_signal -1
	s_barrier_wait -1
	global_wb scope:SCOPE_DEV
	s_wait_storecnt 0x0
	global_inv scope:SCOPE_DEV
	s_and_saveexec_b32 s65, s2
	s_cbranch_execz .LBB42_855
; %bb.850:                              ;   in Loop: Header=BB42_3 Depth=1
	ds_load_b64 v[36:37], v51 offset:6208
	ds_load_b64 v[38:39], v50 offset:7776
	s_wait_dscnt 0x0
	v_fma_f64 v[36:37], v[36:37], v[38:39], 0
	s_and_saveexec_b32 s47, s16
	s_cbranch_execnz .LBB42_1139
; %bb.851:                              ;   in Loop: Header=BB42_3 Depth=1
	s_or_b32 exec_lo, exec_lo, s47
	s_and_saveexec_b32 s47, s17
	s_cbranch_execnz .LBB42_1140
.LBB42_852:                             ;   in Loop: Header=BB42_3 Depth=1
	s_or_b32 exec_lo, exec_lo, s47
	s_and_saveexec_b32 s47, s0
	s_cbranch_execz .LBB42_854
.LBB42_853:                             ;   in Loop: Header=BB42_3 Depth=1
	ds_load_b64 v[38:39], v65 offset:7744
	ds_load_b64 v[40:41], v3 offset:7800
	s_wait_dscnt 0x0
	v_fmac_f64_e32 v[36:37], v[38:39], v[40:41]
.LBB42_854:                             ;   in Loop: Header=BB42_3 Depth=1
	s_or_b32 exec_lo, exec_lo, s47
.LBB42_855:                             ;   in Loop: Header=BB42_3 Depth=1
	s_delay_alu instid0(SALU_CYCLE_1)
	s_or_b32 exec_lo, exec_lo, s65
	s_and_saveexec_b32 s65, s95
	s_cbranch_execz .LBB42_857
; %bb.856:                              ;   in Loop: Header=BB42_3 Depth=1
	ds_load_b64 v[38:39], v3 offset:5720
	s_wait_dscnt 0x0
	v_mul_f64_e32 v[36:37], v[36:37], v[38:39]
	s_delay_alu instid0(VALU_DEP_1) | instskip(NEXT) | instid1(VALU_DEP_2)
	v_xor_b32_e32 v39, 0x80000000, v37
	v_mov_b32_e32 v38, v36
	ds_store_b64 v49, v[38:39]
.LBB42_857:                             ;   in Loop: Header=BB42_3 Depth=1
	s_or_b32 exec_lo, exec_lo, s65
	s_wait_loadcnt_dscnt 0x0
	s_barrier_signal -1
	s_barrier_wait -1
	s_and_saveexec_b32 s47, s96
	s_cbranch_execz .LBB42_859
; %bb.858:                              ;   in Loop: Header=BB42_3 Depth=1
	ds_load_b64 v[38:39], v51 offset:5696
	ds_load_b64 v[40:41], v49
	s_wait_dscnt 0x0
	v_fma_f64 v[36:37], -v[38:39], v[40:41], v[36:37]
.LBB42_859:                             ;   in Loop: Header=BB42_3 Depth=1
	s_or_b32 exec_lo, exec_lo, s47
	s_barrier_signal -1
	s_barrier_wait -1
	s_and_saveexec_b32 s65, s97
	s_cbranch_execz .LBB42_861
; %bb.860:                              ;   in Loop: Header=BB42_3 Depth=1
	ds_load_b64 v[38:39], v3 offset:5200
	s_wait_dscnt 0x0
	v_mul_f64_e32 v[36:37], v[36:37], v[38:39]
	s_delay_alu instid0(VALU_DEP_1) | instskip(NEXT) | instid1(VALU_DEP_2)
	v_xor_b32_e32 v39, 0x80000000, v37
	v_mov_b32_e32 v38, v36
	ds_store_b64 v49, v[38:39]
.LBB42_861:                             ;   in Loop: Header=BB42_3 Depth=1
	s_or_b32 exec_lo, exec_lo, s65
	s_wait_dscnt 0x0
	s_barrier_signal -1
	s_barrier_wait -1
	s_and_saveexec_b32 s47, s98
	s_cbranch_execz .LBB42_863
; %bb.862:                              ;   in Loop: Header=BB42_3 Depth=1
	ds_load_b64 v[38:39], v51 offset:5184
	ds_load_b64 v[40:41], v49
	s_wait_dscnt 0x0
	v_fma_f64 v[36:37], -v[38:39], v[40:41], v[36:37]
.LBB42_863:                             ;   in Loop: Header=BB42_3 Depth=1
	s_or_b32 exec_lo, exec_lo, s47
	s_barrier_signal -1
	s_barrier_wait -1
	s_and_saveexec_b32 s65, s99
	s_cbranch_execz .LBB42_865
; %bb.864:                              ;   in Loop: Header=BB42_3 Depth=1
	ds_load_b64 v[38:39], v3 offset:4680
	s_wait_dscnt 0x0
	v_mul_f64_e32 v[36:37], v[36:37], v[38:39]
	s_delay_alu instid0(VALU_DEP_1) | instskip(NEXT) | instid1(VALU_DEP_2)
	v_xor_b32_e32 v39, 0x80000000, v37
	v_mov_b32_e32 v38, v36
	ds_store_b64 v49, v[38:39]
.LBB42_865:                             ;   in Loop: Header=BB42_3 Depth=1
	s_or_b32 exec_lo, exec_lo, s65
	s_wait_dscnt 0x0
	;; [unrolled: 26-line block ×3, first 2 shown]
	s_barrier_signal -1
	s_barrier_wait -1
	s_barrier_signal -1
	s_barrier_wait -1
	s_and_saveexec_b32 s47, s2
; %bb.870:                              ;   in Loop: Header=BB42_3 Depth=1
	ds_store_b64 v52, v[36:37] offset:7744
; %bb.871:                              ;   in Loop: Header=BB42_3 Depth=1
	s_or_b32 exec_lo, exec_lo, s47
	s_wait_dscnt 0x0
	s_barrier_signal -1
	s_barrier_wait -1
	s_barrier_signal -1
	s_barrier_wait -1
	s_and_saveexec_b32 s65, s101
	s_cbranch_execz .LBB42_873
; %bb.872:                              ;   in Loop: Header=BB42_3 Depth=1
	ds_load_b64 v[36:37], v68 offset:6208
	s_wait_dscnt 0x0
	ds_store_b64 v69, v[36:37] offset:4192
	ds_load_b64 v[36:37], v68 offset:6216
	s_wait_dscnt 0x0
	ds_store_b64 v69, v[36:37] offset:4704
	;; [unrolled: 3-line block ×4, first 2 shown]
.LBB42_873:                             ;   in Loop: Header=BB42_3 Depth=1
	s_or_b32 exec_lo, exec_lo, s65
	s_wait_dscnt 0x0
	s_barrier_signal -1
	s_barrier_wait -1
	s_and_saveexec_b32 s65, s14
	s_cbranch_execz .LBB42_875
; %bb.874:                              ;   in Loop: Header=BB42_3 Depth=1
	ds_load_b128 v[36:39], v3 offset:5712
	ds_load_b64 v[40:41], v3 offset:5200
	v_add_nc_u32_e64 v2, 0x1000, 0
	s_wait_dscnt 0x0
	v_mul_f64_e32 v[38:39], v[40:41], v[38:39]
	s_delay_alu instid0(VALU_DEP_1)
	v_mul_f64_e32 v[36:37], v[36:37], v[38:39]
	ds_store_2addr_b64 v2, v[36:37], v[36:37] offset0:139 offset1:202
.LBB42_875:                             ;   in Loop: Header=BB42_3 Depth=1
	s_or_b32 exec_lo, exec_lo, s65
	v_mov_b64_e32 v[36:37], 0
	s_wait_dscnt 0x0
	s_barrier_signal -1
	s_barrier_wait -1
	global_wb scope:SCOPE_DEV
	s_wait_storecnt 0x0
	global_inv scope:SCOPE_DEV
	s_and_saveexec_b32 s65, s0
	s_cbranch_execz .LBB42_879
; %bb.876:                              ;   in Loop: Header=BB42_3 Depth=1
	ds_load_b64 v[36:37], v45 offset:5184
	ds_load_b64 v[38:39], v44 offset:5712
	s_wait_dscnt 0x0
	v_fma_f64 v[36:37], v[36:37], v[38:39], 0
	s_and_saveexec_b32 s47, s15
	s_cbranch_execz .LBB42_878
; %bb.877:                              ;   in Loop: Header=BB42_3 Depth=1
	ds_load_b64 v[38:39], v69 offset:5696
	ds_load_b64 v[40:41], v3 offset:5720
	s_wait_dscnt 0x0
	v_fmac_f64_e32 v[36:37], v[38:39], v[40:41]
.LBB42_878:                             ;   in Loop: Header=BB42_3 Depth=1
	s_or_b32 exec_lo, exec_lo, s47
.LBB42_879:                             ;   in Loop: Header=BB42_3 Depth=1
	s_delay_alu instid0(SALU_CYCLE_1)
	s_or_b32 exec_lo, exec_lo, s65
	s_and_saveexec_b32 s65, s92
	s_cbranch_execz .LBB42_881
; %bb.880:                              ;   in Loop: Header=BB42_3 Depth=1
	ds_load_b64 v[38:39], v3 offset:4680
	s_wait_dscnt 0x0
	v_mul_f64_e32 v[36:37], v[36:37], v[38:39]
	s_delay_alu instid0(VALU_DEP_1) | instskip(NEXT) | instid1(VALU_DEP_2)
	v_xor_b32_e32 v39, 0x80000000, v37
	v_mov_b32_e32 v38, v36
	ds_store_b64 v5, v[38:39]
.LBB42_881:                             ;   in Loop: Header=BB42_3 Depth=1
	s_or_b32 exec_lo, exec_lo, s65
	s_wait_loadcnt_dscnt 0x0
	s_barrier_signal -1
	s_barrier_wait -1
	s_and_saveexec_b32 s47, s93
	s_cbranch_execz .LBB42_883
; %bb.882:                              ;   in Loop: Header=BB42_3 Depth=1
	ds_load_b64 v[38:39], v3 offset:4672
	ds_load_b64 v[40:41], v5
	s_wait_dscnt 0x0
	v_fma_f64 v[36:37], -v[38:39], v[40:41], v[36:37]
.LBB42_883:                             ;   in Loop: Header=BB42_3 Depth=1
	s_or_b32 exec_lo, exec_lo, s47
	s_barrier_signal -1
	s_barrier_wait -1
	s_and_saveexec_b32 s65, s93
	s_cbranch_execz .LBB42_885
; %bb.884:                              ;   in Loop: Header=BB42_3 Depth=1
	ds_load_b64 v[38:39], v3 offset:4160
	s_wait_dscnt 0x0
	v_mul_f64_e32 v[36:37], v[36:37], v[38:39]
	s_delay_alu instid0(VALU_DEP_1) | instskip(NEXT) | instid1(VALU_DEP_2)
	v_xor_b32_e32 v39, 0x80000000, v37
	v_mov_b32_e32 v38, v36
	ds_store_b64 v5, v[38:39]
.LBB42_885:                             ;   in Loop: Header=BB42_3 Depth=1
	s_or_b32 exec_lo, exec_lo, s65
	s_wait_dscnt 0x0
	s_barrier_signal -1
	s_barrier_wait -1
	s_barrier_signal -1
	s_barrier_wait -1
	s_and_saveexec_b32 s47, s0
; %bb.886:                              ;   in Loop: Header=BB42_3 Depth=1
	ds_store_b64 v47, v[36:37] offset:5696
; %bb.887:                              ;   in Loop: Header=BB42_3 Depth=1
	s_or_b32 exec_lo, exec_lo, s47
	s_wait_dscnt 0x0
	s_barrier_signal -1
	s_barrier_wait -1
	s_barrier_signal -1
	s_barrier_wait -1
	s_and_saveexec_b32 s47, s94
	s_cbranch_execz .LBB42_889
; %bb.888:                              ;   in Loop: Header=BB42_3 Depth=1
	ds_load_b64 v[36:37], v70 offset:5184
	s_wait_dscnt 0x0
	ds_store_b64 v69, v[36:37] offset:4176
	ds_load_b64 v[36:37], v70 offset:5192
	s_wait_dscnt 0x0
	ds_store_b64 v69, v[36:37] offset:4688
.LBB42_889:                             ;   in Loop: Header=BB42_3 Depth=1
	s_or_b32 exec_lo, exec_lo, s47
	s_wait_dscnt 0x0
	s_barrier_signal -1
	s_barrier_wait -1
	s_and_saveexec_b32 s65, s14
	s_cbranch_execz .LBB42_891
; %bb.890:                              ;   in Loop: Header=BB42_3 Depth=1
	ds_load_b128 v[36:39], v3 offset:4672
	ds_load_b64 v[40:41], v3 offset:4160
	v_add_nc_u32_e64 v2, 0x1000, 0
	s_wait_dscnt 0x0
	v_mul_f64_e32 v[38:39], v[40:41], v[38:39]
	s_delay_alu instid0(VALU_DEP_1)
	v_mul_f64_e32 v[36:37], v[36:37], v[38:39]
	ds_store_2addr_b64 v2, v[36:37], v[36:37] offset0:9 offset1:72
.LBB42_891:                             ;   in Loop: Header=BB42_3 Depth=1
	s_or_b32 exec_lo, exec_lo, s65
	v_mov_b64_e32 v[36:37], 0
	s_wait_dscnt 0x0
	s_barrier_signal -1
	s_barrier_wait -1
	global_wb scope:SCOPE_DEV
	s_wait_storecnt 0x0
	global_inv scope:SCOPE_DEV
	s_and_saveexec_b32 s65, s3
	s_cbranch_execz .LBB42_901
; %bb.892:                              ;   in Loop: Header=BB42_3 Depth=1
	ds_load_b64 v[36:37], v55 offset:4096
	ds_load_b64 v[38:39], v54 offset:7744
	s_wait_dscnt 0x0
	v_fma_f64 v[36:37], v[36:37], v[38:39], 0
	s_and_saveexec_b32 s47, s18
	s_cbranch_execnz .LBB42_1141
; %bb.893:                              ;   in Loop: Header=BB42_3 Depth=1
	s_or_b32 exec_lo, exec_lo, s47
	s_and_saveexec_b32 s47, s19
	s_cbranch_execnz .LBB42_1142
.LBB42_894:                             ;   in Loop: Header=BB42_3 Depth=1
	s_or_b32 exec_lo, exec_lo, s47
	s_and_saveexec_b32 s47, s20
	s_cbranch_execnz .LBB42_1143
.LBB42_895:                             ;   in Loop: Header=BB42_3 Depth=1
	s_or_b32 exec_lo, exec_lo, s47
	s_and_saveexec_b32 s47, s21
	s_cbranch_execnz .LBB42_1144
.LBB42_896:                             ;   in Loop: Header=BB42_3 Depth=1
	s_or_b32 exec_lo, exec_lo, s47
	s_and_saveexec_b32 s47, s22
	s_cbranch_execnz .LBB42_1145
.LBB42_897:                             ;   in Loop: Header=BB42_3 Depth=1
	s_or_b32 exec_lo, exec_lo, s47
	s_and_saveexec_b32 s47, s2
	s_cbranch_execnz .LBB42_1146
.LBB42_898:                             ;   in Loop: Header=BB42_3 Depth=1
	s_or_b32 exec_lo, exec_lo, s47
	s_and_saveexec_b32 s47, s17
	s_cbranch_execz .LBB42_900
.LBB42_899:                             ;   in Loop: Header=BB42_3 Depth=1
	ds_load_b64 v[38:39], v71 offset:7680
	ds_load_b64 v[40:41], v3 offset:7800
	s_wait_dscnt 0x0
	v_fmac_f64_e32 v[36:37], v[38:39], v[40:41]
.LBB42_900:                             ;   in Loop: Header=BB42_3 Depth=1
	s_or_b32 exec_lo, exec_lo, s47
.LBB42_901:                             ;   in Loop: Header=BB42_3 Depth=1
	s_delay_alu instid0(SALU_CYCLE_1)
	s_or_b32 exec_lo, exec_lo, s65
	s_and_saveexec_b32 s65, s102
	s_cbranch_execz .LBB42_903
; %bb.902:                              ;   in Loop: Header=BB42_3 Depth=1
	ds_load_b64 v[38:39], v3 offset:3640
	s_wait_dscnt 0x0
	v_mul_f64_e32 v[36:37], v[36:37], v[38:39]
	s_delay_alu instid0(VALU_DEP_1) | instskip(NEXT) | instid1(VALU_DEP_2)
	v_xor_b32_e32 v39, 0x80000000, v37
	v_mov_b32_e32 v38, v36
	ds_store_b64 v53, v[38:39]
.LBB42_903:                             ;   in Loop: Header=BB42_3 Depth=1
	s_or_b32 exec_lo, exec_lo, s65
	s_wait_loadcnt_dscnt 0x0
	s_barrier_signal -1
	s_barrier_wait -1
	s_and_saveexec_b32 s47, s103
	s_cbranch_execz .LBB42_905
; %bb.904:                              ;   in Loop: Header=BB42_3 Depth=1
	ds_load_b64 v[38:39], v55 offset:3584
	ds_load_b64 v[40:41], v53
	s_wait_dscnt 0x0
	v_fma_f64 v[36:37], -v[38:39], v[40:41], v[36:37]
.LBB42_905:                             ;   in Loop: Header=BB42_3 Depth=1
	s_or_b32 exec_lo, exec_lo, s47
	s_barrier_signal -1
	s_barrier_wait -1
	s_and_saveexec_b32 s65, s104
	s_cbranch_execz .LBB42_907
; %bb.906:                              ;   in Loop: Header=BB42_3 Depth=1
	ds_load_b64 v[38:39], v3 offset:3120
	s_wait_dscnt 0x0
	v_mul_f64_e32 v[36:37], v[36:37], v[38:39]
	s_delay_alu instid0(VALU_DEP_1) | instskip(NEXT) | instid1(VALU_DEP_2)
	v_xor_b32_e32 v39, 0x80000000, v37
	v_mov_b32_e32 v38, v36
	ds_store_b64 v53, v[38:39]
.LBB42_907:                             ;   in Loop: Header=BB42_3 Depth=1
	s_or_b32 exec_lo, exec_lo, s65
	s_wait_dscnt 0x0
	s_barrier_signal -1
	s_barrier_wait -1
	s_and_saveexec_b32 s47, vcc_hi
	s_cbranch_execz .LBB42_909
; %bb.908:                              ;   in Loop: Header=BB42_3 Depth=1
	ds_load_b64 v[38:39], v55 offset:3072
	ds_load_b64 v[40:41], v53
	s_wait_dscnt 0x0
	v_fma_f64 v[36:37], -v[38:39], v[40:41], v[36:37]
.LBB42_909:                             ;   in Loop: Header=BB42_3 Depth=1
	s_or_b32 exec_lo, exec_lo, s47
	s_barrier_signal -1
	s_barrier_wait -1
	s_and_saveexec_b32 s65, s36
	s_cbranch_execz .LBB42_911
; %bb.910:                              ;   in Loop: Header=BB42_3 Depth=1
	ds_load_b64 v[38:39], v3 offset:2600
	s_wait_dscnt 0x0
	v_mul_f64_e32 v[36:37], v[36:37], v[38:39]
	s_delay_alu instid0(VALU_DEP_1) | instskip(NEXT) | instid1(VALU_DEP_2)
	v_xor_b32_e32 v39, 0x80000000, v37
	v_mov_b32_e32 v38, v36
	ds_store_b64 v53, v[38:39]
.LBB42_911:                             ;   in Loop: Header=BB42_3 Depth=1
	s_or_b32 exec_lo, exec_lo, s65
	s_wait_dscnt 0x0
	s_barrier_signal -1
	s_barrier_wait -1
	s_and_saveexec_b32 s47, s37
	s_cbranch_execz .LBB42_913
; %bb.912:                              ;   in Loop: Header=BB42_3 Depth=1
	ds_load_b64 v[38:39], v55 offset:2560
	ds_load_b64 v[40:41], v53
	s_wait_dscnt 0x0
	v_fma_f64 v[36:37], -v[38:39], v[40:41], v[36:37]
.LBB42_913:                             ;   in Loop: Header=BB42_3 Depth=1
	s_or_b32 exec_lo, exec_lo, s47
	s_barrier_signal -1
	s_barrier_wait -1
	s_and_saveexec_b32 s65, s38
	s_cbranch_execz .LBB42_915
; %bb.914:                              ;   in Loop: Header=BB42_3 Depth=1
	ds_load_b64 v[38:39], v3 offset:2080
	s_wait_dscnt 0x0
	v_mul_f64_e32 v[36:37], v[36:37], v[38:39]
	s_delay_alu instid0(VALU_DEP_1) | instskip(NEXT) | instid1(VALU_DEP_2)
	v_xor_b32_e32 v39, 0x80000000, v37
	v_mov_b32_e32 v38, v36
	ds_store_b64 v53, v[38:39]
.LBB42_915:                             ;   in Loop: Header=BB42_3 Depth=1
	s_or_b32 exec_lo, exec_lo, s65
	s_wait_dscnt 0x0
	s_barrier_signal -1
	s_barrier_wait -1
	s_and_saveexec_b32 s47, s39
	;; [unrolled: 26-line block ×5, first 2 shown]
	s_cbranch_execz .LBB42_929
; %bb.928:                              ;   in Loop: Header=BB42_3 Depth=1
	ds_load_b64 v[38:39], v3 offset:512
	ds_load_b64 v[40:41], v53
	s_wait_dscnt 0x0
	v_fma_f64 v[36:37], -v[38:39], v[40:41], v[36:37]
.LBB42_929:                             ;   in Loop: Header=BB42_3 Depth=1
	s_or_b32 exec_lo, exec_lo, s47
	s_barrier_signal -1
	s_barrier_wait -1
	s_and_saveexec_b32 s65, s45
	s_cbranch_execz .LBB42_931
; %bb.930:                              ;   in Loop: Header=BB42_3 Depth=1
	ds_load_b64 v[38:39], v3
	s_wait_dscnt 0x0
	v_mul_f64_e32 v[36:37], v[36:37], v[38:39]
	s_delay_alu instid0(VALU_DEP_1) | instskip(NEXT) | instid1(VALU_DEP_2)
	v_xor_b32_e32 v39, 0x80000000, v37
	v_mov_b32_e32 v38, v36
	ds_store_b64 v53, v[38:39]
.LBB42_931:                             ;   in Loop: Header=BB42_3 Depth=1
	s_or_b32 exec_lo, exec_lo, s65
	s_wait_dscnt 0x0
	s_barrier_signal -1
	s_barrier_wait -1
	s_barrier_signal -1
	s_barrier_wait -1
	s_and_saveexec_b32 s47, s3
; %bb.932:                              ;   in Loop: Header=BB42_3 Depth=1
	ds_store_b64 v56, v[36:37] offset:7680
; %bb.933:                              ;   in Loop: Header=BB42_3 Depth=1
	s_or_b32 exec_lo, exec_lo, s47
	s_wait_dscnt 0x0
	s_barrier_signal -1
	s_barrier_wait -1
	s_barrier_signal -1
	s_barrier_wait -1
	s_and_saveexec_b32 s65, s46
	s_cbranch_execz .LBB42_935
; %bb.934:                              ;   in Loop: Header=BB42_3 Depth=1
	ds_load_b64 v[36:37], v72 offset:4096
	s_wait_dscnt 0x0
	ds_store_b64 v73, v[36:37] offset:64
	ds_load_b64 v[36:37], v72 offset:4104
	s_wait_dscnt 0x0
	ds_store_b64 v73, v[36:37] offset:576
	;; [unrolled: 3-line block ×8, first 2 shown]
.LBB42_935:                             ;   in Loop: Header=BB42_3 Depth=1
	s_or_b32 exec_lo, exec_lo, s65
	s_wait_dscnt 0x0
	s_barrier_signal -1
	s_barrier_wait -1
	s_and_saveexec_b32 s65, s14
	s_cbranch_execz .LBB42_937
; %bb.936:                              ;   in Loop: Header=BB42_3 Depth=1
	ds_load_b128 v[36:39], v3 offset:3632
	ds_load_b64 v[40:41], v3 offset:3120
	v_add_nc_u32_e64 v2, 0x800, 0
	s_wait_dscnt 0x0
	v_mul_f64_e32 v[38:39], v[40:41], v[38:39]
	s_delay_alu instid0(VALU_DEP_1)
	v_mul_f64_e32 v[36:37], v[36:37], v[38:39]
	ds_store_2addr_b64 v2, v[36:37], v[36:37] offset0:135 offset1:198
.LBB42_937:                             ;   in Loop: Header=BB42_3 Depth=1
	s_or_b32 exec_lo, exec_lo, s65
	v_mov_b64_e32 v[36:37], 0
	s_wait_dscnt 0x0
	s_barrier_signal -1
	s_barrier_wait -1
	global_wb scope:SCOPE_DEV
	s_wait_storecnt 0x0
	global_inv scope:SCOPE_DEV
	s_and_saveexec_b32 s65, s0
	s_cbranch_execz .LBB42_941
; %bb.938:                              ;   in Loop: Header=BB42_3 Depth=1
	ds_load_b64 v[36:37], v45 offset:3104
	ds_load_b64 v[38:39], v44 offset:3632
	s_wait_dscnt 0x0
	v_fma_f64 v[36:37], v[36:37], v[38:39], 0
	s_and_saveexec_b32 s47, s15
	s_cbranch_execz .LBB42_940
; %bb.939:                              ;   in Loop: Header=BB42_3 Depth=1
	ds_load_b64 v[38:39], v73 offset:3616
	ds_load_b64 v[40:41], v3 offset:3640
	s_wait_dscnt 0x0
	v_fmac_f64_e32 v[36:37], v[38:39], v[40:41]
.LBB42_940:                             ;   in Loop: Header=BB42_3 Depth=1
	s_or_b32 exec_lo, exec_lo, s47
.LBB42_941:                             ;   in Loop: Header=BB42_3 Depth=1
	s_delay_alu instid0(SALU_CYCLE_1)
	s_or_b32 exec_lo, exec_lo, s65
	s_and_saveexec_b32 s65, s92
	s_cbranch_execz .LBB42_943
; %bb.942:                              ;   in Loop: Header=BB42_3 Depth=1
	ds_load_b64 v[38:39], v3 offset:2600
	s_wait_dscnt 0x0
	v_mul_f64_e32 v[36:37], v[36:37], v[38:39]
	s_delay_alu instid0(VALU_DEP_1) | instskip(NEXT) | instid1(VALU_DEP_2)
	v_xor_b32_e32 v39, 0x80000000, v37
	v_mov_b32_e32 v38, v36
	ds_store_b64 v5, v[38:39]
.LBB42_943:                             ;   in Loop: Header=BB42_3 Depth=1
	s_or_b32 exec_lo, exec_lo, s65
	s_wait_loadcnt_dscnt 0x0
	s_barrier_signal -1
	s_barrier_wait -1
	s_and_saveexec_b32 s47, s93
	s_cbranch_execz .LBB42_945
; %bb.944:                              ;   in Loop: Header=BB42_3 Depth=1
	ds_load_b64 v[38:39], v3 offset:2592
	ds_load_b64 v[40:41], v5
	s_wait_dscnt 0x0
	v_fma_f64 v[36:37], -v[38:39], v[40:41], v[36:37]
.LBB42_945:                             ;   in Loop: Header=BB42_3 Depth=1
	s_or_b32 exec_lo, exec_lo, s47
	s_barrier_signal -1
	s_barrier_wait -1
	s_and_saveexec_b32 s65, s93
	s_cbranch_execz .LBB42_947
; %bb.946:                              ;   in Loop: Header=BB42_3 Depth=1
	ds_load_b64 v[38:39], v3 offset:2080
	s_wait_dscnt 0x0
	v_mul_f64_e32 v[36:37], v[36:37], v[38:39]
	s_delay_alu instid0(VALU_DEP_1) | instskip(NEXT) | instid1(VALU_DEP_2)
	v_xor_b32_e32 v39, 0x80000000, v37
	v_mov_b32_e32 v38, v36
	ds_store_b64 v5, v[38:39]
.LBB42_947:                             ;   in Loop: Header=BB42_3 Depth=1
	s_or_b32 exec_lo, exec_lo, s65
	s_wait_dscnt 0x0
	s_barrier_signal -1
	s_barrier_wait -1
	s_barrier_signal -1
	s_barrier_wait -1
	s_and_saveexec_b32 s47, s0
; %bb.948:                              ;   in Loop: Header=BB42_3 Depth=1
	ds_store_b64 v47, v[36:37] offset:3616
; %bb.949:                              ;   in Loop: Header=BB42_3 Depth=1
	s_or_b32 exec_lo, exec_lo, s47
	s_wait_dscnt 0x0
	s_barrier_signal -1
	s_barrier_wait -1
	s_barrier_signal -1
	s_barrier_wait -1
	s_and_saveexec_b32 s47, s94
	s_cbranch_execz .LBB42_951
; %bb.950:                              ;   in Loop: Header=BB42_3 Depth=1
	ds_load_b64 v[36:37], v74 offset:3104
	s_wait_dscnt 0x0
	ds_store_b64 v73, v[36:37] offset:2096
	ds_load_b64 v[36:37], v74 offset:3112
	s_wait_dscnt 0x0
	ds_store_b64 v73, v[36:37] offset:2608
.LBB42_951:                             ;   in Loop: Header=BB42_3 Depth=1
	s_or_b32 exec_lo, exec_lo, s47
	s_wait_dscnt 0x0
	s_barrier_signal -1
	s_barrier_wait -1
	s_and_saveexec_b32 s65, s14
	s_cbranch_execz .LBB42_953
; %bb.952:                              ;   in Loop: Header=BB42_3 Depth=1
	ds_load_b128 v[36:39], v3 offset:2592
	ds_load_b64 v[40:41], v3 offset:2080
	v_add_nc_u32_e64 v2, 0x800, 0
	s_wait_dscnt 0x0
	v_mul_f64_e32 v[38:39], v[40:41], v[38:39]
	s_delay_alu instid0(VALU_DEP_1)
	v_mul_f64_e32 v[36:37], v[36:37], v[38:39]
	ds_store_2addr_b64 v2, v[36:37], v[36:37] offset0:5 offset1:68
.LBB42_953:                             ;   in Loop: Header=BB42_3 Depth=1
	s_or_b32 exec_lo, exec_lo, s65
	v_mov_b64_e32 v[36:37], 0
	s_wait_dscnt 0x0
	s_barrier_signal -1
	s_barrier_wait -1
	global_wb scope:SCOPE_DEV
	s_wait_storecnt 0x0
	global_inv scope:SCOPE_DEV
	s_and_saveexec_b32 s65, s2
	s_cbranch_execz .LBB42_959
; %bb.954:                              ;   in Loop: Header=BB42_3 Depth=1
	ds_load_b64 v[36:37], v51 offset:2048
	ds_load_b64 v[38:39], v50 offset:3616
	s_wait_dscnt 0x0
	v_fma_f64 v[36:37], v[36:37], v[38:39], 0
	s_and_saveexec_b32 s47, s16
	s_cbranch_execnz .LBB42_1147
; %bb.955:                              ;   in Loop: Header=BB42_3 Depth=1
	s_or_b32 exec_lo, exec_lo, s47
	s_and_saveexec_b32 s47, s17
	s_cbranch_execnz .LBB42_1148
.LBB42_956:                             ;   in Loop: Header=BB42_3 Depth=1
	s_or_b32 exec_lo, exec_lo, s47
	s_and_saveexec_b32 s47, s0
	s_cbranch_execz .LBB42_958
.LBB42_957:                             ;   in Loop: Header=BB42_3 Depth=1
	ds_load_b64 v[38:39], v75 offset:3584
	ds_load_b64 v[40:41], v3 offset:3640
	s_wait_dscnt 0x0
	v_fmac_f64_e32 v[36:37], v[38:39], v[40:41]
.LBB42_958:                             ;   in Loop: Header=BB42_3 Depth=1
	s_or_b32 exec_lo, exec_lo, s47
.LBB42_959:                             ;   in Loop: Header=BB42_3 Depth=1
	s_delay_alu instid0(SALU_CYCLE_1)
	s_or_b32 exec_lo, exec_lo, s65
	s_and_saveexec_b32 s65, s95
	s_cbranch_execz .LBB42_961
; %bb.960:                              ;   in Loop: Header=BB42_3 Depth=1
	ds_load_b64 v[38:39], v3 offset:1560
	s_wait_dscnt 0x0
	v_mul_f64_e32 v[36:37], v[36:37], v[38:39]
	s_delay_alu instid0(VALU_DEP_1) | instskip(NEXT) | instid1(VALU_DEP_2)
	v_xor_b32_e32 v39, 0x80000000, v37
	v_mov_b32_e32 v38, v36
	ds_store_b64 v49, v[38:39]
.LBB42_961:                             ;   in Loop: Header=BB42_3 Depth=1
	s_or_b32 exec_lo, exec_lo, s65
	s_wait_loadcnt_dscnt 0x0
	s_barrier_signal -1
	s_barrier_wait -1
	s_and_saveexec_b32 s47, s96
	s_cbranch_execz .LBB42_963
; %bb.962:                              ;   in Loop: Header=BB42_3 Depth=1
	ds_load_b64 v[38:39], v51 offset:1536
	ds_load_b64 v[40:41], v49
	s_wait_dscnt 0x0
	v_fma_f64 v[36:37], -v[38:39], v[40:41], v[36:37]
.LBB42_963:                             ;   in Loop: Header=BB42_3 Depth=1
	s_or_b32 exec_lo, exec_lo, s47
	s_barrier_signal -1
	s_barrier_wait -1
	s_and_saveexec_b32 s65, s97
	s_cbranch_execz .LBB42_965
; %bb.964:                              ;   in Loop: Header=BB42_3 Depth=1
	ds_load_b64 v[38:39], v3 offset:1040
	s_wait_dscnt 0x0
	v_mul_f64_e32 v[36:37], v[36:37], v[38:39]
	s_delay_alu instid0(VALU_DEP_1) | instskip(NEXT) | instid1(VALU_DEP_2)
	v_xor_b32_e32 v39, 0x80000000, v37
	v_mov_b32_e32 v38, v36
	ds_store_b64 v49, v[38:39]
.LBB42_965:                             ;   in Loop: Header=BB42_3 Depth=1
	s_or_b32 exec_lo, exec_lo, s65
	s_wait_dscnt 0x0
	s_barrier_signal -1
	s_barrier_wait -1
	s_and_saveexec_b32 s47, s98
	s_cbranch_execz .LBB42_967
; %bb.966:                              ;   in Loop: Header=BB42_3 Depth=1
	ds_load_b64 v[38:39], v51 offset:1024
	ds_load_b64 v[40:41], v49
	s_wait_dscnt 0x0
	v_fma_f64 v[36:37], -v[38:39], v[40:41], v[36:37]
.LBB42_967:                             ;   in Loop: Header=BB42_3 Depth=1
	s_or_b32 exec_lo, exec_lo, s47
	s_barrier_signal -1
	s_barrier_wait -1
	s_and_saveexec_b32 s65, s99
	s_cbranch_execz .LBB42_969
; %bb.968:                              ;   in Loop: Header=BB42_3 Depth=1
	ds_load_b64 v[38:39], v3 offset:520
	s_wait_dscnt 0x0
	v_mul_f64_e32 v[36:37], v[36:37], v[38:39]
	s_delay_alu instid0(VALU_DEP_1) | instskip(NEXT) | instid1(VALU_DEP_2)
	v_xor_b32_e32 v39, 0x80000000, v37
	v_mov_b32_e32 v38, v36
	ds_store_b64 v49, v[38:39]
.LBB42_969:                             ;   in Loop: Header=BB42_3 Depth=1
	s_or_b32 exec_lo, exec_lo, s65
	s_wait_dscnt 0x0
	s_barrier_signal -1
	s_barrier_wait -1
	s_and_saveexec_b32 s47, s100
	s_cbranch_execz .LBB42_971
; %bb.970:                              ;   in Loop: Header=BB42_3 Depth=1
	ds_load_b64 v[38:39], v3 offset:512
	ds_load_b64 v[40:41], v49
	s_wait_dscnt 0x0
	v_fma_f64 v[36:37], -v[38:39], v[40:41], v[36:37]
.LBB42_971:                             ;   in Loop: Header=BB42_3 Depth=1
	s_or_b32 exec_lo, exec_lo, s47
	s_barrier_signal -1
	s_barrier_wait -1
	s_and_saveexec_b32 s65, s100
	s_cbranch_execz .LBB42_973
; %bb.972:                              ;   in Loop: Header=BB42_3 Depth=1
	ds_load_b64 v[38:39], v3
	s_wait_dscnt 0x0
	v_mul_f64_e32 v[36:37], v[36:37], v[38:39]
	s_delay_alu instid0(VALU_DEP_1) | instskip(NEXT) | instid1(VALU_DEP_2)
	v_xor_b32_e32 v39, 0x80000000, v37
	v_mov_b32_e32 v38, v36
	ds_store_b64 v49, v[38:39]
.LBB42_973:                             ;   in Loop: Header=BB42_3 Depth=1
	s_or_b32 exec_lo, exec_lo, s65
	s_wait_dscnt 0x0
	s_barrier_signal -1
	s_barrier_wait -1
	s_barrier_signal -1
	s_barrier_wait -1
	s_and_saveexec_b32 s47, s2
; %bb.974:                              ;   in Loop: Header=BB42_3 Depth=1
	ds_store_b64 v52, v[36:37] offset:3584
; %bb.975:                              ;   in Loop: Header=BB42_3 Depth=1
	s_or_b32 exec_lo, exec_lo, s47
	s_wait_dscnt 0x0
	s_barrier_signal -1
	s_barrier_wait -1
	s_barrier_signal -1
	s_barrier_wait -1
	s_and_saveexec_b32 s65, s101
	s_cbranch_execz .LBB42_977
; %bb.976:                              ;   in Loop: Header=BB42_3 Depth=1
	ds_load_b64 v[36:37], v79 offset:2048
	s_wait_dscnt 0x0
	ds_store_b64 v82, v[36:37] offset:32
	ds_load_b64 v[36:37], v79 offset:2056
	s_wait_dscnt 0x0
	ds_store_b64 v82, v[36:37] offset:544
	;; [unrolled: 3-line block ×4, first 2 shown]
.LBB42_977:                             ;   in Loop: Header=BB42_3 Depth=1
	s_or_b32 exec_lo, exec_lo, s65
	s_wait_dscnt 0x0
	s_barrier_signal -1
	s_barrier_wait -1
	s_and_saveexec_b32 s65, s14
	s_cbranch_execz .LBB42_979
; %bb.978:                              ;   in Loop: Header=BB42_3 Depth=1
	ds_load_b128 v[36:39], v3 offset:1552
	ds_load_b64 v[40:41], v3 offset:1040
	s_wait_dscnt 0x0
	v_mul_f64_e32 v[38:39], v[40:41], v[38:39]
	s_delay_alu instid0(VALU_DEP_1)
	v_mul_f64_e32 v[36:37], v[36:37], v[38:39]
	ds_store_2addr_b64 v3, v[36:37], v[36:37] offset0:131 offset1:194
.LBB42_979:                             ;   in Loop: Header=BB42_3 Depth=1
	s_or_b32 exec_lo, exec_lo, s65
	v_mov_b64_e32 v[36:37], 0
	s_wait_dscnt 0x0
	s_barrier_signal -1
	s_barrier_wait -1
	global_wb scope:SCOPE_DEV
	s_wait_storecnt 0x0
	global_inv scope:SCOPE_DEV
	s_and_saveexec_b32 s65, s0
	s_cbranch_execz .LBB42_983
; %bb.980:                              ;   in Loop: Header=BB42_3 Depth=1
	ds_load_b64 v[36:37], v45 offset:1024
	ds_load_b64 v[38:39], v44 offset:1552
	s_wait_dscnt 0x0
	v_fma_f64 v[36:37], v[36:37], v[38:39], 0
	s_and_saveexec_b32 s47, s15
	s_cbranch_execz .LBB42_982
; %bb.981:                              ;   in Loop: Header=BB42_3 Depth=1
	ds_load_b64 v[38:39], v82 offset:1536
	ds_load_b64 v[40:41], v3 offset:1560
	s_wait_dscnt 0x0
	v_fmac_f64_e32 v[36:37], v[38:39], v[40:41]
.LBB42_982:                             ;   in Loop: Header=BB42_3 Depth=1
	s_or_b32 exec_lo, exec_lo, s47
.LBB42_983:                             ;   in Loop: Header=BB42_3 Depth=1
	s_delay_alu instid0(SALU_CYCLE_1)
	s_or_b32 exec_lo, exec_lo, s65
	s_and_saveexec_b32 s65, s92
	s_cbranch_execz .LBB42_985
; %bb.984:                              ;   in Loop: Header=BB42_3 Depth=1
	ds_load_b64 v[38:39], v3 offset:520
	s_wait_dscnt 0x0
	v_mul_f64_e32 v[36:37], v[36:37], v[38:39]
	s_delay_alu instid0(VALU_DEP_1) | instskip(NEXT) | instid1(VALU_DEP_2)
	v_xor_b32_e32 v39, 0x80000000, v37
	v_mov_b32_e32 v38, v36
	ds_store_b64 v5, v[38:39]
.LBB42_985:                             ;   in Loop: Header=BB42_3 Depth=1
	s_or_b32 exec_lo, exec_lo, s65
	s_wait_loadcnt_dscnt 0x0
	s_barrier_signal -1
	s_barrier_wait -1
	s_and_saveexec_b32 s47, s93
	s_cbranch_execz .LBB42_987
; %bb.986:                              ;   in Loop: Header=BB42_3 Depth=1
	ds_load_b64 v[38:39], v3 offset:512
	ds_load_b64 v[40:41], v5
	s_wait_dscnt 0x0
	v_fma_f64 v[36:37], -v[38:39], v[40:41], v[36:37]
.LBB42_987:                             ;   in Loop: Header=BB42_3 Depth=1
	s_or_b32 exec_lo, exec_lo, s47
	s_barrier_signal -1
	s_barrier_wait -1
	s_and_saveexec_b32 s65, s93
	s_cbranch_execz .LBB42_989
; %bb.988:                              ;   in Loop: Header=BB42_3 Depth=1
	ds_load_b64 v[38:39], v3
	s_wait_dscnt 0x0
	v_mul_f64_e32 v[36:37], v[36:37], v[38:39]
	s_delay_alu instid0(VALU_DEP_1) | instskip(NEXT) | instid1(VALU_DEP_2)
	v_xor_b32_e32 v39, 0x80000000, v37
	v_mov_b32_e32 v38, v36
	ds_store_b64 v5, v[38:39]
.LBB42_989:                             ;   in Loop: Header=BB42_3 Depth=1
	s_or_b32 exec_lo, exec_lo, s65
	s_wait_dscnt 0x0
	s_barrier_signal -1
	s_barrier_wait -1
	s_barrier_signal -1
	s_barrier_wait -1
	s_and_saveexec_b32 s47, s0
; %bb.990:                              ;   in Loop: Header=BB42_3 Depth=1
	ds_store_b64 v47, v[36:37] offset:1536
; %bb.991:                              ;   in Loop: Header=BB42_3 Depth=1
	s_or_b32 exec_lo, exec_lo, s47
	s_wait_dscnt 0x0
	s_barrier_signal -1
	s_barrier_wait -1
	s_barrier_signal -1
	s_barrier_wait -1
	s_and_saveexec_b32 s47, s94
	s_cbranch_execz .LBB42_993
; %bb.992:                              ;   in Loop: Header=BB42_3 Depth=1
	ds_load_b64 v[36:37], v83 offset:1024
	s_wait_dscnt 0x0
	ds_store_b64 v82, v[36:37] offset:16
	ds_load_b64 v[36:37], v83 offset:1032
	s_wait_dscnt 0x0
	ds_store_b64 v82, v[36:37] offset:528
.LBB42_993:                             ;   in Loop: Header=BB42_3 Depth=1
	s_or_b32 exec_lo, exec_lo, s47
	s_wait_dscnt 0x0
	s_barrier_signal -1
	s_barrier_wait -1
	s_and_saveexec_b32 s65, s14
	s_cbranch_execz .LBB42_995
; %bb.994:                              ;   in Loop: Header=BB42_3 Depth=1
	ds_load_b128 v[36:39], v3 offset:512
	ds_load_b64 v[40:41], v3
	s_wait_dscnt 0x0
	v_mul_f64_e32 v[38:39], v[40:41], v[38:39]
	s_delay_alu instid0(VALU_DEP_1)
	v_mul_f64_e32 v[36:37], v[36:37], v[38:39]
	ds_store_2addr_b64 v3, v[36:37], v[36:37] offset0:1 offset1:64
.LBB42_995:                             ;   in Loop: Header=BB42_3 Depth=1
	s_or_b32 exec_lo, exec_lo, s65
.LBB42_996:                             ;   in Loop: Header=BB42_3 Depth=1
	v_readlane_b32 s84, v97, 3
	v_mov_b64_e32 v[36:37], 0
	v_readlane_b32 s85, v97, 4
	s_mul_u64 s[82:83], s[76:77], s[80:81]
	s_wait_dscnt 0x0
	s_lshl_b64 s[82:83], s[82:83], 3
	s_barrier_signal -1
	s_add_nc_u64 s[82:83], s[84:85], s[82:83]
	s_barrier_wait -1
	s_and_saveexec_b32 s47, s70
	s_cbranch_execz .LBB42_998
; %bb.997:                              ;   in Loop: Header=BB42_3 Depth=1
	v_lshl_add_u64 v[36:37], v[0:1], 3, s[82:83]
	global_load_b64 v[36:37], v[36:37], off
	s_wait_loadcnt 0x0
	v_mul_f64_e64 v[36:37], v[36:37], -s[68:69]
.LBB42_998:                             ;   in Loop: Header=BB42_3 Depth=1
	s_or_b32 exec_lo, exec_lo, s47
	s_delay_alu instid0(SALU_CYCLE_1)
	s_and_not1_b32 vcc_lo, exec_lo, s71
	s_cbranch_vccnz .LBB42_1024
; %bb.999:                              ;   in Loop: Header=BB42_3 Depth=1
	v_mov_b32_e32 v92, -1
	s_lshl_b64 s[84:85], s[80:81], 2
	s_mov_b32 s89, 0
	s_add_nc_u64 s[84:85], s[78:79], s[84:85]
	s_branch .LBB42_1002
.LBB42_1000:                            ;   in Loop: Header=BB42_1002 Depth=2
	s_wait_xcnt 0x0
	ds_load_b64 v[38:39], v84 offset:384
	s_wait_loadcnt_dscnt 0x0
	v_fmac_f64_e32 v[36:37], v[40:41], v[38:39]
.LBB42_1001:                            ;   in Loop: Header=BB42_1002 Depth=2
	s_or_b32 exec_lo, exec_lo, s65
	s_add_co_i32 s89, s89, 1
	s_delay_alu instid0(SALU_CYCLE_1)
	s_cmp_eq_u32 s89, s88
	s_cbranch_scc1 .LBB42_1024
.LBB42_1002:                            ;   Parent Loop BB42_3 Depth=1
                                        ; =>  This Loop Header: Depth=2
                                        ;       Child Loop BB42_1004 Depth 3
	v_cmp_gt_i32_e32 vcc_lo, s89, v92
	s_and_b32 s47, s59, vcc_lo
	s_delay_alu instid0(SALU_CYCLE_1)
	s_and_saveexec_b32 s65, s47
	s_cbranch_execz .LBB42_1005
; %bb.1003:                             ;   in Loop: Header=BB42_1002 Depth=2
	global_load_b32 v92, v3, s[84:85]
	s_wait_loadcnt 0x0
	v_cmp_le_i32_e32 vcc_lo, s89, v92
	s_cbranch_vccnz .LBB42_1005
.LBB42_1004:                            ;   Parent Loop BB42_3 Depth=1
                                        ;     Parent Loop BB42_1002 Depth=2
                                        ; =>    This Inner Loop Header: Depth=3
	global_wb scope:SCOPE_DEV
	s_wait_storecnt 0x0
	global_inv scope:SCOPE_DEV
	global_load_b32 v92, v3, s[84:85]
	s_wait_loadcnt 0x0
	v_cmp_gt_i32_e32 vcc_lo, s89, v92
	s_cbranch_vccnz .LBB42_1004
.LBB42_1005:                            ;   in Loop: Header=BB42_1002 Depth=2
	s_or_b32 exec_lo, exec_lo, s65
	s_lshl_b32 s65, s89, 6
	global_wb scope:SCOPE_DEV
	s_wait_storecnt 0x0
	global_inv scope:SCOPE_DEV
	s_wait_loadcnt 0x0
	s_barrier_signal -1
	s_barrier_wait -1
	s_and_saveexec_b32 s86, s60
	s_cbranch_execz .LBB42_1009
; %bb.1006:                             ;   in Loop: Header=BB42_1002 Depth=2
	v_mov_b64_e32 v[38:39], 0
	v_or_b32_e32 v2, s65, v6
	s_mov_b32 s47, exec_lo
	s_delay_alu instid0(VALU_DEP_1)
	v_cmpx_gt_i32_e64 s87, v2
	s_cbranch_execz .LBB42_1008
; %bb.1007:                             ;   in Loop: Header=BB42_1002 Depth=2
	v_mul_u64_e32 v[38:39], s[74:75], v[2:3]
	s_delay_alu instid0(VALU_DEP_1)
	v_lshl_add_u64 v[38:39], v[38:39], 3, s[82:83]
	global_load_b64 v[38:39], v[38:39], off
.LBB42_1008:                            ;   in Loop: Header=BB42_1002 Depth=2
	s_wait_xcnt 0x0
	s_or_b32 exec_lo, exec_lo, s47
	s_wait_loadcnt 0x0
	ds_store_b64 v87, v[38:39]
.LBB42_1009:                            ;   in Loop: Header=BB42_1002 Depth=2
	s_or_b32 exec_lo, exec_lo, s86
	v_add_nc_u32_e32 v2, s65, v42
	v_cmp_ne_u32_e32 vcc_lo, s89, v43
	s_wait_dscnt 0x0
	s_barrier_signal -1
	s_barrier_wait -1
	v_cmp_gt_i32_e64 s65, s87, v2
	v_lshl_add_u64 v[38:39], v[2:3], 3, v[34:35]
	v_cndmask_b32_e64 v93, 0, 1, vcc_lo
	s_and_b32 s47, s65, s5
	s_delay_alu instid0(SALU_CYCLE_1)
	s_and_saveexec_b32 s65, s47
	s_cbranch_execz .LBB42_1013
; %bb.1010:                             ;   in Loop: Header=BB42_1002 Depth=2
	v_mov_b64_e32 v[40:41], v[26:27]
	s_and_not1_b32 vcc_lo, exec_lo, vcc_lo
	s_cbranch_vccnz .LBB42_1012
; %bb.1011:                             ;   in Loop: Header=BB42_1002 Depth=2
	global_load_b64 v[40:41], v[38:39], off
.LBB42_1012:                            ;   in Loop: Header=BB42_1002 Depth=2
	ds_load_b64 v[94:95], v84
	s_wait_loadcnt_dscnt 0x0
	v_fmac_f64_e32 v[36:37], v[40:41], v[94:95]
.LBB42_1013:                            ;   in Loop: Header=BB42_1002 Depth=2
	s_or_b32 exec_lo, exec_lo, s65
	v_add_nc_u32_e32 v40, 16, v2
	s_delay_alu instid0(VALU_DEP_1) | instskip(SKIP_1) | instid1(SALU_CYCLE_1)
	v_cmp_gt_i32_e32 vcc_lo, s87, v40
	s_and_b32 s47, vcc_lo, s5
	s_and_saveexec_b32 s65, s47
	s_cbranch_execz .LBB42_1017
; %bb.1014:                             ;   in Loop: Header=BB42_1002 Depth=2
	v_cmp_ne_u32_e32 vcc_lo, 1, v93
	v_mov_b64_e32 v[40:41], v[28:29]
	s_cbranch_vccnz .LBB42_1016
; %bb.1015:                             ;   in Loop: Header=BB42_1002 Depth=2
	global_load_b64 v[40:41], v[38:39], off offset:128
.LBB42_1016:                            ;   in Loop: Header=BB42_1002 Depth=2
	ds_load_b64 v[94:95], v84 offset:128
	s_wait_loadcnt_dscnt 0x0
	v_fmac_f64_e32 v[36:37], v[40:41], v[94:95]
.LBB42_1017:                            ;   in Loop: Header=BB42_1002 Depth=2
	s_or_b32 exec_lo, exec_lo, s65
	v_add_nc_u32_e32 v40, 32, v2
	s_delay_alu instid0(VALU_DEP_1) | instskip(SKIP_1) | instid1(SALU_CYCLE_1)
	v_cmp_gt_i32_e32 vcc_lo, s87, v40
	s_and_b32 s47, vcc_lo, s5
	s_and_saveexec_b32 s65, s47
	s_cbranch_execz .LBB42_1021
; %bb.1018:                             ;   in Loop: Header=BB42_1002 Depth=2
	v_cmp_ne_u32_e32 vcc_lo, 1, v93
	v_mov_b64_e32 v[40:41], v[30:31]
	s_cbranch_vccnz .LBB42_1020
; %bb.1019:                             ;   in Loop: Header=BB42_1002 Depth=2
	global_load_b64 v[40:41], v[38:39], off offset:256
.LBB42_1020:                            ;   in Loop: Header=BB42_1002 Depth=2
	ds_load_b64 v[94:95], v84 offset:256
	s_wait_loadcnt_dscnt 0x0
	v_fmac_f64_e32 v[36:37], v[40:41], v[94:95]
.LBB42_1021:                            ;   in Loop: Header=BB42_1002 Depth=2
	s_or_b32 exec_lo, exec_lo, s65
	v_add_nc_u32_e32 v2, 48, v2
	s_delay_alu instid0(VALU_DEP_1) | instskip(SKIP_1) | instid1(SALU_CYCLE_1)
	v_cmp_gt_i32_e32 vcc_lo, s87, v2
	s_and_b32 s47, vcc_lo, s5
	s_and_saveexec_b32 s65, s47
	s_cbranch_execz .LBB42_1001
; %bb.1022:                             ;   in Loop: Header=BB42_1002 Depth=2
	v_cmp_ne_u32_e32 vcc_lo, 1, v93
	v_mov_b64_e32 v[40:41], v[32:33]
	s_cbranch_vccnz .LBB42_1000
; %bb.1023:                             ;   in Loop: Header=BB42_1002 Depth=2
	global_load_b64 v[40:41], v[38:39], off offset:384
	s_branch .LBB42_1000
.LBB42_1024:                            ;   in Loop: Header=BB42_3 Depth=1
	ds_store_b64 v88, v[36:37]
	s_wait_dscnt 0x0
	s_barrier_signal -1
	s_barrier_wait -1
	s_and_saveexec_b32 s65, s1
	s_cbranch_execz .LBB42_1026
; %bb.1025:                             ;   in Loop: Header=BB42_3 Depth=1
	ds_load_2addr_stride64_b64 v[38:41], v89 offset0:1 offset1:2
	ds_load_2addr_stride64_b64 v[92:95], v89 offset0:3 offset1:4
	s_wait_dscnt 0x1
	v_add_f64_e32 v[34:35], v[36:37], v[38:39]
	s_delay_alu instid0(VALU_DEP_1) | instskip(SKIP_1) | instid1(VALU_DEP_1)
	v_add_f64_e32 v[34:35], v[34:35], v[40:41]
	s_wait_dscnt 0x0
	v_add_f64_e32 v[34:35], v[34:35], v[92:93]
	s_delay_alu instid0(VALU_DEP_1) | instskip(SKIP_4) | instid1(VALU_DEP_1)
	v_add_f64_e32 v[92:93], v[34:35], v[94:95]
	ds_load_2addr_stride64_b64 v[34:37], v89 offset0:5 offset1:6
	ds_load_2addr_stride64_b64 v[38:41], v89 offset0:7 offset1:8
	s_wait_dscnt 0x1
	v_add_f64_e32 v[34:35], v[92:93], v[34:35]
	v_add_f64_e32 v[34:35], v[34:35], v[36:37]
	s_wait_dscnt 0x0
	s_delay_alu instid0(VALU_DEP_1) | instskip(NEXT) | instid1(VALU_DEP_1)
	v_add_f64_e32 v[34:35], v[34:35], v[38:39]
	v_add_f64_e32 v[92:93], v[34:35], v[40:41]
	ds_load_2addr_stride64_b64 v[34:37], v89 offset0:9 offset1:10
	ds_load_2addr_stride64_b64 v[38:41], v89 offset0:11 offset1:12
	s_wait_dscnt 0x1
	v_add_f64_e32 v[34:35], v[92:93], v[34:35]
	s_delay_alu instid0(VALU_DEP_1) | instskip(SKIP_1) | instid1(VALU_DEP_1)
	v_add_f64_e32 v[34:35], v[34:35], v[36:37]
	s_wait_dscnt 0x0
	v_add_f64_e32 v[34:35], v[34:35], v[38:39]
	s_delay_alu instid0(VALU_DEP_1) | instskip(SKIP_4) | instid1(VALU_DEP_1)
	v_add_f64_e32 v[38:39], v[34:35], v[40:41]
	ds_load_2addr_stride64_b64 v[34:37], v89 offset0:13 offset1:14
	ds_load_b64 v[40:41], v89 offset:7680
	s_wait_dscnt 0x1
	v_add_f64_e32 v[34:35], v[38:39], v[34:35]
	v_add_f64_e32 v[34:35], v[34:35], v[36:37]
	s_wait_dscnt 0x0
	s_delay_alu instid0(VALU_DEP_1) | instskip(NEXT) | instid1(VALU_DEP_1)
	v_add_f64_e32 v[34:35], v[34:35], v[40:41]
	v_xor_b32_e32 v2, 0x80000000, v35
	s_delay_alu instid0(VALU_DEP_2) | instskip(NEXT) | instid1(VALU_DEP_2)
	v_cndmask_b32_e64 v36, v34, 0, s11
	v_cndmask_b32_e64 v37, v2, 0, s11
.LBB42_1026:                            ;   in Loop: Header=BB42_3 Depth=1
	s_or_b32 exec_lo, exec_lo, s65
	s_delay_alu instid0(SALU_CYCLE_1)
	s_and_not1_b32 vcc_lo, exec_lo, s91
	s_cbranch_vccnz .LBB42_1036
; %bb.1027:                             ;   in Loop: Header=BB42_3 Depth=1
	s_and_saveexec_b32 s47, s1
; %bb.1028:                             ;   in Loop: Header=BB42_3 Depth=1
	ds_store_b64 v91, v[36:37]
; %bb.1029:                             ;   in Loop: Header=BB42_3 Depth=1
	s_or_b32 exec_lo, exec_lo, s47
	v_mov_b64_e32 v[34:35], 0
	s_wait_dscnt 0x0
	s_barrier_signal -1
	s_barrier_wait -1
	s_and_saveexec_b32 s47, s6
	s_cbranch_execnz .LBB42_1091
; %bb.1030:                             ;   in Loop: Header=BB42_3 Depth=1
	s_or_b32 exec_lo, exec_lo, s47
	s_and_saveexec_b32 s47, s7
	s_cbranch_execnz .LBB42_1092
.LBB42_1031:                            ;   in Loop: Header=BB42_3 Depth=1
	s_or_b32 exec_lo, exec_lo, s47
	s_and_saveexec_b32 s47, s8
	s_cbranch_execnz .LBB42_1093
.LBB42_1032:                            ;   in Loop: Header=BB42_3 Depth=1
	s_or_b32 exec_lo, exec_lo, s47
	s_and_saveexec_b32 s47, s9
	s_cbranch_execz .LBB42_1034
.LBB42_1033:                            ;   in Loop: Header=BB42_3 Depth=1
	ds_load_b64 v[38:39], v90 offset:24576
	ds_load_b64 v[40:41], v84 offset:384
	s_wait_dscnt 0x0
	v_fmac_f64_e32 v[34:35], v[38:39], v[40:41]
.LBB42_1034:                            ;   in Loop: Header=BB42_3 Depth=1
	s_or_b32 exec_lo, exec_lo, s47
	s_mov_b32 s84, 0
	s_mov_b32 s65, 0
	ds_store_b64 v88, v[34:35]
	s_wait_dscnt 0x0
	s_barrier_signal -1
	s_barrier_wait -1
                                        ; implicit-def: $vgpr38_vgpr39
	s_and_saveexec_b32 s85, s1
	s_cbranch_execz .LBB42_1094
; %bb.1035:                             ;   in Loop: Header=BB42_3 Depth=1
	ds_load_2addr_stride64_b64 v[38:41], v89 offset0:1 offset1:2
	ds_load_2addr_stride64_b64 v[92:95], v89 offset0:3 offset1:4
	s_mov_b32 s65, exec_lo
	s_wait_dscnt 0x1
	v_add_f64_e32 v[34:35], v[34:35], v[38:39]
	s_delay_alu instid0(VALU_DEP_1) | instskip(SKIP_1) | instid1(VALU_DEP_1)
	v_add_f64_e32 v[34:35], v[40:41], v[34:35]
	s_wait_dscnt 0x0
	v_add_f64_e32 v[34:35], v[92:93], v[34:35]
	s_delay_alu instid0(VALU_DEP_1) | instskip(SKIP_4) | instid1(VALU_DEP_1)
	v_add_f64_e32 v[34:35], v[94:95], v[34:35]
	ds_load_2addr_stride64_b64 v[38:41], v89 offset0:5 offset1:6
	ds_load_2addr_stride64_b64 v[92:95], v89 offset0:7 offset1:8
	s_wait_dscnt 0x1
	v_add_f64_e32 v[34:35], v[38:39], v[34:35]
	v_add_f64_e32 v[34:35], v[40:41], v[34:35]
	s_wait_dscnt 0x0
	s_delay_alu instid0(VALU_DEP_1) | instskip(NEXT) | instid1(VALU_DEP_1)
	v_add_f64_e32 v[34:35], v[92:93], v[34:35]
	v_add_f64_e32 v[34:35], v[94:95], v[34:35]
	ds_load_2addr_stride64_b64 v[38:41], v89 offset0:9 offset1:10
	ds_load_2addr_stride64_b64 v[92:95], v89 offset0:11 offset1:12
	s_wait_dscnt 0x1
	v_add_f64_e32 v[34:35], v[38:39], v[34:35]
	s_delay_alu instid0(VALU_DEP_1) | instskip(SKIP_1) | instid1(VALU_DEP_1)
	v_add_f64_e32 v[34:35], v[40:41], v[34:35]
	s_wait_dscnt 0x0
	v_add_f64_e32 v[34:35], v[92:93], v[34:35]
	ds_load_2addr_stride64_b64 v[38:41], v89 offset0:13 offset1:14
	ds_load_b64 v[92:93], v89 offset:7680
	v_add_f64_e32 v[34:35], v[94:95], v[34:35]
	s_wait_dscnt 0x1
	s_delay_alu instid0(VALU_DEP_1) | instskip(NEXT) | instid1(VALU_DEP_1)
	v_add_f64_e32 v[34:35], v[38:39], v[34:35]
	v_add_f64_e32 v[34:35], v[40:41], v[34:35]
	s_wait_dscnt 0x0
	s_delay_alu instid0(VALU_DEP_1) | instskip(SKIP_1) | instid1(SALU_CYCLE_1)
	v_add_f64_e32 v[38:39], v[92:93], v[34:35]
	s_or_b32 exec_lo, exec_lo, s85
	s_and_b32 vcc_lo, exec_lo, s84
	s_cbranch_vccnz .LBB42_1037
	s_branch .LBB42_1095
.LBB42_1036:                            ;   in Loop: Header=BB42_3 Depth=1
	s_mov_b32 s65, 0
                                        ; implicit-def: $vgpr38_vgpr39
	s_cbranch_execz .LBB42_1095
.LBB42_1037:                            ;   in Loop: Header=BB42_3 Depth=1
	v_dual_mov_b32 v2, v4 :: v_dual_mov_b32 v34, v78
	s_mov_b32 s84, 0
	s_branch .LBB42_1039
.LBB42_1038:                            ;   in Loop: Header=BB42_1039 Depth=2
	s_or_b32 exec_lo, exec_lo, s47
	v_add_nc_u32_e32 v34, 0x800, v34
	v_add_nc_u32_e32 v2, -4, v2
	s_add_co_i32 s84, s84, 4
	s_delay_alu instid0(SALU_CYCLE_1)
	s_cmp_lg_u32 s84, 64
	s_barrier_signal -1
	s_barrier_wait -1
	s_cbranch_scc0 .LBB42_1055
.LBB42_1039:                            ;   Parent Loop BB42_3 Depth=1
                                        ; =>  This Inner Loop Header: Depth=2
	s_delay_alu instid0(VALU_DEP_1) | instskip(SKIP_2) | instid1(SALU_CYCLE_1)
	v_cmp_eq_u32_e32 vcc_lo, 0, v2
	v_add_nc_u32_e32 v35, v83, v46
	s_and_b32 s85, s1, vcc_lo
	s_and_saveexec_b32 s47, s85
	s_cbranch_execz .LBB42_1041
; %bb.1040:                             ;   in Loop: Header=BB42_1039 Depth=2
	ds_load_b64 v[38:39], v35
	s_wait_dscnt 0x0
	v_mul_f64_e32 v[36:37], v[36:37], v[38:39]
	ds_store_b64 v3, v[36:37] offset:41472
.LBB42_1041:                            ;   in Loop: Header=BB42_1039 Depth=2
	s_or_b32 exec_lo, exec_lo, s47
	v_cmp_lt_u32_e32 vcc_lo, s84, v4
	s_wait_dscnt 0x0
	s_barrier_signal -1
	s_barrier_wait -1
	s_and_b32 s85, s1, vcc_lo
	s_delay_alu instid0(SALU_CYCLE_1)
	s_and_saveexec_b32 s47, s85
	s_cbranch_execz .LBB42_1043
; %bb.1042:                             ;   in Loop: Header=BB42_1039 Depth=2
	ds_load_b64 v[38:39], v34
	ds_load_b64 v[40:41], v3 offset:41472
	s_wait_dscnt 0x0
	v_fmac_f64_e32 v[36:37], v[38:39], v[40:41]
.LBB42_1043:                            ;   in Loop: Header=BB42_1039 Depth=2
	s_or_b32 exec_lo, exec_lo, s47
	s_or_b32 s85, s84, 1
	s_delay_alu instid0(SALU_CYCLE_1) | instskip(SKIP_3) | instid1(SALU_CYCLE_1)
	v_cmp_eq_u32_e32 vcc_lo, s85, v4
	s_barrier_signal -1
	s_barrier_wait -1
	s_and_b32 s86, s1, vcc_lo
	s_and_saveexec_b32 s47, s86
	s_cbranch_execz .LBB42_1045
; %bb.1044:                             ;   in Loop: Header=BB42_1039 Depth=2
	ds_load_b64 v[38:39], v35
	s_wait_dscnt 0x0
	v_mul_f64_e32 v[36:37], v[36:37], v[38:39]
	ds_store_b64 v3, v[36:37] offset:41472
.LBB42_1045:                            ;   in Loop: Header=BB42_1039 Depth=2
	s_or_b32 exec_lo, exec_lo, s47
	v_cmp_lt_u32_e32 vcc_lo, s85, v4
	s_wait_dscnt 0x0
	s_barrier_signal -1
	s_barrier_wait -1
	s_and_b32 s85, s1, vcc_lo
	s_delay_alu instid0(SALU_CYCLE_1)
	s_and_saveexec_b32 s47, s85
	s_cbranch_execz .LBB42_1047
; %bb.1046:                             ;   in Loop: Header=BB42_1039 Depth=2
	ds_load_b64 v[38:39], v34 offset:512
	ds_load_b64 v[40:41], v3 offset:41472
	s_wait_dscnt 0x0
	v_fmac_f64_e32 v[36:37], v[38:39], v[40:41]
.LBB42_1047:                            ;   in Loop: Header=BB42_1039 Depth=2
	s_or_b32 exec_lo, exec_lo, s47
	s_or_b32 s85, s84, 2
	s_delay_alu instid0(SALU_CYCLE_1) | instskip(SKIP_3) | instid1(SALU_CYCLE_1)
	v_cmp_eq_u32_e32 vcc_lo, s85, v4
	s_barrier_signal -1
	s_barrier_wait -1
	s_and_b32 s86, s1, vcc_lo
	s_and_saveexec_b32 s47, s86
	s_cbranch_execz .LBB42_1049
; %bb.1048:                             ;   in Loop: Header=BB42_1039 Depth=2
	ds_load_b64 v[38:39], v35
	s_wait_dscnt 0x0
	v_mul_f64_e32 v[36:37], v[36:37], v[38:39]
	ds_store_b64 v3, v[36:37] offset:41472
.LBB42_1049:                            ;   in Loop: Header=BB42_1039 Depth=2
	s_or_b32 exec_lo, exec_lo, s47
	v_cmp_lt_u32_e32 vcc_lo, s85, v4
	s_wait_dscnt 0x0
	s_barrier_signal -1
	s_barrier_wait -1
	s_and_b32 s85, s1, vcc_lo
	s_delay_alu instid0(SALU_CYCLE_1)
	s_and_saveexec_b32 s47, s85
	s_cbranch_execz .LBB42_1051
; %bb.1050:                             ;   in Loop: Header=BB42_1039 Depth=2
	ds_load_b64 v[38:39], v34 offset:1024
	ds_load_b64 v[40:41], v3 offset:41472
	s_wait_dscnt 0x0
	v_fmac_f64_e32 v[36:37], v[38:39], v[40:41]
.LBB42_1051:                            ;   in Loop: Header=BB42_1039 Depth=2
	s_or_b32 exec_lo, exec_lo, s47
	s_or_b32 s85, s84, 3
	s_delay_alu instid0(SALU_CYCLE_1) | instskip(SKIP_3) | instid1(SALU_CYCLE_1)
	v_cmp_eq_u32_e32 vcc_lo, s85, v4
	s_barrier_signal -1
	s_barrier_wait -1
	s_and_b32 s86, s1, vcc_lo
	s_and_saveexec_b32 s47, s86
	s_cbranch_execz .LBB42_1053
; %bb.1052:                             ;   in Loop: Header=BB42_1039 Depth=2
	ds_load_b64 v[38:39], v35
	s_wait_dscnt 0x0
	v_mul_f64_e32 v[36:37], v[36:37], v[38:39]
	ds_store_b64 v3, v[36:37] offset:41472
.LBB42_1053:                            ;   in Loop: Header=BB42_1039 Depth=2
	s_or_b32 exec_lo, exec_lo, s47
	v_cmp_lt_u32_e32 vcc_lo, s85, v4
	s_wait_dscnt 0x0
	s_barrier_signal -1
	s_barrier_wait -1
	s_and_b32 s85, s1, vcc_lo
	s_delay_alu instid0(SALU_CYCLE_1)
	s_and_saveexec_b32 s47, s85
	s_cbranch_execz .LBB42_1038
; %bb.1054:                             ;   in Loop: Header=BB42_1039 Depth=2
	ds_load_b64 v[38:39], v34 offset:1536
	ds_load_b64 v[40:41], v3 offset:41472
	s_wait_dscnt 0x0
	v_fmac_f64_e32 v[36:37], v[38:39], v[40:41]
	s_branch .LBB42_1038
.LBB42_1055:                            ;   in Loop: Header=BB42_3 Depth=1
	s_and_b32 vcc_lo, exec_lo, s90
	s_mov_b32 s84, -1
	s_cbranch_vccz .LBB42_1057
; %bb.1056:                             ;   in Loop: Header=BB42_3 Depth=1
	s_and_not1_b32 s47, s65, exec_lo
	s_and_b32 s65, s1, exec_lo
	s_mov_b32 s84, 0
	s_or_b32 s65, s47, s65
.LBB42_1057:                            ;   in Loop: Header=BB42_3 Depth=1
	s_and_not1_b32 vcc_lo, exec_lo, s84
	s_cbranch_vccnz .LBB42_1059
; %bb.1058:                             ;   in Loop: Header=BB42_3 Depth=1
	s_and_not1_b32 s47, s65, exec_lo
	v_readlane_b32 s65, v97, 8
	s_and_b32 s65, s65, exec_lo
	s_delay_alu instid0(SALU_CYCLE_1)
	s_or_b32 s65, s47, s65
.LBB42_1059:                            ;   in Loop: Header=BB42_3 Depth=1
	v_mov_b64_e32 v[34:35], v[12:13]
	s_and_saveexec_b32 s47, s65
	s_cbranch_execnz .LBB42_1096
	s_branch .LBB42_1097
.LBB42_1060:                            ;   in Loop: Header=BB42_3 Depth=1
	v_readlane_b32 s84, v97, 17
	s_and_saveexec_b32 s47, s84
	s_delay_alu instid0(SALU_CYCLE_1)
	s_xor_b32 s84, exec_lo, s47
	s_cbranch_execz .LBB42_1064
; %bb.1061:                             ;   in Loop: Header=BB42_3 Depth=1
	s_mov_b32 s47, exec_lo
	v_readlane_b32 s85, v96, 27
	s_and_b32 s85, s47, s85
	s_delay_alu instid0(SALU_CYCLE_1)
	s_mov_b32 exec_lo, s85
; %bb.1062:                             ;   in Loop: Header=BB42_3 Depth=1
	ds_store_b64 v76, v[24:25]
; %bb.1063:                             ;   in Loop: Header=BB42_3 Depth=1
	s_or_b32 exec_lo, exec_lo, s47
.LBB42_1064:                            ;   in Loop: Header=BB42_3 Depth=1
	s_and_not1_saveexec_b32 s84, s84
	s_cbranch_execz .LBB42_1066
; %bb.1065:                             ;   in Loop: Header=BB42_3 Depth=1
	v_lshl_add_u64 v[36:37], v[14:15], 3, s[82:83]
	global_load_b64 v[36:37], v[36:37], off
	s_wait_loadcnt 0x0
	v_div_scale_f64 v[38:39], null, v[36:37], v[36:37], 1.0
	s_delay_alu instid0(VALU_DEP_1) | instskip(SKIP_1) | instid1(TRANS32_DEP_1)
	v_rcp_f64_e32 v[40:41], v[38:39]
	v_nop
	v_fma_f64 v[92:93], -v[38:39], v[40:41], 1.0
	s_delay_alu instid0(VALU_DEP_1) | instskip(NEXT) | instid1(VALU_DEP_1)
	v_fmac_f64_e32 v[40:41], v[40:41], v[92:93]
	v_fma_f64 v[92:93], -v[38:39], v[40:41], 1.0
	s_delay_alu instid0(VALU_DEP_1) | instskip(SKIP_1) | instid1(VALU_DEP_1)
	v_fmac_f64_e32 v[40:41], v[40:41], v[92:93]
	v_div_scale_f64 v[92:93], vcc_lo, 1.0, v[36:37], 1.0
	v_mul_f64_e32 v[94:95], v[92:93], v[40:41]
	s_delay_alu instid0(VALU_DEP_1) | instskip(NEXT) | instid1(VALU_DEP_1)
	v_fma_f64 v[38:39], -v[38:39], v[94:95], v[92:93]
	v_div_fmas_f64 v[38:39], v[38:39], v[40:41], v[94:95]
	s_delay_alu instid0(VALU_DEP_1)
	v_div_fixup_f64 v[36:37], v[38:39], v[36:37], 1.0
	ds_store_b64 v76, v[36:37]
.LBB42_1066:                            ;   in Loop: Header=BB42_3 Depth=1
	s_or_b32 exec_lo, exec_lo, s84
	s_and_not1_saveexec_b32 s65, s65
	s_cbranch_execz .LBB42_17
.LBB42_1067:                            ;   in Loop: Header=BB42_3 Depth=1
	v_lshl_add_u64 v[36:37], v[14:15], 3, s[82:83]
	global_load_b64 v[36:37], v[36:37], off
	s_wait_loadcnt 0x0
	v_xor_b32_e32 v37, 0x80000000, v37
	ds_store_b64 v76, v[36:37]
	s_or_b32 exec_lo, exec_lo, s65
	s_and_saveexec_b32 s47, s7
	s_delay_alu instid0(SALU_CYCLE_1)
	s_xor_b32 s65, exec_lo, s47
	s_cbranch_execz .LBB42_18
.LBB42_1068:                            ;   in Loop: Header=BB42_3 Depth=1
	v_readlane_b32 s84, v97, 19
	s_and_saveexec_b32 s47, s84
	s_delay_alu instid0(SALU_CYCLE_1)
	s_xor_b32 s84, exec_lo, s47
	s_cbranch_execz .LBB42_1072
; %bb.1069:                             ;   in Loop: Header=BB42_3 Depth=1
	s_mov_b32 s47, exec_lo
	v_readlane_b32 s85, v96, 28
	s_and_b32 s85, s47, s85
	s_delay_alu instid0(SALU_CYCLE_1)
	s_mov_b32 exec_lo, s85
; %bb.1070:                             ;   in Loop: Header=BB42_3 Depth=1
	ds_store_b64 v77, v[24:25]
; %bb.1071:                             ;   in Loop: Header=BB42_3 Depth=1
	s_or_b32 exec_lo, exec_lo, s47
.LBB42_1072:                            ;   in Loop: Header=BB42_3 Depth=1
	s_and_not1_saveexec_b32 s84, s84
	s_cbranch_execz .LBB42_1074
; %bb.1073:                             ;   in Loop: Header=BB42_3 Depth=1
	v_lshl_add_u64 v[36:37], v[16:17], 3, s[82:83]
	global_load_b64 v[36:37], v[36:37], off
	s_wait_loadcnt 0x0
	v_div_scale_f64 v[38:39], null, v[36:37], v[36:37], 1.0
	s_delay_alu instid0(VALU_DEP_1) | instskip(SKIP_1) | instid1(TRANS32_DEP_1)
	v_rcp_f64_e32 v[40:41], v[38:39]
	v_nop
	v_fma_f64 v[92:93], -v[38:39], v[40:41], 1.0
	s_delay_alu instid0(VALU_DEP_1) | instskip(NEXT) | instid1(VALU_DEP_1)
	v_fmac_f64_e32 v[40:41], v[40:41], v[92:93]
	v_fma_f64 v[92:93], -v[38:39], v[40:41], 1.0
	s_delay_alu instid0(VALU_DEP_1) | instskip(SKIP_1) | instid1(VALU_DEP_1)
	v_fmac_f64_e32 v[40:41], v[40:41], v[92:93]
	v_div_scale_f64 v[92:93], vcc_lo, 1.0, v[36:37], 1.0
	v_mul_f64_e32 v[94:95], v[92:93], v[40:41]
	s_delay_alu instid0(VALU_DEP_1) | instskip(NEXT) | instid1(VALU_DEP_1)
	v_fma_f64 v[38:39], -v[38:39], v[94:95], v[92:93]
	v_div_fmas_f64 v[38:39], v[38:39], v[40:41], v[94:95]
	s_delay_alu instid0(VALU_DEP_1)
	v_div_fixup_f64 v[36:37], v[38:39], v[36:37], 1.0
	ds_store_b64 v77, v[36:37]
.LBB42_1074:                            ;   in Loop: Header=BB42_3 Depth=1
	s_or_b32 exec_lo, exec_lo, s84
	s_and_not1_saveexec_b32 s65, s65
	s_cbranch_execz .LBB42_19
.LBB42_1075:                            ;   in Loop: Header=BB42_3 Depth=1
	v_lshl_add_u64 v[36:37], v[16:17], 3, s[82:83]
	global_load_b64 v[36:37], v[36:37], off
	s_wait_loadcnt 0x0
	v_xor_b32_e32 v37, 0x80000000, v37
	ds_store_b64 v77, v[36:37]
	s_or_b32 exec_lo, exec_lo, s65
	s_and_saveexec_b32 s47, s8
	s_delay_alu instid0(SALU_CYCLE_1)
	s_xor_b32 s65, exec_lo, s47
	s_cbranch_execz .LBB42_20
.LBB42_1076:                            ;   in Loop: Header=BB42_3 Depth=1
	v_readlane_b32 s84, v97, 21
	s_and_saveexec_b32 s47, s84
	s_delay_alu instid0(SALU_CYCLE_1)
	s_xor_b32 s84, exec_lo, s47
	s_cbranch_execz .LBB42_1080
; %bb.1077:                             ;   in Loop: Header=BB42_3 Depth=1
	s_mov_b32 s47, exec_lo
	v_readlane_b32 s85, v96, 29
	s_and_b32 s85, s47, s85
	s_delay_alu instid0(SALU_CYCLE_1)
	s_mov_b32 exec_lo, s85
; %bb.1078:                             ;   in Loop: Header=BB42_3 Depth=1
	ds_store_b64 v80, v[24:25]
; %bb.1079:                             ;   in Loop: Header=BB42_3 Depth=1
	s_or_b32 exec_lo, exec_lo, s47
.LBB42_1080:                            ;   in Loop: Header=BB42_3 Depth=1
	s_and_not1_saveexec_b32 s84, s84
	s_cbranch_execz .LBB42_1082
; %bb.1081:                             ;   in Loop: Header=BB42_3 Depth=1
	v_lshl_add_u64 v[36:37], v[18:19], 3, s[82:83]
	global_load_b64 v[36:37], v[36:37], off
	s_wait_loadcnt 0x0
	v_div_scale_f64 v[38:39], null, v[36:37], v[36:37], 1.0
	s_delay_alu instid0(VALU_DEP_1) | instskip(SKIP_1) | instid1(TRANS32_DEP_1)
	v_rcp_f64_e32 v[40:41], v[38:39]
	v_nop
	v_fma_f64 v[92:93], -v[38:39], v[40:41], 1.0
	s_delay_alu instid0(VALU_DEP_1) | instskip(NEXT) | instid1(VALU_DEP_1)
	v_fmac_f64_e32 v[40:41], v[40:41], v[92:93]
	v_fma_f64 v[92:93], -v[38:39], v[40:41], 1.0
	s_delay_alu instid0(VALU_DEP_1) | instskip(SKIP_1) | instid1(VALU_DEP_1)
	v_fmac_f64_e32 v[40:41], v[40:41], v[92:93]
	v_div_scale_f64 v[92:93], vcc_lo, 1.0, v[36:37], 1.0
	v_mul_f64_e32 v[94:95], v[92:93], v[40:41]
	s_delay_alu instid0(VALU_DEP_1) | instskip(NEXT) | instid1(VALU_DEP_1)
	v_fma_f64 v[38:39], -v[38:39], v[94:95], v[92:93]
	v_div_fmas_f64 v[38:39], v[38:39], v[40:41], v[94:95]
	s_delay_alu instid0(VALU_DEP_1)
	v_div_fixup_f64 v[36:37], v[38:39], v[36:37], 1.0
	ds_store_b64 v80, v[36:37]
.LBB42_1082:                            ;   in Loop: Header=BB42_3 Depth=1
	s_or_b32 exec_lo, exec_lo, s84
	s_and_not1_saveexec_b32 s65, s65
	s_cbranch_execz .LBB42_21
.LBB42_1083:                            ;   in Loop: Header=BB42_3 Depth=1
	v_lshl_add_u64 v[36:37], v[18:19], 3, s[82:83]
	global_load_b64 v[36:37], v[36:37], off
	s_wait_loadcnt 0x0
	v_xor_b32_e32 v37, 0x80000000, v37
	ds_store_b64 v80, v[36:37]
	s_or_b32 exec_lo, exec_lo, s65
	s_and_saveexec_b32 s47, s9
	s_delay_alu instid0(SALU_CYCLE_1)
	s_xor_b32 s65, exec_lo, s47
	s_cbranch_execz .LBB42_22
.LBB42_1084:                            ;   in Loop: Header=BB42_3 Depth=1
	v_readlane_b32 s84, v97, 23
	s_and_saveexec_b32 s47, s84
	s_delay_alu instid0(SALU_CYCLE_1)
	s_xor_b32 s84, exec_lo, s47
	s_cbranch_execz .LBB42_1088
; %bb.1085:                             ;   in Loop: Header=BB42_3 Depth=1
	s_mov_b32 s47, exec_lo
	v_readlane_b32 s85, v96, 30
	s_and_b32 s85, s47, s85
	s_delay_alu instid0(SALU_CYCLE_1)
	s_mov_b32 exec_lo, s85
; %bb.1086:                             ;   in Loop: Header=BB42_3 Depth=1
	ds_store_b64 v81, v[24:25]
; %bb.1087:                             ;   in Loop: Header=BB42_3 Depth=1
	s_or_b32 exec_lo, exec_lo, s47
.LBB42_1088:                            ;   in Loop: Header=BB42_3 Depth=1
	s_and_not1_saveexec_b32 s84, s84
	s_cbranch_execz .LBB42_1090
; %bb.1089:                             ;   in Loop: Header=BB42_3 Depth=1
	v_lshl_add_u64 v[36:37], v[20:21], 3, s[82:83]
	global_load_b64 v[36:37], v[36:37], off
	s_wait_loadcnt 0x0
	v_div_scale_f64 v[38:39], null, v[36:37], v[36:37], 1.0
	s_delay_alu instid0(VALU_DEP_1) | instskip(SKIP_1) | instid1(TRANS32_DEP_1)
	v_rcp_f64_e32 v[40:41], v[38:39]
	v_nop
	v_fma_f64 v[92:93], -v[38:39], v[40:41], 1.0
	s_delay_alu instid0(VALU_DEP_1) | instskip(NEXT) | instid1(VALU_DEP_1)
	v_fmac_f64_e32 v[40:41], v[40:41], v[92:93]
	v_fma_f64 v[92:93], -v[38:39], v[40:41], 1.0
	s_delay_alu instid0(VALU_DEP_1) | instskip(SKIP_1) | instid1(VALU_DEP_1)
	v_fmac_f64_e32 v[40:41], v[40:41], v[92:93]
	v_div_scale_f64 v[92:93], vcc_lo, 1.0, v[36:37], 1.0
	v_mul_f64_e32 v[94:95], v[92:93], v[40:41]
	s_delay_alu instid0(VALU_DEP_1) | instskip(NEXT) | instid1(VALU_DEP_1)
	v_fma_f64 v[38:39], -v[38:39], v[94:95], v[92:93]
	v_div_fmas_f64 v[38:39], v[38:39], v[40:41], v[94:95]
	s_delay_alu instid0(VALU_DEP_1)
	v_div_fixup_f64 v[36:37], v[38:39], v[36:37], 1.0
	ds_store_b64 v81, v[36:37]
.LBB42_1090:                            ;   in Loop: Header=BB42_3 Depth=1
	s_or_b32 exec_lo, exec_lo, s84
	s_and_not1_saveexec_b32 s65, s65
	s_cbranch_execnz .LBB42_23
	s_branch .LBB42_24
.LBB42_1091:                            ;   in Loop: Header=BB42_3 Depth=1
	ds_load_b64 v[34:35], v90
	ds_load_b64 v[38:39], v84
	s_wait_dscnt 0x0
	v_fma_f64 v[34:35], v[34:35], v[38:39], 0
	s_or_b32 exec_lo, exec_lo, s47
	s_and_saveexec_b32 s47, s7
	s_cbranch_execz .LBB42_1031
.LBB42_1092:                            ;   in Loop: Header=BB42_3 Depth=1
	ds_load_b64 v[38:39], v90 offset:8192
	ds_load_b64 v[40:41], v84 offset:128
	s_wait_dscnt 0x0
	v_fmac_f64_e32 v[34:35], v[38:39], v[40:41]
	s_or_b32 exec_lo, exec_lo, s47
	s_and_saveexec_b32 s47, s8
	s_cbranch_execz .LBB42_1032
.LBB42_1093:                            ;   in Loop: Header=BB42_3 Depth=1
	ds_load_b64 v[38:39], v90 offset:16384
	ds_load_b64 v[40:41], v84 offset:256
	s_wait_dscnt 0x0
	v_fmac_f64_e32 v[34:35], v[38:39], v[40:41]
	s_or_b32 exec_lo, exec_lo, s47
	s_and_saveexec_b32 s47, s9
	s_cbranch_execnz .LBB42_1033
	s_branch .LBB42_1034
.LBB42_1094:                            ;   in Loop: Header=BB42_3 Depth=1
	s_or_b32 exec_lo, exec_lo, s85
	s_delay_alu instid0(SALU_CYCLE_1)
	s_and_b32 vcc_lo, exec_lo, s84
	s_cbranch_vccnz .LBB42_1037
.LBB42_1095:                            ;   in Loop: Header=BB42_3 Depth=1
	s_delay_alu instid0(VALU_DEP_1)
	v_mov_b64_e32 v[36:37], v[38:39]
	v_mov_b64_e32 v[34:35], v[22:23]
	s_and_saveexec_b32 s47, s65
	s_cbranch_execz .LBB42_1097
.LBB42_1096:                            ;   in Loop: Header=BB42_3 Depth=1
	s_delay_alu instid0(VALU_DEP_1)
	v_lshl_add_u64 v[34:35], v[34:35], 3, s[82:83]
	global_store_b64 v[34:35], v[36:37], off
.LBB42_1097:                            ;   in Loop: Header=BB42_3 Depth=1
	s_wait_xcnt 0x0
	s_or_b32 exec_lo, exec_lo, s47
	global_wb scope:SCOPE_DEV
	s_wait_storecnt 0x0
	global_inv scope:SCOPE_DEV
	s_wait_loadcnt 0x0
	s_barrier_signal -1
	s_barrier_wait -1
	s_and_saveexec_b32 s47, s59
	s_cbranch_execz .LBB42_2
; %bb.1098:                             ;   in Loop: Header=BB42_3 Depth=1
	s_lshl_b64 s[82:83], s[80:81], 2
	s_delay_alu instid0(SALU_CYCLE_1)
	s_add_nc_u64 s[82:83], s[78:79], s[82:83]
	global_load_b32 v2, v3, s[82:83]
	s_wait_loadcnt 0x0
	v_add_nc_u32_e32 v2, 1, v2
	global_store_b32 v3, v2, s[82:83]
	s_branch .LBB42_2
.LBB42_1099:                            ;   in Loop: Header=BB42_3 Depth=1
	ds_load_b64 v[38:39], v51 offset:31680
	ds_load_b64 v[40:41], v50 offset:32744
	s_wait_dscnt 0x0
	v_fmac_f64_e32 v[36:37], v[38:39], v[40:41]
	s_or_b32 exec_lo, exec_lo, s47
	s_and_saveexec_b32 s47, s17
	s_cbranch_execz .LBB42_88
.LBB42_1100:                            ;   in Loop: Header=BB42_3 Depth=1
	ds_load_b64 v[38:39], v51 offset:32192
	ds_load_b64 v[40:41], v50 offset:32752
	s_wait_dscnt 0x0
	v_fmac_f64_e32 v[36:37], v[38:39], v[40:41]
	s_or_b32 exec_lo, exec_lo, s47
	s_and_saveexec_b32 s47, s0
	s_cbranch_execnz .LBB42_89
	s_branch .LBB42_90
.LBB42_1101:                            ;   in Loop: Header=BB42_3 Depth=1
	ds_load_b64 v[38:39], v55 offset:29568
	ds_load_b64 v[40:41], v54 offset:32712
	s_wait_dscnt 0x0
	v_fmac_f64_e32 v[36:37], v[38:39], v[40:41]
	s_or_b32 exec_lo, exec_lo, s47
	s_and_saveexec_b32 s47, s19
	s_cbranch_execz .LBB42_130
.LBB42_1102:                            ;   in Loop: Header=BB42_3 Depth=1
	ds_load_b64 v[38:39], v55 offset:30080
	ds_load_b64 v[40:41], v54 offset:32720
	s_wait_dscnt 0x0
	v_fmac_f64_e32 v[36:37], v[38:39], v[40:41]
	s_or_b32 exec_lo, exec_lo, s47
	s_and_saveexec_b32 s47, s20
	s_cbranch_execz .LBB42_131
.LBB42_1103:                            ;   in Loop: Header=BB42_3 Depth=1
	ds_load_b64 v[38:39], v55 offset:30592
	ds_load_b64 v[40:41], v54 offset:32728
	s_wait_dscnt 0x0
	v_fmac_f64_e32 v[36:37], v[38:39], v[40:41]
	s_or_b32 exec_lo, exec_lo, s47
	s_and_saveexec_b32 s47, s21
	s_cbranch_execz .LBB42_132
.LBB42_1104:                            ;   in Loop: Header=BB42_3 Depth=1
	ds_load_b64 v[38:39], v55 offset:31104
	ds_load_b64 v[40:41], v54 offset:32736
	s_wait_dscnt 0x0
	v_fmac_f64_e32 v[36:37], v[38:39], v[40:41]
	s_or_b32 exec_lo, exec_lo, s47
	s_and_saveexec_b32 s47, s22
	s_cbranch_execz .LBB42_133
.LBB42_1105:                            ;   in Loop: Header=BB42_3 Depth=1
	ds_load_b64 v[38:39], v55 offset:31616
	ds_load_b64 v[40:41], v54 offset:32744
	s_wait_dscnt 0x0
	v_fmac_f64_e32 v[36:37], v[38:39], v[40:41]
	s_or_b32 exec_lo, exec_lo, s47
	s_and_saveexec_b32 s47, s2
	s_cbranch_execz .LBB42_134
.LBB42_1106:                            ;   in Loop: Header=BB42_3 Depth=1
	ds_load_b64 v[38:39], v55 offset:32128
	ds_load_b64 v[40:41], v54 offset:32752
	s_wait_dscnt 0x0
	v_fmac_f64_e32 v[36:37], v[38:39], v[40:41]
	s_or_b32 exec_lo, exec_lo, s47
	s_and_saveexec_b32 s47, s17
	s_cbranch_execnz .LBB42_135
	s_branch .LBB42_136
.LBB42_1107:                            ;   in Loop: Header=BB42_3 Depth=1
	ds_load_b64 v[38:39], v51 offset:27520
	ds_load_b64 v[40:41], v50 offset:28584
	s_wait_dscnt 0x0
	v_fmac_f64_e32 v[36:37], v[38:39], v[40:41]
	s_or_b32 exec_lo, exec_lo, s47
	s_and_saveexec_b32 s47, s17
	s_cbranch_execz .LBB42_192
.LBB42_1108:                            ;   in Loop: Header=BB42_3 Depth=1
	ds_load_b64 v[38:39], v51 offset:28032
	ds_load_b64 v[40:41], v50 offset:28592
	s_wait_dscnt 0x0
	v_fmac_f64_e32 v[36:37], v[38:39], v[40:41]
	s_or_b32 exec_lo, exec_lo, s47
	s_and_saveexec_b32 s47, s0
	s_cbranch_execnz .LBB42_193
	s_branch .LBB42_194
.LBB42_1109:                            ;   in Loop: Header=BB42_3 Depth=1
	ds_load_b64 v[38:39], v59 offset:30464
	ds_load_b64 v[40:41], v58 offset:32728
	s_wait_dscnt 0x0
	v_fmac_f64_e32 v[36:37], v[38:39], v[40:41]
	s_or_b32 exec_lo, exec_lo, s47
	s_and_saveexec_b32 s47, s3
	s_cbranch_execz .LBB42_254
.LBB42_1110:                            ;   in Loop: Header=BB42_3 Depth=1
	ds_load_b64 v[38:39], v59 offset:30976
	ds_load_b64 v[40:41], v58 offset:32736
	s_wait_dscnt 0x0
	v_fmac_f64_e32 v[36:37], v[38:39], v[40:41]
	s_or_b32 exec_lo, exec_lo, s47
	s_and_saveexec_b32 s47, s19
	s_cbranch_execz .LBB42_255
.LBB42_1111:                            ;   in Loop: Header=BB42_3 Depth=1
	ds_load_b64 v[38:39], v59 offset:31488
	ds_load_b64 v[40:41], v58 offset:32744
	s_wait_dscnt 0x0
	v_fmac_f64_e32 v[36:37], v[38:39], v[40:41]
	s_or_b32 exec_lo, exec_lo, s47
	s_and_saveexec_b32 s47, s21
	s_cbranch_execz .LBB42_256
.LBB42_1112:                            ;   in Loop: Header=BB42_3 Depth=1
	ds_load_b64 v[38:39], v59 offset:32000
	ds_load_b64 v[40:41], v58 offset:32752
	s_wait_dscnt 0x0
	v_fmac_f64_e32 v[36:37], v[38:39], v[40:41]
	s_or_b32 exec_lo, exec_lo, s47
	s_and_saveexec_b32 s47, s2
	s_cbranch_execnz .LBB42_257
	s_branch .LBB42_258
.LBB42_1113:                            ;   in Loop: Header=BB42_3 Depth=1
	ds_load_b64 v[38:39], v51 offset:23360
	ds_load_b64 v[40:41], v50 offset:24424
	s_wait_dscnt 0x0
	v_fmac_f64_e32 v[36:37], v[38:39], v[40:41]
	s_or_b32 exec_lo, exec_lo, s47
	s_and_saveexec_b32 s47, s17
	s_cbranch_execz .LBB42_346
.LBB42_1114:                            ;   in Loop: Header=BB42_3 Depth=1
	ds_load_b64 v[38:39], v51 offset:23872
	ds_load_b64 v[40:41], v50 offset:24432
	s_wait_dscnt 0x0
	v_fmac_f64_e32 v[36:37], v[38:39], v[40:41]
	s_or_b32 exec_lo, exec_lo, s47
	s_and_saveexec_b32 s47, s0
	s_cbranch_execnz .LBB42_347
	s_branch .LBB42_348
.LBB42_1115:                            ;   in Loop: Header=BB42_3 Depth=1
	ds_load_b64 v[38:39], v55 offset:21248
	ds_load_b64 v[40:41], v54 offset:24392
	s_wait_dscnt 0x0
	v_fmac_f64_e32 v[36:37], v[38:39], v[40:41]
	s_or_b32 exec_lo, exec_lo, s47
	s_and_saveexec_b32 s47, s19
	s_cbranch_execz .LBB42_388
.LBB42_1116:                            ;   in Loop: Header=BB42_3 Depth=1
	ds_load_b64 v[38:39], v55 offset:21760
	ds_load_b64 v[40:41], v54 offset:24400
	s_wait_dscnt 0x0
	v_fmac_f64_e32 v[36:37], v[38:39], v[40:41]
	s_or_b32 exec_lo, exec_lo, s47
	s_and_saveexec_b32 s47, s20
	s_cbranch_execz .LBB42_389
.LBB42_1117:                            ;   in Loop: Header=BB42_3 Depth=1
	ds_load_b64 v[38:39], v55 offset:22272
	ds_load_b64 v[40:41], v54 offset:24408
	s_wait_dscnt 0x0
	v_fmac_f64_e32 v[36:37], v[38:39], v[40:41]
	s_or_b32 exec_lo, exec_lo, s47
	s_and_saveexec_b32 s47, s21
	s_cbranch_execz .LBB42_390
.LBB42_1118:                            ;   in Loop: Header=BB42_3 Depth=1
	ds_load_b64 v[38:39], v55 offset:22784
	ds_load_b64 v[40:41], v54 offset:24416
	s_wait_dscnt 0x0
	v_fmac_f64_e32 v[36:37], v[38:39], v[40:41]
	s_or_b32 exec_lo, exec_lo, s47
	s_and_saveexec_b32 s47, s22
	s_cbranch_execz .LBB42_391
.LBB42_1119:                            ;   in Loop: Header=BB42_3 Depth=1
	ds_load_b64 v[38:39], v55 offset:23296
	ds_load_b64 v[40:41], v54 offset:24424
	s_wait_dscnt 0x0
	v_fmac_f64_e32 v[36:37], v[38:39], v[40:41]
	s_or_b32 exec_lo, exec_lo, s47
	s_and_saveexec_b32 s47, s2
	s_cbranch_execz .LBB42_392
.LBB42_1120:                            ;   in Loop: Header=BB42_3 Depth=1
	ds_load_b64 v[38:39], v55 offset:23808
	ds_load_b64 v[40:41], v54 offset:24432
	s_wait_dscnt 0x0
	v_fmac_f64_e32 v[36:37], v[38:39], v[40:41]
	s_or_b32 exec_lo, exec_lo, s47
	s_and_saveexec_b32 s47, s17
	s_cbranch_execnz .LBB42_393
	s_branch .LBB42_394
.LBB42_1121:                            ;   in Loop: Header=BB42_3 Depth=1
	ds_load_b64 v[38:39], v51 offset:19200
	ds_load_b64 v[40:41], v50 offset:20264
	s_wait_dscnt 0x0
	v_fmac_f64_e32 v[36:37], v[38:39], v[40:41]
	s_or_b32 exec_lo, exec_lo, s47
	s_and_saveexec_b32 s47, s17
	s_cbranch_execz .LBB42_450
.LBB42_1122:                            ;   in Loop: Header=BB42_3 Depth=1
	ds_load_b64 v[38:39], v51 offset:19712
	ds_load_b64 v[40:41], v50 offset:20272
	s_wait_dscnt 0x0
	v_fmac_f64_e32 v[36:37], v[38:39], v[40:41]
	s_or_b32 exec_lo, exec_lo, s47
	s_and_saveexec_b32 s47, s0
	s_cbranch_execnz .LBB42_451
	s_branch .LBB42_452
.LBB42_1123:                            ;   in Loop: Header=BB42_3 Depth=1
	ds_load_b64 v[38:39], v62 offset:31232
	ds_load_b64 v[40:41], v63 offset:32744
	s_wait_dscnt 0x0
	v_fmac_f64_e32 v[36:37], v[38:39], v[40:41]
	s_or_b32 exec_lo, exec_lo, s47
	s_and_saveexec_b32 s47, s3
	s_cbranch_execz .LBB42_548
.LBB42_1124:                            ;   in Loop: Header=BB42_3 Depth=1
	ds_load_b64 v[38:39], v62 offset:31744
	ds_load_b64 v[40:41], v63 offset:32752
	s_wait_dscnt 0x0
	v_fmac_f64_e32 v[36:37], v[38:39], v[40:41]
	s_or_b32 exec_lo, exec_lo, s47
	s_and_saveexec_b32 s47, s21
	s_delay_alu instid0(SALU_CYCLE_1)
	s_xor_b32 s47, exec_lo, s47
	s_cbranch_execnz .LBB42_549
	s_branch .LBB42_550
.LBB42_1125:                            ;   in Loop: Header=BB42_3 Depth=1
	ds_load_b64 v[38:39], v51 offset:15040
	ds_load_b64 v[40:41], v50 offset:16104
	s_wait_dscnt 0x0
	v_fmac_f64_e32 v[36:37], v[38:39], v[40:41]
	s_or_b32 exec_lo, exec_lo, s47
	s_and_saveexec_b32 s47, s17
	s_cbranch_execz .LBB42_594
.LBB42_1126:                            ;   in Loop: Header=BB42_3 Depth=1
	ds_load_b64 v[38:39], v51 offset:15552
	ds_load_b64 v[40:41], v50 offset:16112
	s_wait_dscnt 0x0
	v_fmac_f64_e32 v[36:37], v[38:39], v[40:41]
	s_or_b32 exec_lo, exec_lo, s47
	s_and_saveexec_b32 s47, s0
	s_cbranch_execnz .LBB42_595
	s_branch .LBB42_596
.LBB42_1127:                            ;   in Loop: Header=BB42_3 Depth=1
	ds_load_b64 v[38:39], v55 offset:12928
	ds_load_b64 v[40:41], v54 offset:16072
	s_wait_dscnt 0x0
	v_fmac_f64_e32 v[36:37], v[38:39], v[40:41]
	s_or_b32 exec_lo, exec_lo, s47
	s_and_saveexec_b32 s47, s19
	s_cbranch_execz .LBB42_636
.LBB42_1128:                            ;   in Loop: Header=BB42_3 Depth=1
	ds_load_b64 v[38:39], v55 offset:13440
	ds_load_b64 v[40:41], v54 offset:16080
	s_wait_dscnt 0x0
	v_fmac_f64_e32 v[36:37], v[38:39], v[40:41]
	s_or_b32 exec_lo, exec_lo, s47
	s_and_saveexec_b32 s47, s20
	s_cbranch_execz .LBB42_637
.LBB42_1129:                            ;   in Loop: Header=BB42_3 Depth=1
	ds_load_b64 v[38:39], v55 offset:13952
	ds_load_b64 v[40:41], v54 offset:16088
	s_wait_dscnt 0x0
	v_fmac_f64_e32 v[36:37], v[38:39], v[40:41]
	s_or_b32 exec_lo, exec_lo, s47
	s_and_saveexec_b32 s47, s21
	s_cbranch_execz .LBB42_638
.LBB42_1130:                            ;   in Loop: Header=BB42_3 Depth=1
	ds_load_b64 v[38:39], v55 offset:14464
	ds_load_b64 v[40:41], v54 offset:16096
	s_wait_dscnt 0x0
	v_fmac_f64_e32 v[36:37], v[38:39], v[40:41]
	s_or_b32 exec_lo, exec_lo, s47
	s_and_saveexec_b32 s47, s22
	s_cbranch_execz .LBB42_639
.LBB42_1131:                            ;   in Loop: Header=BB42_3 Depth=1
	ds_load_b64 v[38:39], v55 offset:14976
	ds_load_b64 v[40:41], v54 offset:16104
	s_wait_dscnt 0x0
	v_fmac_f64_e32 v[36:37], v[38:39], v[40:41]
	s_or_b32 exec_lo, exec_lo, s47
	s_and_saveexec_b32 s47, s2
	s_cbranch_execz .LBB42_640
.LBB42_1132:                            ;   in Loop: Header=BB42_3 Depth=1
	ds_load_b64 v[38:39], v55 offset:15488
	ds_load_b64 v[40:41], v54 offset:16112
	s_wait_dscnt 0x0
	v_fmac_f64_e32 v[36:37], v[38:39], v[40:41]
	s_or_b32 exec_lo, exec_lo, s47
	s_and_saveexec_b32 s47, s17
	s_cbranch_execnz .LBB42_641
	s_branch .LBB42_642
.LBB42_1133:                            ;   in Loop: Header=BB42_3 Depth=1
	ds_load_b64 v[38:39], v51 offset:10880
	ds_load_b64 v[40:41], v50 offset:11944
	s_wait_dscnt 0x0
	v_fmac_f64_e32 v[36:37], v[38:39], v[40:41]
	s_or_b32 exec_lo, exec_lo, s47
	s_and_saveexec_b32 s47, s17
	s_cbranch_execz .LBB42_698
.LBB42_1134:                            ;   in Loop: Header=BB42_3 Depth=1
	ds_load_b64 v[38:39], v51 offset:11392
	ds_load_b64 v[40:41], v50 offset:11952
	s_wait_dscnt 0x0
	v_fmac_f64_e32 v[36:37], v[38:39], v[40:41]
	s_or_b32 exec_lo, exec_lo, s47
	s_and_saveexec_b32 s47, s0
	s_cbranch_execnz .LBB42_699
	s_branch .LBB42_700
.LBB42_1135:                            ;   in Loop: Header=BB42_3 Depth=1
	ds_load_b64 v[38:39], v59 offset:13824
	ds_load_b64 v[40:41], v58 offset:16088
	s_wait_dscnt 0x0
	v_fmac_f64_e32 v[36:37], v[38:39], v[40:41]
	s_or_b32 exec_lo, exec_lo, s47
	s_and_saveexec_b32 s47, s3
	s_cbranch_execz .LBB42_760
.LBB42_1136:                            ;   in Loop: Header=BB42_3 Depth=1
	ds_load_b64 v[38:39], v59 offset:14336
	ds_load_b64 v[40:41], v58 offset:16096
	s_wait_dscnt 0x0
	v_fmac_f64_e32 v[36:37], v[38:39], v[40:41]
	s_or_b32 exec_lo, exec_lo, s47
	s_and_saveexec_b32 s47, s19
	s_cbranch_execz .LBB42_761
.LBB42_1137:                            ;   in Loop: Header=BB42_3 Depth=1
	ds_load_b64 v[38:39], v59 offset:14848
	ds_load_b64 v[40:41], v58 offset:16104
	s_wait_dscnt 0x0
	v_fmac_f64_e32 v[36:37], v[38:39], v[40:41]
	s_or_b32 exec_lo, exec_lo, s47
	s_and_saveexec_b32 s47, s21
	s_cbranch_execz .LBB42_762
.LBB42_1138:                            ;   in Loop: Header=BB42_3 Depth=1
	ds_load_b64 v[38:39], v59 offset:15360
	ds_load_b64 v[40:41], v58 offset:16112
	s_wait_dscnt 0x0
	v_fmac_f64_e32 v[36:37], v[38:39], v[40:41]
	s_or_b32 exec_lo, exec_lo, s47
	s_and_saveexec_b32 s47, s2
	s_cbranch_execnz .LBB42_763
	s_branch .LBB42_764
.LBB42_1139:                            ;   in Loop: Header=BB42_3 Depth=1
	ds_load_b64 v[38:39], v51 offset:6720
	ds_load_b64 v[40:41], v50 offset:7784
	s_wait_dscnt 0x0
	v_fmac_f64_e32 v[36:37], v[38:39], v[40:41]
	s_or_b32 exec_lo, exec_lo, s47
	s_and_saveexec_b32 s47, s17
	s_cbranch_execz .LBB42_852
.LBB42_1140:                            ;   in Loop: Header=BB42_3 Depth=1
	ds_load_b64 v[38:39], v51 offset:7232
	ds_load_b64 v[40:41], v50 offset:7792
	s_wait_dscnt 0x0
	v_fmac_f64_e32 v[36:37], v[38:39], v[40:41]
	s_or_b32 exec_lo, exec_lo, s47
	s_and_saveexec_b32 s47, s0
	s_cbranch_execnz .LBB42_853
	s_branch .LBB42_854
.LBB42_1141:                            ;   in Loop: Header=BB42_3 Depth=1
	ds_load_b64 v[38:39], v55 offset:4608
	ds_load_b64 v[40:41], v54 offset:7752
	s_wait_dscnt 0x0
	v_fmac_f64_e32 v[36:37], v[38:39], v[40:41]
	s_or_b32 exec_lo, exec_lo, s47
	s_and_saveexec_b32 s47, s19
	s_cbranch_execz .LBB42_894
.LBB42_1142:                            ;   in Loop: Header=BB42_3 Depth=1
	ds_load_b64 v[38:39], v55 offset:5120
	ds_load_b64 v[40:41], v54 offset:7760
	s_wait_dscnt 0x0
	v_fmac_f64_e32 v[36:37], v[38:39], v[40:41]
	s_or_b32 exec_lo, exec_lo, s47
	s_and_saveexec_b32 s47, s20
	s_cbranch_execz .LBB42_895
.LBB42_1143:                            ;   in Loop: Header=BB42_3 Depth=1
	ds_load_b64 v[38:39], v55 offset:5632
	ds_load_b64 v[40:41], v54 offset:7768
	s_wait_dscnt 0x0
	v_fmac_f64_e32 v[36:37], v[38:39], v[40:41]
	s_or_b32 exec_lo, exec_lo, s47
	s_and_saveexec_b32 s47, s21
	s_cbranch_execz .LBB42_896
.LBB42_1144:                            ;   in Loop: Header=BB42_3 Depth=1
	ds_load_b64 v[38:39], v55 offset:6144
	ds_load_b64 v[40:41], v54 offset:7776
	s_wait_dscnt 0x0
	v_fmac_f64_e32 v[36:37], v[38:39], v[40:41]
	s_or_b32 exec_lo, exec_lo, s47
	s_and_saveexec_b32 s47, s22
	s_cbranch_execz .LBB42_897
.LBB42_1145:                            ;   in Loop: Header=BB42_3 Depth=1
	ds_load_b64 v[38:39], v55 offset:6656
	ds_load_b64 v[40:41], v54 offset:7784
	s_wait_dscnt 0x0
	v_fmac_f64_e32 v[36:37], v[38:39], v[40:41]
	s_or_b32 exec_lo, exec_lo, s47
	s_and_saveexec_b32 s47, s2
	s_cbranch_execz .LBB42_898
.LBB42_1146:                            ;   in Loop: Header=BB42_3 Depth=1
	ds_load_b64 v[38:39], v55 offset:7168
	ds_load_b64 v[40:41], v54 offset:7792
	s_wait_dscnt 0x0
	v_fmac_f64_e32 v[36:37], v[38:39], v[40:41]
	s_or_b32 exec_lo, exec_lo, s47
	s_and_saveexec_b32 s47, s17
	s_cbranch_execnz .LBB42_899
	s_branch .LBB42_900
.LBB42_1147:                            ;   in Loop: Header=BB42_3 Depth=1
	ds_load_b64 v[38:39], v51 offset:2560
	ds_load_b64 v[40:41], v50 offset:3624
	s_wait_dscnt 0x0
	v_fmac_f64_e32 v[36:37], v[38:39], v[40:41]
	s_or_b32 exec_lo, exec_lo, s47
	s_and_saveexec_b32 s47, s17
	s_cbranch_execz .LBB42_956
.LBB42_1148:                            ;   in Loop: Header=BB42_3 Depth=1
	ds_load_b64 v[38:39], v51 offset:3072
	ds_load_b64 v[40:41], v50 offset:3632
	s_wait_dscnt 0x0
	v_fmac_f64_e32 v[36:37], v[38:39], v[40:41]
	s_or_b32 exec_lo, exec_lo, s47
	s_and_saveexec_b32 s47, s0
	s_cbranch_execnz .LBB42_957
	s_branch .LBB42_958
.LBB42_1149:
	s_endpgm
	.section	.rodata,"a",@progbits
	.p2align	6, 0x0
	.amdhsa_kernel _ZL19rocblas_trsv_deviceILi64ELi16ELb0ELb1ELb1ELb0EddPKdPdEviT7_lllT6_T8_lllPii
		.amdhsa_group_segment_fixed_size 41480
		.amdhsa_private_segment_fixed_size 0
		.amdhsa_kernarg_size 352
		.amdhsa_user_sgpr_count 2
		.amdhsa_user_sgpr_dispatch_ptr 0
		.amdhsa_user_sgpr_queue_ptr 0
		.amdhsa_user_sgpr_kernarg_segment_ptr 1
		.amdhsa_user_sgpr_dispatch_id 0
		.amdhsa_user_sgpr_kernarg_preload_length 0
		.amdhsa_user_sgpr_kernarg_preload_offset 0
		.amdhsa_user_sgpr_private_segment_size 0
		.amdhsa_wavefront_size32 1
		.amdhsa_uses_dynamic_stack 0
		.amdhsa_enable_private_segment 0
		.amdhsa_system_sgpr_workgroup_id_x 1
		.amdhsa_system_sgpr_workgroup_id_y 0
		.amdhsa_system_sgpr_workgroup_id_z 1
		.amdhsa_system_sgpr_workgroup_info 0
		.amdhsa_system_vgpr_workitem_id 1
		.amdhsa_next_free_vgpr 98
		.amdhsa_next_free_sgpr 105
		.amdhsa_named_barrier_count 0
		.amdhsa_reserve_vcc 1
		.amdhsa_float_round_mode_32 0
		.amdhsa_float_round_mode_16_64 0
		.amdhsa_float_denorm_mode_32 3
		.amdhsa_float_denorm_mode_16_64 3
		.amdhsa_fp16_overflow 0
		.amdhsa_memory_ordered 1
		.amdhsa_forward_progress 1
		.amdhsa_inst_pref_size 255
		.amdhsa_round_robin_scheduling 0
		.amdhsa_exception_fp_ieee_invalid_op 0
		.amdhsa_exception_fp_denorm_src 0
		.amdhsa_exception_fp_ieee_div_zero 0
		.amdhsa_exception_fp_ieee_overflow 0
		.amdhsa_exception_fp_ieee_underflow 0
		.amdhsa_exception_fp_ieee_inexact 0
		.amdhsa_exception_int_div_zero 0
	.end_amdhsa_kernel
	.section	.text._ZL19rocblas_trsv_deviceILi64ELi16ELb0ELb1ELb1ELb0EddPKdPdEviT7_lllT6_T8_lllPii,"axG",@progbits,_ZL19rocblas_trsv_deviceILi64ELi16ELb0ELb1ELb1ELb0EddPKdPdEviT7_lllT6_T8_lllPii,comdat
.Lfunc_end42:
	.size	_ZL19rocblas_trsv_deviceILi64ELi16ELb0ELb1ELb1ELb0EddPKdPdEviT7_lllT6_T8_lllPii, .Lfunc_end42-_ZL19rocblas_trsv_deviceILi64ELi16ELb0ELb1ELb1ELb0EddPKdPdEviT7_lllT6_T8_lllPii
                                        ; -- End function
	.set _ZL19rocblas_trsv_deviceILi64ELi16ELb0ELb1ELb1ELb0EddPKdPdEviT7_lllT6_T8_lllPii.num_vgpr, 98
	.set _ZL19rocblas_trsv_deviceILi64ELi16ELb0ELb1ELb1ELb0EddPKdPdEviT7_lllT6_T8_lllPii.num_agpr, 0
	.set _ZL19rocblas_trsv_deviceILi64ELi16ELb0ELb1ELb1ELb0EddPKdPdEviT7_lllT6_T8_lllPii.numbered_sgpr, 105
	.set _ZL19rocblas_trsv_deviceILi64ELi16ELb0ELb1ELb1ELb0EddPKdPdEviT7_lllT6_T8_lllPii.num_named_barrier, 0
	.set _ZL19rocblas_trsv_deviceILi64ELi16ELb0ELb1ELb1ELb0EddPKdPdEviT7_lllT6_T8_lllPii.private_seg_size, 0
	.set _ZL19rocblas_trsv_deviceILi64ELi16ELb0ELb1ELb1ELb0EddPKdPdEviT7_lllT6_T8_lllPii.uses_vcc, 1
	.set _ZL19rocblas_trsv_deviceILi64ELi16ELb0ELb1ELb1ELb0EddPKdPdEviT7_lllT6_T8_lllPii.uses_flat_scratch, 0
	.set _ZL19rocblas_trsv_deviceILi64ELi16ELb0ELb1ELb1ELb0EddPKdPdEviT7_lllT6_T8_lllPii.has_dyn_sized_stack, 0
	.set _ZL19rocblas_trsv_deviceILi64ELi16ELb0ELb1ELb1ELb0EddPKdPdEviT7_lllT6_T8_lllPii.has_recursion, 0
	.set _ZL19rocblas_trsv_deviceILi64ELi16ELb0ELb1ELb1ELb0EddPKdPdEviT7_lllT6_T8_lllPii.has_indirect_call, 0
	.section	.AMDGPU.csdata,"",@progbits
; Kernel info:
; codeLenInByte = 38056
; TotalNumSgprs: 107
; NumVgprs: 98
; ScratchSize: 0
; MemoryBound: 0
; FloatMode: 240
; IeeeMode: 1
; LDSByteSize: 41480 bytes/workgroup (compile time only)
; SGPRBlocks: 0
; VGPRBlocks: 6
; NumSGPRsForWavesPerEU: 107
; NumVGPRsForWavesPerEU: 98
; NamedBarCnt: 0
; Occupancy: 9
; WaveLimiterHint : 0
; COMPUTE_PGM_RSRC2:SCRATCH_EN: 0
; COMPUTE_PGM_RSRC2:USER_SGPR: 2
; COMPUTE_PGM_RSRC2:TRAP_HANDLER: 0
; COMPUTE_PGM_RSRC2:TGID_X_EN: 1
; COMPUTE_PGM_RSRC2:TGID_Y_EN: 0
; COMPUTE_PGM_RSRC2:TGID_Z_EN: 1
; COMPUTE_PGM_RSRC2:TIDIG_COMP_CNT: 1
	.section	.text._ZL19rocblas_trsv_deviceILi64ELi16ELb1ELb0ELb0ELb1EddPKdPdEviT7_lllT6_T8_lllPii,"axG",@progbits,_ZL19rocblas_trsv_deviceILi64ELi16ELb1ELb0ELb0ELb1EddPKdPdEviT7_lllT6_T8_lllPii,comdat
	.globl	_ZL19rocblas_trsv_deviceILi64ELi16ELb1ELb0ELb0ELb1EddPKdPdEviT7_lllT6_T8_lllPii ; -- Begin function _ZL19rocblas_trsv_deviceILi64ELi16ELb1ELb0ELb0ELb1EddPKdPdEviT7_lllT6_T8_lllPii
	.p2align	8
	.type	_ZL19rocblas_trsv_deviceILi64ELi16ELb1ELb0ELb0ELb1EddPKdPdEviT7_lllT6_T8_lllPii,@function
_ZL19rocblas_trsv_deviceILi64ELi16ELb1ELb0ELb0ELb1EddPKdPdEviT7_lllT6_T8_lllPii: ; @_ZL19rocblas_trsv_deviceILi64ELi16ELb1ELb0ELb0ELb1EddPKdPdEviT7_lllT6_T8_lllPii
; %bb.0:
	s_load_b32 s6, s[0:1], 0x58
	s_bfe_u32 s2, ttmp6, 0x40014
	s_lshr_b32 s3, ttmp7, 16
	s_add_co_i32 s2, s2, 1
	s_bfe_u32 s5, ttmp6, 0x40008
	s_mul_i32 s4, s3, s2
	s_getreg_b32 s2, hwreg(HW_REG_IB_STS2, 6, 4)
	s_add_co_i32 s5, s5, s4
	s_cmp_eq_u32 s2, 0
	s_mov_b32 s85, 0
	s_cselect_b32 s84, s3, s5
                                        ; implicit-def: $vgpr85 : SGPR spill to VGPR lane
	s_wait_kmcnt 0x0
	s_cmp_ge_u32 s84, s6
	v_writelane_b32 v85, s6, 0
	s_cbranch_scc1 .LBB43_1055
; %bb.1:
	s_clause 0x2
	s_load_b512 s[64:79], s[0:1], 0x8
	s_load_b32 s3, s[0:1], 0x6c
	s_load_b32 s99, s[0:1], 0x0
	s_bfe_u32 s4, ttmp6, 0x4000c
	s_and_b32 s5, ttmp6, 15
	s_add_co_i32 s4, s4, 1
	v_bfe_u32 v2, v0, 10, 10
	s_mul_i32 s4, ttmp9, s4
	v_and_b32_e32 v4, 0x3ff, v0
	s_add_co_i32 s8, s5, s4
	s_delay_alu instid0(VALU_DEP_2) | instskip(SKIP_2) | instid1(VALU_DEP_3)
	v_dual_mov_b32 v1, 0 :: v_dual_lshlrev_b32 v13, 6, v2
	v_lshl_add_u32 v73, v2, 3, 0xa000
	v_dual_add_nc_u32 v44, 16, v2 :: v_dual_add_nc_u32 v42, 32, v2
	v_dual_add_nc_u32 v40, 48, v2 :: v_dual_bitop2_b32 v12, v13, v4 bitop3:0x40
	v_dual_add_nc_u32 v46, v13, v4 :: v_dual_lshlrev_b32 v51, 3, v4
                                        ; implicit-def: $vgpr84 : SGPR spill to VGPR lane
	s_load_b128 s[80:83], s[0:1], 0x48
	s_wait_kmcnt 0x0
	s_lshl_b64 s[4:5], s[66:67], 3
	s_lshl_b64 s[6:7], s[76:77], 3
	s_cmp_eq_u32 s2, 0
	s_add_nc_u64 s[4:5], s[64:65], s[4:5]
	s_cselect_b32 s67, ttmp9, s8
	s_add_co_i32 s2, s99, -1
	s_and_b32 s8, s3, 0xffff
	s_ashr_i32 s3, s99, 31
	s_ashr_i32 s9, s2, 31
	s_lshr_b32 s3, s3, 26
	s_lshr_b32 s9, s9, 26
	s_add_co_i32 s3, s99, s3
	s_add_co_i32 s2, s2, s9
	s_and_not1_b32 s3, s3, 63
	s_ashr_i32 s2, s2, 6
	s_sub_co_i32 s14, s99, s3
	v_writelane_b32 v85, s4, 1
	s_cmp_eq_u32 s2, s67
	s_add_nc_u64 s[6:7], s[74:75], s[6:7]
	s_cselect_b32 s9, -1, 0
	s_cmp_lg_u32 s14, 0
	v_writelane_b32 v85, s5, 2
	s_cselect_b32 s4, -1, 0
	s_lshl_b32 s10, s67, 6
	s_delay_alu instid0(SALU_CYCLE_1) | instskip(SKIP_3) | instid1(VALU_DEP_3)
	v_dual_add_nc_u32 v8, s10, v4 :: v_dual_bitop2_b32 v3, v13, v4 bitop3:0x14
	v_mov_b32_e32 v7, v1
	s_and_b32 s15, s4, s9
	v_writelane_b32 v85, s6, 3
	v_lshrrev_b16 v14, 1, v3
	v_add_nc_u32_e32 v3, s10, v2
	v_sub_co_u32 v5, s5, s67, 1
	s_xor_b32 s5, s5, -1
	v_add_nc_u16 v15, v12, v14
	v_subrev_nc_u32_e32 v16, 64, v3
	v_dual_lshrrev_b32 v14, 10, v0 :: v_dual_bitop2_b32 v12, 1, v0 bitop3:0x40
	s_ashr_i32 s11, s10, 31
	s_delay_alu instid0(VALU_DEP_3) | instskip(NEXT) | instid1(VALU_DEP_3)
	v_and_b32_e32 v13, 0xffff, v15
	v_ashrrev_i32_e32 v17, 31, v16
	s_xor_b32 s101, s15, -1
	v_lshlrev_b32_e32 v15, 3, v12
	v_cmp_eq_u32_e64 s4, 1, v12
	v_lshrrev_b32_e32 v12, 2, v46
	v_bitop3_b32 v47, v0, v14, 0x3ff bitop3:0xa8
	v_lshl_add_u32 v48, v13, 3, 0x8000
	v_mul_u32_u24_e32 v50, 0x208, v13
	s_add_nc_u64 s[2:3], s[68:69], 1
	v_lshlrev_b32_e32 v14, 3, v12
	v_lshl_or_b32 v49, v13, 9, v15
	v_mul_u32_u24_e32 v53, 0x208, v12
	v_and_b32_e32 v13, 3, v0
	s_cmp_gt_i32 s67, 4
	v_writelane_b32 v85, s7, 4
	s_mul_u64 s[12:13], s[2:3], s[10:11]
	s_cselect_b32 s3, -1, 0
	v_dual_ashrrev_i32 v9, 31, v8 :: v_dual_lshlrev_b32 v52, 3, v13
	s_and_b32 s102, s3, s101
	v_cmp_gt_u32_e64 s3, 4, v46
	v_writelane_b32 v85, s5, 5
	s_xor_b32 s5, s4, -1
	v_lshl_or_b32 v55, v12, 9, v52
	v_sub_nc_u32_e32 v12, v53, v14
	s_and_b32 s103, s5, s3
	s_and_b32 s104, s4, s3
	v_cmp_gt_u32_e64 s4, 16, v46
	v_cmp_eq_u32_e64 s5, 0, v13
	v_cmp_ne_u32_e64 s6, 0, v13
	v_mad_u32_u24 v6, v2, s8, v4
	v_add_nc_u32_e32 v54, 0x8000, v14
	v_cmp_eq_u32_e64 s7, 1, v13
	v_cmp_lt_u32_e64 s8, 1, v13
	s_and_b32 vcc_hi, s5, s4
	s_and_b32 s34, s6, s4
	v_cmp_eq_u32_e64 s5, 2, v13
	v_cmp_eq_u32_e64 s6, 3, v13
	v_and_b32_e32 v14, 0x1fff8, v46
	v_and_b32_e32 v13, 7, v0
	v_dual_add_nc_u32 v56, v12, v52 :: v_dual_lshrrev_b32 v12, 3, v46
	s_and_b32 s35, s7, s4
	s_and_b32 s37, s5, s4
	;; [unrolled: 1-line block ×3, first 2 shown]
	v_cmp_gt_u32_e64 s5, 64, v46
	v_mul_u32_u24_e32 v57, 0x208, v12
	s_and_b32 s36, s8, s4
	v_add_nc_u32_e32 v59, 0x8000, v14
	v_cmp_gt_i32_e32 vcc_lo, s14, v4
	v_cmp_gt_i32_e64 s2, s99, v8
	v_sub_nc_u32_e32 v15, v57, v14
	v_cmp_eq_u32_e64 s6, 0, v13
	v_cmp_ne_u32_e64 s7, 0, v13
	v_lshlrev_b32_e32 v58, 3, v13
	v_cmp_eq_u32_e64 s8, 2, v13
	v_cmp_lt_u32_e64 s9, 2, v13
	s_and_b32 s39, s6, s5
	v_cmp_eq_u32_e64 s6, 1, v13
	s_and_b32 s40, s7, s5
	v_cmp_lt_u32_e64 s7, 1, v13
	v_add_nc_u32_e32 v61, v15, v58
	s_and_b32 s43, s8, s5
	s_and_b32 s41, s6, s5
	v_cmp_eq_u32_e64 s6, 3, v13
	s_and_b32 s42, s7, s5
	v_cmp_lt_u32_e64 s7, 3, v13
	s_and_b32 s44, s9, s5
	v_cmp_lt_u32_e64 s8, 4, v13
	s_and_b32 s45, s6, s5
	v_cmp_eq_u32_e64 s6, 4, v13
	s_and_b32 s46, s7, s5
	v_cmp_lt_u32_e64 s7, 5, v13
	v_cmp_eq_u32_e64 s9, 5, v13
	s_and_b32 s48, s8, s5
	s_and_b32 s47, s6, s5
	v_cmp_eq_u32_e64 s6, 6, v13
	s_and_b32 s50, s7, s5
	v_cmp_eq_u32_e64 s7, 7, v13
	v_and_b32_e32 v13, 15, v0
	s_and_b32 s49, s9, s5
	s_and_b32 s51, s6, s5
	v_cmp_gt_u32_e64 s6, 0x100, v46
	s_and_b32 s52, s7, s5
	v_cmp_eq_u32_e64 s7, 0, v13
	v_cmp_ne_u32_e64 s8, 0, v13
	v_cmp_eq_u32_e64 s9, 1, v13
	v_lshl_or_b32 v60, v12, 9, v58
	v_dual_lshrrev_b32 v12, 4, v46 :: v_dual_lshlrev_b32 v63, 3, v13
	s_and_b32 s7, s7, s6
	s_and_b32 s8, s8, s6
	v_writelane_b32 v85, s7, 6
	v_cmp_lt_u32_e64 s7, 1, v13
	s_and_b32 s9, s9, s6
	v_lshlrev_b32_e32 v14, 3, v12
	v_mul_u32_u24_e32 v62, 0x208, v12
	v_writelane_b32 v85, s8, 7
	v_cmp_eq_u32_e64 s8, 2, v13
	s_and_b32 s7, s7, s6
	v_dual_sub_nc_u32 v15, v62, v14 :: v_dual_bitop2_b32 v67, 31, v0 bitop3:0x40
	v_writelane_b32 v85, s9, 8
	s_and_b32 s21, s8, s6
	v_cmp_lt_u32_e64 s8, 3, v13
	v_cmp_lt_u32_e64 s9, 2, v13
	v_dual_add_nc_u32 v0, s10, v6 :: v_dual_add_nc_u32 v77, v73, v51
	v_writelane_b32 v85, s7, 9
	v_cmp_eq_u32_e64 s7, 3, v13
	s_and_b32 s27, s8, s6
	v_cmp_eq_u32_e64 s8, 5, v13
	s_and_b32 s23, s9, s6
	v_cmp_eq_u32_e64 s9, 4, v13
	s_and_b32 s25, s7, s6
	v_cmp_lt_u32_e64 s7, 4, v13
	s_and_b32 s59, s8, s6
	v_cmp_lt_u32_e64 s8, 6, v13
	s_and_b32 s29, s9, s6
	v_cmp_lt_u32_e64 s9, 5, v13
	s_and_b32 s31, s7, s6
	v_cmp_eq_u32_e64 s7, 6, v13
	s_and_b32 s62, s8, s6
	v_cmp_eq_u32_e64 s8, 8, v13
	s_and_b32 s60, s9, s6
	v_cmp_eq_u32_e64 s9, 7, v13
	s_and_b32 s61, s7, s6
	v_cmp_lt_u32_e64 s7, 7, v13
	s_and_b32 s65, s8, s6
	v_cmp_lt_u32_e64 s8, 9, v13
	s_and_b32 s63, s9, s6
	v_cmp_lt_u32_e64 s9, 8, v13
	s_and_b32 s64, s7, s6
	;; [unrolled: 12-line block ×3, first 2 shown]
	v_cmp_eq_u32_e64 s7, 12, v13
	s_and_b32 s74, s8, s6
	v_cmp_eq_u32_e64 s8, 14, v13
	s_and_b32 s76, s9, s6
	;; [unrolled: 2-line block ×3, first 2 shown]
	v_cmp_lt_u32_e64 s7, 13, v13
	s_and_b32 s98, s8, s6
	v_cmp_le_i32_e64 s8, s14, v4
	s_and_b32 s75, s9, s6
	v_cmp_eq_u32_e64 s9, 15, v13
	s_and_b32 s100, s7, s6
	v_cmp_eq_u32_e64 s7, 0, v2
	s_and_b32 s54, s8, s15
	v_lshl_or_b32 v65, v12, 9, v63
	s_and_b32 s53, s9, s6
	s_xor_b32 s9, s54, -1
	v_add_nc_u32_e32 v66, v15, v63
	s_and_b32 s55, s7, s9
	s_cmp_gt_i32 s67, 0
	v_dual_mov_b32 v45, v1 :: v_dual_add_nc_u32 v64, 0x8000, v14
	v_dual_lshrrev_b32 v12, 5, v46 :: v_dual_lshlrev_b32 v26, 3, v67
	s_cselect_b32 s56, -1, 0
	v_mul_u64_e32 v[14:15], s[78:79], v[0:1]
	v_subrev_nc_u32_e32 v0, 48, v3
	s_and_b32 s9, s7, vcc_lo
	v_cmp_gt_i32_e32 vcc_lo, s99, v16
	v_writelane_b32 v85, s9, 10
	v_dual_lshlrev_b32 v68, 3, v12 :: v_dual_lshlrev_b32 v69, 9, v12
	v_add_nc_u64_e32 v[18:19], s[10:11], v[6:7]
	v_subrev_nc_u32_e32 v7, 32, v3
	v_cmp_gt_i32_e64 s9, s99, v0
	s_and_b32 s15, s2, vcc_lo
	v_dual_add_nc_u32 v3, -16, v3 :: v_dual_bitop2_b32 v71, v69, v26 bitop3:0x54
	v_writelane_b32 v85, s15, 11
	v_cmp_gt_i32_e64 s10, s99, v7
	s_and_b32 s9, s2, s9
	v_cmp_le_i32_e32 vcc_lo, s14, v2
	v_cmp_gt_i32_e64 s11, s99, v3
	v_writelane_b32 v85, s9, 12
	s_and_b32 s9, s2, s10
	v_cmp_le_i32_e64 s10, s14, v42
	v_or_b32_e32 v0, v44, v4
	v_cmp_le_u32_e64 s15, v4, v44
	v_writelane_b32 v85, s9, 13
	s_and_b32 s9, s2, s11
	v_cmp_le_i32_e64 s11, s14, v40
	s_or_b32 s10, s10, s8
	v_dual_mov_b32 v43, v1 :: v_dual_add_nc_u32 v70, 0x8000, v68
	v_writelane_b32 v85, s9, 14
	v_cmp_le_i32_e64 s9, s14, v44
	s_or_b32 s14, vcc_lo, s8
	v_mov_b32_e32 v3, v1
	v_mul_u64_e32 v[20:21], s[68:69], v[44:45]
	v_dual_mov_b32 v41, v1 :: v_dual_bitop2_b32 v45, v42, v4 bitop3:0x54
	s_or_b32 s9, s9, s8
	s_or_b32 s8, s11, s8
	v_cmp_le_u32_e64 s11, v4, v2
	s_or_b32 s9, s9, s15
	v_mul_u64_e32 v[10:11], s[68:69], v[16:17]
	v_mul_u64_e32 v[12:13], s[78:79], v[8:9]
	;; [unrolled: 1-line block ×3, first 2 shown]
	v_writelane_b32 v85, s11, 15
	s_or_b32 s11, s14, s11
	v_mul_u64_e32 v[18:19], s[68:69], v[2:3]
	v_mul_u64_e32 v[22:23], s[68:69], v[42:43]
	;; [unrolled: 1-line block ×3, first 2 shown]
	v_writelane_b32 v85, s11, 16
	v_or_b32_e32 v43, v40, v4
	v_mov_b64_e32 v[28:29], 0
	v_mov_b64_e32 v[30:31], 1.0
	v_cmp_lt_u32_e32 vcc_lo, 0x3ff, v46
	v_writelane_b32 v85, s15, 17
	v_lshl_add_u32 v72, v6, 3, 0xa000
	v_lshl_add_u32 v74, v46, 3, 0x8000
	v_add_nc_u32_e32 v75, 0x8000, v51
	v_lshl_add_u32 v76, v2, 9, v51
	v_writelane_b32 v85, s9, 18
	v_cmp_le_u32_e64 s9, v4, v42
	v_lshl_add_u32 v3, v44, 9, v51
	v_lshl_add_u32 v7, v42, 9, v51
	;; [unrolled: 1-line block ×3, first 2 shown]
	v_or_b32_e32 v79, 0x4100, v26
	v_writelane_b32 v85, s9, 19
	s_or_b32 s9, s10, s9
	s_lshl_b64 s[86:87], s[12:13], 3
	v_dual_mov_b32 v27, v1 :: v_dual_lshlrev_b32 v26, 3, v4
	v_writelane_b32 v85, s9, 20
	v_cmp_le_u32_e64 s9, v4, v40
	v_cmp_eq_u32_e64 s12, 0, v47
	v_cmp_gt_u32_e64 s13, 2, v46
	v_cmp_gt_u32_e64 s14, 12, v46
	;; [unrolled: 1-line block ×3, first 2 shown]
	v_writelane_b32 v85, s9, 21
	s_or_b32 s8, s8, s9
	v_cmp_gt_u32_e64 s16, 56, v46
	v_cmp_gt_u32_e64 s17, 48, v46
	;; [unrolled: 1-line block ×3, first 2 shown]
	v_writelane_b32 v85, s8, 22
	v_cmp_gt_u32_e64 s8, 0xf0, v46
	v_cmp_gt_u32_e64 s19, 32, v46
	v_cmp_gt_u32_e64 s20, 24, v46
	v_cmp_gt_u32_e64 s10, 0x60, v46
	v_cmp_gt_u32_e64 s33, 0x400, v46
	v_writelane_b32 v85, s8, 23
	v_cmp_gt_u32_e64 s8, 0xe0, v46
	v_cmp_eq_u32_e64 s57, 0, v6
	v_cmp_gt_u32_e64 s58, 64, v6
	s_xor_b32 s11, vcc_lo, -1
	s_lshl_b64 s[88:89], s[68:69], 7
	v_writelane_b32 v85, s8, 24
	v_cmp_gt_u32_e64 s8, 0xd0, v46
	s_lshl_b64 s[90:91], s[68:69], 8
	s_mul_u64 s[92:93], s[68:69], 0x180
                                        ; implicit-def: $vgpr32_vgpr33
                                        ; implicit-def: $vgpr34_vgpr35
                                        ; implicit-def: $vgpr36_vgpr37
                                        ; implicit-def: $vgpr38_vgpr39
	v_writelane_b32 v85, s8, 25
	v_cmp_gt_u32_e64 s8, 0xc0, v46
	s_delay_alu instid0(VALU_DEP_1) | instskip(SKIP_1) | instid1(VALU_DEP_1)
	v_writelane_b32 v85, s8, 26
	v_cmp_gt_u32_e64 s8, 0xb0, v46
	v_writelane_b32 v85, s8, 27
	v_cmp_gt_u32_e64 s8, 0xa0, v46
	s_delay_alu instid0(VALU_DEP_1) | instskip(SKIP_1) | instid1(VALU_DEP_1)
	v_writelane_b32 v85, s8, 28
	v_cmp_gt_u32_e64 s8, 0x90, v46
	;; [unrolled: 5-line block ×15, first 2 shown]
	v_writelane_b32 v84, s8, 23
	v_cmp_ge_u32_e64 s8, v4, v2
	s_delay_alu instid0(VALU_DEP_1) | instskip(SKIP_1) | instid1(VALU_DEP_1)
	v_writelane_b32 v84, s8, 24
	v_cmp_ge_u32_e64 s8, v4, v44
	v_writelane_b32 v84, s8, 25
	v_cmp_ge_u32_e64 s8, v4, v42
	s_delay_alu instid0(VALU_DEP_1) | instskip(SKIP_1) | instid1(VALU_DEP_1)
	v_writelane_b32 v84, s8, 26
	v_cmp_ge_u32_e64 s8, v4, v40
	v_writelane_b32 v84, s8, 27
	v_cmp_gt_u32_e64 s8, 64, v47
	s_delay_alu instid0(VALU_DEP_1) | instskip(SKIP_1) | instid1(VALU_DEP_1)
	v_writelane_b32 v84, s8, 28
	v_cmp_gt_u32_e64 s8, 64, v0
	v_writelane_b32 v84, s8, 29
	v_cmp_gt_u32_e64 s8, 64, v45
	s_delay_alu instid0(VALU_DEP_1) | instskip(SKIP_1) | instid1(VALU_DEP_1)
	v_writelane_b32 v84, s8, 30
	v_cmp_gt_u32_e64 s8, 64, v43
	v_writelane_b32 v84, s8, 31
	s_branch .LBB43_3
.LBB43_2:                               ;   in Loop: Header=BB43_3 Depth=1
	s_wait_xcnt 0x0
	s_or_b32 exec_lo, exec_lo, s0
	v_readlane_b32 s0, v85, 0
	s_add_co_i32 s84, s84, 0x10000
	global_wb scope:SCOPE_DEV
	s_wait_storecnt 0x0
	global_inv scope:SCOPE_DEV
	s_cmp_lt_u32 s84, s0
	s_cbranch_scc0 .LBB43_1055
.LBB43_3:                               ; =>This Loop Header: Depth=1
                                        ;     Child Loop BB43_517 Depth 2
                                        ;     Child Loop BB43_934 Depth 2
                                        ;       Child Loop BB43_936 Depth 3
                                        ;     Child Loop BB43_974 Depth 2
	v_readlane_b32 s8, v85, 5
	s_mul_u64 s[0:1], s[70:71], s[84:85]
	s_delay_alu instid0(SALU_CYCLE_1)
	s_lshl_b64 s[0:1], s[0:1], 3
	s_and_not1_b32 vcc_lo, exec_lo, s8
	v_readlane_b32 s8, v85, 1
	v_readlane_b32 s9, v85, 2
	s_add_nc_u64 s[0:1], s[8:9], s[0:1]
	s_cbranch_vccnz .LBB43_13
; %bb.4:                                ;   in Loop: Header=BB43_3 Depth=1
	v_lshl_add_u64 v[36:37], v[10:11], 3, s[0:1]
	v_mov_b64_e32 v[34:35], 0
	v_mov_b64_e32 v[32:33], 0
	s_barrier_signal -1
	s_delay_alu instid0(VALU_DEP_3) | instskip(SKIP_4) | instid1(SALU_CYCLE_1)
	v_lshl_add_u64 v[40:41], v[8:9], 3, v[36:37]
	s_barrier_wait -1
	s_mov_b32 s8, exec_lo
	v_readlane_b32 s9, v85, 11
	s_and_b32 s9, s8, s9
	s_mov_b32 exec_lo, s9
	s_cbranch_execz .LBB43_6
; %bb.5:                                ;   in Loop: Header=BB43_3 Depth=1
	global_load_b64 v[32:33], v[40:41], off
.LBB43_6:                               ;   in Loop: Header=BB43_3 Depth=1
	s_wait_xcnt 0x0
	s_or_b32 exec_lo, exec_lo, s8
	s_wait_loadcnt 0x0
	s_barrier_signal -1
	s_barrier_wait -1
	s_mov_b32 s8, exec_lo
	v_readlane_b32 s9, v85, 12
	s_and_b32 s9, s8, s9
	s_delay_alu instid0(SALU_CYCLE_1)
	s_mov_b32 exec_lo, s9
	s_cbranch_execz .LBB43_8
; %bb.7:                                ;   in Loop: Header=BB43_3 Depth=1
	v_add_nc_u64_e32 v[34:35], s[88:89], v[40:41]
	global_load_b64 v[34:35], v[34:35], off
.LBB43_8:                               ;   in Loop: Header=BB43_3 Depth=1
	s_wait_xcnt 0x0
	s_or_b32 exec_lo, exec_lo, s8
	v_mov_b64_e32 v[38:39], 0
	v_mov_b64_e32 v[36:37], 0
	s_wait_loadcnt 0x0
	s_barrier_signal -1
	s_barrier_wait -1
	s_mov_b32 s8, exec_lo
	v_readlane_b32 s9, v85, 13
	s_and_b32 s9, s8, s9
	s_delay_alu instid0(SALU_CYCLE_1)
	s_mov_b32 exec_lo, s9
	s_cbranch_execz .LBB43_10
; %bb.9:                                ;   in Loop: Header=BB43_3 Depth=1
	v_add_nc_u64_e32 v[36:37], s[90:91], v[40:41]
	global_load_b64 v[36:37], v[36:37], off
.LBB43_10:                              ;   in Loop: Header=BB43_3 Depth=1
	s_wait_xcnt 0x0
	s_or_b32 exec_lo, exec_lo, s8
	s_wait_loadcnt 0x0
	s_barrier_signal -1
	s_barrier_wait -1
	s_mov_b32 s8, exec_lo
	v_readlane_b32 s9, v85, 14
	s_and_b32 s9, s8, s9
	s_delay_alu instid0(SALU_CYCLE_1)
	s_mov_b32 exec_lo, s9
	s_cbranch_execz .LBB43_12
; %bb.11:                               ;   in Loop: Header=BB43_3 Depth=1
	v_add_nc_u64_e32 v[38:39], s[92:93], v[40:41]
	global_load_b64 v[38:39], v[38:39], off
.LBB43_12:                              ;   in Loop: Header=BB43_3 Depth=1
	s_wait_xcnt 0x0
	s_or_b32 exec_lo, exec_lo, s8
.LBB43_13:                              ;   in Loop: Header=BB43_3 Depth=1
	s_add_nc_u64 s[8:9], s[0:1], s[86:87]
	s_and_not1_b32 vcc_lo, exec_lo, s101
	v_add_nc_u64_e32 v[40:41], s[8:9], v[26:27]
	s_mov_b32 s8, -1
	s_cbranch_vccnz .LBB43_37
; %bb.14:                               ;   in Loop: Header=BB43_3 Depth=1
	s_mov_b32 s94, 0
	s_mov_b32 s8, exec_lo
	v_readlane_b32 s9, v85, 15
	s_and_b32 s9, s8, s9
	s_delay_alu instid0(SALU_CYCLE_1)
	s_xor_b32 s8, s9, s8
	s_mov_b32 exec_lo, s9
	s_cbranch_execnz .LBB43_995
; %bb.15:                               ;   in Loop: Header=BB43_3 Depth=1
	s_or_saveexec_b32 s8, s8
	v_mov_b64_e32 v[42:43], 0
	s_xor_b32 exec_lo, exec_lo, s8
	s_cbranch_execnz .LBB43_996
.LBB43_16:                              ;   in Loop: Header=BB43_3 Depth=1
	s_or_b32 exec_lo, exec_lo, s8
	s_and_saveexec_b32 s8, s94
.LBB43_17:                              ;   in Loop: Header=BB43_3 Depth=1
	ds_store_b64 v76, v[42:43]
.LBB43_18:                              ;   in Loop: Header=BB43_3 Depth=1
	s_or_b32 exec_lo, exec_lo, s8
	s_delay_alu instid0(SALU_CYCLE_1) | instskip(SKIP_2) | instid1(SALU_CYCLE_1)
	s_mov_b32 s8, exec_lo
	v_readlane_b32 s9, v85, 17
	s_and_b32 s9, s8, s9
	s_xor_b32 s8, s9, s8
	s_mov_b32 exec_lo, s9
	s_cbranch_execz .LBB43_22
; %bb.19:                               ;   in Loop: Header=BB43_3 Depth=1
	s_mov_b32 s9, exec_lo
	v_readlane_b32 s94, v84, 29
	s_and_b32 s94, s9, s94
	s_delay_alu instid0(SALU_CYCLE_1)
	s_mov_b32 exec_lo, s94
; %bb.20:                               ;   in Loop: Header=BB43_3 Depth=1
	ds_store_b64 v3, v[28:29]
; %bb.21:                               ;   in Loop: Header=BB43_3 Depth=1
	s_or_b32 exec_lo, exec_lo, s9
.LBB43_22:                              ;   in Loop: Header=BB43_3 Depth=1
	s_and_not1_saveexec_b32 s8, s8
	s_cbranch_execz .LBB43_24
; %bb.23:                               ;   in Loop: Header=BB43_3 Depth=1
	v_lshl_add_u64 v[42:43], v[20:21], 3, v[40:41]
	global_load_b64 v[42:43], v[42:43], off
	s_wait_loadcnt 0x0
	v_xor_b32_e32 v43, 0x80000000, v43
	ds_store_b64 v3, v[42:43]
.LBB43_24:                              ;   in Loop: Header=BB43_3 Depth=1
	s_or_b32 exec_lo, exec_lo, s8
	s_delay_alu instid0(SALU_CYCLE_1) | instskip(SKIP_2) | instid1(SALU_CYCLE_1)
	s_mov_b32 s8, exec_lo
	v_readlane_b32 s9, v85, 19
	s_and_b32 s9, s8, s9
	s_xor_b32 s8, s9, s8
	s_mov_b32 exec_lo, s9
	s_cbranch_execz .LBB43_28
; %bb.25:                               ;   in Loop: Header=BB43_3 Depth=1
	s_mov_b32 s9, exec_lo
	v_readlane_b32 s94, v84, 30
	s_and_b32 s94, s9, s94
	s_delay_alu instid0(SALU_CYCLE_1)
	s_mov_b32 exec_lo, s94
; %bb.26:                               ;   in Loop: Header=BB43_3 Depth=1
	ds_store_b64 v7, v[28:29]
; %bb.27:                               ;   in Loop: Header=BB43_3 Depth=1
	s_or_b32 exec_lo, exec_lo, s9
.LBB43_28:                              ;   in Loop: Header=BB43_3 Depth=1
	s_and_not1_saveexec_b32 s8, s8
	s_cbranch_execz .LBB43_30
; %bb.29:                               ;   in Loop: Header=BB43_3 Depth=1
	v_lshl_add_u64 v[42:43], v[22:23], 3, v[40:41]
	global_load_b64 v[42:43], v[42:43], off
	s_wait_loadcnt 0x0
	v_xor_b32_e32 v43, 0x80000000, v43
	ds_store_b64 v7, v[42:43]
.LBB43_30:                              ;   in Loop: Header=BB43_3 Depth=1
	;; [unrolled: 28-line block ×3, first 2 shown]
	s_or_b32 exec_lo, exec_lo, s8
	s_mov_b32 s8, 0
.LBB43_37:                              ;   in Loop: Header=BB43_3 Depth=1
	s_delay_alu instid0(SALU_CYCLE_1)
	s_and_b32 vcc_lo, exec_lo, s8
	s_cbranch_vccz .LBB43_61
; %bb.38:                               ;   in Loop: Header=BB43_3 Depth=1
	s_mov_b32 s94, 0
	s_mov_b32 s8, exec_lo
	v_readlane_b32 s9, v85, 16
	s_and_b32 s9, s8, s9
	s_delay_alu instid0(SALU_CYCLE_1)
	s_xor_b32 s8, s9, s8
	s_mov_b32 exec_lo, s9
	s_cbranch_execnz .LBB43_997
; %bb.39:                               ;   in Loop: Header=BB43_3 Depth=1
	s_or_saveexec_b32 s8, s8
	v_mov_b64_e32 v[42:43], 0
	s_xor_b32 exec_lo, exec_lo, s8
	s_cbranch_execnz .LBB43_998
.LBB43_40:                              ;   in Loop: Header=BB43_3 Depth=1
	s_or_b32 exec_lo, exec_lo, s8
	s_and_saveexec_b32 s8, s94
.LBB43_41:                              ;   in Loop: Header=BB43_3 Depth=1
	ds_store_b64 v76, v[42:43]
.LBB43_42:                              ;   in Loop: Header=BB43_3 Depth=1
	s_or_b32 exec_lo, exec_lo, s8
	s_delay_alu instid0(SALU_CYCLE_1) | instskip(SKIP_2) | instid1(SALU_CYCLE_1)
	s_mov_b32 s8, exec_lo
	v_readlane_b32 s9, v85, 18
	s_and_b32 s9, s8, s9
	s_xor_b32 s8, s9, s8
	s_mov_b32 exec_lo, s9
	s_cbranch_execz .LBB43_46
; %bb.43:                               ;   in Loop: Header=BB43_3 Depth=1
	s_mov_b32 s9, exec_lo
	v_readlane_b32 s94, v84, 29
	s_and_b32 s94, s9, s94
	s_delay_alu instid0(SALU_CYCLE_1)
	s_mov_b32 exec_lo, s94
; %bb.44:                               ;   in Loop: Header=BB43_3 Depth=1
	ds_store_b64 v3, v[28:29]
; %bb.45:                               ;   in Loop: Header=BB43_3 Depth=1
	s_or_b32 exec_lo, exec_lo, s9
.LBB43_46:                              ;   in Loop: Header=BB43_3 Depth=1
	s_and_not1_saveexec_b32 s8, s8
	s_cbranch_execz .LBB43_48
; %bb.47:                               ;   in Loop: Header=BB43_3 Depth=1
	v_lshl_add_u64 v[42:43], v[20:21], 3, v[40:41]
	global_load_b64 v[42:43], v[42:43], off
	s_wait_loadcnt 0x0
	v_xor_b32_e32 v43, 0x80000000, v43
	ds_store_b64 v3, v[42:43]
.LBB43_48:                              ;   in Loop: Header=BB43_3 Depth=1
	s_or_b32 exec_lo, exec_lo, s8
	s_delay_alu instid0(SALU_CYCLE_1) | instskip(SKIP_2) | instid1(SALU_CYCLE_1)
	s_mov_b32 s8, exec_lo
	v_readlane_b32 s9, v85, 20
	s_and_b32 s9, s8, s9
	s_xor_b32 s8, s9, s8
	s_mov_b32 exec_lo, s9
	s_cbranch_execz .LBB43_52
; %bb.49:                               ;   in Loop: Header=BB43_3 Depth=1
	s_mov_b32 s9, exec_lo
	v_readlane_b32 s94, v84, 30
	s_and_b32 s94, s9, s94
	s_delay_alu instid0(SALU_CYCLE_1)
	s_mov_b32 exec_lo, s94
; %bb.50:                               ;   in Loop: Header=BB43_3 Depth=1
	ds_store_b64 v7, v[28:29]
; %bb.51:                               ;   in Loop: Header=BB43_3 Depth=1
	s_or_b32 exec_lo, exec_lo, s9
.LBB43_52:                              ;   in Loop: Header=BB43_3 Depth=1
	s_and_not1_saveexec_b32 s8, s8
	s_cbranch_execz .LBB43_54
; %bb.53:                               ;   in Loop: Header=BB43_3 Depth=1
	v_lshl_add_u64 v[42:43], v[22:23], 3, v[40:41]
	global_load_b64 v[42:43], v[42:43], off
	s_wait_loadcnt 0x0
	v_xor_b32_e32 v43, 0x80000000, v43
	ds_store_b64 v7, v[42:43]
.LBB43_54:                              ;   in Loop: Header=BB43_3 Depth=1
	s_or_b32 exec_lo, exec_lo, s8
	s_delay_alu instid0(SALU_CYCLE_1) | instskip(SKIP_2) | instid1(SALU_CYCLE_1)
	s_mov_b32 s8, exec_lo
	v_readlane_b32 s9, v85, 22
	s_and_b32 s9, s8, s9
	s_xor_b32 s8, s9, s8
	s_mov_b32 exec_lo, s9
	s_cbranch_execz .LBB43_58
; %bb.55:                               ;   in Loop: Header=BB43_3 Depth=1
	s_mov_b32 s9, exec_lo
	v_readlane_b32 s94, v84, 31
	s_and_b32 s94, s9, s94
	s_delay_alu instid0(SALU_CYCLE_1)
	s_mov_b32 exec_lo, s94
; %bb.56:                               ;   in Loop: Header=BB43_3 Depth=1
	ds_store_b64 v78, v[28:29]
; %bb.57:                               ;   in Loop: Header=BB43_3 Depth=1
	s_or_b32 exec_lo, exec_lo, s9
                                        ; implicit-def: $vgpr40_vgpr41
.LBB43_58:                              ;   in Loop: Header=BB43_3 Depth=1
	s_and_not1_saveexec_b32 s8, s8
	s_cbranch_execz .LBB43_60
; %bb.59:                               ;   in Loop: Header=BB43_3 Depth=1
	v_lshl_add_u64 v[40:41], v[24:25], 3, v[40:41]
	global_load_b64 v[40:41], v[40:41], off
	s_wait_loadcnt 0x0
	v_xor_b32_e32 v41, 0x80000000, v41
	ds_store_b64 v78, v[40:41]
.LBB43_60:                              ;   in Loop: Header=BB43_3 Depth=1
	s_or_b32 exec_lo, exec_lo, s8
.LBB43_61:                              ;   in Loop: Header=BB43_3 Depth=1
	s_delay_alu instid0(SALU_CYCLE_1)
	s_and_not1_b32 vcc_lo, exec_lo, s102
	s_wait_loadcnt_dscnt 0x0
	s_barrier_signal -1
	s_barrier_wait -1
	s_cbranch_vccnz .LBB43_928
; %bb.62:                               ;   in Loop: Header=BB43_3 Depth=1
	s_and_saveexec_b32 s8, s12
; %bb.63:                               ;   in Loop: Header=BB43_3 Depth=1
	ds_store_2addr_b64 v1, v[30:31], v[30:31] offset1:65
; %bb.64:                               ;   in Loop: Header=BB43_3 Depth=1
	s_or_b32 exec_lo, exec_lo, s8
	v_mov_b64_e32 v[40:41], 0
	s_wait_dscnt 0x0
	s_barrier_signal -1
	s_barrier_wait -1
	s_and_saveexec_b32 s94, s3
	s_cbranch_execz .LBB43_68
; %bb.65:                               ;   in Loop: Header=BB43_3 Depth=1
	ds_load_b64 v[40:41], v49 offset:16
	ds_load_b64 v[42:43], v50
	s_wait_dscnt 0x0
	v_fma_f64 v[40:41], v[40:41], v[42:43], 0
	s_and_saveexec_b32 s8, s13
	s_cbranch_execz .LBB43_67
; %bb.66:                               ;   in Loop: Header=BB43_3 Depth=1
	ds_load_b64 v[42:43], v51 offset:528
	ds_load_b64 v[44:45], v1 offset:8
	s_wait_dscnt 0x0
	v_fmac_f64_e32 v[40:41], v[42:43], v[44:45]
.LBB43_67:                              ;   in Loop: Header=BB43_3 Depth=1
	s_or_b32 exec_lo, exec_lo, s8
	s_delay_alu instid0(VALU_DEP_1)
	v_xor_b32_e32 v41, 0x80000000, v41
.LBB43_68:                              ;   in Loop: Header=BB43_3 Depth=1
	s_or_b32 exec_lo, exec_lo, s94
	s_and_saveexec_b32 s8, s103
; %bb.69:                               ;   in Loop: Header=BB43_3 Depth=1
	ds_store_b64 v48, v[40:41]
; %bb.70:                               ;   in Loop: Header=BB43_3 Depth=1
	s_or_b32 exec_lo, exec_lo, s8
	s_wait_dscnt 0x0
	s_barrier_signal -1
	s_barrier_wait -1
	s_and_saveexec_b32 s8, s104
	s_cbranch_execz .LBB43_72
; %bb.71:                               ;   in Loop: Header=BB43_3 Depth=1
	ds_load_b64 v[42:43], v1 offset:1048
	ds_load_b64 v[44:45], v48
	s_wait_dscnt 0x0
	v_fmac_f64_e32 v[40:41], v[42:43], v[44:45]
.LBB43_72:                              ;   in Loop: Header=BB43_3 Depth=1
	s_or_b32 exec_lo, exec_lo, s8
	s_barrier_signal -1
	s_barrier_wait -1
	s_and_saveexec_b32 s8, s104
; %bb.73:                               ;   in Loop: Header=BB43_3 Depth=1
	ds_store_b64 v48, v[40:41]
; %bb.74:                               ;   in Loop: Header=BB43_3 Depth=1
	s_or_b32 exec_lo, exec_lo, s8
	s_wait_dscnt 0x0
	s_barrier_signal -1
	s_barrier_wait -1
	s_barrier_signal -1
	s_barrier_wait -1
	s_and_saveexec_b32 s8, s3
; %bb.75:                               ;   in Loop: Header=BB43_3 Depth=1
	v_xor_b32_e32 v41, 0x80000000, v41
	ds_store_b64 v49, v[40:41] offset:16
; %bb.76:                               ;   in Loop: Header=BB43_3 Depth=1
	s_or_b32 exec_lo, exec_lo, s8
	s_wait_dscnt 0x0
	s_barrier_signal -1
	s_barrier_wait -1
	s_barrier_signal -1
	s_barrier_wait -1
	s_and_saveexec_b32 s8, s12
; %bb.77:                               ;   in Loop: Header=BB43_3 Depth=1
	ds_store_2addr_b64 v1, v[30:31], v[30:31] offset0:130 offset1:195
; %bb.78:                               ;   in Loop: Header=BB43_3 Depth=1
	s_or_b32 exec_lo, exec_lo, s8
	v_mov_b64_e32 v[40:41], 0
	s_wait_dscnt 0x0
	s_barrier_signal -1
	s_barrier_wait -1
	s_and_saveexec_b32 s94, s4
	s_cbranch_execz .LBB43_84
; %bb.79:                               ;   in Loop: Header=BB43_3 Depth=1
	ds_load_b64 v[40:41], v55 offset:32
	ds_load_b64 v[42:43], v53
	s_wait_dscnt 0x0
	v_fma_f64 v[40:41], v[40:41], v[42:43], 0
	s_and_saveexec_b32 s8, s14
	s_cbranch_execnz .LBB43_1004
; %bb.80:                               ;   in Loop: Header=BB43_3 Depth=1
	s_or_b32 exec_lo, exec_lo, s8
	s_and_saveexec_b32 s8, s15
	s_cbranch_execnz .LBB43_1005
.LBB43_81:                              ;   in Loop: Header=BB43_3 Depth=1
	s_or_b32 exec_lo, exec_lo, s8
	s_and_saveexec_b32 s8, s3
	s_cbranch_execz .LBB43_83
.LBB43_82:                              ;   in Loop: Header=BB43_3 Depth=1
	ds_load_b64 v[42:43], v51 offset:1568
	ds_load_b64 v[44:45], v1 offset:24
	s_wait_dscnt 0x0
	v_fmac_f64_e32 v[40:41], v[42:43], v[44:45]
.LBB43_83:                              ;   in Loop: Header=BB43_3 Depth=1
	s_or_b32 exec_lo, exec_lo, s8
	s_delay_alu instid0(VALU_DEP_1)
	v_xor_b32_e32 v41, 0x80000000, v41
.LBB43_84:                              ;   in Loop: Header=BB43_3 Depth=1
	s_or_b32 exec_lo, exec_lo, s94
	s_and_saveexec_b32 s8, vcc_hi
; %bb.85:                               ;   in Loop: Header=BB43_3 Depth=1
	ds_store_b64 v54, v[40:41]
; %bb.86:                               ;   in Loop: Header=BB43_3 Depth=1
	s_or_b32 exec_lo, exec_lo, s8
	s_wait_dscnt 0x0
	s_barrier_signal -1
	s_barrier_wait -1
	s_and_saveexec_b32 s8, s34
	s_cbranch_execz .LBB43_88
; %bb.87:                               ;   in Loop: Header=BB43_3 Depth=1
	ds_load_b64 v[42:43], v52 offset:2080
	ds_load_b64 v[44:45], v54
	s_wait_dscnt 0x0
	v_fmac_f64_e32 v[40:41], v[42:43], v[44:45]
.LBB43_88:                              ;   in Loop: Header=BB43_3 Depth=1
	s_or_b32 exec_lo, exec_lo, s8
	s_barrier_signal -1
	s_barrier_wait -1
	s_and_saveexec_b32 s8, s35
; %bb.89:                               ;   in Loop: Header=BB43_3 Depth=1
	ds_store_b64 v54, v[40:41]
; %bb.90:                               ;   in Loop: Header=BB43_3 Depth=1
	s_or_b32 exec_lo, exec_lo, s8
	s_wait_dscnt 0x0
	s_barrier_signal -1
	s_barrier_wait -1
	s_and_saveexec_b32 s8, s36
	s_cbranch_execz .LBB43_92
; %bb.91:                               ;   in Loop: Header=BB43_3 Depth=1
	ds_load_b64 v[42:43], v52 offset:2592
	ds_load_b64 v[44:45], v54
	s_wait_dscnt 0x0
	v_fmac_f64_e32 v[40:41], v[42:43], v[44:45]
.LBB43_92:                              ;   in Loop: Header=BB43_3 Depth=1
	s_or_b32 exec_lo, exec_lo, s8
	s_barrier_signal -1
	s_barrier_wait -1
	s_and_saveexec_b32 s8, s37
	;; [unrolled: 19-line block ×3, first 2 shown]
; %bb.97:                               ;   in Loop: Header=BB43_3 Depth=1
	ds_store_b64 v54, v[40:41]
; %bb.98:                               ;   in Loop: Header=BB43_3 Depth=1
	s_or_b32 exec_lo, exec_lo, s8
	s_wait_dscnt 0x0
	s_barrier_signal -1
	s_barrier_wait -1
	s_barrier_signal -1
	s_barrier_wait -1
	s_and_saveexec_b32 s8, s4
; %bb.99:                               ;   in Loop: Header=BB43_3 Depth=1
	v_xor_b32_e32 v41, 0x80000000, v41
	ds_store_b64 v55, v[40:41] offset:32
; %bb.100:                              ;   in Loop: Header=BB43_3 Depth=1
	s_or_b32 exec_lo, exec_lo, s8
	s_wait_dscnt 0x0
	s_barrier_signal -1
	s_barrier_wait -1
	s_barrier_signal -1
	s_barrier_wait -1
	s_and_saveexec_b32 s8, s12
; %bb.101:                              ;   in Loop: Header=BB43_3 Depth=1
	v_add_nc_u32_e64 v0, 0x800, 0
	ds_store_2addr_b64 v0, v[30:31], v[30:31] offset0:4 offset1:69
; %bb.102:                              ;   in Loop: Header=BB43_3 Depth=1
	s_or_b32 exec_lo, exec_lo, s8
	v_mov_b64_e32 v[40:41], 0
	s_wait_dscnt 0x0
	s_barrier_signal -1
	s_barrier_wait -1
	s_and_saveexec_b32 s94, s3
	s_cbranch_execz .LBB43_106
; %bb.103:                              ;   in Loop: Header=BB43_3 Depth=1
	ds_load_b64 v[40:41], v49 offset:2096
	ds_load_b64 v[42:43], v50 offset:2080
	s_wait_dscnt 0x0
	v_fma_f64 v[40:41], v[40:41], v[42:43], 0
	s_and_saveexec_b32 s8, s13
	s_cbranch_execz .LBB43_105
; %bb.104:                              ;   in Loop: Header=BB43_3 Depth=1
	ds_load_b64 v[42:43], v51 offset:2608
	ds_load_b64 v[44:45], v1 offset:2088
	s_wait_dscnt 0x0
	v_fmac_f64_e32 v[40:41], v[42:43], v[44:45]
.LBB43_105:                             ;   in Loop: Header=BB43_3 Depth=1
	s_or_b32 exec_lo, exec_lo, s8
	s_delay_alu instid0(VALU_DEP_1)
	v_xor_b32_e32 v41, 0x80000000, v41
.LBB43_106:                             ;   in Loop: Header=BB43_3 Depth=1
	s_or_b32 exec_lo, exec_lo, s94
	s_and_saveexec_b32 s8, s103
; %bb.107:                              ;   in Loop: Header=BB43_3 Depth=1
	ds_store_b64 v48, v[40:41]
; %bb.108:                              ;   in Loop: Header=BB43_3 Depth=1
	s_or_b32 exec_lo, exec_lo, s8
	s_wait_dscnt 0x0
	s_barrier_signal -1
	s_barrier_wait -1
	s_and_saveexec_b32 s8, s104
	s_cbranch_execz .LBB43_110
; %bb.109:                              ;   in Loop: Header=BB43_3 Depth=1
	ds_load_b64 v[42:43], v1 offset:3128
	ds_load_b64 v[44:45], v48
	s_wait_dscnt 0x0
	v_fmac_f64_e32 v[40:41], v[42:43], v[44:45]
.LBB43_110:                             ;   in Loop: Header=BB43_3 Depth=1
	s_or_b32 exec_lo, exec_lo, s8
	s_barrier_signal -1
	s_barrier_wait -1
	s_and_saveexec_b32 s8, s104
; %bb.111:                              ;   in Loop: Header=BB43_3 Depth=1
	ds_store_b64 v48, v[40:41]
; %bb.112:                              ;   in Loop: Header=BB43_3 Depth=1
	s_or_b32 exec_lo, exec_lo, s8
	s_wait_dscnt 0x0
	s_barrier_signal -1
	s_barrier_wait -1
	s_barrier_signal -1
	s_barrier_wait -1
	s_and_saveexec_b32 s8, s3
; %bb.113:                              ;   in Loop: Header=BB43_3 Depth=1
	v_xor_b32_e32 v41, 0x80000000, v41
	ds_store_b64 v49, v[40:41] offset:2096
; %bb.114:                              ;   in Loop: Header=BB43_3 Depth=1
	s_or_b32 exec_lo, exec_lo, s8
	s_wait_dscnt 0x0
	s_barrier_signal -1
	s_barrier_wait -1
	s_barrier_signal -1
	s_barrier_wait -1
	s_and_saveexec_b32 s8, s12
; %bb.115:                              ;   in Loop: Header=BB43_3 Depth=1
	v_add_nc_u32_e64 v0, 0x800, 0
	ds_store_2addr_b64 v0, v[30:31], v[30:31] offset0:134 offset1:199
; %bb.116:                              ;   in Loop: Header=BB43_3 Depth=1
	s_or_b32 exec_lo, exec_lo, s8
	v_mov_b64_e32 v[40:41], 0
	s_wait_dscnt 0x0
	s_barrier_signal -1
	s_barrier_wait -1
	s_and_saveexec_b32 s94, s5
	s_cbranch_execz .LBB43_126
; %bb.117:                              ;   in Loop: Header=BB43_3 Depth=1
	ds_load_b64 v[40:41], v60 offset:64
	ds_load_b64 v[42:43], v57
	s_wait_dscnt 0x0
	v_fma_f64 v[40:41], v[40:41], v[42:43], 0
	s_and_saveexec_b32 s8, s16
	s_cbranch_execnz .LBB43_1006
; %bb.118:                              ;   in Loop: Header=BB43_3 Depth=1
	s_or_b32 exec_lo, exec_lo, s8
	s_and_saveexec_b32 s8, s17
	s_cbranch_execnz .LBB43_1007
.LBB43_119:                             ;   in Loop: Header=BB43_3 Depth=1
	s_or_b32 exec_lo, exec_lo, s8
	s_and_saveexec_b32 s8, s18
	s_cbranch_execnz .LBB43_1008
.LBB43_120:                             ;   in Loop: Header=BB43_3 Depth=1
	s_or_b32 exec_lo, exec_lo, s8
	s_and_saveexec_b32 s8, s19
	s_cbranch_execnz .LBB43_1009
.LBB43_121:                             ;   in Loop: Header=BB43_3 Depth=1
	s_or_b32 exec_lo, exec_lo, s8
	s_and_saveexec_b32 s8, s20
	s_cbranch_execnz .LBB43_1010
.LBB43_122:                             ;   in Loop: Header=BB43_3 Depth=1
	s_or_b32 exec_lo, exec_lo, s8
	s_and_saveexec_b32 s8, s4
	s_cbranch_execnz .LBB43_1011
.LBB43_123:                             ;   in Loop: Header=BB43_3 Depth=1
	s_or_b32 exec_lo, exec_lo, s8
	s_and_saveexec_b32 s8, s15
	s_cbranch_execz .LBB43_125
.LBB43_124:                             ;   in Loop: Header=BB43_3 Depth=1
	ds_load_b64 v[42:43], v51 offset:3648
	ds_load_b64 v[44:45], v1 offset:56
	s_wait_dscnt 0x0
	v_fmac_f64_e32 v[40:41], v[42:43], v[44:45]
.LBB43_125:                             ;   in Loop: Header=BB43_3 Depth=1
	s_or_b32 exec_lo, exec_lo, s8
	s_delay_alu instid0(VALU_DEP_1)
	v_xor_b32_e32 v41, 0x80000000, v41
.LBB43_126:                             ;   in Loop: Header=BB43_3 Depth=1
	s_or_b32 exec_lo, exec_lo, s94
	s_and_saveexec_b32 s8, s39
; %bb.127:                              ;   in Loop: Header=BB43_3 Depth=1
	ds_store_b64 v59, v[40:41]
; %bb.128:                              ;   in Loop: Header=BB43_3 Depth=1
	s_or_b32 exec_lo, exec_lo, s8
	s_wait_dscnt 0x0
	s_barrier_signal -1
	s_barrier_wait -1
	s_and_saveexec_b32 s8, s40
	s_cbranch_execz .LBB43_130
; %bb.129:                              ;   in Loop: Header=BB43_3 Depth=1
	ds_load_b64 v[42:43], v58 offset:4160
	ds_load_b64 v[44:45], v59
	s_wait_dscnt 0x0
	v_fmac_f64_e32 v[40:41], v[42:43], v[44:45]
.LBB43_130:                             ;   in Loop: Header=BB43_3 Depth=1
	s_or_b32 exec_lo, exec_lo, s8
	s_barrier_signal -1
	s_barrier_wait -1
	s_and_saveexec_b32 s8, s41
; %bb.131:                              ;   in Loop: Header=BB43_3 Depth=1
	ds_store_b64 v59, v[40:41]
; %bb.132:                              ;   in Loop: Header=BB43_3 Depth=1
	s_or_b32 exec_lo, exec_lo, s8
	s_wait_dscnt 0x0
	s_barrier_signal -1
	s_barrier_wait -1
	s_and_saveexec_b32 s8, s42
	s_cbranch_execz .LBB43_134
; %bb.133:                              ;   in Loop: Header=BB43_3 Depth=1
	ds_load_b64 v[42:43], v58 offset:4672
	ds_load_b64 v[44:45], v59
	s_wait_dscnt 0x0
	v_fmac_f64_e32 v[40:41], v[42:43], v[44:45]
.LBB43_134:                             ;   in Loop: Header=BB43_3 Depth=1
	s_or_b32 exec_lo, exec_lo, s8
	s_barrier_signal -1
	s_barrier_wait -1
	;; [unrolled: 19-line block ×7, first 2 shown]
	s_and_saveexec_b32 s8, s52
; %bb.155:                              ;   in Loop: Header=BB43_3 Depth=1
	ds_store_b64 v59, v[40:41]
; %bb.156:                              ;   in Loop: Header=BB43_3 Depth=1
	s_or_b32 exec_lo, exec_lo, s8
	s_wait_dscnt 0x0
	s_barrier_signal -1
	s_barrier_wait -1
	s_barrier_signal -1
	s_barrier_wait -1
	s_and_saveexec_b32 s8, s5
; %bb.157:                              ;   in Loop: Header=BB43_3 Depth=1
	v_xor_b32_e32 v41, 0x80000000, v41
	ds_store_b64 v60, v[40:41] offset:64
; %bb.158:                              ;   in Loop: Header=BB43_3 Depth=1
	s_or_b32 exec_lo, exec_lo, s8
	s_wait_dscnt 0x0
	s_barrier_signal -1
	s_barrier_wait -1
	s_barrier_signal -1
	s_barrier_wait -1
	s_and_saveexec_b32 s8, s12
; %bb.159:                              ;   in Loop: Header=BB43_3 Depth=1
	v_add_nc_u32_e64 v0, 0x1000, 0
	ds_store_2addr_b64 v0, v[30:31], v[30:31] offset0:8 offset1:73
; %bb.160:                              ;   in Loop: Header=BB43_3 Depth=1
	s_or_b32 exec_lo, exec_lo, s8
	v_mov_b64_e32 v[40:41], 0
	s_wait_dscnt 0x0
	s_barrier_signal -1
	s_barrier_wait -1
	s_and_saveexec_b32 s94, s3
	s_cbranch_execz .LBB43_164
; %bb.161:                              ;   in Loop: Header=BB43_3 Depth=1
	ds_load_b64 v[40:41], v49 offset:4176
	ds_load_b64 v[42:43], v50 offset:4160
	s_wait_dscnt 0x0
	v_fma_f64 v[40:41], v[40:41], v[42:43], 0
	s_and_saveexec_b32 s8, s13
	s_cbranch_execz .LBB43_163
; %bb.162:                              ;   in Loop: Header=BB43_3 Depth=1
	ds_load_b64 v[42:43], v51 offset:4688
	ds_load_b64 v[44:45], v1 offset:4168
	s_wait_dscnt 0x0
	v_fmac_f64_e32 v[40:41], v[42:43], v[44:45]
.LBB43_163:                             ;   in Loop: Header=BB43_3 Depth=1
	s_or_b32 exec_lo, exec_lo, s8
	s_delay_alu instid0(VALU_DEP_1)
	v_xor_b32_e32 v41, 0x80000000, v41
.LBB43_164:                             ;   in Loop: Header=BB43_3 Depth=1
	s_or_b32 exec_lo, exec_lo, s94
	s_and_saveexec_b32 s8, s103
; %bb.165:                              ;   in Loop: Header=BB43_3 Depth=1
	ds_store_b64 v48, v[40:41]
; %bb.166:                              ;   in Loop: Header=BB43_3 Depth=1
	s_or_b32 exec_lo, exec_lo, s8
	s_wait_dscnt 0x0
	s_barrier_signal -1
	s_barrier_wait -1
	s_and_saveexec_b32 s8, s104
	s_cbranch_execz .LBB43_168
; %bb.167:                              ;   in Loop: Header=BB43_3 Depth=1
	ds_load_b64 v[42:43], v1 offset:5208
	ds_load_b64 v[44:45], v48
	s_wait_dscnt 0x0
	v_fmac_f64_e32 v[40:41], v[42:43], v[44:45]
.LBB43_168:                             ;   in Loop: Header=BB43_3 Depth=1
	s_or_b32 exec_lo, exec_lo, s8
	s_barrier_signal -1
	s_barrier_wait -1
	s_and_saveexec_b32 s8, s104
; %bb.169:                              ;   in Loop: Header=BB43_3 Depth=1
	ds_store_b64 v48, v[40:41]
; %bb.170:                              ;   in Loop: Header=BB43_3 Depth=1
	s_or_b32 exec_lo, exec_lo, s8
	s_wait_dscnt 0x0
	s_barrier_signal -1
	s_barrier_wait -1
	s_barrier_signal -1
	s_barrier_wait -1
	s_and_saveexec_b32 s8, s3
; %bb.171:                              ;   in Loop: Header=BB43_3 Depth=1
	v_xor_b32_e32 v41, 0x80000000, v41
	ds_store_b64 v49, v[40:41] offset:4176
; %bb.172:                              ;   in Loop: Header=BB43_3 Depth=1
	s_or_b32 exec_lo, exec_lo, s8
	s_wait_dscnt 0x0
	s_barrier_signal -1
	s_barrier_wait -1
	s_barrier_signal -1
	s_barrier_wait -1
	s_and_saveexec_b32 s8, s12
; %bb.173:                              ;   in Loop: Header=BB43_3 Depth=1
	v_add_nc_u32_e64 v0, 0x1000, 0
	ds_store_2addr_b64 v0, v[30:31], v[30:31] offset0:138 offset1:203
; %bb.174:                              ;   in Loop: Header=BB43_3 Depth=1
	s_or_b32 exec_lo, exec_lo, s8
	v_mov_b64_e32 v[40:41], 0
	s_wait_dscnt 0x0
	s_barrier_signal -1
	s_barrier_wait -1
	s_and_saveexec_b32 s94, s4
	s_cbranch_execz .LBB43_180
; %bb.175:                              ;   in Loop: Header=BB43_3 Depth=1
	ds_load_b64 v[40:41], v55 offset:4192
	ds_load_b64 v[42:43], v53 offset:4160
	s_wait_dscnt 0x0
	v_fma_f64 v[40:41], v[40:41], v[42:43], 0
	s_and_saveexec_b32 s8, s14
	s_cbranch_execnz .LBB43_1012
; %bb.176:                              ;   in Loop: Header=BB43_3 Depth=1
	s_or_b32 exec_lo, exec_lo, s8
	s_and_saveexec_b32 s8, s15
	s_cbranch_execnz .LBB43_1013
.LBB43_177:                             ;   in Loop: Header=BB43_3 Depth=1
	s_or_b32 exec_lo, exec_lo, s8
	s_and_saveexec_b32 s8, s3
	s_cbranch_execz .LBB43_179
.LBB43_178:                             ;   in Loop: Header=BB43_3 Depth=1
	ds_load_b64 v[42:43], v51 offset:5728
	ds_load_b64 v[44:45], v1 offset:4184
	s_wait_dscnt 0x0
	v_fmac_f64_e32 v[40:41], v[42:43], v[44:45]
.LBB43_179:                             ;   in Loop: Header=BB43_3 Depth=1
	s_or_b32 exec_lo, exec_lo, s8
	s_delay_alu instid0(VALU_DEP_1)
	v_xor_b32_e32 v41, 0x80000000, v41
.LBB43_180:                             ;   in Loop: Header=BB43_3 Depth=1
	s_or_b32 exec_lo, exec_lo, s94
	s_and_saveexec_b32 s8, vcc_hi
; %bb.181:                              ;   in Loop: Header=BB43_3 Depth=1
	ds_store_b64 v54, v[40:41]
; %bb.182:                              ;   in Loop: Header=BB43_3 Depth=1
	s_or_b32 exec_lo, exec_lo, s8
	s_wait_dscnt 0x0
	s_barrier_signal -1
	s_barrier_wait -1
	s_and_saveexec_b32 s8, s34
	s_cbranch_execz .LBB43_184
; %bb.183:                              ;   in Loop: Header=BB43_3 Depth=1
	ds_load_b64 v[42:43], v52 offset:6240
	ds_load_b64 v[44:45], v54
	s_wait_dscnt 0x0
	v_fmac_f64_e32 v[40:41], v[42:43], v[44:45]
.LBB43_184:                             ;   in Loop: Header=BB43_3 Depth=1
	s_or_b32 exec_lo, exec_lo, s8
	s_barrier_signal -1
	s_barrier_wait -1
	s_and_saveexec_b32 s8, s35
; %bb.185:                              ;   in Loop: Header=BB43_3 Depth=1
	ds_store_b64 v54, v[40:41]
; %bb.186:                              ;   in Loop: Header=BB43_3 Depth=1
	s_or_b32 exec_lo, exec_lo, s8
	s_wait_dscnt 0x0
	s_barrier_signal -1
	s_barrier_wait -1
	s_and_saveexec_b32 s8, s36
	s_cbranch_execz .LBB43_188
; %bb.187:                              ;   in Loop: Header=BB43_3 Depth=1
	ds_load_b64 v[42:43], v52 offset:6752
	ds_load_b64 v[44:45], v54
	s_wait_dscnt 0x0
	v_fmac_f64_e32 v[40:41], v[42:43], v[44:45]
.LBB43_188:                             ;   in Loop: Header=BB43_3 Depth=1
	s_or_b32 exec_lo, exec_lo, s8
	s_barrier_signal -1
	s_barrier_wait -1
	s_and_saveexec_b32 s8, s37
	;; [unrolled: 19-line block ×3, first 2 shown]
; %bb.193:                              ;   in Loop: Header=BB43_3 Depth=1
	ds_store_b64 v54, v[40:41]
; %bb.194:                              ;   in Loop: Header=BB43_3 Depth=1
	s_or_b32 exec_lo, exec_lo, s8
	s_wait_dscnt 0x0
	s_barrier_signal -1
	s_barrier_wait -1
	s_barrier_signal -1
	s_barrier_wait -1
	s_and_saveexec_b32 s8, s4
; %bb.195:                              ;   in Loop: Header=BB43_3 Depth=1
	v_xor_b32_e32 v41, 0x80000000, v41
	ds_store_b64 v55, v[40:41] offset:4192
; %bb.196:                              ;   in Loop: Header=BB43_3 Depth=1
	s_or_b32 exec_lo, exec_lo, s8
	s_wait_dscnt 0x0
	s_barrier_signal -1
	s_barrier_wait -1
	s_barrier_signal -1
	s_barrier_wait -1
	s_and_saveexec_b32 s8, s12
; %bb.197:                              ;   in Loop: Header=BB43_3 Depth=1
	v_add_nc_u32_e64 v0, 0x1800, 0
	ds_store_2addr_b64 v0, v[30:31], v[30:31] offset0:12 offset1:77
; %bb.198:                              ;   in Loop: Header=BB43_3 Depth=1
	s_or_b32 exec_lo, exec_lo, s8
	v_mov_b64_e32 v[40:41], 0
	s_wait_dscnt 0x0
	s_barrier_signal -1
	s_barrier_wait -1
	s_and_saveexec_b32 s94, s3
	s_cbranch_execz .LBB43_202
; %bb.199:                              ;   in Loop: Header=BB43_3 Depth=1
	ds_load_b64 v[40:41], v49 offset:6256
	ds_load_b64 v[42:43], v50 offset:6240
	s_wait_dscnt 0x0
	v_fma_f64 v[40:41], v[40:41], v[42:43], 0
	s_and_saveexec_b32 s8, s13
	s_cbranch_execz .LBB43_201
; %bb.200:                              ;   in Loop: Header=BB43_3 Depth=1
	ds_load_b64 v[42:43], v51 offset:6768
	ds_load_b64 v[44:45], v1 offset:6248
	s_wait_dscnt 0x0
	v_fmac_f64_e32 v[40:41], v[42:43], v[44:45]
.LBB43_201:                             ;   in Loop: Header=BB43_3 Depth=1
	s_or_b32 exec_lo, exec_lo, s8
	s_delay_alu instid0(VALU_DEP_1)
	v_xor_b32_e32 v41, 0x80000000, v41
.LBB43_202:                             ;   in Loop: Header=BB43_3 Depth=1
	s_or_b32 exec_lo, exec_lo, s94
	s_and_saveexec_b32 s8, s103
; %bb.203:                              ;   in Loop: Header=BB43_3 Depth=1
	ds_store_b64 v48, v[40:41]
; %bb.204:                              ;   in Loop: Header=BB43_3 Depth=1
	s_or_b32 exec_lo, exec_lo, s8
	s_wait_dscnt 0x0
	s_barrier_signal -1
	s_barrier_wait -1
	s_and_saveexec_b32 s8, s104
	s_cbranch_execz .LBB43_206
; %bb.205:                              ;   in Loop: Header=BB43_3 Depth=1
	ds_load_b64 v[42:43], v1 offset:7288
	ds_load_b64 v[44:45], v48
	s_wait_dscnt 0x0
	v_fmac_f64_e32 v[40:41], v[42:43], v[44:45]
.LBB43_206:                             ;   in Loop: Header=BB43_3 Depth=1
	s_or_b32 exec_lo, exec_lo, s8
	s_barrier_signal -1
	s_barrier_wait -1
	s_and_saveexec_b32 s8, s104
; %bb.207:                              ;   in Loop: Header=BB43_3 Depth=1
	ds_store_b64 v48, v[40:41]
; %bb.208:                              ;   in Loop: Header=BB43_3 Depth=1
	s_or_b32 exec_lo, exec_lo, s8
	s_wait_dscnt 0x0
	s_barrier_signal -1
	s_barrier_wait -1
	s_barrier_signal -1
	s_barrier_wait -1
	s_and_saveexec_b32 s8, s3
; %bb.209:                              ;   in Loop: Header=BB43_3 Depth=1
	v_xor_b32_e32 v41, 0x80000000, v41
	ds_store_b64 v49, v[40:41] offset:6256
; %bb.210:                              ;   in Loop: Header=BB43_3 Depth=1
	s_or_b32 exec_lo, exec_lo, s8
	s_wait_dscnt 0x0
	s_barrier_signal -1
	s_barrier_wait -1
	s_barrier_signal -1
	s_barrier_wait -1
	s_and_saveexec_b32 s8, s12
; %bb.211:                              ;   in Loop: Header=BB43_3 Depth=1
	v_add_nc_u32_e64 v0, 0x1800, 0
	ds_store_2addr_b64 v0, v[30:31], v[30:31] offset0:142 offset1:207
; %bb.212:                              ;   in Loop: Header=BB43_3 Depth=1
	s_or_b32 exec_lo, exec_lo, s8
	v_mov_b64_e32 v[40:41], 0
	s_wait_dscnt 0x0
	s_barrier_signal -1
	s_barrier_wait -1
	s_and_saveexec_b32 s94, s6
	s_cbranch_execz .LBB43_240
; %bb.213:                              ;   in Loop: Header=BB43_3 Depth=1
	ds_load_b64 v[40:41], v65 offset:128
	ds_load_b64 v[42:43], v62
	s_wait_dscnt 0x0
	v_fma_f64 v[40:41], v[40:41], v[42:43], 0
	s_mov_b32 s8, exec_lo
	v_readlane_b32 s9, v85, 23
	s_and_b32 s9, s8, s9
	s_delay_alu instid0(SALU_CYCLE_1)
	s_mov_b32 exec_lo, s9
	s_cbranch_execz .LBB43_215
; %bb.214:                              ;   in Loop: Header=BB43_3 Depth=1
	ds_load_b64 v[42:43], v66 offset:640
	ds_load_b64 v[44:45], v62 offset:8
	s_wait_dscnt 0x0
	v_fmac_f64_e32 v[40:41], v[42:43], v[44:45]
.LBB43_215:                             ;   in Loop: Header=BB43_3 Depth=1
	s_or_b32 exec_lo, exec_lo, s8
	s_delay_alu instid0(SALU_CYCLE_1) | instskip(SKIP_2) | instid1(SALU_CYCLE_1)
	s_mov_b32 s8, exec_lo
	v_readlane_b32 s9, v85, 24
	s_and_b32 s9, s8, s9
	s_mov_b32 exec_lo, s9
	s_cbranch_execz .LBB43_217
; %bb.216:                              ;   in Loop: Header=BB43_3 Depth=1
	ds_load_b64 v[42:43], v66 offset:1152
	ds_load_b64 v[44:45], v62 offset:16
	s_wait_dscnt 0x0
	v_fmac_f64_e32 v[40:41], v[42:43], v[44:45]
.LBB43_217:                             ;   in Loop: Header=BB43_3 Depth=1
	s_or_b32 exec_lo, exec_lo, s8
	s_delay_alu instid0(SALU_CYCLE_1) | instskip(SKIP_2) | instid1(SALU_CYCLE_1)
	s_mov_b32 s8, exec_lo
	v_readlane_b32 s9, v85, 25
	s_and_b32 s9, s8, s9
	;; [unrolled: 13-line block ×8, first 2 shown]
	s_mov_b32 exec_lo, s9
	s_cbranch_execz .LBB43_231
; %bb.230:                              ;   in Loop: Header=BB43_3 Depth=1
	ds_load_b64 v[42:43], v66 offset:4736
	ds_load_b64 v[44:45], v62 offset:72
	s_wait_dscnt 0x0
	v_fmac_f64_e32 v[40:41], v[42:43], v[44:45]
.LBB43_231:                             ;   in Loop: Header=BB43_3 Depth=1
	s_or_b32 exec_lo, exec_lo, s8
	s_and_saveexec_b32 s8, s10
	s_cbranch_execz .LBB43_233
; %bb.232:                              ;   in Loop: Header=BB43_3 Depth=1
	ds_load_b64 v[42:43], v66 offset:5248
	ds_load_b64 v[44:45], v62 offset:80
	s_wait_dscnt 0x0
	v_fmac_f64_e32 v[40:41], v[42:43], v[44:45]
.LBB43_233:                             ;   in Loop: Header=BB43_3 Depth=1
	s_or_b32 exec_lo, exec_lo, s8
	s_delay_alu instid0(SALU_CYCLE_1) | instskip(SKIP_2) | instid1(SALU_CYCLE_1)
	s_mov_b32 s8, exec_lo
	v_readlane_b32 s9, v84, 0
	s_and_b32 s9, s8, s9
	s_mov_b32 exec_lo, s9
	s_cbranch_execnz .LBB43_1014
; %bb.234:                              ;   in Loop: Header=BB43_3 Depth=1
	s_or_b32 exec_lo, exec_lo, s8
	s_and_saveexec_b32 s8, s5
	s_cbranch_execnz .LBB43_1015
.LBB43_235:                             ;   in Loop: Header=BB43_3 Depth=1
	s_or_b32 exec_lo, exec_lo, s8
	s_and_saveexec_b32 s8, s17
	s_cbranch_execnz .LBB43_1016
.LBB43_236:                             ;   in Loop: Header=BB43_3 Depth=1
	s_or_b32 exec_lo, exec_lo, s8
	s_and_saveexec_b32 s8, s19
	s_cbranch_execnz .LBB43_1017
.LBB43_237:                             ;   in Loop: Header=BB43_3 Depth=1
	s_or_b32 exec_lo, exec_lo, s8
	s_and_saveexec_b32 s8, s4
	s_cbranch_execz .LBB43_239
.LBB43_238:                             ;   in Loop: Header=BB43_3 Depth=1
	ds_load_b64 v[42:43], v51 offset:7808
	ds_load_b64 v[44:45], v1 offset:120
	s_wait_dscnt 0x0
	v_fmac_f64_e32 v[40:41], v[42:43], v[44:45]
.LBB43_239:                             ;   in Loop: Header=BB43_3 Depth=1
	s_or_b32 exec_lo, exec_lo, s8
	s_delay_alu instid0(VALU_DEP_1)
	v_xor_b32_e32 v41, 0x80000000, v41
.LBB43_240:                             ;   in Loop: Header=BB43_3 Depth=1
	s_or_b32 exec_lo, exec_lo, s94
	s_delay_alu instid0(SALU_CYCLE_1) | instskip(SKIP_2) | instid1(SALU_CYCLE_1)
	s_mov_b32 s8, exec_lo
	v_readlane_b32 s9, v85, 6
	s_and_b32 s9, s8, s9
	s_mov_b32 exec_lo, s9
; %bb.241:                              ;   in Loop: Header=BB43_3 Depth=1
	ds_store_b64 v64, v[40:41]
; %bb.242:                              ;   in Loop: Header=BB43_3 Depth=1
	s_or_b32 exec_lo, exec_lo, s8
	s_wait_dscnt 0x0
	s_barrier_signal -1
	s_barrier_wait -1
	s_mov_b32 s8, exec_lo
	v_readlane_b32 s9, v85, 7
	s_and_b32 s9, s8, s9
	s_delay_alu instid0(SALU_CYCLE_1)
	s_mov_b32 exec_lo, s9
	s_cbranch_execz .LBB43_244
; %bb.243:                              ;   in Loop: Header=BB43_3 Depth=1
	ds_load_b64 v[42:43], v63 offset:8320
	ds_load_b64 v[44:45], v64
	s_wait_dscnt 0x0
	v_fmac_f64_e32 v[40:41], v[42:43], v[44:45]
.LBB43_244:                             ;   in Loop: Header=BB43_3 Depth=1
	s_or_b32 exec_lo, exec_lo, s8
	s_barrier_signal -1
	s_barrier_wait -1
	s_mov_b32 s8, exec_lo
	v_readlane_b32 s9, v85, 8
	s_and_b32 s9, s8, s9
	s_delay_alu instid0(SALU_CYCLE_1)
	s_mov_b32 exec_lo, s9
; %bb.245:                              ;   in Loop: Header=BB43_3 Depth=1
	ds_store_b64 v64, v[40:41]
; %bb.246:                              ;   in Loop: Header=BB43_3 Depth=1
	s_or_b32 exec_lo, exec_lo, s8
	s_wait_dscnt 0x0
	s_barrier_signal -1
	s_barrier_wait -1
	s_mov_b32 s8, exec_lo
	v_readlane_b32 s9, v85, 9
	s_and_b32 s9, s8, s9
	s_delay_alu instid0(SALU_CYCLE_1)
	s_mov_b32 exec_lo, s9
	s_cbranch_execz .LBB43_248
; %bb.247:                              ;   in Loop: Header=BB43_3 Depth=1
	ds_load_b64 v[42:43], v63 offset:8832
	ds_load_b64 v[44:45], v64
	s_wait_dscnt 0x0
	v_fmac_f64_e32 v[40:41], v[42:43], v[44:45]
.LBB43_248:                             ;   in Loop: Header=BB43_3 Depth=1
	s_or_b32 exec_lo, exec_lo, s8
	s_barrier_signal -1
	s_barrier_wait -1
	s_and_saveexec_b32 s8, s21
; %bb.249:                              ;   in Loop: Header=BB43_3 Depth=1
	ds_store_b64 v64, v[40:41]
; %bb.250:                              ;   in Loop: Header=BB43_3 Depth=1
	s_or_b32 exec_lo, exec_lo, s8
	s_wait_dscnt 0x0
	s_barrier_signal -1
	s_barrier_wait -1
	s_and_saveexec_b32 s8, s23
	s_cbranch_execz .LBB43_252
; %bb.251:                              ;   in Loop: Header=BB43_3 Depth=1
	ds_load_b64 v[42:43], v63 offset:9344
	ds_load_b64 v[44:45], v64
	s_wait_dscnt 0x0
	v_fmac_f64_e32 v[40:41], v[42:43], v[44:45]
.LBB43_252:                             ;   in Loop: Header=BB43_3 Depth=1
	s_or_b32 exec_lo, exec_lo, s8
	s_barrier_signal -1
	s_barrier_wait -1
	s_and_saveexec_b32 s8, s25
; %bb.253:                              ;   in Loop: Header=BB43_3 Depth=1
	ds_store_b64 v64, v[40:41]
; %bb.254:                              ;   in Loop: Header=BB43_3 Depth=1
	s_or_b32 exec_lo, exec_lo, s8
	s_wait_dscnt 0x0
	s_barrier_signal -1
	s_barrier_wait -1
	s_and_saveexec_b32 s8, s27
	;; [unrolled: 19-line block ×13, first 2 shown]
	s_cbranch_execz .LBB43_300
; %bb.299:                              ;   in Loop: Header=BB43_3 Depth=1
	ds_load_b64 v[42:43], v1 offset:15608
	ds_load_b64 v[44:45], v64
	s_wait_dscnt 0x0
	v_fmac_f64_e32 v[40:41], v[42:43], v[44:45]
.LBB43_300:                             ;   in Loop: Header=BB43_3 Depth=1
	s_or_b32 exec_lo, exec_lo, s8
	s_barrier_signal -1
	s_barrier_wait -1
	s_and_saveexec_b32 s8, s53
; %bb.301:                              ;   in Loop: Header=BB43_3 Depth=1
	ds_store_b64 v64, v[40:41]
; %bb.302:                              ;   in Loop: Header=BB43_3 Depth=1
	s_or_b32 exec_lo, exec_lo, s8
	s_wait_dscnt 0x0
	s_barrier_signal -1
	s_barrier_wait -1
	s_barrier_signal -1
	s_barrier_wait -1
	s_and_saveexec_b32 s8, s6
; %bb.303:                              ;   in Loop: Header=BB43_3 Depth=1
	v_xor_b32_e32 v41, 0x80000000, v41
	ds_store_b64 v65, v[40:41] offset:128
; %bb.304:                              ;   in Loop: Header=BB43_3 Depth=1
	s_or_b32 exec_lo, exec_lo, s8
	s_wait_dscnt 0x0
	s_barrier_signal -1
	s_barrier_wait -1
	s_barrier_signal -1
	s_barrier_wait -1
	s_and_saveexec_b32 s8, s12
; %bb.305:                              ;   in Loop: Header=BB43_3 Depth=1
	v_add_nc_u32_e64 v0, 0x2000, 0
	ds_store_2addr_b64 v0, v[30:31], v[30:31] offset0:16 offset1:81
; %bb.306:                              ;   in Loop: Header=BB43_3 Depth=1
	s_or_b32 exec_lo, exec_lo, s8
	v_mov_b64_e32 v[40:41], 0
	s_wait_dscnt 0x0
	s_barrier_signal -1
	s_barrier_wait -1
	s_and_saveexec_b32 s94, s3
	s_cbranch_execz .LBB43_310
; %bb.307:                              ;   in Loop: Header=BB43_3 Depth=1
	ds_load_b64 v[40:41], v49 offset:8336
	ds_load_b64 v[42:43], v50 offset:8320
	s_wait_dscnt 0x0
	v_fma_f64 v[40:41], v[40:41], v[42:43], 0
	s_and_saveexec_b32 s8, s13
	s_cbranch_execz .LBB43_309
; %bb.308:                              ;   in Loop: Header=BB43_3 Depth=1
	ds_load_b64 v[42:43], v51 offset:8848
	ds_load_b64 v[44:45], v1 offset:8328
	s_wait_dscnt 0x0
	v_fmac_f64_e32 v[40:41], v[42:43], v[44:45]
.LBB43_309:                             ;   in Loop: Header=BB43_3 Depth=1
	s_or_b32 exec_lo, exec_lo, s8
	s_delay_alu instid0(VALU_DEP_1)
	v_xor_b32_e32 v41, 0x80000000, v41
.LBB43_310:                             ;   in Loop: Header=BB43_3 Depth=1
	s_or_b32 exec_lo, exec_lo, s94
	s_and_saveexec_b32 s8, s103
; %bb.311:                              ;   in Loop: Header=BB43_3 Depth=1
	ds_store_b64 v48, v[40:41]
; %bb.312:                              ;   in Loop: Header=BB43_3 Depth=1
	s_or_b32 exec_lo, exec_lo, s8
	s_wait_dscnt 0x0
	s_barrier_signal -1
	s_barrier_wait -1
	s_and_saveexec_b32 s8, s104
	s_cbranch_execz .LBB43_314
; %bb.313:                              ;   in Loop: Header=BB43_3 Depth=1
	ds_load_b64 v[42:43], v1 offset:9368
	ds_load_b64 v[44:45], v48
	s_wait_dscnt 0x0
	v_fmac_f64_e32 v[40:41], v[42:43], v[44:45]
.LBB43_314:                             ;   in Loop: Header=BB43_3 Depth=1
	s_or_b32 exec_lo, exec_lo, s8
	s_barrier_signal -1
	s_barrier_wait -1
	s_and_saveexec_b32 s8, s104
; %bb.315:                              ;   in Loop: Header=BB43_3 Depth=1
	ds_store_b64 v48, v[40:41]
; %bb.316:                              ;   in Loop: Header=BB43_3 Depth=1
	s_or_b32 exec_lo, exec_lo, s8
	s_wait_dscnt 0x0
	s_barrier_signal -1
	s_barrier_wait -1
	s_barrier_signal -1
	s_barrier_wait -1
	s_and_saveexec_b32 s8, s3
; %bb.317:                              ;   in Loop: Header=BB43_3 Depth=1
	v_xor_b32_e32 v41, 0x80000000, v41
	ds_store_b64 v49, v[40:41] offset:8336
; %bb.318:                              ;   in Loop: Header=BB43_3 Depth=1
	s_or_b32 exec_lo, exec_lo, s8
	s_wait_dscnt 0x0
	s_barrier_signal -1
	s_barrier_wait -1
	s_barrier_signal -1
	s_barrier_wait -1
	s_and_saveexec_b32 s8, s12
; %bb.319:                              ;   in Loop: Header=BB43_3 Depth=1
	v_add_nc_u32_e64 v0, 0x2000, 0
	ds_store_2addr_b64 v0, v[30:31], v[30:31] offset0:146 offset1:211
; %bb.320:                              ;   in Loop: Header=BB43_3 Depth=1
	s_or_b32 exec_lo, exec_lo, s8
	v_mov_b64_e32 v[40:41], 0
	s_wait_dscnt 0x0
	s_barrier_signal -1
	s_barrier_wait -1
	s_and_saveexec_b32 s94, s4
	s_cbranch_execz .LBB43_326
; %bb.321:                              ;   in Loop: Header=BB43_3 Depth=1
	ds_load_b64 v[40:41], v55 offset:8352
	ds_load_b64 v[42:43], v53 offset:8320
	s_wait_dscnt 0x0
	v_fma_f64 v[40:41], v[40:41], v[42:43], 0
	s_and_saveexec_b32 s8, s14
	s_cbranch_execnz .LBB43_1018
; %bb.322:                              ;   in Loop: Header=BB43_3 Depth=1
	s_or_b32 exec_lo, exec_lo, s8
	s_and_saveexec_b32 s8, s15
	s_cbranch_execnz .LBB43_1019
.LBB43_323:                             ;   in Loop: Header=BB43_3 Depth=1
	s_or_b32 exec_lo, exec_lo, s8
	s_and_saveexec_b32 s8, s3
	s_cbranch_execz .LBB43_325
.LBB43_324:                             ;   in Loop: Header=BB43_3 Depth=1
	ds_load_b64 v[42:43], v51 offset:9888
	ds_load_b64 v[44:45], v1 offset:8344
	s_wait_dscnt 0x0
	v_fmac_f64_e32 v[40:41], v[42:43], v[44:45]
.LBB43_325:                             ;   in Loop: Header=BB43_3 Depth=1
	s_or_b32 exec_lo, exec_lo, s8
	s_delay_alu instid0(VALU_DEP_1)
	v_xor_b32_e32 v41, 0x80000000, v41
.LBB43_326:                             ;   in Loop: Header=BB43_3 Depth=1
	s_or_b32 exec_lo, exec_lo, s94
	s_and_saveexec_b32 s8, vcc_hi
; %bb.327:                              ;   in Loop: Header=BB43_3 Depth=1
	ds_store_b64 v54, v[40:41]
; %bb.328:                              ;   in Loop: Header=BB43_3 Depth=1
	s_or_b32 exec_lo, exec_lo, s8
	s_wait_dscnt 0x0
	s_barrier_signal -1
	s_barrier_wait -1
	s_and_saveexec_b32 s8, s34
	s_cbranch_execz .LBB43_330
; %bb.329:                              ;   in Loop: Header=BB43_3 Depth=1
	ds_load_b64 v[42:43], v52 offset:10400
	ds_load_b64 v[44:45], v54
	s_wait_dscnt 0x0
	v_fmac_f64_e32 v[40:41], v[42:43], v[44:45]
.LBB43_330:                             ;   in Loop: Header=BB43_3 Depth=1
	s_or_b32 exec_lo, exec_lo, s8
	s_barrier_signal -1
	s_barrier_wait -1
	s_and_saveexec_b32 s8, s35
; %bb.331:                              ;   in Loop: Header=BB43_3 Depth=1
	ds_store_b64 v54, v[40:41]
; %bb.332:                              ;   in Loop: Header=BB43_3 Depth=1
	s_or_b32 exec_lo, exec_lo, s8
	s_wait_dscnt 0x0
	s_barrier_signal -1
	s_barrier_wait -1
	s_and_saveexec_b32 s8, s36
	s_cbranch_execz .LBB43_334
; %bb.333:                              ;   in Loop: Header=BB43_3 Depth=1
	ds_load_b64 v[42:43], v52 offset:10912
	ds_load_b64 v[44:45], v54
	s_wait_dscnt 0x0
	v_fmac_f64_e32 v[40:41], v[42:43], v[44:45]
.LBB43_334:                             ;   in Loop: Header=BB43_3 Depth=1
	s_or_b32 exec_lo, exec_lo, s8
	s_barrier_signal -1
	s_barrier_wait -1
	s_and_saveexec_b32 s8, s37
	;; [unrolled: 19-line block ×3, first 2 shown]
; %bb.339:                              ;   in Loop: Header=BB43_3 Depth=1
	ds_store_b64 v54, v[40:41]
; %bb.340:                              ;   in Loop: Header=BB43_3 Depth=1
	s_or_b32 exec_lo, exec_lo, s8
	s_wait_dscnt 0x0
	s_barrier_signal -1
	s_barrier_wait -1
	s_barrier_signal -1
	s_barrier_wait -1
	s_and_saveexec_b32 s8, s4
; %bb.341:                              ;   in Loop: Header=BB43_3 Depth=1
	v_xor_b32_e32 v41, 0x80000000, v41
	ds_store_b64 v55, v[40:41] offset:8352
; %bb.342:                              ;   in Loop: Header=BB43_3 Depth=1
	s_or_b32 exec_lo, exec_lo, s8
	s_wait_dscnt 0x0
	s_barrier_signal -1
	s_barrier_wait -1
	s_barrier_signal -1
	s_barrier_wait -1
	s_and_saveexec_b32 s8, s12
; %bb.343:                              ;   in Loop: Header=BB43_3 Depth=1
	v_add_nc_u32_e64 v0, 0x2800, 0
	ds_store_2addr_b64 v0, v[30:31], v[30:31] offset0:20 offset1:85
; %bb.344:                              ;   in Loop: Header=BB43_3 Depth=1
	s_or_b32 exec_lo, exec_lo, s8
	v_mov_b64_e32 v[40:41], 0
	s_wait_dscnt 0x0
	s_barrier_signal -1
	s_barrier_wait -1
	s_and_saveexec_b32 s94, s3
	s_cbranch_execz .LBB43_348
; %bb.345:                              ;   in Loop: Header=BB43_3 Depth=1
	ds_load_b64 v[40:41], v49 offset:10416
	ds_load_b64 v[42:43], v50 offset:10400
	s_wait_dscnt 0x0
	v_fma_f64 v[40:41], v[40:41], v[42:43], 0
	s_and_saveexec_b32 s8, s13
	s_cbranch_execz .LBB43_347
; %bb.346:                              ;   in Loop: Header=BB43_3 Depth=1
	ds_load_b64 v[42:43], v51 offset:10928
	ds_load_b64 v[44:45], v1 offset:10408
	s_wait_dscnt 0x0
	v_fmac_f64_e32 v[40:41], v[42:43], v[44:45]
.LBB43_347:                             ;   in Loop: Header=BB43_3 Depth=1
	s_or_b32 exec_lo, exec_lo, s8
	s_delay_alu instid0(VALU_DEP_1)
	v_xor_b32_e32 v41, 0x80000000, v41
.LBB43_348:                             ;   in Loop: Header=BB43_3 Depth=1
	s_or_b32 exec_lo, exec_lo, s94
	s_and_saveexec_b32 s8, s103
; %bb.349:                              ;   in Loop: Header=BB43_3 Depth=1
	ds_store_b64 v48, v[40:41]
; %bb.350:                              ;   in Loop: Header=BB43_3 Depth=1
	s_or_b32 exec_lo, exec_lo, s8
	s_wait_dscnt 0x0
	s_barrier_signal -1
	s_barrier_wait -1
	s_and_saveexec_b32 s8, s104
	s_cbranch_execz .LBB43_352
; %bb.351:                              ;   in Loop: Header=BB43_3 Depth=1
	ds_load_b64 v[42:43], v1 offset:11448
	ds_load_b64 v[44:45], v48
	s_wait_dscnt 0x0
	v_fmac_f64_e32 v[40:41], v[42:43], v[44:45]
.LBB43_352:                             ;   in Loop: Header=BB43_3 Depth=1
	s_or_b32 exec_lo, exec_lo, s8
	s_barrier_signal -1
	s_barrier_wait -1
	s_and_saveexec_b32 s8, s104
; %bb.353:                              ;   in Loop: Header=BB43_3 Depth=1
	ds_store_b64 v48, v[40:41]
; %bb.354:                              ;   in Loop: Header=BB43_3 Depth=1
	s_or_b32 exec_lo, exec_lo, s8
	s_wait_dscnt 0x0
	s_barrier_signal -1
	s_barrier_wait -1
	s_barrier_signal -1
	s_barrier_wait -1
	s_and_saveexec_b32 s8, s3
; %bb.355:                              ;   in Loop: Header=BB43_3 Depth=1
	v_xor_b32_e32 v41, 0x80000000, v41
	ds_store_b64 v49, v[40:41] offset:10416
; %bb.356:                              ;   in Loop: Header=BB43_3 Depth=1
	s_or_b32 exec_lo, exec_lo, s8
	s_wait_dscnt 0x0
	s_barrier_signal -1
	s_barrier_wait -1
	s_barrier_signal -1
	s_barrier_wait -1
	s_and_saveexec_b32 s8, s12
; %bb.357:                              ;   in Loop: Header=BB43_3 Depth=1
	v_add_nc_u32_e64 v0, 0x2800, 0
	ds_store_2addr_b64 v0, v[30:31], v[30:31] offset0:150 offset1:215
; %bb.358:                              ;   in Loop: Header=BB43_3 Depth=1
	s_or_b32 exec_lo, exec_lo, s8
	v_mov_b64_e32 v[40:41], 0
	s_wait_dscnt 0x0
	s_barrier_signal -1
	s_barrier_wait -1
	s_and_saveexec_b32 s94, s5
	s_cbranch_execz .LBB43_368
; %bb.359:                              ;   in Loop: Header=BB43_3 Depth=1
	ds_load_b64 v[40:41], v60 offset:8384
	ds_load_b64 v[42:43], v57 offset:8320
	s_wait_dscnt 0x0
	v_fma_f64 v[40:41], v[40:41], v[42:43], 0
	s_and_saveexec_b32 s8, s16
	s_cbranch_execnz .LBB43_1020
; %bb.360:                              ;   in Loop: Header=BB43_3 Depth=1
	s_or_b32 exec_lo, exec_lo, s8
	s_and_saveexec_b32 s8, s17
	s_cbranch_execnz .LBB43_1021
.LBB43_361:                             ;   in Loop: Header=BB43_3 Depth=1
	s_or_b32 exec_lo, exec_lo, s8
	s_and_saveexec_b32 s8, s18
	s_cbranch_execnz .LBB43_1022
.LBB43_362:                             ;   in Loop: Header=BB43_3 Depth=1
	s_or_b32 exec_lo, exec_lo, s8
	s_and_saveexec_b32 s8, s19
	s_cbranch_execnz .LBB43_1023
.LBB43_363:                             ;   in Loop: Header=BB43_3 Depth=1
	s_or_b32 exec_lo, exec_lo, s8
	s_and_saveexec_b32 s8, s20
	s_cbranch_execnz .LBB43_1024
.LBB43_364:                             ;   in Loop: Header=BB43_3 Depth=1
	s_or_b32 exec_lo, exec_lo, s8
	s_and_saveexec_b32 s8, s4
	s_cbranch_execnz .LBB43_1025
.LBB43_365:                             ;   in Loop: Header=BB43_3 Depth=1
	s_or_b32 exec_lo, exec_lo, s8
	s_and_saveexec_b32 s8, s15
	s_cbranch_execz .LBB43_367
.LBB43_366:                             ;   in Loop: Header=BB43_3 Depth=1
	ds_load_b64 v[42:43], v51 offset:11968
	ds_load_b64 v[44:45], v1 offset:8376
	s_wait_dscnt 0x0
	v_fmac_f64_e32 v[40:41], v[42:43], v[44:45]
.LBB43_367:                             ;   in Loop: Header=BB43_3 Depth=1
	s_or_b32 exec_lo, exec_lo, s8
	s_delay_alu instid0(VALU_DEP_1)
	v_xor_b32_e32 v41, 0x80000000, v41
.LBB43_368:                             ;   in Loop: Header=BB43_3 Depth=1
	s_or_b32 exec_lo, exec_lo, s94
	s_and_saveexec_b32 s8, s39
; %bb.369:                              ;   in Loop: Header=BB43_3 Depth=1
	ds_store_b64 v59, v[40:41]
; %bb.370:                              ;   in Loop: Header=BB43_3 Depth=1
	s_or_b32 exec_lo, exec_lo, s8
	s_wait_dscnt 0x0
	s_barrier_signal -1
	s_barrier_wait -1
	s_and_saveexec_b32 s8, s40
	s_cbranch_execz .LBB43_372
; %bb.371:                              ;   in Loop: Header=BB43_3 Depth=1
	ds_load_b64 v[42:43], v58 offset:12480
	ds_load_b64 v[44:45], v59
	s_wait_dscnt 0x0
	v_fmac_f64_e32 v[40:41], v[42:43], v[44:45]
.LBB43_372:                             ;   in Loop: Header=BB43_3 Depth=1
	s_or_b32 exec_lo, exec_lo, s8
	s_barrier_signal -1
	s_barrier_wait -1
	s_and_saveexec_b32 s8, s41
; %bb.373:                              ;   in Loop: Header=BB43_3 Depth=1
	ds_store_b64 v59, v[40:41]
; %bb.374:                              ;   in Loop: Header=BB43_3 Depth=1
	s_or_b32 exec_lo, exec_lo, s8
	s_wait_dscnt 0x0
	s_barrier_signal -1
	s_barrier_wait -1
	s_and_saveexec_b32 s8, s42
	s_cbranch_execz .LBB43_376
; %bb.375:                              ;   in Loop: Header=BB43_3 Depth=1
	ds_load_b64 v[42:43], v58 offset:12992
	ds_load_b64 v[44:45], v59
	s_wait_dscnt 0x0
	v_fmac_f64_e32 v[40:41], v[42:43], v[44:45]
.LBB43_376:                             ;   in Loop: Header=BB43_3 Depth=1
	s_or_b32 exec_lo, exec_lo, s8
	s_barrier_signal -1
	s_barrier_wait -1
	;; [unrolled: 19-line block ×7, first 2 shown]
	s_and_saveexec_b32 s8, s52
; %bb.397:                              ;   in Loop: Header=BB43_3 Depth=1
	ds_store_b64 v59, v[40:41]
; %bb.398:                              ;   in Loop: Header=BB43_3 Depth=1
	s_or_b32 exec_lo, exec_lo, s8
	s_wait_dscnt 0x0
	s_barrier_signal -1
	s_barrier_wait -1
	s_barrier_signal -1
	s_barrier_wait -1
	s_and_saveexec_b32 s8, s5
; %bb.399:                              ;   in Loop: Header=BB43_3 Depth=1
	v_xor_b32_e32 v41, 0x80000000, v41
	ds_store_b64 v60, v[40:41] offset:8384
; %bb.400:                              ;   in Loop: Header=BB43_3 Depth=1
	s_or_b32 exec_lo, exec_lo, s8
	s_wait_dscnt 0x0
	s_barrier_signal -1
	s_barrier_wait -1
	s_barrier_signal -1
	s_barrier_wait -1
	s_and_saveexec_b32 s8, s12
; %bb.401:                              ;   in Loop: Header=BB43_3 Depth=1
	v_add_nc_u32_e64 v0, 0x3000, 0
	ds_store_2addr_b64 v0, v[30:31], v[30:31] offset0:24 offset1:89
; %bb.402:                              ;   in Loop: Header=BB43_3 Depth=1
	s_or_b32 exec_lo, exec_lo, s8
	v_mov_b64_e32 v[40:41], 0
	s_wait_dscnt 0x0
	s_barrier_signal -1
	s_barrier_wait -1
	s_and_saveexec_b32 s94, s3
	s_cbranch_execz .LBB43_406
; %bb.403:                              ;   in Loop: Header=BB43_3 Depth=1
	ds_load_b64 v[40:41], v49 offset:12496
	ds_load_b64 v[42:43], v50 offset:12480
	s_wait_dscnt 0x0
	v_fma_f64 v[40:41], v[40:41], v[42:43], 0
	s_and_saveexec_b32 s8, s13
	s_cbranch_execz .LBB43_405
; %bb.404:                              ;   in Loop: Header=BB43_3 Depth=1
	ds_load_b64 v[42:43], v51 offset:13008
	ds_load_b64 v[44:45], v1 offset:12488
	s_wait_dscnt 0x0
	v_fmac_f64_e32 v[40:41], v[42:43], v[44:45]
.LBB43_405:                             ;   in Loop: Header=BB43_3 Depth=1
	s_or_b32 exec_lo, exec_lo, s8
	s_delay_alu instid0(VALU_DEP_1)
	v_xor_b32_e32 v41, 0x80000000, v41
.LBB43_406:                             ;   in Loop: Header=BB43_3 Depth=1
	s_or_b32 exec_lo, exec_lo, s94
	s_and_saveexec_b32 s8, s103
; %bb.407:                              ;   in Loop: Header=BB43_3 Depth=1
	ds_store_b64 v48, v[40:41]
; %bb.408:                              ;   in Loop: Header=BB43_3 Depth=1
	s_or_b32 exec_lo, exec_lo, s8
	s_wait_dscnt 0x0
	s_barrier_signal -1
	s_barrier_wait -1
	s_and_saveexec_b32 s8, s104
	s_cbranch_execz .LBB43_410
; %bb.409:                              ;   in Loop: Header=BB43_3 Depth=1
	ds_load_b64 v[42:43], v1 offset:13528
	ds_load_b64 v[44:45], v48
	s_wait_dscnt 0x0
	v_fmac_f64_e32 v[40:41], v[42:43], v[44:45]
.LBB43_410:                             ;   in Loop: Header=BB43_3 Depth=1
	s_or_b32 exec_lo, exec_lo, s8
	s_barrier_signal -1
	s_barrier_wait -1
	s_and_saveexec_b32 s8, s104
; %bb.411:                              ;   in Loop: Header=BB43_3 Depth=1
	ds_store_b64 v48, v[40:41]
; %bb.412:                              ;   in Loop: Header=BB43_3 Depth=1
	s_or_b32 exec_lo, exec_lo, s8
	s_wait_dscnt 0x0
	s_barrier_signal -1
	s_barrier_wait -1
	s_barrier_signal -1
	s_barrier_wait -1
	s_and_saveexec_b32 s8, s3
; %bb.413:                              ;   in Loop: Header=BB43_3 Depth=1
	v_xor_b32_e32 v41, 0x80000000, v41
	ds_store_b64 v49, v[40:41] offset:12496
; %bb.414:                              ;   in Loop: Header=BB43_3 Depth=1
	s_or_b32 exec_lo, exec_lo, s8
	s_wait_dscnt 0x0
	s_barrier_signal -1
	s_barrier_wait -1
	s_barrier_signal -1
	s_barrier_wait -1
	s_and_saveexec_b32 s8, s12
; %bb.415:                              ;   in Loop: Header=BB43_3 Depth=1
	v_add_nc_u32_e64 v0, 0x3000, 0
	ds_store_2addr_b64 v0, v[30:31], v[30:31] offset0:154 offset1:219
; %bb.416:                              ;   in Loop: Header=BB43_3 Depth=1
	s_or_b32 exec_lo, exec_lo, s8
	v_mov_b64_e32 v[40:41], 0
	s_wait_dscnt 0x0
	s_barrier_signal -1
	s_barrier_wait -1
	s_and_saveexec_b32 s94, s4
	s_cbranch_execz .LBB43_422
; %bb.417:                              ;   in Loop: Header=BB43_3 Depth=1
	ds_load_b64 v[40:41], v55 offset:12512
	ds_load_b64 v[42:43], v53 offset:12480
	s_wait_dscnt 0x0
	v_fma_f64 v[40:41], v[40:41], v[42:43], 0
	s_and_saveexec_b32 s8, s14
	s_cbranch_execnz .LBB43_1026
; %bb.418:                              ;   in Loop: Header=BB43_3 Depth=1
	s_or_b32 exec_lo, exec_lo, s8
	s_and_saveexec_b32 s8, s15
	s_cbranch_execnz .LBB43_1027
.LBB43_419:                             ;   in Loop: Header=BB43_3 Depth=1
	s_or_b32 exec_lo, exec_lo, s8
	s_and_saveexec_b32 s8, s3
	s_cbranch_execz .LBB43_421
.LBB43_420:                             ;   in Loop: Header=BB43_3 Depth=1
	ds_load_b64 v[42:43], v51 offset:14048
	ds_load_b64 v[44:45], v1 offset:12504
	s_wait_dscnt 0x0
	v_fmac_f64_e32 v[40:41], v[42:43], v[44:45]
.LBB43_421:                             ;   in Loop: Header=BB43_3 Depth=1
	s_or_b32 exec_lo, exec_lo, s8
	s_delay_alu instid0(VALU_DEP_1)
	v_xor_b32_e32 v41, 0x80000000, v41
.LBB43_422:                             ;   in Loop: Header=BB43_3 Depth=1
	s_or_b32 exec_lo, exec_lo, s94
	s_and_saveexec_b32 s8, vcc_hi
; %bb.423:                              ;   in Loop: Header=BB43_3 Depth=1
	ds_store_b64 v54, v[40:41]
; %bb.424:                              ;   in Loop: Header=BB43_3 Depth=1
	s_or_b32 exec_lo, exec_lo, s8
	s_wait_dscnt 0x0
	s_barrier_signal -1
	s_barrier_wait -1
	s_and_saveexec_b32 s8, s34
	s_cbranch_execz .LBB43_426
; %bb.425:                              ;   in Loop: Header=BB43_3 Depth=1
	ds_load_b64 v[42:43], v52 offset:14560
	ds_load_b64 v[44:45], v54
	s_wait_dscnt 0x0
	v_fmac_f64_e32 v[40:41], v[42:43], v[44:45]
.LBB43_426:                             ;   in Loop: Header=BB43_3 Depth=1
	s_or_b32 exec_lo, exec_lo, s8
	s_barrier_signal -1
	s_barrier_wait -1
	s_and_saveexec_b32 s8, s35
; %bb.427:                              ;   in Loop: Header=BB43_3 Depth=1
	ds_store_b64 v54, v[40:41]
; %bb.428:                              ;   in Loop: Header=BB43_3 Depth=1
	s_or_b32 exec_lo, exec_lo, s8
	s_wait_dscnt 0x0
	s_barrier_signal -1
	s_barrier_wait -1
	s_and_saveexec_b32 s8, s36
	s_cbranch_execz .LBB43_430
; %bb.429:                              ;   in Loop: Header=BB43_3 Depth=1
	ds_load_b64 v[42:43], v52 offset:15072
	ds_load_b64 v[44:45], v54
	s_wait_dscnt 0x0
	v_fmac_f64_e32 v[40:41], v[42:43], v[44:45]
.LBB43_430:                             ;   in Loop: Header=BB43_3 Depth=1
	s_or_b32 exec_lo, exec_lo, s8
	s_barrier_signal -1
	s_barrier_wait -1
	s_and_saveexec_b32 s8, s37
	;; [unrolled: 19-line block ×3, first 2 shown]
; %bb.435:                              ;   in Loop: Header=BB43_3 Depth=1
	ds_store_b64 v54, v[40:41]
; %bb.436:                              ;   in Loop: Header=BB43_3 Depth=1
	s_or_b32 exec_lo, exec_lo, s8
	s_wait_dscnt 0x0
	s_barrier_signal -1
	s_barrier_wait -1
	s_barrier_signal -1
	s_barrier_wait -1
	s_and_saveexec_b32 s8, s4
; %bb.437:                              ;   in Loop: Header=BB43_3 Depth=1
	v_xor_b32_e32 v41, 0x80000000, v41
	ds_store_b64 v55, v[40:41] offset:12512
; %bb.438:                              ;   in Loop: Header=BB43_3 Depth=1
	s_or_b32 exec_lo, exec_lo, s8
	s_wait_dscnt 0x0
	s_barrier_signal -1
	s_barrier_wait -1
	s_barrier_signal -1
	s_barrier_wait -1
	s_and_saveexec_b32 s8, s12
; %bb.439:                              ;   in Loop: Header=BB43_3 Depth=1
	v_add_nc_u32_e64 v0, 0x3800, 0
	ds_store_2addr_b64 v0, v[30:31], v[30:31] offset0:28 offset1:93
; %bb.440:                              ;   in Loop: Header=BB43_3 Depth=1
	s_or_b32 exec_lo, exec_lo, s8
	v_mov_b64_e32 v[40:41], 0
	s_wait_dscnt 0x0
	s_barrier_signal -1
	s_barrier_wait -1
	s_and_saveexec_b32 s94, s3
	s_cbranch_execz .LBB43_444
; %bb.441:                              ;   in Loop: Header=BB43_3 Depth=1
	ds_load_b64 v[40:41], v49 offset:14576
	ds_load_b64 v[42:43], v50 offset:14560
	s_wait_dscnt 0x0
	v_fma_f64 v[40:41], v[40:41], v[42:43], 0
	s_and_saveexec_b32 s8, s13
	s_cbranch_execz .LBB43_443
; %bb.442:                              ;   in Loop: Header=BB43_3 Depth=1
	ds_load_b64 v[42:43], v51 offset:15088
	ds_load_b64 v[44:45], v1 offset:14568
	s_wait_dscnt 0x0
	v_fmac_f64_e32 v[40:41], v[42:43], v[44:45]
.LBB43_443:                             ;   in Loop: Header=BB43_3 Depth=1
	s_or_b32 exec_lo, exec_lo, s8
	s_delay_alu instid0(VALU_DEP_1)
	v_xor_b32_e32 v41, 0x80000000, v41
.LBB43_444:                             ;   in Loop: Header=BB43_3 Depth=1
	s_or_b32 exec_lo, exec_lo, s94
	s_and_saveexec_b32 s8, s103
; %bb.445:                              ;   in Loop: Header=BB43_3 Depth=1
	ds_store_b64 v48, v[40:41]
; %bb.446:                              ;   in Loop: Header=BB43_3 Depth=1
	s_or_b32 exec_lo, exec_lo, s8
	s_wait_dscnt 0x0
	s_barrier_signal -1
	s_barrier_wait -1
	s_and_saveexec_b32 s8, s104
	s_cbranch_execz .LBB43_448
; %bb.447:                              ;   in Loop: Header=BB43_3 Depth=1
	ds_load_b64 v[42:43], v1 offset:15608
	ds_load_b64 v[44:45], v48
	s_wait_dscnt 0x0
	v_fmac_f64_e32 v[40:41], v[42:43], v[44:45]
.LBB43_448:                             ;   in Loop: Header=BB43_3 Depth=1
	s_or_b32 exec_lo, exec_lo, s8
	s_barrier_signal -1
	s_barrier_wait -1
	s_and_saveexec_b32 s8, s104
; %bb.449:                              ;   in Loop: Header=BB43_3 Depth=1
	ds_store_b64 v48, v[40:41]
; %bb.450:                              ;   in Loop: Header=BB43_3 Depth=1
	s_or_b32 exec_lo, exec_lo, s8
	s_wait_dscnt 0x0
	s_barrier_signal -1
	s_barrier_wait -1
	s_barrier_signal -1
	s_barrier_wait -1
	s_and_saveexec_b32 s8, s3
; %bb.451:                              ;   in Loop: Header=BB43_3 Depth=1
	v_xor_b32_e32 v41, 0x80000000, v41
	ds_store_b64 v49, v[40:41] offset:14576
; %bb.452:                              ;   in Loop: Header=BB43_3 Depth=1
	s_or_b32 exec_lo, exec_lo, s8
	s_wait_dscnt 0x0
	s_barrier_signal -1
	s_barrier_wait -1
	s_barrier_signal -1
	s_barrier_wait -1
	s_and_saveexec_b32 s8, s12
; %bb.453:                              ;   in Loop: Header=BB43_3 Depth=1
	v_add_nc_u32_e64 v0, 0x3800, 0
	ds_store_2addr_b64 v0, v[30:31], v[30:31] offset0:158 offset1:223
; %bb.454:                              ;   in Loop: Header=BB43_3 Depth=1
	s_or_b32 exec_lo, exec_lo, s8
	v_mov_b64_e32 v[40:41], 0
	s_wait_dscnt 0x0
	s_barrier_signal -1
	s_barrier_wait -1
	s_and_saveexec_b32 s94, s33
	s_cbranch_execz .LBB43_515
; %bb.455:                              ;   in Loop: Header=BB43_3 Depth=1
	v_add_nc_u32_e32 v0, v69, v68
	ds_load_b64 v[40:41], v71 offset:256
	ds_load_b64 v[42:43], v0
	s_wait_dscnt 0x0
	v_fma_f64 v[40:41], v[40:41], v[42:43], 0
	s_mov_b32 s8, exec_lo
	v_readlane_b32 s9, v84, 1
	s_and_b32 s9, s8, s9
	s_delay_alu instid0(SALU_CYCLE_1)
	s_mov_b32 exec_lo, s9
	s_cbranch_execz .LBB43_457
; %bb.456:                              ;   in Loop: Header=BB43_3 Depth=1
	ds_load_b64 v[42:43], v71 offset:768
	ds_load_b64 v[44:45], v0 offset:8
	s_wait_dscnt 0x0
	v_fmac_f64_e32 v[40:41], v[42:43], v[44:45]
.LBB43_457:                             ;   in Loop: Header=BB43_3 Depth=1
	s_or_b32 exec_lo, exec_lo, s8
	s_delay_alu instid0(SALU_CYCLE_1) | instskip(SKIP_2) | instid1(SALU_CYCLE_1)
	s_mov_b32 s8, exec_lo
	v_readlane_b32 s9, v84, 2
	s_and_b32 s9, s8, s9
	s_mov_b32 exec_lo, s9
	s_cbranch_execz .LBB43_459
; %bb.458:                              ;   in Loop: Header=BB43_3 Depth=1
	ds_load_b64 v[42:43], v71 offset:1280
	ds_load_b64 v[44:45], v0 offset:16
	s_wait_dscnt 0x0
	v_fmac_f64_e32 v[40:41], v[42:43], v[44:45]
.LBB43_459:                             ;   in Loop: Header=BB43_3 Depth=1
	s_or_b32 exec_lo, exec_lo, s8
	s_delay_alu instid0(SALU_CYCLE_1) | instskip(SKIP_2) | instid1(SALU_CYCLE_1)
	s_mov_b32 s8, exec_lo
	v_readlane_b32 s9, v84, 3
	s_and_b32 s9, s8, s9
	;; [unrolled: 13-line block ×22, first 2 shown]
	s_mov_b32 exec_lo, s9
	s_cbranch_execz .LBB43_501
; %bb.500:                              ;   in Loop: Header=BB43_3 Depth=1
	ds_load_b64 v[42:43], v71 offset:12032
	ds_load_b64 v[44:45], v0 offset:184
	s_wait_dscnt 0x0
	v_fmac_f64_e32 v[40:41], v[42:43], v[44:45]
.LBB43_501:                             ;   in Loop: Header=BB43_3 Depth=1
	s_or_b32 exec_lo, exec_lo, s8
	s_and_saveexec_b32 s8, s6
	s_cbranch_execz .LBB43_503
; %bb.502:                              ;   in Loop: Header=BB43_3 Depth=1
	ds_load_b64 v[42:43], v71 offset:12544
	ds_load_b64 v[44:45], v0 offset:192
	s_wait_dscnt 0x0
	v_fmac_f64_e32 v[40:41], v[42:43], v[44:45]
.LBB43_503:                             ;   in Loop: Header=BB43_3 Depth=1
	s_or_b32 exec_lo, exec_lo, s8
	s_delay_alu instid0(SALU_CYCLE_1) | instskip(SKIP_2) | instid1(SALU_CYCLE_1)
	s_mov_b32 s8, exec_lo
	v_readlane_b32 s9, v85, 24
	s_and_b32 s9, s8, s9
	s_mov_b32 exec_lo, s9
	s_cbranch_execz .LBB43_505
; %bb.504:                              ;   in Loop: Header=BB43_3 Depth=1
	ds_load_b64 v[42:43], v71 offset:13056
	ds_load_b64 v[44:45], v0 offset:200
	s_wait_dscnt 0x0
	v_fmac_f64_e32 v[40:41], v[42:43], v[44:45]
.LBB43_505:                             ;   in Loop: Header=BB43_3 Depth=1
	s_or_b32 exec_lo, exec_lo, s8
	s_delay_alu instid0(SALU_CYCLE_1) | instskip(SKIP_2) | instid1(SALU_CYCLE_1)
	s_mov_b32 s8, exec_lo
	v_readlane_b32 s9, v85, 26
	s_and_b32 s9, s8, s9
	s_mov_b32 exec_lo, s9
	;; [unrolled: 13-line block ×4, first 2 shown]
	s_cbranch_execnz .LBB43_1028
; %bb.510:                              ;   in Loop: Header=BB43_3 Depth=1
	s_or_b32 exec_lo, exec_lo, s8
	s_and_saveexec_b32 s8, s10
	s_cbranch_execnz .LBB43_1029
.LBB43_511:                             ;   in Loop: Header=BB43_3 Depth=1
	s_or_b32 exec_lo, exec_lo, s8
	s_and_saveexec_b32 s8, s5
	s_cbranch_execnz .LBB43_1030
.LBB43_512:                             ;   in Loop: Header=BB43_3 Depth=1
	s_or_b32 exec_lo, exec_lo, s8
	s_and_saveexec_b32 s8, s19
	s_cbranch_execz .LBB43_514
.LBB43_513:                             ;   in Loop: Header=BB43_3 Depth=1
	ds_load_b64 v[42:43], v51 offset:16128
	ds_load_b64 v[44:45], v1 offset:248
	s_wait_dscnt 0x0
	v_fmac_f64_e32 v[40:41], v[42:43], v[44:45]
.LBB43_514:                             ;   in Loop: Header=BB43_3 Depth=1
	s_or_b32 exec_lo, exec_lo, s8
	s_delay_alu instid0(VALU_DEP_1)
	v_xor_b32_e32 v41, 0x80000000, v41
.LBB43_515:                             ;   in Loop: Header=BB43_3 Depth=1
	s_or_b32 exec_lo, exec_lo, s94
	v_dual_mov_b32 v0, v67 :: v_dual_mov_b32 v42, v79
	s_mov_b32 s94, 0
	s_branch .LBB43_517
.LBB43_516:                             ;   in Loop: Header=BB43_517 Depth=2
	s_or_b32 exec_lo, exec_lo, s8
	v_add_nc_u32_e32 v42, 0x800, v42
	v_add_nc_u32_e32 v0, -4, v0
	s_add_co_i32 s94, s94, 4
	s_delay_alu instid0(SALU_CYCLE_1)
	s_cmp_eq_u32 s94, 32
	s_barrier_signal -1
	s_barrier_wait -1
	s_cbranch_scc1 .LBB43_533
.LBB43_517:                             ;   Parent Loop BB43_3 Depth=1
                                        ; =>  This Inner Loop Header: Depth=2
	s_delay_alu instid0(VALU_DEP_1) | instskip(SKIP_1) | instid1(SALU_CYCLE_1)
	v_cmp_eq_u32_e32 vcc_lo, 0, v0
	s_and_b32 s9, s11, vcc_lo
	s_and_saveexec_b32 s8, s9
; %bb.518:                              ;   in Loop: Header=BB43_517 Depth=2
	ds_store_b64 v70, v[40:41]
; %bb.519:                              ;   in Loop: Header=BB43_517 Depth=2
	s_or_b32 exec_lo, exec_lo, s8
	v_cmp_lt_u32_e32 vcc_lo, s94, v67
	s_wait_dscnt 0x0
	s_barrier_signal -1
	s_barrier_wait -1
	s_and_b32 s9, s11, vcc_lo
	s_delay_alu instid0(SALU_CYCLE_1)
	s_and_saveexec_b32 s8, s9
	s_cbranch_execz .LBB43_521
; %bb.520:                              ;   in Loop: Header=BB43_517 Depth=2
	ds_load_b64 v[44:45], v42
	ds_load_b64 v[46:47], v70
	s_wait_dscnt 0x0
	v_fmac_f64_e32 v[40:41], v[44:45], v[46:47]
.LBB43_521:                             ;   in Loop: Header=BB43_517 Depth=2
	s_or_b32 exec_lo, exec_lo, s8
	s_or_b32 s8, s94, 1
	s_delay_alu instid0(SALU_CYCLE_1) | instskip(SKIP_3) | instid1(SALU_CYCLE_1)
	v_cmp_eq_u32_e32 vcc_lo, s8, v67
	s_barrier_signal -1
	s_barrier_wait -1
	s_and_b32 s95, s11, vcc_lo
	s_and_saveexec_b32 s9, s95
; %bb.522:                              ;   in Loop: Header=BB43_517 Depth=2
	ds_store_b64 v70, v[40:41]
; %bb.523:                              ;   in Loop: Header=BB43_517 Depth=2
	s_or_b32 exec_lo, exec_lo, s9
	v_cmp_lt_u32_e32 vcc_lo, s8, v67
	s_wait_dscnt 0x0
	s_barrier_signal -1
	s_barrier_wait -1
	s_and_b32 s9, s11, vcc_lo
	s_delay_alu instid0(SALU_CYCLE_1)
	s_and_saveexec_b32 s8, s9
	s_cbranch_execz .LBB43_525
; %bb.524:                              ;   in Loop: Header=BB43_517 Depth=2
	ds_load_b64 v[44:45], v42 offset:512
	ds_load_b64 v[46:47], v70
	s_wait_dscnt 0x0
	v_fmac_f64_e32 v[40:41], v[44:45], v[46:47]
.LBB43_525:                             ;   in Loop: Header=BB43_517 Depth=2
	s_or_b32 exec_lo, exec_lo, s8
	s_or_b32 s8, s94, 2
	s_delay_alu instid0(SALU_CYCLE_1) | instskip(SKIP_3) | instid1(SALU_CYCLE_1)
	v_cmp_eq_u32_e32 vcc_lo, s8, v67
	s_barrier_signal -1
	s_barrier_wait -1
	s_and_b32 s95, s11, vcc_lo
	s_and_saveexec_b32 s9, s95
; %bb.526:                              ;   in Loop: Header=BB43_517 Depth=2
	ds_store_b64 v70, v[40:41]
; %bb.527:                              ;   in Loop: Header=BB43_517 Depth=2
	s_or_b32 exec_lo, exec_lo, s9
	v_cmp_lt_u32_e32 vcc_lo, s8, v67
	s_wait_dscnt 0x0
	s_barrier_signal -1
	s_barrier_wait -1
	s_and_b32 s9, s11, vcc_lo
	s_delay_alu instid0(SALU_CYCLE_1)
	s_and_saveexec_b32 s8, s9
	s_cbranch_execz .LBB43_529
; %bb.528:                              ;   in Loop: Header=BB43_517 Depth=2
	ds_load_b64 v[44:45], v42 offset:1024
	ds_load_b64 v[46:47], v70
	s_wait_dscnt 0x0
	v_fmac_f64_e32 v[40:41], v[44:45], v[46:47]
.LBB43_529:                             ;   in Loop: Header=BB43_517 Depth=2
	s_or_b32 exec_lo, exec_lo, s8
	s_or_b32 s8, s94, 3
	s_delay_alu instid0(SALU_CYCLE_1) | instskip(SKIP_3) | instid1(SALU_CYCLE_1)
	v_cmp_eq_u32_e32 vcc_lo, s8, v67
	s_barrier_signal -1
	s_barrier_wait -1
	s_and_b32 s95, s11, vcc_lo
	s_and_saveexec_b32 s9, s95
; %bb.530:                              ;   in Loop: Header=BB43_517 Depth=2
	ds_store_b64 v70, v[40:41]
; %bb.531:                              ;   in Loop: Header=BB43_517 Depth=2
	s_or_b32 exec_lo, exec_lo, s9
	v_cmp_lt_u32_e32 vcc_lo, s8, v67
	s_wait_dscnt 0x0
	s_barrier_signal -1
	s_barrier_wait -1
	s_and_b32 s9, s11, vcc_lo
	s_delay_alu instid0(SALU_CYCLE_1)
	s_and_saveexec_b32 s8, s9
	s_cbranch_execz .LBB43_516
; %bb.532:                              ;   in Loop: Header=BB43_517 Depth=2
	ds_load_b64 v[44:45], v42 offset:1536
	ds_load_b64 v[46:47], v70
	s_wait_dscnt 0x0
	v_fmac_f64_e32 v[40:41], v[44:45], v[46:47]
	s_branch .LBB43_516
.LBB43_533:                             ;   in Loop: Header=BB43_3 Depth=1
	s_and_saveexec_b32 s8, s33
; %bb.534:                              ;   in Loop: Header=BB43_3 Depth=1
	s_delay_alu instid0(VALU_DEP_3)
	v_xor_b32_e32 v41, 0x80000000, v41
	ds_store_b64 v71, v[40:41] offset:256
; %bb.535:                              ;   in Loop: Header=BB43_3 Depth=1
	s_or_b32 exec_lo, exec_lo, s8
	s_wait_dscnt 0x0
	s_barrier_signal -1
	s_barrier_wait -1
	s_barrier_signal -1
	s_barrier_wait -1
	s_and_saveexec_b32 s8, s12
; %bb.536:                              ;   in Loop: Header=BB43_3 Depth=1
	v_add_nc_u32_e64 v0, 0x4000, 0
	ds_store_2addr_b64 v0, v[30:31], v[30:31] offset0:32 offset1:97
; %bb.537:                              ;   in Loop: Header=BB43_3 Depth=1
	s_or_b32 exec_lo, exec_lo, s8
	v_mov_b64_e32 v[40:41], 0
	s_wait_dscnt 0x0
	s_barrier_signal -1
	s_barrier_wait -1
	s_and_saveexec_b32 s94, s3
	s_cbranch_execz .LBB43_541
; %bb.538:                              ;   in Loop: Header=BB43_3 Depth=1
	ds_load_b64 v[40:41], v49 offset:16656
	ds_load_b64 v[42:43], v50 offset:16640
	s_wait_dscnt 0x0
	v_fma_f64 v[40:41], v[40:41], v[42:43], 0
	s_and_saveexec_b32 s8, s13
	s_cbranch_execz .LBB43_540
; %bb.539:                              ;   in Loop: Header=BB43_3 Depth=1
	ds_load_b64 v[42:43], v51 offset:17168
	ds_load_b64 v[44:45], v1 offset:16648
	s_wait_dscnt 0x0
	v_fmac_f64_e32 v[40:41], v[42:43], v[44:45]
.LBB43_540:                             ;   in Loop: Header=BB43_3 Depth=1
	s_or_b32 exec_lo, exec_lo, s8
	s_delay_alu instid0(VALU_DEP_1)
	v_xor_b32_e32 v41, 0x80000000, v41
.LBB43_541:                             ;   in Loop: Header=BB43_3 Depth=1
	s_or_b32 exec_lo, exec_lo, s94
	s_and_saveexec_b32 s8, s103
; %bb.542:                              ;   in Loop: Header=BB43_3 Depth=1
	ds_store_b64 v48, v[40:41]
; %bb.543:                              ;   in Loop: Header=BB43_3 Depth=1
	s_or_b32 exec_lo, exec_lo, s8
	s_wait_dscnt 0x0
	s_barrier_signal -1
	s_barrier_wait -1
	s_and_saveexec_b32 s8, s104
	s_cbranch_execz .LBB43_545
; %bb.544:                              ;   in Loop: Header=BB43_3 Depth=1
	ds_load_b64 v[42:43], v1 offset:17688
	ds_load_b64 v[44:45], v48
	s_wait_dscnt 0x0
	v_fmac_f64_e32 v[40:41], v[42:43], v[44:45]
.LBB43_545:                             ;   in Loop: Header=BB43_3 Depth=1
	s_or_b32 exec_lo, exec_lo, s8
	s_barrier_signal -1
	s_barrier_wait -1
	s_and_saveexec_b32 s8, s104
; %bb.546:                              ;   in Loop: Header=BB43_3 Depth=1
	ds_store_b64 v48, v[40:41]
; %bb.547:                              ;   in Loop: Header=BB43_3 Depth=1
	s_or_b32 exec_lo, exec_lo, s8
	s_wait_dscnt 0x0
	s_barrier_signal -1
	s_barrier_wait -1
	s_barrier_signal -1
	s_barrier_wait -1
	s_and_saveexec_b32 s8, s3
; %bb.548:                              ;   in Loop: Header=BB43_3 Depth=1
	v_xor_b32_e32 v41, 0x80000000, v41
	ds_store_b64 v49, v[40:41] offset:16656
; %bb.549:                              ;   in Loop: Header=BB43_3 Depth=1
	s_or_b32 exec_lo, exec_lo, s8
	s_wait_dscnt 0x0
	s_barrier_signal -1
	s_barrier_wait -1
	s_barrier_signal -1
	s_barrier_wait -1
	s_and_saveexec_b32 s8, s12
; %bb.550:                              ;   in Loop: Header=BB43_3 Depth=1
	v_add_nc_u32_e64 v0, 0x4000, 0
	ds_store_2addr_b64 v0, v[30:31], v[30:31] offset0:162 offset1:227
; %bb.551:                              ;   in Loop: Header=BB43_3 Depth=1
	s_or_b32 exec_lo, exec_lo, s8
	v_mov_b64_e32 v[40:41], 0
	s_wait_dscnt 0x0
	s_barrier_signal -1
	s_barrier_wait -1
	s_and_saveexec_b32 s94, s4
	s_cbranch_execz .LBB43_557
; %bb.552:                              ;   in Loop: Header=BB43_3 Depth=1
	ds_load_b64 v[40:41], v55 offset:16672
	ds_load_b64 v[42:43], v53 offset:16640
	s_wait_dscnt 0x0
	v_fma_f64 v[40:41], v[40:41], v[42:43], 0
	s_and_saveexec_b32 s8, s14
	s_cbranch_execnz .LBB43_1031
; %bb.553:                              ;   in Loop: Header=BB43_3 Depth=1
	s_or_b32 exec_lo, exec_lo, s8
	s_and_saveexec_b32 s8, s15
	s_cbranch_execnz .LBB43_1032
.LBB43_554:                             ;   in Loop: Header=BB43_3 Depth=1
	s_or_b32 exec_lo, exec_lo, s8
	s_and_saveexec_b32 s8, s3
	s_cbranch_execz .LBB43_556
.LBB43_555:                             ;   in Loop: Header=BB43_3 Depth=1
	ds_load_b64 v[42:43], v51 offset:18208
	ds_load_b64 v[44:45], v1 offset:16664
	s_wait_dscnt 0x0
	v_fmac_f64_e32 v[40:41], v[42:43], v[44:45]
.LBB43_556:                             ;   in Loop: Header=BB43_3 Depth=1
	s_or_b32 exec_lo, exec_lo, s8
	s_delay_alu instid0(VALU_DEP_1)
	v_xor_b32_e32 v41, 0x80000000, v41
.LBB43_557:                             ;   in Loop: Header=BB43_3 Depth=1
	s_or_b32 exec_lo, exec_lo, s94
	s_and_saveexec_b32 s8, vcc_hi
; %bb.558:                              ;   in Loop: Header=BB43_3 Depth=1
	ds_store_b64 v54, v[40:41]
; %bb.559:                              ;   in Loop: Header=BB43_3 Depth=1
	s_or_b32 exec_lo, exec_lo, s8
	s_wait_dscnt 0x0
	s_barrier_signal -1
	s_barrier_wait -1
	s_and_saveexec_b32 s8, s34
	s_cbranch_execz .LBB43_561
; %bb.560:                              ;   in Loop: Header=BB43_3 Depth=1
	ds_load_b64 v[42:43], v52 offset:18720
	ds_load_b64 v[44:45], v54
	s_wait_dscnt 0x0
	v_fmac_f64_e32 v[40:41], v[42:43], v[44:45]
.LBB43_561:                             ;   in Loop: Header=BB43_3 Depth=1
	s_or_b32 exec_lo, exec_lo, s8
	s_barrier_signal -1
	s_barrier_wait -1
	s_and_saveexec_b32 s8, s35
; %bb.562:                              ;   in Loop: Header=BB43_3 Depth=1
	ds_store_b64 v54, v[40:41]
; %bb.563:                              ;   in Loop: Header=BB43_3 Depth=1
	s_or_b32 exec_lo, exec_lo, s8
	s_wait_dscnt 0x0
	s_barrier_signal -1
	s_barrier_wait -1
	s_and_saveexec_b32 s8, s36
	s_cbranch_execz .LBB43_565
; %bb.564:                              ;   in Loop: Header=BB43_3 Depth=1
	ds_load_b64 v[42:43], v52 offset:19232
	ds_load_b64 v[44:45], v54
	s_wait_dscnt 0x0
	v_fmac_f64_e32 v[40:41], v[42:43], v[44:45]
.LBB43_565:                             ;   in Loop: Header=BB43_3 Depth=1
	s_or_b32 exec_lo, exec_lo, s8
	s_barrier_signal -1
	s_barrier_wait -1
	s_and_saveexec_b32 s8, s37
	;; [unrolled: 19-line block ×3, first 2 shown]
; %bb.570:                              ;   in Loop: Header=BB43_3 Depth=1
	ds_store_b64 v54, v[40:41]
; %bb.571:                              ;   in Loop: Header=BB43_3 Depth=1
	s_or_b32 exec_lo, exec_lo, s8
	s_wait_dscnt 0x0
	s_barrier_signal -1
	s_barrier_wait -1
	s_barrier_signal -1
	s_barrier_wait -1
	s_and_saveexec_b32 s8, s4
; %bb.572:                              ;   in Loop: Header=BB43_3 Depth=1
	v_xor_b32_e32 v41, 0x80000000, v41
	ds_store_b64 v55, v[40:41] offset:16672
; %bb.573:                              ;   in Loop: Header=BB43_3 Depth=1
	s_or_b32 exec_lo, exec_lo, s8
	s_wait_dscnt 0x0
	s_barrier_signal -1
	s_barrier_wait -1
	s_barrier_signal -1
	s_barrier_wait -1
	s_and_saveexec_b32 s8, s12
; %bb.574:                              ;   in Loop: Header=BB43_3 Depth=1
	v_add_nc_u32_e64 v0, 0x4800, 0
	ds_store_2addr_b64 v0, v[30:31], v[30:31] offset0:36 offset1:101
; %bb.575:                              ;   in Loop: Header=BB43_3 Depth=1
	s_or_b32 exec_lo, exec_lo, s8
	v_mov_b64_e32 v[40:41], 0
	s_wait_dscnt 0x0
	s_barrier_signal -1
	s_barrier_wait -1
	s_and_saveexec_b32 s94, s3
	s_cbranch_execz .LBB43_579
; %bb.576:                              ;   in Loop: Header=BB43_3 Depth=1
	ds_load_b64 v[40:41], v49 offset:18736
	ds_load_b64 v[42:43], v50 offset:18720
	s_wait_dscnt 0x0
	v_fma_f64 v[40:41], v[40:41], v[42:43], 0
	s_and_saveexec_b32 s8, s13
	s_cbranch_execz .LBB43_578
; %bb.577:                              ;   in Loop: Header=BB43_3 Depth=1
	ds_load_b64 v[42:43], v51 offset:19248
	ds_load_b64 v[44:45], v1 offset:18728
	s_wait_dscnt 0x0
	v_fmac_f64_e32 v[40:41], v[42:43], v[44:45]
.LBB43_578:                             ;   in Loop: Header=BB43_3 Depth=1
	s_or_b32 exec_lo, exec_lo, s8
	s_delay_alu instid0(VALU_DEP_1)
	v_xor_b32_e32 v41, 0x80000000, v41
.LBB43_579:                             ;   in Loop: Header=BB43_3 Depth=1
	s_or_b32 exec_lo, exec_lo, s94
	s_and_saveexec_b32 s8, s103
; %bb.580:                              ;   in Loop: Header=BB43_3 Depth=1
	ds_store_b64 v48, v[40:41]
; %bb.581:                              ;   in Loop: Header=BB43_3 Depth=1
	s_or_b32 exec_lo, exec_lo, s8
	s_wait_dscnt 0x0
	s_barrier_signal -1
	s_barrier_wait -1
	s_and_saveexec_b32 s8, s104
	s_cbranch_execz .LBB43_583
; %bb.582:                              ;   in Loop: Header=BB43_3 Depth=1
	ds_load_b64 v[42:43], v1 offset:19768
	ds_load_b64 v[44:45], v48
	s_wait_dscnt 0x0
	v_fmac_f64_e32 v[40:41], v[42:43], v[44:45]
.LBB43_583:                             ;   in Loop: Header=BB43_3 Depth=1
	s_or_b32 exec_lo, exec_lo, s8
	s_barrier_signal -1
	s_barrier_wait -1
	s_and_saveexec_b32 s8, s104
; %bb.584:                              ;   in Loop: Header=BB43_3 Depth=1
	ds_store_b64 v48, v[40:41]
; %bb.585:                              ;   in Loop: Header=BB43_3 Depth=1
	s_or_b32 exec_lo, exec_lo, s8
	s_wait_dscnt 0x0
	s_barrier_signal -1
	s_barrier_wait -1
	s_barrier_signal -1
	s_barrier_wait -1
	s_and_saveexec_b32 s8, s3
; %bb.586:                              ;   in Loop: Header=BB43_3 Depth=1
	v_xor_b32_e32 v41, 0x80000000, v41
	ds_store_b64 v49, v[40:41] offset:18736
; %bb.587:                              ;   in Loop: Header=BB43_3 Depth=1
	s_or_b32 exec_lo, exec_lo, s8
	s_wait_dscnt 0x0
	s_barrier_signal -1
	s_barrier_wait -1
	s_barrier_signal -1
	s_barrier_wait -1
	s_and_saveexec_b32 s8, s12
; %bb.588:                              ;   in Loop: Header=BB43_3 Depth=1
	v_add_nc_u32_e64 v0, 0x4800, 0
	ds_store_2addr_b64 v0, v[30:31], v[30:31] offset0:166 offset1:231
; %bb.589:                              ;   in Loop: Header=BB43_3 Depth=1
	s_or_b32 exec_lo, exec_lo, s8
	v_mov_b64_e32 v[40:41], 0
	s_wait_dscnt 0x0
	s_barrier_signal -1
	s_barrier_wait -1
	s_and_saveexec_b32 s94, s5
	s_cbranch_execz .LBB43_599
; %bb.590:                              ;   in Loop: Header=BB43_3 Depth=1
	ds_load_b64 v[40:41], v60 offset:16704
	ds_load_b64 v[42:43], v57 offset:16640
	s_wait_dscnt 0x0
	v_fma_f64 v[40:41], v[40:41], v[42:43], 0
	s_and_saveexec_b32 s8, s16
	s_cbranch_execnz .LBB43_1033
; %bb.591:                              ;   in Loop: Header=BB43_3 Depth=1
	s_or_b32 exec_lo, exec_lo, s8
	s_and_saveexec_b32 s8, s17
	s_cbranch_execnz .LBB43_1034
.LBB43_592:                             ;   in Loop: Header=BB43_3 Depth=1
	s_or_b32 exec_lo, exec_lo, s8
	s_and_saveexec_b32 s8, s18
	s_cbranch_execnz .LBB43_1035
.LBB43_593:                             ;   in Loop: Header=BB43_3 Depth=1
	s_or_b32 exec_lo, exec_lo, s8
	s_and_saveexec_b32 s8, s19
	s_cbranch_execnz .LBB43_1036
.LBB43_594:                             ;   in Loop: Header=BB43_3 Depth=1
	s_or_b32 exec_lo, exec_lo, s8
	s_and_saveexec_b32 s8, s20
	s_cbranch_execnz .LBB43_1037
.LBB43_595:                             ;   in Loop: Header=BB43_3 Depth=1
	s_or_b32 exec_lo, exec_lo, s8
	s_and_saveexec_b32 s8, s4
	s_cbranch_execnz .LBB43_1038
.LBB43_596:                             ;   in Loop: Header=BB43_3 Depth=1
	s_or_b32 exec_lo, exec_lo, s8
	s_and_saveexec_b32 s8, s15
	s_cbranch_execz .LBB43_598
.LBB43_597:                             ;   in Loop: Header=BB43_3 Depth=1
	ds_load_b64 v[42:43], v51 offset:20288
	ds_load_b64 v[44:45], v1 offset:16696
	s_wait_dscnt 0x0
	v_fmac_f64_e32 v[40:41], v[42:43], v[44:45]
.LBB43_598:                             ;   in Loop: Header=BB43_3 Depth=1
	s_or_b32 exec_lo, exec_lo, s8
	s_delay_alu instid0(VALU_DEP_1)
	v_xor_b32_e32 v41, 0x80000000, v41
.LBB43_599:                             ;   in Loop: Header=BB43_3 Depth=1
	s_or_b32 exec_lo, exec_lo, s94
	s_and_saveexec_b32 s8, s39
; %bb.600:                              ;   in Loop: Header=BB43_3 Depth=1
	ds_store_b64 v59, v[40:41]
; %bb.601:                              ;   in Loop: Header=BB43_3 Depth=1
	s_or_b32 exec_lo, exec_lo, s8
	s_wait_dscnt 0x0
	s_barrier_signal -1
	s_barrier_wait -1
	s_and_saveexec_b32 s8, s40
	s_cbranch_execz .LBB43_603
; %bb.602:                              ;   in Loop: Header=BB43_3 Depth=1
	ds_load_b64 v[42:43], v58 offset:20800
	ds_load_b64 v[44:45], v59
	s_wait_dscnt 0x0
	v_fmac_f64_e32 v[40:41], v[42:43], v[44:45]
.LBB43_603:                             ;   in Loop: Header=BB43_3 Depth=1
	s_or_b32 exec_lo, exec_lo, s8
	s_barrier_signal -1
	s_barrier_wait -1
	s_and_saveexec_b32 s8, s41
; %bb.604:                              ;   in Loop: Header=BB43_3 Depth=1
	ds_store_b64 v59, v[40:41]
; %bb.605:                              ;   in Loop: Header=BB43_3 Depth=1
	s_or_b32 exec_lo, exec_lo, s8
	s_wait_dscnt 0x0
	s_barrier_signal -1
	s_barrier_wait -1
	s_and_saveexec_b32 s8, s42
	s_cbranch_execz .LBB43_607
; %bb.606:                              ;   in Loop: Header=BB43_3 Depth=1
	ds_load_b64 v[42:43], v58 offset:21312
	ds_load_b64 v[44:45], v59
	s_wait_dscnt 0x0
	v_fmac_f64_e32 v[40:41], v[42:43], v[44:45]
.LBB43_607:                             ;   in Loop: Header=BB43_3 Depth=1
	s_or_b32 exec_lo, exec_lo, s8
	s_barrier_signal -1
	s_barrier_wait -1
	;; [unrolled: 19-line block ×7, first 2 shown]
	s_and_saveexec_b32 s8, s52
; %bb.628:                              ;   in Loop: Header=BB43_3 Depth=1
	ds_store_b64 v59, v[40:41]
; %bb.629:                              ;   in Loop: Header=BB43_3 Depth=1
	s_or_b32 exec_lo, exec_lo, s8
	s_wait_dscnt 0x0
	s_barrier_signal -1
	s_barrier_wait -1
	s_barrier_signal -1
	s_barrier_wait -1
	s_and_saveexec_b32 s8, s5
; %bb.630:                              ;   in Loop: Header=BB43_3 Depth=1
	v_xor_b32_e32 v41, 0x80000000, v41
	ds_store_b64 v60, v[40:41] offset:16704
; %bb.631:                              ;   in Loop: Header=BB43_3 Depth=1
	s_or_b32 exec_lo, exec_lo, s8
	s_wait_dscnt 0x0
	s_barrier_signal -1
	s_barrier_wait -1
	s_barrier_signal -1
	s_barrier_wait -1
	s_and_saveexec_b32 s8, s12
; %bb.632:                              ;   in Loop: Header=BB43_3 Depth=1
	v_add_nc_u32_e64 v0, 0x5000, 0
	ds_store_2addr_b64 v0, v[30:31], v[30:31] offset0:40 offset1:105
; %bb.633:                              ;   in Loop: Header=BB43_3 Depth=1
	s_or_b32 exec_lo, exec_lo, s8
	v_mov_b64_e32 v[40:41], 0
	s_wait_dscnt 0x0
	s_barrier_signal -1
	s_barrier_wait -1
	s_and_saveexec_b32 s94, s3
	s_cbranch_execz .LBB43_637
; %bb.634:                              ;   in Loop: Header=BB43_3 Depth=1
	ds_load_b64 v[40:41], v49 offset:20816
	ds_load_b64 v[42:43], v50 offset:20800
	s_wait_dscnt 0x0
	v_fma_f64 v[40:41], v[40:41], v[42:43], 0
	s_and_saveexec_b32 s8, s13
	s_cbranch_execz .LBB43_636
; %bb.635:                              ;   in Loop: Header=BB43_3 Depth=1
	ds_load_b64 v[42:43], v51 offset:21328
	ds_load_b64 v[44:45], v1 offset:20808
	s_wait_dscnt 0x0
	v_fmac_f64_e32 v[40:41], v[42:43], v[44:45]
.LBB43_636:                             ;   in Loop: Header=BB43_3 Depth=1
	s_or_b32 exec_lo, exec_lo, s8
	s_delay_alu instid0(VALU_DEP_1)
	v_xor_b32_e32 v41, 0x80000000, v41
.LBB43_637:                             ;   in Loop: Header=BB43_3 Depth=1
	s_or_b32 exec_lo, exec_lo, s94
	s_and_saveexec_b32 s8, s103
; %bb.638:                              ;   in Loop: Header=BB43_3 Depth=1
	ds_store_b64 v48, v[40:41]
; %bb.639:                              ;   in Loop: Header=BB43_3 Depth=1
	s_or_b32 exec_lo, exec_lo, s8
	s_wait_dscnt 0x0
	s_barrier_signal -1
	s_barrier_wait -1
	s_and_saveexec_b32 s8, s104
	s_cbranch_execz .LBB43_641
; %bb.640:                              ;   in Loop: Header=BB43_3 Depth=1
	ds_load_b64 v[42:43], v1 offset:21848
	ds_load_b64 v[44:45], v48
	s_wait_dscnt 0x0
	v_fmac_f64_e32 v[40:41], v[42:43], v[44:45]
.LBB43_641:                             ;   in Loop: Header=BB43_3 Depth=1
	s_or_b32 exec_lo, exec_lo, s8
	s_barrier_signal -1
	s_barrier_wait -1
	s_and_saveexec_b32 s8, s104
; %bb.642:                              ;   in Loop: Header=BB43_3 Depth=1
	ds_store_b64 v48, v[40:41]
; %bb.643:                              ;   in Loop: Header=BB43_3 Depth=1
	s_or_b32 exec_lo, exec_lo, s8
	s_wait_dscnt 0x0
	s_barrier_signal -1
	s_barrier_wait -1
	s_barrier_signal -1
	s_barrier_wait -1
	s_and_saveexec_b32 s8, s3
; %bb.644:                              ;   in Loop: Header=BB43_3 Depth=1
	v_xor_b32_e32 v41, 0x80000000, v41
	ds_store_b64 v49, v[40:41] offset:20816
; %bb.645:                              ;   in Loop: Header=BB43_3 Depth=1
	s_or_b32 exec_lo, exec_lo, s8
	s_wait_dscnt 0x0
	s_barrier_signal -1
	s_barrier_wait -1
	s_barrier_signal -1
	s_barrier_wait -1
	s_and_saveexec_b32 s8, s12
; %bb.646:                              ;   in Loop: Header=BB43_3 Depth=1
	v_add_nc_u32_e64 v0, 0x5000, 0
	ds_store_2addr_b64 v0, v[30:31], v[30:31] offset0:170 offset1:235
; %bb.647:                              ;   in Loop: Header=BB43_3 Depth=1
	s_or_b32 exec_lo, exec_lo, s8
	v_mov_b64_e32 v[40:41], 0
	s_wait_dscnt 0x0
	s_barrier_signal -1
	s_barrier_wait -1
	s_and_saveexec_b32 s94, s4
	s_cbranch_execz .LBB43_653
; %bb.648:                              ;   in Loop: Header=BB43_3 Depth=1
	ds_load_b64 v[40:41], v55 offset:20832
	ds_load_b64 v[42:43], v53 offset:20800
	s_wait_dscnt 0x0
	v_fma_f64 v[40:41], v[40:41], v[42:43], 0
	s_and_saveexec_b32 s8, s14
	s_cbranch_execnz .LBB43_1039
; %bb.649:                              ;   in Loop: Header=BB43_3 Depth=1
	s_or_b32 exec_lo, exec_lo, s8
	s_and_saveexec_b32 s8, s15
	s_cbranch_execnz .LBB43_1040
.LBB43_650:                             ;   in Loop: Header=BB43_3 Depth=1
	s_or_b32 exec_lo, exec_lo, s8
	s_and_saveexec_b32 s8, s3
	s_cbranch_execz .LBB43_652
.LBB43_651:                             ;   in Loop: Header=BB43_3 Depth=1
	ds_load_b64 v[42:43], v51 offset:22368
	ds_load_b64 v[44:45], v1 offset:20824
	s_wait_dscnt 0x0
	v_fmac_f64_e32 v[40:41], v[42:43], v[44:45]
.LBB43_652:                             ;   in Loop: Header=BB43_3 Depth=1
	s_or_b32 exec_lo, exec_lo, s8
	s_delay_alu instid0(VALU_DEP_1)
	v_xor_b32_e32 v41, 0x80000000, v41
.LBB43_653:                             ;   in Loop: Header=BB43_3 Depth=1
	s_or_b32 exec_lo, exec_lo, s94
	s_and_saveexec_b32 s8, vcc_hi
; %bb.654:                              ;   in Loop: Header=BB43_3 Depth=1
	ds_store_b64 v54, v[40:41]
; %bb.655:                              ;   in Loop: Header=BB43_3 Depth=1
	s_or_b32 exec_lo, exec_lo, s8
	s_wait_dscnt 0x0
	s_barrier_signal -1
	s_barrier_wait -1
	s_and_saveexec_b32 s8, s34
	s_cbranch_execz .LBB43_657
; %bb.656:                              ;   in Loop: Header=BB43_3 Depth=1
	ds_load_b64 v[42:43], v52 offset:22880
	ds_load_b64 v[44:45], v54
	s_wait_dscnt 0x0
	v_fmac_f64_e32 v[40:41], v[42:43], v[44:45]
.LBB43_657:                             ;   in Loop: Header=BB43_3 Depth=1
	s_or_b32 exec_lo, exec_lo, s8
	s_barrier_signal -1
	s_barrier_wait -1
	s_and_saveexec_b32 s8, s35
; %bb.658:                              ;   in Loop: Header=BB43_3 Depth=1
	ds_store_b64 v54, v[40:41]
; %bb.659:                              ;   in Loop: Header=BB43_3 Depth=1
	s_or_b32 exec_lo, exec_lo, s8
	s_wait_dscnt 0x0
	s_barrier_signal -1
	s_barrier_wait -1
	s_and_saveexec_b32 s8, s36
	s_cbranch_execz .LBB43_661
; %bb.660:                              ;   in Loop: Header=BB43_3 Depth=1
	ds_load_b64 v[42:43], v52 offset:23392
	ds_load_b64 v[44:45], v54
	s_wait_dscnt 0x0
	v_fmac_f64_e32 v[40:41], v[42:43], v[44:45]
.LBB43_661:                             ;   in Loop: Header=BB43_3 Depth=1
	s_or_b32 exec_lo, exec_lo, s8
	s_barrier_signal -1
	s_barrier_wait -1
	s_and_saveexec_b32 s8, s37
	;; [unrolled: 19-line block ×3, first 2 shown]
; %bb.666:                              ;   in Loop: Header=BB43_3 Depth=1
	ds_store_b64 v54, v[40:41]
; %bb.667:                              ;   in Loop: Header=BB43_3 Depth=1
	s_or_b32 exec_lo, exec_lo, s8
	s_wait_dscnt 0x0
	s_barrier_signal -1
	s_barrier_wait -1
	s_barrier_signal -1
	s_barrier_wait -1
	s_and_saveexec_b32 s8, s4
; %bb.668:                              ;   in Loop: Header=BB43_3 Depth=1
	v_xor_b32_e32 v41, 0x80000000, v41
	ds_store_b64 v55, v[40:41] offset:20832
; %bb.669:                              ;   in Loop: Header=BB43_3 Depth=1
	s_or_b32 exec_lo, exec_lo, s8
	s_wait_dscnt 0x0
	s_barrier_signal -1
	s_barrier_wait -1
	s_barrier_signal -1
	s_barrier_wait -1
	s_and_saveexec_b32 s8, s12
; %bb.670:                              ;   in Loop: Header=BB43_3 Depth=1
	v_add_nc_u32_e64 v0, 0x5800, 0
	ds_store_2addr_b64 v0, v[30:31], v[30:31] offset0:44 offset1:109
; %bb.671:                              ;   in Loop: Header=BB43_3 Depth=1
	s_or_b32 exec_lo, exec_lo, s8
	v_mov_b64_e32 v[40:41], 0
	s_wait_dscnt 0x0
	s_barrier_signal -1
	s_barrier_wait -1
	s_and_saveexec_b32 s94, s3
	s_cbranch_execz .LBB43_675
; %bb.672:                              ;   in Loop: Header=BB43_3 Depth=1
	ds_load_b64 v[40:41], v49 offset:22896
	ds_load_b64 v[42:43], v50 offset:22880
	s_wait_dscnt 0x0
	v_fma_f64 v[40:41], v[40:41], v[42:43], 0
	s_and_saveexec_b32 s8, s13
	s_cbranch_execz .LBB43_674
; %bb.673:                              ;   in Loop: Header=BB43_3 Depth=1
	ds_load_b64 v[42:43], v51 offset:23408
	ds_load_b64 v[44:45], v1 offset:22888
	s_wait_dscnt 0x0
	v_fmac_f64_e32 v[40:41], v[42:43], v[44:45]
.LBB43_674:                             ;   in Loop: Header=BB43_3 Depth=1
	s_or_b32 exec_lo, exec_lo, s8
	s_delay_alu instid0(VALU_DEP_1)
	v_xor_b32_e32 v41, 0x80000000, v41
.LBB43_675:                             ;   in Loop: Header=BB43_3 Depth=1
	s_or_b32 exec_lo, exec_lo, s94
	s_and_saveexec_b32 s8, s103
; %bb.676:                              ;   in Loop: Header=BB43_3 Depth=1
	ds_store_b64 v48, v[40:41]
; %bb.677:                              ;   in Loop: Header=BB43_3 Depth=1
	s_or_b32 exec_lo, exec_lo, s8
	s_wait_dscnt 0x0
	s_barrier_signal -1
	s_barrier_wait -1
	s_and_saveexec_b32 s8, s104
	s_cbranch_execz .LBB43_679
; %bb.678:                              ;   in Loop: Header=BB43_3 Depth=1
	ds_load_b64 v[42:43], v1 offset:23928
	ds_load_b64 v[44:45], v48
	s_wait_dscnt 0x0
	v_fmac_f64_e32 v[40:41], v[42:43], v[44:45]
.LBB43_679:                             ;   in Loop: Header=BB43_3 Depth=1
	s_or_b32 exec_lo, exec_lo, s8
	s_barrier_signal -1
	s_barrier_wait -1
	s_and_saveexec_b32 s8, s104
; %bb.680:                              ;   in Loop: Header=BB43_3 Depth=1
	ds_store_b64 v48, v[40:41]
; %bb.681:                              ;   in Loop: Header=BB43_3 Depth=1
	s_or_b32 exec_lo, exec_lo, s8
	s_wait_dscnt 0x0
	s_barrier_signal -1
	s_barrier_wait -1
	s_barrier_signal -1
	s_barrier_wait -1
	s_and_saveexec_b32 s8, s3
; %bb.682:                              ;   in Loop: Header=BB43_3 Depth=1
	v_xor_b32_e32 v41, 0x80000000, v41
	ds_store_b64 v49, v[40:41] offset:22896
; %bb.683:                              ;   in Loop: Header=BB43_3 Depth=1
	s_or_b32 exec_lo, exec_lo, s8
	s_wait_dscnt 0x0
	s_barrier_signal -1
	s_barrier_wait -1
	s_barrier_signal -1
	s_barrier_wait -1
	s_and_saveexec_b32 s8, s12
; %bb.684:                              ;   in Loop: Header=BB43_3 Depth=1
	v_add_nc_u32_e64 v0, 0x5800, 0
	ds_store_2addr_b64 v0, v[30:31], v[30:31] offset0:174 offset1:239
; %bb.685:                              ;   in Loop: Header=BB43_3 Depth=1
	s_or_b32 exec_lo, exec_lo, s8
	v_mov_b64_e32 v[40:41], 0
	s_wait_dscnt 0x0
	s_barrier_signal -1
	s_barrier_wait -1
	s_and_saveexec_b32 s94, s6
	s_cbranch_execz .LBB43_713
; %bb.686:                              ;   in Loop: Header=BB43_3 Depth=1
	ds_load_b64 v[40:41], v65 offset:16768
	ds_load_b64 v[42:43], v62 offset:16640
	s_wait_dscnt 0x0
	v_fma_f64 v[40:41], v[40:41], v[42:43], 0
	s_mov_b32 s8, exec_lo
	v_readlane_b32 s9, v85, 23
	s_and_b32 s9, s8, s9
	s_delay_alu instid0(SALU_CYCLE_1)
	s_mov_b32 exec_lo, s9
	s_cbranch_execz .LBB43_688
; %bb.687:                              ;   in Loop: Header=BB43_3 Depth=1
	ds_load_b64 v[42:43], v66 offset:17280
	ds_load_b64 v[44:45], v62 offset:16648
	s_wait_dscnt 0x0
	v_fmac_f64_e32 v[40:41], v[42:43], v[44:45]
.LBB43_688:                             ;   in Loop: Header=BB43_3 Depth=1
	s_or_b32 exec_lo, exec_lo, s8
	s_delay_alu instid0(SALU_CYCLE_1) | instskip(SKIP_2) | instid1(SALU_CYCLE_1)
	s_mov_b32 s8, exec_lo
	v_readlane_b32 s9, v85, 24
	s_and_b32 s9, s8, s9
	s_mov_b32 exec_lo, s9
	s_cbranch_execz .LBB43_690
; %bb.689:                              ;   in Loop: Header=BB43_3 Depth=1
	ds_load_b64 v[42:43], v66 offset:17792
	ds_load_b64 v[44:45], v62 offset:16656
	s_wait_dscnt 0x0
	v_fmac_f64_e32 v[40:41], v[42:43], v[44:45]
.LBB43_690:                             ;   in Loop: Header=BB43_3 Depth=1
	s_or_b32 exec_lo, exec_lo, s8
	s_delay_alu instid0(SALU_CYCLE_1) | instskip(SKIP_2) | instid1(SALU_CYCLE_1)
	s_mov_b32 s8, exec_lo
	v_readlane_b32 s9, v85, 25
	s_and_b32 s9, s8, s9
	;; [unrolled: 13-line block ×8, first 2 shown]
	s_mov_b32 exec_lo, s9
	s_cbranch_execz .LBB43_704
; %bb.703:                              ;   in Loop: Header=BB43_3 Depth=1
	ds_load_b64 v[42:43], v66 offset:21376
	ds_load_b64 v[44:45], v62 offset:16712
	s_wait_dscnt 0x0
	v_fmac_f64_e32 v[40:41], v[42:43], v[44:45]
.LBB43_704:                             ;   in Loop: Header=BB43_3 Depth=1
	s_or_b32 exec_lo, exec_lo, s8
	s_and_saveexec_b32 s8, s10
	s_cbranch_execz .LBB43_706
; %bb.705:                              ;   in Loop: Header=BB43_3 Depth=1
	ds_load_b64 v[42:43], v66 offset:21888
	ds_load_b64 v[44:45], v62 offset:16720
	s_wait_dscnt 0x0
	v_fmac_f64_e32 v[40:41], v[42:43], v[44:45]
.LBB43_706:                             ;   in Loop: Header=BB43_3 Depth=1
	s_or_b32 exec_lo, exec_lo, s8
	s_delay_alu instid0(SALU_CYCLE_1) | instskip(SKIP_2) | instid1(SALU_CYCLE_1)
	s_mov_b32 s8, exec_lo
	v_readlane_b32 s9, v84, 0
	s_and_b32 s9, s8, s9
	s_mov_b32 exec_lo, s9
	s_cbranch_execnz .LBB43_1041
; %bb.707:                              ;   in Loop: Header=BB43_3 Depth=1
	s_or_b32 exec_lo, exec_lo, s8
	s_and_saveexec_b32 s8, s5
	s_cbranch_execnz .LBB43_1042
.LBB43_708:                             ;   in Loop: Header=BB43_3 Depth=1
	s_or_b32 exec_lo, exec_lo, s8
	s_and_saveexec_b32 s8, s17
	s_cbranch_execnz .LBB43_1043
.LBB43_709:                             ;   in Loop: Header=BB43_3 Depth=1
	s_or_b32 exec_lo, exec_lo, s8
	s_and_saveexec_b32 s8, s19
	s_cbranch_execnz .LBB43_1044
.LBB43_710:                             ;   in Loop: Header=BB43_3 Depth=1
	s_or_b32 exec_lo, exec_lo, s8
	s_and_saveexec_b32 s8, s4
	s_cbranch_execz .LBB43_712
.LBB43_711:                             ;   in Loop: Header=BB43_3 Depth=1
	ds_load_b64 v[42:43], v51 offset:24448
	ds_load_b64 v[44:45], v1 offset:16760
	s_wait_dscnt 0x0
	v_fmac_f64_e32 v[40:41], v[42:43], v[44:45]
.LBB43_712:                             ;   in Loop: Header=BB43_3 Depth=1
	s_or_b32 exec_lo, exec_lo, s8
	s_delay_alu instid0(VALU_DEP_1)
	v_xor_b32_e32 v41, 0x80000000, v41
.LBB43_713:                             ;   in Loop: Header=BB43_3 Depth=1
	s_or_b32 exec_lo, exec_lo, s94
	s_delay_alu instid0(SALU_CYCLE_1) | instskip(SKIP_2) | instid1(SALU_CYCLE_1)
	s_mov_b32 s8, exec_lo
	v_readlane_b32 s9, v85, 6
	s_and_b32 s9, s8, s9
	s_mov_b32 exec_lo, s9
; %bb.714:                              ;   in Loop: Header=BB43_3 Depth=1
	ds_store_b64 v64, v[40:41]
; %bb.715:                              ;   in Loop: Header=BB43_3 Depth=1
	s_or_b32 exec_lo, exec_lo, s8
	s_wait_dscnt 0x0
	s_barrier_signal -1
	s_barrier_wait -1
	s_mov_b32 s8, exec_lo
	v_readlane_b32 s9, v85, 7
	s_and_b32 s9, s8, s9
	s_delay_alu instid0(SALU_CYCLE_1)
	s_mov_b32 exec_lo, s9
	s_cbranch_execz .LBB43_717
; %bb.716:                              ;   in Loop: Header=BB43_3 Depth=1
	ds_load_b64 v[42:43], v63 offset:24960
	ds_load_b64 v[44:45], v64
	s_wait_dscnt 0x0
	v_fmac_f64_e32 v[40:41], v[42:43], v[44:45]
.LBB43_717:                             ;   in Loop: Header=BB43_3 Depth=1
	s_or_b32 exec_lo, exec_lo, s8
	s_barrier_signal -1
	s_barrier_wait -1
	s_mov_b32 s8, exec_lo
	v_readlane_b32 s9, v85, 8
	s_and_b32 s9, s8, s9
	s_delay_alu instid0(SALU_CYCLE_1)
	s_mov_b32 exec_lo, s9
; %bb.718:                              ;   in Loop: Header=BB43_3 Depth=1
	ds_store_b64 v64, v[40:41]
; %bb.719:                              ;   in Loop: Header=BB43_3 Depth=1
	s_or_b32 exec_lo, exec_lo, s8
	s_wait_dscnt 0x0
	s_barrier_signal -1
	s_barrier_wait -1
	s_mov_b32 s8, exec_lo
	v_readlane_b32 s9, v85, 9
	s_and_b32 s9, s8, s9
	s_delay_alu instid0(SALU_CYCLE_1)
	s_mov_b32 exec_lo, s9
	s_cbranch_execz .LBB43_721
; %bb.720:                              ;   in Loop: Header=BB43_3 Depth=1
	ds_load_b64 v[42:43], v63 offset:25472
	ds_load_b64 v[44:45], v64
	s_wait_dscnt 0x0
	v_fmac_f64_e32 v[40:41], v[42:43], v[44:45]
.LBB43_721:                             ;   in Loop: Header=BB43_3 Depth=1
	s_or_b32 exec_lo, exec_lo, s8
	s_barrier_signal -1
	s_barrier_wait -1
	s_and_saveexec_b32 s8, s21
; %bb.722:                              ;   in Loop: Header=BB43_3 Depth=1
	ds_store_b64 v64, v[40:41]
; %bb.723:                              ;   in Loop: Header=BB43_3 Depth=1
	s_or_b32 exec_lo, exec_lo, s8
	s_wait_dscnt 0x0
	s_barrier_signal -1
	s_barrier_wait -1
	s_and_saveexec_b32 s8, s23
	s_cbranch_execz .LBB43_725
; %bb.724:                              ;   in Loop: Header=BB43_3 Depth=1
	ds_load_b64 v[42:43], v63 offset:25984
	ds_load_b64 v[44:45], v64
	s_wait_dscnt 0x0
	v_fmac_f64_e32 v[40:41], v[42:43], v[44:45]
.LBB43_725:                             ;   in Loop: Header=BB43_3 Depth=1
	s_or_b32 exec_lo, exec_lo, s8
	s_barrier_signal -1
	s_barrier_wait -1
	s_and_saveexec_b32 s8, s25
; %bb.726:                              ;   in Loop: Header=BB43_3 Depth=1
	ds_store_b64 v64, v[40:41]
; %bb.727:                              ;   in Loop: Header=BB43_3 Depth=1
	s_or_b32 exec_lo, exec_lo, s8
	s_wait_dscnt 0x0
	s_barrier_signal -1
	s_barrier_wait -1
	s_and_saveexec_b32 s8, s27
	;; [unrolled: 19-line block ×13, first 2 shown]
	s_cbranch_execz .LBB43_773
; %bb.772:                              ;   in Loop: Header=BB43_3 Depth=1
	ds_load_b64 v[42:43], v1 offset:32248
	ds_load_b64 v[44:45], v64
	s_wait_dscnt 0x0
	v_fmac_f64_e32 v[40:41], v[42:43], v[44:45]
.LBB43_773:                             ;   in Loop: Header=BB43_3 Depth=1
	s_or_b32 exec_lo, exec_lo, s8
	s_barrier_signal -1
	s_barrier_wait -1
	s_and_saveexec_b32 s8, s53
; %bb.774:                              ;   in Loop: Header=BB43_3 Depth=1
	ds_store_b64 v64, v[40:41]
; %bb.775:                              ;   in Loop: Header=BB43_3 Depth=1
	s_or_b32 exec_lo, exec_lo, s8
	s_wait_dscnt 0x0
	s_barrier_signal -1
	s_barrier_wait -1
	s_barrier_signal -1
	s_barrier_wait -1
	s_and_saveexec_b32 s8, s6
; %bb.776:                              ;   in Loop: Header=BB43_3 Depth=1
	v_xor_b32_e32 v41, 0x80000000, v41
	ds_store_b64 v65, v[40:41] offset:16768
; %bb.777:                              ;   in Loop: Header=BB43_3 Depth=1
	s_or_b32 exec_lo, exec_lo, s8
	s_wait_dscnt 0x0
	s_barrier_signal -1
	s_barrier_wait -1
	s_barrier_signal -1
	s_barrier_wait -1
	s_and_saveexec_b32 s8, s12
; %bb.778:                              ;   in Loop: Header=BB43_3 Depth=1
	v_add_nc_u32_e64 v0, 0x6000, 0
	ds_store_2addr_b64 v0, v[30:31], v[30:31] offset0:48 offset1:113
; %bb.779:                              ;   in Loop: Header=BB43_3 Depth=1
	s_or_b32 exec_lo, exec_lo, s8
	v_mov_b64_e32 v[40:41], 0
	s_wait_dscnt 0x0
	s_barrier_signal -1
	s_barrier_wait -1
	s_and_saveexec_b32 s94, s3
	s_cbranch_execz .LBB43_783
; %bb.780:                              ;   in Loop: Header=BB43_3 Depth=1
	ds_load_b64 v[40:41], v49 offset:24976
	ds_load_b64 v[42:43], v50 offset:24960
	s_wait_dscnt 0x0
	v_fma_f64 v[40:41], v[40:41], v[42:43], 0
	s_and_saveexec_b32 s8, s13
	s_cbranch_execz .LBB43_782
; %bb.781:                              ;   in Loop: Header=BB43_3 Depth=1
	ds_load_b64 v[42:43], v51 offset:25488
	ds_load_b64 v[44:45], v1 offset:24968
	s_wait_dscnt 0x0
	v_fmac_f64_e32 v[40:41], v[42:43], v[44:45]
.LBB43_782:                             ;   in Loop: Header=BB43_3 Depth=1
	s_or_b32 exec_lo, exec_lo, s8
	s_delay_alu instid0(VALU_DEP_1)
	v_xor_b32_e32 v41, 0x80000000, v41
.LBB43_783:                             ;   in Loop: Header=BB43_3 Depth=1
	s_or_b32 exec_lo, exec_lo, s94
	s_and_saveexec_b32 s8, s103
; %bb.784:                              ;   in Loop: Header=BB43_3 Depth=1
	ds_store_b64 v48, v[40:41]
; %bb.785:                              ;   in Loop: Header=BB43_3 Depth=1
	s_or_b32 exec_lo, exec_lo, s8
	s_wait_dscnt 0x0
	s_barrier_signal -1
	s_barrier_wait -1
	s_and_saveexec_b32 s8, s104
	s_cbranch_execz .LBB43_787
; %bb.786:                              ;   in Loop: Header=BB43_3 Depth=1
	ds_load_b64 v[42:43], v1 offset:26008
	ds_load_b64 v[44:45], v48
	s_wait_dscnt 0x0
	v_fmac_f64_e32 v[40:41], v[42:43], v[44:45]
.LBB43_787:                             ;   in Loop: Header=BB43_3 Depth=1
	s_or_b32 exec_lo, exec_lo, s8
	s_barrier_signal -1
	s_barrier_wait -1
	s_and_saveexec_b32 s8, s104
; %bb.788:                              ;   in Loop: Header=BB43_3 Depth=1
	ds_store_b64 v48, v[40:41]
; %bb.789:                              ;   in Loop: Header=BB43_3 Depth=1
	s_or_b32 exec_lo, exec_lo, s8
	s_wait_dscnt 0x0
	s_barrier_signal -1
	s_barrier_wait -1
	s_barrier_signal -1
	s_barrier_wait -1
	s_and_saveexec_b32 s8, s3
; %bb.790:                              ;   in Loop: Header=BB43_3 Depth=1
	v_xor_b32_e32 v41, 0x80000000, v41
	ds_store_b64 v49, v[40:41] offset:24976
; %bb.791:                              ;   in Loop: Header=BB43_3 Depth=1
	s_or_b32 exec_lo, exec_lo, s8
	s_wait_dscnt 0x0
	s_barrier_signal -1
	s_barrier_wait -1
	s_barrier_signal -1
	s_barrier_wait -1
	s_and_saveexec_b32 s8, s12
; %bb.792:                              ;   in Loop: Header=BB43_3 Depth=1
	v_add_nc_u32_e64 v0, 0x6000, 0
	ds_store_2addr_b64 v0, v[30:31], v[30:31] offset0:178 offset1:243
; %bb.793:                              ;   in Loop: Header=BB43_3 Depth=1
	s_or_b32 exec_lo, exec_lo, s8
	v_mov_b64_e32 v[40:41], 0
	s_wait_dscnt 0x0
	s_barrier_signal -1
	s_barrier_wait -1
	s_and_saveexec_b32 s94, s4
	s_cbranch_execz .LBB43_799
; %bb.794:                              ;   in Loop: Header=BB43_3 Depth=1
	ds_load_b64 v[40:41], v55 offset:24992
	ds_load_b64 v[42:43], v53 offset:24960
	s_wait_dscnt 0x0
	v_fma_f64 v[40:41], v[40:41], v[42:43], 0
	s_and_saveexec_b32 s8, s14
	s_cbranch_execnz .LBB43_1045
; %bb.795:                              ;   in Loop: Header=BB43_3 Depth=1
	s_or_b32 exec_lo, exec_lo, s8
	s_and_saveexec_b32 s8, s15
	s_cbranch_execnz .LBB43_1046
.LBB43_796:                             ;   in Loop: Header=BB43_3 Depth=1
	s_or_b32 exec_lo, exec_lo, s8
	s_and_saveexec_b32 s8, s3
	s_cbranch_execz .LBB43_798
.LBB43_797:                             ;   in Loop: Header=BB43_3 Depth=1
	ds_load_b64 v[42:43], v51 offset:26528
	ds_load_b64 v[44:45], v1 offset:24984
	s_wait_dscnt 0x0
	v_fmac_f64_e32 v[40:41], v[42:43], v[44:45]
.LBB43_798:                             ;   in Loop: Header=BB43_3 Depth=1
	s_or_b32 exec_lo, exec_lo, s8
	s_delay_alu instid0(VALU_DEP_1)
	v_xor_b32_e32 v41, 0x80000000, v41
.LBB43_799:                             ;   in Loop: Header=BB43_3 Depth=1
	s_or_b32 exec_lo, exec_lo, s94
	s_and_saveexec_b32 s8, vcc_hi
; %bb.800:                              ;   in Loop: Header=BB43_3 Depth=1
	ds_store_b64 v54, v[40:41]
; %bb.801:                              ;   in Loop: Header=BB43_3 Depth=1
	s_or_b32 exec_lo, exec_lo, s8
	s_wait_dscnt 0x0
	s_barrier_signal -1
	s_barrier_wait -1
	s_and_saveexec_b32 s8, s34
	s_cbranch_execz .LBB43_803
; %bb.802:                              ;   in Loop: Header=BB43_3 Depth=1
	ds_load_b64 v[42:43], v52 offset:27040
	ds_load_b64 v[44:45], v54
	s_wait_dscnt 0x0
	v_fmac_f64_e32 v[40:41], v[42:43], v[44:45]
.LBB43_803:                             ;   in Loop: Header=BB43_3 Depth=1
	s_or_b32 exec_lo, exec_lo, s8
	s_barrier_signal -1
	s_barrier_wait -1
	s_and_saveexec_b32 s8, s35
; %bb.804:                              ;   in Loop: Header=BB43_3 Depth=1
	ds_store_b64 v54, v[40:41]
; %bb.805:                              ;   in Loop: Header=BB43_3 Depth=1
	s_or_b32 exec_lo, exec_lo, s8
	s_wait_dscnt 0x0
	s_barrier_signal -1
	s_barrier_wait -1
	s_and_saveexec_b32 s8, s36
	s_cbranch_execz .LBB43_807
; %bb.806:                              ;   in Loop: Header=BB43_3 Depth=1
	ds_load_b64 v[42:43], v52 offset:27552
	ds_load_b64 v[44:45], v54
	s_wait_dscnt 0x0
	v_fmac_f64_e32 v[40:41], v[42:43], v[44:45]
.LBB43_807:                             ;   in Loop: Header=BB43_3 Depth=1
	s_or_b32 exec_lo, exec_lo, s8
	s_barrier_signal -1
	s_barrier_wait -1
	s_and_saveexec_b32 s8, s37
; %bb.808:                              ;   in Loop: Header=BB43_3 Depth=1
	ds_store_b64 v54, v[40:41]
; %bb.809:                              ;   in Loop: Header=BB43_3 Depth=1
	s_or_b32 exec_lo, exec_lo, s8
	s_wait_dscnt 0x0
	s_barrier_signal -1
	s_barrier_wait -1
	s_and_saveexec_b32 s8, s38
	s_cbranch_execz .LBB43_811
; %bb.810:                              ;   in Loop: Header=BB43_3 Depth=1
	ds_load_b64 v[42:43], v1 offset:28088
	ds_load_b64 v[44:45], v54
	s_wait_dscnt 0x0
	v_fmac_f64_e32 v[40:41], v[42:43], v[44:45]
.LBB43_811:                             ;   in Loop: Header=BB43_3 Depth=1
	s_or_b32 exec_lo, exec_lo, s8
	s_barrier_signal -1
	s_barrier_wait -1
	s_and_saveexec_b32 s8, s38
; %bb.812:                              ;   in Loop: Header=BB43_3 Depth=1
	ds_store_b64 v54, v[40:41]
; %bb.813:                              ;   in Loop: Header=BB43_3 Depth=1
	s_or_b32 exec_lo, exec_lo, s8
	s_wait_dscnt 0x0
	s_barrier_signal -1
	s_barrier_wait -1
	s_barrier_signal -1
	s_barrier_wait -1
	s_and_saveexec_b32 s8, s4
; %bb.814:                              ;   in Loop: Header=BB43_3 Depth=1
	v_xor_b32_e32 v41, 0x80000000, v41
	ds_store_b64 v55, v[40:41] offset:24992
; %bb.815:                              ;   in Loop: Header=BB43_3 Depth=1
	s_or_b32 exec_lo, exec_lo, s8
	s_wait_dscnt 0x0
	s_barrier_signal -1
	s_barrier_wait -1
	s_barrier_signal -1
	s_barrier_wait -1
	s_and_saveexec_b32 s8, s12
; %bb.816:                              ;   in Loop: Header=BB43_3 Depth=1
	v_add_nc_u32_e64 v0, 0x6800, 0
	ds_store_2addr_b64 v0, v[30:31], v[30:31] offset0:52 offset1:117
; %bb.817:                              ;   in Loop: Header=BB43_3 Depth=1
	s_or_b32 exec_lo, exec_lo, s8
	v_mov_b64_e32 v[40:41], 0
	s_wait_dscnt 0x0
	s_barrier_signal -1
	s_barrier_wait -1
	s_and_saveexec_b32 s94, s3
	s_cbranch_execz .LBB43_821
; %bb.818:                              ;   in Loop: Header=BB43_3 Depth=1
	ds_load_b64 v[40:41], v49 offset:27056
	ds_load_b64 v[42:43], v50 offset:27040
	s_wait_dscnt 0x0
	v_fma_f64 v[40:41], v[40:41], v[42:43], 0
	s_and_saveexec_b32 s8, s13
	s_cbranch_execz .LBB43_820
; %bb.819:                              ;   in Loop: Header=BB43_3 Depth=1
	ds_load_b64 v[42:43], v51 offset:27568
	ds_load_b64 v[44:45], v1 offset:27048
	s_wait_dscnt 0x0
	v_fmac_f64_e32 v[40:41], v[42:43], v[44:45]
.LBB43_820:                             ;   in Loop: Header=BB43_3 Depth=1
	s_or_b32 exec_lo, exec_lo, s8
	s_delay_alu instid0(VALU_DEP_1)
	v_xor_b32_e32 v41, 0x80000000, v41
.LBB43_821:                             ;   in Loop: Header=BB43_3 Depth=1
	s_or_b32 exec_lo, exec_lo, s94
	s_and_saveexec_b32 s8, s103
; %bb.822:                              ;   in Loop: Header=BB43_3 Depth=1
	ds_store_b64 v48, v[40:41]
; %bb.823:                              ;   in Loop: Header=BB43_3 Depth=1
	s_or_b32 exec_lo, exec_lo, s8
	s_wait_dscnt 0x0
	s_barrier_signal -1
	s_barrier_wait -1
	s_and_saveexec_b32 s8, s104
	s_cbranch_execz .LBB43_825
; %bb.824:                              ;   in Loop: Header=BB43_3 Depth=1
	ds_load_b64 v[42:43], v1 offset:28088
	ds_load_b64 v[44:45], v48
	s_wait_dscnt 0x0
	v_fmac_f64_e32 v[40:41], v[42:43], v[44:45]
.LBB43_825:                             ;   in Loop: Header=BB43_3 Depth=1
	s_or_b32 exec_lo, exec_lo, s8
	s_barrier_signal -1
	s_barrier_wait -1
	s_and_saveexec_b32 s8, s104
; %bb.826:                              ;   in Loop: Header=BB43_3 Depth=1
	ds_store_b64 v48, v[40:41]
; %bb.827:                              ;   in Loop: Header=BB43_3 Depth=1
	s_or_b32 exec_lo, exec_lo, s8
	s_wait_dscnt 0x0
	s_barrier_signal -1
	s_barrier_wait -1
	s_barrier_signal -1
	s_barrier_wait -1
	s_and_saveexec_b32 s8, s3
; %bb.828:                              ;   in Loop: Header=BB43_3 Depth=1
	v_xor_b32_e32 v41, 0x80000000, v41
	ds_store_b64 v49, v[40:41] offset:27056
; %bb.829:                              ;   in Loop: Header=BB43_3 Depth=1
	s_or_b32 exec_lo, exec_lo, s8
	s_wait_dscnt 0x0
	s_barrier_signal -1
	s_barrier_wait -1
	s_barrier_signal -1
	s_barrier_wait -1
	s_and_saveexec_b32 s8, s12
; %bb.830:                              ;   in Loop: Header=BB43_3 Depth=1
	v_add_nc_u32_e64 v0, 0x6800, 0
	ds_store_2addr_b64 v0, v[30:31], v[30:31] offset0:182 offset1:247
; %bb.831:                              ;   in Loop: Header=BB43_3 Depth=1
	s_or_b32 exec_lo, exec_lo, s8
	v_mov_b64_e32 v[40:41], 0
	s_wait_dscnt 0x0
	s_barrier_signal -1
	s_barrier_wait -1
	s_and_saveexec_b32 s94, s5
	s_cbranch_execz .LBB43_841
; %bb.832:                              ;   in Loop: Header=BB43_3 Depth=1
	ds_load_b64 v[40:41], v60 offset:25024
	ds_load_b64 v[42:43], v57 offset:24960
	s_wait_dscnt 0x0
	v_fma_f64 v[40:41], v[40:41], v[42:43], 0
	s_and_saveexec_b32 s8, s16
	s_cbranch_execnz .LBB43_1047
; %bb.833:                              ;   in Loop: Header=BB43_3 Depth=1
	s_or_b32 exec_lo, exec_lo, s8
	s_and_saveexec_b32 s8, s17
	s_cbranch_execnz .LBB43_1048
.LBB43_834:                             ;   in Loop: Header=BB43_3 Depth=1
	s_or_b32 exec_lo, exec_lo, s8
	s_and_saveexec_b32 s8, s18
	s_cbranch_execnz .LBB43_1049
.LBB43_835:                             ;   in Loop: Header=BB43_3 Depth=1
	s_or_b32 exec_lo, exec_lo, s8
	s_and_saveexec_b32 s8, s19
	s_cbranch_execnz .LBB43_1050
.LBB43_836:                             ;   in Loop: Header=BB43_3 Depth=1
	s_or_b32 exec_lo, exec_lo, s8
	s_and_saveexec_b32 s8, s20
	s_cbranch_execnz .LBB43_1051
.LBB43_837:                             ;   in Loop: Header=BB43_3 Depth=1
	s_or_b32 exec_lo, exec_lo, s8
	s_and_saveexec_b32 s8, s4
	s_cbranch_execnz .LBB43_1052
.LBB43_838:                             ;   in Loop: Header=BB43_3 Depth=1
	s_or_b32 exec_lo, exec_lo, s8
	s_and_saveexec_b32 s8, s15
	s_cbranch_execz .LBB43_840
.LBB43_839:                             ;   in Loop: Header=BB43_3 Depth=1
	ds_load_b64 v[42:43], v51 offset:28608
	ds_load_b64 v[44:45], v1 offset:25016
	s_wait_dscnt 0x0
	v_fmac_f64_e32 v[40:41], v[42:43], v[44:45]
.LBB43_840:                             ;   in Loop: Header=BB43_3 Depth=1
	s_or_b32 exec_lo, exec_lo, s8
	s_delay_alu instid0(VALU_DEP_1)
	v_xor_b32_e32 v41, 0x80000000, v41
.LBB43_841:                             ;   in Loop: Header=BB43_3 Depth=1
	s_or_b32 exec_lo, exec_lo, s94
	s_and_saveexec_b32 s8, s39
; %bb.842:                              ;   in Loop: Header=BB43_3 Depth=1
	ds_store_b64 v59, v[40:41]
; %bb.843:                              ;   in Loop: Header=BB43_3 Depth=1
	s_or_b32 exec_lo, exec_lo, s8
	s_wait_dscnt 0x0
	s_barrier_signal -1
	s_barrier_wait -1
	s_and_saveexec_b32 s8, s40
	s_cbranch_execz .LBB43_845
; %bb.844:                              ;   in Loop: Header=BB43_3 Depth=1
	ds_load_b64 v[42:43], v58 offset:29120
	ds_load_b64 v[44:45], v59
	s_wait_dscnt 0x0
	v_fmac_f64_e32 v[40:41], v[42:43], v[44:45]
.LBB43_845:                             ;   in Loop: Header=BB43_3 Depth=1
	s_or_b32 exec_lo, exec_lo, s8
	s_barrier_signal -1
	s_barrier_wait -1
	s_and_saveexec_b32 s8, s41
; %bb.846:                              ;   in Loop: Header=BB43_3 Depth=1
	ds_store_b64 v59, v[40:41]
; %bb.847:                              ;   in Loop: Header=BB43_3 Depth=1
	s_or_b32 exec_lo, exec_lo, s8
	s_wait_dscnt 0x0
	s_barrier_signal -1
	s_barrier_wait -1
	s_and_saveexec_b32 s8, s42
	s_cbranch_execz .LBB43_849
; %bb.848:                              ;   in Loop: Header=BB43_3 Depth=1
	ds_load_b64 v[42:43], v58 offset:29632
	ds_load_b64 v[44:45], v59
	s_wait_dscnt 0x0
	v_fmac_f64_e32 v[40:41], v[42:43], v[44:45]
.LBB43_849:                             ;   in Loop: Header=BB43_3 Depth=1
	s_or_b32 exec_lo, exec_lo, s8
	s_barrier_signal -1
	s_barrier_wait -1
	s_and_saveexec_b32 s8, s43
; %bb.850:                              ;   in Loop: Header=BB43_3 Depth=1
	ds_store_b64 v59, v[40:41]
; %bb.851:                              ;   in Loop: Header=BB43_3 Depth=1
	s_or_b32 exec_lo, exec_lo, s8
	s_wait_dscnt 0x0
	s_barrier_signal -1
	s_barrier_wait -1
	s_and_saveexec_b32 s8, s44
	s_cbranch_execz .LBB43_853
; %bb.852:                              ;   in Loop: Header=BB43_3 Depth=1
	ds_load_b64 v[42:43], v58 offset:30144
	ds_load_b64 v[44:45], v59
	s_wait_dscnt 0x0
	v_fmac_f64_e32 v[40:41], v[42:43], v[44:45]
.LBB43_853:                             ;   in Loop: Header=BB43_3 Depth=1
	s_or_b32 exec_lo, exec_lo, s8
	s_barrier_signal -1
	s_barrier_wait -1
	s_and_saveexec_b32 s8, s45
; %bb.854:                              ;   in Loop: Header=BB43_3 Depth=1
	ds_store_b64 v59, v[40:41]
; %bb.855:                              ;   in Loop: Header=BB43_3 Depth=1
	s_or_b32 exec_lo, exec_lo, s8
	s_wait_dscnt 0x0
	s_barrier_signal -1
	s_barrier_wait -1
	s_and_saveexec_b32 s8, s46
	s_cbranch_execz .LBB43_857
; %bb.856:                              ;   in Loop: Header=BB43_3 Depth=1
	ds_load_b64 v[42:43], v58 offset:30656
	ds_load_b64 v[44:45], v59
	s_wait_dscnt 0x0
	v_fmac_f64_e32 v[40:41], v[42:43], v[44:45]
.LBB43_857:                             ;   in Loop: Header=BB43_3 Depth=1
	s_or_b32 exec_lo, exec_lo, s8
	s_barrier_signal -1
	s_barrier_wait -1
	s_and_saveexec_b32 s8, s47
; %bb.858:                              ;   in Loop: Header=BB43_3 Depth=1
	ds_store_b64 v59, v[40:41]
; %bb.859:                              ;   in Loop: Header=BB43_3 Depth=1
	s_or_b32 exec_lo, exec_lo, s8
	s_wait_dscnt 0x0
	s_barrier_signal -1
	s_barrier_wait -1
	s_and_saveexec_b32 s8, s48
	s_cbranch_execz .LBB43_861
; %bb.860:                              ;   in Loop: Header=BB43_3 Depth=1
	ds_load_b64 v[42:43], v58 offset:31168
	ds_load_b64 v[44:45], v59
	s_wait_dscnt 0x0
	v_fmac_f64_e32 v[40:41], v[42:43], v[44:45]
.LBB43_861:                             ;   in Loop: Header=BB43_3 Depth=1
	s_or_b32 exec_lo, exec_lo, s8
	s_barrier_signal -1
	s_barrier_wait -1
	s_and_saveexec_b32 s8, s49
; %bb.862:                              ;   in Loop: Header=BB43_3 Depth=1
	ds_store_b64 v59, v[40:41]
; %bb.863:                              ;   in Loop: Header=BB43_3 Depth=1
	s_or_b32 exec_lo, exec_lo, s8
	s_wait_dscnt 0x0
	s_barrier_signal -1
	s_barrier_wait -1
	s_and_saveexec_b32 s8, s50
	s_cbranch_execz .LBB43_865
; %bb.864:                              ;   in Loop: Header=BB43_3 Depth=1
	ds_load_b64 v[42:43], v58 offset:31680
	ds_load_b64 v[44:45], v59
	s_wait_dscnt 0x0
	v_fmac_f64_e32 v[40:41], v[42:43], v[44:45]
.LBB43_865:                             ;   in Loop: Header=BB43_3 Depth=1
	s_or_b32 exec_lo, exec_lo, s8
	s_barrier_signal -1
	s_barrier_wait -1
	s_and_saveexec_b32 s8, s51
; %bb.866:                              ;   in Loop: Header=BB43_3 Depth=1
	ds_store_b64 v59, v[40:41]
; %bb.867:                              ;   in Loop: Header=BB43_3 Depth=1
	s_or_b32 exec_lo, exec_lo, s8
	s_wait_dscnt 0x0
	s_barrier_signal -1
	s_barrier_wait -1
	s_and_saveexec_b32 s8, s52
	s_cbranch_execz .LBB43_869
; %bb.868:                              ;   in Loop: Header=BB43_3 Depth=1
	ds_load_b64 v[42:43], v1 offset:32248
	ds_load_b64 v[44:45], v59
	s_wait_dscnt 0x0
	v_fmac_f64_e32 v[40:41], v[42:43], v[44:45]
.LBB43_869:                             ;   in Loop: Header=BB43_3 Depth=1
	s_or_b32 exec_lo, exec_lo, s8
	s_barrier_signal -1
	s_barrier_wait -1
	s_and_saveexec_b32 s8, s52
; %bb.870:                              ;   in Loop: Header=BB43_3 Depth=1
	ds_store_b64 v59, v[40:41]
; %bb.871:                              ;   in Loop: Header=BB43_3 Depth=1
	s_or_b32 exec_lo, exec_lo, s8
	s_wait_dscnt 0x0
	s_barrier_signal -1
	s_barrier_wait -1
	s_barrier_signal -1
	s_barrier_wait -1
	s_and_saveexec_b32 s8, s5
; %bb.872:                              ;   in Loop: Header=BB43_3 Depth=1
	v_xor_b32_e32 v41, 0x80000000, v41
	ds_store_b64 v60, v[40:41] offset:25024
; %bb.873:                              ;   in Loop: Header=BB43_3 Depth=1
	s_or_b32 exec_lo, exec_lo, s8
	s_wait_dscnt 0x0
	s_barrier_signal -1
	s_barrier_wait -1
	s_barrier_signal -1
	s_barrier_wait -1
	s_and_saveexec_b32 s8, s12
; %bb.874:                              ;   in Loop: Header=BB43_3 Depth=1
	v_add_nc_u32_e64 v0, 0x7000, 0
	ds_store_2addr_b64 v0, v[30:31], v[30:31] offset0:56 offset1:121
; %bb.875:                              ;   in Loop: Header=BB43_3 Depth=1
	s_or_b32 exec_lo, exec_lo, s8
	v_mov_b64_e32 v[40:41], 0
	s_wait_dscnt 0x0
	s_barrier_signal -1
	s_barrier_wait -1
	s_and_saveexec_b32 s94, s3
	s_cbranch_execz .LBB43_879
; %bb.876:                              ;   in Loop: Header=BB43_3 Depth=1
	ds_load_b64 v[40:41], v49 offset:29136
	ds_load_b64 v[42:43], v50 offset:29120
	s_wait_dscnt 0x0
	v_fma_f64 v[40:41], v[40:41], v[42:43], 0
	s_and_saveexec_b32 s8, s13
	s_cbranch_execz .LBB43_878
; %bb.877:                              ;   in Loop: Header=BB43_3 Depth=1
	ds_load_b64 v[42:43], v51 offset:29648
	ds_load_b64 v[44:45], v1 offset:29128
	s_wait_dscnt 0x0
	v_fmac_f64_e32 v[40:41], v[42:43], v[44:45]
.LBB43_878:                             ;   in Loop: Header=BB43_3 Depth=1
	s_or_b32 exec_lo, exec_lo, s8
	s_delay_alu instid0(VALU_DEP_1)
	v_xor_b32_e32 v41, 0x80000000, v41
.LBB43_879:                             ;   in Loop: Header=BB43_3 Depth=1
	s_or_b32 exec_lo, exec_lo, s94
	s_and_saveexec_b32 s8, s103
; %bb.880:                              ;   in Loop: Header=BB43_3 Depth=1
	ds_store_b64 v48, v[40:41]
; %bb.881:                              ;   in Loop: Header=BB43_3 Depth=1
	s_or_b32 exec_lo, exec_lo, s8
	s_wait_dscnt 0x0
	s_barrier_signal -1
	s_barrier_wait -1
	s_and_saveexec_b32 s8, s104
	s_cbranch_execz .LBB43_883
; %bb.882:                              ;   in Loop: Header=BB43_3 Depth=1
	ds_load_b64 v[42:43], v1 offset:30168
	ds_load_b64 v[44:45], v48
	s_wait_dscnt 0x0
	v_fmac_f64_e32 v[40:41], v[42:43], v[44:45]
.LBB43_883:                             ;   in Loop: Header=BB43_3 Depth=1
	s_or_b32 exec_lo, exec_lo, s8
	s_barrier_signal -1
	s_barrier_wait -1
	s_and_saveexec_b32 s8, s104
; %bb.884:                              ;   in Loop: Header=BB43_3 Depth=1
	ds_store_b64 v48, v[40:41]
; %bb.885:                              ;   in Loop: Header=BB43_3 Depth=1
	s_or_b32 exec_lo, exec_lo, s8
	s_wait_dscnt 0x0
	s_barrier_signal -1
	s_barrier_wait -1
	s_barrier_signal -1
	s_barrier_wait -1
	s_and_saveexec_b32 s8, s3
; %bb.886:                              ;   in Loop: Header=BB43_3 Depth=1
	v_xor_b32_e32 v41, 0x80000000, v41
	ds_store_b64 v49, v[40:41] offset:29136
; %bb.887:                              ;   in Loop: Header=BB43_3 Depth=1
	s_or_b32 exec_lo, exec_lo, s8
	s_wait_dscnt 0x0
	s_barrier_signal -1
	s_barrier_wait -1
	s_barrier_signal -1
	s_barrier_wait -1
	s_and_saveexec_b32 s8, s12
; %bb.888:                              ;   in Loop: Header=BB43_3 Depth=1
	v_add_nc_u32_e64 v0, 0x7000, 0
	ds_store_2addr_b64 v0, v[30:31], v[30:31] offset0:186 offset1:251
; %bb.889:                              ;   in Loop: Header=BB43_3 Depth=1
	s_or_b32 exec_lo, exec_lo, s8
	v_mov_b64_e32 v[40:41], 0
	s_wait_dscnt 0x0
	s_barrier_signal -1
	s_barrier_wait -1
	s_and_saveexec_b32 s94, s4
	s_cbranch_execz .LBB43_895
; %bb.890:                              ;   in Loop: Header=BB43_3 Depth=1
	ds_load_b64 v[40:41], v55 offset:29152
	ds_load_b64 v[42:43], v53 offset:29120
	s_wait_dscnt 0x0
	v_fma_f64 v[40:41], v[40:41], v[42:43], 0
	s_and_saveexec_b32 s8, s14
	s_cbranch_execnz .LBB43_1053
; %bb.891:                              ;   in Loop: Header=BB43_3 Depth=1
	s_or_b32 exec_lo, exec_lo, s8
	s_and_saveexec_b32 s8, s15
	s_cbranch_execnz .LBB43_1054
.LBB43_892:                             ;   in Loop: Header=BB43_3 Depth=1
	s_or_b32 exec_lo, exec_lo, s8
	s_and_saveexec_b32 s8, s3
	s_cbranch_execz .LBB43_894
.LBB43_893:                             ;   in Loop: Header=BB43_3 Depth=1
	ds_load_b64 v[42:43], v51 offset:30688
	ds_load_b64 v[44:45], v1 offset:29144
	s_wait_dscnt 0x0
	v_fmac_f64_e32 v[40:41], v[42:43], v[44:45]
.LBB43_894:                             ;   in Loop: Header=BB43_3 Depth=1
	s_or_b32 exec_lo, exec_lo, s8
	s_delay_alu instid0(VALU_DEP_1)
	v_xor_b32_e32 v41, 0x80000000, v41
.LBB43_895:                             ;   in Loop: Header=BB43_3 Depth=1
	s_or_b32 exec_lo, exec_lo, s94
	s_and_saveexec_b32 s8, vcc_hi
; %bb.896:                              ;   in Loop: Header=BB43_3 Depth=1
	ds_store_b64 v54, v[40:41]
; %bb.897:                              ;   in Loop: Header=BB43_3 Depth=1
	s_or_b32 exec_lo, exec_lo, s8
	s_wait_dscnt 0x0
	s_barrier_signal -1
	s_barrier_wait -1
	s_and_saveexec_b32 s8, s34
	s_cbranch_execz .LBB43_899
; %bb.898:                              ;   in Loop: Header=BB43_3 Depth=1
	ds_load_b64 v[42:43], v52 offset:31200
	ds_load_b64 v[44:45], v54
	s_wait_dscnt 0x0
	v_fmac_f64_e32 v[40:41], v[42:43], v[44:45]
.LBB43_899:                             ;   in Loop: Header=BB43_3 Depth=1
	s_or_b32 exec_lo, exec_lo, s8
	s_barrier_signal -1
	s_barrier_wait -1
	s_and_saveexec_b32 s8, s35
; %bb.900:                              ;   in Loop: Header=BB43_3 Depth=1
	ds_store_b64 v54, v[40:41]
; %bb.901:                              ;   in Loop: Header=BB43_3 Depth=1
	s_or_b32 exec_lo, exec_lo, s8
	s_wait_dscnt 0x0
	s_barrier_signal -1
	s_barrier_wait -1
	s_and_saveexec_b32 s8, s36
	s_cbranch_execz .LBB43_903
; %bb.902:                              ;   in Loop: Header=BB43_3 Depth=1
	ds_load_b64 v[42:43], v52 offset:31712
	ds_load_b64 v[44:45], v54
	s_wait_dscnt 0x0
	v_fmac_f64_e32 v[40:41], v[42:43], v[44:45]
.LBB43_903:                             ;   in Loop: Header=BB43_3 Depth=1
	s_or_b32 exec_lo, exec_lo, s8
	s_barrier_signal -1
	s_barrier_wait -1
	s_and_saveexec_b32 s8, s37
	;; [unrolled: 19-line block ×3, first 2 shown]
; %bb.908:                              ;   in Loop: Header=BB43_3 Depth=1
	ds_store_b64 v54, v[40:41]
; %bb.909:                              ;   in Loop: Header=BB43_3 Depth=1
	s_or_b32 exec_lo, exec_lo, s8
	s_wait_dscnt 0x0
	s_barrier_signal -1
	s_barrier_wait -1
	s_barrier_signal -1
	s_barrier_wait -1
	s_and_saveexec_b32 s8, s4
; %bb.910:                              ;   in Loop: Header=BB43_3 Depth=1
	v_xor_b32_e32 v41, 0x80000000, v41
	ds_store_b64 v55, v[40:41] offset:29152
; %bb.911:                              ;   in Loop: Header=BB43_3 Depth=1
	s_or_b32 exec_lo, exec_lo, s8
	s_wait_dscnt 0x0
	s_barrier_signal -1
	s_barrier_wait -1
	s_barrier_signal -1
	s_barrier_wait -1
	s_and_saveexec_b32 s8, s12
; %bb.912:                              ;   in Loop: Header=BB43_3 Depth=1
	v_add_nc_u32_e64 v0, 0x7800, 0
	ds_store_2addr_b64 v0, v[30:31], v[30:31] offset0:60 offset1:125
; %bb.913:                              ;   in Loop: Header=BB43_3 Depth=1
	s_or_b32 exec_lo, exec_lo, s8
	v_mov_b64_e32 v[40:41], 0
	s_wait_dscnt 0x0
	s_barrier_signal -1
	s_barrier_wait -1
	s_and_saveexec_b32 s94, s3
	s_cbranch_execz .LBB43_917
; %bb.914:                              ;   in Loop: Header=BB43_3 Depth=1
	ds_load_b64 v[40:41], v49 offset:31216
	ds_load_b64 v[42:43], v50 offset:31200
	s_wait_dscnt 0x0
	v_fma_f64 v[40:41], v[40:41], v[42:43], 0
	s_and_saveexec_b32 s8, s13
	s_cbranch_execz .LBB43_916
; %bb.915:                              ;   in Loop: Header=BB43_3 Depth=1
	ds_load_b64 v[42:43], v51 offset:31728
	ds_load_b64 v[44:45], v1 offset:31208
	s_wait_dscnt 0x0
	v_fmac_f64_e32 v[40:41], v[42:43], v[44:45]
.LBB43_916:                             ;   in Loop: Header=BB43_3 Depth=1
	s_or_b32 exec_lo, exec_lo, s8
	s_delay_alu instid0(VALU_DEP_1)
	v_xor_b32_e32 v41, 0x80000000, v41
.LBB43_917:                             ;   in Loop: Header=BB43_3 Depth=1
	s_or_b32 exec_lo, exec_lo, s94
	s_and_saveexec_b32 s8, s103
; %bb.918:                              ;   in Loop: Header=BB43_3 Depth=1
	ds_store_b64 v48, v[40:41]
; %bb.919:                              ;   in Loop: Header=BB43_3 Depth=1
	s_or_b32 exec_lo, exec_lo, s8
	s_wait_dscnt 0x0
	s_barrier_signal -1
	s_barrier_wait -1
	s_and_saveexec_b32 s8, s104
	s_cbranch_execz .LBB43_921
; %bb.920:                              ;   in Loop: Header=BB43_3 Depth=1
	ds_load_b64 v[42:43], v1 offset:32248
	ds_load_b64 v[44:45], v48
	s_wait_dscnt 0x0
	v_fmac_f64_e32 v[40:41], v[42:43], v[44:45]
.LBB43_921:                             ;   in Loop: Header=BB43_3 Depth=1
	s_or_b32 exec_lo, exec_lo, s8
	s_barrier_signal -1
	s_barrier_wait -1
	s_and_saveexec_b32 s8, s104
; %bb.922:                              ;   in Loop: Header=BB43_3 Depth=1
	ds_store_b64 v48, v[40:41]
; %bb.923:                              ;   in Loop: Header=BB43_3 Depth=1
	s_or_b32 exec_lo, exec_lo, s8
	s_wait_dscnt 0x0
	s_barrier_signal -1
	s_barrier_wait -1
	s_barrier_signal -1
	s_barrier_wait -1
	s_and_saveexec_b32 s8, s3
; %bb.924:                              ;   in Loop: Header=BB43_3 Depth=1
	v_xor_b32_e32 v41, 0x80000000, v41
	ds_store_b64 v49, v[40:41] offset:31216
; %bb.925:                              ;   in Loop: Header=BB43_3 Depth=1
	s_or_b32 exec_lo, exec_lo, s8
	s_wait_dscnt 0x0
	s_barrier_signal -1
	s_barrier_wait -1
	s_barrier_signal -1
	s_barrier_wait -1
	s_and_saveexec_b32 s8, s12
; %bb.926:                              ;   in Loop: Header=BB43_3 Depth=1
	v_add_nc_u32_e64 v0, 0x7800, 0
	ds_store_2addr_b64 v0, v[30:31], v[30:31] offset0:190 offset1:255
; %bb.927:                              ;   in Loop: Header=BB43_3 Depth=1
	s_or_b32 exec_lo, exec_lo, s8
.LBB43_928:                             ;   in Loop: Header=BB43_3 Depth=1
	v_readlane_b32 s94, v85, 3
	v_mov_b64_e32 v[40:41], 0
	v_readlane_b32 s95, v85, 4
	s_mul_u64 s[8:9], s[80:81], s[84:85]
	s_wait_dscnt 0x0
	s_lshl_b64 s[8:9], s[8:9], 3
	s_barrier_signal -1
	s_add_nc_u64 s[94:95], s[94:95], s[8:9]
	s_barrier_wait -1
	s_and_saveexec_b32 s8, s55
	s_cbranch_execz .LBB43_930
; %bb.929:                              ;   in Loop: Header=BB43_3 Depth=1
	v_lshl_add_u64 v[40:41], v[12:13], 3, s[94:95]
	global_load_b64 v[40:41], v[40:41], off
	s_wait_loadcnt 0x0
	v_mul_f64_e64 v[40:41], v[40:41], -s[72:73]
.LBB43_930:                             ;   in Loop: Header=BB43_3 Depth=1
	s_or_b32 exec_lo, exec_lo, s8
	s_delay_alu instid0(SALU_CYCLE_1)
	s_and_not1_b32 vcc_lo, exec_lo, s56
	s_cbranch_vccnz .LBB43_956
; %bb.931:                              ;   in Loop: Header=BB43_3 Depth=1
	v_lshl_add_u64 v[42:43], v[8:9], 3, s[0:1]
	v_mov_b32_e32 v80, -1
	s_lshl_b64 s[8:9], s[84:85], 2
	s_mov_b32 s1, 0
	s_add_nc_u64 s[96:97], s[82:83], s[8:9]
	s_branch .LBB43_934
.LBB43_932:                             ;   in Loop: Header=BB43_934 Depth=2
	s_wait_xcnt 0x0
	ds_load_b64 v[44:45], v73 offset:384
	s_wait_loadcnt_dscnt 0x0
	v_fmac_f64_e32 v[40:41], v[46:47], v[44:45]
.LBB43_933:                             ;   in Loop: Header=BB43_934 Depth=2
	s_or_b32 exec_lo, exec_lo, s0
	s_add_co_i32 s1, s1, 1
	s_delay_alu instid0(SALU_CYCLE_1)
	s_cmp_eq_u32 s1, s67
	s_cbranch_scc1 .LBB43_956
.LBB43_934:                             ;   Parent Loop BB43_3 Depth=1
                                        ; =>  This Loop Header: Depth=2
                                        ;       Child Loop BB43_936 Depth 3
	v_cmp_gt_i32_e32 vcc_lo, s1, v80
	s_and_b32 s8, s57, vcc_lo
	s_delay_alu instid0(SALU_CYCLE_1)
	s_and_saveexec_b32 s0, s8
	s_cbranch_execz .LBB43_937
; %bb.935:                              ;   in Loop: Header=BB43_934 Depth=2
	global_load_b32 v80, v1, s[96:97]
	s_wait_loadcnt 0x0
	v_cmp_le_i32_e32 vcc_lo, s1, v80
	s_cbranch_vccnz .LBB43_937
.LBB43_936:                             ;   Parent Loop BB43_3 Depth=1
                                        ;     Parent Loop BB43_934 Depth=2
                                        ; =>    This Inner Loop Header: Depth=3
	global_wb scope:SCOPE_DEV
	s_wait_storecnt 0x0
	global_inv scope:SCOPE_DEV
	global_load_b32 v80, v1, s[96:97]
	s_wait_loadcnt 0x0
	v_cmp_gt_i32_e32 vcc_lo, s1, v80
	s_cbranch_vccnz .LBB43_936
.LBB43_937:                             ;   in Loop: Header=BB43_934 Depth=2
	s_or_b32 exec_lo, exec_lo, s0
	s_lshl_b32 s0, s1, 6
	global_wb scope:SCOPE_DEV
	s_wait_storecnt 0x0
	global_inv scope:SCOPE_DEV
	s_wait_loadcnt 0x0
	s_barrier_signal -1
	s_barrier_wait -1
	s_and_saveexec_b32 s8, s58
	s_cbranch_execz .LBB43_941
; %bb.938:                              ;   in Loop: Header=BB43_934 Depth=2
	v_mov_b64_e32 v[44:45], 0
	v_or_b32_e32 v0, s0, v6
	s_mov_b32 s9, exec_lo
	s_delay_alu instid0(VALU_DEP_1)
	v_cmpx_gt_i32_e64 s99, v0
	s_cbranch_execz .LBB43_940
; %bb.939:                              ;   in Loop: Header=BB43_934 Depth=2
	v_mul_u64_e32 v[44:45], s[78:79], v[0:1]
	s_delay_alu instid0(VALU_DEP_1)
	v_lshl_add_u64 v[44:45], v[44:45], 3, s[94:95]
	global_load_b64 v[44:45], v[44:45], off
.LBB43_940:                             ;   in Loop: Header=BB43_934 Depth=2
	s_wait_xcnt 0x0
	s_or_b32 exec_lo, exec_lo, s9
	s_wait_loadcnt 0x0
	ds_store_b64 v72, v[44:45]
.LBB43_941:                             ;   in Loop: Header=BB43_934 Depth=2
	s_or_b32 exec_lo, exec_lo, s8
	v_add_nc_u32_e32 v0, s0, v2
	v_cmp_ne_u32_e32 vcc_lo, s1, v5
	s_wait_dscnt 0x0
	s_barrier_signal -1
	s_barrier_wait -1
	v_mul_u64_e32 v[44:45], s[68:69], v[0:1]
	v_cmp_gt_i32_e64 s0, s99, v0
	v_cndmask_b32_e64 v81, 0, 1, vcc_lo
	s_and_b32 s8, s2, s0
	v_lshl_add_u64 v[44:45], v[44:45], 3, v[42:43]
	s_and_saveexec_b32 s0, s8
	s_cbranch_execz .LBB43_945
; %bb.942:                              ;   in Loop: Header=BB43_934 Depth=2
	v_mov_b64_e32 v[46:47], v[32:33]
	s_and_not1_b32 vcc_lo, exec_lo, vcc_lo
	s_cbranch_vccnz .LBB43_944
; %bb.943:                              ;   in Loop: Header=BB43_934 Depth=2
	global_load_b64 v[46:47], v[44:45], off
.LBB43_944:                             ;   in Loop: Header=BB43_934 Depth=2
	ds_load_b64 v[82:83], v73
	s_wait_loadcnt_dscnt 0x0
	v_fmac_f64_e32 v[40:41], v[46:47], v[82:83]
.LBB43_945:                             ;   in Loop: Header=BB43_934 Depth=2
	s_or_b32 exec_lo, exec_lo, s0
	v_add_nc_u32_e32 v46, 16, v0
	s_delay_alu instid0(VALU_DEP_1) | instskip(SKIP_1) | instid1(SALU_CYCLE_1)
	v_cmp_gt_i32_e32 vcc_lo, s99, v46
	s_and_b32 s8, s2, vcc_lo
	s_and_saveexec_b32 s0, s8
	s_cbranch_execz .LBB43_949
; %bb.946:                              ;   in Loop: Header=BB43_934 Depth=2
	v_cmp_ne_u32_e32 vcc_lo, 1, v81
	v_mov_b64_e32 v[46:47], v[34:35]
	s_cbranch_vccnz .LBB43_948
; %bb.947:                              ;   in Loop: Header=BB43_934 Depth=2
	v_add_nc_u64_e32 v[46:47], s[88:89], v[44:45]
	global_load_b64 v[46:47], v[46:47], off
.LBB43_948:                             ;   in Loop: Header=BB43_934 Depth=2
	ds_load_b64 v[82:83], v73 offset:128
	s_wait_loadcnt_dscnt 0x0
	v_fmac_f64_e32 v[40:41], v[46:47], v[82:83]
.LBB43_949:                             ;   in Loop: Header=BB43_934 Depth=2
	s_or_b32 exec_lo, exec_lo, s0
	v_add_nc_u32_e32 v46, 32, v0
	s_delay_alu instid0(VALU_DEP_1) | instskip(SKIP_1) | instid1(SALU_CYCLE_1)
	v_cmp_gt_i32_e32 vcc_lo, s99, v46
	s_and_b32 s8, s2, vcc_lo
	s_and_saveexec_b32 s0, s8
	s_cbranch_execz .LBB43_953
; %bb.950:                              ;   in Loop: Header=BB43_934 Depth=2
	v_cmp_ne_u32_e32 vcc_lo, 1, v81
	v_mov_b64_e32 v[46:47], v[36:37]
	s_cbranch_vccnz .LBB43_952
; %bb.951:                              ;   in Loop: Header=BB43_934 Depth=2
	v_add_nc_u64_e32 v[46:47], s[90:91], v[44:45]
	global_load_b64 v[46:47], v[46:47], off
.LBB43_952:                             ;   in Loop: Header=BB43_934 Depth=2
	ds_load_b64 v[82:83], v73 offset:256
	s_wait_loadcnt_dscnt 0x0
	v_fmac_f64_e32 v[40:41], v[46:47], v[82:83]
.LBB43_953:                             ;   in Loop: Header=BB43_934 Depth=2
	s_or_b32 exec_lo, exec_lo, s0
	v_add_nc_u32_e32 v0, 48, v0
	s_delay_alu instid0(VALU_DEP_1) | instskip(SKIP_1) | instid1(SALU_CYCLE_1)
	v_cmp_gt_i32_e32 vcc_lo, s99, v0
	s_and_b32 s8, s2, vcc_lo
	s_and_saveexec_b32 s0, s8
	s_cbranch_execz .LBB43_933
; %bb.954:                              ;   in Loop: Header=BB43_934 Depth=2
	v_cmp_ne_u32_e32 vcc_lo, 1, v81
	v_mov_b64_e32 v[46:47], v[38:39]
	s_cbranch_vccnz .LBB43_932
; %bb.955:                              ;   in Loop: Header=BB43_934 Depth=2
	v_add_nc_u64_e32 v[44:45], s[92:93], v[44:45]
	global_load_b64 v[46:47], v[44:45], off
	s_branch .LBB43_932
.LBB43_956:                             ;   in Loop: Header=BB43_3 Depth=1
	ds_store_b64 v74, v[40:41]
	s_wait_dscnt 0x0
	s_barrier_signal -1
	s_barrier_wait -1
	s_and_saveexec_b32 s0, s7
	s_cbranch_execz .LBB43_958
; %bb.957:                              ;   in Loop: Header=BB43_3 Depth=1
	ds_load_2addr_stride64_b64 v[42:45], v75 offset0:1 offset1:2
	ds_load_2addr_stride64_b64 v[80:83], v75 offset0:3 offset1:4
	s_wait_dscnt 0x1
	v_add_f64_e32 v[40:41], v[40:41], v[42:43]
	s_delay_alu instid0(VALU_DEP_1) | instskip(SKIP_1) | instid1(VALU_DEP_1)
	v_add_f64_e32 v[40:41], v[40:41], v[44:45]
	s_wait_dscnt 0x0
	v_add_f64_e32 v[40:41], v[40:41], v[80:81]
	s_delay_alu instid0(VALU_DEP_1) | instskip(SKIP_4) | instid1(VALU_DEP_1)
	v_add_f64_e32 v[80:81], v[40:41], v[82:83]
	ds_load_2addr_stride64_b64 v[40:43], v75 offset0:5 offset1:6
	ds_load_2addr_stride64_b64 v[44:47], v75 offset0:7 offset1:8
	s_wait_dscnt 0x1
	v_add_f64_e32 v[40:41], v[80:81], v[40:41]
	v_add_f64_e32 v[40:41], v[40:41], v[42:43]
	s_wait_dscnt 0x0
	s_delay_alu instid0(VALU_DEP_1) | instskip(NEXT) | instid1(VALU_DEP_1)
	v_add_f64_e32 v[40:41], v[40:41], v[44:45]
	v_add_f64_e32 v[80:81], v[40:41], v[46:47]
	ds_load_2addr_stride64_b64 v[40:43], v75 offset0:9 offset1:10
	ds_load_2addr_stride64_b64 v[44:47], v75 offset0:11 offset1:12
	s_wait_dscnt 0x1
	v_add_f64_e32 v[40:41], v[80:81], v[40:41]
	s_delay_alu instid0(VALU_DEP_1) | instskip(SKIP_1) | instid1(VALU_DEP_1)
	v_add_f64_e32 v[40:41], v[40:41], v[42:43]
	s_wait_dscnt 0x0
	v_add_f64_e32 v[40:41], v[40:41], v[44:45]
	s_delay_alu instid0(VALU_DEP_1) | instskip(SKIP_4) | instid1(VALU_DEP_1)
	v_add_f64_e32 v[44:45], v[40:41], v[46:47]
	ds_load_2addr_stride64_b64 v[40:43], v75 offset0:13 offset1:14
	ds_load_b64 v[46:47], v75 offset:7680
	s_wait_dscnt 0x1
	v_add_f64_e32 v[40:41], v[44:45], v[40:41]
	v_add_f64_e32 v[40:41], v[40:41], v[42:43]
	s_wait_dscnt 0x0
	s_delay_alu instid0(VALU_DEP_1) | instskip(NEXT) | instid1(VALU_DEP_1)
	v_add_f64_e32 v[40:41], v[40:41], v[46:47]
	v_xor_b32_e32 v0, 0x80000000, v41
	s_delay_alu instid0(VALU_DEP_2) | instskip(NEXT) | instid1(VALU_DEP_2)
	v_cndmask_b32_e64 v40, v40, 0, s54
	v_cndmask_b32_e64 v41, v0, 0, s54
.LBB43_958:                             ;   in Loop: Header=BB43_3 Depth=1
	s_or_b32 exec_lo, exec_lo, s0
	s_delay_alu instid0(SALU_CYCLE_1)
	s_and_not1_b32 vcc_lo, exec_lo, s102
	s_cbranch_vccnz .LBB43_971
; %bb.959:                              ;   in Loop: Header=BB43_3 Depth=1
	s_and_saveexec_b32 s0, s7
; %bb.960:                              ;   in Loop: Header=BB43_3 Depth=1
	ds_store_b64 v77, v[40:41]
; %bb.961:                              ;   in Loop: Header=BB43_3 Depth=1
	s_or_b32 exec_lo, exec_lo, s0
	v_mov_b64_e32 v[42:43], 0
	s_wait_dscnt 0x0
	s_barrier_signal -1
	s_barrier_wait -1
	s_mov_b32 s0, exec_lo
	v_readlane_b32 s1, v84, 24
	s_and_b32 s1, s0, s1
	s_delay_alu instid0(SALU_CYCLE_1)
	s_mov_b32 exec_lo, s1
	s_cbranch_execz .LBB43_963
; %bb.962:                              ;   in Loop: Header=BB43_3 Depth=1
	ds_load_b64 v[42:43], v76
	ds_load_b64 v[44:45], v73
	s_wait_dscnt 0x0
	v_fma_f64 v[42:43], v[42:43], v[44:45], 0
.LBB43_963:                             ;   in Loop: Header=BB43_3 Depth=1
	s_or_b32 exec_lo, exec_lo, s0
	s_delay_alu instid0(SALU_CYCLE_1) | instskip(SKIP_2) | instid1(SALU_CYCLE_1)
	s_mov_b32 s0, exec_lo
	v_readlane_b32 s1, v84, 25
	s_and_b32 s1, s0, s1
	s_mov_b32 exec_lo, s1
	s_cbranch_execz .LBB43_965
; %bb.964:                              ;   in Loop: Header=BB43_3 Depth=1
	ds_load_b64 v[44:45], v76 offset:8192
	ds_load_b64 v[46:47], v73 offset:128
	s_wait_dscnt 0x0
	v_fmac_f64_e32 v[42:43], v[44:45], v[46:47]
.LBB43_965:                             ;   in Loop: Header=BB43_3 Depth=1
	s_or_b32 exec_lo, exec_lo, s0
	s_delay_alu instid0(SALU_CYCLE_1) | instskip(SKIP_2) | instid1(SALU_CYCLE_1)
	s_mov_b32 s0, exec_lo
	v_readlane_b32 s1, v84, 26
	s_and_b32 s1, s0, s1
	s_mov_b32 exec_lo, s1
	s_cbranch_execz .LBB43_967
; %bb.966:                              ;   in Loop: Header=BB43_3 Depth=1
	ds_load_b64 v[44:45], v76 offset:16384
	ds_load_b64 v[46:47], v73 offset:256
	s_wait_dscnt 0x0
	v_fmac_f64_e32 v[42:43], v[44:45], v[46:47]
.LBB43_967:                             ;   in Loop: Header=BB43_3 Depth=1
	;; [unrolled: 13-line block ×3, first 2 shown]
	s_or_b32 exec_lo, exec_lo, s0
	s_mov_b32 s1, 0
	s_mov_b32 s0, 0
	ds_store_b64 v74, v[42:43]
	s_wait_dscnt 0x0
	s_barrier_signal -1
	s_barrier_wait -1
                                        ; implicit-def: $vgpr44_vgpr45
	s_and_saveexec_b32 s96, s7
	s_cbranch_execz .LBB43_999
; %bb.970:                              ;   in Loop: Header=BB43_3 Depth=1
	ds_load_2addr_stride64_b64 v[44:47], v75 offset0:1 offset1:2
	ds_load_2addr_stride64_b64 v[80:83], v75 offset0:3 offset1:4
	s_mov_b32 s0, exec_lo
	s_wait_dscnt 0x1
	v_add_f64_e32 v[42:43], v[42:43], v[44:45]
	s_delay_alu instid0(VALU_DEP_1) | instskip(SKIP_1) | instid1(VALU_DEP_1)
	v_add_f64_e32 v[42:43], v[46:47], v[42:43]
	s_wait_dscnt 0x0
	v_add_f64_e32 v[42:43], v[80:81], v[42:43]
	s_delay_alu instid0(VALU_DEP_1) | instskip(SKIP_4) | instid1(VALU_DEP_1)
	v_add_f64_e32 v[46:47], v[82:83], v[42:43]
	ds_load_2addr_stride64_b64 v[42:45], v75 offset0:5 offset1:6
	ds_load_2addr_stride64_b64 v[80:83], v75 offset0:7 offset1:8
	s_wait_dscnt 0x1
	v_add_f64_e32 v[42:43], v[42:43], v[46:47]
	v_add_f64_e32 v[42:43], v[44:45], v[42:43]
	s_wait_dscnt 0x0
	s_delay_alu instid0(VALU_DEP_1) | instskip(NEXT) | instid1(VALU_DEP_1)
	v_add_f64_e32 v[42:43], v[80:81], v[42:43]
	v_add_f64_e32 v[46:47], v[82:83], v[42:43]
	ds_load_2addr_stride64_b64 v[42:45], v75 offset0:9 offset1:10
	ds_load_2addr_stride64_b64 v[80:83], v75 offset0:11 offset1:12
	s_wait_dscnt 0x1
	v_add_f64_e32 v[42:43], v[42:43], v[46:47]
	s_delay_alu instid0(VALU_DEP_1) | instskip(SKIP_1) | instid1(VALU_DEP_1)
	v_add_f64_e32 v[42:43], v[44:45], v[42:43]
	s_wait_dscnt 0x0
	v_add_f64_e32 v[42:43], v[80:81], v[42:43]
	s_delay_alu instid0(VALU_DEP_1) | instskip(SKIP_4) | instid1(VALU_DEP_1)
	v_add_f64_e32 v[46:47], v[82:83], v[42:43]
	ds_load_2addr_stride64_b64 v[42:45], v75 offset0:13 offset1:14
	ds_load_b64 v[80:81], v75 offset:7680
	s_wait_dscnt 0x1
	v_add_f64_e32 v[42:43], v[42:43], v[46:47]
	v_add_f64_e32 v[42:43], v[44:45], v[42:43]
	s_wait_dscnt 0x0
	s_delay_alu instid0(VALU_DEP_1) | instskip(SKIP_1) | instid1(SALU_CYCLE_1)
	v_add_f64_e32 v[44:45], v[80:81], v[42:43]
	s_or_b32 exec_lo, exec_lo, s96
	s_and_b32 vcc_lo, exec_lo, s1
	s_cbranch_vccnz .LBB43_972
	s_branch .LBB43_1000
.LBB43_971:                             ;   in Loop: Header=BB43_3 Depth=1
	s_mov_b32 s0, 0
                                        ; implicit-def: $vgpr44_vgpr45
	s_cbranch_execz .LBB43_1000
.LBB43_972:                             ;   in Loop: Header=BB43_3 Depth=1
	v_dual_mov_b32 v0, v4 :: v_dual_mov_b32 v42, v51
	s_mov_b32 s1, 0
	s_branch .LBB43_974
.LBB43_973:                             ;   in Loop: Header=BB43_974 Depth=2
	s_or_b32 exec_lo, exec_lo, s8
	v_add_nc_u32_e32 v42, 0x800, v42
	v_add_nc_u32_e32 v0, -4, v0
	s_add_co_i32 s1, s1, 4
	s_delay_alu instid0(SALU_CYCLE_1)
	s_cmp_lg_u32 s1, 64
	s_barrier_signal -1
	s_barrier_wait -1
	s_cbranch_scc0 .LBB43_990
.LBB43_974:                             ;   Parent Loop BB43_3 Depth=1
                                        ; =>  This Inner Loop Header: Depth=2
	s_delay_alu instid0(VALU_DEP_1) | instskip(SKIP_1) | instid1(SALU_CYCLE_1)
	v_cmp_eq_u32_e32 vcc_lo, 0, v0
	s_and_b32 s9, s7, vcc_lo
	s_and_saveexec_b32 s8, s9
; %bb.975:                              ;   in Loop: Header=BB43_974 Depth=2
	ds_store_b64 v1, v[40:41] offset:41472
; %bb.976:                              ;   in Loop: Header=BB43_974 Depth=2
	s_or_b32 exec_lo, exec_lo, s8
	v_cmp_lt_u32_e32 vcc_lo, s1, v4
	s_wait_dscnt 0x0
	s_barrier_signal -1
	s_barrier_wait -1
	s_and_b32 s9, s7, vcc_lo
	s_delay_alu instid0(SALU_CYCLE_1)
	s_and_saveexec_b32 s8, s9
	s_cbranch_execz .LBB43_978
; %bb.977:                              ;   in Loop: Header=BB43_974 Depth=2
	ds_load_b64 v[44:45], v42
	ds_load_b64 v[46:47], v1 offset:41472
	s_wait_dscnt 0x0
	v_fmac_f64_e32 v[40:41], v[44:45], v[46:47]
.LBB43_978:                             ;   in Loop: Header=BB43_974 Depth=2
	s_or_b32 exec_lo, exec_lo, s8
	s_or_b32 s8, s1, 1
	s_delay_alu instid0(SALU_CYCLE_1) | instskip(SKIP_3) | instid1(SALU_CYCLE_1)
	v_cmp_eq_u32_e32 vcc_lo, s8, v4
	s_barrier_signal -1
	s_barrier_wait -1
	s_and_b32 s96, s7, vcc_lo
	s_and_saveexec_b32 s9, s96
; %bb.979:                              ;   in Loop: Header=BB43_974 Depth=2
	ds_store_b64 v1, v[40:41] offset:41472
; %bb.980:                              ;   in Loop: Header=BB43_974 Depth=2
	s_or_b32 exec_lo, exec_lo, s9
	v_cmp_lt_u32_e32 vcc_lo, s8, v4
	s_wait_dscnt 0x0
	s_barrier_signal -1
	s_barrier_wait -1
	s_and_b32 s9, s7, vcc_lo
	s_delay_alu instid0(SALU_CYCLE_1)
	s_and_saveexec_b32 s8, s9
	s_cbranch_execz .LBB43_982
; %bb.981:                              ;   in Loop: Header=BB43_974 Depth=2
	ds_load_b64 v[44:45], v42 offset:512
	ds_load_b64 v[46:47], v1 offset:41472
	s_wait_dscnt 0x0
	v_fmac_f64_e32 v[40:41], v[44:45], v[46:47]
.LBB43_982:                             ;   in Loop: Header=BB43_974 Depth=2
	s_or_b32 exec_lo, exec_lo, s8
	s_or_b32 s8, s1, 2
	s_delay_alu instid0(SALU_CYCLE_1) | instskip(SKIP_3) | instid1(SALU_CYCLE_1)
	v_cmp_eq_u32_e32 vcc_lo, s8, v4
	s_barrier_signal -1
	s_barrier_wait -1
	s_and_b32 s96, s7, vcc_lo
	s_and_saveexec_b32 s9, s96
; %bb.983:                              ;   in Loop: Header=BB43_974 Depth=2
	ds_store_b64 v1, v[40:41] offset:41472
; %bb.984:                              ;   in Loop: Header=BB43_974 Depth=2
	s_or_b32 exec_lo, exec_lo, s9
	v_cmp_lt_u32_e32 vcc_lo, s8, v4
	s_wait_dscnt 0x0
	s_barrier_signal -1
	s_barrier_wait -1
	s_and_b32 s9, s7, vcc_lo
	s_delay_alu instid0(SALU_CYCLE_1)
	s_and_saveexec_b32 s8, s9
	s_cbranch_execz .LBB43_986
; %bb.985:                              ;   in Loop: Header=BB43_974 Depth=2
	ds_load_b64 v[44:45], v42 offset:1024
	ds_load_b64 v[46:47], v1 offset:41472
	s_wait_dscnt 0x0
	v_fmac_f64_e32 v[40:41], v[44:45], v[46:47]
.LBB43_986:                             ;   in Loop: Header=BB43_974 Depth=2
	s_or_b32 exec_lo, exec_lo, s8
	s_or_b32 s8, s1, 3
	s_delay_alu instid0(SALU_CYCLE_1) | instskip(SKIP_3) | instid1(SALU_CYCLE_1)
	v_cmp_eq_u32_e32 vcc_lo, s8, v4
	s_barrier_signal -1
	s_barrier_wait -1
	s_and_b32 s96, s7, vcc_lo
	s_and_saveexec_b32 s9, s96
; %bb.987:                              ;   in Loop: Header=BB43_974 Depth=2
	ds_store_b64 v1, v[40:41] offset:41472
; %bb.988:                              ;   in Loop: Header=BB43_974 Depth=2
	s_or_b32 exec_lo, exec_lo, s9
	v_cmp_lt_u32_e32 vcc_lo, s8, v4
	s_wait_dscnt 0x0
	s_barrier_signal -1
	s_barrier_wait -1
	s_and_b32 s9, s7, vcc_lo
	s_delay_alu instid0(SALU_CYCLE_1)
	s_and_saveexec_b32 s8, s9
	s_cbranch_execz .LBB43_973
; %bb.989:                              ;   in Loop: Header=BB43_974 Depth=2
	ds_load_b64 v[44:45], v42 offset:1536
	ds_load_b64 v[46:47], v1 offset:41472
	s_wait_dscnt 0x0
	v_fmac_f64_e32 v[40:41], v[44:45], v[46:47]
	s_branch .LBB43_973
.LBB43_990:                             ;   in Loop: Header=BB43_3 Depth=1
	s_and_b32 vcc_lo, exec_lo, s101
	s_mov_b32 s1, -1
	s_cbranch_vccz .LBB43_992
; %bb.991:                              ;   in Loop: Header=BB43_3 Depth=1
	s_and_not1_b32 s0, s0, exec_lo
	s_and_b32 s8, s7, exec_lo
	s_mov_b32 s1, 0
	s_or_b32 s0, s0, s8
.LBB43_992:                             ;   in Loop: Header=BB43_3 Depth=1
	s_and_not1_b32 vcc_lo, exec_lo, s1
	s_cbranch_vccnz .LBB43_994
; %bb.993:                              ;   in Loop: Header=BB43_3 Depth=1
	v_readlane_b32 s1, v85, 10
	s_and_not1_b32 s0, s0, exec_lo
	s_and_b32 s1, s1, exec_lo
	s_delay_alu instid0(SALU_CYCLE_1)
	s_or_b32 s0, s0, s1
.LBB43_994:                             ;   in Loop: Header=BB43_3 Depth=1
	v_mov_b64_e32 v[42:43], v[16:17]
	s_and_saveexec_b32 s1, s0
	s_cbranch_execnz .LBB43_1001
	s_branch .LBB43_1002
.LBB43_995:                             ;   in Loop: Header=BB43_3 Depth=1
	v_readlane_b32 s9, v84, 28
	s_and_b32 s94, s9, exec_lo
	s_or_saveexec_b32 s8, s8
	v_mov_b64_e32 v[42:43], 0
	s_xor_b32 exec_lo, exec_lo, s8
	s_cbranch_execz .LBB43_16
.LBB43_996:                             ;   in Loop: Header=BB43_3 Depth=1
	v_lshl_add_u64 v[42:43], v[18:19], 3, v[40:41]
	s_or_b32 s94, s94, exec_lo
	global_load_b64 v[42:43], v[42:43], off
	s_wait_loadcnt 0x0
	v_xor_b32_e32 v43, 0x80000000, v43
	s_or_b32 exec_lo, exec_lo, s8
	s_and_saveexec_b32 s8, s94
	s_cbranch_execnz .LBB43_17
	s_branch .LBB43_18
.LBB43_997:                             ;   in Loop: Header=BB43_3 Depth=1
	v_readlane_b32 s9, v84, 28
	s_and_b32 s94, s9, exec_lo
	s_or_saveexec_b32 s8, s8
	v_mov_b64_e32 v[42:43], 0
	s_xor_b32 exec_lo, exec_lo, s8
	s_cbranch_execz .LBB43_40
.LBB43_998:                             ;   in Loop: Header=BB43_3 Depth=1
	v_lshl_add_u64 v[42:43], v[18:19], 3, v[40:41]
	s_or_b32 s94, s94, exec_lo
	global_load_b64 v[42:43], v[42:43], off
	s_wait_loadcnt 0x0
	v_xor_b32_e32 v43, 0x80000000, v43
	s_or_b32 exec_lo, exec_lo, s8
	s_and_saveexec_b32 s8, s94
	s_cbranch_execnz .LBB43_41
	s_branch .LBB43_42
.LBB43_999:                             ;   in Loop: Header=BB43_3 Depth=1
	s_or_b32 exec_lo, exec_lo, s96
	s_delay_alu instid0(SALU_CYCLE_1)
	s_and_b32 vcc_lo, exec_lo, s1
	s_cbranch_vccnz .LBB43_972
.LBB43_1000:                            ;   in Loop: Header=BB43_3 Depth=1
	s_delay_alu instid0(VALU_DEP_1)
	v_mov_b64_e32 v[40:41], v[44:45]
	v_mov_b64_e32 v[42:43], v[14:15]
	s_and_saveexec_b32 s1, s0
	s_cbranch_execz .LBB43_1002
.LBB43_1001:                            ;   in Loop: Header=BB43_3 Depth=1
	s_delay_alu instid0(VALU_DEP_1)
	v_lshl_add_u64 v[42:43], v[42:43], 3, s[94:95]
	global_store_b64 v[42:43], v[40:41], off
.LBB43_1002:                            ;   in Loop: Header=BB43_3 Depth=1
	s_wait_xcnt 0x0
	s_or_b32 exec_lo, exec_lo, s1
	global_wb scope:SCOPE_DEV
	s_wait_storecnt 0x0
	global_inv scope:SCOPE_DEV
	s_wait_loadcnt 0x0
	s_barrier_signal -1
	s_barrier_wait -1
	s_and_saveexec_b32 s0, s57
	s_cbranch_execz .LBB43_2
; %bb.1003:                             ;   in Loop: Header=BB43_3 Depth=1
	s_lshl_b64 s[8:9], s[84:85], 2
	s_delay_alu instid0(SALU_CYCLE_1)
	s_add_nc_u64 s[8:9], s[82:83], s[8:9]
	global_load_b32 v0, v1, s[8:9]
	s_wait_loadcnt 0x0
	v_add_nc_u32_e32 v0, 1, v0
	global_store_b32 v1, v0, s[8:9]
	s_branch .LBB43_2
.LBB43_1004:                            ;   in Loop: Header=BB43_3 Depth=1
	ds_load_b64 v[42:43], v56 offset:544
	ds_load_b64 v[44:45], v53 offset:8
	s_wait_dscnt 0x0
	v_fmac_f64_e32 v[40:41], v[42:43], v[44:45]
	s_or_b32 exec_lo, exec_lo, s8
	s_and_saveexec_b32 s8, s15
	s_cbranch_execz .LBB43_81
.LBB43_1005:                            ;   in Loop: Header=BB43_3 Depth=1
	ds_load_b64 v[42:43], v55 offset:1056
	ds_load_b64 v[44:45], v53 offset:16
	s_wait_dscnt 0x0
	v_fmac_f64_e32 v[40:41], v[42:43], v[44:45]
	s_or_b32 exec_lo, exec_lo, s8
	s_and_saveexec_b32 s8, s3
	s_cbranch_execnz .LBB43_82
	s_branch .LBB43_83
.LBB43_1006:                            ;   in Loop: Header=BB43_3 Depth=1
	ds_load_b64 v[42:43], v61 offset:576
	ds_load_b64 v[44:45], v57 offset:8
	s_wait_dscnt 0x0
	v_fmac_f64_e32 v[40:41], v[42:43], v[44:45]
	s_or_b32 exec_lo, exec_lo, s8
	s_and_saveexec_b32 s8, s17
	s_cbranch_execz .LBB43_119
.LBB43_1007:                            ;   in Loop: Header=BB43_3 Depth=1
	ds_load_b64 v[42:43], v61 offset:1088
	ds_load_b64 v[44:45], v57 offset:16
	s_wait_dscnt 0x0
	v_fmac_f64_e32 v[40:41], v[42:43], v[44:45]
	s_or_b32 exec_lo, exec_lo, s8
	s_and_saveexec_b32 s8, s18
	s_cbranch_execz .LBB43_120
.LBB43_1008:                            ;   in Loop: Header=BB43_3 Depth=1
	ds_load_b64 v[42:43], v61 offset:1600
	ds_load_b64 v[44:45], v57 offset:24
	s_wait_dscnt 0x0
	v_fmac_f64_e32 v[40:41], v[42:43], v[44:45]
	s_or_b32 exec_lo, exec_lo, s8
	s_and_saveexec_b32 s8, s19
	s_cbranch_execz .LBB43_121
.LBB43_1009:                            ;   in Loop: Header=BB43_3 Depth=1
	ds_load_b64 v[42:43], v60 offset:2112
	ds_load_b64 v[44:45], v57 offset:32
	s_wait_dscnt 0x0
	v_fmac_f64_e32 v[40:41], v[42:43], v[44:45]
	s_or_b32 exec_lo, exec_lo, s8
	s_and_saveexec_b32 s8, s20
	s_cbranch_execz .LBB43_122
.LBB43_1010:                            ;   in Loop: Header=BB43_3 Depth=1
	ds_load_b64 v[42:43], v61 offset:2624
	ds_load_b64 v[44:45], v57 offset:40
	s_wait_dscnt 0x0
	v_fmac_f64_e32 v[40:41], v[42:43], v[44:45]
	s_or_b32 exec_lo, exec_lo, s8
	s_and_saveexec_b32 s8, s4
	s_cbranch_execz .LBB43_123
.LBB43_1011:                            ;   in Loop: Header=BB43_3 Depth=1
	ds_load_b64 v[42:43], v60 offset:3136
	ds_load_b64 v[44:45], v57 offset:48
	s_wait_dscnt 0x0
	v_fmac_f64_e32 v[40:41], v[42:43], v[44:45]
	s_or_b32 exec_lo, exec_lo, s8
	s_and_saveexec_b32 s8, s15
	s_cbranch_execnz .LBB43_124
	s_branch .LBB43_125
.LBB43_1012:                            ;   in Loop: Header=BB43_3 Depth=1
	ds_load_b64 v[42:43], v56 offset:4704
	ds_load_b64 v[44:45], v53 offset:4168
	s_wait_dscnt 0x0
	v_fmac_f64_e32 v[40:41], v[42:43], v[44:45]
	s_or_b32 exec_lo, exec_lo, s8
	s_and_saveexec_b32 s8, s15
	s_cbranch_execz .LBB43_177
.LBB43_1013:                            ;   in Loop: Header=BB43_3 Depth=1
	ds_load_b64 v[42:43], v55 offset:5216
	ds_load_b64 v[44:45], v53 offset:4176
	s_wait_dscnt 0x0
	v_fmac_f64_e32 v[40:41], v[42:43], v[44:45]
	s_or_b32 exec_lo, exec_lo, s8
	s_and_saveexec_b32 s8, s3
	s_cbranch_execnz .LBB43_178
	s_branch .LBB43_179
.LBB43_1014:                            ;   in Loop: Header=BB43_3 Depth=1
	ds_load_b64 v[42:43], v66 offset:5760
	ds_load_b64 v[44:45], v62 offset:88
	s_wait_dscnt 0x0
	v_fmac_f64_e32 v[40:41], v[42:43], v[44:45]
	s_or_b32 exec_lo, exec_lo, s8
	s_and_saveexec_b32 s8, s5
	s_cbranch_execz .LBB43_235
.LBB43_1015:                            ;   in Loop: Header=BB43_3 Depth=1
	ds_load_b64 v[42:43], v65 offset:6272
	ds_load_b64 v[44:45], v62 offset:96
	s_wait_dscnt 0x0
	v_fmac_f64_e32 v[40:41], v[42:43], v[44:45]
	s_or_b32 exec_lo, exec_lo, s8
	s_and_saveexec_b32 s8, s17
	s_cbranch_execz .LBB43_236
.LBB43_1016:                            ;   in Loop: Header=BB43_3 Depth=1
	ds_load_b64 v[42:43], v66 offset:6784
	ds_load_b64 v[44:45], v62 offset:104
	s_wait_dscnt 0x0
	v_fmac_f64_e32 v[40:41], v[42:43], v[44:45]
	s_or_b32 exec_lo, exec_lo, s8
	s_and_saveexec_b32 s8, s19
	s_cbranch_execz .LBB43_237
.LBB43_1017:                            ;   in Loop: Header=BB43_3 Depth=1
	ds_load_b64 v[42:43], v65 offset:7296
	ds_load_b64 v[44:45], v62 offset:112
	s_wait_dscnt 0x0
	v_fmac_f64_e32 v[40:41], v[42:43], v[44:45]
	s_or_b32 exec_lo, exec_lo, s8
	s_and_saveexec_b32 s8, s4
	s_cbranch_execnz .LBB43_238
	s_branch .LBB43_239
.LBB43_1018:                            ;   in Loop: Header=BB43_3 Depth=1
	ds_load_b64 v[42:43], v56 offset:8864
	ds_load_b64 v[44:45], v53 offset:8328
	s_wait_dscnt 0x0
	v_fmac_f64_e32 v[40:41], v[42:43], v[44:45]
	s_or_b32 exec_lo, exec_lo, s8
	s_and_saveexec_b32 s8, s15
	s_cbranch_execz .LBB43_323
.LBB43_1019:                            ;   in Loop: Header=BB43_3 Depth=1
	ds_load_b64 v[42:43], v55 offset:9376
	ds_load_b64 v[44:45], v53 offset:8336
	s_wait_dscnt 0x0
	v_fmac_f64_e32 v[40:41], v[42:43], v[44:45]
	s_or_b32 exec_lo, exec_lo, s8
	s_and_saveexec_b32 s8, s3
	s_cbranch_execnz .LBB43_324
	s_branch .LBB43_325
.LBB43_1020:                            ;   in Loop: Header=BB43_3 Depth=1
	ds_load_b64 v[42:43], v61 offset:8896
	ds_load_b64 v[44:45], v57 offset:8328
	s_wait_dscnt 0x0
	v_fmac_f64_e32 v[40:41], v[42:43], v[44:45]
	s_or_b32 exec_lo, exec_lo, s8
	s_and_saveexec_b32 s8, s17
	s_cbranch_execz .LBB43_361
.LBB43_1021:                            ;   in Loop: Header=BB43_3 Depth=1
	ds_load_b64 v[42:43], v61 offset:9408
	ds_load_b64 v[44:45], v57 offset:8336
	s_wait_dscnt 0x0
	v_fmac_f64_e32 v[40:41], v[42:43], v[44:45]
	s_or_b32 exec_lo, exec_lo, s8
	s_and_saveexec_b32 s8, s18
	s_cbranch_execz .LBB43_362
.LBB43_1022:                            ;   in Loop: Header=BB43_3 Depth=1
	ds_load_b64 v[42:43], v61 offset:9920
	ds_load_b64 v[44:45], v57 offset:8344
	s_wait_dscnt 0x0
	v_fmac_f64_e32 v[40:41], v[42:43], v[44:45]
	s_or_b32 exec_lo, exec_lo, s8
	s_and_saveexec_b32 s8, s19
	s_cbranch_execz .LBB43_363
.LBB43_1023:                            ;   in Loop: Header=BB43_3 Depth=1
	ds_load_b64 v[42:43], v60 offset:10432
	ds_load_b64 v[44:45], v57 offset:8352
	s_wait_dscnt 0x0
	v_fmac_f64_e32 v[40:41], v[42:43], v[44:45]
	s_or_b32 exec_lo, exec_lo, s8
	s_and_saveexec_b32 s8, s20
	s_cbranch_execz .LBB43_364
.LBB43_1024:                            ;   in Loop: Header=BB43_3 Depth=1
	ds_load_b64 v[42:43], v61 offset:10944
	ds_load_b64 v[44:45], v57 offset:8360
	s_wait_dscnt 0x0
	v_fmac_f64_e32 v[40:41], v[42:43], v[44:45]
	s_or_b32 exec_lo, exec_lo, s8
	s_and_saveexec_b32 s8, s4
	s_cbranch_execz .LBB43_365
.LBB43_1025:                            ;   in Loop: Header=BB43_3 Depth=1
	ds_load_b64 v[42:43], v60 offset:11456
	ds_load_b64 v[44:45], v57 offset:8368
	s_wait_dscnt 0x0
	v_fmac_f64_e32 v[40:41], v[42:43], v[44:45]
	s_or_b32 exec_lo, exec_lo, s8
	s_and_saveexec_b32 s8, s15
	s_cbranch_execnz .LBB43_366
	s_branch .LBB43_367
.LBB43_1026:                            ;   in Loop: Header=BB43_3 Depth=1
	ds_load_b64 v[42:43], v56 offset:13024
	ds_load_b64 v[44:45], v53 offset:12488
	s_wait_dscnt 0x0
	v_fmac_f64_e32 v[40:41], v[42:43], v[44:45]
	s_or_b32 exec_lo, exec_lo, s8
	s_and_saveexec_b32 s8, s15
	s_cbranch_execz .LBB43_419
.LBB43_1027:                            ;   in Loop: Header=BB43_3 Depth=1
	ds_load_b64 v[42:43], v55 offset:13536
	ds_load_b64 v[44:45], v53 offset:12496
	s_wait_dscnt 0x0
	v_fmac_f64_e32 v[40:41], v[42:43], v[44:45]
	s_or_b32 exec_lo, exec_lo, s8
	s_and_saveexec_b32 s8, s3
	s_cbranch_execnz .LBB43_420
	s_branch .LBB43_421
.LBB43_1028:                            ;   in Loop: Header=BB43_3 Depth=1
	ds_load_b64 v[42:43], v71 offset:14592
	ds_load_b64 v[44:45], v0 offset:224
	s_wait_dscnt 0x0
	v_fmac_f64_e32 v[40:41], v[42:43], v[44:45]
	s_or_b32 exec_lo, exec_lo, s8
	s_and_saveexec_b32 s8, s10
	s_cbranch_execz .LBB43_511
.LBB43_1029:                            ;   in Loop: Header=BB43_3 Depth=1
	ds_load_b64 v[42:43], v71 offset:15104
	ds_load_b64 v[44:45], v0 offset:232
	s_wait_dscnt 0x0
	v_fmac_f64_e32 v[40:41], v[42:43], v[44:45]
	s_or_b32 exec_lo, exec_lo, s8
	s_and_saveexec_b32 s8, s5
	s_cbranch_execz .LBB43_512
.LBB43_1030:                            ;   in Loop: Header=BB43_3 Depth=1
	ds_load_b64 v[42:43], v71 offset:15616
	ds_load_b64 v[44:45], v0 offset:240
	s_wait_dscnt 0x0
	v_fmac_f64_e32 v[40:41], v[42:43], v[44:45]
	s_or_b32 exec_lo, exec_lo, s8
	s_and_saveexec_b32 s8, s19
	s_cbranch_execnz .LBB43_513
	s_branch .LBB43_514
.LBB43_1031:                            ;   in Loop: Header=BB43_3 Depth=1
	ds_load_b64 v[42:43], v56 offset:17184
	ds_load_b64 v[44:45], v53 offset:16648
	s_wait_dscnt 0x0
	v_fmac_f64_e32 v[40:41], v[42:43], v[44:45]
	s_or_b32 exec_lo, exec_lo, s8
	s_and_saveexec_b32 s8, s15
	s_cbranch_execz .LBB43_554
.LBB43_1032:                            ;   in Loop: Header=BB43_3 Depth=1
	ds_load_b64 v[42:43], v55 offset:17696
	ds_load_b64 v[44:45], v53 offset:16656
	s_wait_dscnt 0x0
	v_fmac_f64_e32 v[40:41], v[42:43], v[44:45]
	s_or_b32 exec_lo, exec_lo, s8
	s_and_saveexec_b32 s8, s3
	s_cbranch_execnz .LBB43_555
	s_branch .LBB43_556
.LBB43_1033:                            ;   in Loop: Header=BB43_3 Depth=1
	ds_load_b64 v[42:43], v61 offset:17216
	ds_load_b64 v[44:45], v57 offset:16648
	s_wait_dscnt 0x0
	v_fmac_f64_e32 v[40:41], v[42:43], v[44:45]
	s_or_b32 exec_lo, exec_lo, s8
	s_and_saveexec_b32 s8, s17
	s_cbranch_execz .LBB43_592
.LBB43_1034:                            ;   in Loop: Header=BB43_3 Depth=1
	ds_load_b64 v[42:43], v61 offset:17728
	ds_load_b64 v[44:45], v57 offset:16656
	s_wait_dscnt 0x0
	v_fmac_f64_e32 v[40:41], v[42:43], v[44:45]
	s_or_b32 exec_lo, exec_lo, s8
	s_and_saveexec_b32 s8, s18
	s_cbranch_execz .LBB43_593
.LBB43_1035:                            ;   in Loop: Header=BB43_3 Depth=1
	ds_load_b64 v[42:43], v61 offset:18240
	ds_load_b64 v[44:45], v57 offset:16664
	s_wait_dscnt 0x0
	v_fmac_f64_e32 v[40:41], v[42:43], v[44:45]
	s_or_b32 exec_lo, exec_lo, s8
	s_and_saveexec_b32 s8, s19
	s_cbranch_execz .LBB43_594
.LBB43_1036:                            ;   in Loop: Header=BB43_3 Depth=1
	ds_load_b64 v[42:43], v60 offset:18752
	ds_load_b64 v[44:45], v57 offset:16672
	s_wait_dscnt 0x0
	v_fmac_f64_e32 v[40:41], v[42:43], v[44:45]
	s_or_b32 exec_lo, exec_lo, s8
	s_and_saveexec_b32 s8, s20
	s_cbranch_execz .LBB43_595
.LBB43_1037:                            ;   in Loop: Header=BB43_3 Depth=1
	ds_load_b64 v[42:43], v61 offset:19264
	ds_load_b64 v[44:45], v57 offset:16680
	s_wait_dscnt 0x0
	v_fmac_f64_e32 v[40:41], v[42:43], v[44:45]
	s_or_b32 exec_lo, exec_lo, s8
	s_and_saveexec_b32 s8, s4
	s_cbranch_execz .LBB43_596
.LBB43_1038:                            ;   in Loop: Header=BB43_3 Depth=1
	ds_load_b64 v[42:43], v60 offset:19776
	ds_load_b64 v[44:45], v57 offset:16688
	s_wait_dscnt 0x0
	v_fmac_f64_e32 v[40:41], v[42:43], v[44:45]
	s_or_b32 exec_lo, exec_lo, s8
	s_and_saveexec_b32 s8, s15
	s_cbranch_execnz .LBB43_597
	s_branch .LBB43_598
.LBB43_1039:                            ;   in Loop: Header=BB43_3 Depth=1
	ds_load_b64 v[42:43], v56 offset:21344
	ds_load_b64 v[44:45], v53 offset:20808
	s_wait_dscnt 0x0
	v_fmac_f64_e32 v[40:41], v[42:43], v[44:45]
	s_or_b32 exec_lo, exec_lo, s8
	s_and_saveexec_b32 s8, s15
	s_cbranch_execz .LBB43_650
.LBB43_1040:                            ;   in Loop: Header=BB43_3 Depth=1
	ds_load_b64 v[42:43], v55 offset:21856
	ds_load_b64 v[44:45], v53 offset:20816
	s_wait_dscnt 0x0
	v_fmac_f64_e32 v[40:41], v[42:43], v[44:45]
	s_or_b32 exec_lo, exec_lo, s8
	s_and_saveexec_b32 s8, s3
	s_cbranch_execnz .LBB43_651
	s_branch .LBB43_652
.LBB43_1041:                            ;   in Loop: Header=BB43_3 Depth=1
	ds_load_b64 v[42:43], v66 offset:22400
	ds_load_b64 v[44:45], v62 offset:16728
	s_wait_dscnt 0x0
	v_fmac_f64_e32 v[40:41], v[42:43], v[44:45]
	s_or_b32 exec_lo, exec_lo, s8
	s_and_saveexec_b32 s8, s5
	s_cbranch_execz .LBB43_708
.LBB43_1042:                            ;   in Loop: Header=BB43_3 Depth=1
	ds_load_b64 v[42:43], v65 offset:22912
	ds_load_b64 v[44:45], v62 offset:16736
	s_wait_dscnt 0x0
	v_fmac_f64_e32 v[40:41], v[42:43], v[44:45]
	s_or_b32 exec_lo, exec_lo, s8
	s_and_saveexec_b32 s8, s17
	s_cbranch_execz .LBB43_709
.LBB43_1043:                            ;   in Loop: Header=BB43_3 Depth=1
	ds_load_b64 v[42:43], v66 offset:23424
	ds_load_b64 v[44:45], v62 offset:16744
	s_wait_dscnt 0x0
	v_fmac_f64_e32 v[40:41], v[42:43], v[44:45]
	s_or_b32 exec_lo, exec_lo, s8
	s_and_saveexec_b32 s8, s19
	s_cbranch_execz .LBB43_710
.LBB43_1044:                            ;   in Loop: Header=BB43_3 Depth=1
	ds_load_b64 v[42:43], v65 offset:23936
	ds_load_b64 v[44:45], v62 offset:16752
	s_wait_dscnt 0x0
	v_fmac_f64_e32 v[40:41], v[42:43], v[44:45]
	s_or_b32 exec_lo, exec_lo, s8
	s_and_saveexec_b32 s8, s4
	s_cbranch_execnz .LBB43_711
	s_branch .LBB43_712
.LBB43_1045:                            ;   in Loop: Header=BB43_3 Depth=1
	ds_load_b64 v[42:43], v56 offset:25504
	ds_load_b64 v[44:45], v53 offset:24968
	s_wait_dscnt 0x0
	v_fmac_f64_e32 v[40:41], v[42:43], v[44:45]
	s_or_b32 exec_lo, exec_lo, s8
	s_and_saveexec_b32 s8, s15
	s_cbranch_execz .LBB43_796
.LBB43_1046:                            ;   in Loop: Header=BB43_3 Depth=1
	ds_load_b64 v[42:43], v55 offset:26016
	ds_load_b64 v[44:45], v53 offset:24976
	s_wait_dscnt 0x0
	v_fmac_f64_e32 v[40:41], v[42:43], v[44:45]
	s_or_b32 exec_lo, exec_lo, s8
	s_and_saveexec_b32 s8, s3
	s_cbranch_execnz .LBB43_797
	s_branch .LBB43_798
.LBB43_1047:                            ;   in Loop: Header=BB43_3 Depth=1
	ds_load_b64 v[42:43], v61 offset:25536
	ds_load_b64 v[44:45], v57 offset:24968
	s_wait_dscnt 0x0
	v_fmac_f64_e32 v[40:41], v[42:43], v[44:45]
	s_or_b32 exec_lo, exec_lo, s8
	s_and_saveexec_b32 s8, s17
	s_cbranch_execz .LBB43_834
.LBB43_1048:                            ;   in Loop: Header=BB43_3 Depth=1
	ds_load_b64 v[42:43], v61 offset:26048
	ds_load_b64 v[44:45], v57 offset:24976
	s_wait_dscnt 0x0
	v_fmac_f64_e32 v[40:41], v[42:43], v[44:45]
	s_or_b32 exec_lo, exec_lo, s8
	s_and_saveexec_b32 s8, s18
	s_cbranch_execz .LBB43_835
.LBB43_1049:                            ;   in Loop: Header=BB43_3 Depth=1
	ds_load_b64 v[42:43], v61 offset:26560
	ds_load_b64 v[44:45], v57 offset:24984
	s_wait_dscnt 0x0
	v_fmac_f64_e32 v[40:41], v[42:43], v[44:45]
	s_or_b32 exec_lo, exec_lo, s8
	s_and_saveexec_b32 s8, s19
	s_cbranch_execz .LBB43_836
.LBB43_1050:                            ;   in Loop: Header=BB43_3 Depth=1
	ds_load_b64 v[42:43], v60 offset:27072
	ds_load_b64 v[44:45], v57 offset:24992
	s_wait_dscnt 0x0
	v_fmac_f64_e32 v[40:41], v[42:43], v[44:45]
	s_or_b32 exec_lo, exec_lo, s8
	s_and_saveexec_b32 s8, s20
	s_cbranch_execz .LBB43_837
.LBB43_1051:                            ;   in Loop: Header=BB43_3 Depth=1
	ds_load_b64 v[42:43], v61 offset:27584
	ds_load_b64 v[44:45], v57 offset:25000
	s_wait_dscnt 0x0
	v_fmac_f64_e32 v[40:41], v[42:43], v[44:45]
	s_or_b32 exec_lo, exec_lo, s8
	s_and_saveexec_b32 s8, s4
	s_cbranch_execz .LBB43_838
.LBB43_1052:                            ;   in Loop: Header=BB43_3 Depth=1
	ds_load_b64 v[42:43], v60 offset:28096
	ds_load_b64 v[44:45], v57 offset:25008
	s_wait_dscnt 0x0
	v_fmac_f64_e32 v[40:41], v[42:43], v[44:45]
	s_or_b32 exec_lo, exec_lo, s8
	s_and_saveexec_b32 s8, s15
	s_cbranch_execnz .LBB43_839
	s_branch .LBB43_840
.LBB43_1053:                            ;   in Loop: Header=BB43_3 Depth=1
	ds_load_b64 v[42:43], v56 offset:29664
	ds_load_b64 v[44:45], v53 offset:29128
	s_wait_dscnt 0x0
	v_fmac_f64_e32 v[40:41], v[42:43], v[44:45]
	s_or_b32 exec_lo, exec_lo, s8
	s_and_saveexec_b32 s8, s15
	s_cbranch_execz .LBB43_892
.LBB43_1054:                            ;   in Loop: Header=BB43_3 Depth=1
	ds_load_b64 v[42:43], v55 offset:30176
	ds_load_b64 v[44:45], v53 offset:29136
	s_wait_dscnt 0x0
	v_fmac_f64_e32 v[40:41], v[42:43], v[44:45]
	s_or_b32 exec_lo, exec_lo, s8
	s_and_saveexec_b32 s8, s3
	s_cbranch_execnz .LBB43_893
	s_branch .LBB43_894
.LBB43_1055:
	s_endpgm
	.section	.rodata,"a",@progbits
	.p2align	6, 0x0
	.amdhsa_kernel _ZL19rocblas_trsv_deviceILi64ELi16ELb1ELb0ELb0ELb1EddPKdPdEviT7_lllT6_T8_lllPii
		.amdhsa_group_segment_fixed_size 41480
		.amdhsa_private_segment_fixed_size 0
		.amdhsa_kernarg_size 352
		.amdhsa_user_sgpr_count 2
		.amdhsa_user_sgpr_dispatch_ptr 0
		.amdhsa_user_sgpr_queue_ptr 0
		.amdhsa_user_sgpr_kernarg_segment_ptr 1
		.amdhsa_user_sgpr_dispatch_id 0
		.amdhsa_user_sgpr_kernarg_preload_length 0
		.amdhsa_user_sgpr_kernarg_preload_offset 0
		.amdhsa_user_sgpr_private_segment_size 0
		.amdhsa_wavefront_size32 1
		.amdhsa_uses_dynamic_stack 0
		.amdhsa_enable_private_segment 0
		.amdhsa_system_sgpr_workgroup_id_x 1
		.amdhsa_system_sgpr_workgroup_id_y 0
		.amdhsa_system_sgpr_workgroup_id_z 1
		.amdhsa_system_sgpr_workgroup_info 0
		.amdhsa_system_vgpr_workitem_id 1
		.amdhsa_next_free_vgpr 86
		.amdhsa_next_free_sgpr 105
		.amdhsa_named_barrier_count 0
		.amdhsa_reserve_vcc 1
		.amdhsa_float_round_mode_32 0
		.amdhsa_float_round_mode_16_64 0
		.amdhsa_float_denorm_mode_32 3
		.amdhsa_float_denorm_mode_16_64 3
		.amdhsa_fp16_overflow 0
		.amdhsa_memory_ordered 1
		.amdhsa_forward_progress 1
		.amdhsa_inst_pref_size 203
		.amdhsa_round_robin_scheduling 0
		.amdhsa_exception_fp_ieee_invalid_op 0
		.amdhsa_exception_fp_denorm_src 0
		.amdhsa_exception_fp_ieee_div_zero 0
		.amdhsa_exception_fp_ieee_overflow 0
		.amdhsa_exception_fp_ieee_underflow 0
		.amdhsa_exception_fp_ieee_inexact 0
		.amdhsa_exception_int_div_zero 0
	.end_amdhsa_kernel
	.section	.text._ZL19rocblas_trsv_deviceILi64ELi16ELb1ELb0ELb0ELb1EddPKdPdEviT7_lllT6_T8_lllPii,"axG",@progbits,_ZL19rocblas_trsv_deviceILi64ELi16ELb1ELb0ELb0ELb1EddPKdPdEviT7_lllT6_T8_lllPii,comdat
.Lfunc_end43:
	.size	_ZL19rocblas_trsv_deviceILi64ELi16ELb1ELb0ELb0ELb1EddPKdPdEviT7_lllT6_T8_lllPii, .Lfunc_end43-_ZL19rocblas_trsv_deviceILi64ELi16ELb1ELb0ELb0ELb1EddPKdPdEviT7_lllT6_T8_lllPii
                                        ; -- End function
	.set _ZL19rocblas_trsv_deviceILi64ELi16ELb1ELb0ELb0ELb1EddPKdPdEviT7_lllT6_T8_lllPii.num_vgpr, 86
	.set _ZL19rocblas_trsv_deviceILi64ELi16ELb1ELb0ELb0ELb1EddPKdPdEviT7_lllT6_T8_lllPii.num_agpr, 0
	.set _ZL19rocblas_trsv_deviceILi64ELi16ELb1ELb0ELb0ELb1EddPKdPdEviT7_lllT6_T8_lllPii.numbered_sgpr, 105
	.set _ZL19rocblas_trsv_deviceILi64ELi16ELb1ELb0ELb0ELb1EddPKdPdEviT7_lllT6_T8_lllPii.num_named_barrier, 0
	.set _ZL19rocblas_trsv_deviceILi64ELi16ELb1ELb0ELb0ELb1EddPKdPdEviT7_lllT6_T8_lllPii.private_seg_size, 0
	.set _ZL19rocblas_trsv_deviceILi64ELi16ELb1ELb0ELb0ELb1EddPKdPdEviT7_lllT6_T8_lllPii.uses_vcc, 1
	.set _ZL19rocblas_trsv_deviceILi64ELi16ELb1ELb0ELb0ELb1EddPKdPdEviT7_lllT6_T8_lllPii.uses_flat_scratch, 0
	.set _ZL19rocblas_trsv_deviceILi64ELi16ELb1ELb0ELb0ELb1EddPKdPdEviT7_lllT6_T8_lllPii.has_dyn_sized_stack, 0
	.set _ZL19rocblas_trsv_deviceILi64ELi16ELb1ELb0ELb0ELb1EddPKdPdEviT7_lllT6_T8_lllPii.has_recursion, 0
	.set _ZL19rocblas_trsv_deviceILi64ELi16ELb1ELb0ELb0ELb1EddPKdPdEviT7_lllT6_T8_lllPii.has_indirect_call, 0
	.section	.AMDGPU.csdata,"",@progbits
; Kernel info:
; codeLenInByte = 25880
; TotalNumSgprs: 107
; NumVgprs: 86
; ScratchSize: 0
; MemoryBound: 0
; FloatMode: 240
; IeeeMode: 1
; LDSByteSize: 41480 bytes/workgroup (compile time only)
; SGPRBlocks: 0
; VGPRBlocks: 5
; NumSGPRsForWavesPerEU: 107
; NumVGPRsForWavesPerEU: 86
; NamedBarCnt: 0
; Occupancy: 10
; WaveLimiterHint : 0
; COMPUTE_PGM_RSRC2:SCRATCH_EN: 0
; COMPUTE_PGM_RSRC2:USER_SGPR: 2
; COMPUTE_PGM_RSRC2:TRAP_HANDLER: 0
; COMPUTE_PGM_RSRC2:TGID_X_EN: 1
; COMPUTE_PGM_RSRC2:TGID_Y_EN: 0
; COMPUTE_PGM_RSRC2:TGID_Z_EN: 1
; COMPUTE_PGM_RSRC2:TIDIG_COMP_CNT: 1
	.section	.text._ZL19rocblas_trsv_deviceILi64ELi16ELb1ELb1ELb0ELb1EddPKdPdEviT7_lllT6_T8_lllPii,"axG",@progbits,_ZL19rocblas_trsv_deviceILi64ELi16ELb1ELb1ELb0ELb1EddPKdPdEviT7_lllT6_T8_lllPii,comdat
	.globl	_ZL19rocblas_trsv_deviceILi64ELi16ELb1ELb1ELb0ELb1EddPKdPdEviT7_lllT6_T8_lllPii ; -- Begin function _ZL19rocblas_trsv_deviceILi64ELi16ELb1ELb1ELb0ELb1EddPKdPdEviT7_lllT6_T8_lllPii
	.p2align	8
	.type	_ZL19rocblas_trsv_deviceILi64ELi16ELb1ELb1ELb0ELb1EddPKdPdEviT7_lllT6_T8_lllPii,@function
_ZL19rocblas_trsv_deviceILi64ELi16ELb1ELb1ELb0ELb1EddPKdPdEviT7_lllT6_T8_lllPii: ; @_ZL19rocblas_trsv_deviceILi64ELi16ELb1ELb1ELb0ELb1EddPKdPdEviT7_lllT6_T8_lllPii
; %bb.0:
	s_load_b32 s6, s[0:1], 0x58
	s_bfe_u32 s2, ttmp6, 0x40014
	s_lshr_b32 s3, ttmp7, 16
	s_add_co_i32 s2, s2, 1
	s_bfe_u32 s5, ttmp6, 0x40008
	s_mul_i32 s4, s3, s2
	s_getreg_b32 s2, hwreg(HW_REG_IB_STS2, 6, 4)
	s_add_co_i32 s5, s5, s4
	s_cmp_eq_u32 s2, 0
	s_mov_b32 s77, 0
	s_cselect_b32 s76, s3, s5
                                        ; implicit-def: $vgpr102 : SGPR spill to VGPR lane
	s_wait_kmcnt 0x0
	s_cmp_ge_u32 s76, s6
	v_writelane_b32 v102, s6, 0
	s_cbranch_scc1 .LBB44_1117
; %bb.1:
	s_clause 0x3
	s_load_b512 s[56:71], s[0:1], 0x8
	s_load_b32 s3, s[0:1], 0x6c
	s_load_b32 s88, s[0:1], 0x60
	;; [unrolled: 1-line block ×3, first 2 shown]
	s_bfe_u32 s5, ttmp6, 0x4000c
	s_and_b32 s4, ttmp6, 15
	s_add_co_i32 s5, s5, 1
	s_load_b128 s[72:75], s[0:1], 0x48
	s_mul_i32 s5, ttmp9, s5
	v_and_b32_e32 v6, 0x3ff, v0
	s_add_co_i32 s4, s4, s5
	v_bfe_u32 v4, v0, 10, 10
	v_mov_b32_e32 v9, 0
                                        ; implicit-def: $vgpr97 : SGPR spill to VGPR lane
	s_delay_alu instid0(VALU_DEP_3) | instskip(SKIP_1) | instid1(VALU_DEP_3)
	v_dual_lshlrev_b32 v3, 6, v6 :: v_dual_bitop2_b32 v17, 3, v0 bitop3:0x40
	v_and_b32_e32 v77, 31, v0
	v_dual_mov_b32 v11, v9 :: v_dual_add_nc_u32 v8, 16, v4
	v_lshl_add_u32 v1, v4, 6, v6
	v_dual_add_nc_u32 v22, 32, v4 :: v_dual_add_nc_u32 v24, 48, v4
	s_wait_kmcnt 0x0
	s_lshl_b64 s[12:13], s[58:59], 3
	s_lshl_b64 s[14:15], s[68:69], 3
	s_cmp_eq_u32 s2, 0
	v_add_nc_u32_e32 v7, v8, v3
	s_cselect_b32 s87, ttmp9, s4
	s_add_co_i32 s1, s78, -1
	s_ashr_i32 s79, s78, 31
	s_ashr_i32 s2, s1, 31
	s_and_b32 s0, s3, 0xffff
	s_lshr_b32 s3, s79, 26
	s_lshr_b32 s2, s2, 26
	s_add_co_i32 s3, s78, s3
	s_add_co_i32 s88, s88, -1
	s_add_co_i32 s1, s1, s2
	s_and_not1_b32 s3, s3, 63
	s_sub_co_i32 s9, s88, s87
	s_ashr_i32 s1, s1, 6
	s_sub_co_i32 s18, s78, s3
	s_cmp_eq_u32 s1, s9
	v_mad_u32_u24 v10, v4, s0, v6
	s_cselect_b32 s1, -1, 0
	s_cmp_lg_u32 s18, 0
	v_lshl_add_u32 v12, v8, 6, v6
	s_cselect_b32 s2, -1, 0
	v_cmp_gt_u32_e64 s3, 2, v6
	s_and_b32 s30, s2, s1
	v_and_b32_e32 v18, 7, v0
	s_xor_b32 s89, s30, -1
	s_cmp_lg_u32 s87, 0
	v_and_b32_e32 v19, 15, v0
	s_cselect_b32 s0, -1, 0
	s_lshl_b32 s16, s9, 6
	s_cmp_lt_i32 s87, 5
	v_dual_add_nc_u32 v5, v4, v3 :: v_dual_add_nc_u32 v2, s16, v6
	s_cselect_b32 vcc_lo, -1, 0
	v_and_b32_e32 v16, 1, v0
	v_add_nc_u32_e32 v20, s16, v4
	v_writelane_b32 v102, s0, 1
	s_add_nc_u64 s[0:1], s[60:61], 1
	s_ashr_i32 s17, s16, 31
	v_cndmask_b32_e32 v5, v1, v5, vcc_lo
	v_cmp_eq_u32_e64 s2, 1, v16
	s_or_b32 vcc_lo, vcc_lo, s30
	s_mul_u64 s[10:11], s[0:1], s[16:17]
	v_cndmask_b32_e32 v21, v12, v7, vcc_lo
	v_cmp_gt_u32_e64 s0, 4, v1
	s_xor_b32 s4, s2, -1
	v_cmp_eq_u32_e64 s1, 0, v4
	v_cmp_eq_u32_e64 s5, 1, v17
	v_cmp_lt_u32_e64 s6, 1, v17
	s_and_b32 s92, s4, s0
	s_and_b32 s93, s2, s0
	v_cmp_gt_u32_e64 s2, 16, v1
	v_cmp_eq_u32_e64 s4, 0, v17
	s_and_b32 s94, s1, s3
	v_cmp_ne_u32_e64 s3, 0, v17
	v_add_nc_u32_e32 v7, v22, v3
	s_and_b32 s97, s5, s2
	s_and_b32 s95, s4, s2
	v_cmp_eq_u32_e64 s4, 2, v17
	s_and_b32 s96, s3, s2
	v_cmp_gt_u32_e64 s3, 64, v1
	s_and_b32 s98, s6, s2
	v_cmp_gt_u32_e64 s5, 4, v6
	s_and_b32 s99, s4, s2
	v_cmp_eq_u32_e64 s4, 3, v17
	v_cmp_eq_u32_e64 s6, 0, v18
	v_cmp_ne_u32_e64 s7, 0, v18
	s_and_b32 s101, s1, s5
	v_cmp_lt_u32_e64 s5, 1, v18
	s_and_b32 s100, s4, s2
	v_cmp_eq_u32_e64 s4, 1, v18
	s_and_b32 s102, s6, s3
	s_and_b32 s103, s7, s3
	v_cmp_lt_u32_e64 s6, 2, v18
	v_cmp_eq_u32_e64 s7, 3, v18
	s_and_b32 s104, s4, s3
	v_cmp_eq_u32_e64 s4, 2, v18
	s_and_b32 vcc_hi, s5, s3
	v_cmp_lt_u32_e64 s5, 3, v18
	s_and_b32 s33, s6, s3
	s_and_b32 s34, s7, s3
	;; [unrolled: 1-line block ×3, first 2 shown]
	v_cmp_eq_u32_e64 s4, 4, v18
	v_cmp_eq_u32_e64 s6, 5, v18
	v_cmp_lt_u32_e64 s7, 5, v18
	s_and_b32 s35, s5, s3
	v_cmp_lt_u32_e64 s5, 4, v18
	s_and_b32 s36, s4, s3
	v_cmp_eq_u32_e64 s4, 6, v18
	s_and_b32 s38, s6, s3
	s_and_b32 s39, s7, s3
	v_cmp_gt_u32_e64 s6, 8, v6
	v_add_nc_u32_e32 v3, v24, v3
	s_and_b32 s40, s4, s3
	v_cmp_gt_u32_e64 s4, 0x100, v1
	v_cmp_eq_u32_e64 s7, 0, v19
	s_and_b32 s37, s5, s3
	v_cmp_eq_u32_e64 s5, 7, v18
	v_cmp_ne_u32_e64 s8, 0, v19
	s_and_b32 s42, s1, s6
	s_and_b32 s6, s7, s4
	v_cmp_lt_u32_e64 s7, 2, v19
	v_writelane_b32 v102, s6, 2
	s_and_b32 s41, s5, s3
	v_cmp_eq_u32_e64 s5, 1, v19
	s_and_b32 s6, s8, s4
	v_cmp_eq_u32_e64 s8, 3, v19
	v_writelane_b32 v102, s6, 3
	v_cmp_lt_u32_e64 s6, 1, v19
	s_and_b32 s5, s5, s4
	v_add_nc_u64_e32 v[14:15], s[16:17], v[10:11]
	v_lshl_add_u32 v11, v22, 6, v6
	v_writelane_b32 v102, s5, 4
	v_cmp_eq_u32_e64 s5, 2, v19
	s_and_b32 s6, s6, s4
	v_lshl_add_u32 v12, v24, 6, v6
	v_dual_cndmask_b32 v23, v11, v7, vcc_lo :: v_dual_lshlrev_b32 v7, 3, v6
	v_writelane_b32 v102, s6, 5
	s_and_b32 s5, s5, s4
	v_cmp_lt_u32_e64 s6, 3, v19
	s_xor_b32 s91, vcc_lo, -1
	v_mad_u32_u24 v11, 0x1f8, v6, v7
	v_writelane_b32 v102, s5, 6
	s_and_b32 s5, s7, s4
	s_and_b32 s6, s6, s4
	v_cmp_eq_u32_e64 s7, 5, v19
	v_mad_i32_i24 v48, 0xfffffe08, v6, v11
	v_writelane_b32 v102, s5, 7
	s_and_b32 s5, s8, s4
	v_cmp_lt_u32_e64 s8, 5, v19
	v_dual_cndmask_b32 v25, v12, v3 :: v_dual_lshrrev_b32 v26, 2, v1
	v_writelane_b32 v102, s5, 8
	v_cmp_eq_u32_e64 s5, 4, v19
	s_and_b32 s54, s8, s4
	v_cmp_eq_u32_e64 s8, 8, v19
	v_mad_u32_u24 v49, 0x1f8, v6, v48
	v_writelane_b32 v102, s6, 9
	v_cmp_lt_u32_e64 s6, 4, v19
	s_and_b32 s5, s5, s4
	v_cmp_eq_u32_e32 vcc_lo, 14, v19
	s_and_b32 s27, s8, s4
	v_writelane_b32 v102, s5, 10
	s_and_b32 s6, s6, s4
	v_cmp_eq_u32_e64 s5, 6, v19
	v_cmp_lt_u32_e64 s8, 10, v19
	v_mad_i32_i24 v50, 0xfffffe08, v6, v49
	v_writelane_b32 v102, s6, 11
	s_and_b32 s6, s7, s4
	s_and_b32 s19, s5, s4
	v_cmp_eq_u32_e64 s5, 7, v19
	v_cmp_lt_u32_e64 s7, 7, v19
	v_writelane_b32 v102, s6, 12
	v_cmp_lt_u32_e64 s6, 6, v19
	s_and_b32 s45, vcc_lo, s4
	s_and_b32 s23, s5, s4
	v_cmp_eq_u32_e64 s5, 9, v19
	s_and_b32 s25, s7, s4
	s_and_b32 s21, s6, s4
	v_cmp_lt_u32_e64 s6, 8, v19
	v_cmp_eq_u32_e64 s7, 10, v19
	s_and_b32 s58, s5, s4
	v_cmp_eq_u32_e64 s5, 11, v19
	v_cmp_gt_u32_e32 vcc_lo, 32, v6
	s_and_b32 s29, s6, s4
	v_cmp_lt_u32_e64 s6, 9, v19
	s_and_b32 s20, s7, s4
	s_and_b32 s24, s5, s4
	v_cmp_eq_u32_e64 s5, 12, v19
	v_cmp_lt_u32_e64 s7, 12, v19
	s_and_b32 s59, s6, s4
	v_cmp_lt_u32_e64 s6, 11, v19
	s_and_b32 s22, s8, s4
	s_and_b32 s28, s5, s4
	;; [unrolled: 1-line block ×3, first 2 shown]
	v_cmp_eq_u32_e64 s5, 15, v19
	s_and_b32 s26, s6, s4
	v_cmp_lt_u32_e64 s6, 13, v19
	v_cmp_gt_u32_e64 s7, 16, v6
	v_cmp_eq_u32_e64 s8, 13, v19
	v_mad_u32_u24 v51, 0x1f8, v6, v50
	s_and_b32 s46, s5, s4
	s_and_b32 s44, s6, s4
	v_cmp_le_i32_e64 s6, s18, v6
	s_and_b32 s48, s1, s7
	s_and_b32 s7, s1, vcc_lo
	v_cmp_le_i32_e32 vcc_lo, s18, v4
	s_and_b32 s43, s8, s4
	s_and_b32 s47, s6, s30
	v_mad_i32_i24 v52, 0xfffffe08, v6, v51
	s_xor_b32 s5, s47, -1
	v_writelane_b32 v102, s7, 13
	s_and_b32 s49, s1, s5
	s_cmp_gt_i32 s87, 0
	v_mad_u32_u24 v53, 0x1f8, v6, v52
	s_cselect_b32 s50, -1, 0
	s_or_b32 s7, vcc_lo, s6
	v_cmp_le_i32_e32 vcc_lo, s18, v8
	v_dual_add_nc_u32 v12, 64, v20 :: v_dual_lshrrev_b32 v27, 1, v1
	v_mad_i32_i24 v54, 0xfffffe08, v6, v53
	v_dual_lshrrev_b32 v28, 10, v0 :: v_dual_lshlrev_b32 v29, 3, v26
	s_or_b32 s8, vcc_lo, s6
	v_cmp_le_i32_e32 vcc_lo, s18, v22
	s_delay_alu instid0(VALU_DEP_3)
	v_mad_u32_u24 v57, 0x1f8, v6, v54
	v_add_nc_u32_e32 v39, 0x50, v20
	v_dual_lshlrev_b32 v16, 3, v16 :: v_dual_ashrrev_i32 v3, 31, v2
	s_or_b32 s16, vcc_lo, s6
	v_cmp_le_i32_e32 vcc_lo, s18, v24
	v_mad_i32_i24 v59, 0xfffffe08, v6, v57
	v_bitop3_b32 v40, v0, v28, 0x3ff bitop3:0xa8
	v_lshlrev_b32_e32 v70, 3, v19
	v_add_nc_u32_e32 v0, 0x60, v20
	s_or_b32 s17, vcc_lo, s6
	v_cmp_gt_i32_e32 vcc_lo, s18, v6
	v_mad_u32_u24 v61, 0x1f8, v6, v59
	v_dual_lshlrev_b32 v63, 3, v17 :: v_dual_lshlrev_b32 v67, 3, v18
	v_lshl_or_b32 v64, v27, 9, v16
	s_and_b32 s5, s1, vcc_lo
	v_cmp_gt_i32_e32 vcc_lo, s78, v12
	v_writelane_b32 v102, s5, 14
	v_cmp_gt_i32_e64 s5, s78, v2
	v_mad_i32_i24 v79, 0xfffffe08, v6, v61
	v_mul_u64_e32 v[16:17], s[60:61], v[2:3]
	v_mul_u64_e32 v[18:19], s[70:71], v[2:3]
	v_add_nc_u32_e32 v2, 0x70, v20
	s_and_b32 s6, vcc_lo, s5
	v_cmp_gt_i32_e32 vcc_lo, s78, v39
	v_writelane_b32 v102, s6, 15
	v_mad_u32_u24 v80, 0x1f8, v6, v79
	v_dual_lshlrev_b32 v85, 3, v25 :: v_dual_mov_b32 v25, v9
	s_and_b32 s6, vcc_lo, s5
	v_cmp_gt_i32_e32 vcc_lo, s78, v0
	v_writelane_b32 v102, s6, 16
	s_add_nc_u64 s[68:69], s[56:57], s[12:13]
	s_add_co_i32 s57, s9, 1
	v_cmp_gt_u32_e64 s30, 0xf0, v1
	s_and_b32 s6, vcc_lo, s5
	v_cmp_gt_i32_e32 vcc_lo, s78, v2
	v_writelane_b32 v102, s6, 17
	v_cmp_gt_u32_e64 s51, 0x3e0, v1
	v_dual_lshrrev_b32 v30, 3, v1 :: v_dual_lshrrev_b32 v31, 4, v1
	s_and_b32 s6, vcc_lo, s5
	v_mul_u32_u24_e32 v55, 0x208, v26
	v_writelane_b32 v102, s6, 18
	v_cmp_le_u32_e64 s6, v6, v4
	v_dual_lshrrev_b32 v35, 5, v1 :: v_dual_bitop2_b32 v33, -8, v1 bitop3:0x40
	v_mul_u32_u24_e32 v58, 0x208, v30
	v_dual_sub_nc_u32 v32, v55, v29 :: v_dual_lshlrev_b32 v34, 3, v31
	s_or_b32 s7, s7, s6
	v_mul_u32_u24_e32 v60, 0x208, v31
	v_writelane_b32 v102, s7, 19
	v_cmp_le_u32_e64 s7, v6, v8
	v_dual_sub_nc_u32 v37, v58, v33 :: v_dual_lshlrev_b32 v78, 9, v35
	s_delay_alu instid0(VALU_DEP_4) | instskip(SKIP_1) | instid1(VALU_DEP_2)
	v_dual_lshlrev_b32 v0, 3, v4 :: v_dual_sub_nc_u32 v38, v60, v34
	s_or_b32 s8, s8, s7
	v_dual_add_nc_u32 v73, v37, v67 :: v_dual_lshlrev_b32 v3, 3, v77
	v_writelane_b32 v102, s8, 20
	v_cmp_le_u32_e64 s8, v6, v22
	v_add_nc_u32_e32 v66, 0x8000, v29
	v_add_nc_u32_e32 v74, 0x8000, v34
	v_dual_lshlrev_b32 v82, 3, v5 :: v_dual_bitop2_b32 v81, v78, v3 bitop3:0x54
	s_or_b32 s9, s16, s8
	v_mov_b32_e32 v5, v9
	v_writelane_b32 v102, s9, 21
	v_cmp_le_u32_e64 s9, v6, v24
	v_dual_lshlrev_b32 v83, 3, v21 :: v_dual_lshlrev_b32 v84, 3, v23
	v_mov_b32_e32 v23, v9
	v_lshl_add_u32 v56, v27, 3, 0x8000
	s_or_b32 s12, s17, s9
	v_mul_u32_u24_e32 v65, 0x208, v27
	v_writelane_b32 v102, s12, 22
	v_lshl_or_b32 v68, v26, 9, v63
	v_mul_u64_e32 v[14:15], s[70:71], v[14:15]
	v_or_b32_e32 v86, 0xa000, v0
	v_or_b32_e32 v41, v22, v6
	v_writelane_b32 v102, s30, 23
	v_cmp_gt_u32_e64 s30, 0xe0, v1
	v_mul_u64_e32 v[20:21], s[60:61], v[22:23]
	v_dual_add_nc_u32 v95, v86, v7 :: v_dual_bitop2_b32 v42, v24, v6 bitop3:0x54
	v_mul_u64_e32 v[22:23], s[60:61], v[24:25]
	s_delay_alu instid0(VALU_DEP_4)
	v_writelane_b32 v102, s30, 24
	v_cmp_gt_u32_e64 s30, 0xd0, v1
	v_mul_u64_e32 v[24:25], s[60:61], v[8:9]
	v_mul_u64_e32 v[26:27], s[60:61], v[4:5]
	v_mul_i32_i24_e32 v36, 0xfffffe08, v6
	v_add_nc_u32_e32 v87, v80, v0
	v_writelane_b32 v102, s30, 25
	v_cmp_gt_u32_e64 s30, 0xc0, v1
	v_dual_lshlrev_b32 v8, 3, v6 :: v_dual_bitop2_b32 v2, v8, v6 bitop3:0x54
	v_mad_u32_u24 v0, 0x1f8, v6, v36
	v_dual_lshlrev_b32 v62, 3, v35 :: v_dual_ashrrev_i32 v13, 31, v12
	s_delay_alu instid0(VALU_DEP_4) | instskip(SKIP_1) | instid1(VALU_DEP_4)
	v_writelane_b32 v102, s30, 26
	v_cmp_gt_u32_e64 s30, 0xb0, v1
	v_mul_lo_u32 v0, v0, 7
	v_lshl_or_b32 v72, v30, 9, v67
	v_lshl_or_b32 v75, v31, 9, v70
	v_cmp_lt_u32_e32 vcc_lo, 0x3ff, v1
	v_writelane_b32 v102, s30, 27
	v_cmp_gt_u32_e64 s30, 0xa0, v1
	v_mov_b64_e32 v[28:29], 0
	v_mov_b64_e32 v[30:31], 1.0
	s_add_nc_u64 s[66:67], s[66:67], s[14:15]
	v_dual_add_nc_u32 v69, v32, v63 :: v_dual_add_nc_u32 v76, v38, v70
	v_writelane_b32 v102, s30, 28
	v_cmp_gt_u32_e64 s30, 0x90, v1
	v_add_nc_u32_e32 v71, 0x8000, v33
	v_or_b32_e32 v88, 0x4100, v3
	v_add3_u32 v89, v7, v0, 0x7800
	s_lshl_b64 s[80:81], s[10:11], 3
	v_writelane_b32 v102, s30, 29
	v_cmp_gt_u32_e64 s30, 0x80, v1
	v_add_nc_u32_e32 v90, 0x8000, v62
	v_lshl_add_u32 v91, v10, 3, 0xa000
	v_lshl_add_u32 v92, v1, 3, 0x8000
	v_add_nc_u32_e32 v93, 0x8000, v7
	v_writelane_b32 v102, s30, 30
	v_cmp_gt_u32_e64 s30, 0x70, v1
	v_lshl_add_u32 v94, v4, 9, v59
	v_subrev_nc_u32_e32 v96, 63, v6
	v_mov_b32_e32 v3, 0x3ff00000
	v_cmp_eq_u32_e64 s10, 0, v40
	v_writelane_b32 v102, s30, 31
	v_cmp_gt_u32_e64 s30, 0x60, v1
	v_cmp_gt_u32_e64 s11, 2, v1
	;; [unrolled: 1-line block ×5, first 2 shown]
	v_writelane_b32 v97, s30, 0
	v_cmp_gt_u32_e64 s30, 0x50, v1
	v_cmp_gt_u32_e64 s15, 48, v1
	;; [unrolled: 1-line block ×5, first 2 shown]
	v_writelane_b32 v97, s30, 1
	v_cmp_gt_u32_e64 s30, 0x400, v1
	v_cmp_eq_u32_e64 s55, 0, v10
	v_cmp_gt_u32_e64 s56, 64, v10
	s_xor_b32 s86, vcc_lo, -1
	v_writelane_b32 v97, s51, 2
	v_cmp_gt_u32_e64 s51, 0x3c0, v1
                                        ; implicit-def: $vgpr32_vgpr33
                                        ; implicit-def: $vgpr34_vgpr35
                                        ; implicit-def: $vgpr36_vgpr37
                                        ; implicit-def: $vgpr38_vgpr39
	s_delay_alu instid0(VALU_DEP_1) | instskip(SKIP_1) | instid1(VALU_DEP_1)
	v_writelane_b32 v97, s51, 3
	v_cmp_gt_u32_e64 s51, 0x3a0, v1
	v_writelane_b32 v97, s51, 4
	v_cmp_gt_u32_e64 s51, 0x380, v1
	s_delay_alu instid0(VALU_DEP_1) | instskip(SKIP_1) | instid1(VALU_DEP_1)
	v_writelane_b32 v97, s51, 5
	v_cmp_gt_u32_e64 s51, 0x360, v1
	v_writelane_b32 v97, s51, 6
	v_cmp_gt_u32_e64 s51, 0x340, v1
	;; [unrolled: 5-line block ×12, first 2 shown]
	s_delay_alu instid0(VALU_DEP_1) | instskip(SKIP_1) | instid1(VALU_DEP_1)
	v_writelane_b32 v97, s51, 27
	v_cmp_gt_u32_e64 s51, 64, v42
	v_writelane_b32 v97, s51, 28
	s_branch .LBB44_3
.LBB44_2:                               ;   in Loop: Header=BB44_3 Depth=1
	s_wait_xcnt 0x0
	s_or_b32 exec_lo, exec_lo, s51
	v_readlane_b32 s51, v102, 0
	s_add_co_i32 s76, s76, 0x10000
	global_wb scope:SCOPE_DEV
	s_wait_storecnt 0x0
	global_inv scope:SCOPE_DEV
	s_cmp_lt_u32 s76, s51
	s_cbranch_scc0 .LBB44_1117
.LBB44_3:                               ; =>This Loop Header: Depth=1
                                        ;     Child Loop BB44_537 Depth 2
                                        ;     Child Loop BB44_986 Depth 2
                                        ;       Child Loop BB44_988 Depth 3
                                        ;     Child Loop BB44_1023 Depth 2
	s_mul_u64 s[52:53], s[62:63], s[76:77]
	v_readlane_b32 s51, v102, 1
	s_lshl_b64 s[52:53], s[52:53], 3
	s_delay_alu instid0(SALU_CYCLE_1)
	s_add_nc_u64 s[82:83], s[68:69], s[52:53]
	s_and_not1_b32 vcc_lo, exec_lo, s51
	v_lshl_add_u64 v[40:41], v[16:17], 3, s[82:83]
	s_cbranch_vccnz .LBB44_13
; %bb.4:                                ;   in Loop: Header=BB44_3 Depth=1
	v_mov_b64_e32 v[34:35], 0
	v_mov_b64_e32 v[32:33], 0
	s_delay_alu instid0(VALU_DEP_3)
	v_lshl_add_u64 v[0:1], v[12:13], 3, v[40:41]
	s_barrier_signal -1
	s_barrier_wait -1
	s_mov_b32 s51, exec_lo
	v_readlane_b32 s52, v102, 15
	s_and_b32 s52, s51, s52
	s_delay_alu instid0(SALU_CYCLE_1)
	s_mov_b32 exec_lo, s52
	s_cbranch_execz .LBB44_6
; %bb.5:                                ;   in Loop: Header=BB44_3 Depth=1
	global_load_b64 v[32:33], v[0:1], off
.LBB44_6:                               ;   in Loop: Header=BB44_3 Depth=1
	s_wait_xcnt 0x0
	s_or_b32 exec_lo, exec_lo, s51
	s_wait_loadcnt 0x0
	s_barrier_signal -1
	s_barrier_wait -1
	s_mov_b32 s51, exec_lo
	v_readlane_b32 s52, v102, 16
	s_and_b32 s52, s51, s52
	s_delay_alu instid0(SALU_CYCLE_1)
	s_mov_b32 exec_lo, s52
	s_cbranch_execz .LBB44_8
; %bb.7:                                ;   in Loop: Header=BB44_3 Depth=1
	global_load_b64 v[34:35], v[0:1], off offset:128
.LBB44_8:                               ;   in Loop: Header=BB44_3 Depth=1
	s_wait_xcnt 0x0
	s_or_b32 exec_lo, exec_lo, s51
	v_mov_b64_e32 v[38:39], 0
	v_mov_b64_e32 v[36:37], 0
	s_wait_loadcnt 0x0
	s_barrier_signal -1
	s_barrier_wait -1
	s_mov_b32 s51, exec_lo
	v_readlane_b32 s52, v102, 17
	s_and_b32 s52, s51, s52
	s_delay_alu instid0(SALU_CYCLE_1)
	s_mov_b32 exec_lo, s52
	s_cbranch_execz .LBB44_10
; %bb.9:                                ;   in Loop: Header=BB44_3 Depth=1
	global_load_b64 v[36:37], v[0:1], off offset:256
.LBB44_10:                              ;   in Loop: Header=BB44_3 Depth=1
	s_wait_xcnt 0x0
	s_or_b32 exec_lo, exec_lo, s51
	s_wait_loadcnt 0x0
	s_barrier_signal -1
	s_barrier_wait -1
	s_mov_b32 s51, exec_lo
	v_readlane_b32 s52, v102, 18
	s_and_b32 s52, s51, s52
	s_delay_alu instid0(SALU_CYCLE_1)
	s_mov_b32 exec_lo, s52
	s_cbranch_execz .LBB44_12
; %bb.11:                               ;   in Loop: Header=BB44_3 Depth=1
	global_load_b64 v[38:39], v[0:1], off offset:384
.LBB44_12:                              ;   in Loop: Header=BB44_3 Depth=1
	s_wait_xcnt 0x0
	s_or_b32 exec_lo, exec_lo, s51
.LBB44_13:                              ;   in Loop: Header=BB44_3 Depth=1
	s_add_nc_u64 s[52:53], s[82:83], s[80:81]
	s_and_not1_b32 vcc_lo, exec_lo, s89
	v_add_nc_u64_e32 v[0:1], s[52:53], v[8:9]
	s_mov_b32 s51, -1
	s_cbranch_vccnz .LBB44_24
; %bb.14:                               ;   in Loop: Header=BB44_3 Depth=1
	s_and_saveexec_b32 s51, s6
	s_delay_alu instid0(SALU_CYCLE_1)
	s_xor_b32 s51, exec_lo, s51
	s_cbranch_execnz .LBB44_1045
; %bb.15:                               ;   in Loop: Header=BB44_3 Depth=1
	s_and_not1_saveexec_b32 s51, s51
	s_cbranch_execnz .LBB44_1048
.LBB44_16:                              ;   in Loop: Header=BB44_3 Depth=1
	s_or_b32 exec_lo, exec_lo, s51
	s_and_saveexec_b32 s51, s7
	s_delay_alu instid0(SALU_CYCLE_1)
	s_xor_b32 s51, exec_lo, s51
	s_cbranch_execnz .LBB44_1049
.LBB44_17:                              ;   in Loop: Header=BB44_3 Depth=1
	s_and_not1_saveexec_b32 s51, s51
	s_cbranch_execnz .LBB44_1052
.LBB44_18:                              ;   in Loop: Header=BB44_3 Depth=1
	s_or_b32 exec_lo, exec_lo, s51
	s_and_saveexec_b32 s51, s8
	s_delay_alu instid0(SALU_CYCLE_1)
	s_xor_b32 s51, exec_lo, s51
	s_cbranch_execnz .LBB44_1053
.LBB44_19:                              ;   in Loop: Header=BB44_3 Depth=1
	s_and_not1_saveexec_b32 s51, s51
	s_cbranch_execnz .LBB44_1056
.LBB44_20:                              ;   in Loop: Header=BB44_3 Depth=1
	s_or_b32 exec_lo, exec_lo, s51
	s_and_saveexec_b32 s51, s9
	s_delay_alu instid0(SALU_CYCLE_1)
	s_xor_b32 s51, exec_lo, s51
	s_cbranch_execnz .LBB44_1057
.LBB44_21:                              ;   in Loop: Header=BB44_3 Depth=1
	s_and_not1_saveexec_b32 s51, s51
	s_cbranch_execz .LBB44_23
.LBB44_22:                              ;   in Loop: Header=BB44_3 Depth=1
	v_lshl_add_u64 v[42:43], v[22:23], 3, v[0:1]
	global_load_b64 v[42:43], v[42:43], off
	s_wait_loadcnt 0x0
	v_xor_b32_e32 v43, 0x80000000, v43
	ds_store_b64 v85, v[42:43]
.LBB44_23:                              ;   in Loop: Header=BB44_3 Depth=1
	s_or_b32 exec_lo, exec_lo, s51
	s_mov_b32 s51, 0
.LBB44_24:                              ;   in Loop: Header=BB44_3 Depth=1
	s_delay_alu instid0(SALU_CYCLE_1)
	s_and_b32 vcc_lo, exec_lo, s51
	s_cbranch_vccz .LBB44_50
; %bb.25:                               ;   in Loop: Header=BB44_3 Depth=1
	s_mov_b32 s51, exec_lo
	v_readlane_b32 s52, v102, 19
	s_and_b32 s52, s51, s52
	s_delay_alu instid0(SALU_CYCLE_1)
	s_xor_b32 s51, s52, s51
	s_mov_b32 exec_lo, s52
	s_cbranch_execz .LBB44_29
; %bb.26:                               ;   in Loop: Header=BB44_3 Depth=1
	s_mov_b32 s52, exec_lo
	v_readlane_b32 s53, v97, 25
	s_and_b32 s53, s52, s53
	s_delay_alu instid0(SALU_CYCLE_1)
	s_mov_b32 exec_lo, s53
; %bb.27:                               ;   in Loop: Header=BB44_3 Depth=1
	ds_store_b64 v87, v[28:29]
; %bb.28:                               ;   in Loop: Header=BB44_3 Depth=1
	s_or_b32 exec_lo, exec_lo, s52
.LBB44_29:                              ;   in Loop: Header=BB44_3 Depth=1
	s_and_not1_saveexec_b32 s51, s51
	s_cbranch_execz .LBB44_31
; %bb.30:                               ;   in Loop: Header=BB44_3 Depth=1
	v_lshl_add_u64 v[42:43], v[26:27], 3, v[0:1]
	global_load_b64 v[42:43], v[42:43], off
	s_wait_loadcnt 0x0
	v_xor_b32_e32 v43, 0x80000000, v43
	ds_store_b64 v87, v[42:43]
.LBB44_31:                              ;   in Loop: Header=BB44_3 Depth=1
	s_or_b32 exec_lo, exec_lo, s51
	s_delay_alu instid0(SALU_CYCLE_1) | instskip(SKIP_2) | instid1(SALU_CYCLE_1)
	s_mov_b32 s51, exec_lo
	v_readlane_b32 s52, v102, 20
	s_and_b32 s52, s51, s52
	s_xor_b32 s51, s52, s51
	s_mov_b32 exec_lo, s52
	s_cbranch_execz .LBB44_35
; %bb.32:                               ;   in Loop: Header=BB44_3 Depth=1
	s_mov_b32 s52, exec_lo
	v_readlane_b32 s53, v97, 26
	s_and_b32 s53, s52, s53
	s_delay_alu instid0(SALU_CYCLE_1)
	s_mov_b32 exec_lo, s53
; %bb.33:                               ;   in Loop: Header=BB44_3 Depth=1
	ds_store_b64 v83, v[28:29]
; %bb.34:                               ;   in Loop: Header=BB44_3 Depth=1
	s_or_b32 exec_lo, exec_lo, s52
.LBB44_35:                              ;   in Loop: Header=BB44_3 Depth=1
	s_and_not1_saveexec_b32 s51, s51
	s_cbranch_execz .LBB44_37
; %bb.36:                               ;   in Loop: Header=BB44_3 Depth=1
	v_lshl_add_u64 v[42:43], v[24:25], 3, v[0:1]
	global_load_b64 v[42:43], v[42:43], off
	s_wait_loadcnt 0x0
	v_xor_b32_e32 v43, 0x80000000, v43
	ds_store_b64 v83, v[42:43]
.LBB44_37:                              ;   in Loop: Header=BB44_3 Depth=1
	s_or_b32 exec_lo, exec_lo, s51
	s_delay_alu instid0(SALU_CYCLE_1) | instskip(SKIP_2) | instid1(SALU_CYCLE_1)
	s_mov_b32 s51, exec_lo
	v_readlane_b32 s52, v102, 21
	s_and_b32 s52, s51, s52
	;; [unrolled: 28-line block ×3, first 2 shown]
	s_xor_b32 s51, s52, s51
	s_mov_b32 exec_lo, s52
	s_cbranch_execz .LBB44_47
; %bb.44:                               ;   in Loop: Header=BB44_3 Depth=1
	s_mov_b32 s52, exec_lo
	v_readlane_b32 s53, v97, 28
	s_and_b32 s53, s52, s53
	s_delay_alu instid0(SALU_CYCLE_1)
	s_mov_b32 exec_lo, s53
; %bb.45:                               ;   in Loop: Header=BB44_3 Depth=1
	ds_store_b64 v85, v[28:29]
; %bb.46:                               ;   in Loop: Header=BB44_3 Depth=1
	s_or_b32 exec_lo, exec_lo, s52
                                        ; implicit-def: $vgpr0_vgpr1
.LBB44_47:                              ;   in Loop: Header=BB44_3 Depth=1
	s_and_not1_saveexec_b32 s51, s51
	s_cbranch_execz .LBB44_49
; %bb.48:                               ;   in Loop: Header=BB44_3 Depth=1
	v_lshl_add_u64 v[0:1], v[22:23], 3, v[0:1]
	global_load_b64 v[0:1], v[0:1], off
	s_wait_loadcnt 0x0
	v_xor_b32_e32 v1, 0x80000000, v1
	ds_store_b64 v85, v[0:1]
.LBB44_49:                              ;   in Loop: Header=BB44_3 Depth=1
	s_or_b32 exec_lo, exec_lo, s51
.LBB44_50:                              ;   in Loop: Header=BB44_3 Depth=1
	s_delay_alu instid0(SALU_CYCLE_1)
	s_and_not1_b32 vcc_lo, exec_lo, s91
	s_wait_loadcnt_dscnt 0x0
	s_barrier_signal -1
	s_barrier_wait -1
	s_cbranch_vccnz .LBB44_980
; %bb.51:                               ;   in Loop: Header=BB44_3 Depth=1
	s_and_saveexec_b32 s51, s10
	s_cbranch_execz .LBB44_53
; %bb.52:                               ;   in Loop: Header=BB44_3 Depth=1
	ds_load_b64 v[0:1], v9 offset:8
	v_mov_b32_e32 v2, v9
	ds_store_b64 v9, v[30:31]
	s_wait_dscnt 0x1
	ds_store_b128 v9, v[0:3] offset:512
.LBB44_53:                              ;   in Loop: Header=BB44_3 Depth=1
	s_or_b32 exec_lo, exec_lo, s51
	v_mov_b64_e32 v[0:1], 0
	s_wait_dscnt 0x0
	s_barrier_signal -1
	s_barrier_wait -1
	s_and_saveexec_b32 s51, s0
	s_cbranch_execz .LBB44_57
; %bb.54:                               ;   in Loop: Header=BB44_3 Depth=1
	ds_load_b64 v[0:1], v64 offset:16
	ds_load_b64 v[42:43], v65
	s_wait_dscnt 0x0
	v_fma_f64 v[0:1], v[0:1], v[42:43], 0
	s_and_saveexec_b32 s52, s11
	s_cbranch_execz .LBB44_56
; %bb.55:                               ;   in Loop: Header=BB44_3 Depth=1
	ds_load_b64 v[42:43], v7 offset:528
	ds_load_b64 v[44:45], v9 offset:8
	s_wait_dscnt 0x0
	v_fmac_f64_e32 v[0:1], v[42:43], v[44:45]
.LBB44_56:                              ;   in Loop: Header=BB44_3 Depth=1
	s_or_b32 exec_lo, exec_lo, s52
	s_delay_alu instid0(VALU_DEP_1)
	v_xor_b32_e32 v1, 0x80000000, v1
.LBB44_57:                              ;   in Loop: Header=BB44_3 Depth=1
	s_or_b32 exec_lo, exec_lo, s51
	s_and_saveexec_b32 s51, s92
; %bb.58:                               ;   in Loop: Header=BB44_3 Depth=1
	ds_store_b64 v56, v[0:1]
; %bb.59:                               ;   in Loop: Header=BB44_3 Depth=1
	s_or_b32 exec_lo, exec_lo, s51
	s_wait_dscnt 0x0
	s_barrier_signal -1
	s_barrier_wait -1
	s_and_saveexec_b32 s51, s93
	s_cbranch_execz .LBB44_61
; %bb.60:                               ;   in Loop: Header=BB44_3 Depth=1
	ds_load_b64 v[42:43], v9 offset:1048
	ds_load_b64 v[44:45], v56
	s_wait_dscnt 0x0
	v_fmac_f64_e32 v[0:1], v[42:43], v[44:45]
.LBB44_61:                              ;   in Loop: Header=BB44_3 Depth=1
	s_or_b32 exec_lo, exec_lo, s51
	s_barrier_signal -1
	s_barrier_wait -1
	s_and_saveexec_b32 s51, s93
; %bb.62:                               ;   in Loop: Header=BB44_3 Depth=1
	ds_store_b64 v56, v[0:1]
; %bb.63:                               ;   in Loop: Header=BB44_3 Depth=1
	s_or_b32 exec_lo, exec_lo, s51
	s_wait_dscnt 0x0
	s_barrier_signal -1
	s_barrier_wait -1
	s_barrier_signal -1
	s_barrier_wait -1
	s_and_saveexec_b32 s51, s0
; %bb.64:                               ;   in Loop: Header=BB44_3 Depth=1
	v_xor_b32_e32 v1, 0x80000000, v1
	ds_store_b64 v64, v[0:1] offset:16
; %bb.65:                               ;   in Loop: Header=BB44_3 Depth=1
	s_or_b32 exec_lo, exec_lo, s51
	s_wait_dscnt 0x0
	s_barrier_signal -1
	s_barrier_wait -1
	s_barrier_signal -1
	s_barrier_wait -1
	s_and_saveexec_b32 s51, s94
	s_cbranch_execz .LBB44_67
; %bb.66:                               ;   in Loop: Header=BB44_3 Depth=1
	ds_load_b64 v[0:1], v11 offset:16
	s_wait_dscnt 0x0
	ds_store_b64 v7, v[0:1] offset:1024
	ds_load_b64 v[0:1], v11 offset:24
	s_wait_dscnt 0x0
	ds_store_b64 v7, v[0:1] offset:1536
.LBB44_67:                              ;   in Loop: Header=BB44_3 Depth=1
	s_or_b32 exec_lo, exec_lo, s51
	s_wait_dscnt 0x0
	s_barrier_signal -1
	s_barrier_wait -1
	s_and_saveexec_b32 s51, s10
	s_cbranch_execz .LBB44_69
; %bb.68:                               ;   in Loop: Header=BB44_3 Depth=1
	ds_load_b64 v[0:1], v9 offset:1048
	v_mov_b32_e32 v2, v9
	ds_store_b64 v9, v[30:31] offset:1040
	s_wait_dscnt 0x1
	ds_store_b128 v9, v[0:3] offset:1552
.LBB44_69:                              ;   in Loop: Header=BB44_3 Depth=1
	s_or_b32 exec_lo, exec_lo, s51
	v_mov_b64_e32 v[0:1], 0
	s_wait_dscnt 0x0
	s_barrier_signal -1
	s_barrier_wait -1
	s_and_saveexec_b32 s61, s2
	s_cbranch_execz .LBB44_75
; %bb.70:                               ;   in Loop: Header=BB44_3 Depth=1
	ds_load_b64 v[0:1], v68 offset:32
	ds_load_b64 v[42:43], v55
	s_wait_dscnt 0x0
	v_fma_f64 v[0:1], v[0:1], v[42:43], 0
	s_and_saveexec_b32 s51, s12
	s_cbranch_execnz .LBB44_1067
; %bb.71:                               ;   in Loop: Header=BB44_3 Depth=1
	s_or_b32 exec_lo, exec_lo, s51
	s_and_saveexec_b32 s51, s13
	s_cbranch_execnz .LBB44_1068
.LBB44_72:                              ;   in Loop: Header=BB44_3 Depth=1
	s_or_b32 exec_lo, exec_lo, s51
	s_and_saveexec_b32 s51, s0
	s_cbranch_execz .LBB44_74
.LBB44_73:                              ;   in Loop: Header=BB44_3 Depth=1
	ds_load_b64 v[42:43], v48 offset:1568
	ds_load_b64 v[44:45], v9 offset:24
	s_wait_dscnt 0x0
	v_fmac_f64_e32 v[0:1], v[42:43], v[44:45]
.LBB44_74:                              ;   in Loop: Header=BB44_3 Depth=1
	s_or_b32 exec_lo, exec_lo, s51
	s_delay_alu instid0(VALU_DEP_1)
	v_xor_b32_e32 v1, 0x80000000, v1
.LBB44_75:                              ;   in Loop: Header=BB44_3 Depth=1
	s_or_b32 exec_lo, exec_lo, s61
	s_and_saveexec_b32 s51, s95
; %bb.76:                               ;   in Loop: Header=BB44_3 Depth=1
	ds_store_b64 v66, v[0:1]
; %bb.77:                               ;   in Loop: Header=BB44_3 Depth=1
	s_or_b32 exec_lo, exec_lo, s51
	s_wait_dscnt 0x0
	s_barrier_signal -1
	s_barrier_wait -1
	s_and_saveexec_b32 s51, s96
	s_cbranch_execz .LBB44_79
; %bb.78:                               ;   in Loop: Header=BB44_3 Depth=1
	ds_load_b64 v[42:43], v63 offset:2080
	ds_load_b64 v[44:45], v66
	s_wait_dscnt 0x0
	v_fmac_f64_e32 v[0:1], v[42:43], v[44:45]
.LBB44_79:                              ;   in Loop: Header=BB44_3 Depth=1
	s_or_b32 exec_lo, exec_lo, s51
	s_barrier_signal -1
	s_barrier_wait -1
	s_and_saveexec_b32 s51, s97
; %bb.80:                               ;   in Loop: Header=BB44_3 Depth=1
	ds_store_b64 v66, v[0:1]
; %bb.81:                               ;   in Loop: Header=BB44_3 Depth=1
	s_or_b32 exec_lo, exec_lo, s51
	s_wait_dscnt 0x0
	s_barrier_signal -1
	s_barrier_wait -1
	s_and_saveexec_b32 s51, s98
	s_cbranch_execz .LBB44_83
; %bb.82:                               ;   in Loop: Header=BB44_3 Depth=1
	ds_load_b64 v[42:43], v63 offset:2592
	ds_load_b64 v[44:45], v66
	s_wait_dscnt 0x0
	v_fmac_f64_e32 v[0:1], v[42:43], v[44:45]
.LBB44_83:                              ;   in Loop: Header=BB44_3 Depth=1
	s_or_b32 exec_lo, exec_lo, s51
	s_barrier_signal -1
	s_barrier_wait -1
	;; [unrolled: 19-line block ×3, first 2 shown]
	s_and_saveexec_b32 s51, s100
; %bb.88:                               ;   in Loop: Header=BB44_3 Depth=1
	ds_store_b64 v66, v[0:1]
; %bb.89:                               ;   in Loop: Header=BB44_3 Depth=1
	s_or_b32 exec_lo, exec_lo, s51
	s_wait_dscnt 0x0
	s_barrier_signal -1
	s_barrier_wait -1
	s_barrier_signal -1
	s_barrier_wait -1
	s_and_saveexec_b32 s51, s2
; %bb.90:                               ;   in Loop: Header=BB44_3 Depth=1
	v_xor_b32_e32 v1, 0x80000000, v1
	ds_store_b64 v68, v[0:1] offset:32
; %bb.91:                               ;   in Loop: Header=BB44_3 Depth=1
	s_or_b32 exec_lo, exec_lo, s51
	s_wait_dscnt 0x0
	s_barrier_signal -1
	s_barrier_wait -1
	s_barrier_signal -1
	s_barrier_wait -1
	s_and_saveexec_b32 s51, s101
	s_cbranch_execz .LBB44_93
; %bb.92:                               ;   in Loop: Header=BB44_3 Depth=1
	ds_load_b64 v[0:1], v49 offset:32
	s_wait_dscnt 0x0
	ds_store_b64 v50, v[0:1] offset:2048
	ds_load_b64 v[0:1], v49 offset:40
	s_wait_dscnt 0x0
	ds_store_b64 v50, v[0:1] offset:2560
	;; [unrolled: 3-line block ×4, first 2 shown]
.LBB44_93:                              ;   in Loop: Header=BB44_3 Depth=1
	s_or_b32 exec_lo, exec_lo, s51
	s_wait_dscnt 0x0
	s_barrier_signal -1
	s_barrier_wait -1
	s_and_saveexec_b32 s51, s10
	s_cbranch_execz .LBB44_95
; %bb.94:                               ;   in Loop: Header=BB44_3 Depth=1
	ds_load_b64 v[0:1], v9 offset:2088
	v_mov_b32_e32 v2, v9
	ds_store_b64 v9, v[30:31] offset:2080
	s_wait_dscnt 0x1
	ds_store_b128 v9, v[0:3] offset:2592
.LBB44_95:                              ;   in Loop: Header=BB44_3 Depth=1
	s_or_b32 exec_lo, exec_lo, s51
	v_mov_b64_e32 v[0:1], 0
	s_wait_dscnt 0x0
	s_barrier_signal -1
	s_barrier_wait -1
	s_and_saveexec_b32 s51, s0
	s_cbranch_execz .LBB44_99
; %bb.96:                               ;   in Loop: Header=BB44_3 Depth=1
	ds_load_b64 v[0:1], v64 offset:2096
	ds_load_b64 v[42:43], v65 offset:2080
	s_wait_dscnt 0x0
	v_fma_f64 v[0:1], v[0:1], v[42:43], 0
	s_and_saveexec_b32 s52, s11
	s_cbranch_execz .LBB44_98
; %bb.97:                               ;   in Loop: Header=BB44_3 Depth=1
	ds_load_b64 v[42:43], v50 offset:2608
	ds_load_b64 v[44:45], v9 offset:2088
	s_wait_dscnt 0x0
	v_fmac_f64_e32 v[0:1], v[42:43], v[44:45]
.LBB44_98:                              ;   in Loop: Header=BB44_3 Depth=1
	s_or_b32 exec_lo, exec_lo, s52
	s_delay_alu instid0(VALU_DEP_1)
	v_xor_b32_e32 v1, 0x80000000, v1
.LBB44_99:                              ;   in Loop: Header=BB44_3 Depth=1
	s_or_b32 exec_lo, exec_lo, s51
	s_and_saveexec_b32 s51, s92
; %bb.100:                              ;   in Loop: Header=BB44_3 Depth=1
	ds_store_b64 v56, v[0:1]
; %bb.101:                              ;   in Loop: Header=BB44_3 Depth=1
	s_or_b32 exec_lo, exec_lo, s51
	s_wait_dscnt 0x0
	s_barrier_signal -1
	s_barrier_wait -1
	s_and_saveexec_b32 s51, s93
	s_cbranch_execz .LBB44_103
; %bb.102:                              ;   in Loop: Header=BB44_3 Depth=1
	ds_load_b64 v[42:43], v9 offset:3128
	ds_load_b64 v[44:45], v56
	s_wait_dscnt 0x0
	v_fmac_f64_e32 v[0:1], v[42:43], v[44:45]
.LBB44_103:                             ;   in Loop: Header=BB44_3 Depth=1
	s_or_b32 exec_lo, exec_lo, s51
	s_barrier_signal -1
	s_barrier_wait -1
	s_and_saveexec_b32 s51, s93
; %bb.104:                              ;   in Loop: Header=BB44_3 Depth=1
	ds_store_b64 v56, v[0:1]
; %bb.105:                              ;   in Loop: Header=BB44_3 Depth=1
	s_or_b32 exec_lo, exec_lo, s51
	s_wait_dscnt 0x0
	s_barrier_signal -1
	s_barrier_wait -1
	s_barrier_signal -1
	s_barrier_wait -1
	s_and_saveexec_b32 s51, s0
; %bb.106:                              ;   in Loop: Header=BB44_3 Depth=1
	v_xor_b32_e32 v1, 0x80000000, v1
	ds_store_b64 v64, v[0:1] offset:2096
; %bb.107:                              ;   in Loop: Header=BB44_3 Depth=1
	s_or_b32 exec_lo, exec_lo, s51
	s_wait_dscnt 0x0
	s_barrier_signal -1
	s_barrier_wait -1
	s_barrier_signal -1
	s_barrier_wait -1
	s_and_saveexec_b32 s51, s94
	s_cbranch_execz .LBB44_109
; %bb.108:                              ;   in Loop: Header=BB44_3 Depth=1
	ds_load_b64 v[0:1], v51 offset:2096
	s_wait_dscnt 0x0
	ds_store_b64 v50, v[0:1] offset:3104
	ds_load_b64 v[0:1], v51 offset:2104
	s_wait_dscnt 0x0
	ds_store_b64 v50, v[0:1] offset:3616
.LBB44_109:                             ;   in Loop: Header=BB44_3 Depth=1
	s_or_b32 exec_lo, exec_lo, s51
	s_wait_dscnt 0x0
	s_barrier_signal -1
	s_barrier_wait -1
	s_and_saveexec_b32 s51, s10
	s_cbranch_execz .LBB44_111
; %bb.110:                              ;   in Loop: Header=BB44_3 Depth=1
	ds_load_b64 v[0:1], v9 offset:3128
	v_mov_b32_e32 v2, v9
	ds_store_b64 v9, v[30:31] offset:3120
	s_wait_dscnt 0x1
	ds_store_b128 v9, v[0:3] offset:3632
.LBB44_111:                             ;   in Loop: Header=BB44_3 Depth=1
	s_or_b32 exec_lo, exec_lo, s51
	v_mov_b64_e32 v[0:1], 0
	s_wait_dscnt 0x0
	s_barrier_signal -1
	s_barrier_wait -1
	s_and_saveexec_b32 s61, s3
	s_cbranch_execz .LBB44_121
; %bb.112:                              ;   in Loop: Header=BB44_3 Depth=1
	ds_load_b64 v[0:1], v72 offset:64
	ds_load_b64 v[42:43], v58
	s_wait_dscnt 0x0
	v_fma_f64 v[0:1], v[0:1], v[42:43], 0
	s_and_saveexec_b32 s51, s14
	s_cbranch_execnz .LBB44_1069
; %bb.113:                              ;   in Loop: Header=BB44_3 Depth=1
	s_or_b32 exec_lo, exec_lo, s51
	s_and_saveexec_b32 s51, s15
	s_cbranch_execnz .LBB44_1070
.LBB44_114:                             ;   in Loop: Header=BB44_3 Depth=1
	s_or_b32 exec_lo, exec_lo, s51
	s_and_saveexec_b32 s51, s16
	s_cbranch_execnz .LBB44_1071
.LBB44_115:                             ;   in Loop: Header=BB44_3 Depth=1
	s_or_b32 exec_lo, exec_lo, s51
	s_and_saveexec_b32 s51, s17
	s_cbranch_execnz .LBB44_1072
.LBB44_116:                             ;   in Loop: Header=BB44_3 Depth=1
	s_or_b32 exec_lo, exec_lo, s51
	s_and_saveexec_b32 s51, s18
	s_cbranch_execnz .LBB44_1073
.LBB44_117:                             ;   in Loop: Header=BB44_3 Depth=1
	s_or_b32 exec_lo, exec_lo, s51
	s_and_saveexec_b32 s51, s2
	s_cbranch_execnz .LBB44_1074
.LBB44_118:                             ;   in Loop: Header=BB44_3 Depth=1
	s_or_b32 exec_lo, exec_lo, s51
	s_and_saveexec_b32 s51, s13
	s_cbranch_execz .LBB44_120
.LBB44_119:                             ;   in Loop: Header=BB44_3 Depth=1
	ds_load_b64 v[42:43], v52 offset:3648
	ds_load_b64 v[44:45], v9 offset:56
	s_wait_dscnt 0x0
	v_fmac_f64_e32 v[0:1], v[42:43], v[44:45]
.LBB44_120:                             ;   in Loop: Header=BB44_3 Depth=1
	s_or_b32 exec_lo, exec_lo, s51
	s_delay_alu instid0(VALU_DEP_1)
	v_xor_b32_e32 v1, 0x80000000, v1
.LBB44_121:                             ;   in Loop: Header=BB44_3 Depth=1
	s_or_b32 exec_lo, exec_lo, s61
	s_and_saveexec_b32 s51, s102
; %bb.122:                              ;   in Loop: Header=BB44_3 Depth=1
	ds_store_b64 v71, v[0:1]
; %bb.123:                              ;   in Loop: Header=BB44_3 Depth=1
	s_or_b32 exec_lo, exec_lo, s51
	s_wait_dscnt 0x0
	s_barrier_signal -1
	s_barrier_wait -1
	s_and_saveexec_b32 s51, s103
	s_cbranch_execz .LBB44_125
; %bb.124:                              ;   in Loop: Header=BB44_3 Depth=1
	ds_load_b64 v[42:43], v67 offset:4160
	ds_load_b64 v[44:45], v71
	s_wait_dscnt 0x0
	v_fmac_f64_e32 v[0:1], v[42:43], v[44:45]
.LBB44_125:                             ;   in Loop: Header=BB44_3 Depth=1
	s_or_b32 exec_lo, exec_lo, s51
	s_barrier_signal -1
	s_barrier_wait -1
	s_and_saveexec_b32 s51, s104
; %bb.126:                              ;   in Loop: Header=BB44_3 Depth=1
	ds_store_b64 v71, v[0:1]
; %bb.127:                              ;   in Loop: Header=BB44_3 Depth=1
	s_or_b32 exec_lo, exec_lo, s51
	s_wait_dscnt 0x0
	s_barrier_signal -1
	s_barrier_wait -1
	s_and_saveexec_b32 s51, vcc_hi
	s_cbranch_execz .LBB44_129
; %bb.128:                              ;   in Loop: Header=BB44_3 Depth=1
	ds_load_b64 v[42:43], v67 offset:4672
	ds_load_b64 v[44:45], v71
	s_wait_dscnt 0x0
	v_fmac_f64_e32 v[0:1], v[42:43], v[44:45]
.LBB44_129:                             ;   in Loop: Header=BB44_3 Depth=1
	s_or_b32 exec_lo, exec_lo, s51
	s_barrier_signal -1
	s_barrier_wait -1
	s_and_saveexec_b32 s51, s31
; %bb.130:                              ;   in Loop: Header=BB44_3 Depth=1
	ds_store_b64 v71, v[0:1]
; %bb.131:                              ;   in Loop: Header=BB44_3 Depth=1
	s_or_b32 exec_lo, exec_lo, s51
	s_wait_dscnt 0x0
	s_barrier_signal -1
	s_barrier_wait -1
	s_and_saveexec_b32 s51, s33
	s_cbranch_execz .LBB44_133
; %bb.132:                              ;   in Loop: Header=BB44_3 Depth=1
	ds_load_b64 v[42:43], v67 offset:5184
	ds_load_b64 v[44:45], v71
	s_wait_dscnt 0x0
	v_fmac_f64_e32 v[0:1], v[42:43], v[44:45]
.LBB44_133:                             ;   in Loop: Header=BB44_3 Depth=1
	s_or_b32 exec_lo, exec_lo, s51
	s_barrier_signal -1
	s_barrier_wait -1
	s_and_saveexec_b32 s51, s34
; %bb.134:                              ;   in Loop: Header=BB44_3 Depth=1
	ds_store_b64 v71, v[0:1]
; %bb.135:                              ;   in Loop: Header=BB44_3 Depth=1
	s_or_b32 exec_lo, exec_lo, s51
	s_wait_dscnt 0x0
	s_barrier_signal -1
	s_barrier_wait -1
	s_and_saveexec_b32 s51, s35
	;; [unrolled: 19-line block ×5, first 2 shown]
	s_cbranch_execz .LBB44_149
; %bb.148:                              ;   in Loop: Header=BB44_3 Depth=1
	ds_load_b64 v[42:43], v9 offset:7288
	ds_load_b64 v[44:45], v71
	s_wait_dscnt 0x0
	v_fmac_f64_e32 v[0:1], v[42:43], v[44:45]
.LBB44_149:                             ;   in Loop: Header=BB44_3 Depth=1
	s_or_b32 exec_lo, exec_lo, s51
	s_barrier_signal -1
	s_barrier_wait -1
	s_and_saveexec_b32 s51, s41
; %bb.150:                              ;   in Loop: Header=BB44_3 Depth=1
	ds_store_b64 v71, v[0:1]
; %bb.151:                              ;   in Loop: Header=BB44_3 Depth=1
	s_or_b32 exec_lo, exec_lo, s51
	s_wait_dscnt 0x0
	s_barrier_signal -1
	s_barrier_wait -1
	s_barrier_signal -1
	s_barrier_wait -1
	s_and_saveexec_b32 s51, s3
; %bb.152:                              ;   in Loop: Header=BB44_3 Depth=1
	v_xor_b32_e32 v1, 0x80000000, v1
	ds_store_b64 v72, v[0:1] offset:64
; %bb.153:                              ;   in Loop: Header=BB44_3 Depth=1
	s_or_b32 exec_lo, exec_lo, s51
	s_wait_dscnt 0x0
	s_barrier_signal -1
	s_barrier_wait -1
	s_barrier_signal -1
	s_barrier_wait -1
	s_and_saveexec_b32 s51, s42
	s_cbranch_execz .LBB44_155
; %bb.154:                              ;   in Loop: Header=BB44_3 Depth=1
	ds_load_b64 v[0:1], v53 offset:64
	s_wait_dscnt 0x0
	ds_store_b64 v54, v[0:1] offset:4096
	ds_load_b64 v[0:1], v53 offset:72
	s_wait_dscnt 0x0
	ds_store_b64 v54, v[0:1] offset:4608
	;; [unrolled: 3-line block ×8, first 2 shown]
.LBB44_155:                             ;   in Loop: Header=BB44_3 Depth=1
	s_or_b32 exec_lo, exec_lo, s51
	s_wait_dscnt 0x0
	s_barrier_signal -1
	s_barrier_wait -1
	s_and_saveexec_b32 s51, s10
	s_cbranch_execz .LBB44_157
; %bb.156:                              ;   in Loop: Header=BB44_3 Depth=1
	ds_load_b64 v[0:1], v9 offset:4168
	v_mov_b32_e32 v2, v9
	ds_store_b64 v9, v[30:31] offset:4160
	s_wait_dscnt 0x1
	ds_store_b128 v9, v[0:3] offset:4672
.LBB44_157:                             ;   in Loop: Header=BB44_3 Depth=1
	s_or_b32 exec_lo, exec_lo, s51
	v_mov_b64_e32 v[0:1], 0
	s_wait_dscnt 0x0
	s_barrier_signal -1
	s_barrier_wait -1
	s_and_saveexec_b32 s51, s0
	s_cbranch_execz .LBB44_161
; %bb.158:                              ;   in Loop: Header=BB44_3 Depth=1
	ds_load_b64 v[0:1], v64 offset:4176
	ds_load_b64 v[42:43], v65 offset:4160
	s_wait_dscnt 0x0
	v_fma_f64 v[0:1], v[0:1], v[42:43], 0
	s_and_saveexec_b32 s52, s11
	s_cbranch_execz .LBB44_160
; %bb.159:                              ;   in Loop: Header=BB44_3 Depth=1
	ds_load_b64 v[42:43], v54 offset:4688
	ds_load_b64 v[44:45], v9 offset:4168
	s_wait_dscnt 0x0
	v_fmac_f64_e32 v[0:1], v[42:43], v[44:45]
.LBB44_160:                             ;   in Loop: Header=BB44_3 Depth=1
	s_or_b32 exec_lo, exec_lo, s52
	s_delay_alu instid0(VALU_DEP_1)
	v_xor_b32_e32 v1, 0x80000000, v1
.LBB44_161:                             ;   in Loop: Header=BB44_3 Depth=1
	s_or_b32 exec_lo, exec_lo, s51
	s_and_saveexec_b32 s51, s92
; %bb.162:                              ;   in Loop: Header=BB44_3 Depth=1
	ds_store_b64 v56, v[0:1]
; %bb.163:                              ;   in Loop: Header=BB44_3 Depth=1
	s_or_b32 exec_lo, exec_lo, s51
	s_wait_dscnt 0x0
	s_barrier_signal -1
	s_barrier_wait -1
	s_and_saveexec_b32 s51, s93
	s_cbranch_execz .LBB44_165
; %bb.164:                              ;   in Loop: Header=BB44_3 Depth=1
	ds_load_b64 v[42:43], v9 offset:5208
	ds_load_b64 v[44:45], v56
	s_wait_dscnt 0x0
	v_fmac_f64_e32 v[0:1], v[42:43], v[44:45]
.LBB44_165:                             ;   in Loop: Header=BB44_3 Depth=1
	s_or_b32 exec_lo, exec_lo, s51
	s_barrier_signal -1
	s_barrier_wait -1
	s_and_saveexec_b32 s51, s93
; %bb.166:                              ;   in Loop: Header=BB44_3 Depth=1
	ds_store_b64 v56, v[0:1]
; %bb.167:                              ;   in Loop: Header=BB44_3 Depth=1
	s_or_b32 exec_lo, exec_lo, s51
	s_wait_dscnt 0x0
	s_barrier_signal -1
	s_barrier_wait -1
	s_barrier_signal -1
	s_barrier_wait -1
	s_and_saveexec_b32 s51, s0
; %bb.168:                              ;   in Loop: Header=BB44_3 Depth=1
	v_xor_b32_e32 v1, 0x80000000, v1
	ds_store_b64 v64, v[0:1] offset:4176
; %bb.169:                              ;   in Loop: Header=BB44_3 Depth=1
	s_or_b32 exec_lo, exec_lo, s51
	s_wait_dscnt 0x0
	s_barrier_signal -1
	s_barrier_wait -1
	s_barrier_signal -1
	s_barrier_wait -1
	s_and_saveexec_b32 s51, s94
	s_cbranch_execz .LBB44_171
; %bb.170:                              ;   in Loop: Header=BB44_3 Depth=1
	ds_load_b64 v[0:1], v57 offset:4176
	s_wait_dscnt 0x0
	ds_store_b64 v54, v[0:1] offset:5184
	ds_load_b64 v[0:1], v57 offset:4184
	s_wait_dscnt 0x0
	ds_store_b64 v54, v[0:1] offset:5696
.LBB44_171:                             ;   in Loop: Header=BB44_3 Depth=1
	s_or_b32 exec_lo, exec_lo, s51
	s_wait_dscnt 0x0
	s_barrier_signal -1
	s_barrier_wait -1
	s_and_saveexec_b32 s51, s10
	s_cbranch_execz .LBB44_173
; %bb.172:                              ;   in Loop: Header=BB44_3 Depth=1
	ds_load_b64 v[0:1], v9 offset:5208
	v_mov_b32_e32 v2, v9
	ds_store_b64 v9, v[30:31] offset:5200
	s_wait_dscnt 0x1
	ds_store_b128 v9, v[0:3] offset:5712
.LBB44_173:                             ;   in Loop: Header=BB44_3 Depth=1
	s_or_b32 exec_lo, exec_lo, s51
	v_mov_b64_e32 v[0:1], 0
	s_wait_dscnt 0x0
	s_barrier_signal -1
	s_barrier_wait -1
	s_and_saveexec_b32 s61, s2
	s_cbranch_execz .LBB44_179
; %bb.174:                              ;   in Loop: Header=BB44_3 Depth=1
	ds_load_b64 v[0:1], v68 offset:4192
	ds_load_b64 v[42:43], v55 offset:4160
	s_wait_dscnt 0x0
	v_fma_f64 v[0:1], v[0:1], v[42:43], 0
	s_and_saveexec_b32 s51, s12
	s_cbranch_execnz .LBB44_1075
; %bb.175:                              ;   in Loop: Header=BB44_3 Depth=1
	s_or_b32 exec_lo, exec_lo, s51
	s_and_saveexec_b32 s51, s13
	s_cbranch_execnz .LBB44_1076
.LBB44_176:                             ;   in Loop: Header=BB44_3 Depth=1
	s_or_b32 exec_lo, exec_lo, s51
	s_and_saveexec_b32 s51, s0
	s_cbranch_execz .LBB44_178
.LBB44_177:                             ;   in Loop: Header=BB44_3 Depth=1
	ds_load_b64 v[42:43], v59 offset:5728
	ds_load_b64 v[44:45], v9 offset:4184
	s_wait_dscnt 0x0
	v_fmac_f64_e32 v[0:1], v[42:43], v[44:45]
.LBB44_178:                             ;   in Loop: Header=BB44_3 Depth=1
	s_or_b32 exec_lo, exec_lo, s51
	s_delay_alu instid0(VALU_DEP_1)
	v_xor_b32_e32 v1, 0x80000000, v1
.LBB44_179:                             ;   in Loop: Header=BB44_3 Depth=1
	s_or_b32 exec_lo, exec_lo, s61
	s_and_saveexec_b32 s51, s95
; %bb.180:                              ;   in Loop: Header=BB44_3 Depth=1
	ds_store_b64 v66, v[0:1]
; %bb.181:                              ;   in Loop: Header=BB44_3 Depth=1
	s_or_b32 exec_lo, exec_lo, s51
	s_wait_dscnt 0x0
	s_barrier_signal -1
	s_barrier_wait -1
	s_and_saveexec_b32 s51, s96
	s_cbranch_execz .LBB44_183
; %bb.182:                              ;   in Loop: Header=BB44_3 Depth=1
	ds_load_b64 v[42:43], v63 offset:6240
	ds_load_b64 v[44:45], v66
	s_wait_dscnt 0x0
	v_fmac_f64_e32 v[0:1], v[42:43], v[44:45]
.LBB44_183:                             ;   in Loop: Header=BB44_3 Depth=1
	s_or_b32 exec_lo, exec_lo, s51
	s_barrier_signal -1
	s_barrier_wait -1
	s_and_saveexec_b32 s51, s97
; %bb.184:                              ;   in Loop: Header=BB44_3 Depth=1
	ds_store_b64 v66, v[0:1]
; %bb.185:                              ;   in Loop: Header=BB44_3 Depth=1
	s_or_b32 exec_lo, exec_lo, s51
	s_wait_dscnt 0x0
	s_barrier_signal -1
	s_barrier_wait -1
	s_and_saveexec_b32 s51, s98
	s_cbranch_execz .LBB44_187
; %bb.186:                              ;   in Loop: Header=BB44_3 Depth=1
	ds_load_b64 v[42:43], v63 offset:6752
	ds_load_b64 v[44:45], v66
	s_wait_dscnt 0x0
	v_fmac_f64_e32 v[0:1], v[42:43], v[44:45]
.LBB44_187:                             ;   in Loop: Header=BB44_3 Depth=1
	s_or_b32 exec_lo, exec_lo, s51
	s_barrier_signal -1
	s_barrier_wait -1
	;; [unrolled: 19-line block ×3, first 2 shown]
	s_and_saveexec_b32 s51, s100
; %bb.192:                              ;   in Loop: Header=BB44_3 Depth=1
	ds_store_b64 v66, v[0:1]
; %bb.193:                              ;   in Loop: Header=BB44_3 Depth=1
	s_or_b32 exec_lo, exec_lo, s51
	s_wait_dscnt 0x0
	s_barrier_signal -1
	s_barrier_wait -1
	s_barrier_signal -1
	s_barrier_wait -1
	s_and_saveexec_b32 s51, s2
; %bb.194:                              ;   in Loop: Header=BB44_3 Depth=1
	v_xor_b32_e32 v1, 0x80000000, v1
	ds_store_b64 v68, v[0:1] offset:4192
; %bb.195:                              ;   in Loop: Header=BB44_3 Depth=1
	s_or_b32 exec_lo, exec_lo, s51
	s_wait_dscnt 0x0
	s_barrier_signal -1
	s_barrier_wait -1
	s_barrier_signal -1
	s_barrier_wait -1
	s_and_saveexec_b32 s51, s101
	s_cbranch_execz .LBB44_197
; %bb.196:                              ;   in Loop: Header=BB44_3 Depth=1
	ds_load_b64 v[0:1], v61 offset:4192
	s_wait_dscnt 0x0
	ds_store_b64 v79, v[0:1] offset:6208
	ds_load_b64 v[0:1], v61 offset:4200
	s_wait_dscnt 0x0
	ds_store_b64 v79, v[0:1] offset:6720
	ds_load_b64 v[0:1], v61 offset:4208
	s_wait_dscnt 0x0
	ds_store_b64 v79, v[0:1] offset:7232
	ds_load_b64 v[0:1], v61 offset:4216
	s_wait_dscnt 0x0
	ds_store_b64 v79, v[0:1] offset:7744
.LBB44_197:                             ;   in Loop: Header=BB44_3 Depth=1
	s_or_b32 exec_lo, exec_lo, s51
	s_wait_dscnt 0x0
	s_barrier_signal -1
	s_barrier_wait -1
	s_and_saveexec_b32 s51, s10
	s_cbranch_execz .LBB44_199
; %bb.198:                              ;   in Loop: Header=BB44_3 Depth=1
	ds_load_b64 v[0:1], v9 offset:6248
	v_mov_b32_e32 v2, v9
	ds_store_b64 v9, v[30:31] offset:6240
	s_wait_dscnt 0x1
	ds_store_b128 v9, v[0:3] offset:6752
.LBB44_199:                             ;   in Loop: Header=BB44_3 Depth=1
	s_or_b32 exec_lo, exec_lo, s51
	v_mov_b64_e32 v[0:1], 0
	s_wait_dscnt 0x0
	s_barrier_signal -1
	s_barrier_wait -1
	s_and_saveexec_b32 s51, s0
	s_cbranch_execz .LBB44_203
; %bb.200:                              ;   in Loop: Header=BB44_3 Depth=1
	ds_load_b64 v[0:1], v64 offset:6256
	ds_load_b64 v[42:43], v65 offset:6240
	s_wait_dscnt 0x0
	v_fma_f64 v[0:1], v[0:1], v[42:43], 0
	s_and_saveexec_b32 s52, s11
	s_cbranch_execz .LBB44_202
; %bb.201:                              ;   in Loop: Header=BB44_3 Depth=1
	ds_load_b64 v[42:43], v79 offset:6768
	ds_load_b64 v[44:45], v9 offset:6248
	s_wait_dscnt 0x0
	v_fmac_f64_e32 v[0:1], v[42:43], v[44:45]
.LBB44_202:                             ;   in Loop: Header=BB44_3 Depth=1
	s_or_b32 exec_lo, exec_lo, s52
	s_delay_alu instid0(VALU_DEP_1)
	v_xor_b32_e32 v1, 0x80000000, v1
.LBB44_203:                             ;   in Loop: Header=BB44_3 Depth=1
	s_or_b32 exec_lo, exec_lo, s51
	s_and_saveexec_b32 s51, s92
; %bb.204:                              ;   in Loop: Header=BB44_3 Depth=1
	ds_store_b64 v56, v[0:1]
; %bb.205:                              ;   in Loop: Header=BB44_3 Depth=1
	s_or_b32 exec_lo, exec_lo, s51
	s_wait_dscnt 0x0
	s_barrier_signal -1
	s_barrier_wait -1
	s_and_saveexec_b32 s51, s93
	s_cbranch_execz .LBB44_207
; %bb.206:                              ;   in Loop: Header=BB44_3 Depth=1
	ds_load_b64 v[42:43], v9 offset:7288
	ds_load_b64 v[44:45], v56
	s_wait_dscnt 0x0
	v_fmac_f64_e32 v[0:1], v[42:43], v[44:45]
.LBB44_207:                             ;   in Loop: Header=BB44_3 Depth=1
	s_or_b32 exec_lo, exec_lo, s51
	s_barrier_signal -1
	s_barrier_wait -1
	s_and_saveexec_b32 s51, s93
; %bb.208:                              ;   in Loop: Header=BB44_3 Depth=1
	ds_store_b64 v56, v[0:1]
; %bb.209:                              ;   in Loop: Header=BB44_3 Depth=1
	s_or_b32 exec_lo, exec_lo, s51
	s_wait_dscnt 0x0
	s_barrier_signal -1
	s_barrier_wait -1
	s_barrier_signal -1
	s_barrier_wait -1
	s_and_saveexec_b32 s51, s0
; %bb.210:                              ;   in Loop: Header=BB44_3 Depth=1
	v_xor_b32_e32 v1, 0x80000000, v1
	ds_store_b64 v64, v[0:1] offset:6256
; %bb.211:                              ;   in Loop: Header=BB44_3 Depth=1
	s_or_b32 exec_lo, exec_lo, s51
	s_wait_dscnt 0x0
	s_barrier_signal -1
	s_barrier_wait -1
	s_barrier_signal -1
	s_barrier_wait -1
	s_and_saveexec_b32 s51, s94
	s_cbranch_execz .LBB44_213
; %bb.212:                              ;   in Loop: Header=BB44_3 Depth=1
	ds_load_b64 v[0:1], v80 offset:6256
	s_wait_dscnt 0x0
	ds_store_b64 v79, v[0:1] offset:7264
	ds_load_b64 v[0:1], v80 offset:6264
	s_wait_dscnt 0x0
	ds_store_b64 v79, v[0:1] offset:7776
.LBB44_213:                             ;   in Loop: Header=BB44_3 Depth=1
	s_or_b32 exec_lo, exec_lo, s51
	s_wait_dscnt 0x0
	s_barrier_signal -1
	s_barrier_wait -1
	s_and_saveexec_b32 s51, s10
	s_cbranch_execz .LBB44_215
; %bb.214:                              ;   in Loop: Header=BB44_3 Depth=1
	ds_load_b64 v[0:1], v9 offset:7288
	v_mov_b32_e32 v2, v9
	ds_store_b64 v9, v[30:31] offset:7280
	s_wait_dscnt 0x1
	ds_store_b128 v9, v[0:3] offset:7792
.LBB44_215:                             ;   in Loop: Header=BB44_3 Depth=1
	s_or_b32 exec_lo, exec_lo, s51
	v_mov_b64_e32 v[0:1], 0
	s_wait_dscnt 0x0
	s_barrier_signal -1
	s_barrier_wait -1
	s_and_saveexec_b32 s82, s4
	s_cbranch_execz .LBB44_243
; %bb.216:                              ;   in Loop: Header=BB44_3 Depth=1
	ds_load_b64 v[0:1], v75 offset:128
	ds_load_b64 v[42:43], v60
	s_wait_dscnt 0x0
	v_fma_f64 v[0:1], v[0:1], v[42:43], 0
	s_mov_b32 s51, exec_lo
	v_readlane_b32 s52, v102, 23
	s_and_b32 s52, s51, s52
	s_delay_alu instid0(SALU_CYCLE_1)
	s_mov_b32 exec_lo, s52
	s_cbranch_execz .LBB44_218
; %bb.217:                              ;   in Loop: Header=BB44_3 Depth=1
	ds_load_b64 v[42:43], v76 offset:640
	ds_load_b64 v[44:45], v60 offset:8
	s_wait_dscnt 0x0
	v_fmac_f64_e32 v[0:1], v[42:43], v[44:45]
.LBB44_218:                             ;   in Loop: Header=BB44_3 Depth=1
	s_or_b32 exec_lo, exec_lo, s51
	s_delay_alu instid0(SALU_CYCLE_1) | instskip(SKIP_2) | instid1(SALU_CYCLE_1)
	s_mov_b32 s51, exec_lo
	v_readlane_b32 s52, v102, 24
	s_and_b32 s52, s51, s52
	s_mov_b32 exec_lo, s52
	s_cbranch_execz .LBB44_220
; %bb.219:                              ;   in Loop: Header=BB44_3 Depth=1
	ds_load_b64 v[42:43], v76 offset:1152
	ds_load_b64 v[44:45], v60 offset:16
	s_wait_dscnt 0x0
	v_fmac_f64_e32 v[0:1], v[42:43], v[44:45]
.LBB44_220:                             ;   in Loop: Header=BB44_3 Depth=1
	s_or_b32 exec_lo, exec_lo, s51
	s_delay_alu instid0(SALU_CYCLE_1) | instskip(SKIP_2) | instid1(SALU_CYCLE_1)
	s_mov_b32 s51, exec_lo
	v_readlane_b32 s52, v102, 25
	s_and_b32 s52, s51, s52
	;; [unrolled: 13-line block ×10, first 2 shown]
	s_mov_b32 exec_lo, s52
	s_cbranch_execnz .LBB44_1077
; %bb.237:                              ;   in Loop: Header=BB44_3 Depth=1
	s_or_b32 exec_lo, exec_lo, s51
	s_and_saveexec_b32 s51, s3
	s_cbranch_execnz .LBB44_1078
.LBB44_238:                             ;   in Loop: Header=BB44_3 Depth=1
	s_or_b32 exec_lo, exec_lo, s51
	s_and_saveexec_b32 s51, s15
	s_cbranch_execnz .LBB44_1079
.LBB44_239:                             ;   in Loop: Header=BB44_3 Depth=1
	s_or_b32 exec_lo, exec_lo, s51
	s_and_saveexec_b32 s51, s17
	s_cbranch_execnz .LBB44_1080
.LBB44_240:                             ;   in Loop: Header=BB44_3 Depth=1
	s_or_b32 exec_lo, exec_lo, s51
	s_and_saveexec_b32 s51, s2
	s_cbranch_execz .LBB44_242
.LBB44_241:                             ;   in Loop: Header=BB44_3 Depth=1
	ds_load_b64 v[42:43], v7 offset:7808
	ds_load_b64 v[44:45], v9 offset:120
	s_wait_dscnt 0x0
	v_fmac_f64_e32 v[0:1], v[42:43], v[44:45]
.LBB44_242:                             ;   in Loop: Header=BB44_3 Depth=1
	s_or_b32 exec_lo, exec_lo, s51
	s_delay_alu instid0(VALU_DEP_1)
	v_xor_b32_e32 v1, 0x80000000, v1
.LBB44_243:                             ;   in Loop: Header=BB44_3 Depth=1
	s_or_b32 exec_lo, exec_lo, s82
	s_delay_alu instid0(SALU_CYCLE_1) | instskip(SKIP_2) | instid1(SALU_CYCLE_1)
	s_mov_b32 s51, exec_lo
	v_readlane_b32 s52, v102, 2
	s_and_b32 s52, s51, s52
	s_mov_b32 exec_lo, s52
; %bb.244:                              ;   in Loop: Header=BB44_3 Depth=1
	ds_store_b64 v74, v[0:1]
; %bb.245:                              ;   in Loop: Header=BB44_3 Depth=1
	s_or_b32 exec_lo, exec_lo, s51
	s_wait_dscnt 0x0
	s_barrier_signal -1
	s_barrier_wait -1
	s_mov_b32 s51, exec_lo
	v_readlane_b32 s52, v102, 3
	s_and_b32 s52, s51, s52
	s_delay_alu instid0(SALU_CYCLE_1)
	s_mov_b32 exec_lo, s52
	s_cbranch_execz .LBB44_247
; %bb.246:                              ;   in Loop: Header=BB44_3 Depth=1
	ds_load_b64 v[42:43], v70 offset:8320
	ds_load_b64 v[44:45], v74
	s_wait_dscnt 0x0
	v_fmac_f64_e32 v[0:1], v[42:43], v[44:45]
.LBB44_247:                             ;   in Loop: Header=BB44_3 Depth=1
	s_or_b32 exec_lo, exec_lo, s51
	s_barrier_signal -1
	s_barrier_wait -1
	s_mov_b32 s51, exec_lo
	v_readlane_b32 s52, v102, 4
	s_and_b32 s52, s51, s52
	s_delay_alu instid0(SALU_CYCLE_1)
	s_mov_b32 exec_lo, s52
; %bb.248:                              ;   in Loop: Header=BB44_3 Depth=1
	ds_store_b64 v74, v[0:1]
; %bb.249:                              ;   in Loop: Header=BB44_3 Depth=1
	s_or_b32 exec_lo, exec_lo, s51
	s_wait_dscnt 0x0
	s_barrier_signal -1
	s_barrier_wait -1
	s_mov_b32 s51, exec_lo
	v_readlane_b32 s52, v102, 5
	s_and_b32 s52, s51, s52
	s_delay_alu instid0(SALU_CYCLE_1)
	s_mov_b32 exec_lo, s52
	s_cbranch_execz .LBB44_251
; %bb.250:                              ;   in Loop: Header=BB44_3 Depth=1
	ds_load_b64 v[42:43], v70 offset:8832
	ds_load_b64 v[44:45], v74
	s_wait_dscnt 0x0
	v_fmac_f64_e32 v[0:1], v[42:43], v[44:45]
.LBB44_251:                             ;   in Loop: Header=BB44_3 Depth=1
	s_or_b32 exec_lo, exec_lo, s51
	s_barrier_signal -1
	s_barrier_wait -1
	s_mov_b32 s51, exec_lo
	v_readlane_b32 s52, v102, 6
	s_and_b32 s52, s51, s52
	s_delay_alu instid0(SALU_CYCLE_1)
	;; [unrolled: 27-line block ×5, first 2 shown]
	s_mov_b32 exec_lo, s52
; %bb.264:                              ;   in Loop: Header=BB44_3 Depth=1
	ds_store_b64 v74, v[0:1]
; %bb.265:                              ;   in Loop: Header=BB44_3 Depth=1
	s_or_b32 exec_lo, exec_lo, s51
	s_wait_dscnt 0x0
	s_barrier_signal -1
	s_barrier_wait -1
	s_and_saveexec_b32 s51, s54
	s_cbranch_execz .LBB44_267
; %bb.266:                              ;   in Loop: Header=BB44_3 Depth=1
	ds_load_b64 v[42:43], v70 offset:10880
	ds_load_b64 v[44:45], v74
	s_wait_dscnt 0x0
	v_fmac_f64_e32 v[0:1], v[42:43], v[44:45]
.LBB44_267:                             ;   in Loop: Header=BB44_3 Depth=1
	s_or_b32 exec_lo, exec_lo, s51
	s_barrier_signal -1
	s_barrier_wait -1
	s_and_saveexec_b32 s51, s19
; %bb.268:                              ;   in Loop: Header=BB44_3 Depth=1
	ds_store_b64 v74, v[0:1]
; %bb.269:                              ;   in Loop: Header=BB44_3 Depth=1
	s_or_b32 exec_lo, exec_lo, s51
	s_wait_dscnt 0x0
	s_barrier_signal -1
	s_barrier_wait -1
	s_and_saveexec_b32 s51, s21
	s_cbranch_execz .LBB44_271
; %bb.270:                              ;   in Loop: Header=BB44_3 Depth=1
	ds_load_b64 v[42:43], v70 offset:11392
	ds_load_b64 v[44:45], v74
	s_wait_dscnt 0x0
	v_fmac_f64_e32 v[0:1], v[42:43], v[44:45]
.LBB44_271:                             ;   in Loop: Header=BB44_3 Depth=1
	s_or_b32 exec_lo, exec_lo, s51
	s_barrier_signal -1
	s_barrier_wait -1
	s_and_saveexec_b32 s51, s23
	;; [unrolled: 19-line block ×10, first 2 shown]
; %bb.304:                              ;   in Loop: Header=BB44_3 Depth=1
	ds_store_b64 v74, v[0:1]
; %bb.305:                              ;   in Loop: Header=BB44_3 Depth=1
	s_or_b32 exec_lo, exec_lo, s51
	s_wait_dscnt 0x0
	s_barrier_signal -1
	s_barrier_wait -1
	s_barrier_signal -1
	s_barrier_wait -1
	s_and_saveexec_b32 s51, s4
; %bb.306:                              ;   in Loop: Header=BB44_3 Depth=1
	v_xor_b32_e32 v1, 0x80000000, v1
	ds_store_b64 v75, v[0:1] offset:128
; %bb.307:                              ;   in Loop: Header=BB44_3 Depth=1
	s_or_b32 exec_lo, exec_lo, s51
	s_wait_dscnt 0x0
	s_barrier_signal -1
	s_barrier_wait -1
	s_barrier_signal -1
	s_barrier_wait -1
	s_and_saveexec_b32 s51, s48
	s_cbranch_execz .LBB44_309
; %bb.308:                              ;   in Loop: Header=BB44_3 Depth=1
	ds_load_b64 v[0:1], v11 offset:128
	s_wait_dscnt 0x0
	ds_store_b64 v48, v[0:1] offset:8192
	ds_load_b64 v[0:1], v11 offset:136
	s_wait_dscnt 0x0
	ds_store_b64 v48, v[0:1] offset:8704
	;; [unrolled: 3-line block ×16, first 2 shown]
.LBB44_309:                             ;   in Loop: Header=BB44_3 Depth=1
	s_or_b32 exec_lo, exec_lo, s51
	s_wait_dscnt 0x0
	s_barrier_signal -1
	s_barrier_wait -1
	s_and_saveexec_b32 s51, s10
	s_cbranch_execz .LBB44_311
; %bb.310:                              ;   in Loop: Header=BB44_3 Depth=1
	ds_load_b64 v[0:1], v9 offset:8328
	v_mov_b32_e32 v2, v9
	ds_store_b64 v9, v[30:31] offset:8320
	s_wait_dscnt 0x1
	ds_store_b128 v9, v[0:3] offset:8832
.LBB44_311:                             ;   in Loop: Header=BB44_3 Depth=1
	s_or_b32 exec_lo, exec_lo, s51
	v_mov_b64_e32 v[0:1], 0
	s_wait_dscnt 0x0
	s_barrier_signal -1
	s_barrier_wait -1
	s_and_saveexec_b32 s51, s0
	s_cbranch_execz .LBB44_315
; %bb.312:                              ;   in Loop: Header=BB44_3 Depth=1
	ds_load_b64 v[0:1], v64 offset:8336
	ds_load_b64 v[42:43], v65 offset:8320
	s_wait_dscnt 0x0
	v_fma_f64 v[0:1], v[0:1], v[42:43], 0
	s_and_saveexec_b32 s52, s11
	s_cbranch_execz .LBB44_314
; %bb.313:                              ;   in Loop: Header=BB44_3 Depth=1
	ds_load_b64 v[42:43], v7 offset:8848
	ds_load_b64 v[44:45], v9 offset:8328
	s_wait_dscnt 0x0
	v_fmac_f64_e32 v[0:1], v[42:43], v[44:45]
.LBB44_314:                             ;   in Loop: Header=BB44_3 Depth=1
	s_or_b32 exec_lo, exec_lo, s52
	s_delay_alu instid0(VALU_DEP_1)
	v_xor_b32_e32 v1, 0x80000000, v1
.LBB44_315:                             ;   in Loop: Header=BB44_3 Depth=1
	s_or_b32 exec_lo, exec_lo, s51
	s_and_saveexec_b32 s51, s92
; %bb.316:                              ;   in Loop: Header=BB44_3 Depth=1
	ds_store_b64 v56, v[0:1]
; %bb.317:                              ;   in Loop: Header=BB44_3 Depth=1
	s_or_b32 exec_lo, exec_lo, s51
	s_wait_dscnt 0x0
	s_barrier_signal -1
	s_barrier_wait -1
	s_and_saveexec_b32 s51, s93
	s_cbranch_execz .LBB44_319
; %bb.318:                              ;   in Loop: Header=BB44_3 Depth=1
	ds_load_b64 v[42:43], v9 offset:9368
	ds_load_b64 v[44:45], v56
	s_wait_dscnt 0x0
	v_fmac_f64_e32 v[0:1], v[42:43], v[44:45]
.LBB44_319:                             ;   in Loop: Header=BB44_3 Depth=1
	s_or_b32 exec_lo, exec_lo, s51
	s_barrier_signal -1
	s_barrier_wait -1
	s_and_saveexec_b32 s51, s93
; %bb.320:                              ;   in Loop: Header=BB44_3 Depth=1
	ds_store_b64 v56, v[0:1]
; %bb.321:                              ;   in Loop: Header=BB44_3 Depth=1
	s_or_b32 exec_lo, exec_lo, s51
	s_wait_dscnt 0x0
	s_barrier_signal -1
	s_barrier_wait -1
	s_barrier_signal -1
	s_barrier_wait -1
	s_and_saveexec_b32 s51, s0
; %bb.322:                              ;   in Loop: Header=BB44_3 Depth=1
	v_xor_b32_e32 v1, 0x80000000, v1
	ds_store_b64 v64, v[0:1] offset:8336
; %bb.323:                              ;   in Loop: Header=BB44_3 Depth=1
	s_or_b32 exec_lo, exec_lo, s51
	s_wait_dscnt 0x0
	s_barrier_signal -1
	s_barrier_wait -1
	s_barrier_signal -1
	s_barrier_wait -1
	s_and_saveexec_b32 s51, s94
	s_cbranch_execz .LBB44_325
; %bb.324:                              ;   in Loop: Header=BB44_3 Depth=1
	ds_load_b64 v[0:1], v11 offset:8336
	s_wait_dscnt 0x0
	ds_store_b64 v7, v[0:1] offset:9344
	ds_load_b64 v[0:1], v11 offset:8344
	s_wait_dscnt 0x0
	ds_store_b64 v7, v[0:1] offset:9856
.LBB44_325:                             ;   in Loop: Header=BB44_3 Depth=1
	s_or_b32 exec_lo, exec_lo, s51
	s_wait_dscnt 0x0
	s_barrier_signal -1
	s_barrier_wait -1
	s_and_saveexec_b32 s51, s10
	s_cbranch_execz .LBB44_327
; %bb.326:                              ;   in Loop: Header=BB44_3 Depth=1
	ds_load_b64 v[0:1], v9 offset:9368
	v_mov_b32_e32 v2, v9
	ds_store_b64 v9, v[30:31] offset:9360
	s_wait_dscnt 0x1
	ds_store_b128 v9, v[0:3] offset:9872
.LBB44_327:                             ;   in Loop: Header=BB44_3 Depth=1
	s_or_b32 exec_lo, exec_lo, s51
	v_mov_b64_e32 v[0:1], 0
	s_wait_dscnt 0x0
	s_barrier_signal -1
	s_barrier_wait -1
	s_and_saveexec_b32 s61, s2
	s_cbranch_execz .LBB44_333
; %bb.328:                              ;   in Loop: Header=BB44_3 Depth=1
	ds_load_b64 v[0:1], v68 offset:8352
	ds_load_b64 v[42:43], v55 offset:8320
	s_wait_dscnt 0x0
	v_fma_f64 v[0:1], v[0:1], v[42:43], 0
	s_and_saveexec_b32 s51, s12
	s_cbranch_execnz .LBB44_1081
; %bb.329:                              ;   in Loop: Header=BB44_3 Depth=1
	s_or_b32 exec_lo, exec_lo, s51
	s_and_saveexec_b32 s51, s13
	s_cbranch_execnz .LBB44_1082
.LBB44_330:                             ;   in Loop: Header=BB44_3 Depth=1
	s_or_b32 exec_lo, exec_lo, s51
	s_and_saveexec_b32 s51, s0
	s_cbranch_execz .LBB44_332
.LBB44_331:                             ;   in Loop: Header=BB44_3 Depth=1
	ds_load_b64 v[42:43], v48 offset:9888
	ds_load_b64 v[44:45], v9 offset:8344
	s_wait_dscnt 0x0
	v_fmac_f64_e32 v[0:1], v[42:43], v[44:45]
.LBB44_332:                             ;   in Loop: Header=BB44_3 Depth=1
	s_or_b32 exec_lo, exec_lo, s51
	s_delay_alu instid0(VALU_DEP_1)
	v_xor_b32_e32 v1, 0x80000000, v1
.LBB44_333:                             ;   in Loop: Header=BB44_3 Depth=1
	s_or_b32 exec_lo, exec_lo, s61
	s_and_saveexec_b32 s51, s95
; %bb.334:                              ;   in Loop: Header=BB44_3 Depth=1
	ds_store_b64 v66, v[0:1]
; %bb.335:                              ;   in Loop: Header=BB44_3 Depth=1
	s_or_b32 exec_lo, exec_lo, s51
	s_wait_dscnt 0x0
	s_barrier_signal -1
	s_barrier_wait -1
	s_and_saveexec_b32 s51, s96
	s_cbranch_execz .LBB44_337
; %bb.336:                              ;   in Loop: Header=BB44_3 Depth=1
	ds_load_b64 v[42:43], v63 offset:10400
	ds_load_b64 v[44:45], v66
	s_wait_dscnt 0x0
	v_fmac_f64_e32 v[0:1], v[42:43], v[44:45]
.LBB44_337:                             ;   in Loop: Header=BB44_3 Depth=1
	s_or_b32 exec_lo, exec_lo, s51
	s_barrier_signal -1
	s_barrier_wait -1
	s_and_saveexec_b32 s51, s97
; %bb.338:                              ;   in Loop: Header=BB44_3 Depth=1
	ds_store_b64 v66, v[0:1]
; %bb.339:                              ;   in Loop: Header=BB44_3 Depth=1
	s_or_b32 exec_lo, exec_lo, s51
	s_wait_dscnt 0x0
	s_barrier_signal -1
	s_barrier_wait -1
	s_and_saveexec_b32 s51, s98
	s_cbranch_execz .LBB44_341
; %bb.340:                              ;   in Loop: Header=BB44_3 Depth=1
	ds_load_b64 v[42:43], v63 offset:10912
	ds_load_b64 v[44:45], v66
	s_wait_dscnt 0x0
	v_fmac_f64_e32 v[0:1], v[42:43], v[44:45]
.LBB44_341:                             ;   in Loop: Header=BB44_3 Depth=1
	s_or_b32 exec_lo, exec_lo, s51
	s_barrier_signal -1
	s_barrier_wait -1
	;; [unrolled: 19-line block ×3, first 2 shown]
	s_and_saveexec_b32 s51, s100
; %bb.346:                              ;   in Loop: Header=BB44_3 Depth=1
	ds_store_b64 v66, v[0:1]
; %bb.347:                              ;   in Loop: Header=BB44_3 Depth=1
	s_or_b32 exec_lo, exec_lo, s51
	s_wait_dscnt 0x0
	s_barrier_signal -1
	s_barrier_wait -1
	s_barrier_signal -1
	s_barrier_wait -1
	s_and_saveexec_b32 s51, s2
; %bb.348:                              ;   in Loop: Header=BB44_3 Depth=1
	v_xor_b32_e32 v1, 0x80000000, v1
	ds_store_b64 v68, v[0:1] offset:8352
; %bb.349:                              ;   in Loop: Header=BB44_3 Depth=1
	s_or_b32 exec_lo, exec_lo, s51
	s_wait_dscnt 0x0
	s_barrier_signal -1
	s_barrier_wait -1
	s_barrier_signal -1
	s_barrier_wait -1
	s_and_saveexec_b32 s51, s101
	s_cbranch_execz .LBB44_351
; %bb.350:                              ;   in Loop: Header=BB44_3 Depth=1
	ds_load_b64 v[0:1], v49 offset:8352
	s_wait_dscnt 0x0
	ds_store_b64 v50, v[0:1] offset:10368
	ds_load_b64 v[0:1], v49 offset:8360
	s_wait_dscnt 0x0
	ds_store_b64 v50, v[0:1] offset:10880
	ds_load_b64 v[0:1], v49 offset:8368
	s_wait_dscnt 0x0
	ds_store_b64 v50, v[0:1] offset:11392
	ds_load_b64 v[0:1], v49 offset:8376
	s_wait_dscnt 0x0
	ds_store_b64 v50, v[0:1] offset:11904
.LBB44_351:                             ;   in Loop: Header=BB44_3 Depth=1
	s_or_b32 exec_lo, exec_lo, s51
	s_wait_dscnt 0x0
	s_barrier_signal -1
	s_barrier_wait -1
	s_and_saveexec_b32 s51, s10
	s_cbranch_execz .LBB44_353
; %bb.352:                              ;   in Loop: Header=BB44_3 Depth=1
	ds_load_b64 v[0:1], v9 offset:10408
	v_mov_b32_e32 v2, v9
	ds_store_b64 v9, v[30:31] offset:10400
	s_wait_dscnt 0x1
	ds_store_b128 v9, v[0:3] offset:10912
.LBB44_353:                             ;   in Loop: Header=BB44_3 Depth=1
	s_or_b32 exec_lo, exec_lo, s51
	v_mov_b64_e32 v[0:1], 0
	s_wait_dscnt 0x0
	s_barrier_signal -1
	s_barrier_wait -1
	s_and_saveexec_b32 s51, s0
	s_cbranch_execz .LBB44_357
; %bb.354:                              ;   in Loop: Header=BB44_3 Depth=1
	ds_load_b64 v[0:1], v64 offset:10416
	ds_load_b64 v[42:43], v65 offset:10400
	s_wait_dscnt 0x0
	v_fma_f64 v[0:1], v[0:1], v[42:43], 0
	s_and_saveexec_b32 s52, s11
	s_cbranch_execz .LBB44_356
; %bb.355:                              ;   in Loop: Header=BB44_3 Depth=1
	ds_load_b64 v[42:43], v50 offset:10928
	ds_load_b64 v[44:45], v9 offset:10408
	s_wait_dscnt 0x0
	v_fmac_f64_e32 v[0:1], v[42:43], v[44:45]
.LBB44_356:                             ;   in Loop: Header=BB44_3 Depth=1
	s_or_b32 exec_lo, exec_lo, s52
	s_delay_alu instid0(VALU_DEP_1)
	v_xor_b32_e32 v1, 0x80000000, v1
.LBB44_357:                             ;   in Loop: Header=BB44_3 Depth=1
	s_or_b32 exec_lo, exec_lo, s51
	s_and_saveexec_b32 s51, s92
; %bb.358:                              ;   in Loop: Header=BB44_3 Depth=1
	ds_store_b64 v56, v[0:1]
; %bb.359:                              ;   in Loop: Header=BB44_3 Depth=1
	s_or_b32 exec_lo, exec_lo, s51
	s_wait_dscnt 0x0
	s_barrier_signal -1
	s_barrier_wait -1
	s_and_saveexec_b32 s51, s93
	s_cbranch_execz .LBB44_361
; %bb.360:                              ;   in Loop: Header=BB44_3 Depth=1
	ds_load_b64 v[42:43], v9 offset:11448
	ds_load_b64 v[44:45], v56
	s_wait_dscnt 0x0
	v_fmac_f64_e32 v[0:1], v[42:43], v[44:45]
.LBB44_361:                             ;   in Loop: Header=BB44_3 Depth=1
	s_or_b32 exec_lo, exec_lo, s51
	s_barrier_signal -1
	s_barrier_wait -1
	s_and_saveexec_b32 s51, s93
; %bb.362:                              ;   in Loop: Header=BB44_3 Depth=1
	ds_store_b64 v56, v[0:1]
; %bb.363:                              ;   in Loop: Header=BB44_3 Depth=1
	s_or_b32 exec_lo, exec_lo, s51
	s_wait_dscnt 0x0
	s_barrier_signal -1
	s_barrier_wait -1
	s_barrier_signal -1
	s_barrier_wait -1
	s_and_saveexec_b32 s51, s0
; %bb.364:                              ;   in Loop: Header=BB44_3 Depth=1
	v_xor_b32_e32 v1, 0x80000000, v1
	ds_store_b64 v64, v[0:1] offset:10416
; %bb.365:                              ;   in Loop: Header=BB44_3 Depth=1
	s_or_b32 exec_lo, exec_lo, s51
	s_wait_dscnt 0x0
	s_barrier_signal -1
	s_barrier_wait -1
	s_barrier_signal -1
	s_barrier_wait -1
	s_and_saveexec_b32 s51, s94
	s_cbranch_execz .LBB44_367
; %bb.366:                              ;   in Loop: Header=BB44_3 Depth=1
	ds_load_b64 v[0:1], v51 offset:10416
	s_wait_dscnt 0x0
	ds_store_b64 v50, v[0:1] offset:11424
	ds_load_b64 v[0:1], v51 offset:10424
	s_wait_dscnt 0x0
	ds_store_b64 v50, v[0:1] offset:11936
.LBB44_367:                             ;   in Loop: Header=BB44_3 Depth=1
	s_or_b32 exec_lo, exec_lo, s51
	s_wait_dscnt 0x0
	s_barrier_signal -1
	s_barrier_wait -1
	s_and_saveexec_b32 s51, s10
	s_cbranch_execz .LBB44_369
; %bb.368:                              ;   in Loop: Header=BB44_3 Depth=1
	ds_load_b64 v[0:1], v9 offset:11448
	v_mov_b32_e32 v2, v9
	ds_store_b64 v9, v[30:31] offset:11440
	s_wait_dscnt 0x1
	ds_store_b128 v9, v[0:3] offset:11952
.LBB44_369:                             ;   in Loop: Header=BB44_3 Depth=1
	s_or_b32 exec_lo, exec_lo, s51
	v_mov_b64_e32 v[0:1], 0
	s_wait_dscnt 0x0
	s_barrier_signal -1
	s_barrier_wait -1
	s_and_saveexec_b32 s61, s3
	s_cbranch_execz .LBB44_379
; %bb.370:                              ;   in Loop: Header=BB44_3 Depth=1
	ds_load_b64 v[0:1], v72 offset:8384
	ds_load_b64 v[42:43], v58 offset:8320
	s_wait_dscnt 0x0
	v_fma_f64 v[0:1], v[0:1], v[42:43], 0
	s_and_saveexec_b32 s51, s14
	s_cbranch_execnz .LBB44_1083
; %bb.371:                              ;   in Loop: Header=BB44_3 Depth=1
	s_or_b32 exec_lo, exec_lo, s51
	s_and_saveexec_b32 s51, s15
	s_cbranch_execnz .LBB44_1084
.LBB44_372:                             ;   in Loop: Header=BB44_3 Depth=1
	s_or_b32 exec_lo, exec_lo, s51
	s_and_saveexec_b32 s51, s16
	s_cbranch_execnz .LBB44_1085
.LBB44_373:                             ;   in Loop: Header=BB44_3 Depth=1
	s_or_b32 exec_lo, exec_lo, s51
	s_and_saveexec_b32 s51, s17
	s_cbranch_execnz .LBB44_1086
.LBB44_374:                             ;   in Loop: Header=BB44_3 Depth=1
	s_or_b32 exec_lo, exec_lo, s51
	s_and_saveexec_b32 s51, s18
	s_cbranch_execnz .LBB44_1087
.LBB44_375:                             ;   in Loop: Header=BB44_3 Depth=1
	s_or_b32 exec_lo, exec_lo, s51
	s_and_saveexec_b32 s51, s2
	s_cbranch_execnz .LBB44_1088
.LBB44_376:                             ;   in Loop: Header=BB44_3 Depth=1
	s_or_b32 exec_lo, exec_lo, s51
	s_and_saveexec_b32 s51, s13
	s_cbranch_execz .LBB44_378
.LBB44_377:                             ;   in Loop: Header=BB44_3 Depth=1
	ds_load_b64 v[42:43], v52 offset:11968
	ds_load_b64 v[44:45], v9 offset:8376
	s_wait_dscnt 0x0
	v_fmac_f64_e32 v[0:1], v[42:43], v[44:45]
.LBB44_378:                             ;   in Loop: Header=BB44_3 Depth=1
	s_or_b32 exec_lo, exec_lo, s51
	s_delay_alu instid0(VALU_DEP_1)
	v_xor_b32_e32 v1, 0x80000000, v1
.LBB44_379:                             ;   in Loop: Header=BB44_3 Depth=1
	s_or_b32 exec_lo, exec_lo, s61
	s_and_saveexec_b32 s51, s102
; %bb.380:                              ;   in Loop: Header=BB44_3 Depth=1
	ds_store_b64 v71, v[0:1]
; %bb.381:                              ;   in Loop: Header=BB44_3 Depth=1
	s_or_b32 exec_lo, exec_lo, s51
	s_wait_dscnt 0x0
	s_barrier_signal -1
	s_barrier_wait -1
	s_and_saveexec_b32 s51, s103
	s_cbranch_execz .LBB44_383
; %bb.382:                              ;   in Loop: Header=BB44_3 Depth=1
	ds_load_b64 v[42:43], v67 offset:12480
	ds_load_b64 v[44:45], v71
	s_wait_dscnt 0x0
	v_fmac_f64_e32 v[0:1], v[42:43], v[44:45]
.LBB44_383:                             ;   in Loop: Header=BB44_3 Depth=1
	s_or_b32 exec_lo, exec_lo, s51
	s_barrier_signal -1
	s_barrier_wait -1
	s_and_saveexec_b32 s51, s104
; %bb.384:                              ;   in Loop: Header=BB44_3 Depth=1
	ds_store_b64 v71, v[0:1]
; %bb.385:                              ;   in Loop: Header=BB44_3 Depth=1
	s_or_b32 exec_lo, exec_lo, s51
	s_wait_dscnt 0x0
	s_barrier_signal -1
	s_barrier_wait -1
	s_and_saveexec_b32 s51, vcc_hi
	s_cbranch_execz .LBB44_387
; %bb.386:                              ;   in Loop: Header=BB44_3 Depth=1
	ds_load_b64 v[42:43], v67 offset:12992
	ds_load_b64 v[44:45], v71
	s_wait_dscnt 0x0
	v_fmac_f64_e32 v[0:1], v[42:43], v[44:45]
.LBB44_387:                             ;   in Loop: Header=BB44_3 Depth=1
	s_or_b32 exec_lo, exec_lo, s51
	s_barrier_signal -1
	s_barrier_wait -1
	s_and_saveexec_b32 s51, s31
; %bb.388:                              ;   in Loop: Header=BB44_3 Depth=1
	ds_store_b64 v71, v[0:1]
; %bb.389:                              ;   in Loop: Header=BB44_3 Depth=1
	s_or_b32 exec_lo, exec_lo, s51
	s_wait_dscnt 0x0
	s_barrier_signal -1
	s_barrier_wait -1
	s_and_saveexec_b32 s51, s33
	s_cbranch_execz .LBB44_391
; %bb.390:                              ;   in Loop: Header=BB44_3 Depth=1
	ds_load_b64 v[42:43], v67 offset:13504
	ds_load_b64 v[44:45], v71
	s_wait_dscnt 0x0
	v_fmac_f64_e32 v[0:1], v[42:43], v[44:45]
.LBB44_391:                             ;   in Loop: Header=BB44_3 Depth=1
	s_or_b32 exec_lo, exec_lo, s51
	s_barrier_signal -1
	s_barrier_wait -1
	s_and_saveexec_b32 s51, s34
; %bb.392:                              ;   in Loop: Header=BB44_3 Depth=1
	ds_store_b64 v71, v[0:1]
; %bb.393:                              ;   in Loop: Header=BB44_3 Depth=1
	s_or_b32 exec_lo, exec_lo, s51
	s_wait_dscnt 0x0
	s_barrier_signal -1
	s_barrier_wait -1
	s_and_saveexec_b32 s51, s35
	;; [unrolled: 19-line block ×5, first 2 shown]
	s_cbranch_execz .LBB44_407
; %bb.406:                              ;   in Loop: Header=BB44_3 Depth=1
	ds_load_b64 v[42:43], v9 offset:15608
	ds_load_b64 v[44:45], v71
	s_wait_dscnt 0x0
	v_fmac_f64_e32 v[0:1], v[42:43], v[44:45]
.LBB44_407:                             ;   in Loop: Header=BB44_3 Depth=1
	s_or_b32 exec_lo, exec_lo, s51
	s_barrier_signal -1
	s_barrier_wait -1
	s_and_saveexec_b32 s51, s41
; %bb.408:                              ;   in Loop: Header=BB44_3 Depth=1
	ds_store_b64 v71, v[0:1]
; %bb.409:                              ;   in Loop: Header=BB44_3 Depth=1
	s_or_b32 exec_lo, exec_lo, s51
	s_wait_dscnt 0x0
	s_barrier_signal -1
	s_barrier_wait -1
	s_barrier_signal -1
	s_barrier_wait -1
	s_and_saveexec_b32 s51, s3
; %bb.410:                              ;   in Loop: Header=BB44_3 Depth=1
	v_xor_b32_e32 v1, 0x80000000, v1
	ds_store_b64 v72, v[0:1] offset:8384
; %bb.411:                              ;   in Loop: Header=BB44_3 Depth=1
	s_or_b32 exec_lo, exec_lo, s51
	s_wait_dscnt 0x0
	s_barrier_signal -1
	s_barrier_wait -1
	s_barrier_signal -1
	s_barrier_wait -1
	s_and_saveexec_b32 s51, s42
	s_cbranch_execz .LBB44_413
; %bb.412:                              ;   in Loop: Header=BB44_3 Depth=1
	ds_load_b64 v[0:1], v53 offset:8384
	s_wait_dscnt 0x0
	ds_store_b64 v54, v[0:1] offset:12416
	ds_load_b64 v[0:1], v53 offset:8392
	s_wait_dscnt 0x0
	ds_store_b64 v54, v[0:1] offset:12928
	;; [unrolled: 3-line block ×8, first 2 shown]
.LBB44_413:                             ;   in Loop: Header=BB44_3 Depth=1
	s_or_b32 exec_lo, exec_lo, s51
	s_wait_dscnt 0x0
	s_barrier_signal -1
	s_barrier_wait -1
	s_and_saveexec_b32 s51, s10
	s_cbranch_execz .LBB44_415
; %bb.414:                              ;   in Loop: Header=BB44_3 Depth=1
	ds_load_b64 v[0:1], v9 offset:12488
	v_mov_b32_e32 v2, v9
	ds_store_b64 v9, v[30:31] offset:12480
	s_wait_dscnt 0x1
	ds_store_b128 v9, v[0:3] offset:12992
.LBB44_415:                             ;   in Loop: Header=BB44_3 Depth=1
	s_or_b32 exec_lo, exec_lo, s51
	v_mov_b64_e32 v[0:1], 0
	s_wait_dscnt 0x0
	s_barrier_signal -1
	s_barrier_wait -1
	s_and_saveexec_b32 s51, s0
	s_cbranch_execz .LBB44_419
; %bb.416:                              ;   in Loop: Header=BB44_3 Depth=1
	ds_load_b64 v[0:1], v64 offset:12496
	ds_load_b64 v[42:43], v65 offset:12480
	s_wait_dscnt 0x0
	v_fma_f64 v[0:1], v[0:1], v[42:43], 0
	s_and_saveexec_b32 s52, s11
	s_cbranch_execz .LBB44_418
; %bb.417:                              ;   in Loop: Header=BB44_3 Depth=1
	ds_load_b64 v[42:43], v54 offset:13008
	ds_load_b64 v[44:45], v9 offset:12488
	s_wait_dscnt 0x0
	v_fmac_f64_e32 v[0:1], v[42:43], v[44:45]
.LBB44_418:                             ;   in Loop: Header=BB44_3 Depth=1
	s_or_b32 exec_lo, exec_lo, s52
	s_delay_alu instid0(VALU_DEP_1)
	v_xor_b32_e32 v1, 0x80000000, v1
.LBB44_419:                             ;   in Loop: Header=BB44_3 Depth=1
	s_or_b32 exec_lo, exec_lo, s51
	s_and_saveexec_b32 s51, s92
; %bb.420:                              ;   in Loop: Header=BB44_3 Depth=1
	ds_store_b64 v56, v[0:1]
; %bb.421:                              ;   in Loop: Header=BB44_3 Depth=1
	s_or_b32 exec_lo, exec_lo, s51
	s_wait_dscnt 0x0
	s_barrier_signal -1
	s_barrier_wait -1
	s_and_saveexec_b32 s51, s93
	s_cbranch_execz .LBB44_423
; %bb.422:                              ;   in Loop: Header=BB44_3 Depth=1
	ds_load_b64 v[42:43], v9 offset:13528
	ds_load_b64 v[44:45], v56
	s_wait_dscnt 0x0
	v_fmac_f64_e32 v[0:1], v[42:43], v[44:45]
.LBB44_423:                             ;   in Loop: Header=BB44_3 Depth=1
	s_or_b32 exec_lo, exec_lo, s51
	s_barrier_signal -1
	s_barrier_wait -1
	s_and_saveexec_b32 s51, s93
; %bb.424:                              ;   in Loop: Header=BB44_3 Depth=1
	ds_store_b64 v56, v[0:1]
; %bb.425:                              ;   in Loop: Header=BB44_3 Depth=1
	s_or_b32 exec_lo, exec_lo, s51
	s_wait_dscnt 0x0
	s_barrier_signal -1
	s_barrier_wait -1
	s_barrier_signal -1
	s_barrier_wait -1
	s_and_saveexec_b32 s51, s0
; %bb.426:                              ;   in Loop: Header=BB44_3 Depth=1
	v_xor_b32_e32 v1, 0x80000000, v1
	ds_store_b64 v64, v[0:1] offset:12496
; %bb.427:                              ;   in Loop: Header=BB44_3 Depth=1
	s_or_b32 exec_lo, exec_lo, s51
	s_wait_dscnt 0x0
	s_barrier_signal -1
	s_barrier_wait -1
	s_barrier_signal -1
	s_barrier_wait -1
	s_and_saveexec_b32 s51, s94
	s_cbranch_execz .LBB44_429
; %bb.428:                              ;   in Loop: Header=BB44_3 Depth=1
	ds_load_b64 v[0:1], v57 offset:12496
	s_wait_dscnt 0x0
	ds_store_b64 v54, v[0:1] offset:13504
	ds_load_b64 v[0:1], v57 offset:12504
	s_wait_dscnt 0x0
	ds_store_b64 v54, v[0:1] offset:14016
.LBB44_429:                             ;   in Loop: Header=BB44_3 Depth=1
	s_or_b32 exec_lo, exec_lo, s51
	s_wait_dscnt 0x0
	s_barrier_signal -1
	s_barrier_wait -1
	s_and_saveexec_b32 s51, s10
	s_cbranch_execz .LBB44_431
; %bb.430:                              ;   in Loop: Header=BB44_3 Depth=1
	ds_load_b64 v[0:1], v9 offset:13528
	v_mov_b32_e32 v2, v9
	ds_store_b64 v9, v[30:31] offset:13520
	s_wait_dscnt 0x1
	ds_store_b128 v9, v[0:3] offset:14032
.LBB44_431:                             ;   in Loop: Header=BB44_3 Depth=1
	s_or_b32 exec_lo, exec_lo, s51
	v_mov_b64_e32 v[0:1], 0
	s_wait_dscnt 0x0
	s_barrier_signal -1
	s_barrier_wait -1
	s_and_saveexec_b32 s61, s2
	s_cbranch_execz .LBB44_437
; %bb.432:                              ;   in Loop: Header=BB44_3 Depth=1
	ds_load_b64 v[0:1], v68 offset:12512
	ds_load_b64 v[42:43], v55 offset:12480
	s_wait_dscnt 0x0
	v_fma_f64 v[0:1], v[0:1], v[42:43], 0
	s_and_saveexec_b32 s51, s12
	s_cbranch_execnz .LBB44_1089
; %bb.433:                              ;   in Loop: Header=BB44_3 Depth=1
	s_or_b32 exec_lo, exec_lo, s51
	s_and_saveexec_b32 s51, s13
	s_cbranch_execnz .LBB44_1090
.LBB44_434:                             ;   in Loop: Header=BB44_3 Depth=1
	s_or_b32 exec_lo, exec_lo, s51
	s_and_saveexec_b32 s51, s0
	s_cbranch_execz .LBB44_436
.LBB44_435:                             ;   in Loop: Header=BB44_3 Depth=1
	ds_load_b64 v[42:43], v59 offset:14048
	ds_load_b64 v[44:45], v9 offset:12504
	s_wait_dscnt 0x0
	v_fmac_f64_e32 v[0:1], v[42:43], v[44:45]
.LBB44_436:                             ;   in Loop: Header=BB44_3 Depth=1
	s_or_b32 exec_lo, exec_lo, s51
	s_delay_alu instid0(VALU_DEP_1)
	v_xor_b32_e32 v1, 0x80000000, v1
.LBB44_437:                             ;   in Loop: Header=BB44_3 Depth=1
	s_or_b32 exec_lo, exec_lo, s61
	s_and_saveexec_b32 s51, s95
; %bb.438:                              ;   in Loop: Header=BB44_3 Depth=1
	ds_store_b64 v66, v[0:1]
; %bb.439:                              ;   in Loop: Header=BB44_3 Depth=1
	s_or_b32 exec_lo, exec_lo, s51
	s_wait_dscnt 0x0
	s_barrier_signal -1
	s_barrier_wait -1
	s_and_saveexec_b32 s51, s96
	s_cbranch_execz .LBB44_441
; %bb.440:                              ;   in Loop: Header=BB44_3 Depth=1
	ds_load_b64 v[42:43], v63 offset:14560
	ds_load_b64 v[44:45], v66
	s_wait_dscnt 0x0
	v_fmac_f64_e32 v[0:1], v[42:43], v[44:45]
.LBB44_441:                             ;   in Loop: Header=BB44_3 Depth=1
	s_or_b32 exec_lo, exec_lo, s51
	s_barrier_signal -1
	s_barrier_wait -1
	s_and_saveexec_b32 s51, s97
; %bb.442:                              ;   in Loop: Header=BB44_3 Depth=1
	ds_store_b64 v66, v[0:1]
; %bb.443:                              ;   in Loop: Header=BB44_3 Depth=1
	s_or_b32 exec_lo, exec_lo, s51
	s_wait_dscnt 0x0
	s_barrier_signal -1
	s_barrier_wait -1
	s_and_saveexec_b32 s51, s98
	s_cbranch_execz .LBB44_445
; %bb.444:                              ;   in Loop: Header=BB44_3 Depth=1
	ds_load_b64 v[42:43], v63 offset:15072
	ds_load_b64 v[44:45], v66
	s_wait_dscnt 0x0
	v_fmac_f64_e32 v[0:1], v[42:43], v[44:45]
.LBB44_445:                             ;   in Loop: Header=BB44_3 Depth=1
	s_or_b32 exec_lo, exec_lo, s51
	s_barrier_signal -1
	s_barrier_wait -1
	;; [unrolled: 19-line block ×3, first 2 shown]
	s_and_saveexec_b32 s51, s100
; %bb.450:                              ;   in Loop: Header=BB44_3 Depth=1
	ds_store_b64 v66, v[0:1]
; %bb.451:                              ;   in Loop: Header=BB44_3 Depth=1
	s_or_b32 exec_lo, exec_lo, s51
	s_wait_dscnt 0x0
	s_barrier_signal -1
	s_barrier_wait -1
	s_barrier_signal -1
	s_barrier_wait -1
	s_and_saveexec_b32 s51, s2
; %bb.452:                              ;   in Loop: Header=BB44_3 Depth=1
	v_xor_b32_e32 v1, 0x80000000, v1
	ds_store_b64 v68, v[0:1] offset:12512
; %bb.453:                              ;   in Loop: Header=BB44_3 Depth=1
	s_or_b32 exec_lo, exec_lo, s51
	s_wait_dscnt 0x0
	s_barrier_signal -1
	s_barrier_wait -1
	s_barrier_signal -1
	s_barrier_wait -1
	s_and_saveexec_b32 s51, s101
	s_cbranch_execz .LBB44_455
; %bb.454:                              ;   in Loop: Header=BB44_3 Depth=1
	ds_load_b64 v[0:1], v61 offset:12512
	s_wait_dscnt 0x0
	ds_store_b64 v79, v[0:1] offset:14528
	ds_load_b64 v[0:1], v61 offset:12520
	s_wait_dscnt 0x0
	ds_store_b64 v79, v[0:1] offset:15040
	;; [unrolled: 3-line block ×4, first 2 shown]
.LBB44_455:                             ;   in Loop: Header=BB44_3 Depth=1
	s_or_b32 exec_lo, exec_lo, s51
	s_wait_dscnt 0x0
	s_barrier_signal -1
	s_barrier_wait -1
	s_and_saveexec_b32 s51, s10
	s_cbranch_execz .LBB44_457
; %bb.456:                              ;   in Loop: Header=BB44_3 Depth=1
	ds_load_b64 v[0:1], v9 offset:14568
	v_mov_b32_e32 v2, v9
	ds_store_b64 v9, v[30:31] offset:14560
	s_wait_dscnt 0x1
	ds_store_b128 v9, v[0:3] offset:15072
.LBB44_457:                             ;   in Loop: Header=BB44_3 Depth=1
	s_or_b32 exec_lo, exec_lo, s51
	v_mov_b64_e32 v[0:1], 0
	s_wait_dscnt 0x0
	s_barrier_signal -1
	s_barrier_wait -1
	s_and_saveexec_b32 s51, s0
	s_cbranch_execz .LBB44_461
; %bb.458:                              ;   in Loop: Header=BB44_3 Depth=1
	ds_load_b64 v[0:1], v64 offset:14576
	ds_load_b64 v[42:43], v65 offset:14560
	s_wait_dscnt 0x0
	v_fma_f64 v[0:1], v[0:1], v[42:43], 0
	s_and_saveexec_b32 s52, s11
	s_cbranch_execz .LBB44_460
; %bb.459:                              ;   in Loop: Header=BB44_3 Depth=1
	ds_load_b64 v[42:43], v79 offset:15088
	ds_load_b64 v[44:45], v9 offset:14568
	s_wait_dscnt 0x0
	v_fmac_f64_e32 v[0:1], v[42:43], v[44:45]
.LBB44_460:                             ;   in Loop: Header=BB44_3 Depth=1
	s_or_b32 exec_lo, exec_lo, s52
	s_delay_alu instid0(VALU_DEP_1)
	v_xor_b32_e32 v1, 0x80000000, v1
.LBB44_461:                             ;   in Loop: Header=BB44_3 Depth=1
	s_or_b32 exec_lo, exec_lo, s51
	s_and_saveexec_b32 s51, s92
; %bb.462:                              ;   in Loop: Header=BB44_3 Depth=1
	ds_store_b64 v56, v[0:1]
; %bb.463:                              ;   in Loop: Header=BB44_3 Depth=1
	s_or_b32 exec_lo, exec_lo, s51
	s_wait_dscnt 0x0
	s_barrier_signal -1
	s_barrier_wait -1
	s_and_saveexec_b32 s51, s93
	s_cbranch_execz .LBB44_465
; %bb.464:                              ;   in Loop: Header=BB44_3 Depth=1
	ds_load_b64 v[42:43], v9 offset:15608
	ds_load_b64 v[44:45], v56
	s_wait_dscnt 0x0
	v_fmac_f64_e32 v[0:1], v[42:43], v[44:45]
.LBB44_465:                             ;   in Loop: Header=BB44_3 Depth=1
	s_or_b32 exec_lo, exec_lo, s51
	s_barrier_signal -1
	s_barrier_wait -1
	s_and_saveexec_b32 s51, s93
; %bb.466:                              ;   in Loop: Header=BB44_3 Depth=1
	ds_store_b64 v56, v[0:1]
; %bb.467:                              ;   in Loop: Header=BB44_3 Depth=1
	s_or_b32 exec_lo, exec_lo, s51
	s_wait_dscnt 0x0
	s_barrier_signal -1
	s_barrier_wait -1
	s_barrier_signal -1
	s_barrier_wait -1
	s_and_saveexec_b32 s51, s0
; %bb.468:                              ;   in Loop: Header=BB44_3 Depth=1
	v_xor_b32_e32 v1, 0x80000000, v1
	ds_store_b64 v64, v[0:1] offset:14576
; %bb.469:                              ;   in Loop: Header=BB44_3 Depth=1
	s_or_b32 exec_lo, exec_lo, s51
	s_wait_dscnt 0x0
	s_barrier_signal -1
	s_barrier_wait -1
	s_barrier_signal -1
	s_barrier_wait -1
	s_and_saveexec_b32 s51, s94
	s_cbranch_execz .LBB44_471
; %bb.470:                              ;   in Loop: Header=BB44_3 Depth=1
	ds_load_b64 v[0:1], v80 offset:14576
	s_wait_dscnt 0x0
	ds_store_b64 v79, v[0:1] offset:15584
	ds_load_b64 v[0:1], v80 offset:14584
	s_wait_dscnt 0x0
	ds_store_b64 v79, v[0:1] offset:16096
.LBB44_471:                             ;   in Loop: Header=BB44_3 Depth=1
	s_or_b32 exec_lo, exec_lo, s51
	s_wait_dscnt 0x0
	s_barrier_signal -1
	s_barrier_wait -1
	s_and_saveexec_b32 s51, s10
	s_cbranch_execz .LBB44_473
; %bb.472:                              ;   in Loop: Header=BB44_3 Depth=1
	ds_load_b64 v[0:1], v9 offset:15608
	v_mov_b32_e32 v2, v9
	ds_store_b64 v9, v[30:31] offset:15600
	s_wait_dscnt 0x1
	ds_store_b128 v9, v[0:3] offset:16112
.LBB44_473:                             ;   in Loop: Header=BB44_3 Depth=1
	s_or_b32 exec_lo, exec_lo, s51
	v_mov_b64_e32 v[0:1], 0
	s_wait_dscnt 0x0
	s_barrier_signal -1
	s_barrier_wait -1
	s_and_saveexec_b32 s82, s30
	s_cbranch_execz .LBB44_535
; %bb.474:                              ;   in Loop: Header=BB44_3 Depth=1
	v_add_nc_u32_e32 v2, v78, v62
	ds_load_b64 v[0:1], v81 offset:256
	ds_load_b64 v[42:43], v2
	s_wait_dscnt 0x0
	v_fma_f64 v[0:1], v[0:1], v[42:43], 0
	s_mov_b32 s51, exec_lo
	v_readlane_b32 s52, v97, 2
	s_and_b32 s52, s51, s52
	s_delay_alu instid0(SALU_CYCLE_1)
	s_mov_b32 exec_lo, s52
	s_cbranch_execz .LBB44_476
; %bb.475:                              ;   in Loop: Header=BB44_3 Depth=1
	ds_load_b64 v[42:43], v81 offset:768
	ds_load_b64 v[44:45], v2 offset:8
	s_wait_dscnt 0x0
	v_fmac_f64_e32 v[0:1], v[42:43], v[44:45]
.LBB44_476:                             ;   in Loop: Header=BB44_3 Depth=1
	s_or_b32 exec_lo, exec_lo, s51
	s_delay_alu instid0(SALU_CYCLE_1) | instskip(SKIP_2) | instid1(SALU_CYCLE_1)
	s_mov_b32 s51, exec_lo
	v_readlane_b32 s52, v97, 3
	s_and_b32 s52, s51, s52
	s_mov_b32 exec_lo, s52
	s_cbranch_execz .LBB44_478
; %bb.477:                              ;   in Loop: Header=BB44_3 Depth=1
	ds_load_b64 v[42:43], v81 offset:1280
	ds_load_b64 v[44:45], v2 offset:16
	s_wait_dscnt 0x0
	v_fmac_f64_e32 v[0:1], v[42:43], v[44:45]
.LBB44_478:                             ;   in Loop: Header=BB44_3 Depth=1
	s_or_b32 exec_lo, exec_lo, s51
	s_delay_alu instid0(SALU_CYCLE_1) | instskip(SKIP_2) | instid1(SALU_CYCLE_1)
	s_mov_b32 s51, exec_lo
	v_readlane_b32 s52, v97, 4
	s_and_b32 s52, s51, s52
	;; [unrolled: 13-line block ×22, first 2 shown]
	s_mov_b32 exec_lo, s52
	s_cbranch_execz .LBB44_520
; %bb.519:                              ;   in Loop: Header=BB44_3 Depth=1
	ds_load_b64 v[42:43], v81 offset:12032
	ds_load_b64 v[44:45], v2 offset:184
	s_wait_dscnt 0x0
	v_fmac_f64_e32 v[0:1], v[42:43], v[44:45]
.LBB44_520:                             ;   in Loop: Header=BB44_3 Depth=1
	s_or_b32 exec_lo, exec_lo, s51
	s_and_saveexec_b32 s51, s4
	s_cbranch_execz .LBB44_522
; %bb.521:                              ;   in Loop: Header=BB44_3 Depth=1
	ds_load_b64 v[42:43], v81 offset:12544
	ds_load_b64 v[44:45], v2 offset:192
	s_wait_dscnt 0x0
	v_fmac_f64_e32 v[0:1], v[42:43], v[44:45]
.LBB44_522:                             ;   in Loop: Header=BB44_3 Depth=1
	s_or_b32 exec_lo, exec_lo, s51
	s_delay_alu instid0(SALU_CYCLE_1) | instskip(SKIP_2) | instid1(SALU_CYCLE_1)
	s_mov_b32 s51, exec_lo
	v_readlane_b32 s52, v102, 24
	s_and_b32 s52, s51, s52
	s_mov_b32 exec_lo, s52
	s_cbranch_execz .LBB44_524
; %bb.523:                              ;   in Loop: Header=BB44_3 Depth=1
	ds_load_b64 v[42:43], v81 offset:13056
	ds_load_b64 v[44:45], v2 offset:200
	s_wait_dscnt 0x0
	v_fmac_f64_e32 v[0:1], v[42:43], v[44:45]
.LBB44_524:                             ;   in Loop: Header=BB44_3 Depth=1
	s_or_b32 exec_lo, exec_lo, s51
	s_delay_alu instid0(SALU_CYCLE_1) | instskip(SKIP_2) | instid1(SALU_CYCLE_1)
	s_mov_b32 s51, exec_lo
	v_readlane_b32 s52, v102, 26
	s_and_b32 s52, s51, s52
	s_mov_b32 exec_lo, s52
	;; [unrolled: 13-line block ×5, first 2 shown]
	s_cbranch_execnz .LBB44_1091
; %bb.531:                              ;   in Loop: Header=BB44_3 Depth=1
	s_or_b32 exec_lo, exec_lo, s51
	s_and_saveexec_b32 s51, s3
	s_cbranch_execnz .LBB44_1092
.LBB44_532:                             ;   in Loop: Header=BB44_3 Depth=1
	s_or_b32 exec_lo, exec_lo, s51
	s_and_saveexec_b32 s51, s17
	s_cbranch_execz .LBB44_534
.LBB44_533:                             ;   in Loop: Header=BB44_3 Depth=1
	ds_load_b64 v[42:43], v7 offset:16128
	ds_load_b64 v[44:45], v9 offset:248
	s_wait_dscnt 0x0
	v_fmac_f64_e32 v[0:1], v[42:43], v[44:45]
.LBB44_534:                             ;   in Loop: Header=BB44_3 Depth=1
	s_or_b32 exec_lo, exec_lo, s51
	s_delay_alu instid0(VALU_DEP_1)
	v_xor_b32_e32 v1, 0x80000000, v1
.LBB44_535:                             ;   in Loop: Header=BB44_3 Depth=1
	s_or_b32 exec_lo, exec_lo, s82
	v_dual_mov_b32 v2, v77 :: v_dual_mov_b32 v5, v88
	s_mov_b32 s61, 0
	s_branch .LBB44_537
.LBB44_536:                             ;   in Loop: Header=BB44_537 Depth=2
	s_or_b32 exec_lo, exec_lo, s51
	v_add_nc_u32_e32 v5, 0x800, v5
	v_add_nc_u32_e32 v2, -4, v2
	s_add_co_i32 s61, s61, 4
	s_delay_alu instid0(SALU_CYCLE_1)
	s_cmp_eq_u32 s61, 32
	s_barrier_signal -1
	s_barrier_wait -1
	s_cbranch_scc1 .LBB44_553
.LBB44_537:                             ;   Parent Loop BB44_3 Depth=1
                                        ; =>  This Inner Loop Header: Depth=2
	s_delay_alu instid0(VALU_DEP_1) | instskip(SKIP_1) | instid1(SALU_CYCLE_1)
	v_cmp_eq_u32_e32 vcc_lo, 0, v2
	s_and_b32 s52, s86, vcc_lo
	s_and_saveexec_b32 s51, s52
; %bb.538:                              ;   in Loop: Header=BB44_537 Depth=2
	ds_store_b64 v90, v[0:1]
; %bb.539:                              ;   in Loop: Header=BB44_537 Depth=2
	s_or_b32 exec_lo, exec_lo, s51
	v_cmp_lt_u32_e32 vcc_lo, s61, v77
	s_wait_dscnt 0x0
	s_barrier_signal -1
	s_barrier_wait -1
	s_and_b32 s52, s86, vcc_lo
	s_delay_alu instid0(SALU_CYCLE_1)
	s_and_saveexec_b32 s51, s52
	s_cbranch_execz .LBB44_541
; %bb.540:                              ;   in Loop: Header=BB44_537 Depth=2
	ds_load_b64 v[42:43], v5
	ds_load_b64 v[44:45], v90
	s_wait_dscnt 0x0
	v_fmac_f64_e32 v[0:1], v[42:43], v[44:45]
.LBB44_541:                             ;   in Loop: Header=BB44_537 Depth=2
	s_or_b32 exec_lo, exec_lo, s51
	s_or_b32 s51, s61, 1
	s_delay_alu instid0(SALU_CYCLE_1) | instskip(SKIP_3) | instid1(SALU_CYCLE_1)
	v_cmp_eq_u32_e32 vcc_lo, s51, v77
	s_barrier_signal -1
	s_barrier_wait -1
	s_and_b32 s53, s86, vcc_lo
	s_and_saveexec_b32 s52, s53
; %bb.542:                              ;   in Loop: Header=BB44_537 Depth=2
	ds_store_b64 v90, v[0:1]
; %bb.543:                              ;   in Loop: Header=BB44_537 Depth=2
	s_or_b32 exec_lo, exec_lo, s52
	v_cmp_lt_u32_e32 vcc_lo, s51, v77
	s_wait_dscnt 0x0
	s_barrier_signal -1
	s_barrier_wait -1
	s_and_b32 s52, s86, vcc_lo
	s_delay_alu instid0(SALU_CYCLE_1)
	s_and_saveexec_b32 s51, s52
	s_cbranch_execz .LBB44_545
; %bb.544:                              ;   in Loop: Header=BB44_537 Depth=2
	ds_load_b64 v[42:43], v5 offset:512
	ds_load_b64 v[44:45], v90
	s_wait_dscnt 0x0
	v_fmac_f64_e32 v[0:1], v[42:43], v[44:45]
.LBB44_545:                             ;   in Loop: Header=BB44_537 Depth=2
	s_or_b32 exec_lo, exec_lo, s51
	s_or_b32 s51, s61, 2
	s_delay_alu instid0(SALU_CYCLE_1) | instskip(SKIP_3) | instid1(SALU_CYCLE_1)
	v_cmp_eq_u32_e32 vcc_lo, s51, v77
	s_barrier_signal -1
	s_barrier_wait -1
	s_and_b32 s53, s86, vcc_lo
	s_and_saveexec_b32 s52, s53
; %bb.546:                              ;   in Loop: Header=BB44_537 Depth=2
	ds_store_b64 v90, v[0:1]
; %bb.547:                              ;   in Loop: Header=BB44_537 Depth=2
	s_or_b32 exec_lo, exec_lo, s52
	v_cmp_lt_u32_e32 vcc_lo, s51, v77
	s_wait_dscnt 0x0
	s_barrier_signal -1
	s_barrier_wait -1
	s_and_b32 s52, s86, vcc_lo
	s_delay_alu instid0(SALU_CYCLE_1)
	s_and_saveexec_b32 s51, s52
	s_cbranch_execz .LBB44_549
; %bb.548:                              ;   in Loop: Header=BB44_537 Depth=2
	ds_load_b64 v[42:43], v5 offset:1024
	ds_load_b64 v[44:45], v90
	s_wait_dscnt 0x0
	v_fmac_f64_e32 v[0:1], v[42:43], v[44:45]
.LBB44_549:                             ;   in Loop: Header=BB44_537 Depth=2
	s_or_b32 exec_lo, exec_lo, s51
	s_or_b32 s51, s61, 3
	s_delay_alu instid0(SALU_CYCLE_1) | instskip(SKIP_3) | instid1(SALU_CYCLE_1)
	v_cmp_eq_u32_e32 vcc_lo, s51, v77
	s_barrier_signal -1
	s_barrier_wait -1
	s_and_b32 s53, s86, vcc_lo
	s_and_saveexec_b32 s52, s53
; %bb.550:                              ;   in Loop: Header=BB44_537 Depth=2
	ds_store_b64 v90, v[0:1]
; %bb.551:                              ;   in Loop: Header=BB44_537 Depth=2
	s_or_b32 exec_lo, exec_lo, s52
	v_cmp_lt_u32_e32 vcc_lo, s51, v77
	s_wait_dscnt 0x0
	s_barrier_signal -1
	s_barrier_wait -1
	s_and_b32 s52, s86, vcc_lo
	s_delay_alu instid0(SALU_CYCLE_1)
	s_and_saveexec_b32 s51, s52
	s_cbranch_execz .LBB44_536
; %bb.552:                              ;   in Loop: Header=BB44_537 Depth=2
	ds_load_b64 v[42:43], v5 offset:1536
	ds_load_b64 v[44:45], v90
	s_wait_dscnt 0x0
	v_fmac_f64_e32 v[0:1], v[42:43], v[44:45]
	s_branch .LBB44_536
.LBB44_553:                             ;   in Loop: Header=BB44_3 Depth=1
	s_and_saveexec_b32 s51, s30
; %bb.554:                              ;   in Loop: Header=BB44_3 Depth=1
	s_delay_alu instid0(VALU_DEP_3)
	v_xor_b32_e32 v1, 0x80000000, v1
	ds_store_b64 v81, v[0:1] offset:256
; %bb.555:                              ;   in Loop: Header=BB44_3 Depth=1
	s_or_b32 exec_lo, exec_lo, s51
	s_wait_dscnt 0x0
	s_barrier_signal -1
	s_barrier_wait -1
	s_barrier_signal -1
	s_barrier_wait -1
	s_mov_b32 s61, exec_lo
	v_readlane_b32 s51, v102, 13
	s_and_b32 s51, s61, s51
	s_delay_alu instid0(SALU_CYCLE_1)
	s_mov_b32 exec_lo, s51
	s_cbranch_execz .LBB44_557
; %bb.556:                              ;   in Loop: Header=BB44_3 Depth=1
	ds_load_b64 v[0:1], v11 offset:256
	s_wait_dscnt 0x0
	ds_store_b64 v48, v[0:1] offset:16384
	ds_load_b64 v[0:1], v11 offset:264
	s_wait_dscnt 0x0
	ds_store_b64 v48, v[0:1] offset:16896
	;; [unrolled: 3-line block ×32, first 2 shown]
.LBB44_557:                             ;   in Loop: Header=BB44_3 Depth=1
	s_or_b32 exec_lo, exec_lo, s61
	s_wait_dscnt 0x0
	s_barrier_signal -1
	s_barrier_wait -1
	s_and_saveexec_b32 s51, s10
	s_cbranch_execz .LBB44_559
; %bb.558:                              ;   in Loop: Header=BB44_3 Depth=1
	ds_load_b64 v[0:1], v9 offset:16648
	v_mov_b32_e32 v2, v9
	ds_store_b64 v9, v[30:31] offset:16640
	s_wait_dscnt 0x1
	ds_store_b128 v9, v[0:3] offset:17152
.LBB44_559:                             ;   in Loop: Header=BB44_3 Depth=1
	s_or_b32 exec_lo, exec_lo, s51
	v_mov_b64_e32 v[0:1], 0
	s_wait_dscnt 0x0
	s_barrier_signal -1
	s_barrier_wait -1
	s_and_saveexec_b32 s51, s0
	s_cbranch_execz .LBB44_563
; %bb.560:                              ;   in Loop: Header=BB44_3 Depth=1
	ds_load_b64 v[0:1], v64 offset:16656
	ds_load_b64 v[42:43], v65 offset:16640
	s_wait_dscnt 0x0
	v_fma_f64 v[0:1], v[0:1], v[42:43], 0
	s_and_saveexec_b32 s52, s11
	s_cbranch_execz .LBB44_562
; %bb.561:                              ;   in Loop: Header=BB44_3 Depth=1
	ds_load_b64 v[42:43], v7 offset:17168
	ds_load_b64 v[44:45], v9 offset:16648
	s_wait_dscnt 0x0
	v_fmac_f64_e32 v[0:1], v[42:43], v[44:45]
.LBB44_562:                             ;   in Loop: Header=BB44_3 Depth=1
	s_or_b32 exec_lo, exec_lo, s52
	s_delay_alu instid0(VALU_DEP_1)
	v_xor_b32_e32 v1, 0x80000000, v1
.LBB44_563:                             ;   in Loop: Header=BB44_3 Depth=1
	s_or_b32 exec_lo, exec_lo, s51
	s_and_saveexec_b32 s51, s92
; %bb.564:                              ;   in Loop: Header=BB44_3 Depth=1
	ds_store_b64 v56, v[0:1]
; %bb.565:                              ;   in Loop: Header=BB44_3 Depth=1
	s_or_b32 exec_lo, exec_lo, s51
	s_wait_dscnt 0x0
	s_barrier_signal -1
	s_barrier_wait -1
	s_and_saveexec_b32 s51, s93
	s_cbranch_execz .LBB44_567
; %bb.566:                              ;   in Loop: Header=BB44_3 Depth=1
	ds_load_b64 v[42:43], v9 offset:17688
	ds_load_b64 v[44:45], v56
	s_wait_dscnt 0x0
	v_fmac_f64_e32 v[0:1], v[42:43], v[44:45]
.LBB44_567:                             ;   in Loop: Header=BB44_3 Depth=1
	s_or_b32 exec_lo, exec_lo, s51
	s_barrier_signal -1
	s_barrier_wait -1
	s_and_saveexec_b32 s51, s93
; %bb.568:                              ;   in Loop: Header=BB44_3 Depth=1
	ds_store_b64 v56, v[0:1]
; %bb.569:                              ;   in Loop: Header=BB44_3 Depth=1
	s_or_b32 exec_lo, exec_lo, s51
	s_wait_dscnt 0x0
	s_barrier_signal -1
	s_barrier_wait -1
	s_barrier_signal -1
	s_barrier_wait -1
	s_and_saveexec_b32 s51, s0
; %bb.570:                              ;   in Loop: Header=BB44_3 Depth=1
	v_xor_b32_e32 v1, 0x80000000, v1
	ds_store_b64 v64, v[0:1] offset:16656
; %bb.571:                              ;   in Loop: Header=BB44_3 Depth=1
	s_or_b32 exec_lo, exec_lo, s51
	s_wait_dscnt 0x0
	s_barrier_signal -1
	s_barrier_wait -1
	s_barrier_signal -1
	s_barrier_wait -1
	s_and_saveexec_b32 s51, s94
	s_cbranch_execz .LBB44_573
; %bb.572:                              ;   in Loop: Header=BB44_3 Depth=1
	ds_load_b64 v[0:1], v11 offset:16656
	s_wait_dscnt 0x0
	ds_store_b64 v7, v[0:1] offset:17664
	ds_load_b64 v[0:1], v11 offset:16664
	s_wait_dscnt 0x0
	ds_store_b64 v7, v[0:1] offset:18176
.LBB44_573:                             ;   in Loop: Header=BB44_3 Depth=1
	s_or_b32 exec_lo, exec_lo, s51
	s_wait_dscnt 0x0
	s_barrier_signal -1
	s_barrier_wait -1
	s_and_saveexec_b32 s51, s10
	s_cbranch_execz .LBB44_575
; %bb.574:                              ;   in Loop: Header=BB44_3 Depth=1
	ds_load_b64 v[0:1], v9 offset:17688
	v_mov_b32_e32 v2, v9
	ds_store_b64 v9, v[30:31] offset:17680
	s_wait_dscnt 0x1
	ds_store_b128 v9, v[0:3] offset:18192
.LBB44_575:                             ;   in Loop: Header=BB44_3 Depth=1
	s_or_b32 exec_lo, exec_lo, s51
	v_mov_b64_e32 v[0:1], 0
	s_wait_dscnt 0x0
	s_barrier_signal -1
	s_barrier_wait -1
	s_and_saveexec_b32 s61, s2
	s_cbranch_execz .LBB44_581
; %bb.576:                              ;   in Loop: Header=BB44_3 Depth=1
	ds_load_b64 v[0:1], v68 offset:16672
	ds_load_b64 v[42:43], v55 offset:16640
	s_wait_dscnt 0x0
	v_fma_f64 v[0:1], v[0:1], v[42:43], 0
	s_and_saveexec_b32 s51, s12
	s_cbranch_execnz .LBB44_1093
; %bb.577:                              ;   in Loop: Header=BB44_3 Depth=1
	s_or_b32 exec_lo, exec_lo, s51
	s_and_saveexec_b32 s51, s13
	s_cbranch_execnz .LBB44_1094
.LBB44_578:                             ;   in Loop: Header=BB44_3 Depth=1
	s_or_b32 exec_lo, exec_lo, s51
	s_and_saveexec_b32 s51, s0
	s_cbranch_execz .LBB44_580
.LBB44_579:                             ;   in Loop: Header=BB44_3 Depth=1
	ds_load_b64 v[42:43], v48 offset:18208
	ds_load_b64 v[44:45], v9 offset:16664
	s_wait_dscnt 0x0
	v_fmac_f64_e32 v[0:1], v[42:43], v[44:45]
.LBB44_580:                             ;   in Loop: Header=BB44_3 Depth=1
	s_or_b32 exec_lo, exec_lo, s51
	s_delay_alu instid0(VALU_DEP_1)
	v_xor_b32_e32 v1, 0x80000000, v1
.LBB44_581:                             ;   in Loop: Header=BB44_3 Depth=1
	s_or_b32 exec_lo, exec_lo, s61
	s_and_saveexec_b32 s51, s95
; %bb.582:                              ;   in Loop: Header=BB44_3 Depth=1
	ds_store_b64 v66, v[0:1]
; %bb.583:                              ;   in Loop: Header=BB44_3 Depth=1
	s_or_b32 exec_lo, exec_lo, s51
	s_wait_dscnt 0x0
	s_barrier_signal -1
	s_barrier_wait -1
	s_and_saveexec_b32 s51, s96
	s_cbranch_execz .LBB44_585
; %bb.584:                              ;   in Loop: Header=BB44_3 Depth=1
	ds_load_b64 v[42:43], v63 offset:18720
	ds_load_b64 v[44:45], v66
	s_wait_dscnt 0x0
	v_fmac_f64_e32 v[0:1], v[42:43], v[44:45]
.LBB44_585:                             ;   in Loop: Header=BB44_3 Depth=1
	s_or_b32 exec_lo, exec_lo, s51
	s_barrier_signal -1
	s_barrier_wait -1
	s_and_saveexec_b32 s51, s97
; %bb.586:                              ;   in Loop: Header=BB44_3 Depth=1
	ds_store_b64 v66, v[0:1]
; %bb.587:                              ;   in Loop: Header=BB44_3 Depth=1
	s_or_b32 exec_lo, exec_lo, s51
	s_wait_dscnt 0x0
	s_barrier_signal -1
	s_barrier_wait -1
	s_and_saveexec_b32 s51, s98
	s_cbranch_execz .LBB44_589
; %bb.588:                              ;   in Loop: Header=BB44_3 Depth=1
	ds_load_b64 v[42:43], v63 offset:19232
	ds_load_b64 v[44:45], v66
	s_wait_dscnt 0x0
	v_fmac_f64_e32 v[0:1], v[42:43], v[44:45]
.LBB44_589:                             ;   in Loop: Header=BB44_3 Depth=1
	s_or_b32 exec_lo, exec_lo, s51
	s_barrier_signal -1
	s_barrier_wait -1
	;; [unrolled: 19-line block ×3, first 2 shown]
	s_and_saveexec_b32 s51, s100
; %bb.594:                              ;   in Loop: Header=BB44_3 Depth=1
	ds_store_b64 v66, v[0:1]
; %bb.595:                              ;   in Loop: Header=BB44_3 Depth=1
	s_or_b32 exec_lo, exec_lo, s51
	s_wait_dscnt 0x0
	s_barrier_signal -1
	s_barrier_wait -1
	s_barrier_signal -1
	s_barrier_wait -1
	s_and_saveexec_b32 s51, s2
; %bb.596:                              ;   in Loop: Header=BB44_3 Depth=1
	v_xor_b32_e32 v1, 0x80000000, v1
	ds_store_b64 v68, v[0:1] offset:16672
; %bb.597:                              ;   in Loop: Header=BB44_3 Depth=1
	s_or_b32 exec_lo, exec_lo, s51
	s_wait_dscnt 0x0
	s_barrier_signal -1
	s_barrier_wait -1
	s_barrier_signal -1
	s_barrier_wait -1
	s_and_saveexec_b32 s51, s101
	s_cbranch_execz .LBB44_599
; %bb.598:                              ;   in Loop: Header=BB44_3 Depth=1
	ds_load_b64 v[0:1], v49 offset:16672
	s_wait_dscnt 0x0
	ds_store_b64 v50, v[0:1] offset:18688
	ds_load_b64 v[0:1], v49 offset:16680
	s_wait_dscnt 0x0
	ds_store_b64 v50, v[0:1] offset:19200
	;; [unrolled: 3-line block ×4, first 2 shown]
.LBB44_599:                             ;   in Loop: Header=BB44_3 Depth=1
	s_or_b32 exec_lo, exec_lo, s51
	s_wait_dscnt 0x0
	s_barrier_signal -1
	s_barrier_wait -1
	s_and_saveexec_b32 s51, s10
	s_cbranch_execz .LBB44_601
; %bb.600:                              ;   in Loop: Header=BB44_3 Depth=1
	ds_load_b64 v[0:1], v9 offset:18728
	v_mov_b32_e32 v2, v9
	ds_store_b64 v9, v[30:31] offset:18720
	s_wait_dscnt 0x1
	ds_store_b128 v9, v[0:3] offset:19232
.LBB44_601:                             ;   in Loop: Header=BB44_3 Depth=1
	s_or_b32 exec_lo, exec_lo, s51
	v_mov_b64_e32 v[0:1], 0
	s_wait_dscnt 0x0
	s_barrier_signal -1
	s_barrier_wait -1
	s_and_saveexec_b32 s51, s0
	s_cbranch_execz .LBB44_605
; %bb.602:                              ;   in Loop: Header=BB44_3 Depth=1
	ds_load_b64 v[0:1], v64 offset:18736
	ds_load_b64 v[42:43], v65 offset:18720
	s_wait_dscnt 0x0
	v_fma_f64 v[0:1], v[0:1], v[42:43], 0
	s_and_saveexec_b32 s52, s11
	s_cbranch_execz .LBB44_604
; %bb.603:                              ;   in Loop: Header=BB44_3 Depth=1
	ds_load_b64 v[42:43], v50 offset:19248
	ds_load_b64 v[44:45], v9 offset:18728
	s_wait_dscnt 0x0
	v_fmac_f64_e32 v[0:1], v[42:43], v[44:45]
.LBB44_604:                             ;   in Loop: Header=BB44_3 Depth=1
	s_or_b32 exec_lo, exec_lo, s52
	s_delay_alu instid0(VALU_DEP_1)
	v_xor_b32_e32 v1, 0x80000000, v1
.LBB44_605:                             ;   in Loop: Header=BB44_3 Depth=1
	s_or_b32 exec_lo, exec_lo, s51
	s_and_saveexec_b32 s51, s92
; %bb.606:                              ;   in Loop: Header=BB44_3 Depth=1
	ds_store_b64 v56, v[0:1]
; %bb.607:                              ;   in Loop: Header=BB44_3 Depth=1
	s_or_b32 exec_lo, exec_lo, s51
	s_wait_dscnt 0x0
	s_barrier_signal -1
	s_barrier_wait -1
	s_and_saveexec_b32 s51, s93
	s_cbranch_execz .LBB44_609
; %bb.608:                              ;   in Loop: Header=BB44_3 Depth=1
	ds_load_b64 v[42:43], v9 offset:19768
	ds_load_b64 v[44:45], v56
	s_wait_dscnt 0x0
	v_fmac_f64_e32 v[0:1], v[42:43], v[44:45]
.LBB44_609:                             ;   in Loop: Header=BB44_3 Depth=1
	s_or_b32 exec_lo, exec_lo, s51
	s_barrier_signal -1
	s_barrier_wait -1
	s_and_saveexec_b32 s51, s93
; %bb.610:                              ;   in Loop: Header=BB44_3 Depth=1
	ds_store_b64 v56, v[0:1]
; %bb.611:                              ;   in Loop: Header=BB44_3 Depth=1
	s_or_b32 exec_lo, exec_lo, s51
	s_wait_dscnt 0x0
	s_barrier_signal -1
	s_barrier_wait -1
	s_barrier_signal -1
	s_barrier_wait -1
	s_and_saveexec_b32 s51, s0
; %bb.612:                              ;   in Loop: Header=BB44_3 Depth=1
	v_xor_b32_e32 v1, 0x80000000, v1
	ds_store_b64 v64, v[0:1] offset:18736
; %bb.613:                              ;   in Loop: Header=BB44_3 Depth=1
	s_or_b32 exec_lo, exec_lo, s51
	s_wait_dscnt 0x0
	s_barrier_signal -1
	s_barrier_wait -1
	s_barrier_signal -1
	s_barrier_wait -1
	s_and_saveexec_b32 s51, s94
	s_cbranch_execz .LBB44_615
; %bb.614:                              ;   in Loop: Header=BB44_3 Depth=1
	ds_load_b64 v[0:1], v51 offset:18736
	s_wait_dscnt 0x0
	ds_store_b64 v50, v[0:1] offset:19744
	ds_load_b64 v[0:1], v51 offset:18744
	s_wait_dscnt 0x0
	ds_store_b64 v50, v[0:1] offset:20256
.LBB44_615:                             ;   in Loop: Header=BB44_3 Depth=1
	s_or_b32 exec_lo, exec_lo, s51
	s_wait_dscnt 0x0
	s_barrier_signal -1
	s_barrier_wait -1
	s_and_saveexec_b32 s51, s10
	s_cbranch_execz .LBB44_617
; %bb.616:                              ;   in Loop: Header=BB44_3 Depth=1
	ds_load_b64 v[0:1], v9 offset:19768
	v_mov_b32_e32 v2, v9
	ds_store_b64 v9, v[30:31] offset:19760
	s_wait_dscnt 0x1
	ds_store_b128 v9, v[0:3] offset:20272
.LBB44_617:                             ;   in Loop: Header=BB44_3 Depth=1
	s_or_b32 exec_lo, exec_lo, s51
	v_mov_b64_e32 v[0:1], 0
	s_wait_dscnt 0x0
	s_barrier_signal -1
	s_barrier_wait -1
	s_and_saveexec_b32 s61, s3
	s_cbranch_execz .LBB44_627
; %bb.618:                              ;   in Loop: Header=BB44_3 Depth=1
	ds_load_b64 v[0:1], v72 offset:16704
	ds_load_b64 v[42:43], v58 offset:16640
	s_wait_dscnt 0x0
	v_fma_f64 v[0:1], v[0:1], v[42:43], 0
	s_and_saveexec_b32 s51, s14
	s_cbranch_execnz .LBB44_1095
; %bb.619:                              ;   in Loop: Header=BB44_3 Depth=1
	s_or_b32 exec_lo, exec_lo, s51
	s_and_saveexec_b32 s51, s15
	s_cbranch_execnz .LBB44_1096
.LBB44_620:                             ;   in Loop: Header=BB44_3 Depth=1
	s_or_b32 exec_lo, exec_lo, s51
	s_and_saveexec_b32 s51, s16
	s_cbranch_execnz .LBB44_1097
.LBB44_621:                             ;   in Loop: Header=BB44_3 Depth=1
	s_or_b32 exec_lo, exec_lo, s51
	s_and_saveexec_b32 s51, s17
	s_cbranch_execnz .LBB44_1098
.LBB44_622:                             ;   in Loop: Header=BB44_3 Depth=1
	s_or_b32 exec_lo, exec_lo, s51
	s_and_saveexec_b32 s51, s18
	s_cbranch_execnz .LBB44_1099
.LBB44_623:                             ;   in Loop: Header=BB44_3 Depth=1
	s_or_b32 exec_lo, exec_lo, s51
	s_and_saveexec_b32 s51, s2
	s_cbranch_execnz .LBB44_1100
.LBB44_624:                             ;   in Loop: Header=BB44_3 Depth=1
	s_or_b32 exec_lo, exec_lo, s51
	s_and_saveexec_b32 s51, s13
	s_cbranch_execz .LBB44_626
.LBB44_625:                             ;   in Loop: Header=BB44_3 Depth=1
	ds_load_b64 v[42:43], v52 offset:20288
	ds_load_b64 v[44:45], v9 offset:16696
	s_wait_dscnt 0x0
	v_fmac_f64_e32 v[0:1], v[42:43], v[44:45]
.LBB44_626:                             ;   in Loop: Header=BB44_3 Depth=1
	s_or_b32 exec_lo, exec_lo, s51
	s_delay_alu instid0(VALU_DEP_1)
	v_xor_b32_e32 v1, 0x80000000, v1
.LBB44_627:                             ;   in Loop: Header=BB44_3 Depth=1
	s_or_b32 exec_lo, exec_lo, s61
	s_and_saveexec_b32 s51, s102
; %bb.628:                              ;   in Loop: Header=BB44_3 Depth=1
	ds_store_b64 v71, v[0:1]
; %bb.629:                              ;   in Loop: Header=BB44_3 Depth=1
	s_or_b32 exec_lo, exec_lo, s51
	s_wait_dscnt 0x0
	s_barrier_signal -1
	s_barrier_wait -1
	s_and_saveexec_b32 s51, s103
	s_cbranch_execz .LBB44_631
; %bb.630:                              ;   in Loop: Header=BB44_3 Depth=1
	ds_load_b64 v[42:43], v67 offset:20800
	ds_load_b64 v[44:45], v71
	s_wait_dscnt 0x0
	v_fmac_f64_e32 v[0:1], v[42:43], v[44:45]
.LBB44_631:                             ;   in Loop: Header=BB44_3 Depth=1
	s_or_b32 exec_lo, exec_lo, s51
	s_barrier_signal -1
	s_barrier_wait -1
	s_and_saveexec_b32 s51, s104
; %bb.632:                              ;   in Loop: Header=BB44_3 Depth=1
	ds_store_b64 v71, v[0:1]
; %bb.633:                              ;   in Loop: Header=BB44_3 Depth=1
	s_or_b32 exec_lo, exec_lo, s51
	s_wait_dscnt 0x0
	s_barrier_signal -1
	s_barrier_wait -1
	s_and_saveexec_b32 s51, vcc_hi
	s_cbranch_execz .LBB44_635
; %bb.634:                              ;   in Loop: Header=BB44_3 Depth=1
	ds_load_b64 v[42:43], v67 offset:21312
	ds_load_b64 v[44:45], v71
	s_wait_dscnt 0x0
	v_fmac_f64_e32 v[0:1], v[42:43], v[44:45]
.LBB44_635:                             ;   in Loop: Header=BB44_3 Depth=1
	s_or_b32 exec_lo, exec_lo, s51
	s_barrier_signal -1
	s_barrier_wait -1
	s_and_saveexec_b32 s51, s31
; %bb.636:                              ;   in Loop: Header=BB44_3 Depth=1
	ds_store_b64 v71, v[0:1]
; %bb.637:                              ;   in Loop: Header=BB44_3 Depth=1
	s_or_b32 exec_lo, exec_lo, s51
	s_wait_dscnt 0x0
	s_barrier_signal -1
	s_barrier_wait -1
	s_and_saveexec_b32 s51, s33
	s_cbranch_execz .LBB44_639
; %bb.638:                              ;   in Loop: Header=BB44_3 Depth=1
	ds_load_b64 v[42:43], v67 offset:21824
	ds_load_b64 v[44:45], v71
	s_wait_dscnt 0x0
	v_fmac_f64_e32 v[0:1], v[42:43], v[44:45]
.LBB44_639:                             ;   in Loop: Header=BB44_3 Depth=1
	s_or_b32 exec_lo, exec_lo, s51
	s_barrier_signal -1
	s_barrier_wait -1
	s_and_saveexec_b32 s51, s34
; %bb.640:                              ;   in Loop: Header=BB44_3 Depth=1
	ds_store_b64 v71, v[0:1]
; %bb.641:                              ;   in Loop: Header=BB44_3 Depth=1
	s_or_b32 exec_lo, exec_lo, s51
	s_wait_dscnt 0x0
	s_barrier_signal -1
	s_barrier_wait -1
	s_and_saveexec_b32 s51, s35
	;; [unrolled: 19-line block ×5, first 2 shown]
	s_cbranch_execz .LBB44_655
; %bb.654:                              ;   in Loop: Header=BB44_3 Depth=1
	ds_load_b64 v[42:43], v9 offset:23928
	ds_load_b64 v[44:45], v71
	s_wait_dscnt 0x0
	v_fmac_f64_e32 v[0:1], v[42:43], v[44:45]
.LBB44_655:                             ;   in Loop: Header=BB44_3 Depth=1
	s_or_b32 exec_lo, exec_lo, s51
	s_barrier_signal -1
	s_barrier_wait -1
	s_and_saveexec_b32 s51, s41
; %bb.656:                              ;   in Loop: Header=BB44_3 Depth=1
	ds_store_b64 v71, v[0:1]
; %bb.657:                              ;   in Loop: Header=BB44_3 Depth=1
	s_or_b32 exec_lo, exec_lo, s51
	s_wait_dscnt 0x0
	s_barrier_signal -1
	s_barrier_wait -1
	s_barrier_signal -1
	s_barrier_wait -1
	s_and_saveexec_b32 s51, s3
; %bb.658:                              ;   in Loop: Header=BB44_3 Depth=1
	v_xor_b32_e32 v1, 0x80000000, v1
	ds_store_b64 v72, v[0:1] offset:16704
; %bb.659:                              ;   in Loop: Header=BB44_3 Depth=1
	s_or_b32 exec_lo, exec_lo, s51
	s_wait_dscnt 0x0
	s_barrier_signal -1
	s_barrier_wait -1
	s_barrier_signal -1
	s_barrier_wait -1
	s_and_saveexec_b32 s51, s42
	s_cbranch_execz .LBB44_661
; %bb.660:                              ;   in Loop: Header=BB44_3 Depth=1
	ds_load_b64 v[0:1], v53 offset:16704
	s_wait_dscnt 0x0
	ds_store_b64 v54, v[0:1] offset:20736
	ds_load_b64 v[0:1], v53 offset:16712
	s_wait_dscnt 0x0
	ds_store_b64 v54, v[0:1] offset:21248
	;; [unrolled: 3-line block ×8, first 2 shown]
.LBB44_661:                             ;   in Loop: Header=BB44_3 Depth=1
	s_or_b32 exec_lo, exec_lo, s51
	s_wait_dscnt 0x0
	s_barrier_signal -1
	s_barrier_wait -1
	s_and_saveexec_b32 s51, s10
	s_cbranch_execz .LBB44_663
; %bb.662:                              ;   in Loop: Header=BB44_3 Depth=1
	ds_load_b64 v[0:1], v9 offset:20808
	v_mov_b32_e32 v2, v9
	ds_store_b64 v9, v[30:31] offset:20800
	s_wait_dscnt 0x1
	ds_store_b128 v9, v[0:3] offset:21312
.LBB44_663:                             ;   in Loop: Header=BB44_3 Depth=1
	s_or_b32 exec_lo, exec_lo, s51
	v_mov_b64_e32 v[0:1], 0
	s_wait_dscnt 0x0
	s_barrier_signal -1
	s_barrier_wait -1
	s_and_saveexec_b32 s51, s0
	s_cbranch_execz .LBB44_667
; %bb.664:                              ;   in Loop: Header=BB44_3 Depth=1
	ds_load_b64 v[0:1], v64 offset:20816
	ds_load_b64 v[42:43], v65 offset:20800
	s_wait_dscnt 0x0
	v_fma_f64 v[0:1], v[0:1], v[42:43], 0
	s_and_saveexec_b32 s52, s11
	s_cbranch_execz .LBB44_666
; %bb.665:                              ;   in Loop: Header=BB44_3 Depth=1
	ds_load_b64 v[42:43], v54 offset:21328
	ds_load_b64 v[44:45], v9 offset:20808
	s_wait_dscnt 0x0
	v_fmac_f64_e32 v[0:1], v[42:43], v[44:45]
.LBB44_666:                             ;   in Loop: Header=BB44_3 Depth=1
	s_or_b32 exec_lo, exec_lo, s52
	s_delay_alu instid0(VALU_DEP_1)
	v_xor_b32_e32 v1, 0x80000000, v1
.LBB44_667:                             ;   in Loop: Header=BB44_3 Depth=1
	s_or_b32 exec_lo, exec_lo, s51
	s_and_saveexec_b32 s51, s92
; %bb.668:                              ;   in Loop: Header=BB44_3 Depth=1
	ds_store_b64 v56, v[0:1]
; %bb.669:                              ;   in Loop: Header=BB44_3 Depth=1
	s_or_b32 exec_lo, exec_lo, s51
	s_wait_dscnt 0x0
	s_barrier_signal -1
	s_barrier_wait -1
	s_and_saveexec_b32 s51, s93
	s_cbranch_execz .LBB44_671
; %bb.670:                              ;   in Loop: Header=BB44_3 Depth=1
	ds_load_b64 v[42:43], v9 offset:21848
	ds_load_b64 v[44:45], v56
	s_wait_dscnt 0x0
	v_fmac_f64_e32 v[0:1], v[42:43], v[44:45]
.LBB44_671:                             ;   in Loop: Header=BB44_3 Depth=1
	s_or_b32 exec_lo, exec_lo, s51
	s_barrier_signal -1
	s_barrier_wait -1
	s_and_saveexec_b32 s51, s93
; %bb.672:                              ;   in Loop: Header=BB44_3 Depth=1
	ds_store_b64 v56, v[0:1]
; %bb.673:                              ;   in Loop: Header=BB44_3 Depth=1
	s_or_b32 exec_lo, exec_lo, s51
	s_wait_dscnt 0x0
	s_barrier_signal -1
	s_barrier_wait -1
	s_barrier_signal -1
	s_barrier_wait -1
	s_and_saveexec_b32 s51, s0
; %bb.674:                              ;   in Loop: Header=BB44_3 Depth=1
	v_xor_b32_e32 v1, 0x80000000, v1
	ds_store_b64 v64, v[0:1] offset:20816
; %bb.675:                              ;   in Loop: Header=BB44_3 Depth=1
	s_or_b32 exec_lo, exec_lo, s51
	s_wait_dscnt 0x0
	s_barrier_signal -1
	s_barrier_wait -1
	s_barrier_signal -1
	s_barrier_wait -1
	s_and_saveexec_b32 s51, s94
	s_cbranch_execz .LBB44_677
; %bb.676:                              ;   in Loop: Header=BB44_3 Depth=1
	ds_load_b64 v[0:1], v57 offset:20816
	s_wait_dscnt 0x0
	ds_store_b64 v54, v[0:1] offset:21824
	ds_load_b64 v[0:1], v57 offset:20824
	s_wait_dscnt 0x0
	ds_store_b64 v54, v[0:1] offset:22336
.LBB44_677:                             ;   in Loop: Header=BB44_3 Depth=1
	s_or_b32 exec_lo, exec_lo, s51
	s_wait_dscnt 0x0
	s_barrier_signal -1
	s_barrier_wait -1
	s_and_saveexec_b32 s51, s10
	s_cbranch_execz .LBB44_679
; %bb.678:                              ;   in Loop: Header=BB44_3 Depth=1
	ds_load_b64 v[0:1], v9 offset:21848
	v_mov_b32_e32 v2, v9
	ds_store_b64 v9, v[30:31] offset:21840
	s_wait_dscnt 0x1
	ds_store_b128 v9, v[0:3] offset:22352
.LBB44_679:                             ;   in Loop: Header=BB44_3 Depth=1
	s_or_b32 exec_lo, exec_lo, s51
	v_mov_b64_e32 v[0:1], 0
	s_wait_dscnt 0x0
	s_barrier_signal -1
	s_barrier_wait -1
	s_and_saveexec_b32 s61, s2
	s_cbranch_execz .LBB44_685
; %bb.680:                              ;   in Loop: Header=BB44_3 Depth=1
	ds_load_b64 v[0:1], v68 offset:20832
	ds_load_b64 v[42:43], v55 offset:20800
	s_wait_dscnt 0x0
	v_fma_f64 v[0:1], v[0:1], v[42:43], 0
	s_and_saveexec_b32 s51, s12
	s_cbranch_execnz .LBB44_1101
; %bb.681:                              ;   in Loop: Header=BB44_3 Depth=1
	s_or_b32 exec_lo, exec_lo, s51
	s_and_saveexec_b32 s51, s13
	s_cbranch_execnz .LBB44_1102
.LBB44_682:                             ;   in Loop: Header=BB44_3 Depth=1
	s_or_b32 exec_lo, exec_lo, s51
	s_and_saveexec_b32 s51, s0
	s_cbranch_execz .LBB44_684
.LBB44_683:                             ;   in Loop: Header=BB44_3 Depth=1
	ds_load_b64 v[42:43], v59 offset:22368
	ds_load_b64 v[44:45], v9 offset:20824
	s_wait_dscnt 0x0
	v_fmac_f64_e32 v[0:1], v[42:43], v[44:45]
.LBB44_684:                             ;   in Loop: Header=BB44_3 Depth=1
	s_or_b32 exec_lo, exec_lo, s51
	s_delay_alu instid0(VALU_DEP_1)
	v_xor_b32_e32 v1, 0x80000000, v1
.LBB44_685:                             ;   in Loop: Header=BB44_3 Depth=1
	s_or_b32 exec_lo, exec_lo, s61
	s_and_saveexec_b32 s51, s95
; %bb.686:                              ;   in Loop: Header=BB44_3 Depth=1
	ds_store_b64 v66, v[0:1]
; %bb.687:                              ;   in Loop: Header=BB44_3 Depth=1
	s_or_b32 exec_lo, exec_lo, s51
	s_wait_dscnt 0x0
	s_barrier_signal -1
	s_barrier_wait -1
	s_and_saveexec_b32 s51, s96
	s_cbranch_execz .LBB44_689
; %bb.688:                              ;   in Loop: Header=BB44_3 Depth=1
	ds_load_b64 v[42:43], v63 offset:22880
	ds_load_b64 v[44:45], v66
	s_wait_dscnt 0x0
	v_fmac_f64_e32 v[0:1], v[42:43], v[44:45]
.LBB44_689:                             ;   in Loop: Header=BB44_3 Depth=1
	s_or_b32 exec_lo, exec_lo, s51
	s_barrier_signal -1
	s_barrier_wait -1
	s_and_saveexec_b32 s51, s97
; %bb.690:                              ;   in Loop: Header=BB44_3 Depth=1
	ds_store_b64 v66, v[0:1]
; %bb.691:                              ;   in Loop: Header=BB44_3 Depth=1
	s_or_b32 exec_lo, exec_lo, s51
	s_wait_dscnt 0x0
	s_barrier_signal -1
	s_barrier_wait -1
	s_and_saveexec_b32 s51, s98
	s_cbranch_execz .LBB44_693
; %bb.692:                              ;   in Loop: Header=BB44_3 Depth=1
	ds_load_b64 v[42:43], v63 offset:23392
	ds_load_b64 v[44:45], v66
	s_wait_dscnt 0x0
	v_fmac_f64_e32 v[0:1], v[42:43], v[44:45]
.LBB44_693:                             ;   in Loop: Header=BB44_3 Depth=1
	s_or_b32 exec_lo, exec_lo, s51
	s_barrier_signal -1
	s_barrier_wait -1
	;; [unrolled: 19-line block ×3, first 2 shown]
	s_and_saveexec_b32 s51, s100
; %bb.698:                              ;   in Loop: Header=BB44_3 Depth=1
	ds_store_b64 v66, v[0:1]
; %bb.699:                              ;   in Loop: Header=BB44_3 Depth=1
	s_or_b32 exec_lo, exec_lo, s51
	s_wait_dscnt 0x0
	s_barrier_signal -1
	s_barrier_wait -1
	s_barrier_signal -1
	s_barrier_wait -1
	s_and_saveexec_b32 s51, s2
; %bb.700:                              ;   in Loop: Header=BB44_3 Depth=1
	v_xor_b32_e32 v1, 0x80000000, v1
	ds_store_b64 v68, v[0:1] offset:20832
; %bb.701:                              ;   in Loop: Header=BB44_3 Depth=1
	s_or_b32 exec_lo, exec_lo, s51
	s_wait_dscnt 0x0
	s_barrier_signal -1
	s_barrier_wait -1
	s_barrier_signal -1
	s_barrier_wait -1
	s_and_saveexec_b32 s51, s101
	s_cbranch_execz .LBB44_703
; %bb.702:                              ;   in Loop: Header=BB44_3 Depth=1
	ds_load_b64 v[0:1], v61 offset:20832
	s_wait_dscnt 0x0
	ds_store_b64 v79, v[0:1] offset:22848
	ds_load_b64 v[0:1], v61 offset:20840
	s_wait_dscnt 0x0
	ds_store_b64 v79, v[0:1] offset:23360
	;; [unrolled: 3-line block ×4, first 2 shown]
.LBB44_703:                             ;   in Loop: Header=BB44_3 Depth=1
	s_or_b32 exec_lo, exec_lo, s51
	s_wait_dscnt 0x0
	s_barrier_signal -1
	s_barrier_wait -1
	s_and_saveexec_b32 s51, s10
	s_cbranch_execz .LBB44_705
; %bb.704:                              ;   in Loop: Header=BB44_3 Depth=1
	ds_load_b64 v[0:1], v9 offset:22888
	v_mov_b32_e32 v2, v9
	ds_store_b64 v9, v[30:31] offset:22880
	s_wait_dscnt 0x1
	ds_store_b128 v9, v[0:3] offset:23392
.LBB44_705:                             ;   in Loop: Header=BB44_3 Depth=1
	s_or_b32 exec_lo, exec_lo, s51
	v_mov_b64_e32 v[0:1], 0
	s_wait_dscnt 0x0
	s_barrier_signal -1
	s_barrier_wait -1
	s_and_saveexec_b32 s51, s0
	s_cbranch_execz .LBB44_709
; %bb.706:                              ;   in Loop: Header=BB44_3 Depth=1
	ds_load_b64 v[0:1], v64 offset:22896
	ds_load_b64 v[42:43], v65 offset:22880
	s_wait_dscnt 0x0
	v_fma_f64 v[0:1], v[0:1], v[42:43], 0
	s_and_saveexec_b32 s52, s11
	s_cbranch_execz .LBB44_708
; %bb.707:                              ;   in Loop: Header=BB44_3 Depth=1
	ds_load_b64 v[42:43], v79 offset:23408
	ds_load_b64 v[44:45], v9 offset:22888
	s_wait_dscnt 0x0
	v_fmac_f64_e32 v[0:1], v[42:43], v[44:45]
.LBB44_708:                             ;   in Loop: Header=BB44_3 Depth=1
	s_or_b32 exec_lo, exec_lo, s52
	s_delay_alu instid0(VALU_DEP_1)
	v_xor_b32_e32 v1, 0x80000000, v1
.LBB44_709:                             ;   in Loop: Header=BB44_3 Depth=1
	s_or_b32 exec_lo, exec_lo, s51
	s_and_saveexec_b32 s51, s92
; %bb.710:                              ;   in Loop: Header=BB44_3 Depth=1
	ds_store_b64 v56, v[0:1]
; %bb.711:                              ;   in Loop: Header=BB44_3 Depth=1
	s_or_b32 exec_lo, exec_lo, s51
	s_wait_dscnt 0x0
	s_barrier_signal -1
	s_barrier_wait -1
	s_and_saveexec_b32 s51, s93
	s_cbranch_execz .LBB44_713
; %bb.712:                              ;   in Loop: Header=BB44_3 Depth=1
	ds_load_b64 v[42:43], v9 offset:23928
	ds_load_b64 v[44:45], v56
	s_wait_dscnt 0x0
	v_fmac_f64_e32 v[0:1], v[42:43], v[44:45]
.LBB44_713:                             ;   in Loop: Header=BB44_3 Depth=1
	s_or_b32 exec_lo, exec_lo, s51
	s_barrier_signal -1
	s_barrier_wait -1
	s_and_saveexec_b32 s51, s93
; %bb.714:                              ;   in Loop: Header=BB44_3 Depth=1
	ds_store_b64 v56, v[0:1]
; %bb.715:                              ;   in Loop: Header=BB44_3 Depth=1
	s_or_b32 exec_lo, exec_lo, s51
	s_wait_dscnt 0x0
	s_barrier_signal -1
	s_barrier_wait -1
	s_barrier_signal -1
	s_barrier_wait -1
	s_and_saveexec_b32 s51, s0
; %bb.716:                              ;   in Loop: Header=BB44_3 Depth=1
	v_xor_b32_e32 v1, 0x80000000, v1
	ds_store_b64 v64, v[0:1] offset:22896
; %bb.717:                              ;   in Loop: Header=BB44_3 Depth=1
	s_or_b32 exec_lo, exec_lo, s51
	s_wait_dscnt 0x0
	s_barrier_signal -1
	s_barrier_wait -1
	s_barrier_signal -1
	s_barrier_wait -1
	s_and_saveexec_b32 s51, s94
	s_cbranch_execz .LBB44_719
; %bb.718:                              ;   in Loop: Header=BB44_3 Depth=1
	ds_load_b64 v[0:1], v80 offset:22896
	s_wait_dscnt 0x0
	ds_store_b64 v79, v[0:1] offset:23904
	ds_load_b64 v[0:1], v80 offset:22904
	s_wait_dscnt 0x0
	ds_store_b64 v79, v[0:1] offset:24416
.LBB44_719:                             ;   in Loop: Header=BB44_3 Depth=1
	s_or_b32 exec_lo, exec_lo, s51
	s_wait_dscnt 0x0
	s_barrier_signal -1
	s_barrier_wait -1
	s_and_saveexec_b32 s51, s10
	s_cbranch_execz .LBB44_721
; %bb.720:                              ;   in Loop: Header=BB44_3 Depth=1
	ds_load_b64 v[0:1], v9 offset:23928
	v_mov_b32_e32 v2, v9
	ds_store_b64 v9, v[30:31] offset:23920
	s_wait_dscnt 0x1
	ds_store_b128 v9, v[0:3] offset:24432
.LBB44_721:                             ;   in Loop: Header=BB44_3 Depth=1
	s_or_b32 exec_lo, exec_lo, s51
	v_mov_b64_e32 v[0:1], 0
	s_wait_dscnt 0x0
	s_barrier_signal -1
	s_barrier_wait -1
	s_and_saveexec_b32 s82, s4
	s_cbranch_execz .LBB44_749
; %bb.722:                              ;   in Loop: Header=BB44_3 Depth=1
	ds_load_b64 v[0:1], v75 offset:16768
	ds_load_b64 v[42:43], v60 offset:16640
	s_wait_dscnt 0x0
	v_fma_f64 v[0:1], v[0:1], v[42:43], 0
	s_mov_b32 s51, exec_lo
	v_readlane_b32 s52, v102, 23
	s_and_b32 s52, s51, s52
	s_delay_alu instid0(SALU_CYCLE_1)
	s_mov_b32 exec_lo, s52
	s_cbranch_execz .LBB44_724
; %bb.723:                              ;   in Loop: Header=BB44_3 Depth=1
	ds_load_b64 v[42:43], v76 offset:17280
	ds_load_b64 v[44:45], v60 offset:16648
	s_wait_dscnt 0x0
	v_fmac_f64_e32 v[0:1], v[42:43], v[44:45]
.LBB44_724:                             ;   in Loop: Header=BB44_3 Depth=1
	s_or_b32 exec_lo, exec_lo, s51
	s_delay_alu instid0(SALU_CYCLE_1) | instskip(SKIP_2) | instid1(SALU_CYCLE_1)
	s_mov_b32 s51, exec_lo
	v_readlane_b32 s52, v102, 24
	s_and_b32 s52, s51, s52
	s_mov_b32 exec_lo, s52
	s_cbranch_execz .LBB44_726
; %bb.725:                              ;   in Loop: Header=BB44_3 Depth=1
	ds_load_b64 v[42:43], v76 offset:17792
	ds_load_b64 v[44:45], v60 offset:16656
	s_wait_dscnt 0x0
	v_fmac_f64_e32 v[0:1], v[42:43], v[44:45]
.LBB44_726:                             ;   in Loop: Header=BB44_3 Depth=1
	s_or_b32 exec_lo, exec_lo, s51
	s_delay_alu instid0(SALU_CYCLE_1) | instskip(SKIP_2) | instid1(SALU_CYCLE_1)
	s_mov_b32 s51, exec_lo
	v_readlane_b32 s52, v102, 25
	s_and_b32 s52, s51, s52
	;; [unrolled: 13-line block ×10, first 2 shown]
	s_mov_b32 exec_lo, s52
	s_cbranch_execnz .LBB44_1103
; %bb.743:                              ;   in Loop: Header=BB44_3 Depth=1
	s_or_b32 exec_lo, exec_lo, s51
	s_and_saveexec_b32 s51, s3
	s_cbranch_execnz .LBB44_1104
.LBB44_744:                             ;   in Loop: Header=BB44_3 Depth=1
	s_or_b32 exec_lo, exec_lo, s51
	s_and_saveexec_b32 s51, s15
	s_cbranch_execnz .LBB44_1105
.LBB44_745:                             ;   in Loop: Header=BB44_3 Depth=1
	s_or_b32 exec_lo, exec_lo, s51
	s_and_saveexec_b32 s51, s17
	s_cbranch_execnz .LBB44_1106
.LBB44_746:                             ;   in Loop: Header=BB44_3 Depth=1
	s_or_b32 exec_lo, exec_lo, s51
	s_and_saveexec_b32 s51, s2
	s_cbranch_execz .LBB44_748
.LBB44_747:                             ;   in Loop: Header=BB44_3 Depth=1
	ds_load_b64 v[42:43], v7 offset:24448
	ds_load_b64 v[44:45], v9 offset:16760
	s_wait_dscnt 0x0
	v_fmac_f64_e32 v[0:1], v[42:43], v[44:45]
.LBB44_748:                             ;   in Loop: Header=BB44_3 Depth=1
	s_or_b32 exec_lo, exec_lo, s51
	s_delay_alu instid0(VALU_DEP_1)
	v_xor_b32_e32 v1, 0x80000000, v1
.LBB44_749:                             ;   in Loop: Header=BB44_3 Depth=1
	s_or_b32 exec_lo, exec_lo, s82
	s_delay_alu instid0(SALU_CYCLE_1) | instskip(SKIP_2) | instid1(SALU_CYCLE_1)
	s_mov_b32 s51, exec_lo
	v_readlane_b32 s52, v102, 2
	s_and_b32 s52, s51, s52
	s_mov_b32 exec_lo, s52
; %bb.750:                              ;   in Loop: Header=BB44_3 Depth=1
	ds_store_b64 v74, v[0:1]
; %bb.751:                              ;   in Loop: Header=BB44_3 Depth=1
	s_or_b32 exec_lo, exec_lo, s51
	s_wait_dscnt 0x0
	s_barrier_signal -1
	s_barrier_wait -1
	s_mov_b32 s51, exec_lo
	v_readlane_b32 s52, v102, 3
	s_and_b32 s52, s51, s52
	s_delay_alu instid0(SALU_CYCLE_1)
	s_mov_b32 exec_lo, s52
	s_cbranch_execz .LBB44_753
; %bb.752:                              ;   in Loop: Header=BB44_3 Depth=1
	ds_load_b64 v[42:43], v70 offset:24960
	ds_load_b64 v[44:45], v74
	s_wait_dscnt 0x0
	v_fmac_f64_e32 v[0:1], v[42:43], v[44:45]
.LBB44_753:                             ;   in Loop: Header=BB44_3 Depth=1
	s_or_b32 exec_lo, exec_lo, s51
	s_barrier_signal -1
	s_barrier_wait -1
	s_mov_b32 s51, exec_lo
	v_readlane_b32 s52, v102, 4
	s_and_b32 s52, s51, s52
	s_delay_alu instid0(SALU_CYCLE_1)
	s_mov_b32 exec_lo, s52
; %bb.754:                              ;   in Loop: Header=BB44_3 Depth=1
	ds_store_b64 v74, v[0:1]
; %bb.755:                              ;   in Loop: Header=BB44_3 Depth=1
	s_or_b32 exec_lo, exec_lo, s51
	s_wait_dscnt 0x0
	s_barrier_signal -1
	s_barrier_wait -1
	s_mov_b32 s51, exec_lo
	v_readlane_b32 s52, v102, 5
	s_and_b32 s52, s51, s52
	s_delay_alu instid0(SALU_CYCLE_1)
	s_mov_b32 exec_lo, s52
	s_cbranch_execz .LBB44_757
; %bb.756:                              ;   in Loop: Header=BB44_3 Depth=1
	ds_load_b64 v[42:43], v70 offset:25472
	ds_load_b64 v[44:45], v74
	s_wait_dscnt 0x0
	v_fmac_f64_e32 v[0:1], v[42:43], v[44:45]
.LBB44_757:                             ;   in Loop: Header=BB44_3 Depth=1
	s_or_b32 exec_lo, exec_lo, s51
	s_barrier_signal -1
	s_barrier_wait -1
	s_mov_b32 s51, exec_lo
	v_readlane_b32 s52, v102, 6
	s_and_b32 s52, s51, s52
	s_delay_alu instid0(SALU_CYCLE_1)
	;; [unrolled: 27-line block ×5, first 2 shown]
	s_mov_b32 exec_lo, s52
; %bb.770:                              ;   in Loop: Header=BB44_3 Depth=1
	ds_store_b64 v74, v[0:1]
; %bb.771:                              ;   in Loop: Header=BB44_3 Depth=1
	s_or_b32 exec_lo, exec_lo, s51
	s_wait_dscnt 0x0
	s_barrier_signal -1
	s_barrier_wait -1
	s_and_saveexec_b32 s51, s54
	s_cbranch_execz .LBB44_773
; %bb.772:                              ;   in Loop: Header=BB44_3 Depth=1
	ds_load_b64 v[42:43], v70 offset:27520
	ds_load_b64 v[44:45], v74
	s_wait_dscnt 0x0
	v_fmac_f64_e32 v[0:1], v[42:43], v[44:45]
.LBB44_773:                             ;   in Loop: Header=BB44_3 Depth=1
	s_or_b32 exec_lo, exec_lo, s51
	s_barrier_signal -1
	s_barrier_wait -1
	s_and_saveexec_b32 s51, s19
; %bb.774:                              ;   in Loop: Header=BB44_3 Depth=1
	ds_store_b64 v74, v[0:1]
; %bb.775:                              ;   in Loop: Header=BB44_3 Depth=1
	s_or_b32 exec_lo, exec_lo, s51
	s_wait_dscnt 0x0
	s_barrier_signal -1
	s_barrier_wait -1
	s_and_saveexec_b32 s51, s21
	s_cbranch_execz .LBB44_777
; %bb.776:                              ;   in Loop: Header=BB44_3 Depth=1
	ds_load_b64 v[42:43], v70 offset:28032
	ds_load_b64 v[44:45], v74
	s_wait_dscnt 0x0
	v_fmac_f64_e32 v[0:1], v[42:43], v[44:45]
.LBB44_777:                             ;   in Loop: Header=BB44_3 Depth=1
	s_or_b32 exec_lo, exec_lo, s51
	s_barrier_signal -1
	s_barrier_wait -1
	s_and_saveexec_b32 s51, s23
	;; [unrolled: 19-line block ×10, first 2 shown]
; %bb.810:                              ;   in Loop: Header=BB44_3 Depth=1
	ds_store_b64 v74, v[0:1]
; %bb.811:                              ;   in Loop: Header=BB44_3 Depth=1
	s_or_b32 exec_lo, exec_lo, s51
	s_wait_dscnt 0x0
	s_barrier_signal -1
	s_barrier_wait -1
	s_barrier_signal -1
	s_barrier_wait -1
	s_and_saveexec_b32 s51, s4
; %bb.812:                              ;   in Loop: Header=BB44_3 Depth=1
	v_xor_b32_e32 v1, 0x80000000, v1
	ds_store_b64 v75, v[0:1] offset:16768
; %bb.813:                              ;   in Loop: Header=BB44_3 Depth=1
	s_or_b32 exec_lo, exec_lo, s51
	s_wait_dscnt 0x0
	s_barrier_signal -1
	s_barrier_wait -1
	s_barrier_signal -1
	s_barrier_wait -1
	s_and_saveexec_b32 s51, s48
	s_cbranch_execz .LBB44_815
; %bb.814:                              ;   in Loop: Header=BB44_3 Depth=1
	ds_load_b64 v[0:1], v11 offset:16768
	s_wait_dscnt 0x0
	ds_store_b64 v48, v[0:1] offset:24832
	ds_load_b64 v[0:1], v11 offset:16776
	s_wait_dscnt 0x0
	ds_store_b64 v48, v[0:1] offset:25344
	;; [unrolled: 3-line block ×16, first 2 shown]
.LBB44_815:                             ;   in Loop: Header=BB44_3 Depth=1
	s_or_b32 exec_lo, exec_lo, s51
	s_wait_dscnt 0x0
	s_barrier_signal -1
	s_barrier_wait -1
	s_and_saveexec_b32 s51, s10
	s_cbranch_execz .LBB44_817
; %bb.816:                              ;   in Loop: Header=BB44_3 Depth=1
	ds_load_b64 v[0:1], v9 offset:24968
	v_mov_b32_e32 v2, v9
	ds_store_b64 v9, v[30:31] offset:24960
	s_wait_dscnt 0x1
	ds_store_b128 v9, v[0:3] offset:25472
.LBB44_817:                             ;   in Loop: Header=BB44_3 Depth=1
	s_or_b32 exec_lo, exec_lo, s51
	v_mov_b64_e32 v[0:1], 0
	s_wait_dscnt 0x0
	s_barrier_signal -1
	s_barrier_wait -1
	s_and_saveexec_b32 s51, s0
	s_cbranch_execz .LBB44_821
; %bb.818:                              ;   in Loop: Header=BB44_3 Depth=1
	ds_load_b64 v[0:1], v64 offset:24976
	ds_load_b64 v[42:43], v65 offset:24960
	s_wait_dscnt 0x0
	v_fma_f64 v[0:1], v[0:1], v[42:43], 0
	s_and_saveexec_b32 s52, s11
	s_cbranch_execz .LBB44_820
; %bb.819:                              ;   in Loop: Header=BB44_3 Depth=1
	ds_load_b64 v[42:43], v7 offset:25488
	ds_load_b64 v[44:45], v9 offset:24968
	s_wait_dscnt 0x0
	v_fmac_f64_e32 v[0:1], v[42:43], v[44:45]
.LBB44_820:                             ;   in Loop: Header=BB44_3 Depth=1
	s_or_b32 exec_lo, exec_lo, s52
	s_delay_alu instid0(VALU_DEP_1)
	v_xor_b32_e32 v1, 0x80000000, v1
.LBB44_821:                             ;   in Loop: Header=BB44_3 Depth=1
	s_or_b32 exec_lo, exec_lo, s51
	s_and_saveexec_b32 s51, s92
; %bb.822:                              ;   in Loop: Header=BB44_3 Depth=1
	ds_store_b64 v56, v[0:1]
; %bb.823:                              ;   in Loop: Header=BB44_3 Depth=1
	s_or_b32 exec_lo, exec_lo, s51
	s_wait_dscnt 0x0
	s_barrier_signal -1
	s_barrier_wait -1
	s_and_saveexec_b32 s51, s93
	s_cbranch_execz .LBB44_825
; %bb.824:                              ;   in Loop: Header=BB44_3 Depth=1
	ds_load_b64 v[42:43], v9 offset:26008
	ds_load_b64 v[44:45], v56
	s_wait_dscnt 0x0
	v_fmac_f64_e32 v[0:1], v[42:43], v[44:45]
.LBB44_825:                             ;   in Loop: Header=BB44_3 Depth=1
	s_or_b32 exec_lo, exec_lo, s51
	s_barrier_signal -1
	s_barrier_wait -1
	s_and_saveexec_b32 s51, s93
; %bb.826:                              ;   in Loop: Header=BB44_3 Depth=1
	ds_store_b64 v56, v[0:1]
; %bb.827:                              ;   in Loop: Header=BB44_3 Depth=1
	s_or_b32 exec_lo, exec_lo, s51
	s_wait_dscnt 0x0
	s_barrier_signal -1
	s_barrier_wait -1
	s_barrier_signal -1
	s_barrier_wait -1
	s_and_saveexec_b32 s51, s0
; %bb.828:                              ;   in Loop: Header=BB44_3 Depth=1
	v_xor_b32_e32 v1, 0x80000000, v1
	ds_store_b64 v64, v[0:1] offset:24976
; %bb.829:                              ;   in Loop: Header=BB44_3 Depth=1
	s_or_b32 exec_lo, exec_lo, s51
	s_wait_dscnt 0x0
	s_barrier_signal -1
	s_barrier_wait -1
	s_barrier_signal -1
	s_barrier_wait -1
	s_and_saveexec_b32 s51, s94
	s_cbranch_execz .LBB44_831
; %bb.830:                              ;   in Loop: Header=BB44_3 Depth=1
	ds_load_b64 v[0:1], v11 offset:24976
	s_wait_dscnt 0x0
	ds_store_b64 v7, v[0:1] offset:25984
	ds_load_b64 v[0:1], v11 offset:24984
	s_wait_dscnt 0x0
	ds_store_b64 v7, v[0:1] offset:26496
.LBB44_831:                             ;   in Loop: Header=BB44_3 Depth=1
	s_or_b32 exec_lo, exec_lo, s51
	s_wait_dscnt 0x0
	s_barrier_signal -1
	s_barrier_wait -1
	s_and_saveexec_b32 s51, s10
	s_cbranch_execz .LBB44_833
; %bb.832:                              ;   in Loop: Header=BB44_3 Depth=1
	ds_load_b64 v[0:1], v9 offset:26008
	v_mov_b32_e32 v2, v9
	ds_store_b64 v9, v[30:31] offset:26000
	s_wait_dscnt 0x1
	ds_store_b128 v9, v[0:3] offset:26512
.LBB44_833:                             ;   in Loop: Header=BB44_3 Depth=1
	s_or_b32 exec_lo, exec_lo, s51
	v_mov_b64_e32 v[0:1], 0
	s_wait_dscnt 0x0
	s_barrier_signal -1
	s_barrier_wait -1
	s_and_saveexec_b32 s61, s2
	s_cbranch_execz .LBB44_839
; %bb.834:                              ;   in Loop: Header=BB44_3 Depth=1
	ds_load_b64 v[0:1], v68 offset:24992
	ds_load_b64 v[42:43], v55 offset:24960
	s_wait_dscnt 0x0
	v_fma_f64 v[0:1], v[0:1], v[42:43], 0
	s_and_saveexec_b32 s51, s12
	s_cbranch_execnz .LBB44_1107
; %bb.835:                              ;   in Loop: Header=BB44_3 Depth=1
	s_or_b32 exec_lo, exec_lo, s51
	s_and_saveexec_b32 s51, s13
	s_cbranch_execnz .LBB44_1108
.LBB44_836:                             ;   in Loop: Header=BB44_3 Depth=1
	s_or_b32 exec_lo, exec_lo, s51
	s_and_saveexec_b32 s51, s0
	s_cbranch_execz .LBB44_838
.LBB44_837:                             ;   in Loop: Header=BB44_3 Depth=1
	ds_load_b64 v[42:43], v48 offset:26528
	ds_load_b64 v[44:45], v9 offset:24984
	s_wait_dscnt 0x0
	v_fmac_f64_e32 v[0:1], v[42:43], v[44:45]
.LBB44_838:                             ;   in Loop: Header=BB44_3 Depth=1
	s_or_b32 exec_lo, exec_lo, s51
	s_delay_alu instid0(VALU_DEP_1)
	v_xor_b32_e32 v1, 0x80000000, v1
.LBB44_839:                             ;   in Loop: Header=BB44_3 Depth=1
	s_or_b32 exec_lo, exec_lo, s61
	s_and_saveexec_b32 s51, s95
; %bb.840:                              ;   in Loop: Header=BB44_3 Depth=1
	ds_store_b64 v66, v[0:1]
; %bb.841:                              ;   in Loop: Header=BB44_3 Depth=1
	s_or_b32 exec_lo, exec_lo, s51
	s_wait_dscnt 0x0
	s_barrier_signal -1
	s_barrier_wait -1
	s_and_saveexec_b32 s51, s96
	s_cbranch_execz .LBB44_843
; %bb.842:                              ;   in Loop: Header=BB44_3 Depth=1
	ds_load_b64 v[42:43], v63 offset:27040
	ds_load_b64 v[44:45], v66
	s_wait_dscnt 0x0
	v_fmac_f64_e32 v[0:1], v[42:43], v[44:45]
.LBB44_843:                             ;   in Loop: Header=BB44_3 Depth=1
	s_or_b32 exec_lo, exec_lo, s51
	s_barrier_signal -1
	s_barrier_wait -1
	s_and_saveexec_b32 s51, s97
; %bb.844:                              ;   in Loop: Header=BB44_3 Depth=1
	ds_store_b64 v66, v[0:1]
; %bb.845:                              ;   in Loop: Header=BB44_3 Depth=1
	s_or_b32 exec_lo, exec_lo, s51
	s_wait_dscnt 0x0
	s_barrier_signal -1
	s_barrier_wait -1
	s_and_saveexec_b32 s51, s98
	s_cbranch_execz .LBB44_847
; %bb.846:                              ;   in Loop: Header=BB44_3 Depth=1
	ds_load_b64 v[42:43], v63 offset:27552
	ds_load_b64 v[44:45], v66
	s_wait_dscnt 0x0
	v_fmac_f64_e32 v[0:1], v[42:43], v[44:45]
.LBB44_847:                             ;   in Loop: Header=BB44_3 Depth=1
	s_or_b32 exec_lo, exec_lo, s51
	s_barrier_signal -1
	s_barrier_wait -1
	;; [unrolled: 19-line block ×3, first 2 shown]
	s_and_saveexec_b32 s51, s100
; %bb.852:                              ;   in Loop: Header=BB44_3 Depth=1
	ds_store_b64 v66, v[0:1]
; %bb.853:                              ;   in Loop: Header=BB44_3 Depth=1
	s_or_b32 exec_lo, exec_lo, s51
	s_wait_dscnt 0x0
	s_barrier_signal -1
	s_barrier_wait -1
	s_barrier_signal -1
	s_barrier_wait -1
	s_and_saveexec_b32 s51, s2
; %bb.854:                              ;   in Loop: Header=BB44_3 Depth=1
	v_xor_b32_e32 v1, 0x80000000, v1
	ds_store_b64 v68, v[0:1] offset:24992
; %bb.855:                              ;   in Loop: Header=BB44_3 Depth=1
	s_or_b32 exec_lo, exec_lo, s51
	s_wait_dscnt 0x0
	s_barrier_signal -1
	s_barrier_wait -1
	s_barrier_signal -1
	s_barrier_wait -1
	s_and_saveexec_b32 s51, s101
	s_cbranch_execz .LBB44_857
; %bb.856:                              ;   in Loop: Header=BB44_3 Depth=1
	ds_load_b64 v[0:1], v49 offset:24992
	s_wait_dscnt 0x0
	ds_store_b64 v50, v[0:1] offset:27008
	ds_load_b64 v[0:1], v49 offset:25000
	s_wait_dscnt 0x0
	ds_store_b64 v50, v[0:1] offset:27520
	;; [unrolled: 3-line block ×4, first 2 shown]
.LBB44_857:                             ;   in Loop: Header=BB44_3 Depth=1
	s_or_b32 exec_lo, exec_lo, s51
	s_wait_dscnt 0x0
	s_barrier_signal -1
	s_barrier_wait -1
	s_and_saveexec_b32 s51, s10
	s_cbranch_execz .LBB44_859
; %bb.858:                              ;   in Loop: Header=BB44_3 Depth=1
	ds_load_b64 v[0:1], v9 offset:27048
	v_mov_b32_e32 v2, v9
	ds_store_b64 v9, v[30:31] offset:27040
	s_wait_dscnt 0x1
	ds_store_b128 v9, v[0:3] offset:27552
.LBB44_859:                             ;   in Loop: Header=BB44_3 Depth=1
	s_or_b32 exec_lo, exec_lo, s51
	v_mov_b64_e32 v[0:1], 0
	s_wait_dscnt 0x0
	s_barrier_signal -1
	s_barrier_wait -1
	s_and_saveexec_b32 s51, s0
	s_cbranch_execz .LBB44_863
; %bb.860:                              ;   in Loop: Header=BB44_3 Depth=1
	ds_load_b64 v[0:1], v64 offset:27056
	ds_load_b64 v[42:43], v65 offset:27040
	s_wait_dscnt 0x0
	v_fma_f64 v[0:1], v[0:1], v[42:43], 0
	s_and_saveexec_b32 s52, s11
	s_cbranch_execz .LBB44_862
; %bb.861:                              ;   in Loop: Header=BB44_3 Depth=1
	ds_load_b64 v[42:43], v50 offset:27568
	ds_load_b64 v[44:45], v9 offset:27048
	s_wait_dscnt 0x0
	v_fmac_f64_e32 v[0:1], v[42:43], v[44:45]
.LBB44_862:                             ;   in Loop: Header=BB44_3 Depth=1
	s_or_b32 exec_lo, exec_lo, s52
	s_delay_alu instid0(VALU_DEP_1)
	v_xor_b32_e32 v1, 0x80000000, v1
.LBB44_863:                             ;   in Loop: Header=BB44_3 Depth=1
	s_or_b32 exec_lo, exec_lo, s51
	s_and_saveexec_b32 s51, s92
; %bb.864:                              ;   in Loop: Header=BB44_3 Depth=1
	ds_store_b64 v56, v[0:1]
; %bb.865:                              ;   in Loop: Header=BB44_3 Depth=1
	s_or_b32 exec_lo, exec_lo, s51
	s_wait_dscnt 0x0
	s_barrier_signal -1
	s_barrier_wait -1
	s_and_saveexec_b32 s51, s93
	s_cbranch_execz .LBB44_867
; %bb.866:                              ;   in Loop: Header=BB44_3 Depth=1
	ds_load_b64 v[42:43], v9 offset:28088
	ds_load_b64 v[44:45], v56
	s_wait_dscnt 0x0
	v_fmac_f64_e32 v[0:1], v[42:43], v[44:45]
.LBB44_867:                             ;   in Loop: Header=BB44_3 Depth=1
	s_or_b32 exec_lo, exec_lo, s51
	s_barrier_signal -1
	s_barrier_wait -1
	s_and_saveexec_b32 s51, s93
; %bb.868:                              ;   in Loop: Header=BB44_3 Depth=1
	ds_store_b64 v56, v[0:1]
; %bb.869:                              ;   in Loop: Header=BB44_3 Depth=1
	s_or_b32 exec_lo, exec_lo, s51
	s_wait_dscnt 0x0
	s_barrier_signal -1
	s_barrier_wait -1
	s_barrier_signal -1
	s_barrier_wait -1
	s_and_saveexec_b32 s51, s0
; %bb.870:                              ;   in Loop: Header=BB44_3 Depth=1
	v_xor_b32_e32 v1, 0x80000000, v1
	ds_store_b64 v64, v[0:1] offset:27056
; %bb.871:                              ;   in Loop: Header=BB44_3 Depth=1
	s_or_b32 exec_lo, exec_lo, s51
	s_wait_dscnt 0x0
	s_barrier_signal -1
	s_barrier_wait -1
	s_barrier_signal -1
	s_barrier_wait -1
	s_and_saveexec_b32 s51, s94
	s_cbranch_execz .LBB44_873
; %bb.872:                              ;   in Loop: Header=BB44_3 Depth=1
	ds_load_b64 v[0:1], v51 offset:27056
	s_wait_dscnt 0x0
	ds_store_b64 v50, v[0:1] offset:28064
	ds_load_b64 v[0:1], v51 offset:27064
	s_wait_dscnt 0x0
	ds_store_b64 v50, v[0:1] offset:28576
.LBB44_873:                             ;   in Loop: Header=BB44_3 Depth=1
	s_or_b32 exec_lo, exec_lo, s51
	s_wait_dscnt 0x0
	s_barrier_signal -1
	s_barrier_wait -1
	s_and_saveexec_b32 s51, s10
	s_cbranch_execz .LBB44_875
; %bb.874:                              ;   in Loop: Header=BB44_3 Depth=1
	ds_load_b64 v[0:1], v9 offset:28088
	v_mov_b32_e32 v2, v9
	ds_store_b64 v9, v[30:31] offset:28080
	s_wait_dscnt 0x1
	ds_store_b128 v9, v[0:3] offset:28592
.LBB44_875:                             ;   in Loop: Header=BB44_3 Depth=1
	s_or_b32 exec_lo, exec_lo, s51
	v_mov_b64_e32 v[0:1], 0
	s_wait_dscnt 0x0
	s_barrier_signal -1
	s_barrier_wait -1
	s_and_saveexec_b32 s61, s3
	s_cbranch_execz .LBB44_885
; %bb.876:                              ;   in Loop: Header=BB44_3 Depth=1
	ds_load_b64 v[0:1], v72 offset:25024
	ds_load_b64 v[42:43], v58 offset:24960
	s_wait_dscnt 0x0
	v_fma_f64 v[0:1], v[0:1], v[42:43], 0
	s_and_saveexec_b32 s51, s14
	s_cbranch_execnz .LBB44_1109
; %bb.877:                              ;   in Loop: Header=BB44_3 Depth=1
	s_or_b32 exec_lo, exec_lo, s51
	s_and_saveexec_b32 s51, s15
	s_cbranch_execnz .LBB44_1110
.LBB44_878:                             ;   in Loop: Header=BB44_3 Depth=1
	s_or_b32 exec_lo, exec_lo, s51
	s_and_saveexec_b32 s51, s16
	s_cbranch_execnz .LBB44_1111
.LBB44_879:                             ;   in Loop: Header=BB44_3 Depth=1
	s_or_b32 exec_lo, exec_lo, s51
	s_and_saveexec_b32 s51, s17
	s_cbranch_execnz .LBB44_1112
.LBB44_880:                             ;   in Loop: Header=BB44_3 Depth=1
	s_or_b32 exec_lo, exec_lo, s51
	s_and_saveexec_b32 s51, s18
	s_cbranch_execnz .LBB44_1113
.LBB44_881:                             ;   in Loop: Header=BB44_3 Depth=1
	s_or_b32 exec_lo, exec_lo, s51
	s_and_saveexec_b32 s51, s2
	s_cbranch_execnz .LBB44_1114
.LBB44_882:                             ;   in Loop: Header=BB44_3 Depth=1
	s_or_b32 exec_lo, exec_lo, s51
	s_and_saveexec_b32 s51, s13
	s_cbranch_execz .LBB44_884
.LBB44_883:                             ;   in Loop: Header=BB44_3 Depth=1
	ds_load_b64 v[42:43], v52 offset:28608
	ds_load_b64 v[44:45], v9 offset:25016
	s_wait_dscnt 0x0
	v_fmac_f64_e32 v[0:1], v[42:43], v[44:45]
.LBB44_884:                             ;   in Loop: Header=BB44_3 Depth=1
	s_or_b32 exec_lo, exec_lo, s51
	s_delay_alu instid0(VALU_DEP_1)
	v_xor_b32_e32 v1, 0x80000000, v1
.LBB44_885:                             ;   in Loop: Header=BB44_3 Depth=1
	s_or_b32 exec_lo, exec_lo, s61
	s_and_saveexec_b32 s51, s102
; %bb.886:                              ;   in Loop: Header=BB44_3 Depth=1
	ds_store_b64 v71, v[0:1]
; %bb.887:                              ;   in Loop: Header=BB44_3 Depth=1
	s_or_b32 exec_lo, exec_lo, s51
	s_wait_dscnt 0x0
	s_barrier_signal -1
	s_barrier_wait -1
	s_and_saveexec_b32 s51, s103
	s_cbranch_execz .LBB44_889
; %bb.888:                              ;   in Loop: Header=BB44_3 Depth=1
	ds_load_b64 v[42:43], v67 offset:29120
	ds_load_b64 v[44:45], v71
	s_wait_dscnt 0x0
	v_fmac_f64_e32 v[0:1], v[42:43], v[44:45]
.LBB44_889:                             ;   in Loop: Header=BB44_3 Depth=1
	s_or_b32 exec_lo, exec_lo, s51
	s_barrier_signal -1
	s_barrier_wait -1
	s_and_saveexec_b32 s51, s104
; %bb.890:                              ;   in Loop: Header=BB44_3 Depth=1
	ds_store_b64 v71, v[0:1]
; %bb.891:                              ;   in Loop: Header=BB44_3 Depth=1
	s_or_b32 exec_lo, exec_lo, s51
	s_wait_dscnt 0x0
	s_barrier_signal -1
	s_barrier_wait -1
	s_and_saveexec_b32 s51, vcc_hi
	s_cbranch_execz .LBB44_893
; %bb.892:                              ;   in Loop: Header=BB44_3 Depth=1
	ds_load_b64 v[42:43], v67 offset:29632
	ds_load_b64 v[44:45], v71
	s_wait_dscnt 0x0
	v_fmac_f64_e32 v[0:1], v[42:43], v[44:45]
.LBB44_893:                             ;   in Loop: Header=BB44_3 Depth=1
	s_or_b32 exec_lo, exec_lo, s51
	s_barrier_signal -1
	s_barrier_wait -1
	s_and_saveexec_b32 s51, s31
; %bb.894:                              ;   in Loop: Header=BB44_3 Depth=1
	ds_store_b64 v71, v[0:1]
; %bb.895:                              ;   in Loop: Header=BB44_3 Depth=1
	s_or_b32 exec_lo, exec_lo, s51
	s_wait_dscnt 0x0
	s_barrier_signal -1
	s_barrier_wait -1
	s_and_saveexec_b32 s51, s33
	s_cbranch_execz .LBB44_897
; %bb.896:                              ;   in Loop: Header=BB44_3 Depth=1
	ds_load_b64 v[42:43], v67 offset:30144
	ds_load_b64 v[44:45], v71
	s_wait_dscnt 0x0
	v_fmac_f64_e32 v[0:1], v[42:43], v[44:45]
.LBB44_897:                             ;   in Loop: Header=BB44_3 Depth=1
	s_or_b32 exec_lo, exec_lo, s51
	s_barrier_signal -1
	s_barrier_wait -1
	s_and_saveexec_b32 s51, s34
; %bb.898:                              ;   in Loop: Header=BB44_3 Depth=1
	ds_store_b64 v71, v[0:1]
; %bb.899:                              ;   in Loop: Header=BB44_3 Depth=1
	s_or_b32 exec_lo, exec_lo, s51
	s_wait_dscnt 0x0
	s_barrier_signal -1
	s_barrier_wait -1
	s_and_saveexec_b32 s51, s35
	;; [unrolled: 19-line block ×5, first 2 shown]
	s_cbranch_execz .LBB44_913
; %bb.912:                              ;   in Loop: Header=BB44_3 Depth=1
	ds_load_b64 v[42:43], v9 offset:32248
	ds_load_b64 v[44:45], v71
	s_wait_dscnt 0x0
	v_fmac_f64_e32 v[0:1], v[42:43], v[44:45]
.LBB44_913:                             ;   in Loop: Header=BB44_3 Depth=1
	s_or_b32 exec_lo, exec_lo, s51
	s_barrier_signal -1
	s_barrier_wait -1
	s_and_saveexec_b32 s51, s41
; %bb.914:                              ;   in Loop: Header=BB44_3 Depth=1
	ds_store_b64 v71, v[0:1]
; %bb.915:                              ;   in Loop: Header=BB44_3 Depth=1
	s_or_b32 exec_lo, exec_lo, s51
	s_wait_dscnt 0x0
	s_barrier_signal -1
	s_barrier_wait -1
	s_barrier_signal -1
	s_barrier_wait -1
	s_and_saveexec_b32 s51, s3
; %bb.916:                              ;   in Loop: Header=BB44_3 Depth=1
	v_xor_b32_e32 v1, 0x80000000, v1
	ds_store_b64 v72, v[0:1] offset:25024
; %bb.917:                              ;   in Loop: Header=BB44_3 Depth=1
	s_or_b32 exec_lo, exec_lo, s51
	s_wait_dscnt 0x0
	s_barrier_signal -1
	s_barrier_wait -1
	s_barrier_signal -1
	s_barrier_wait -1
	s_and_saveexec_b32 s51, s42
	s_cbranch_execz .LBB44_919
; %bb.918:                              ;   in Loop: Header=BB44_3 Depth=1
	ds_load_b64 v[0:1], v53 offset:25024
	s_wait_dscnt 0x0
	ds_store_b64 v54, v[0:1] offset:29056
	ds_load_b64 v[0:1], v53 offset:25032
	s_wait_dscnt 0x0
	ds_store_b64 v54, v[0:1] offset:29568
	ds_load_b64 v[0:1], v53 offset:25040
	s_wait_dscnt 0x0
	ds_store_b64 v54, v[0:1] offset:30080
	ds_load_b64 v[0:1], v53 offset:25048
	s_wait_dscnt 0x0
	ds_store_b64 v54, v[0:1] offset:30592
	ds_load_b64 v[0:1], v53 offset:25056
	s_wait_dscnt 0x0
	ds_store_b64 v54, v[0:1] offset:31104
	ds_load_b64 v[0:1], v53 offset:25064
	s_wait_dscnt 0x0
	ds_store_b64 v54, v[0:1] offset:31616
	ds_load_b64 v[0:1], v53 offset:25072
	s_wait_dscnt 0x0
	ds_store_b64 v54, v[0:1] offset:32128
	ds_load_b64 v[0:1], v53 offset:25080
	s_wait_dscnt 0x0
	ds_store_b64 v54, v[0:1] offset:32640
.LBB44_919:                             ;   in Loop: Header=BB44_3 Depth=1
	s_or_b32 exec_lo, exec_lo, s51
	s_wait_dscnt 0x0
	s_barrier_signal -1
	s_barrier_wait -1
	s_and_saveexec_b32 s51, s10
	s_cbranch_execz .LBB44_921
; %bb.920:                              ;   in Loop: Header=BB44_3 Depth=1
	ds_load_b64 v[0:1], v9 offset:29128
	v_mov_b32_e32 v2, v9
	ds_store_b64 v9, v[30:31] offset:29120
	s_wait_dscnt 0x1
	ds_store_b128 v9, v[0:3] offset:29632
.LBB44_921:                             ;   in Loop: Header=BB44_3 Depth=1
	s_or_b32 exec_lo, exec_lo, s51
	v_mov_b64_e32 v[0:1], 0
	s_wait_dscnt 0x0
	s_barrier_signal -1
	s_barrier_wait -1
	s_and_saveexec_b32 s51, s0
	s_cbranch_execz .LBB44_925
; %bb.922:                              ;   in Loop: Header=BB44_3 Depth=1
	ds_load_b64 v[0:1], v64 offset:29136
	ds_load_b64 v[42:43], v65 offset:29120
	s_wait_dscnt 0x0
	v_fma_f64 v[0:1], v[0:1], v[42:43], 0
	s_and_saveexec_b32 s52, s11
	s_cbranch_execz .LBB44_924
; %bb.923:                              ;   in Loop: Header=BB44_3 Depth=1
	ds_load_b64 v[42:43], v54 offset:29648
	ds_load_b64 v[44:45], v9 offset:29128
	s_wait_dscnt 0x0
	v_fmac_f64_e32 v[0:1], v[42:43], v[44:45]
.LBB44_924:                             ;   in Loop: Header=BB44_3 Depth=1
	s_or_b32 exec_lo, exec_lo, s52
	s_delay_alu instid0(VALU_DEP_1)
	v_xor_b32_e32 v1, 0x80000000, v1
.LBB44_925:                             ;   in Loop: Header=BB44_3 Depth=1
	s_or_b32 exec_lo, exec_lo, s51
	s_and_saveexec_b32 s51, s92
; %bb.926:                              ;   in Loop: Header=BB44_3 Depth=1
	ds_store_b64 v56, v[0:1]
; %bb.927:                              ;   in Loop: Header=BB44_3 Depth=1
	s_or_b32 exec_lo, exec_lo, s51
	s_wait_dscnt 0x0
	s_barrier_signal -1
	s_barrier_wait -1
	s_and_saveexec_b32 s51, s93
	s_cbranch_execz .LBB44_929
; %bb.928:                              ;   in Loop: Header=BB44_3 Depth=1
	ds_load_b64 v[42:43], v9 offset:30168
	ds_load_b64 v[44:45], v56
	s_wait_dscnt 0x0
	v_fmac_f64_e32 v[0:1], v[42:43], v[44:45]
.LBB44_929:                             ;   in Loop: Header=BB44_3 Depth=1
	s_or_b32 exec_lo, exec_lo, s51
	s_barrier_signal -1
	s_barrier_wait -1
	s_and_saveexec_b32 s51, s93
; %bb.930:                              ;   in Loop: Header=BB44_3 Depth=1
	ds_store_b64 v56, v[0:1]
; %bb.931:                              ;   in Loop: Header=BB44_3 Depth=1
	s_or_b32 exec_lo, exec_lo, s51
	s_wait_dscnt 0x0
	s_barrier_signal -1
	s_barrier_wait -1
	s_barrier_signal -1
	s_barrier_wait -1
	s_and_saveexec_b32 s51, s0
; %bb.932:                              ;   in Loop: Header=BB44_3 Depth=1
	v_xor_b32_e32 v1, 0x80000000, v1
	ds_store_b64 v64, v[0:1] offset:29136
; %bb.933:                              ;   in Loop: Header=BB44_3 Depth=1
	s_or_b32 exec_lo, exec_lo, s51
	s_wait_dscnt 0x0
	s_barrier_signal -1
	s_barrier_wait -1
	s_barrier_signal -1
	s_barrier_wait -1
	s_and_saveexec_b32 s51, s94
	s_cbranch_execz .LBB44_935
; %bb.934:                              ;   in Loop: Header=BB44_3 Depth=1
	ds_load_b64 v[0:1], v57 offset:29136
	s_wait_dscnt 0x0
	ds_store_b64 v54, v[0:1] offset:30144
	ds_load_b64 v[0:1], v57 offset:29144
	s_wait_dscnt 0x0
	ds_store_b64 v54, v[0:1] offset:30656
.LBB44_935:                             ;   in Loop: Header=BB44_3 Depth=1
	s_or_b32 exec_lo, exec_lo, s51
	s_wait_dscnt 0x0
	s_barrier_signal -1
	s_barrier_wait -1
	s_and_saveexec_b32 s51, s10
	s_cbranch_execz .LBB44_937
; %bb.936:                              ;   in Loop: Header=BB44_3 Depth=1
	ds_load_b64 v[0:1], v9 offset:30168
	v_mov_b32_e32 v2, v9
	ds_store_b64 v9, v[30:31] offset:30160
	s_wait_dscnt 0x1
	ds_store_b128 v9, v[0:3] offset:30672
.LBB44_937:                             ;   in Loop: Header=BB44_3 Depth=1
	s_or_b32 exec_lo, exec_lo, s51
	v_mov_b64_e32 v[0:1], 0
	s_wait_dscnt 0x0
	s_barrier_signal -1
	s_barrier_wait -1
	s_and_saveexec_b32 s61, s2
	s_cbranch_execz .LBB44_943
; %bb.938:                              ;   in Loop: Header=BB44_3 Depth=1
	ds_load_b64 v[0:1], v68 offset:29152
	ds_load_b64 v[42:43], v55 offset:29120
	s_wait_dscnt 0x0
	v_fma_f64 v[0:1], v[0:1], v[42:43], 0
	s_and_saveexec_b32 s51, s12
	s_cbranch_execnz .LBB44_1115
; %bb.939:                              ;   in Loop: Header=BB44_3 Depth=1
	s_or_b32 exec_lo, exec_lo, s51
	s_and_saveexec_b32 s51, s13
	s_cbranch_execnz .LBB44_1116
.LBB44_940:                             ;   in Loop: Header=BB44_3 Depth=1
	s_or_b32 exec_lo, exec_lo, s51
	s_and_saveexec_b32 s51, s0
	s_cbranch_execz .LBB44_942
.LBB44_941:                             ;   in Loop: Header=BB44_3 Depth=1
	ds_load_b64 v[42:43], v59 offset:30688
	ds_load_b64 v[44:45], v9 offset:29144
	s_wait_dscnt 0x0
	v_fmac_f64_e32 v[0:1], v[42:43], v[44:45]
.LBB44_942:                             ;   in Loop: Header=BB44_3 Depth=1
	s_or_b32 exec_lo, exec_lo, s51
	s_delay_alu instid0(VALU_DEP_1)
	v_xor_b32_e32 v1, 0x80000000, v1
.LBB44_943:                             ;   in Loop: Header=BB44_3 Depth=1
	s_or_b32 exec_lo, exec_lo, s61
	s_and_saveexec_b32 s51, s95
; %bb.944:                              ;   in Loop: Header=BB44_3 Depth=1
	ds_store_b64 v66, v[0:1]
; %bb.945:                              ;   in Loop: Header=BB44_3 Depth=1
	s_or_b32 exec_lo, exec_lo, s51
	s_wait_dscnt 0x0
	s_barrier_signal -1
	s_barrier_wait -1
	s_and_saveexec_b32 s51, s96
	s_cbranch_execz .LBB44_947
; %bb.946:                              ;   in Loop: Header=BB44_3 Depth=1
	ds_load_b64 v[42:43], v63 offset:31200
	ds_load_b64 v[44:45], v66
	s_wait_dscnt 0x0
	v_fmac_f64_e32 v[0:1], v[42:43], v[44:45]
.LBB44_947:                             ;   in Loop: Header=BB44_3 Depth=1
	s_or_b32 exec_lo, exec_lo, s51
	s_barrier_signal -1
	s_barrier_wait -1
	s_and_saveexec_b32 s51, s97
; %bb.948:                              ;   in Loop: Header=BB44_3 Depth=1
	ds_store_b64 v66, v[0:1]
; %bb.949:                              ;   in Loop: Header=BB44_3 Depth=1
	s_or_b32 exec_lo, exec_lo, s51
	s_wait_dscnt 0x0
	s_barrier_signal -1
	s_barrier_wait -1
	s_and_saveexec_b32 s51, s98
	s_cbranch_execz .LBB44_951
; %bb.950:                              ;   in Loop: Header=BB44_3 Depth=1
	ds_load_b64 v[42:43], v63 offset:31712
	ds_load_b64 v[44:45], v66
	s_wait_dscnt 0x0
	v_fmac_f64_e32 v[0:1], v[42:43], v[44:45]
.LBB44_951:                             ;   in Loop: Header=BB44_3 Depth=1
	s_or_b32 exec_lo, exec_lo, s51
	s_barrier_signal -1
	s_barrier_wait -1
	;; [unrolled: 19-line block ×3, first 2 shown]
	s_and_saveexec_b32 s51, s100
; %bb.956:                              ;   in Loop: Header=BB44_3 Depth=1
	ds_store_b64 v66, v[0:1]
; %bb.957:                              ;   in Loop: Header=BB44_3 Depth=1
	s_or_b32 exec_lo, exec_lo, s51
	s_wait_dscnt 0x0
	s_barrier_signal -1
	s_barrier_wait -1
	s_barrier_signal -1
	s_barrier_wait -1
	s_and_saveexec_b32 s51, s2
; %bb.958:                              ;   in Loop: Header=BB44_3 Depth=1
	v_xor_b32_e32 v1, 0x80000000, v1
	ds_store_b64 v68, v[0:1] offset:29152
; %bb.959:                              ;   in Loop: Header=BB44_3 Depth=1
	s_or_b32 exec_lo, exec_lo, s51
	s_wait_dscnt 0x0
	s_barrier_signal -1
	s_barrier_wait -1
	s_barrier_signal -1
	s_barrier_wait -1
	s_and_saveexec_b32 s51, s101
	s_cbranch_execz .LBB44_961
; %bb.960:                              ;   in Loop: Header=BB44_3 Depth=1
	ds_load_b64 v[0:1], v61 offset:29152
	s_wait_dscnt 0x0
	ds_store_b64 v79, v[0:1] offset:31168
	ds_load_b64 v[0:1], v61 offset:29160
	s_wait_dscnt 0x0
	ds_store_b64 v79, v[0:1] offset:31680
	;; [unrolled: 3-line block ×4, first 2 shown]
.LBB44_961:                             ;   in Loop: Header=BB44_3 Depth=1
	s_or_b32 exec_lo, exec_lo, s51
	s_wait_dscnt 0x0
	s_barrier_signal -1
	s_barrier_wait -1
	s_and_saveexec_b32 s51, s10
	s_cbranch_execz .LBB44_963
; %bb.962:                              ;   in Loop: Header=BB44_3 Depth=1
	ds_load_b64 v[0:1], v9 offset:31208
	v_mov_b32_e32 v2, v9
	ds_store_b64 v9, v[30:31] offset:31200
	s_wait_dscnt 0x1
	ds_store_b128 v9, v[0:3] offset:31712
.LBB44_963:                             ;   in Loop: Header=BB44_3 Depth=1
	s_or_b32 exec_lo, exec_lo, s51
	v_mov_b64_e32 v[0:1], 0
	s_wait_dscnt 0x0
	s_barrier_signal -1
	s_barrier_wait -1
	s_and_saveexec_b32 s51, s0
	s_cbranch_execz .LBB44_967
; %bb.964:                              ;   in Loop: Header=BB44_3 Depth=1
	ds_load_b64 v[0:1], v64 offset:31216
	ds_load_b64 v[42:43], v65 offset:31200
	s_wait_dscnt 0x0
	v_fma_f64 v[0:1], v[0:1], v[42:43], 0
	s_and_saveexec_b32 s52, s11
	s_cbranch_execz .LBB44_966
; %bb.965:                              ;   in Loop: Header=BB44_3 Depth=1
	ds_load_b64 v[42:43], v79 offset:31728
	ds_load_b64 v[44:45], v9 offset:31208
	s_wait_dscnt 0x0
	v_fmac_f64_e32 v[0:1], v[42:43], v[44:45]
.LBB44_966:                             ;   in Loop: Header=BB44_3 Depth=1
	s_or_b32 exec_lo, exec_lo, s52
	s_delay_alu instid0(VALU_DEP_1)
	v_xor_b32_e32 v1, 0x80000000, v1
.LBB44_967:                             ;   in Loop: Header=BB44_3 Depth=1
	s_or_b32 exec_lo, exec_lo, s51
	s_and_saveexec_b32 s51, s92
; %bb.968:                              ;   in Loop: Header=BB44_3 Depth=1
	ds_store_b64 v56, v[0:1]
; %bb.969:                              ;   in Loop: Header=BB44_3 Depth=1
	s_or_b32 exec_lo, exec_lo, s51
	s_wait_dscnt 0x0
	s_barrier_signal -1
	s_barrier_wait -1
	s_and_saveexec_b32 s51, s93
	s_cbranch_execz .LBB44_971
; %bb.970:                              ;   in Loop: Header=BB44_3 Depth=1
	ds_load_b64 v[42:43], v9 offset:32248
	ds_load_b64 v[44:45], v56
	s_wait_dscnt 0x0
	v_fmac_f64_e32 v[0:1], v[42:43], v[44:45]
.LBB44_971:                             ;   in Loop: Header=BB44_3 Depth=1
	s_or_b32 exec_lo, exec_lo, s51
	s_barrier_signal -1
	s_barrier_wait -1
	s_and_saveexec_b32 s51, s93
; %bb.972:                              ;   in Loop: Header=BB44_3 Depth=1
	ds_store_b64 v56, v[0:1]
; %bb.973:                              ;   in Loop: Header=BB44_3 Depth=1
	s_or_b32 exec_lo, exec_lo, s51
	s_wait_dscnt 0x0
	s_barrier_signal -1
	s_barrier_wait -1
	s_barrier_signal -1
	s_barrier_wait -1
	s_and_saveexec_b32 s51, s0
; %bb.974:                              ;   in Loop: Header=BB44_3 Depth=1
	v_xor_b32_e32 v1, 0x80000000, v1
	ds_store_b64 v64, v[0:1] offset:31216
; %bb.975:                              ;   in Loop: Header=BB44_3 Depth=1
	s_or_b32 exec_lo, exec_lo, s51
	s_wait_dscnt 0x0
	s_barrier_signal -1
	s_barrier_wait -1
	s_barrier_signal -1
	s_barrier_wait -1
	s_and_saveexec_b32 s51, s94
	s_cbranch_execz .LBB44_977
; %bb.976:                              ;   in Loop: Header=BB44_3 Depth=1
	ds_load_b64 v[0:1], v80 offset:31216
	s_wait_dscnt 0x0
	ds_store_b64 v79, v[0:1] offset:32224
	ds_load_b64 v[0:1], v80 offset:31224
	s_wait_dscnt 0x0
	ds_store_b64 v79, v[0:1] offset:32736
.LBB44_977:                             ;   in Loop: Header=BB44_3 Depth=1
	s_or_b32 exec_lo, exec_lo, s51
	s_wait_dscnt 0x0
	s_barrier_signal -1
	s_barrier_wait -1
	s_and_saveexec_b32 s51, s10
	s_cbranch_execz .LBB44_979
; %bb.978:                              ;   in Loop: Header=BB44_3 Depth=1
	ds_load_b64 v[0:1], v9 offset:32248
	v_mov_b32_e32 v2, v9
	ds_store_b64 v9, v[30:31] offset:32240
	s_wait_dscnt 0x1
	ds_store_b128 v9, v[0:3] offset:32752
.LBB44_979:                             ;   in Loop: Header=BB44_3 Depth=1
	s_or_b32 exec_lo, exec_lo, s51
.LBB44_980:                             ;   in Loop: Header=BB44_3 Depth=1
	v_mov_b64_e32 v[0:1], 0
	s_mul_u64 s[52:53], s[72:73], s[76:77]
	s_wait_dscnt 0x0
	s_lshl_b64 s[52:53], s[52:53], 3
	s_barrier_signal -1
	s_add_nc_u64 s[82:83], s[66:67], s[52:53]
	s_barrier_wait -1
	s_and_saveexec_b32 s51, s49
	s_cbranch_execz .LBB44_982
; %bb.981:                              ;   in Loop: Header=BB44_3 Depth=1
	v_lshl_add_u64 v[0:1], v[18:19], 3, s[82:83]
	global_load_b64 v[0:1], v[0:1], off
	s_wait_loadcnt 0x0
	v_mul_f64_e64 v[0:1], v[0:1], -s[64:65]
.LBB44_982:                             ;   in Loop: Header=BB44_3 Depth=1
	s_or_b32 exec_lo, exec_lo, s51
	s_delay_alu instid0(SALU_CYCLE_1)
	s_and_not1_b32 vcc_lo, exec_lo, s50
	s_cbranch_vccnz .LBB44_1008
; %bb.983:                              ;   in Loop: Header=BB44_3 Depth=1
	v_mov_b32_e32 v2, -1
	s_lshl_b64 s[52:53], s[76:77], 2
	s_mov_b32 s61, 0
	s_add_nc_u64 s[84:85], s[74:75], s[52:53]
	s_branch .LBB44_986
.LBB44_984:                             ;   in Loop: Header=BB44_986 Depth=2
	s_wait_xcnt 0x0
	ds_load_b64 v[42:43], v86 offset:384
	s_wait_loadcnt_dscnt 0x0
	v_fmac_f64_e32 v[0:1], v[44:45], v[42:43]
.LBB44_985:                             ;   in Loop: Header=BB44_986 Depth=2
	s_or_b32 exec_lo, exec_lo, s51
	s_add_co_i32 s61, s61, 1
	s_delay_alu instid0(SALU_CYCLE_1)
	s_cmp_eq_u32 s61, s87
	s_cbranch_scc1 .LBB44_1008
.LBB44_986:                             ;   Parent Loop BB44_3 Depth=1
                                        ; =>  This Loop Header: Depth=2
                                        ;       Child Loop BB44_988 Depth 3
	v_cmp_gt_i32_e32 vcc_lo, s61, v2
	s_and_b32 s52, s55, vcc_lo
	s_delay_alu instid0(SALU_CYCLE_1)
	s_and_saveexec_b32 s51, s52
	s_cbranch_execz .LBB44_989
; %bb.987:                              ;   in Loop: Header=BB44_986 Depth=2
	global_load_b32 v2, v9, s[84:85]
	s_wait_loadcnt 0x0
	v_cmp_le_i32_e32 vcc_lo, s61, v2
	s_cbranch_vccnz .LBB44_989
.LBB44_988:                             ;   Parent Loop BB44_3 Depth=1
                                        ;     Parent Loop BB44_986 Depth=2
                                        ; =>    This Inner Loop Header: Depth=3
	global_wb scope:SCOPE_DEV
	s_wait_storecnt 0x0
	global_inv scope:SCOPE_DEV
	global_load_b32 v2, v9, s[84:85]
	s_wait_loadcnt 0x0
	v_cmp_gt_i32_e32 vcc_lo, s61, v2
	s_cbranch_vccnz .LBB44_988
.LBB44_989:                             ;   in Loop: Header=BB44_986 Depth=2
	s_or_b32 exec_lo, exec_lo, s51
	s_sub_co_i32 s60, s88, s61
	global_wb scope:SCOPE_DEV
	s_wait_storecnt 0x0
	global_inv scope:SCOPE_DEV
	s_lshl_b32 s51, s60, 6
	s_wait_loadcnt 0x0
	s_barrier_signal -1
	s_barrier_wait -1
	s_and_saveexec_b32 s52, s56
	s_cbranch_execz .LBB44_993
; %bb.990:                              ;   in Loop: Header=BB44_986 Depth=2
	s_ashr_i32 s53, s51, 31
	v_mov_b64_e32 v[44:45], 0
	v_dual_mov_b32 v43, s53 :: v_dual_bitop2_b32 v42, s51, v10 bitop3:0x54
	s_mov_b32 s53, exec_lo
	s_delay_alu instid0(VALU_DEP_1)
	v_cmpx_gt_i64_e64 s[78:79], v[42:43]
	s_cbranch_execz .LBB44_992
; %bb.991:                              ;   in Loop: Header=BB44_986 Depth=2
	v_mul_u64_e32 v[42:43], s[70:71], v[42:43]
	s_delay_alu instid0(VALU_DEP_1)
	v_lshl_add_u64 v[42:43], v[42:43], 3, s[82:83]
	global_load_b64 v[44:45], v[42:43], off
.LBB44_992:                             ;   in Loop: Header=BB44_986 Depth=2
	s_wait_xcnt 0x0
	s_or_b32 exec_lo, exec_lo, s53
	s_wait_loadcnt 0x0
	ds_store_b64 v91, v[44:45]
.LBB44_993:                             ;   in Loop: Header=BB44_986 Depth=2
	s_or_b32 exec_lo, exec_lo, s52
	v_add_nc_u32_e32 v44, s51, v4
	s_cmp_lg_u32 s60, s57
	s_wait_dscnt 0x0
	s_cselect_b32 s52, -1, 0
	s_barrier_signal -1
	v_ashrrev_i32_e32 v45, 31, v44
	v_cmp_gt_i32_e32 vcc_lo, s78, v44
	v_cndmask_b32_e64 v5, 0, 1, s52
	s_barrier_wait -1
	s_delay_alu instid0(VALU_DEP_3) | instskip(SKIP_1) | instid1(SALU_CYCLE_1)
	v_lshl_add_u64 v[42:43], v[44:45], 3, v[40:41]
	s_and_b32 s53, vcc_lo, s5
	s_and_saveexec_b32 s51, s53
	s_cbranch_execz .LBB44_997
; %bb.994:                              ;   in Loop: Header=BB44_986 Depth=2
	v_mov_b64_e32 v[46:47], v[32:33]
	s_and_not1_b32 vcc_lo, exec_lo, s52
	s_cbranch_vccnz .LBB44_996
; %bb.995:                              ;   in Loop: Header=BB44_986 Depth=2
	global_load_b64 v[46:47], v[42:43], off
.LBB44_996:                             ;   in Loop: Header=BB44_986 Depth=2
	ds_load_b64 v[98:99], v86
	s_wait_loadcnt_dscnt 0x0
	v_fmac_f64_e32 v[0:1], v[46:47], v[98:99]
.LBB44_997:                             ;   in Loop: Header=BB44_986 Depth=2
	s_or_b32 exec_lo, exec_lo, s51
	v_add_nc_u32_e32 v45, 16, v44
	s_delay_alu instid0(VALU_DEP_1) | instskip(SKIP_1) | instid1(SALU_CYCLE_1)
	v_cmp_gt_i32_e32 vcc_lo, s78, v45
	s_and_b32 s52, vcc_lo, s5
	s_and_saveexec_b32 s51, s52
	s_cbranch_execz .LBB44_1001
; %bb.998:                              ;   in Loop: Header=BB44_986 Depth=2
	v_cmp_ne_u32_e32 vcc_lo, 1, v5
	v_mov_b64_e32 v[46:47], v[34:35]
	s_cbranch_vccnz .LBB44_1000
; %bb.999:                              ;   in Loop: Header=BB44_986 Depth=2
	global_load_b64 v[46:47], v[42:43], off offset:128
.LBB44_1000:                            ;   in Loop: Header=BB44_986 Depth=2
	ds_load_b64 v[98:99], v86 offset:128
	s_wait_loadcnt_dscnt 0x0
	v_fmac_f64_e32 v[0:1], v[46:47], v[98:99]
.LBB44_1001:                            ;   in Loop: Header=BB44_986 Depth=2
	s_or_b32 exec_lo, exec_lo, s51
	v_add_nc_u32_e32 v45, 32, v44
	s_delay_alu instid0(VALU_DEP_1) | instskip(SKIP_1) | instid1(SALU_CYCLE_1)
	v_cmp_gt_i32_e32 vcc_lo, s78, v45
	s_and_b32 s52, vcc_lo, s5
	s_and_saveexec_b32 s51, s52
	s_cbranch_execz .LBB44_1005
; %bb.1002:                             ;   in Loop: Header=BB44_986 Depth=2
	v_cmp_ne_u32_e32 vcc_lo, 1, v5
	v_mov_b64_e32 v[46:47], v[36:37]
	s_cbranch_vccnz .LBB44_1004
; %bb.1003:                             ;   in Loop: Header=BB44_986 Depth=2
	global_load_b64 v[46:47], v[42:43], off offset:256
.LBB44_1004:                            ;   in Loop: Header=BB44_986 Depth=2
	ds_load_b64 v[98:99], v86 offset:256
	s_wait_loadcnt_dscnt 0x0
	v_fmac_f64_e32 v[0:1], v[46:47], v[98:99]
.LBB44_1005:                            ;   in Loop: Header=BB44_986 Depth=2
	s_or_b32 exec_lo, exec_lo, s51
	v_add_nc_u32_e32 v44, 48, v44
	s_delay_alu instid0(VALU_DEP_1) | instskip(SKIP_1) | instid1(SALU_CYCLE_1)
	v_cmp_gt_i32_e32 vcc_lo, s78, v44
	s_and_b32 s52, vcc_lo, s5
	s_and_saveexec_b32 s51, s52
	s_cbranch_execz .LBB44_985
; %bb.1006:                             ;   in Loop: Header=BB44_986 Depth=2
	v_cmp_ne_u32_e32 vcc_lo, 1, v5
	v_mov_b64_e32 v[44:45], v[38:39]
	s_cbranch_vccnz .LBB44_984
; %bb.1007:                             ;   in Loop: Header=BB44_986 Depth=2
	global_load_b64 v[44:45], v[42:43], off offset:384
	s_branch .LBB44_984
.LBB44_1008:                            ;   in Loop: Header=BB44_3 Depth=1
	ds_store_b64 v92, v[0:1]
	s_wait_dscnt 0x0
	s_barrier_signal -1
	s_barrier_wait -1
	s_and_saveexec_b32 s61, s1
	s_cbranch_execz .LBB44_1010
; %bb.1009:                             ;   in Loop: Header=BB44_3 Depth=1
	ds_load_2addr_stride64_b64 v[40:43], v93 offset0:1 offset1:2
	ds_load_2addr_stride64_b64 v[44:47], v93 offset0:3 offset1:4
	s_wait_dscnt 0x1
	v_add_f64_e32 v[0:1], v[0:1], v[40:41]
	s_delay_alu instid0(VALU_DEP_1) | instskip(SKIP_1) | instid1(VALU_DEP_1)
	v_add_f64_e32 v[0:1], v[0:1], v[42:43]
	s_wait_dscnt 0x0
	v_add_f64_e32 v[0:1], v[0:1], v[44:45]
	s_delay_alu instid0(VALU_DEP_1) | instskip(SKIP_4) | instid1(VALU_DEP_1)
	v_add_f64_e32 v[0:1], v[0:1], v[46:47]
	ds_load_2addr_stride64_b64 v[40:43], v93 offset0:5 offset1:6
	ds_load_2addr_stride64_b64 v[44:47], v93 offset0:7 offset1:8
	s_wait_dscnt 0x1
	v_add_f64_e32 v[0:1], v[0:1], v[40:41]
	v_add_f64_e32 v[0:1], v[0:1], v[42:43]
	s_wait_dscnt 0x0
	s_delay_alu instid0(VALU_DEP_1) | instskip(NEXT) | instid1(VALU_DEP_1)
	v_add_f64_e32 v[0:1], v[0:1], v[44:45]
	v_add_f64_e32 v[0:1], v[0:1], v[46:47]
	ds_load_2addr_stride64_b64 v[40:43], v93 offset0:9 offset1:10
	ds_load_2addr_stride64_b64 v[44:47], v93 offset0:11 offset1:12
	s_wait_dscnt 0x1
	v_add_f64_e32 v[0:1], v[0:1], v[40:41]
	s_delay_alu instid0(VALU_DEP_1) | instskip(SKIP_1) | instid1(VALU_DEP_1)
	v_add_f64_e32 v[0:1], v[0:1], v[42:43]
	s_wait_dscnt 0x0
	v_add_f64_e32 v[0:1], v[0:1], v[44:45]
	ds_load_2addr_stride64_b64 v[40:43], v93 offset0:13 offset1:14
	ds_load_b64 v[44:45], v93 offset:7680
	v_add_f64_e32 v[0:1], v[0:1], v[46:47]
	s_wait_dscnt 0x1
	s_delay_alu instid0(VALU_DEP_1) | instskip(NEXT) | instid1(VALU_DEP_1)
	v_add_f64_e32 v[0:1], v[0:1], v[40:41]
	v_add_f64_e32 v[0:1], v[0:1], v[42:43]
	s_wait_dscnt 0x0
	s_delay_alu instid0(VALU_DEP_1) | instskip(NEXT) | instid1(VALU_DEP_1)
	v_add_f64_e32 v[0:1], v[0:1], v[44:45]
	v_xor_b32_e32 v1, 0x80000000, v1
	s_delay_alu instid0(VALU_DEP_2) | instskip(NEXT) | instid1(VALU_DEP_2)
	v_cndmask_b32_e64 v0, v0, 0, s47
	v_cndmask_b32_e64 v1, v1, 0, s47
.LBB44_1010:                            ;   in Loop: Header=BB44_3 Depth=1
	s_or_b32 exec_lo, exec_lo, s61
	s_delay_alu instid0(SALU_CYCLE_1)
	s_and_not1_b32 vcc_lo, exec_lo, s91
	s_cbranch_vccnz .LBB44_1020
; %bb.1011:                             ;   in Loop: Header=BB44_3 Depth=1
	s_and_saveexec_b32 s51, s1
; %bb.1012:                             ;   in Loop: Header=BB44_3 Depth=1
	ds_store_b64 v95, v[0:1]
; %bb.1013:                             ;   in Loop: Header=BB44_3 Depth=1
	s_or_b32 exec_lo, exec_lo, s51
	v_mov_b64_e32 v[40:41], 0
	s_wait_dscnt 0x0
	s_barrier_signal -1
	s_barrier_wait -1
	s_and_saveexec_b32 s51, s6
	s_cbranch_execnz .LBB44_1060
; %bb.1014:                             ;   in Loop: Header=BB44_3 Depth=1
	s_or_b32 exec_lo, exec_lo, s51
	s_and_saveexec_b32 s51, s7
	s_cbranch_execnz .LBB44_1061
.LBB44_1015:                            ;   in Loop: Header=BB44_3 Depth=1
	s_or_b32 exec_lo, exec_lo, s51
	s_and_saveexec_b32 s51, s8
	s_cbranch_execnz .LBB44_1062
.LBB44_1016:                            ;   in Loop: Header=BB44_3 Depth=1
	s_or_b32 exec_lo, exec_lo, s51
	s_and_saveexec_b32 s51, s9
	s_cbranch_execz .LBB44_1018
.LBB44_1017:                            ;   in Loop: Header=BB44_3 Depth=1
	ds_load_b64 v[42:43], v94 offset:24576
	ds_load_b64 v[44:45], v86 offset:384
	s_wait_dscnt 0x0
	v_fmac_f64_e32 v[40:41], v[42:43], v[44:45]
.LBB44_1018:                            ;   in Loop: Header=BB44_3 Depth=1
	s_or_b32 exec_lo, exec_lo, s51
	s_mov_b32 s61, 0
	s_mov_b32 s84, 0
	ds_store_b64 v92, v[40:41]
	s_wait_dscnt 0x0
	s_barrier_signal -1
	s_barrier_wait -1
                                        ; implicit-def: $vgpr42_vgpr43
	s_and_saveexec_b32 s85, s1
	s_cbranch_execz .LBB44_1063
; %bb.1019:                             ;   in Loop: Header=BB44_3 Depth=1
	ds_load_2addr_stride64_b64 v[42:45], v93 offset0:1 offset1:2
	ds_load_2addr_stride64_b64 v[98:101], v93 offset0:3 offset1:4
	s_mov_b32 s84, exec_lo
	s_wait_dscnt 0x1
	v_add_f64_e32 v[40:41], v[40:41], v[42:43]
	s_delay_alu instid0(VALU_DEP_1) | instskip(SKIP_1) | instid1(VALU_DEP_1)
	v_add_f64_e32 v[40:41], v[44:45], v[40:41]
	s_wait_dscnt 0x0
	v_add_f64_e32 v[40:41], v[98:99], v[40:41]
	s_delay_alu instid0(VALU_DEP_1) | instskip(SKIP_4) | instid1(VALU_DEP_1)
	v_add_f64_e32 v[98:99], v[100:101], v[40:41]
	ds_load_2addr_stride64_b64 v[40:43], v93 offset0:5 offset1:6
	ds_load_2addr_stride64_b64 v[44:47], v93 offset0:7 offset1:8
	s_wait_dscnt 0x1
	v_add_f64_e32 v[40:41], v[40:41], v[98:99]
	v_add_f64_e32 v[40:41], v[42:43], v[40:41]
	s_wait_dscnt 0x0
	s_delay_alu instid0(VALU_DEP_1) | instskip(NEXT) | instid1(VALU_DEP_1)
	v_add_f64_e32 v[40:41], v[44:45], v[40:41]
	v_add_f64_e32 v[98:99], v[46:47], v[40:41]
	ds_load_2addr_stride64_b64 v[40:43], v93 offset0:9 offset1:10
	ds_load_2addr_stride64_b64 v[44:47], v93 offset0:11 offset1:12
	s_wait_dscnt 0x1
	v_add_f64_e32 v[40:41], v[40:41], v[98:99]
	s_delay_alu instid0(VALU_DEP_1) | instskip(SKIP_1) | instid1(VALU_DEP_1)
	v_add_f64_e32 v[40:41], v[42:43], v[40:41]
	s_wait_dscnt 0x0
	v_add_f64_e32 v[40:41], v[44:45], v[40:41]
	s_delay_alu instid0(VALU_DEP_1) | instskip(SKIP_4) | instid1(VALU_DEP_1)
	v_add_f64_e32 v[44:45], v[46:47], v[40:41]
	ds_load_2addr_stride64_b64 v[40:43], v93 offset0:13 offset1:14
	ds_load_b64 v[46:47], v93 offset:7680
	s_wait_dscnt 0x1
	v_add_f64_e32 v[40:41], v[40:41], v[44:45]
	v_add_f64_e32 v[40:41], v[42:43], v[40:41]
	s_wait_dscnt 0x0
	s_delay_alu instid0(VALU_DEP_1) | instskip(SKIP_1) | instid1(SALU_CYCLE_1)
	v_add_f64_e32 v[42:43], v[46:47], v[40:41]
	s_or_b32 exec_lo, exec_lo, s85
	s_and_b32 vcc_lo, exec_lo, s61
	s_cbranch_vccnz .LBB44_1021
	s_branch .LBB44_1064
.LBB44_1020:                            ;   in Loop: Header=BB44_3 Depth=1
	s_mov_b32 s84, 0
                                        ; implicit-def: $vgpr42_vgpr43
	s_cbranch_execz .LBB44_1064
.LBB44_1021:                            ;   in Loop: Header=BB44_3 Depth=1
	v_dual_mov_b32 v2, v96 :: v_dual_mov_b32 v5, v89
	s_mov_b32 s61, 63
	s_branch .LBB44_1023
.LBB44_1022:                            ;   in Loop: Header=BB44_1023 Depth=2
	s_or_b32 exec_lo, exec_lo, s51
	v_add_nc_u32_e32 v5, 0xfffff800, v5
	v_add_nc_u32_e32 v2, 4, v2
	s_add_co_i32 s61, s61, -4
	s_cmp_lg_u32 s60, 0
	s_barrier_signal -1
	s_barrier_wait -1
	s_cbranch_scc0 .LBB44_1039
.LBB44_1023:                            ;   Parent Loop BB44_3 Depth=1
                                        ; =>  This Inner Loop Header: Depth=2
	s_delay_alu instid0(VALU_DEP_1) | instskip(SKIP_1) | instid1(SALU_CYCLE_1)
	v_cmp_eq_u32_e32 vcc_lo, 0, v2
	s_and_b32 s52, s1, vcc_lo
	s_and_saveexec_b32 s51, s52
; %bb.1024:                             ;   in Loop: Header=BB44_1023 Depth=2
	ds_store_b64 v9, v[0:1] offset:41472
; %bb.1025:                             ;   in Loop: Header=BB44_1023 Depth=2
	s_or_b32 exec_lo, exec_lo, s51
	v_cmp_gt_u32_e32 vcc_lo, s61, v6
	s_wait_dscnt 0x0
	s_barrier_signal -1
	s_barrier_wait -1
	s_and_b32 s52, s1, vcc_lo
	s_delay_alu instid0(SALU_CYCLE_1)
	s_and_saveexec_b32 s51, s52
	s_cbranch_execz .LBB44_1027
; %bb.1026:                             ;   in Loop: Header=BB44_1023 Depth=2
	ds_load_b64 v[40:41], v5 offset:1536
	ds_load_b64 v[42:43], v9 offset:41472
	s_wait_dscnt 0x0
	v_fmac_f64_e32 v[0:1], v[40:41], v[42:43]
.LBB44_1027:                            ;   in Loop: Header=BB44_1023 Depth=2
	s_or_b32 exec_lo, exec_lo, s51
	s_add_co_i32 s51, s61, -1
	s_delay_alu instid0(SALU_CYCLE_1) | instskip(SKIP_3) | instid1(SALU_CYCLE_1)
	v_cmp_eq_u32_e32 vcc_lo, s51, v6
	s_barrier_signal -1
	s_barrier_wait -1
	s_and_b32 s53, s1, vcc_lo
	s_and_saveexec_b32 s52, s53
; %bb.1028:                             ;   in Loop: Header=BB44_1023 Depth=2
	ds_store_b64 v9, v[0:1] offset:41472
; %bb.1029:                             ;   in Loop: Header=BB44_1023 Depth=2
	s_or_b32 exec_lo, exec_lo, s52
	v_cmp_gt_u32_e32 vcc_lo, s51, v6
	s_wait_dscnt 0x0
	s_barrier_signal -1
	s_barrier_wait -1
	s_and_b32 s52, s1, vcc_lo
	s_delay_alu instid0(SALU_CYCLE_1)
	s_and_saveexec_b32 s51, s52
	s_cbranch_execz .LBB44_1031
; %bb.1030:                             ;   in Loop: Header=BB44_1023 Depth=2
	ds_load_b64 v[40:41], v5 offset:1024
	ds_load_b64 v[42:43], v9 offset:41472
	s_wait_dscnt 0x0
	v_fmac_f64_e32 v[0:1], v[40:41], v[42:43]
.LBB44_1031:                            ;   in Loop: Header=BB44_1023 Depth=2
	s_or_b32 exec_lo, exec_lo, s51
	s_add_co_i32 s51, s61, -2
	s_delay_alu instid0(SALU_CYCLE_1) | instskip(SKIP_3) | instid1(SALU_CYCLE_1)
	v_cmp_eq_u32_e32 vcc_lo, s51, v6
	s_barrier_signal -1
	s_barrier_wait -1
	;; [unrolled: 26-line block ×3, first 2 shown]
	s_and_b32 s52, s1, vcc_lo
	s_and_saveexec_b32 s51, s52
; %bb.1036:                             ;   in Loop: Header=BB44_1023 Depth=2
	ds_store_b64 v9, v[0:1] offset:41472
; %bb.1037:                             ;   in Loop: Header=BB44_1023 Depth=2
	s_or_b32 exec_lo, exec_lo, s51
	v_cmp_gt_u32_e32 vcc_lo, s60, v6
	s_wait_dscnt 0x0
	s_barrier_signal -1
	s_barrier_wait -1
	s_and_b32 s52, s1, vcc_lo
	s_delay_alu instid0(SALU_CYCLE_1)
	s_and_saveexec_b32 s51, s52
	s_cbranch_execz .LBB44_1022
; %bb.1038:                             ;   in Loop: Header=BB44_1023 Depth=2
	ds_load_b64 v[40:41], v5
	ds_load_b64 v[42:43], v9 offset:41472
	s_wait_dscnt 0x0
	v_fmac_f64_e32 v[0:1], v[40:41], v[42:43]
	s_branch .LBB44_1022
.LBB44_1039:                            ;   in Loop: Header=BB44_3 Depth=1
	s_and_b32 vcc_lo, exec_lo, s89
	s_mov_b32 s51, -1
	s_cbranch_vccnz .LBB44_1065
; %bb.1040:                             ;   in Loop: Header=BB44_3 Depth=1
	s_and_not1_b32 vcc_lo, exec_lo, s51
	s_cbranch_vccz .LBB44_1066
.LBB44_1041:                            ;   in Loop: Header=BB44_3 Depth=1
	s_and_saveexec_b32 s51, s84
	s_cbranch_execz .LBB44_1043
.LBB44_1042:                            ;   in Loop: Header=BB44_3 Depth=1
	v_lshl_add_u64 v[40:41], v[14:15], 3, s[82:83]
	global_store_b64 v[40:41], v[0:1], off
.LBB44_1043:                            ;   in Loop: Header=BB44_3 Depth=1
	s_wait_xcnt 0x0
	s_or_b32 exec_lo, exec_lo, s51
	global_wb scope:SCOPE_DEV
	s_wait_storecnt 0x0
	global_inv scope:SCOPE_DEV
	s_wait_loadcnt 0x0
	s_barrier_signal -1
	s_barrier_wait -1
	s_and_saveexec_b32 s51, s55
	s_cbranch_execz .LBB44_2
; %bb.1044:                             ;   in Loop: Header=BB44_3 Depth=1
	s_lshl_b64 s[52:53], s[76:77], 2
	s_delay_alu instid0(SALU_CYCLE_1)
	s_add_nc_u64 s[52:53], s[74:75], s[52:53]
	global_load_b32 v0, v9, s[52:53]
	s_wait_loadcnt 0x0
	v_add_nc_u32_e32 v0, 1, v0
	global_store_b32 v9, v0, s[52:53]
	s_branch .LBB44_2
.LBB44_1045:                            ;   in Loop: Header=BB44_3 Depth=1
	s_mov_b32 s52, exec_lo
	v_readlane_b32 s53, v97, 25
	s_and_b32 s53, s52, s53
	s_delay_alu instid0(SALU_CYCLE_1)
	s_mov_b32 exec_lo, s53
; %bb.1046:                             ;   in Loop: Header=BB44_3 Depth=1
	ds_store_b64 v82, v[28:29]
; %bb.1047:                             ;   in Loop: Header=BB44_3 Depth=1
	s_or_b32 exec_lo, exec_lo, s52
	s_and_not1_saveexec_b32 s51, s51
	s_cbranch_execz .LBB44_16
.LBB44_1048:                            ;   in Loop: Header=BB44_3 Depth=1
	v_lshl_add_u64 v[42:43], v[26:27], 3, v[0:1]
	global_load_b64 v[42:43], v[42:43], off
	s_wait_loadcnt 0x0
	v_xor_b32_e32 v43, 0x80000000, v43
	ds_store_b64 v82, v[42:43]
	s_or_b32 exec_lo, exec_lo, s51
	s_and_saveexec_b32 s51, s7
	s_delay_alu instid0(SALU_CYCLE_1)
	s_xor_b32 s51, exec_lo, s51
	s_cbranch_execz .LBB44_17
.LBB44_1049:                            ;   in Loop: Header=BB44_3 Depth=1
	s_mov_b32 s52, exec_lo
	v_readlane_b32 s53, v97, 26
	s_and_b32 s53, s52, s53
	s_delay_alu instid0(SALU_CYCLE_1)
	s_mov_b32 exec_lo, s53
; %bb.1050:                             ;   in Loop: Header=BB44_3 Depth=1
	ds_store_b64 v83, v[28:29]
; %bb.1051:                             ;   in Loop: Header=BB44_3 Depth=1
	s_or_b32 exec_lo, exec_lo, s52
	s_and_not1_saveexec_b32 s51, s51
	s_cbranch_execz .LBB44_18
.LBB44_1052:                            ;   in Loop: Header=BB44_3 Depth=1
	v_lshl_add_u64 v[42:43], v[24:25], 3, v[0:1]
	global_load_b64 v[42:43], v[42:43], off
	s_wait_loadcnt 0x0
	v_xor_b32_e32 v43, 0x80000000, v43
	ds_store_b64 v83, v[42:43]
	s_or_b32 exec_lo, exec_lo, s51
	s_and_saveexec_b32 s51, s8
	s_delay_alu instid0(SALU_CYCLE_1)
	s_xor_b32 s51, exec_lo, s51
	s_cbranch_execz .LBB44_19
.LBB44_1053:                            ;   in Loop: Header=BB44_3 Depth=1
	s_mov_b32 s52, exec_lo
	v_readlane_b32 s53, v97, 27
	s_and_b32 s53, s52, s53
	s_delay_alu instid0(SALU_CYCLE_1)
	s_mov_b32 exec_lo, s53
; %bb.1054:                             ;   in Loop: Header=BB44_3 Depth=1
	ds_store_b64 v84, v[28:29]
; %bb.1055:                             ;   in Loop: Header=BB44_3 Depth=1
	s_or_b32 exec_lo, exec_lo, s52
	s_and_not1_saveexec_b32 s51, s51
	s_cbranch_execz .LBB44_20
.LBB44_1056:                            ;   in Loop: Header=BB44_3 Depth=1
	v_lshl_add_u64 v[42:43], v[20:21], 3, v[0:1]
	global_load_b64 v[42:43], v[42:43], off
	s_wait_loadcnt 0x0
	v_xor_b32_e32 v43, 0x80000000, v43
	ds_store_b64 v84, v[42:43]
	s_or_b32 exec_lo, exec_lo, s51
	s_and_saveexec_b32 s51, s9
	s_delay_alu instid0(SALU_CYCLE_1)
	s_xor_b32 s51, exec_lo, s51
	s_cbranch_execz .LBB44_21
.LBB44_1057:                            ;   in Loop: Header=BB44_3 Depth=1
	s_mov_b32 s52, exec_lo
	v_readlane_b32 s53, v97, 28
	s_and_b32 s53, s52, s53
	s_delay_alu instid0(SALU_CYCLE_1)
	s_mov_b32 exec_lo, s53
; %bb.1058:                             ;   in Loop: Header=BB44_3 Depth=1
	ds_store_b64 v85, v[28:29]
; %bb.1059:                             ;   in Loop: Header=BB44_3 Depth=1
	s_or_b32 exec_lo, exec_lo, s52
	s_and_not1_saveexec_b32 s51, s51
	s_cbranch_execnz .LBB44_22
	s_branch .LBB44_23
.LBB44_1060:                            ;   in Loop: Header=BB44_3 Depth=1
	ds_load_b64 v[40:41], v94
	ds_load_b64 v[42:43], v86
	s_wait_dscnt 0x0
	v_fma_f64 v[40:41], v[40:41], v[42:43], 0
	s_or_b32 exec_lo, exec_lo, s51
	s_and_saveexec_b32 s51, s7
	s_cbranch_execz .LBB44_1015
.LBB44_1061:                            ;   in Loop: Header=BB44_3 Depth=1
	ds_load_b64 v[42:43], v94 offset:8192
	ds_load_b64 v[44:45], v86 offset:128
	s_wait_dscnt 0x0
	v_fmac_f64_e32 v[40:41], v[42:43], v[44:45]
	s_or_b32 exec_lo, exec_lo, s51
	s_and_saveexec_b32 s51, s8
	s_cbranch_execz .LBB44_1016
.LBB44_1062:                            ;   in Loop: Header=BB44_3 Depth=1
	ds_load_b64 v[42:43], v94 offset:16384
	ds_load_b64 v[44:45], v86 offset:256
	s_wait_dscnt 0x0
	v_fmac_f64_e32 v[40:41], v[42:43], v[44:45]
	s_or_b32 exec_lo, exec_lo, s51
	s_and_saveexec_b32 s51, s9
	s_cbranch_execnz .LBB44_1017
	s_branch .LBB44_1018
.LBB44_1063:                            ;   in Loop: Header=BB44_3 Depth=1
	s_or_b32 exec_lo, exec_lo, s85
	s_delay_alu instid0(SALU_CYCLE_1)
	s_and_b32 vcc_lo, exec_lo, s61
	s_cbranch_vccnz .LBB44_1021
.LBB44_1064:                            ;   in Loop: Header=BB44_3 Depth=1
	s_delay_alu instid0(VALU_DEP_1)
	v_mov_b64_e32 v[0:1], v[42:43]
	s_and_saveexec_b32 s51, s84
	s_cbranch_execnz .LBB44_1042
	s_branch .LBB44_1043
.LBB44_1065:                            ;   in Loop: Header=BB44_3 Depth=1
	s_and_not1_b32 s52, s84, exec_lo
	s_and_b32 s53, s1, exec_lo
	s_delay_alu instid0(SALU_CYCLE_1)
	s_or_b32 s84, s52, s53
	s_cbranch_execnz .LBB44_1041
.LBB44_1066:                            ;   in Loop: Header=BB44_3 Depth=1
	v_readlane_b32 s52, v102, 14
	s_and_not1_b32 s51, s84, exec_lo
	s_and_b32 s52, s52, exec_lo
	s_delay_alu instid0(SALU_CYCLE_1) | instskip(NEXT) | instid1(SALU_CYCLE_1)
	s_or_b32 s84, s51, s52
	s_and_saveexec_b32 s51, s84
	s_cbranch_execnz .LBB44_1042
	s_branch .LBB44_1043
.LBB44_1067:                            ;   in Loop: Header=BB44_3 Depth=1
	ds_load_b64 v[42:43], v69 offset:544
	ds_load_b64 v[44:45], v55 offset:8
	s_wait_dscnt 0x0
	v_fmac_f64_e32 v[0:1], v[42:43], v[44:45]
	s_or_b32 exec_lo, exec_lo, s51
	s_and_saveexec_b32 s51, s13
	s_cbranch_execz .LBB44_72
.LBB44_1068:                            ;   in Loop: Header=BB44_3 Depth=1
	ds_load_b64 v[42:43], v68 offset:1056
	ds_load_b64 v[44:45], v55 offset:16
	s_wait_dscnt 0x0
	v_fmac_f64_e32 v[0:1], v[42:43], v[44:45]
	s_or_b32 exec_lo, exec_lo, s51
	s_and_saveexec_b32 s51, s0
	s_cbranch_execnz .LBB44_73
	s_branch .LBB44_74
.LBB44_1069:                            ;   in Loop: Header=BB44_3 Depth=1
	ds_load_b64 v[42:43], v73 offset:576
	ds_load_b64 v[44:45], v58 offset:8
	s_wait_dscnt 0x0
	v_fmac_f64_e32 v[0:1], v[42:43], v[44:45]
	s_or_b32 exec_lo, exec_lo, s51
	s_and_saveexec_b32 s51, s15
	s_cbranch_execz .LBB44_114
.LBB44_1070:                            ;   in Loop: Header=BB44_3 Depth=1
	ds_load_b64 v[42:43], v73 offset:1088
	ds_load_b64 v[44:45], v58 offset:16
	s_wait_dscnt 0x0
	v_fmac_f64_e32 v[0:1], v[42:43], v[44:45]
	s_or_b32 exec_lo, exec_lo, s51
	s_and_saveexec_b32 s51, s16
	s_cbranch_execz .LBB44_115
.LBB44_1071:                            ;   in Loop: Header=BB44_3 Depth=1
	ds_load_b64 v[42:43], v73 offset:1600
	ds_load_b64 v[44:45], v58 offset:24
	s_wait_dscnt 0x0
	v_fmac_f64_e32 v[0:1], v[42:43], v[44:45]
	s_or_b32 exec_lo, exec_lo, s51
	s_and_saveexec_b32 s51, s17
	s_cbranch_execz .LBB44_116
.LBB44_1072:                            ;   in Loop: Header=BB44_3 Depth=1
	ds_load_b64 v[42:43], v72 offset:2112
	ds_load_b64 v[44:45], v58 offset:32
	s_wait_dscnt 0x0
	v_fmac_f64_e32 v[0:1], v[42:43], v[44:45]
	s_or_b32 exec_lo, exec_lo, s51
	s_and_saveexec_b32 s51, s18
	s_cbranch_execz .LBB44_117
.LBB44_1073:                            ;   in Loop: Header=BB44_3 Depth=1
	ds_load_b64 v[42:43], v73 offset:2624
	ds_load_b64 v[44:45], v58 offset:40
	s_wait_dscnt 0x0
	v_fmac_f64_e32 v[0:1], v[42:43], v[44:45]
	s_or_b32 exec_lo, exec_lo, s51
	s_and_saveexec_b32 s51, s2
	s_cbranch_execz .LBB44_118
.LBB44_1074:                            ;   in Loop: Header=BB44_3 Depth=1
	ds_load_b64 v[42:43], v72 offset:3136
	ds_load_b64 v[44:45], v58 offset:48
	s_wait_dscnt 0x0
	v_fmac_f64_e32 v[0:1], v[42:43], v[44:45]
	s_or_b32 exec_lo, exec_lo, s51
	s_and_saveexec_b32 s51, s13
	s_cbranch_execnz .LBB44_119
	s_branch .LBB44_120
.LBB44_1075:                            ;   in Loop: Header=BB44_3 Depth=1
	ds_load_b64 v[42:43], v69 offset:4704
	ds_load_b64 v[44:45], v55 offset:4168
	s_wait_dscnt 0x0
	v_fmac_f64_e32 v[0:1], v[42:43], v[44:45]
	s_or_b32 exec_lo, exec_lo, s51
	s_and_saveexec_b32 s51, s13
	s_cbranch_execz .LBB44_176
.LBB44_1076:                            ;   in Loop: Header=BB44_3 Depth=1
	ds_load_b64 v[42:43], v68 offset:5216
	ds_load_b64 v[44:45], v55 offset:4176
	s_wait_dscnt 0x0
	v_fmac_f64_e32 v[0:1], v[42:43], v[44:45]
	s_or_b32 exec_lo, exec_lo, s51
	s_and_saveexec_b32 s51, s0
	s_cbranch_execnz .LBB44_177
	s_branch .LBB44_178
.LBB44_1077:                            ;   in Loop: Header=BB44_3 Depth=1
	ds_load_b64 v[42:43], v76 offset:5760
	ds_load_b64 v[44:45], v60 offset:88
	s_wait_dscnt 0x0
	v_fmac_f64_e32 v[0:1], v[42:43], v[44:45]
	s_or_b32 exec_lo, exec_lo, s51
	s_and_saveexec_b32 s51, s3
	s_cbranch_execz .LBB44_238
.LBB44_1078:                            ;   in Loop: Header=BB44_3 Depth=1
	ds_load_b64 v[42:43], v75 offset:6272
	ds_load_b64 v[44:45], v60 offset:96
	s_wait_dscnt 0x0
	v_fmac_f64_e32 v[0:1], v[42:43], v[44:45]
	s_or_b32 exec_lo, exec_lo, s51
	s_and_saveexec_b32 s51, s15
	s_cbranch_execz .LBB44_239
.LBB44_1079:                            ;   in Loop: Header=BB44_3 Depth=1
	ds_load_b64 v[42:43], v76 offset:6784
	ds_load_b64 v[44:45], v60 offset:104
	s_wait_dscnt 0x0
	v_fmac_f64_e32 v[0:1], v[42:43], v[44:45]
	s_or_b32 exec_lo, exec_lo, s51
	s_and_saveexec_b32 s51, s17
	s_cbranch_execz .LBB44_240
.LBB44_1080:                            ;   in Loop: Header=BB44_3 Depth=1
	ds_load_b64 v[42:43], v75 offset:7296
	ds_load_b64 v[44:45], v60 offset:112
	s_wait_dscnt 0x0
	v_fmac_f64_e32 v[0:1], v[42:43], v[44:45]
	s_or_b32 exec_lo, exec_lo, s51
	s_and_saveexec_b32 s51, s2
	s_cbranch_execnz .LBB44_241
	s_branch .LBB44_242
.LBB44_1081:                            ;   in Loop: Header=BB44_3 Depth=1
	ds_load_b64 v[42:43], v69 offset:8864
	ds_load_b64 v[44:45], v55 offset:8328
	s_wait_dscnt 0x0
	v_fmac_f64_e32 v[0:1], v[42:43], v[44:45]
	s_or_b32 exec_lo, exec_lo, s51
	s_and_saveexec_b32 s51, s13
	s_cbranch_execz .LBB44_330
.LBB44_1082:                            ;   in Loop: Header=BB44_3 Depth=1
	ds_load_b64 v[42:43], v68 offset:9376
	ds_load_b64 v[44:45], v55 offset:8336
	s_wait_dscnt 0x0
	v_fmac_f64_e32 v[0:1], v[42:43], v[44:45]
	s_or_b32 exec_lo, exec_lo, s51
	s_and_saveexec_b32 s51, s0
	s_cbranch_execnz .LBB44_331
	s_branch .LBB44_332
.LBB44_1083:                            ;   in Loop: Header=BB44_3 Depth=1
	ds_load_b64 v[42:43], v73 offset:8896
	ds_load_b64 v[44:45], v58 offset:8328
	s_wait_dscnt 0x0
	v_fmac_f64_e32 v[0:1], v[42:43], v[44:45]
	s_or_b32 exec_lo, exec_lo, s51
	s_and_saveexec_b32 s51, s15
	s_cbranch_execz .LBB44_372
.LBB44_1084:                            ;   in Loop: Header=BB44_3 Depth=1
	ds_load_b64 v[42:43], v73 offset:9408
	ds_load_b64 v[44:45], v58 offset:8336
	s_wait_dscnt 0x0
	v_fmac_f64_e32 v[0:1], v[42:43], v[44:45]
	s_or_b32 exec_lo, exec_lo, s51
	s_and_saveexec_b32 s51, s16
	s_cbranch_execz .LBB44_373
.LBB44_1085:                            ;   in Loop: Header=BB44_3 Depth=1
	ds_load_b64 v[42:43], v73 offset:9920
	ds_load_b64 v[44:45], v58 offset:8344
	s_wait_dscnt 0x0
	v_fmac_f64_e32 v[0:1], v[42:43], v[44:45]
	s_or_b32 exec_lo, exec_lo, s51
	s_and_saveexec_b32 s51, s17
	s_cbranch_execz .LBB44_374
.LBB44_1086:                            ;   in Loop: Header=BB44_3 Depth=1
	ds_load_b64 v[42:43], v72 offset:10432
	ds_load_b64 v[44:45], v58 offset:8352
	s_wait_dscnt 0x0
	v_fmac_f64_e32 v[0:1], v[42:43], v[44:45]
	s_or_b32 exec_lo, exec_lo, s51
	s_and_saveexec_b32 s51, s18
	s_cbranch_execz .LBB44_375
.LBB44_1087:                            ;   in Loop: Header=BB44_3 Depth=1
	ds_load_b64 v[42:43], v73 offset:10944
	ds_load_b64 v[44:45], v58 offset:8360
	s_wait_dscnt 0x0
	v_fmac_f64_e32 v[0:1], v[42:43], v[44:45]
	s_or_b32 exec_lo, exec_lo, s51
	s_and_saveexec_b32 s51, s2
	s_cbranch_execz .LBB44_376
.LBB44_1088:                            ;   in Loop: Header=BB44_3 Depth=1
	ds_load_b64 v[42:43], v72 offset:11456
	ds_load_b64 v[44:45], v58 offset:8368
	s_wait_dscnt 0x0
	v_fmac_f64_e32 v[0:1], v[42:43], v[44:45]
	s_or_b32 exec_lo, exec_lo, s51
	s_and_saveexec_b32 s51, s13
	s_cbranch_execnz .LBB44_377
	s_branch .LBB44_378
.LBB44_1089:                            ;   in Loop: Header=BB44_3 Depth=1
	ds_load_b64 v[42:43], v69 offset:13024
	ds_load_b64 v[44:45], v55 offset:12488
	s_wait_dscnt 0x0
	v_fmac_f64_e32 v[0:1], v[42:43], v[44:45]
	s_or_b32 exec_lo, exec_lo, s51
	s_and_saveexec_b32 s51, s13
	s_cbranch_execz .LBB44_434
.LBB44_1090:                            ;   in Loop: Header=BB44_3 Depth=1
	ds_load_b64 v[42:43], v68 offset:13536
	ds_load_b64 v[44:45], v55 offset:12496
	s_wait_dscnt 0x0
	v_fmac_f64_e32 v[0:1], v[42:43], v[44:45]
	s_or_b32 exec_lo, exec_lo, s51
	s_and_saveexec_b32 s51, s0
	s_cbranch_execnz .LBB44_435
	s_branch .LBB44_436
.LBB44_1091:                            ;   in Loop: Header=BB44_3 Depth=1
	ds_load_b64 v[42:43], v81 offset:15104
	ds_load_b64 v[44:45], v2 offset:232
	s_wait_dscnt 0x0
	v_fmac_f64_e32 v[0:1], v[42:43], v[44:45]
	s_or_b32 exec_lo, exec_lo, s51
	s_and_saveexec_b32 s51, s3
	s_cbranch_execz .LBB44_532
.LBB44_1092:                            ;   in Loop: Header=BB44_3 Depth=1
	ds_load_b64 v[42:43], v81 offset:15616
	ds_load_b64 v[44:45], v2 offset:240
	s_wait_dscnt 0x0
	v_fmac_f64_e32 v[0:1], v[42:43], v[44:45]
	s_or_b32 exec_lo, exec_lo, s51
	s_and_saveexec_b32 s51, s17
	s_cbranch_execnz .LBB44_533
	s_branch .LBB44_534
.LBB44_1093:                            ;   in Loop: Header=BB44_3 Depth=1
	ds_load_b64 v[42:43], v69 offset:17184
	ds_load_b64 v[44:45], v55 offset:16648
	s_wait_dscnt 0x0
	v_fmac_f64_e32 v[0:1], v[42:43], v[44:45]
	s_or_b32 exec_lo, exec_lo, s51
	s_and_saveexec_b32 s51, s13
	s_cbranch_execz .LBB44_578
.LBB44_1094:                            ;   in Loop: Header=BB44_3 Depth=1
	ds_load_b64 v[42:43], v68 offset:17696
	ds_load_b64 v[44:45], v55 offset:16656
	s_wait_dscnt 0x0
	v_fmac_f64_e32 v[0:1], v[42:43], v[44:45]
	s_or_b32 exec_lo, exec_lo, s51
	s_and_saveexec_b32 s51, s0
	s_cbranch_execnz .LBB44_579
	s_branch .LBB44_580
.LBB44_1095:                            ;   in Loop: Header=BB44_3 Depth=1
	ds_load_b64 v[42:43], v73 offset:17216
	ds_load_b64 v[44:45], v58 offset:16648
	s_wait_dscnt 0x0
	v_fmac_f64_e32 v[0:1], v[42:43], v[44:45]
	s_or_b32 exec_lo, exec_lo, s51
	s_and_saveexec_b32 s51, s15
	s_cbranch_execz .LBB44_620
.LBB44_1096:                            ;   in Loop: Header=BB44_3 Depth=1
	ds_load_b64 v[42:43], v73 offset:17728
	ds_load_b64 v[44:45], v58 offset:16656
	s_wait_dscnt 0x0
	v_fmac_f64_e32 v[0:1], v[42:43], v[44:45]
	s_or_b32 exec_lo, exec_lo, s51
	s_and_saveexec_b32 s51, s16
	s_cbranch_execz .LBB44_621
.LBB44_1097:                            ;   in Loop: Header=BB44_3 Depth=1
	ds_load_b64 v[42:43], v73 offset:18240
	ds_load_b64 v[44:45], v58 offset:16664
	s_wait_dscnt 0x0
	v_fmac_f64_e32 v[0:1], v[42:43], v[44:45]
	s_or_b32 exec_lo, exec_lo, s51
	s_and_saveexec_b32 s51, s17
	s_cbranch_execz .LBB44_622
.LBB44_1098:                            ;   in Loop: Header=BB44_3 Depth=1
	ds_load_b64 v[42:43], v72 offset:18752
	ds_load_b64 v[44:45], v58 offset:16672
	s_wait_dscnt 0x0
	v_fmac_f64_e32 v[0:1], v[42:43], v[44:45]
	s_or_b32 exec_lo, exec_lo, s51
	s_and_saveexec_b32 s51, s18
	s_cbranch_execz .LBB44_623
.LBB44_1099:                            ;   in Loop: Header=BB44_3 Depth=1
	ds_load_b64 v[42:43], v73 offset:19264
	ds_load_b64 v[44:45], v58 offset:16680
	s_wait_dscnt 0x0
	v_fmac_f64_e32 v[0:1], v[42:43], v[44:45]
	s_or_b32 exec_lo, exec_lo, s51
	s_and_saveexec_b32 s51, s2
	s_cbranch_execz .LBB44_624
.LBB44_1100:                            ;   in Loop: Header=BB44_3 Depth=1
	ds_load_b64 v[42:43], v72 offset:19776
	ds_load_b64 v[44:45], v58 offset:16688
	s_wait_dscnt 0x0
	v_fmac_f64_e32 v[0:1], v[42:43], v[44:45]
	s_or_b32 exec_lo, exec_lo, s51
	s_and_saveexec_b32 s51, s13
	s_cbranch_execnz .LBB44_625
	s_branch .LBB44_626
.LBB44_1101:                            ;   in Loop: Header=BB44_3 Depth=1
	ds_load_b64 v[42:43], v69 offset:21344
	ds_load_b64 v[44:45], v55 offset:20808
	s_wait_dscnt 0x0
	v_fmac_f64_e32 v[0:1], v[42:43], v[44:45]
	s_or_b32 exec_lo, exec_lo, s51
	s_and_saveexec_b32 s51, s13
	s_cbranch_execz .LBB44_682
.LBB44_1102:                            ;   in Loop: Header=BB44_3 Depth=1
	ds_load_b64 v[42:43], v68 offset:21856
	ds_load_b64 v[44:45], v55 offset:20816
	s_wait_dscnt 0x0
	v_fmac_f64_e32 v[0:1], v[42:43], v[44:45]
	s_or_b32 exec_lo, exec_lo, s51
	s_and_saveexec_b32 s51, s0
	s_cbranch_execnz .LBB44_683
	s_branch .LBB44_684
.LBB44_1103:                            ;   in Loop: Header=BB44_3 Depth=1
	ds_load_b64 v[42:43], v76 offset:22400
	ds_load_b64 v[44:45], v60 offset:16728
	s_wait_dscnt 0x0
	v_fmac_f64_e32 v[0:1], v[42:43], v[44:45]
	s_or_b32 exec_lo, exec_lo, s51
	s_and_saveexec_b32 s51, s3
	s_cbranch_execz .LBB44_744
.LBB44_1104:                            ;   in Loop: Header=BB44_3 Depth=1
	ds_load_b64 v[42:43], v75 offset:22912
	ds_load_b64 v[44:45], v60 offset:16736
	s_wait_dscnt 0x0
	v_fmac_f64_e32 v[0:1], v[42:43], v[44:45]
	s_or_b32 exec_lo, exec_lo, s51
	s_and_saveexec_b32 s51, s15
	s_cbranch_execz .LBB44_745
.LBB44_1105:                            ;   in Loop: Header=BB44_3 Depth=1
	ds_load_b64 v[42:43], v76 offset:23424
	ds_load_b64 v[44:45], v60 offset:16744
	s_wait_dscnt 0x0
	v_fmac_f64_e32 v[0:1], v[42:43], v[44:45]
	s_or_b32 exec_lo, exec_lo, s51
	s_and_saveexec_b32 s51, s17
	s_cbranch_execz .LBB44_746
.LBB44_1106:                            ;   in Loop: Header=BB44_3 Depth=1
	ds_load_b64 v[42:43], v75 offset:23936
	ds_load_b64 v[44:45], v60 offset:16752
	s_wait_dscnt 0x0
	v_fmac_f64_e32 v[0:1], v[42:43], v[44:45]
	s_or_b32 exec_lo, exec_lo, s51
	s_and_saveexec_b32 s51, s2
	s_cbranch_execnz .LBB44_747
	s_branch .LBB44_748
.LBB44_1107:                            ;   in Loop: Header=BB44_3 Depth=1
	ds_load_b64 v[42:43], v69 offset:25504
	ds_load_b64 v[44:45], v55 offset:24968
	s_wait_dscnt 0x0
	v_fmac_f64_e32 v[0:1], v[42:43], v[44:45]
	s_or_b32 exec_lo, exec_lo, s51
	s_and_saveexec_b32 s51, s13
	s_cbranch_execz .LBB44_836
.LBB44_1108:                            ;   in Loop: Header=BB44_3 Depth=1
	ds_load_b64 v[42:43], v68 offset:26016
	ds_load_b64 v[44:45], v55 offset:24976
	s_wait_dscnt 0x0
	v_fmac_f64_e32 v[0:1], v[42:43], v[44:45]
	s_or_b32 exec_lo, exec_lo, s51
	s_and_saveexec_b32 s51, s0
	s_cbranch_execnz .LBB44_837
	s_branch .LBB44_838
.LBB44_1109:                            ;   in Loop: Header=BB44_3 Depth=1
	ds_load_b64 v[42:43], v73 offset:25536
	ds_load_b64 v[44:45], v58 offset:24968
	s_wait_dscnt 0x0
	v_fmac_f64_e32 v[0:1], v[42:43], v[44:45]
	s_or_b32 exec_lo, exec_lo, s51
	s_and_saveexec_b32 s51, s15
	s_cbranch_execz .LBB44_878
.LBB44_1110:                            ;   in Loop: Header=BB44_3 Depth=1
	ds_load_b64 v[42:43], v73 offset:26048
	ds_load_b64 v[44:45], v58 offset:24976
	s_wait_dscnt 0x0
	v_fmac_f64_e32 v[0:1], v[42:43], v[44:45]
	s_or_b32 exec_lo, exec_lo, s51
	s_and_saveexec_b32 s51, s16
	s_cbranch_execz .LBB44_879
.LBB44_1111:                            ;   in Loop: Header=BB44_3 Depth=1
	ds_load_b64 v[42:43], v73 offset:26560
	ds_load_b64 v[44:45], v58 offset:24984
	s_wait_dscnt 0x0
	v_fmac_f64_e32 v[0:1], v[42:43], v[44:45]
	s_or_b32 exec_lo, exec_lo, s51
	s_and_saveexec_b32 s51, s17
	s_cbranch_execz .LBB44_880
.LBB44_1112:                            ;   in Loop: Header=BB44_3 Depth=1
	ds_load_b64 v[42:43], v72 offset:27072
	ds_load_b64 v[44:45], v58 offset:24992
	s_wait_dscnt 0x0
	v_fmac_f64_e32 v[0:1], v[42:43], v[44:45]
	s_or_b32 exec_lo, exec_lo, s51
	s_and_saveexec_b32 s51, s18
	s_cbranch_execz .LBB44_881
.LBB44_1113:                            ;   in Loop: Header=BB44_3 Depth=1
	ds_load_b64 v[42:43], v73 offset:27584
	ds_load_b64 v[44:45], v58 offset:25000
	s_wait_dscnt 0x0
	v_fmac_f64_e32 v[0:1], v[42:43], v[44:45]
	s_or_b32 exec_lo, exec_lo, s51
	s_and_saveexec_b32 s51, s2
	s_cbranch_execz .LBB44_882
.LBB44_1114:                            ;   in Loop: Header=BB44_3 Depth=1
	ds_load_b64 v[42:43], v72 offset:28096
	ds_load_b64 v[44:45], v58 offset:25008
	s_wait_dscnt 0x0
	v_fmac_f64_e32 v[0:1], v[42:43], v[44:45]
	s_or_b32 exec_lo, exec_lo, s51
	s_and_saveexec_b32 s51, s13
	s_cbranch_execnz .LBB44_883
	s_branch .LBB44_884
.LBB44_1115:                            ;   in Loop: Header=BB44_3 Depth=1
	ds_load_b64 v[42:43], v69 offset:29664
	ds_load_b64 v[44:45], v55 offset:29128
	s_wait_dscnt 0x0
	v_fmac_f64_e32 v[0:1], v[42:43], v[44:45]
	s_or_b32 exec_lo, exec_lo, s51
	s_and_saveexec_b32 s51, s13
	s_cbranch_execz .LBB44_940
.LBB44_1116:                            ;   in Loop: Header=BB44_3 Depth=1
	ds_load_b64 v[42:43], v68 offset:30176
	ds_load_b64 v[44:45], v55 offset:29136
	s_wait_dscnt 0x0
	v_fmac_f64_e32 v[0:1], v[42:43], v[44:45]
	s_or_b32 exec_lo, exec_lo, s51
	s_and_saveexec_b32 s51, s0
	s_cbranch_execnz .LBB44_941
	s_branch .LBB44_942
.LBB44_1117:
	s_endpgm
	.section	.rodata,"a",@progbits
	.p2align	6, 0x0
	.amdhsa_kernel _ZL19rocblas_trsv_deviceILi64ELi16ELb1ELb1ELb0ELb1EddPKdPdEviT7_lllT6_T8_lllPii
		.amdhsa_group_segment_fixed_size 41480
		.amdhsa_private_segment_fixed_size 0
		.amdhsa_kernarg_size 352
		.amdhsa_user_sgpr_count 2
		.amdhsa_user_sgpr_dispatch_ptr 0
		.amdhsa_user_sgpr_queue_ptr 0
		.amdhsa_user_sgpr_kernarg_segment_ptr 1
		.amdhsa_user_sgpr_dispatch_id 0
		.amdhsa_user_sgpr_kernarg_preload_length 0
		.amdhsa_user_sgpr_kernarg_preload_offset 0
		.amdhsa_user_sgpr_private_segment_size 0
		.amdhsa_wavefront_size32 1
		.amdhsa_uses_dynamic_stack 0
		.amdhsa_enable_private_segment 0
		.amdhsa_system_sgpr_workgroup_id_x 1
		.amdhsa_system_sgpr_workgroup_id_y 0
		.amdhsa_system_sgpr_workgroup_id_z 1
		.amdhsa_system_sgpr_workgroup_info 0
		.amdhsa_system_vgpr_workitem_id 1
		.amdhsa_next_free_vgpr 103
		.amdhsa_next_free_sgpr 105
		.amdhsa_named_barrier_count 0
		.amdhsa_reserve_vcc 1
		.amdhsa_float_round_mode_32 0
		.amdhsa_float_round_mode_16_64 0
		.amdhsa_float_denorm_mode_32 3
		.amdhsa_float_denorm_mode_16_64 3
		.amdhsa_fp16_overflow 0
		.amdhsa_memory_ordered 1
		.amdhsa_forward_progress 1
		.amdhsa_inst_pref_size 241
		.amdhsa_round_robin_scheduling 0
		.amdhsa_exception_fp_ieee_invalid_op 0
		.amdhsa_exception_fp_denorm_src 0
		.amdhsa_exception_fp_ieee_div_zero 0
		.amdhsa_exception_fp_ieee_overflow 0
		.amdhsa_exception_fp_ieee_underflow 0
		.amdhsa_exception_fp_ieee_inexact 0
		.amdhsa_exception_int_div_zero 0
	.end_amdhsa_kernel
	.section	.text._ZL19rocblas_trsv_deviceILi64ELi16ELb1ELb1ELb0ELb1EddPKdPdEviT7_lllT6_T8_lllPii,"axG",@progbits,_ZL19rocblas_trsv_deviceILi64ELi16ELb1ELb1ELb0ELb1EddPKdPdEviT7_lllT6_T8_lllPii,comdat
.Lfunc_end44:
	.size	_ZL19rocblas_trsv_deviceILi64ELi16ELb1ELb1ELb0ELb1EddPKdPdEviT7_lllT6_T8_lllPii, .Lfunc_end44-_ZL19rocblas_trsv_deviceILi64ELi16ELb1ELb1ELb0ELb1EddPKdPdEviT7_lllT6_T8_lllPii
                                        ; -- End function
	.set _ZL19rocblas_trsv_deviceILi64ELi16ELb1ELb1ELb0ELb1EddPKdPdEviT7_lllT6_T8_lllPii.num_vgpr, 103
	.set _ZL19rocblas_trsv_deviceILi64ELi16ELb1ELb1ELb0ELb1EddPKdPdEviT7_lllT6_T8_lllPii.num_agpr, 0
	.set _ZL19rocblas_trsv_deviceILi64ELi16ELb1ELb1ELb0ELb1EddPKdPdEviT7_lllT6_T8_lllPii.numbered_sgpr, 105
	.set _ZL19rocblas_trsv_deviceILi64ELi16ELb1ELb1ELb0ELb1EddPKdPdEviT7_lllT6_T8_lllPii.num_named_barrier, 0
	.set _ZL19rocblas_trsv_deviceILi64ELi16ELb1ELb1ELb0ELb1EddPKdPdEviT7_lllT6_T8_lllPii.private_seg_size, 0
	.set _ZL19rocblas_trsv_deviceILi64ELi16ELb1ELb1ELb0ELb1EddPKdPdEviT7_lllT6_T8_lllPii.uses_vcc, 1
	.set _ZL19rocblas_trsv_deviceILi64ELi16ELb1ELb1ELb0ELb1EddPKdPdEviT7_lllT6_T8_lllPii.uses_flat_scratch, 0
	.set _ZL19rocblas_trsv_deviceILi64ELi16ELb1ELb1ELb0ELb1EddPKdPdEviT7_lllT6_T8_lllPii.has_dyn_sized_stack, 0
	.set _ZL19rocblas_trsv_deviceILi64ELi16ELb1ELb1ELb0ELb1EddPKdPdEviT7_lllT6_T8_lllPii.has_recursion, 0
	.set _ZL19rocblas_trsv_deviceILi64ELi16ELb1ELb1ELb0ELb1EddPKdPdEviT7_lllT6_T8_lllPii.has_indirect_call, 0
	.section	.AMDGPU.csdata,"",@progbits
; Kernel info:
; codeLenInByte = 30800
; TotalNumSgprs: 107
; NumVgprs: 103
; ScratchSize: 0
; MemoryBound: 0
; FloatMode: 240
; IeeeMode: 1
; LDSByteSize: 41480 bytes/workgroup (compile time only)
; SGPRBlocks: 0
; VGPRBlocks: 6
; NumSGPRsForWavesPerEU: 107
; NumVGPRsForWavesPerEU: 103
; NamedBarCnt: 0
; Occupancy: 9
; WaveLimiterHint : 0
; COMPUTE_PGM_RSRC2:SCRATCH_EN: 0
; COMPUTE_PGM_RSRC2:USER_SGPR: 2
; COMPUTE_PGM_RSRC2:TRAP_HANDLER: 0
; COMPUTE_PGM_RSRC2:TGID_X_EN: 1
; COMPUTE_PGM_RSRC2:TGID_Y_EN: 0
; COMPUTE_PGM_RSRC2:TGID_Z_EN: 1
; COMPUTE_PGM_RSRC2:TIDIG_COMP_CNT: 1
	.section	.text._ZL19rocblas_trsv_deviceILi64ELi16ELb1ELb1ELb1ELb1EddPKdPdEviT7_lllT6_T8_lllPii,"axG",@progbits,_ZL19rocblas_trsv_deviceILi64ELi16ELb1ELb1ELb1ELb1EddPKdPdEviT7_lllT6_T8_lllPii,comdat
	.globl	_ZL19rocblas_trsv_deviceILi64ELi16ELb1ELb1ELb1ELb1EddPKdPdEviT7_lllT6_T8_lllPii ; -- Begin function _ZL19rocblas_trsv_deviceILi64ELi16ELb1ELb1ELb1ELb1EddPKdPdEviT7_lllT6_T8_lllPii
	.p2align	8
	.type	_ZL19rocblas_trsv_deviceILi64ELi16ELb1ELb1ELb1ELb1EddPKdPdEviT7_lllT6_T8_lllPii,@function
_ZL19rocblas_trsv_deviceILi64ELi16ELb1ELb1ELb1ELb1EddPKdPdEviT7_lllT6_T8_lllPii: ; @_ZL19rocblas_trsv_deviceILi64ELi16ELb1ELb1ELb1ELb1EddPKdPdEviT7_lllT6_T8_lllPii
; %bb.0:
	s_load_b32 s6, s[0:1], 0x58
	s_bfe_u32 s2, ttmp6, 0x40014
	s_lshr_b32 s3, ttmp7, 16
	s_add_co_i32 s2, s2, 1
	s_bfe_u32 s5, ttmp6, 0x40008
	s_mul_i32 s4, s3, s2
	s_getreg_b32 s2, hwreg(HW_REG_IB_STS2, 6, 4)
	s_add_co_i32 s5, s5, s4
	s_cmp_eq_u32 s2, 0
	s_mov_b32 s77, 0
	s_cselect_b32 s76, s3, s5
                                        ; implicit-def: $vgpr102 : SGPR spill to VGPR lane
	s_wait_kmcnt 0x0
	s_cmp_ge_u32 s76, s6
	v_writelane_b32 v102, s6, 0
	s_cbranch_scc1 .LBB45_1117
; %bb.1:
	s_clause 0x3
	s_load_b512 s[56:71], s[0:1], 0x8
	s_load_b32 s3, s[0:1], 0x6c
	s_load_b32 s88, s[0:1], 0x60
	;; [unrolled: 1-line block ×3, first 2 shown]
	s_bfe_u32 s5, ttmp6, 0x4000c
	s_and_b32 s4, ttmp6, 15
	s_add_co_i32 s5, s5, 1
	s_load_b128 s[72:75], s[0:1], 0x48
	s_mul_i32 s5, ttmp9, s5
	v_and_b32_e32 v6, 0x3ff, v0
	s_add_co_i32 s4, s4, s5
	v_bfe_u32 v4, v0, 10, 10
	v_mov_b32_e32 v9, 0
                                        ; implicit-def: $vgpr97 : SGPR spill to VGPR lane
	s_delay_alu instid0(VALU_DEP_3) | instskip(SKIP_1) | instid1(VALU_DEP_3)
	v_dual_lshlrev_b32 v3, 6, v6 :: v_dual_bitop2_b32 v17, 3, v0 bitop3:0x40
	v_and_b32_e32 v77, 31, v0
	v_dual_mov_b32 v11, v9 :: v_dual_add_nc_u32 v8, 16, v4
	v_lshl_add_u32 v1, v4, 6, v6
	v_dual_add_nc_u32 v22, 32, v4 :: v_dual_add_nc_u32 v24, 48, v4
	s_wait_kmcnt 0x0
	s_lshl_b64 s[12:13], s[58:59], 3
	s_lshl_b64 s[14:15], s[68:69], 3
	s_cmp_eq_u32 s2, 0
	v_add_nc_u32_e32 v7, v8, v3
	s_cselect_b32 s87, ttmp9, s4
	s_add_co_i32 s1, s78, -1
	s_ashr_i32 s79, s78, 31
	s_ashr_i32 s2, s1, 31
	s_and_b32 s0, s3, 0xffff
	s_lshr_b32 s3, s79, 26
	s_lshr_b32 s2, s2, 26
	s_add_co_i32 s3, s78, s3
	s_add_co_i32 s88, s88, -1
	s_add_co_i32 s1, s1, s2
	s_and_not1_b32 s3, s3, 63
	s_sub_co_i32 s9, s88, s87
	s_ashr_i32 s1, s1, 6
	s_sub_co_i32 s18, s78, s3
	s_cmp_eq_u32 s1, s9
	v_mad_u32_u24 v10, v4, s0, v6
	s_cselect_b32 s1, -1, 0
	s_cmp_lg_u32 s18, 0
	v_lshl_add_u32 v12, v8, 6, v6
	s_cselect_b32 s2, -1, 0
	v_cmp_gt_u32_e64 s3, 2, v6
	s_and_b32 s30, s2, s1
	v_and_b32_e32 v18, 7, v0
	s_xor_b32 s89, s30, -1
	s_cmp_lg_u32 s87, 0
	v_and_b32_e32 v19, 15, v0
	s_cselect_b32 s0, -1, 0
	s_lshl_b32 s16, s9, 6
	s_cmp_lt_i32 s87, 5
	v_dual_add_nc_u32 v5, v4, v3 :: v_dual_add_nc_u32 v2, s16, v6
	s_cselect_b32 vcc_lo, -1, 0
	v_and_b32_e32 v16, 1, v0
	v_add_nc_u32_e32 v20, s16, v4
	v_writelane_b32 v102, s0, 1
	s_add_nc_u64 s[0:1], s[60:61], 1
	s_ashr_i32 s17, s16, 31
	v_cndmask_b32_e32 v5, v1, v5, vcc_lo
	v_cmp_eq_u32_e64 s2, 1, v16
	s_or_b32 vcc_lo, vcc_lo, s30
	s_mul_u64 s[10:11], s[0:1], s[16:17]
	v_cndmask_b32_e32 v21, v12, v7, vcc_lo
	v_cmp_gt_u32_e64 s0, 4, v1
	s_xor_b32 s4, s2, -1
	v_cmp_eq_u32_e64 s1, 0, v4
	v_cmp_eq_u32_e64 s5, 1, v17
	v_cmp_lt_u32_e64 s6, 1, v17
	s_and_b32 s92, s4, s0
	s_and_b32 s93, s2, s0
	v_cmp_gt_u32_e64 s2, 16, v1
	v_cmp_eq_u32_e64 s4, 0, v17
	s_and_b32 s94, s1, s3
	v_cmp_ne_u32_e64 s3, 0, v17
	v_add_nc_u32_e32 v7, v22, v3
	s_and_b32 s97, s5, s2
	s_and_b32 s95, s4, s2
	v_cmp_eq_u32_e64 s4, 2, v17
	s_and_b32 s96, s3, s2
	v_cmp_gt_u32_e64 s3, 64, v1
	s_and_b32 s98, s6, s2
	v_cmp_gt_u32_e64 s5, 4, v6
	s_and_b32 s99, s4, s2
	v_cmp_eq_u32_e64 s4, 3, v17
	v_cmp_eq_u32_e64 s6, 0, v18
	v_cmp_ne_u32_e64 s7, 0, v18
	s_and_b32 s101, s1, s5
	v_cmp_lt_u32_e64 s5, 1, v18
	s_and_b32 s100, s4, s2
	v_cmp_eq_u32_e64 s4, 1, v18
	s_and_b32 s102, s6, s3
	s_and_b32 s103, s7, s3
	v_cmp_lt_u32_e64 s6, 2, v18
	v_cmp_eq_u32_e64 s7, 3, v18
	s_and_b32 s104, s4, s3
	v_cmp_eq_u32_e64 s4, 2, v18
	s_and_b32 vcc_hi, s5, s3
	v_cmp_lt_u32_e64 s5, 3, v18
	s_and_b32 s33, s6, s3
	s_and_b32 s34, s7, s3
	;; [unrolled: 1-line block ×3, first 2 shown]
	v_cmp_eq_u32_e64 s4, 4, v18
	v_cmp_eq_u32_e64 s6, 5, v18
	v_cmp_lt_u32_e64 s7, 5, v18
	s_and_b32 s35, s5, s3
	v_cmp_lt_u32_e64 s5, 4, v18
	s_and_b32 s36, s4, s3
	v_cmp_eq_u32_e64 s4, 6, v18
	s_and_b32 s38, s6, s3
	s_and_b32 s39, s7, s3
	v_cmp_gt_u32_e64 s6, 8, v6
	v_add_nc_u32_e32 v3, v24, v3
	s_and_b32 s40, s4, s3
	v_cmp_gt_u32_e64 s4, 0x100, v1
	v_cmp_eq_u32_e64 s7, 0, v19
	s_and_b32 s37, s5, s3
	v_cmp_eq_u32_e64 s5, 7, v18
	v_cmp_ne_u32_e64 s8, 0, v19
	s_and_b32 s42, s1, s6
	s_and_b32 s6, s7, s4
	v_cmp_lt_u32_e64 s7, 2, v19
	v_writelane_b32 v102, s6, 2
	s_and_b32 s41, s5, s3
	v_cmp_eq_u32_e64 s5, 1, v19
	s_and_b32 s6, s8, s4
	v_cmp_eq_u32_e64 s8, 3, v19
	v_writelane_b32 v102, s6, 3
	v_cmp_lt_u32_e64 s6, 1, v19
	s_and_b32 s5, s5, s4
	v_add_nc_u64_e32 v[14:15], s[16:17], v[10:11]
	v_lshl_add_u32 v11, v22, 6, v6
	v_writelane_b32 v102, s5, 4
	v_cmp_eq_u32_e64 s5, 2, v19
	s_and_b32 s6, s6, s4
	v_lshl_add_u32 v12, v24, 6, v6
	v_dual_cndmask_b32 v23, v11, v7, vcc_lo :: v_dual_lshlrev_b32 v7, 3, v6
	v_writelane_b32 v102, s6, 5
	s_and_b32 s5, s5, s4
	v_cmp_lt_u32_e64 s6, 3, v19
	s_xor_b32 s91, vcc_lo, -1
	v_mad_u32_u24 v11, 0x1f8, v6, v7
	v_writelane_b32 v102, s5, 6
	s_and_b32 s5, s7, s4
	s_and_b32 s6, s6, s4
	v_cmp_eq_u32_e64 s7, 5, v19
	v_mad_i32_i24 v48, 0xfffffe08, v6, v11
	v_writelane_b32 v102, s5, 7
	s_and_b32 s5, s8, s4
	v_cmp_lt_u32_e64 s8, 5, v19
	v_dual_cndmask_b32 v25, v12, v3 :: v_dual_lshrrev_b32 v26, 2, v1
	v_writelane_b32 v102, s5, 8
	v_cmp_eq_u32_e64 s5, 4, v19
	s_and_b32 s54, s8, s4
	v_cmp_eq_u32_e64 s8, 8, v19
	v_mad_u32_u24 v49, 0x1f8, v6, v48
	v_writelane_b32 v102, s6, 9
	v_cmp_lt_u32_e64 s6, 4, v19
	s_and_b32 s5, s5, s4
	v_cmp_eq_u32_e32 vcc_lo, 14, v19
	s_and_b32 s27, s8, s4
	v_writelane_b32 v102, s5, 10
	s_and_b32 s6, s6, s4
	v_cmp_eq_u32_e64 s5, 6, v19
	v_cmp_lt_u32_e64 s8, 10, v19
	v_mad_i32_i24 v50, 0xfffffe08, v6, v49
	v_writelane_b32 v102, s6, 11
	s_and_b32 s6, s7, s4
	s_and_b32 s19, s5, s4
	v_cmp_eq_u32_e64 s5, 7, v19
	v_cmp_lt_u32_e64 s7, 7, v19
	v_writelane_b32 v102, s6, 12
	v_cmp_lt_u32_e64 s6, 6, v19
	s_and_b32 s45, vcc_lo, s4
	s_and_b32 s23, s5, s4
	v_cmp_eq_u32_e64 s5, 9, v19
	s_and_b32 s25, s7, s4
	s_and_b32 s21, s6, s4
	v_cmp_lt_u32_e64 s6, 8, v19
	v_cmp_eq_u32_e64 s7, 10, v19
	s_and_b32 s58, s5, s4
	v_cmp_eq_u32_e64 s5, 11, v19
	v_cmp_gt_u32_e32 vcc_lo, 32, v6
	s_and_b32 s29, s6, s4
	v_cmp_lt_u32_e64 s6, 9, v19
	s_and_b32 s20, s7, s4
	s_and_b32 s24, s5, s4
	v_cmp_eq_u32_e64 s5, 12, v19
	v_cmp_lt_u32_e64 s7, 12, v19
	s_and_b32 s59, s6, s4
	v_cmp_lt_u32_e64 s6, 11, v19
	s_and_b32 s22, s8, s4
	s_and_b32 s28, s5, s4
	s_and_b32 s90, s7, s4
	v_cmp_eq_u32_e64 s5, 15, v19
	s_and_b32 s26, s6, s4
	v_cmp_lt_u32_e64 s6, 13, v19
	v_cmp_gt_u32_e64 s7, 16, v6
	v_cmp_eq_u32_e64 s8, 13, v19
	v_mad_u32_u24 v51, 0x1f8, v6, v50
	s_and_b32 s46, s5, s4
	s_and_b32 s44, s6, s4
	v_cmp_le_i32_e64 s6, s18, v6
	s_and_b32 s48, s1, s7
	s_and_b32 s7, s1, vcc_lo
	v_cmp_le_i32_e32 vcc_lo, s18, v4
	s_and_b32 s43, s8, s4
	s_and_b32 s47, s6, s30
	v_mad_i32_i24 v52, 0xfffffe08, v6, v51
	s_xor_b32 s5, s47, -1
	v_writelane_b32 v102, s7, 13
	s_and_b32 s49, s1, s5
	s_cmp_gt_i32 s87, 0
	v_mad_u32_u24 v53, 0x1f8, v6, v52
	s_cselect_b32 s50, -1, 0
	s_or_b32 s7, vcc_lo, s6
	v_cmp_le_i32_e32 vcc_lo, s18, v8
	v_dual_add_nc_u32 v12, 64, v20 :: v_dual_lshrrev_b32 v27, 1, v1
	v_mad_i32_i24 v54, 0xfffffe08, v6, v53
	v_dual_lshrrev_b32 v28, 10, v0 :: v_dual_lshlrev_b32 v29, 3, v26
	s_or_b32 s8, vcc_lo, s6
	v_cmp_le_i32_e32 vcc_lo, s18, v22
	s_delay_alu instid0(VALU_DEP_3)
	v_mad_u32_u24 v57, 0x1f8, v6, v54
	v_add_nc_u32_e32 v39, 0x50, v20
	v_dual_lshlrev_b32 v16, 3, v16 :: v_dual_ashrrev_i32 v3, 31, v2
	s_or_b32 s16, vcc_lo, s6
	v_cmp_le_i32_e32 vcc_lo, s18, v24
	v_mad_i32_i24 v59, 0xfffffe08, v6, v57
	v_bitop3_b32 v40, v0, v28, 0x3ff bitop3:0xa8
	v_lshlrev_b32_e32 v70, 3, v19
	v_add_nc_u32_e32 v0, 0x60, v20
	s_or_b32 s17, vcc_lo, s6
	v_cmp_gt_i32_e32 vcc_lo, s18, v6
	v_mad_u32_u24 v61, 0x1f8, v6, v59
	v_dual_lshlrev_b32 v63, 3, v17 :: v_dual_lshlrev_b32 v67, 3, v18
	v_lshl_or_b32 v64, v27, 9, v16
	s_and_b32 s5, s1, vcc_lo
	v_cmp_gt_i32_e32 vcc_lo, s78, v12
	v_writelane_b32 v102, s5, 14
	v_cmp_gt_i32_e64 s5, s78, v2
	v_mad_i32_i24 v79, 0xfffffe08, v6, v61
	v_mul_u64_e32 v[16:17], s[60:61], v[2:3]
	v_mul_u64_e32 v[18:19], s[70:71], v[2:3]
	v_add_nc_u32_e32 v2, 0x70, v20
	s_and_b32 s6, vcc_lo, s5
	v_cmp_gt_i32_e32 vcc_lo, s78, v39
	v_writelane_b32 v102, s6, 15
	v_mad_u32_u24 v80, 0x1f8, v6, v79
	v_dual_lshlrev_b32 v85, 3, v25 :: v_dual_mov_b32 v25, v9
	s_and_b32 s6, vcc_lo, s5
	v_cmp_gt_i32_e32 vcc_lo, s78, v0
	v_writelane_b32 v102, s6, 16
	s_add_nc_u64 s[68:69], s[56:57], s[12:13]
	s_add_co_i32 s57, s9, 1
	v_cmp_gt_u32_e64 s30, 0xf0, v1
	s_and_b32 s6, vcc_lo, s5
	v_cmp_gt_i32_e32 vcc_lo, s78, v2
	v_writelane_b32 v102, s6, 17
	v_cmp_gt_u32_e64 s51, 0x3e0, v1
	v_dual_lshrrev_b32 v30, 3, v1 :: v_dual_lshrrev_b32 v31, 4, v1
	s_and_b32 s6, vcc_lo, s5
	v_mul_u32_u24_e32 v55, 0x208, v26
	v_writelane_b32 v102, s6, 18
	v_cmp_le_u32_e64 s6, v6, v4
	v_dual_lshrrev_b32 v35, 5, v1 :: v_dual_bitop2_b32 v33, -8, v1 bitop3:0x40
	v_mul_u32_u24_e32 v58, 0x208, v30
	v_dual_sub_nc_u32 v32, v55, v29 :: v_dual_lshlrev_b32 v34, 3, v31
	s_or_b32 s7, s7, s6
	v_mul_u32_u24_e32 v60, 0x208, v31
	v_writelane_b32 v102, s7, 19
	v_cmp_le_u32_e64 s7, v6, v8
	v_dual_sub_nc_u32 v37, v58, v33 :: v_dual_lshlrev_b32 v78, 9, v35
	s_delay_alu instid0(VALU_DEP_4) | instskip(SKIP_1) | instid1(VALU_DEP_2)
	v_dual_lshlrev_b32 v0, 3, v4 :: v_dual_sub_nc_u32 v38, v60, v34
	s_or_b32 s8, s8, s7
	v_dual_add_nc_u32 v73, v37, v67 :: v_dual_lshlrev_b32 v3, 3, v77
	v_writelane_b32 v102, s8, 20
	v_cmp_le_u32_e64 s8, v6, v22
	v_add_nc_u32_e32 v66, 0x8000, v29
	v_add_nc_u32_e32 v74, 0x8000, v34
	v_dual_lshlrev_b32 v82, 3, v5 :: v_dual_bitop2_b32 v81, v78, v3 bitop3:0x54
	s_or_b32 s9, s16, s8
	v_mov_b32_e32 v5, v9
	v_writelane_b32 v102, s9, 21
	v_cmp_le_u32_e64 s9, v6, v24
	v_dual_lshlrev_b32 v83, 3, v21 :: v_dual_lshlrev_b32 v84, 3, v23
	v_mov_b32_e32 v23, v9
	v_lshl_add_u32 v56, v27, 3, 0x8000
	s_or_b32 s12, s17, s9
	v_mul_u32_u24_e32 v65, 0x208, v27
	v_writelane_b32 v102, s12, 22
	v_lshl_or_b32 v68, v26, 9, v63
	v_mul_u64_e32 v[14:15], s[70:71], v[14:15]
	v_or_b32_e32 v86, 0xa000, v0
	v_or_b32_e32 v41, v22, v6
	v_writelane_b32 v102, s30, 23
	v_cmp_gt_u32_e64 s30, 0xe0, v1
	v_mul_u64_e32 v[20:21], s[60:61], v[22:23]
	v_dual_add_nc_u32 v95, v86, v7 :: v_dual_bitop2_b32 v42, v24, v6 bitop3:0x54
	v_mul_u64_e32 v[22:23], s[60:61], v[24:25]
	s_delay_alu instid0(VALU_DEP_4)
	v_writelane_b32 v102, s30, 24
	v_cmp_gt_u32_e64 s30, 0xd0, v1
	v_mul_u64_e32 v[24:25], s[60:61], v[8:9]
	v_mul_u64_e32 v[26:27], s[60:61], v[4:5]
	v_mul_i32_i24_e32 v36, 0xfffffe08, v6
	v_add_nc_u32_e32 v87, v80, v0
	v_writelane_b32 v102, s30, 25
	v_cmp_gt_u32_e64 s30, 0xc0, v1
	v_dual_lshlrev_b32 v8, 3, v6 :: v_dual_bitop2_b32 v2, v8, v6 bitop3:0x54
	v_mad_u32_u24 v0, 0x1f8, v6, v36
	v_dual_lshlrev_b32 v62, 3, v35 :: v_dual_ashrrev_i32 v13, 31, v12
	s_delay_alu instid0(VALU_DEP_4) | instskip(SKIP_1) | instid1(VALU_DEP_4)
	v_writelane_b32 v102, s30, 26
	v_cmp_gt_u32_e64 s30, 0xb0, v1
	v_mul_lo_u32 v0, v0, 7
	v_lshl_or_b32 v72, v30, 9, v67
	v_lshl_or_b32 v75, v31, 9, v70
	v_cmp_lt_u32_e32 vcc_lo, 0x3ff, v1
	v_writelane_b32 v102, s30, 27
	v_cmp_gt_u32_e64 s30, 0xa0, v1
	v_mov_b64_e32 v[28:29], 0
	v_mov_b64_e32 v[30:31], 1.0
	s_add_nc_u64 s[66:67], s[66:67], s[14:15]
	v_dual_add_nc_u32 v69, v32, v63 :: v_dual_add_nc_u32 v76, v38, v70
	v_writelane_b32 v102, s30, 28
	v_cmp_gt_u32_e64 s30, 0x90, v1
	v_add_nc_u32_e32 v71, 0x8000, v33
	v_or_b32_e32 v88, 0x4100, v3
	v_add3_u32 v89, v7, v0, 0x7800
	s_lshl_b64 s[80:81], s[10:11], 3
	v_writelane_b32 v102, s30, 29
	v_cmp_gt_u32_e64 s30, 0x80, v1
	v_add_nc_u32_e32 v90, 0x8000, v62
	v_lshl_add_u32 v91, v10, 3, 0xa000
	v_lshl_add_u32 v92, v1, 3, 0x8000
	v_add_nc_u32_e32 v93, 0x8000, v7
	v_writelane_b32 v102, s30, 30
	v_cmp_gt_u32_e64 s30, 0x70, v1
	v_lshl_add_u32 v94, v4, 9, v59
	v_subrev_nc_u32_e32 v96, 63, v6
	v_mov_b32_e32 v3, 0x3ff00000
	v_cmp_eq_u32_e64 s10, 0, v40
	v_writelane_b32 v102, s30, 31
	v_cmp_gt_u32_e64 s30, 0x60, v1
	v_cmp_gt_u32_e64 s11, 2, v1
	;; [unrolled: 1-line block ×5, first 2 shown]
	v_writelane_b32 v97, s30, 0
	v_cmp_gt_u32_e64 s30, 0x50, v1
	v_cmp_gt_u32_e64 s15, 48, v1
	;; [unrolled: 1-line block ×5, first 2 shown]
	v_writelane_b32 v97, s30, 1
	v_cmp_gt_u32_e64 s30, 0x400, v1
	v_cmp_eq_u32_e64 s55, 0, v10
	v_cmp_gt_u32_e64 s56, 64, v10
	s_xor_b32 s86, vcc_lo, -1
	v_writelane_b32 v97, s51, 2
	v_cmp_gt_u32_e64 s51, 0x3c0, v1
                                        ; implicit-def: $vgpr32_vgpr33
                                        ; implicit-def: $vgpr34_vgpr35
                                        ; implicit-def: $vgpr36_vgpr37
                                        ; implicit-def: $vgpr38_vgpr39
	s_delay_alu instid0(VALU_DEP_1) | instskip(SKIP_1) | instid1(VALU_DEP_1)
	v_writelane_b32 v97, s51, 3
	v_cmp_gt_u32_e64 s51, 0x3a0, v1
	v_writelane_b32 v97, s51, 4
	v_cmp_gt_u32_e64 s51, 0x380, v1
	s_delay_alu instid0(VALU_DEP_1) | instskip(SKIP_1) | instid1(VALU_DEP_1)
	v_writelane_b32 v97, s51, 5
	v_cmp_gt_u32_e64 s51, 0x360, v1
	v_writelane_b32 v97, s51, 6
	v_cmp_gt_u32_e64 s51, 0x340, v1
	;; [unrolled: 5-line block ×12, first 2 shown]
	s_delay_alu instid0(VALU_DEP_1) | instskip(SKIP_1) | instid1(VALU_DEP_1)
	v_writelane_b32 v97, s51, 27
	v_cmp_gt_u32_e64 s51, 64, v42
	v_writelane_b32 v97, s51, 28
	s_branch .LBB45_3
.LBB45_2:                               ;   in Loop: Header=BB45_3 Depth=1
	s_wait_xcnt 0x0
	s_or_b32 exec_lo, exec_lo, s51
	v_readlane_b32 s51, v102, 0
	s_add_co_i32 s76, s76, 0x10000
	global_wb scope:SCOPE_DEV
	s_wait_storecnt 0x0
	global_inv scope:SCOPE_DEV
	s_cmp_lt_u32 s76, s51
	s_cbranch_scc0 .LBB45_1117
.LBB45_3:                               ; =>This Loop Header: Depth=1
                                        ;     Child Loop BB45_537 Depth 2
                                        ;     Child Loop BB45_986 Depth 2
                                        ;       Child Loop BB45_988 Depth 3
                                        ;     Child Loop BB45_1023 Depth 2
	s_mul_u64 s[52:53], s[62:63], s[76:77]
	v_readlane_b32 s51, v102, 1
	s_lshl_b64 s[52:53], s[52:53], 3
	s_delay_alu instid0(SALU_CYCLE_1)
	s_add_nc_u64 s[82:83], s[68:69], s[52:53]
	s_and_not1_b32 vcc_lo, exec_lo, s51
	v_lshl_add_u64 v[40:41], v[16:17], 3, s[82:83]
	s_cbranch_vccnz .LBB45_13
; %bb.4:                                ;   in Loop: Header=BB45_3 Depth=1
	v_mov_b64_e32 v[34:35], 0
	v_mov_b64_e32 v[32:33], 0
	s_delay_alu instid0(VALU_DEP_3)
	v_lshl_add_u64 v[0:1], v[12:13], 3, v[40:41]
	s_barrier_signal -1
	s_barrier_wait -1
	s_mov_b32 s51, exec_lo
	v_readlane_b32 s52, v102, 15
	s_and_b32 s52, s51, s52
	s_delay_alu instid0(SALU_CYCLE_1)
	s_mov_b32 exec_lo, s52
	s_cbranch_execz .LBB45_6
; %bb.5:                                ;   in Loop: Header=BB45_3 Depth=1
	global_load_b64 v[32:33], v[0:1], off
.LBB45_6:                               ;   in Loop: Header=BB45_3 Depth=1
	s_wait_xcnt 0x0
	s_or_b32 exec_lo, exec_lo, s51
	s_wait_loadcnt 0x0
	s_barrier_signal -1
	s_barrier_wait -1
	s_mov_b32 s51, exec_lo
	v_readlane_b32 s52, v102, 16
	s_and_b32 s52, s51, s52
	s_delay_alu instid0(SALU_CYCLE_1)
	s_mov_b32 exec_lo, s52
	s_cbranch_execz .LBB45_8
; %bb.7:                                ;   in Loop: Header=BB45_3 Depth=1
	global_load_b64 v[34:35], v[0:1], off offset:128
.LBB45_8:                               ;   in Loop: Header=BB45_3 Depth=1
	s_wait_xcnt 0x0
	s_or_b32 exec_lo, exec_lo, s51
	v_mov_b64_e32 v[38:39], 0
	v_mov_b64_e32 v[36:37], 0
	s_wait_loadcnt 0x0
	s_barrier_signal -1
	s_barrier_wait -1
	s_mov_b32 s51, exec_lo
	v_readlane_b32 s52, v102, 17
	s_and_b32 s52, s51, s52
	s_delay_alu instid0(SALU_CYCLE_1)
	s_mov_b32 exec_lo, s52
	s_cbranch_execz .LBB45_10
; %bb.9:                                ;   in Loop: Header=BB45_3 Depth=1
	global_load_b64 v[36:37], v[0:1], off offset:256
.LBB45_10:                              ;   in Loop: Header=BB45_3 Depth=1
	s_wait_xcnt 0x0
	s_or_b32 exec_lo, exec_lo, s51
	s_wait_loadcnt 0x0
	s_barrier_signal -1
	s_barrier_wait -1
	s_mov_b32 s51, exec_lo
	v_readlane_b32 s52, v102, 18
	s_and_b32 s52, s51, s52
	s_delay_alu instid0(SALU_CYCLE_1)
	s_mov_b32 exec_lo, s52
	s_cbranch_execz .LBB45_12
; %bb.11:                               ;   in Loop: Header=BB45_3 Depth=1
	global_load_b64 v[38:39], v[0:1], off offset:384
.LBB45_12:                              ;   in Loop: Header=BB45_3 Depth=1
	s_wait_xcnt 0x0
	s_or_b32 exec_lo, exec_lo, s51
.LBB45_13:                              ;   in Loop: Header=BB45_3 Depth=1
	s_add_nc_u64 s[52:53], s[82:83], s[80:81]
	s_and_not1_b32 vcc_lo, exec_lo, s89
	v_add_nc_u64_e32 v[0:1], s[52:53], v[8:9]
	s_mov_b32 s51, -1
	s_cbranch_vccnz .LBB45_24
; %bb.14:                               ;   in Loop: Header=BB45_3 Depth=1
	s_and_saveexec_b32 s51, s6
	s_delay_alu instid0(SALU_CYCLE_1)
	s_xor_b32 s51, exec_lo, s51
	s_cbranch_execnz .LBB45_1045
; %bb.15:                               ;   in Loop: Header=BB45_3 Depth=1
	s_and_not1_saveexec_b32 s51, s51
	s_cbranch_execnz .LBB45_1048
.LBB45_16:                              ;   in Loop: Header=BB45_3 Depth=1
	s_or_b32 exec_lo, exec_lo, s51
	s_and_saveexec_b32 s51, s7
	s_delay_alu instid0(SALU_CYCLE_1)
	s_xor_b32 s51, exec_lo, s51
	s_cbranch_execnz .LBB45_1049
.LBB45_17:                              ;   in Loop: Header=BB45_3 Depth=1
	s_and_not1_saveexec_b32 s51, s51
	s_cbranch_execnz .LBB45_1052
.LBB45_18:                              ;   in Loop: Header=BB45_3 Depth=1
	s_or_b32 exec_lo, exec_lo, s51
	s_and_saveexec_b32 s51, s8
	s_delay_alu instid0(SALU_CYCLE_1)
	s_xor_b32 s51, exec_lo, s51
	s_cbranch_execnz .LBB45_1053
.LBB45_19:                              ;   in Loop: Header=BB45_3 Depth=1
	s_and_not1_saveexec_b32 s51, s51
	s_cbranch_execnz .LBB45_1056
.LBB45_20:                              ;   in Loop: Header=BB45_3 Depth=1
	s_or_b32 exec_lo, exec_lo, s51
	s_and_saveexec_b32 s51, s9
	s_delay_alu instid0(SALU_CYCLE_1)
	s_xor_b32 s51, exec_lo, s51
	s_cbranch_execnz .LBB45_1057
.LBB45_21:                              ;   in Loop: Header=BB45_3 Depth=1
	s_and_not1_saveexec_b32 s51, s51
	s_cbranch_execz .LBB45_23
.LBB45_22:                              ;   in Loop: Header=BB45_3 Depth=1
	v_lshl_add_u64 v[42:43], v[22:23], 3, v[0:1]
	global_load_b64 v[42:43], v[42:43], off
	s_wait_loadcnt 0x0
	v_xor_b32_e32 v43, 0x80000000, v43
	ds_store_b64 v85, v[42:43]
.LBB45_23:                              ;   in Loop: Header=BB45_3 Depth=1
	s_or_b32 exec_lo, exec_lo, s51
	s_mov_b32 s51, 0
.LBB45_24:                              ;   in Loop: Header=BB45_3 Depth=1
	s_delay_alu instid0(SALU_CYCLE_1)
	s_and_b32 vcc_lo, exec_lo, s51
	s_cbranch_vccz .LBB45_50
; %bb.25:                               ;   in Loop: Header=BB45_3 Depth=1
	s_mov_b32 s51, exec_lo
	v_readlane_b32 s52, v102, 19
	s_and_b32 s52, s51, s52
	s_delay_alu instid0(SALU_CYCLE_1)
	s_xor_b32 s51, s52, s51
	s_mov_b32 exec_lo, s52
	s_cbranch_execz .LBB45_29
; %bb.26:                               ;   in Loop: Header=BB45_3 Depth=1
	s_mov_b32 s52, exec_lo
	v_readlane_b32 s53, v97, 25
	s_and_b32 s53, s52, s53
	s_delay_alu instid0(SALU_CYCLE_1)
	s_mov_b32 exec_lo, s53
; %bb.27:                               ;   in Loop: Header=BB45_3 Depth=1
	ds_store_b64 v87, v[28:29]
; %bb.28:                               ;   in Loop: Header=BB45_3 Depth=1
	s_or_b32 exec_lo, exec_lo, s52
.LBB45_29:                              ;   in Loop: Header=BB45_3 Depth=1
	s_and_not1_saveexec_b32 s51, s51
	s_cbranch_execz .LBB45_31
; %bb.30:                               ;   in Loop: Header=BB45_3 Depth=1
	v_lshl_add_u64 v[42:43], v[26:27], 3, v[0:1]
	global_load_b64 v[42:43], v[42:43], off
	s_wait_loadcnt 0x0
	v_xor_b32_e32 v43, 0x80000000, v43
	ds_store_b64 v87, v[42:43]
.LBB45_31:                              ;   in Loop: Header=BB45_3 Depth=1
	s_or_b32 exec_lo, exec_lo, s51
	s_delay_alu instid0(SALU_CYCLE_1) | instskip(SKIP_2) | instid1(SALU_CYCLE_1)
	s_mov_b32 s51, exec_lo
	v_readlane_b32 s52, v102, 20
	s_and_b32 s52, s51, s52
	s_xor_b32 s51, s52, s51
	s_mov_b32 exec_lo, s52
	s_cbranch_execz .LBB45_35
; %bb.32:                               ;   in Loop: Header=BB45_3 Depth=1
	s_mov_b32 s52, exec_lo
	v_readlane_b32 s53, v97, 26
	s_and_b32 s53, s52, s53
	s_delay_alu instid0(SALU_CYCLE_1)
	s_mov_b32 exec_lo, s53
; %bb.33:                               ;   in Loop: Header=BB45_3 Depth=1
	ds_store_b64 v83, v[28:29]
; %bb.34:                               ;   in Loop: Header=BB45_3 Depth=1
	s_or_b32 exec_lo, exec_lo, s52
.LBB45_35:                              ;   in Loop: Header=BB45_3 Depth=1
	s_and_not1_saveexec_b32 s51, s51
	s_cbranch_execz .LBB45_37
; %bb.36:                               ;   in Loop: Header=BB45_3 Depth=1
	v_lshl_add_u64 v[42:43], v[24:25], 3, v[0:1]
	global_load_b64 v[42:43], v[42:43], off
	s_wait_loadcnt 0x0
	v_xor_b32_e32 v43, 0x80000000, v43
	ds_store_b64 v83, v[42:43]
.LBB45_37:                              ;   in Loop: Header=BB45_3 Depth=1
	s_or_b32 exec_lo, exec_lo, s51
	s_delay_alu instid0(SALU_CYCLE_1) | instskip(SKIP_2) | instid1(SALU_CYCLE_1)
	s_mov_b32 s51, exec_lo
	v_readlane_b32 s52, v102, 21
	s_and_b32 s52, s51, s52
	;; [unrolled: 28-line block ×3, first 2 shown]
	s_xor_b32 s51, s52, s51
	s_mov_b32 exec_lo, s52
	s_cbranch_execz .LBB45_47
; %bb.44:                               ;   in Loop: Header=BB45_3 Depth=1
	s_mov_b32 s52, exec_lo
	v_readlane_b32 s53, v97, 28
	s_and_b32 s53, s52, s53
	s_delay_alu instid0(SALU_CYCLE_1)
	s_mov_b32 exec_lo, s53
; %bb.45:                               ;   in Loop: Header=BB45_3 Depth=1
	ds_store_b64 v85, v[28:29]
; %bb.46:                               ;   in Loop: Header=BB45_3 Depth=1
	s_or_b32 exec_lo, exec_lo, s52
                                        ; implicit-def: $vgpr0_vgpr1
.LBB45_47:                              ;   in Loop: Header=BB45_3 Depth=1
	s_and_not1_saveexec_b32 s51, s51
	s_cbranch_execz .LBB45_49
; %bb.48:                               ;   in Loop: Header=BB45_3 Depth=1
	v_lshl_add_u64 v[0:1], v[22:23], 3, v[0:1]
	global_load_b64 v[0:1], v[0:1], off
	s_wait_loadcnt 0x0
	v_xor_b32_e32 v1, 0x80000000, v1
	ds_store_b64 v85, v[0:1]
.LBB45_49:                              ;   in Loop: Header=BB45_3 Depth=1
	s_or_b32 exec_lo, exec_lo, s51
.LBB45_50:                              ;   in Loop: Header=BB45_3 Depth=1
	s_delay_alu instid0(SALU_CYCLE_1)
	s_and_not1_b32 vcc_lo, exec_lo, s91
	s_wait_loadcnt_dscnt 0x0
	s_barrier_signal -1
	s_barrier_wait -1
	s_cbranch_vccnz .LBB45_980
; %bb.51:                               ;   in Loop: Header=BB45_3 Depth=1
	s_and_saveexec_b32 s51, s10
	s_cbranch_execz .LBB45_53
; %bb.52:                               ;   in Loop: Header=BB45_3 Depth=1
	ds_load_b64 v[0:1], v9 offset:8
	v_mov_b32_e32 v2, v9
	ds_store_b64 v9, v[30:31]
	s_wait_dscnt 0x1
	ds_store_b128 v9, v[0:3] offset:512
.LBB45_53:                              ;   in Loop: Header=BB45_3 Depth=1
	s_or_b32 exec_lo, exec_lo, s51
	v_mov_b64_e32 v[0:1], 0
	s_wait_dscnt 0x0
	s_barrier_signal -1
	s_barrier_wait -1
	s_and_saveexec_b32 s51, s0
	s_cbranch_execz .LBB45_57
; %bb.54:                               ;   in Loop: Header=BB45_3 Depth=1
	ds_load_b64 v[0:1], v64 offset:16
	ds_load_b64 v[42:43], v65
	s_wait_dscnt 0x0
	v_fma_f64 v[0:1], v[0:1], v[42:43], 0
	s_and_saveexec_b32 s52, s11
	s_cbranch_execz .LBB45_56
; %bb.55:                               ;   in Loop: Header=BB45_3 Depth=1
	ds_load_b64 v[42:43], v7 offset:528
	ds_load_b64 v[44:45], v9 offset:8
	s_wait_dscnt 0x0
	v_fmac_f64_e32 v[0:1], v[42:43], v[44:45]
.LBB45_56:                              ;   in Loop: Header=BB45_3 Depth=1
	s_or_b32 exec_lo, exec_lo, s52
	s_delay_alu instid0(VALU_DEP_1)
	v_xor_b32_e32 v1, 0x80000000, v1
.LBB45_57:                              ;   in Loop: Header=BB45_3 Depth=1
	s_or_b32 exec_lo, exec_lo, s51
	s_and_saveexec_b32 s51, s92
; %bb.58:                               ;   in Loop: Header=BB45_3 Depth=1
	ds_store_b64 v56, v[0:1]
; %bb.59:                               ;   in Loop: Header=BB45_3 Depth=1
	s_or_b32 exec_lo, exec_lo, s51
	s_wait_dscnt 0x0
	s_barrier_signal -1
	s_barrier_wait -1
	s_and_saveexec_b32 s51, s93
	s_cbranch_execz .LBB45_61
; %bb.60:                               ;   in Loop: Header=BB45_3 Depth=1
	ds_load_b64 v[42:43], v9 offset:1048
	ds_load_b64 v[44:45], v56
	s_wait_dscnt 0x0
	v_fmac_f64_e32 v[0:1], v[42:43], v[44:45]
.LBB45_61:                              ;   in Loop: Header=BB45_3 Depth=1
	s_or_b32 exec_lo, exec_lo, s51
	s_barrier_signal -1
	s_barrier_wait -1
	s_and_saveexec_b32 s51, s93
; %bb.62:                               ;   in Loop: Header=BB45_3 Depth=1
	ds_store_b64 v56, v[0:1]
; %bb.63:                               ;   in Loop: Header=BB45_3 Depth=1
	s_or_b32 exec_lo, exec_lo, s51
	s_wait_dscnt 0x0
	s_barrier_signal -1
	s_barrier_wait -1
	s_barrier_signal -1
	s_barrier_wait -1
	s_and_saveexec_b32 s51, s0
; %bb.64:                               ;   in Loop: Header=BB45_3 Depth=1
	v_xor_b32_e32 v1, 0x80000000, v1
	ds_store_b64 v64, v[0:1] offset:16
; %bb.65:                               ;   in Loop: Header=BB45_3 Depth=1
	s_or_b32 exec_lo, exec_lo, s51
	s_wait_dscnt 0x0
	s_barrier_signal -1
	s_barrier_wait -1
	s_barrier_signal -1
	s_barrier_wait -1
	s_and_saveexec_b32 s51, s94
	s_cbranch_execz .LBB45_67
; %bb.66:                               ;   in Loop: Header=BB45_3 Depth=1
	ds_load_b64 v[0:1], v11 offset:16
	s_wait_dscnt 0x0
	ds_store_b64 v7, v[0:1] offset:1024
	ds_load_b64 v[0:1], v11 offset:24
	s_wait_dscnt 0x0
	ds_store_b64 v7, v[0:1] offset:1536
.LBB45_67:                              ;   in Loop: Header=BB45_3 Depth=1
	s_or_b32 exec_lo, exec_lo, s51
	s_wait_dscnt 0x0
	s_barrier_signal -1
	s_barrier_wait -1
	s_and_saveexec_b32 s51, s10
	s_cbranch_execz .LBB45_69
; %bb.68:                               ;   in Loop: Header=BB45_3 Depth=1
	ds_load_b64 v[0:1], v9 offset:1048
	v_mov_b32_e32 v2, v9
	ds_store_b64 v9, v[30:31] offset:1040
	s_wait_dscnt 0x1
	ds_store_b128 v9, v[0:3] offset:1552
.LBB45_69:                              ;   in Loop: Header=BB45_3 Depth=1
	s_or_b32 exec_lo, exec_lo, s51
	v_mov_b64_e32 v[0:1], 0
	s_wait_dscnt 0x0
	s_barrier_signal -1
	s_barrier_wait -1
	s_and_saveexec_b32 s61, s2
	s_cbranch_execz .LBB45_75
; %bb.70:                               ;   in Loop: Header=BB45_3 Depth=1
	ds_load_b64 v[0:1], v68 offset:32
	ds_load_b64 v[42:43], v55
	s_wait_dscnt 0x0
	v_fma_f64 v[0:1], v[0:1], v[42:43], 0
	s_and_saveexec_b32 s51, s12
	s_cbranch_execnz .LBB45_1067
; %bb.71:                               ;   in Loop: Header=BB45_3 Depth=1
	s_or_b32 exec_lo, exec_lo, s51
	s_and_saveexec_b32 s51, s13
	s_cbranch_execnz .LBB45_1068
.LBB45_72:                              ;   in Loop: Header=BB45_3 Depth=1
	s_or_b32 exec_lo, exec_lo, s51
	s_and_saveexec_b32 s51, s0
	s_cbranch_execz .LBB45_74
.LBB45_73:                              ;   in Loop: Header=BB45_3 Depth=1
	ds_load_b64 v[42:43], v48 offset:1568
	ds_load_b64 v[44:45], v9 offset:24
	s_wait_dscnt 0x0
	v_fmac_f64_e32 v[0:1], v[42:43], v[44:45]
.LBB45_74:                              ;   in Loop: Header=BB45_3 Depth=1
	s_or_b32 exec_lo, exec_lo, s51
	s_delay_alu instid0(VALU_DEP_1)
	v_xor_b32_e32 v1, 0x80000000, v1
.LBB45_75:                              ;   in Loop: Header=BB45_3 Depth=1
	s_or_b32 exec_lo, exec_lo, s61
	s_and_saveexec_b32 s51, s95
; %bb.76:                               ;   in Loop: Header=BB45_3 Depth=1
	ds_store_b64 v66, v[0:1]
; %bb.77:                               ;   in Loop: Header=BB45_3 Depth=1
	s_or_b32 exec_lo, exec_lo, s51
	s_wait_dscnt 0x0
	s_barrier_signal -1
	s_barrier_wait -1
	s_and_saveexec_b32 s51, s96
	s_cbranch_execz .LBB45_79
; %bb.78:                               ;   in Loop: Header=BB45_3 Depth=1
	ds_load_b64 v[42:43], v63 offset:2080
	ds_load_b64 v[44:45], v66
	s_wait_dscnt 0x0
	v_fmac_f64_e32 v[0:1], v[42:43], v[44:45]
.LBB45_79:                              ;   in Loop: Header=BB45_3 Depth=1
	s_or_b32 exec_lo, exec_lo, s51
	s_barrier_signal -1
	s_barrier_wait -1
	s_and_saveexec_b32 s51, s97
; %bb.80:                               ;   in Loop: Header=BB45_3 Depth=1
	ds_store_b64 v66, v[0:1]
; %bb.81:                               ;   in Loop: Header=BB45_3 Depth=1
	s_or_b32 exec_lo, exec_lo, s51
	s_wait_dscnt 0x0
	s_barrier_signal -1
	s_barrier_wait -1
	s_and_saveexec_b32 s51, s98
	s_cbranch_execz .LBB45_83
; %bb.82:                               ;   in Loop: Header=BB45_3 Depth=1
	ds_load_b64 v[42:43], v63 offset:2592
	ds_load_b64 v[44:45], v66
	s_wait_dscnt 0x0
	v_fmac_f64_e32 v[0:1], v[42:43], v[44:45]
.LBB45_83:                              ;   in Loop: Header=BB45_3 Depth=1
	s_or_b32 exec_lo, exec_lo, s51
	s_barrier_signal -1
	s_barrier_wait -1
	;; [unrolled: 19-line block ×3, first 2 shown]
	s_and_saveexec_b32 s51, s100
; %bb.88:                               ;   in Loop: Header=BB45_3 Depth=1
	ds_store_b64 v66, v[0:1]
; %bb.89:                               ;   in Loop: Header=BB45_3 Depth=1
	s_or_b32 exec_lo, exec_lo, s51
	s_wait_dscnt 0x0
	s_barrier_signal -1
	s_barrier_wait -1
	s_barrier_signal -1
	s_barrier_wait -1
	s_and_saveexec_b32 s51, s2
; %bb.90:                               ;   in Loop: Header=BB45_3 Depth=1
	v_xor_b32_e32 v1, 0x80000000, v1
	ds_store_b64 v68, v[0:1] offset:32
; %bb.91:                               ;   in Loop: Header=BB45_3 Depth=1
	s_or_b32 exec_lo, exec_lo, s51
	s_wait_dscnt 0x0
	s_barrier_signal -1
	s_barrier_wait -1
	s_barrier_signal -1
	s_barrier_wait -1
	s_and_saveexec_b32 s51, s101
	s_cbranch_execz .LBB45_93
; %bb.92:                               ;   in Loop: Header=BB45_3 Depth=1
	ds_load_b64 v[0:1], v49 offset:32
	s_wait_dscnt 0x0
	ds_store_b64 v50, v[0:1] offset:2048
	ds_load_b64 v[0:1], v49 offset:40
	s_wait_dscnt 0x0
	ds_store_b64 v50, v[0:1] offset:2560
	;; [unrolled: 3-line block ×4, first 2 shown]
.LBB45_93:                              ;   in Loop: Header=BB45_3 Depth=1
	s_or_b32 exec_lo, exec_lo, s51
	s_wait_dscnt 0x0
	s_barrier_signal -1
	s_barrier_wait -1
	s_and_saveexec_b32 s51, s10
	s_cbranch_execz .LBB45_95
; %bb.94:                               ;   in Loop: Header=BB45_3 Depth=1
	ds_load_b64 v[0:1], v9 offset:2088
	v_mov_b32_e32 v2, v9
	ds_store_b64 v9, v[30:31] offset:2080
	s_wait_dscnt 0x1
	ds_store_b128 v9, v[0:3] offset:2592
.LBB45_95:                              ;   in Loop: Header=BB45_3 Depth=1
	s_or_b32 exec_lo, exec_lo, s51
	v_mov_b64_e32 v[0:1], 0
	s_wait_dscnt 0x0
	s_barrier_signal -1
	s_barrier_wait -1
	s_and_saveexec_b32 s51, s0
	s_cbranch_execz .LBB45_99
; %bb.96:                               ;   in Loop: Header=BB45_3 Depth=1
	ds_load_b64 v[0:1], v64 offset:2096
	ds_load_b64 v[42:43], v65 offset:2080
	s_wait_dscnt 0x0
	v_fma_f64 v[0:1], v[0:1], v[42:43], 0
	s_and_saveexec_b32 s52, s11
	s_cbranch_execz .LBB45_98
; %bb.97:                               ;   in Loop: Header=BB45_3 Depth=1
	ds_load_b64 v[42:43], v50 offset:2608
	ds_load_b64 v[44:45], v9 offset:2088
	s_wait_dscnt 0x0
	v_fmac_f64_e32 v[0:1], v[42:43], v[44:45]
.LBB45_98:                              ;   in Loop: Header=BB45_3 Depth=1
	s_or_b32 exec_lo, exec_lo, s52
	s_delay_alu instid0(VALU_DEP_1)
	v_xor_b32_e32 v1, 0x80000000, v1
.LBB45_99:                              ;   in Loop: Header=BB45_3 Depth=1
	s_or_b32 exec_lo, exec_lo, s51
	s_and_saveexec_b32 s51, s92
; %bb.100:                              ;   in Loop: Header=BB45_3 Depth=1
	ds_store_b64 v56, v[0:1]
; %bb.101:                              ;   in Loop: Header=BB45_3 Depth=1
	s_or_b32 exec_lo, exec_lo, s51
	s_wait_dscnt 0x0
	s_barrier_signal -1
	s_barrier_wait -1
	s_and_saveexec_b32 s51, s93
	s_cbranch_execz .LBB45_103
; %bb.102:                              ;   in Loop: Header=BB45_3 Depth=1
	ds_load_b64 v[42:43], v9 offset:3128
	ds_load_b64 v[44:45], v56
	s_wait_dscnt 0x0
	v_fmac_f64_e32 v[0:1], v[42:43], v[44:45]
.LBB45_103:                             ;   in Loop: Header=BB45_3 Depth=1
	s_or_b32 exec_lo, exec_lo, s51
	s_barrier_signal -1
	s_barrier_wait -1
	s_and_saveexec_b32 s51, s93
; %bb.104:                              ;   in Loop: Header=BB45_3 Depth=1
	ds_store_b64 v56, v[0:1]
; %bb.105:                              ;   in Loop: Header=BB45_3 Depth=1
	s_or_b32 exec_lo, exec_lo, s51
	s_wait_dscnt 0x0
	s_barrier_signal -1
	s_barrier_wait -1
	s_barrier_signal -1
	s_barrier_wait -1
	s_and_saveexec_b32 s51, s0
; %bb.106:                              ;   in Loop: Header=BB45_3 Depth=1
	v_xor_b32_e32 v1, 0x80000000, v1
	ds_store_b64 v64, v[0:1] offset:2096
; %bb.107:                              ;   in Loop: Header=BB45_3 Depth=1
	s_or_b32 exec_lo, exec_lo, s51
	s_wait_dscnt 0x0
	s_barrier_signal -1
	s_barrier_wait -1
	s_barrier_signal -1
	s_barrier_wait -1
	s_and_saveexec_b32 s51, s94
	s_cbranch_execz .LBB45_109
; %bb.108:                              ;   in Loop: Header=BB45_3 Depth=1
	ds_load_b64 v[0:1], v51 offset:2096
	s_wait_dscnt 0x0
	ds_store_b64 v50, v[0:1] offset:3104
	ds_load_b64 v[0:1], v51 offset:2104
	s_wait_dscnt 0x0
	ds_store_b64 v50, v[0:1] offset:3616
.LBB45_109:                             ;   in Loop: Header=BB45_3 Depth=1
	s_or_b32 exec_lo, exec_lo, s51
	s_wait_dscnt 0x0
	s_barrier_signal -1
	s_barrier_wait -1
	s_and_saveexec_b32 s51, s10
	s_cbranch_execz .LBB45_111
; %bb.110:                              ;   in Loop: Header=BB45_3 Depth=1
	ds_load_b64 v[0:1], v9 offset:3128
	v_mov_b32_e32 v2, v9
	ds_store_b64 v9, v[30:31] offset:3120
	s_wait_dscnt 0x1
	ds_store_b128 v9, v[0:3] offset:3632
.LBB45_111:                             ;   in Loop: Header=BB45_3 Depth=1
	s_or_b32 exec_lo, exec_lo, s51
	v_mov_b64_e32 v[0:1], 0
	s_wait_dscnt 0x0
	s_barrier_signal -1
	s_barrier_wait -1
	s_and_saveexec_b32 s61, s3
	s_cbranch_execz .LBB45_121
; %bb.112:                              ;   in Loop: Header=BB45_3 Depth=1
	ds_load_b64 v[0:1], v72 offset:64
	ds_load_b64 v[42:43], v58
	s_wait_dscnt 0x0
	v_fma_f64 v[0:1], v[0:1], v[42:43], 0
	s_and_saveexec_b32 s51, s14
	s_cbranch_execnz .LBB45_1069
; %bb.113:                              ;   in Loop: Header=BB45_3 Depth=1
	s_or_b32 exec_lo, exec_lo, s51
	s_and_saveexec_b32 s51, s15
	s_cbranch_execnz .LBB45_1070
.LBB45_114:                             ;   in Loop: Header=BB45_3 Depth=1
	s_or_b32 exec_lo, exec_lo, s51
	s_and_saveexec_b32 s51, s16
	s_cbranch_execnz .LBB45_1071
.LBB45_115:                             ;   in Loop: Header=BB45_3 Depth=1
	s_or_b32 exec_lo, exec_lo, s51
	s_and_saveexec_b32 s51, s17
	s_cbranch_execnz .LBB45_1072
.LBB45_116:                             ;   in Loop: Header=BB45_3 Depth=1
	s_or_b32 exec_lo, exec_lo, s51
	s_and_saveexec_b32 s51, s18
	s_cbranch_execnz .LBB45_1073
.LBB45_117:                             ;   in Loop: Header=BB45_3 Depth=1
	s_or_b32 exec_lo, exec_lo, s51
	s_and_saveexec_b32 s51, s2
	s_cbranch_execnz .LBB45_1074
.LBB45_118:                             ;   in Loop: Header=BB45_3 Depth=1
	s_or_b32 exec_lo, exec_lo, s51
	s_and_saveexec_b32 s51, s13
	s_cbranch_execz .LBB45_120
.LBB45_119:                             ;   in Loop: Header=BB45_3 Depth=1
	ds_load_b64 v[42:43], v52 offset:3648
	ds_load_b64 v[44:45], v9 offset:56
	s_wait_dscnt 0x0
	v_fmac_f64_e32 v[0:1], v[42:43], v[44:45]
.LBB45_120:                             ;   in Loop: Header=BB45_3 Depth=1
	s_or_b32 exec_lo, exec_lo, s51
	s_delay_alu instid0(VALU_DEP_1)
	v_xor_b32_e32 v1, 0x80000000, v1
.LBB45_121:                             ;   in Loop: Header=BB45_3 Depth=1
	s_or_b32 exec_lo, exec_lo, s61
	s_and_saveexec_b32 s51, s102
; %bb.122:                              ;   in Loop: Header=BB45_3 Depth=1
	ds_store_b64 v71, v[0:1]
; %bb.123:                              ;   in Loop: Header=BB45_3 Depth=1
	s_or_b32 exec_lo, exec_lo, s51
	s_wait_dscnt 0x0
	s_barrier_signal -1
	s_barrier_wait -1
	s_and_saveexec_b32 s51, s103
	s_cbranch_execz .LBB45_125
; %bb.124:                              ;   in Loop: Header=BB45_3 Depth=1
	ds_load_b64 v[42:43], v67 offset:4160
	ds_load_b64 v[44:45], v71
	s_wait_dscnt 0x0
	v_fmac_f64_e32 v[0:1], v[42:43], v[44:45]
.LBB45_125:                             ;   in Loop: Header=BB45_3 Depth=1
	s_or_b32 exec_lo, exec_lo, s51
	s_barrier_signal -1
	s_barrier_wait -1
	s_and_saveexec_b32 s51, s104
; %bb.126:                              ;   in Loop: Header=BB45_3 Depth=1
	ds_store_b64 v71, v[0:1]
; %bb.127:                              ;   in Loop: Header=BB45_3 Depth=1
	s_or_b32 exec_lo, exec_lo, s51
	s_wait_dscnt 0x0
	s_barrier_signal -1
	s_barrier_wait -1
	s_and_saveexec_b32 s51, vcc_hi
	s_cbranch_execz .LBB45_129
; %bb.128:                              ;   in Loop: Header=BB45_3 Depth=1
	ds_load_b64 v[42:43], v67 offset:4672
	ds_load_b64 v[44:45], v71
	s_wait_dscnt 0x0
	v_fmac_f64_e32 v[0:1], v[42:43], v[44:45]
.LBB45_129:                             ;   in Loop: Header=BB45_3 Depth=1
	s_or_b32 exec_lo, exec_lo, s51
	s_barrier_signal -1
	s_barrier_wait -1
	s_and_saveexec_b32 s51, s31
; %bb.130:                              ;   in Loop: Header=BB45_3 Depth=1
	ds_store_b64 v71, v[0:1]
; %bb.131:                              ;   in Loop: Header=BB45_3 Depth=1
	s_or_b32 exec_lo, exec_lo, s51
	s_wait_dscnt 0x0
	s_barrier_signal -1
	s_barrier_wait -1
	s_and_saveexec_b32 s51, s33
	s_cbranch_execz .LBB45_133
; %bb.132:                              ;   in Loop: Header=BB45_3 Depth=1
	ds_load_b64 v[42:43], v67 offset:5184
	ds_load_b64 v[44:45], v71
	s_wait_dscnt 0x0
	v_fmac_f64_e32 v[0:1], v[42:43], v[44:45]
.LBB45_133:                             ;   in Loop: Header=BB45_3 Depth=1
	s_or_b32 exec_lo, exec_lo, s51
	s_barrier_signal -1
	s_barrier_wait -1
	s_and_saveexec_b32 s51, s34
; %bb.134:                              ;   in Loop: Header=BB45_3 Depth=1
	ds_store_b64 v71, v[0:1]
; %bb.135:                              ;   in Loop: Header=BB45_3 Depth=1
	s_or_b32 exec_lo, exec_lo, s51
	s_wait_dscnt 0x0
	s_barrier_signal -1
	s_barrier_wait -1
	s_and_saveexec_b32 s51, s35
	;; [unrolled: 19-line block ×5, first 2 shown]
	s_cbranch_execz .LBB45_149
; %bb.148:                              ;   in Loop: Header=BB45_3 Depth=1
	ds_load_b64 v[42:43], v9 offset:7288
	ds_load_b64 v[44:45], v71
	s_wait_dscnt 0x0
	v_fmac_f64_e32 v[0:1], v[42:43], v[44:45]
.LBB45_149:                             ;   in Loop: Header=BB45_3 Depth=1
	s_or_b32 exec_lo, exec_lo, s51
	s_barrier_signal -1
	s_barrier_wait -1
	s_and_saveexec_b32 s51, s41
; %bb.150:                              ;   in Loop: Header=BB45_3 Depth=1
	ds_store_b64 v71, v[0:1]
; %bb.151:                              ;   in Loop: Header=BB45_3 Depth=1
	s_or_b32 exec_lo, exec_lo, s51
	s_wait_dscnt 0x0
	s_barrier_signal -1
	s_barrier_wait -1
	s_barrier_signal -1
	s_barrier_wait -1
	s_and_saveexec_b32 s51, s3
; %bb.152:                              ;   in Loop: Header=BB45_3 Depth=1
	v_xor_b32_e32 v1, 0x80000000, v1
	ds_store_b64 v72, v[0:1] offset:64
; %bb.153:                              ;   in Loop: Header=BB45_3 Depth=1
	s_or_b32 exec_lo, exec_lo, s51
	s_wait_dscnt 0x0
	s_barrier_signal -1
	s_barrier_wait -1
	s_barrier_signal -1
	s_barrier_wait -1
	s_and_saveexec_b32 s51, s42
	s_cbranch_execz .LBB45_155
; %bb.154:                              ;   in Loop: Header=BB45_3 Depth=1
	ds_load_b64 v[0:1], v53 offset:64
	s_wait_dscnt 0x0
	ds_store_b64 v54, v[0:1] offset:4096
	ds_load_b64 v[0:1], v53 offset:72
	s_wait_dscnt 0x0
	ds_store_b64 v54, v[0:1] offset:4608
	;; [unrolled: 3-line block ×8, first 2 shown]
.LBB45_155:                             ;   in Loop: Header=BB45_3 Depth=1
	s_or_b32 exec_lo, exec_lo, s51
	s_wait_dscnt 0x0
	s_barrier_signal -1
	s_barrier_wait -1
	s_and_saveexec_b32 s51, s10
	s_cbranch_execz .LBB45_157
; %bb.156:                              ;   in Loop: Header=BB45_3 Depth=1
	ds_load_b64 v[0:1], v9 offset:4168
	v_mov_b32_e32 v2, v9
	ds_store_b64 v9, v[30:31] offset:4160
	s_wait_dscnt 0x1
	ds_store_b128 v9, v[0:3] offset:4672
.LBB45_157:                             ;   in Loop: Header=BB45_3 Depth=1
	s_or_b32 exec_lo, exec_lo, s51
	v_mov_b64_e32 v[0:1], 0
	s_wait_dscnt 0x0
	s_barrier_signal -1
	s_barrier_wait -1
	s_and_saveexec_b32 s51, s0
	s_cbranch_execz .LBB45_161
; %bb.158:                              ;   in Loop: Header=BB45_3 Depth=1
	ds_load_b64 v[0:1], v64 offset:4176
	ds_load_b64 v[42:43], v65 offset:4160
	s_wait_dscnt 0x0
	v_fma_f64 v[0:1], v[0:1], v[42:43], 0
	s_and_saveexec_b32 s52, s11
	s_cbranch_execz .LBB45_160
; %bb.159:                              ;   in Loop: Header=BB45_3 Depth=1
	ds_load_b64 v[42:43], v54 offset:4688
	ds_load_b64 v[44:45], v9 offset:4168
	s_wait_dscnt 0x0
	v_fmac_f64_e32 v[0:1], v[42:43], v[44:45]
.LBB45_160:                             ;   in Loop: Header=BB45_3 Depth=1
	s_or_b32 exec_lo, exec_lo, s52
	s_delay_alu instid0(VALU_DEP_1)
	v_xor_b32_e32 v1, 0x80000000, v1
.LBB45_161:                             ;   in Loop: Header=BB45_3 Depth=1
	s_or_b32 exec_lo, exec_lo, s51
	s_and_saveexec_b32 s51, s92
; %bb.162:                              ;   in Loop: Header=BB45_3 Depth=1
	ds_store_b64 v56, v[0:1]
; %bb.163:                              ;   in Loop: Header=BB45_3 Depth=1
	s_or_b32 exec_lo, exec_lo, s51
	s_wait_dscnt 0x0
	s_barrier_signal -1
	s_barrier_wait -1
	s_and_saveexec_b32 s51, s93
	s_cbranch_execz .LBB45_165
; %bb.164:                              ;   in Loop: Header=BB45_3 Depth=1
	ds_load_b64 v[42:43], v9 offset:5208
	ds_load_b64 v[44:45], v56
	s_wait_dscnt 0x0
	v_fmac_f64_e32 v[0:1], v[42:43], v[44:45]
.LBB45_165:                             ;   in Loop: Header=BB45_3 Depth=1
	s_or_b32 exec_lo, exec_lo, s51
	s_barrier_signal -1
	s_barrier_wait -1
	s_and_saveexec_b32 s51, s93
; %bb.166:                              ;   in Loop: Header=BB45_3 Depth=1
	ds_store_b64 v56, v[0:1]
; %bb.167:                              ;   in Loop: Header=BB45_3 Depth=1
	s_or_b32 exec_lo, exec_lo, s51
	s_wait_dscnt 0x0
	s_barrier_signal -1
	s_barrier_wait -1
	s_barrier_signal -1
	s_barrier_wait -1
	s_and_saveexec_b32 s51, s0
; %bb.168:                              ;   in Loop: Header=BB45_3 Depth=1
	v_xor_b32_e32 v1, 0x80000000, v1
	ds_store_b64 v64, v[0:1] offset:4176
; %bb.169:                              ;   in Loop: Header=BB45_3 Depth=1
	s_or_b32 exec_lo, exec_lo, s51
	s_wait_dscnt 0x0
	s_barrier_signal -1
	s_barrier_wait -1
	s_barrier_signal -1
	s_barrier_wait -1
	s_and_saveexec_b32 s51, s94
	s_cbranch_execz .LBB45_171
; %bb.170:                              ;   in Loop: Header=BB45_3 Depth=1
	ds_load_b64 v[0:1], v57 offset:4176
	s_wait_dscnt 0x0
	ds_store_b64 v54, v[0:1] offset:5184
	ds_load_b64 v[0:1], v57 offset:4184
	s_wait_dscnt 0x0
	ds_store_b64 v54, v[0:1] offset:5696
.LBB45_171:                             ;   in Loop: Header=BB45_3 Depth=1
	s_or_b32 exec_lo, exec_lo, s51
	s_wait_dscnt 0x0
	s_barrier_signal -1
	s_barrier_wait -1
	s_and_saveexec_b32 s51, s10
	s_cbranch_execz .LBB45_173
; %bb.172:                              ;   in Loop: Header=BB45_3 Depth=1
	ds_load_b64 v[0:1], v9 offset:5208
	v_mov_b32_e32 v2, v9
	ds_store_b64 v9, v[30:31] offset:5200
	s_wait_dscnt 0x1
	ds_store_b128 v9, v[0:3] offset:5712
.LBB45_173:                             ;   in Loop: Header=BB45_3 Depth=1
	s_or_b32 exec_lo, exec_lo, s51
	v_mov_b64_e32 v[0:1], 0
	s_wait_dscnt 0x0
	s_barrier_signal -1
	s_barrier_wait -1
	s_and_saveexec_b32 s61, s2
	s_cbranch_execz .LBB45_179
; %bb.174:                              ;   in Loop: Header=BB45_3 Depth=1
	ds_load_b64 v[0:1], v68 offset:4192
	ds_load_b64 v[42:43], v55 offset:4160
	s_wait_dscnt 0x0
	v_fma_f64 v[0:1], v[0:1], v[42:43], 0
	s_and_saveexec_b32 s51, s12
	s_cbranch_execnz .LBB45_1075
; %bb.175:                              ;   in Loop: Header=BB45_3 Depth=1
	s_or_b32 exec_lo, exec_lo, s51
	s_and_saveexec_b32 s51, s13
	s_cbranch_execnz .LBB45_1076
.LBB45_176:                             ;   in Loop: Header=BB45_3 Depth=1
	s_or_b32 exec_lo, exec_lo, s51
	s_and_saveexec_b32 s51, s0
	s_cbranch_execz .LBB45_178
.LBB45_177:                             ;   in Loop: Header=BB45_3 Depth=1
	ds_load_b64 v[42:43], v59 offset:5728
	ds_load_b64 v[44:45], v9 offset:4184
	s_wait_dscnt 0x0
	v_fmac_f64_e32 v[0:1], v[42:43], v[44:45]
.LBB45_178:                             ;   in Loop: Header=BB45_3 Depth=1
	s_or_b32 exec_lo, exec_lo, s51
	s_delay_alu instid0(VALU_DEP_1)
	v_xor_b32_e32 v1, 0x80000000, v1
.LBB45_179:                             ;   in Loop: Header=BB45_3 Depth=1
	s_or_b32 exec_lo, exec_lo, s61
	s_and_saveexec_b32 s51, s95
; %bb.180:                              ;   in Loop: Header=BB45_3 Depth=1
	ds_store_b64 v66, v[0:1]
; %bb.181:                              ;   in Loop: Header=BB45_3 Depth=1
	s_or_b32 exec_lo, exec_lo, s51
	s_wait_dscnt 0x0
	s_barrier_signal -1
	s_barrier_wait -1
	s_and_saveexec_b32 s51, s96
	s_cbranch_execz .LBB45_183
; %bb.182:                              ;   in Loop: Header=BB45_3 Depth=1
	ds_load_b64 v[42:43], v63 offset:6240
	ds_load_b64 v[44:45], v66
	s_wait_dscnt 0x0
	v_fmac_f64_e32 v[0:1], v[42:43], v[44:45]
.LBB45_183:                             ;   in Loop: Header=BB45_3 Depth=1
	s_or_b32 exec_lo, exec_lo, s51
	s_barrier_signal -1
	s_barrier_wait -1
	s_and_saveexec_b32 s51, s97
; %bb.184:                              ;   in Loop: Header=BB45_3 Depth=1
	ds_store_b64 v66, v[0:1]
; %bb.185:                              ;   in Loop: Header=BB45_3 Depth=1
	s_or_b32 exec_lo, exec_lo, s51
	s_wait_dscnt 0x0
	s_barrier_signal -1
	s_barrier_wait -1
	s_and_saveexec_b32 s51, s98
	s_cbranch_execz .LBB45_187
; %bb.186:                              ;   in Loop: Header=BB45_3 Depth=1
	ds_load_b64 v[42:43], v63 offset:6752
	ds_load_b64 v[44:45], v66
	s_wait_dscnt 0x0
	v_fmac_f64_e32 v[0:1], v[42:43], v[44:45]
.LBB45_187:                             ;   in Loop: Header=BB45_3 Depth=1
	s_or_b32 exec_lo, exec_lo, s51
	s_barrier_signal -1
	s_barrier_wait -1
	s_and_saveexec_b32 s51, s99
; %bb.188:                              ;   in Loop: Header=BB45_3 Depth=1
	ds_store_b64 v66, v[0:1]
; %bb.189:                              ;   in Loop: Header=BB45_3 Depth=1
	s_or_b32 exec_lo, exec_lo, s51
	s_wait_dscnt 0x0
	s_barrier_signal -1
	s_barrier_wait -1
	s_and_saveexec_b32 s51, s100
	s_cbranch_execz .LBB45_191
; %bb.190:                              ;   in Loop: Header=BB45_3 Depth=1
	ds_load_b64 v[42:43], v9 offset:7288
	ds_load_b64 v[44:45], v66
	s_wait_dscnt 0x0
	v_fmac_f64_e32 v[0:1], v[42:43], v[44:45]
.LBB45_191:                             ;   in Loop: Header=BB45_3 Depth=1
	s_or_b32 exec_lo, exec_lo, s51
	s_barrier_signal -1
	s_barrier_wait -1
	s_and_saveexec_b32 s51, s100
; %bb.192:                              ;   in Loop: Header=BB45_3 Depth=1
	ds_store_b64 v66, v[0:1]
; %bb.193:                              ;   in Loop: Header=BB45_3 Depth=1
	s_or_b32 exec_lo, exec_lo, s51
	s_wait_dscnt 0x0
	s_barrier_signal -1
	s_barrier_wait -1
	s_barrier_signal -1
	s_barrier_wait -1
	s_and_saveexec_b32 s51, s2
; %bb.194:                              ;   in Loop: Header=BB45_3 Depth=1
	v_xor_b32_e32 v1, 0x80000000, v1
	ds_store_b64 v68, v[0:1] offset:4192
; %bb.195:                              ;   in Loop: Header=BB45_3 Depth=1
	s_or_b32 exec_lo, exec_lo, s51
	s_wait_dscnt 0x0
	s_barrier_signal -1
	s_barrier_wait -1
	s_barrier_signal -1
	s_barrier_wait -1
	s_and_saveexec_b32 s51, s101
	s_cbranch_execz .LBB45_197
; %bb.196:                              ;   in Loop: Header=BB45_3 Depth=1
	ds_load_b64 v[0:1], v61 offset:4192
	s_wait_dscnt 0x0
	ds_store_b64 v79, v[0:1] offset:6208
	ds_load_b64 v[0:1], v61 offset:4200
	s_wait_dscnt 0x0
	ds_store_b64 v79, v[0:1] offset:6720
	;; [unrolled: 3-line block ×4, first 2 shown]
.LBB45_197:                             ;   in Loop: Header=BB45_3 Depth=1
	s_or_b32 exec_lo, exec_lo, s51
	s_wait_dscnt 0x0
	s_barrier_signal -1
	s_barrier_wait -1
	s_and_saveexec_b32 s51, s10
	s_cbranch_execz .LBB45_199
; %bb.198:                              ;   in Loop: Header=BB45_3 Depth=1
	ds_load_b64 v[0:1], v9 offset:6248
	v_mov_b32_e32 v2, v9
	ds_store_b64 v9, v[30:31] offset:6240
	s_wait_dscnt 0x1
	ds_store_b128 v9, v[0:3] offset:6752
.LBB45_199:                             ;   in Loop: Header=BB45_3 Depth=1
	s_or_b32 exec_lo, exec_lo, s51
	v_mov_b64_e32 v[0:1], 0
	s_wait_dscnt 0x0
	s_barrier_signal -1
	s_barrier_wait -1
	s_and_saveexec_b32 s51, s0
	s_cbranch_execz .LBB45_203
; %bb.200:                              ;   in Loop: Header=BB45_3 Depth=1
	ds_load_b64 v[0:1], v64 offset:6256
	ds_load_b64 v[42:43], v65 offset:6240
	s_wait_dscnt 0x0
	v_fma_f64 v[0:1], v[0:1], v[42:43], 0
	s_and_saveexec_b32 s52, s11
	s_cbranch_execz .LBB45_202
; %bb.201:                              ;   in Loop: Header=BB45_3 Depth=1
	ds_load_b64 v[42:43], v79 offset:6768
	ds_load_b64 v[44:45], v9 offset:6248
	s_wait_dscnt 0x0
	v_fmac_f64_e32 v[0:1], v[42:43], v[44:45]
.LBB45_202:                             ;   in Loop: Header=BB45_3 Depth=1
	s_or_b32 exec_lo, exec_lo, s52
	s_delay_alu instid0(VALU_DEP_1)
	v_xor_b32_e32 v1, 0x80000000, v1
.LBB45_203:                             ;   in Loop: Header=BB45_3 Depth=1
	s_or_b32 exec_lo, exec_lo, s51
	s_and_saveexec_b32 s51, s92
; %bb.204:                              ;   in Loop: Header=BB45_3 Depth=1
	ds_store_b64 v56, v[0:1]
; %bb.205:                              ;   in Loop: Header=BB45_3 Depth=1
	s_or_b32 exec_lo, exec_lo, s51
	s_wait_dscnt 0x0
	s_barrier_signal -1
	s_barrier_wait -1
	s_and_saveexec_b32 s51, s93
	s_cbranch_execz .LBB45_207
; %bb.206:                              ;   in Loop: Header=BB45_3 Depth=1
	ds_load_b64 v[42:43], v9 offset:7288
	ds_load_b64 v[44:45], v56
	s_wait_dscnt 0x0
	v_fmac_f64_e32 v[0:1], v[42:43], v[44:45]
.LBB45_207:                             ;   in Loop: Header=BB45_3 Depth=1
	s_or_b32 exec_lo, exec_lo, s51
	s_barrier_signal -1
	s_barrier_wait -1
	s_and_saveexec_b32 s51, s93
; %bb.208:                              ;   in Loop: Header=BB45_3 Depth=1
	ds_store_b64 v56, v[0:1]
; %bb.209:                              ;   in Loop: Header=BB45_3 Depth=1
	s_or_b32 exec_lo, exec_lo, s51
	s_wait_dscnt 0x0
	s_barrier_signal -1
	s_barrier_wait -1
	s_barrier_signal -1
	s_barrier_wait -1
	s_and_saveexec_b32 s51, s0
; %bb.210:                              ;   in Loop: Header=BB45_3 Depth=1
	v_xor_b32_e32 v1, 0x80000000, v1
	ds_store_b64 v64, v[0:1] offset:6256
; %bb.211:                              ;   in Loop: Header=BB45_3 Depth=1
	s_or_b32 exec_lo, exec_lo, s51
	s_wait_dscnt 0x0
	s_barrier_signal -1
	s_barrier_wait -1
	s_barrier_signal -1
	s_barrier_wait -1
	s_and_saveexec_b32 s51, s94
	s_cbranch_execz .LBB45_213
; %bb.212:                              ;   in Loop: Header=BB45_3 Depth=1
	ds_load_b64 v[0:1], v80 offset:6256
	s_wait_dscnt 0x0
	ds_store_b64 v79, v[0:1] offset:7264
	ds_load_b64 v[0:1], v80 offset:6264
	s_wait_dscnt 0x0
	ds_store_b64 v79, v[0:1] offset:7776
.LBB45_213:                             ;   in Loop: Header=BB45_3 Depth=1
	s_or_b32 exec_lo, exec_lo, s51
	s_wait_dscnt 0x0
	s_barrier_signal -1
	s_barrier_wait -1
	s_and_saveexec_b32 s51, s10
	s_cbranch_execz .LBB45_215
; %bb.214:                              ;   in Loop: Header=BB45_3 Depth=1
	ds_load_b64 v[0:1], v9 offset:7288
	v_mov_b32_e32 v2, v9
	ds_store_b64 v9, v[30:31] offset:7280
	s_wait_dscnt 0x1
	ds_store_b128 v9, v[0:3] offset:7792
.LBB45_215:                             ;   in Loop: Header=BB45_3 Depth=1
	s_or_b32 exec_lo, exec_lo, s51
	v_mov_b64_e32 v[0:1], 0
	s_wait_dscnt 0x0
	s_barrier_signal -1
	s_barrier_wait -1
	s_and_saveexec_b32 s82, s4
	s_cbranch_execz .LBB45_243
; %bb.216:                              ;   in Loop: Header=BB45_3 Depth=1
	ds_load_b64 v[0:1], v75 offset:128
	ds_load_b64 v[42:43], v60
	s_wait_dscnt 0x0
	v_fma_f64 v[0:1], v[0:1], v[42:43], 0
	s_mov_b32 s51, exec_lo
	v_readlane_b32 s52, v102, 23
	s_and_b32 s52, s51, s52
	s_delay_alu instid0(SALU_CYCLE_1)
	s_mov_b32 exec_lo, s52
	s_cbranch_execz .LBB45_218
; %bb.217:                              ;   in Loop: Header=BB45_3 Depth=1
	ds_load_b64 v[42:43], v76 offset:640
	ds_load_b64 v[44:45], v60 offset:8
	s_wait_dscnt 0x0
	v_fmac_f64_e32 v[0:1], v[42:43], v[44:45]
.LBB45_218:                             ;   in Loop: Header=BB45_3 Depth=1
	s_or_b32 exec_lo, exec_lo, s51
	s_delay_alu instid0(SALU_CYCLE_1) | instskip(SKIP_2) | instid1(SALU_CYCLE_1)
	s_mov_b32 s51, exec_lo
	v_readlane_b32 s52, v102, 24
	s_and_b32 s52, s51, s52
	s_mov_b32 exec_lo, s52
	s_cbranch_execz .LBB45_220
; %bb.219:                              ;   in Loop: Header=BB45_3 Depth=1
	ds_load_b64 v[42:43], v76 offset:1152
	ds_load_b64 v[44:45], v60 offset:16
	s_wait_dscnt 0x0
	v_fmac_f64_e32 v[0:1], v[42:43], v[44:45]
.LBB45_220:                             ;   in Loop: Header=BB45_3 Depth=1
	s_or_b32 exec_lo, exec_lo, s51
	s_delay_alu instid0(SALU_CYCLE_1) | instskip(SKIP_2) | instid1(SALU_CYCLE_1)
	s_mov_b32 s51, exec_lo
	v_readlane_b32 s52, v102, 25
	s_and_b32 s52, s51, s52
	;; [unrolled: 13-line block ×10, first 2 shown]
	s_mov_b32 exec_lo, s52
	s_cbranch_execnz .LBB45_1077
; %bb.237:                              ;   in Loop: Header=BB45_3 Depth=1
	s_or_b32 exec_lo, exec_lo, s51
	s_and_saveexec_b32 s51, s3
	s_cbranch_execnz .LBB45_1078
.LBB45_238:                             ;   in Loop: Header=BB45_3 Depth=1
	s_or_b32 exec_lo, exec_lo, s51
	s_and_saveexec_b32 s51, s15
	s_cbranch_execnz .LBB45_1079
.LBB45_239:                             ;   in Loop: Header=BB45_3 Depth=1
	s_or_b32 exec_lo, exec_lo, s51
	s_and_saveexec_b32 s51, s17
	s_cbranch_execnz .LBB45_1080
.LBB45_240:                             ;   in Loop: Header=BB45_3 Depth=1
	s_or_b32 exec_lo, exec_lo, s51
	s_and_saveexec_b32 s51, s2
	s_cbranch_execz .LBB45_242
.LBB45_241:                             ;   in Loop: Header=BB45_3 Depth=1
	ds_load_b64 v[42:43], v7 offset:7808
	ds_load_b64 v[44:45], v9 offset:120
	s_wait_dscnt 0x0
	v_fmac_f64_e32 v[0:1], v[42:43], v[44:45]
.LBB45_242:                             ;   in Loop: Header=BB45_3 Depth=1
	s_or_b32 exec_lo, exec_lo, s51
	s_delay_alu instid0(VALU_DEP_1)
	v_xor_b32_e32 v1, 0x80000000, v1
.LBB45_243:                             ;   in Loop: Header=BB45_3 Depth=1
	s_or_b32 exec_lo, exec_lo, s82
	s_delay_alu instid0(SALU_CYCLE_1) | instskip(SKIP_2) | instid1(SALU_CYCLE_1)
	s_mov_b32 s51, exec_lo
	v_readlane_b32 s52, v102, 2
	s_and_b32 s52, s51, s52
	s_mov_b32 exec_lo, s52
; %bb.244:                              ;   in Loop: Header=BB45_3 Depth=1
	ds_store_b64 v74, v[0:1]
; %bb.245:                              ;   in Loop: Header=BB45_3 Depth=1
	s_or_b32 exec_lo, exec_lo, s51
	s_wait_dscnt 0x0
	s_barrier_signal -1
	s_barrier_wait -1
	s_mov_b32 s51, exec_lo
	v_readlane_b32 s52, v102, 3
	s_and_b32 s52, s51, s52
	s_delay_alu instid0(SALU_CYCLE_1)
	s_mov_b32 exec_lo, s52
	s_cbranch_execz .LBB45_247
; %bb.246:                              ;   in Loop: Header=BB45_3 Depth=1
	ds_load_b64 v[42:43], v70 offset:8320
	ds_load_b64 v[44:45], v74
	s_wait_dscnt 0x0
	v_fmac_f64_e32 v[0:1], v[42:43], v[44:45]
.LBB45_247:                             ;   in Loop: Header=BB45_3 Depth=1
	s_or_b32 exec_lo, exec_lo, s51
	s_barrier_signal -1
	s_barrier_wait -1
	s_mov_b32 s51, exec_lo
	v_readlane_b32 s52, v102, 4
	s_and_b32 s52, s51, s52
	s_delay_alu instid0(SALU_CYCLE_1)
	s_mov_b32 exec_lo, s52
; %bb.248:                              ;   in Loop: Header=BB45_3 Depth=1
	ds_store_b64 v74, v[0:1]
; %bb.249:                              ;   in Loop: Header=BB45_3 Depth=1
	s_or_b32 exec_lo, exec_lo, s51
	s_wait_dscnt 0x0
	s_barrier_signal -1
	s_barrier_wait -1
	s_mov_b32 s51, exec_lo
	v_readlane_b32 s52, v102, 5
	s_and_b32 s52, s51, s52
	s_delay_alu instid0(SALU_CYCLE_1)
	s_mov_b32 exec_lo, s52
	s_cbranch_execz .LBB45_251
; %bb.250:                              ;   in Loop: Header=BB45_3 Depth=1
	ds_load_b64 v[42:43], v70 offset:8832
	ds_load_b64 v[44:45], v74
	s_wait_dscnt 0x0
	v_fmac_f64_e32 v[0:1], v[42:43], v[44:45]
.LBB45_251:                             ;   in Loop: Header=BB45_3 Depth=1
	s_or_b32 exec_lo, exec_lo, s51
	s_barrier_signal -1
	s_barrier_wait -1
	s_mov_b32 s51, exec_lo
	v_readlane_b32 s52, v102, 6
	s_and_b32 s52, s51, s52
	s_delay_alu instid0(SALU_CYCLE_1)
	;; [unrolled: 27-line block ×5, first 2 shown]
	s_mov_b32 exec_lo, s52
; %bb.264:                              ;   in Loop: Header=BB45_3 Depth=1
	ds_store_b64 v74, v[0:1]
; %bb.265:                              ;   in Loop: Header=BB45_3 Depth=1
	s_or_b32 exec_lo, exec_lo, s51
	s_wait_dscnt 0x0
	s_barrier_signal -1
	s_barrier_wait -1
	s_and_saveexec_b32 s51, s54
	s_cbranch_execz .LBB45_267
; %bb.266:                              ;   in Loop: Header=BB45_3 Depth=1
	ds_load_b64 v[42:43], v70 offset:10880
	ds_load_b64 v[44:45], v74
	s_wait_dscnt 0x0
	v_fmac_f64_e32 v[0:1], v[42:43], v[44:45]
.LBB45_267:                             ;   in Loop: Header=BB45_3 Depth=1
	s_or_b32 exec_lo, exec_lo, s51
	s_barrier_signal -1
	s_barrier_wait -1
	s_and_saveexec_b32 s51, s19
; %bb.268:                              ;   in Loop: Header=BB45_3 Depth=1
	ds_store_b64 v74, v[0:1]
; %bb.269:                              ;   in Loop: Header=BB45_3 Depth=1
	s_or_b32 exec_lo, exec_lo, s51
	s_wait_dscnt 0x0
	s_barrier_signal -1
	s_barrier_wait -1
	s_and_saveexec_b32 s51, s21
	s_cbranch_execz .LBB45_271
; %bb.270:                              ;   in Loop: Header=BB45_3 Depth=1
	ds_load_b64 v[42:43], v70 offset:11392
	ds_load_b64 v[44:45], v74
	s_wait_dscnt 0x0
	v_fmac_f64_e32 v[0:1], v[42:43], v[44:45]
.LBB45_271:                             ;   in Loop: Header=BB45_3 Depth=1
	s_or_b32 exec_lo, exec_lo, s51
	s_barrier_signal -1
	s_barrier_wait -1
	s_and_saveexec_b32 s51, s23
	;; [unrolled: 19-line block ×10, first 2 shown]
; %bb.304:                              ;   in Loop: Header=BB45_3 Depth=1
	ds_store_b64 v74, v[0:1]
; %bb.305:                              ;   in Loop: Header=BB45_3 Depth=1
	s_or_b32 exec_lo, exec_lo, s51
	s_wait_dscnt 0x0
	s_barrier_signal -1
	s_barrier_wait -1
	s_barrier_signal -1
	s_barrier_wait -1
	s_and_saveexec_b32 s51, s4
; %bb.306:                              ;   in Loop: Header=BB45_3 Depth=1
	v_xor_b32_e32 v1, 0x80000000, v1
	ds_store_b64 v75, v[0:1] offset:128
; %bb.307:                              ;   in Loop: Header=BB45_3 Depth=1
	s_or_b32 exec_lo, exec_lo, s51
	s_wait_dscnt 0x0
	s_barrier_signal -1
	s_barrier_wait -1
	s_barrier_signal -1
	s_barrier_wait -1
	s_and_saveexec_b32 s51, s48
	s_cbranch_execz .LBB45_309
; %bb.308:                              ;   in Loop: Header=BB45_3 Depth=1
	ds_load_b64 v[0:1], v11 offset:128
	s_wait_dscnt 0x0
	ds_store_b64 v48, v[0:1] offset:8192
	ds_load_b64 v[0:1], v11 offset:136
	s_wait_dscnt 0x0
	ds_store_b64 v48, v[0:1] offset:8704
	ds_load_b64 v[0:1], v11 offset:144
	s_wait_dscnt 0x0
	ds_store_b64 v48, v[0:1] offset:9216
	ds_load_b64 v[0:1], v11 offset:152
	s_wait_dscnt 0x0
	ds_store_b64 v48, v[0:1] offset:9728
	ds_load_b64 v[0:1], v11 offset:160
	s_wait_dscnt 0x0
	ds_store_b64 v48, v[0:1] offset:10240
	ds_load_b64 v[0:1], v11 offset:168
	s_wait_dscnt 0x0
	ds_store_b64 v48, v[0:1] offset:10752
	ds_load_b64 v[0:1], v11 offset:176
	s_wait_dscnt 0x0
	ds_store_b64 v48, v[0:1] offset:11264
	ds_load_b64 v[0:1], v11 offset:184
	s_wait_dscnt 0x0
	ds_store_b64 v48, v[0:1] offset:11776
	ds_load_b64 v[0:1], v11 offset:192
	s_wait_dscnt 0x0
	ds_store_b64 v48, v[0:1] offset:12288
	ds_load_b64 v[0:1], v11 offset:200
	s_wait_dscnt 0x0
	ds_store_b64 v48, v[0:1] offset:12800
	ds_load_b64 v[0:1], v11 offset:208
	s_wait_dscnt 0x0
	ds_store_b64 v48, v[0:1] offset:13312
	ds_load_b64 v[0:1], v11 offset:216
	s_wait_dscnt 0x0
	ds_store_b64 v48, v[0:1] offset:13824
	ds_load_b64 v[0:1], v11 offset:224
	s_wait_dscnt 0x0
	ds_store_b64 v48, v[0:1] offset:14336
	ds_load_b64 v[0:1], v11 offset:232
	s_wait_dscnt 0x0
	ds_store_b64 v48, v[0:1] offset:14848
	ds_load_b64 v[0:1], v11 offset:240
	s_wait_dscnt 0x0
	ds_store_b64 v48, v[0:1] offset:15360
	ds_load_b64 v[0:1], v11 offset:248
	s_wait_dscnt 0x0
	ds_store_b64 v48, v[0:1] offset:15872
.LBB45_309:                             ;   in Loop: Header=BB45_3 Depth=1
	s_or_b32 exec_lo, exec_lo, s51
	s_wait_dscnt 0x0
	s_barrier_signal -1
	s_barrier_wait -1
	s_and_saveexec_b32 s51, s10
	s_cbranch_execz .LBB45_311
; %bb.310:                              ;   in Loop: Header=BB45_3 Depth=1
	ds_load_b64 v[0:1], v9 offset:8328
	v_mov_b32_e32 v2, v9
	ds_store_b64 v9, v[30:31] offset:8320
	s_wait_dscnt 0x1
	ds_store_b128 v9, v[0:3] offset:8832
.LBB45_311:                             ;   in Loop: Header=BB45_3 Depth=1
	s_or_b32 exec_lo, exec_lo, s51
	v_mov_b64_e32 v[0:1], 0
	s_wait_dscnt 0x0
	s_barrier_signal -1
	s_barrier_wait -1
	s_and_saveexec_b32 s51, s0
	s_cbranch_execz .LBB45_315
; %bb.312:                              ;   in Loop: Header=BB45_3 Depth=1
	ds_load_b64 v[0:1], v64 offset:8336
	ds_load_b64 v[42:43], v65 offset:8320
	s_wait_dscnt 0x0
	v_fma_f64 v[0:1], v[0:1], v[42:43], 0
	s_and_saveexec_b32 s52, s11
	s_cbranch_execz .LBB45_314
; %bb.313:                              ;   in Loop: Header=BB45_3 Depth=1
	ds_load_b64 v[42:43], v7 offset:8848
	ds_load_b64 v[44:45], v9 offset:8328
	s_wait_dscnt 0x0
	v_fmac_f64_e32 v[0:1], v[42:43], v[44:45]
.LBB45_314:                             ;   in Loop: Header=BB45_3 Depth=1
	s_or_b32 exec_lo, exec_lo, s52
	s_delay_alu instid0(VALU_DEP_1)
	v_xor_b32_e32 v1, 0x80000000, v1
.LBB45_315:                             ;   in Loop: Header=BB45_3 Depth=1
	s_or_b32 exec_lo, exec_lo, s51
	s_and_saveexec_b32 s51, s92
; %bb.316:                              ;   in Loop: Header=BB45_3 Depth=1
	ds_store_b64 v56, v[0:1]
; %bb.317:                              ;   in Loop: Header=BB45_3 Depth=1
	s_or_b32 exec_lo, exec_lo, s51
	s_wait_dscnt 0x0
	s_barrier_signal -1
	s_barrier_wait -1
	s_and_saveexec_b32 s51, s93
	s_cbranch_execz .LBB45_319
; %bb.318:                              ;   in Loop: Header=BB45_3 Depth=1
	ds_load_b64 v[42:43], v9 offset:9368
	ds_load_b64 v[44:45], v56
	s_wait_dscnt 0x0
	v_fmac_f64_e32 v[0:1], v[42:43], v[44:45]
.LBB45_319:                             ;   in Loop: Header=BB45_3 Depth=1
	s_or_b32 exec_lo, exec_lo, s51
	s_barrier_signal -1
	s_barrier_wait -1
	s_and_saveexec_b32 s51, s93
; %bb.320:                              ;   in Loop: Header=BB45_3 Depth=1
	ds_store_b64 v56, v[0:1]
; %bb.321:                              ;   in Loop: Header=BB45_3 Depth=1
	s_or_b32 exec_lo, exec_lo, s51
	s_wait_dscnt 0x0
	s_barrier_signal -1
	s_barrier_wait -1
	s_barrier_signal -1
	s_barrier_wait -1
	s_and_saveexec_b32 s51, s0
; %bb.322:                              ;   in Loop: Header=BB45_3 Depth=1
	v_xor_b32_e32 v1, 0x80000000, v1
	ds_store_b64 v64, v[0:1] offset:8336
; %bb.323:                              ;   in Loop: Header=BB45_3 Depth=1
	s_or_b32 exec_lo, exec_lo, s51
	s_wait_dscnt 0x0
	s_barrier_signal -1
	s_barrier_wait -1
	s_barrier_signal -1
	s_barrier_wait -1
	s_and_saveexec_b32 s51, s94
	s_cbranch_execz .LBB45_325
; %bb.324:                              ;   in Loop: Header=BB45_3 Depth=1
	ds_load_b64 v[0:1], v11 offset:8336
	s_wait_dscnt 0x0
	ds_store_b64 v7, v[0:1] offset:9344
	ds_load_b64 v[0:1], v11 offset:8344
	s_wait_dscnt 0x0
	ds_store_b64 v7, v[0:1] offset:9856
.LBB45_325:                             ;   in Loop: Header=BB45_3 Depth=1
	s_or_b32 exec_lo, exec_lo, s51
	s_wait_dscnt 0x0
	s_barrier_signal -1
	s_barrier_wait -1
	s_and_saveexec_b32 s51, s10
	s_cbranch_execz .LBB45_327
; %bb.326:                              ;   in Loop: Header=BB45_3 Depth=1
	ds_load_b64 v[0:1], v9 offset:9368
	v_mov_b32_e32 v2, v9
	ds_store_b64 v9, v[30:31] offset:9360
	s_wait_dscnt 0x1
	ds_store_b128 v9, v[0:3] offset:9872
.LBB45_327:                             ;   in Loop: Header=BB45_3 Depth=1
	s_or_b32 exec_lo, exec_lo, s51
	v_mov_b64_e32 v[0:1], 0
	s_wait_dscnt 0x0
	s_barrier_signal -1
	s_barrier_wait -1
	s_and_saveexec_b32 s61, s2
	s_cbranch_execz .LBB45_333
; %bb.328:                              ;   in Loop: Header=BB45_3 Depth=1
	ds_load_b64 v[0:1], v68 offset:8352
	ds_load_b64 v[42:43], v55 offset:8320
	s_wait_dscnt 0x0
	v_fma_f64 v[0:1], v[0:1], v[42:43], 0
	s_and_saveexec_b32 s51, s12
	s_cbranch_execnz .LBB45_1081
; %bb.329:                              ;   in Loop: Header=BB45_3 Depth=1
	s_or_b32 exec_lo, exec_lo, s51
	s_and_saveexec_b32 s51, s13
	s_cbranch_execnz .LBB45_1082
.LBB45_330:                             ;   in Loop: Header=BB45_3 Depth=1
	s_or_b32 exec_lo, exec_lo, s51
	s_and_saveexec_b32 s51, s0
	s_cbranch_execz .LBB45_332
.LBB45_331:                             ;   in Loop: Header=BB45_3 Depth=1
	ds_load_b64 v[42:43], v48 offset:9888
	ds_load_b64 v[44:45], v9 offset:8344
	s_wait_dscnt 0x0
	v_fmac_f64_e32 v[0:1], v[42:43], v[44:45]
.LBB45_332:                             ;   in Loop: Header=BB45_3 Depth=1
	s_or_b32 exec_lo, exec_lo, s51
	s_delay_alu instid0(VALU_DEP_1)
	v_xor_b32_e32 v1, 0x80000000, v1
.LBB45_333:                             ;   in Loop: Header=BB45_3 Depth=1
	s_or_b32 exec_lo, exec_lo, s61
	s_and_saveexec_b32 s51, s95
; %bb.334:                              ;   in Loop: Header=BB45_3 Depth=1
	ds_store_b64 v66, v[0:1]
; %bb.335:                              ;   in Loop: Header=BB45_3 Depth=1
	s_or_b32 exec_lo, exec_lo, s51
	s_wait_dscnt 0x0
	s_barrier_signal -1
	s_barrier_wait -1
	s_and_saveexec_b32 s51, s96
	s_cbranch_execz .LBB45_337
; %bb.336:                              ;   in Loop: Header=BB45_3 Depth=1
	ds_load_b64 v[42:43], v63 offset:10400
	ds_load_b64 v[44:45], v66
	s_wait_dscnt 0x0
	v_fmac_f64_e32 v[0:1], v[42:43], v[44:45]
.LBB45_337:                             ;   in Loop: Header=BB45_3 Depth=1
	s_or_b32 exec_lo, exec_lo, s51
	s_barrier_signal -1
	s_barrier_wait -1
	s_and_saveexec_b32 s51, s97
; %bb.338:                              ;   in Loop: Header=BB45_3 Depth=1
	ds_store_b64 v66, v[0:1]
; %bb.339:                              ;   in Loop: Header=BB45_3 Depth=1
	s_or_b32 exec_lo, exec_lo, s51
	s_wait_dscnt 0x0
	s_barrier_signal -1
	s_barrier_wait -1
	s_and_saveexec_b32 s51, s98
	s_cbranch_execz .LBB45_341
; %bb.340:                              ;   in Loop: Header=BB45_3 Depth=1
	ds_load_b64 v[42:43], v63 offset:10912
	ds_load_b64 v[44:45], v66
	s_wait_dscnt 0x0
	v_fmac_f64_e32 v[0:1], v[42:43], v[44:45]
.LBB45_341:                             ;   in Loop: Header=BB45_3 Depth=1
	s_or_b32 exec_lo, exec_lo, s51
	s_barrier_signal -1
	s_barrier_wait -1
	;; [unrolled: 19-line block ×3, first 2 shown]
	s_and_saveexec_b32 s51, s100
; %bb.346:                              ;   in Loop: Header=BB45_3 Depth=1
	ds_store_b64 v66, v[0:1]
; %bb.347:                              ;   in Loop: Header=BB45_3 Depth=1
	s_or_b32 exec_lo, exec_lo, s51
	s_wait_dscnt 0x0
	s_barrier_signal -1
	s_barrier_wait -1
	s_barrier_signal -1
	s_barrier_wait -1
	s_and_saveexec_b32 s51, s2
; %bb.348:                              ;   in Loop: Header=BB45_3 Depth=1
	v_xor_b32_e32 v1, 0x80000000, v1
	ds_store_b64 v68, v[0:1] offset:8352
; %bb.349:                              ;   in Loop: Header=BB45_3 Depth=1
	s_or_b32 exec_lo, exec_lo, s51
	s_wait_dscnt 0x0
	s_barrier_signal -1
	s_barrier_wait -1
	s_barrier_signal -1
	s_barrier_wait -1
	s_and_saveexec_b32 s51, s101
	s_cbranch_execz .LBB45_351
; %bb.350:                              ;   in Loop: Header=BB45_3 Depth=1
	ds_load_b64 v[0:1], v49 offset:8352
	s_wait_dscnt 0x0
	ds_store_b64 v50, v[0:1] offset:10368
	ds_load_b64 v[0:1], v49 offset:8360
	s_wait_dscnt 0x0
	ds_store_b64 v50, v[0:1] offset:10880
	;; [unrolled: 3-line block ×4, first 2 shown]
.LBB45_351:                             ;   in Loop: Header=BB45_3 Depth=1
	s_or_b32 exec_lo, exec_lo, s51
	s_wait_dscnt 0x0
	s_barrier_signal -1
	s_barrier_wait -1
	s_and_saveexec_b32 s51, s10
	s_cbranch_execz .LBB45_353
; %bb.352:                              ;   in Loop: Header=BB45_3 Depth=1
	ds_load_b64 v[0:1], v9 offset:10408
	v_mov_b32_e32 v2, v9
	ds_store_b64 v9, v[30:31] offset:10400
	s_wait_dscnt 0x1
	ds_store_b128 v9, v[0:3] offset:10912
.LBB45_353:                             ;   in Loop: Header=BB45_3 Depth=1
	s_or_b32 exec_lo, exec_lo, s51
	v_mov_b64_e32 v[0:1], 0
	s_wait_dscnt 0x0
	s_barrier_signal -1
	s_barrier_wait -1
	s_and_saveexec_b32 s51, s0
	s_cbranch_execz .LBB45_357
; %bb.354:                              ;   in Loop: Header=BB45_3 Depth=1
	ds_load_b64 v[0:1], v64 offset:10416
	ds_load_b64 v[42:43], v65 offset:10400
	s_wait_dscnt 0x0
	v_fma_f64 v[0:1], v[0:1], v[42:43], 0
	s_and_saveexec_b32 s52, s11
	s_cbranch_execz .LBB45_356
; %bb.355:                              ;   in Loop: Header=BB45_3 Depth=1
	ds_load_b64 v[42:43], v50 offset:10928
	ds_load_b64 v[44:45], v9 offset:10408
	s_wait_dscnt 0x0
	v_fmac_f64_e32 v[0:1], v[42:43], v[44:45]
.LBB45_356:                             ;   in Loop: Header=BB45_3 Depth=1
	s_or_b32 exec_lo, exec_lo, s52
	s_delay_alu instid0(VALU_DEP_1)
	v_xor_b32_e32 v1, 0x80000000, v1
.LBB45_357:                             ;   in Loop: Header=BB45_3 Depth=1
	s_or_b32 exec_lo, exec_lo, s51
	s_and_saveexec_b32 s51, s92
; %bb.358:                              ;   in Loop: Header=BB45_3 Depth=1
	ds_store_b64 v56, v[0:1]
; %bb.359:                              ;   in Loop: Header=BB45_3 Depth=1
	s_or_b32 exec_lo, exec_lo, s51
	s_wait_dscnt 0x0
	s_barrier_signal -1
	s_barrier_wait -1
	s_and_saveexec_b32 s51, s93
	s_cbranch_execz .LBB45_361
; %bb.360:                              ;   in Loop: Header=BB45_3 Depth=1
	ds_load_b64 v[42:43], v9 offset:11448
	ds_load_b64 v[44:45], v56
	s_wait_dscnt 0x0
	v_fmac_f64_e32 v[0:1], v[42:43], v[44:45]
.LBB45_361:                             ;   in Loop: Header=BB45_3 Depth=1
	s_or_b32 exec_lo, exec_lo, s51
	s_barrier_signal -1
	s_barrier_wait -1
	s_and_saveexec_b32 s51, s93
; %bb.362:                              ;   in Loop: Header=BB45_3 Depth=1
	ds_store_b64 v56, v[0:1]
; %bb.363:                              ;   in Loop: Header=BB45_3 Depth=1
	s_or_b32 exec_lo, exec_lo, s51
	s_wait_dscnt 0x0
	s_barrier_signal -1
	s_barrier_wait -1
	s_barrier_signal -1
	s_barrier_wait -1
	s_and_saveexec_b32 s51, s0
; %bb.364:                              ;   in Loop: Header=BB45_3 Depth=1
	v_xor_b32_e32 v1, 0x80000000, v1
	ds_store_b64 v64, v[0:1] offset:10416
; %bb.365:                              ;   in Loop: Header=BB45_3 Depth=1
	s_or_b32 exec_lo, exec_lo, s51
	s_wait_dscnt 0x0
	s_barrier_signal -1
	s_barrier_wait -1
	s_barrier_signal -1
	s_barrier_wait -1
	s_and_saveexec_b32 s51, s94
	s_cbranch_execz .LBB45_367
; %bb.366:                              ;   in Loop: Header=BB45_3 Depth=1
	ds_load_b64 v[0:1], v51 offset:10416
	s_wait_dscnt 0x0
	ds_store_b64 v50, v[0:1] offset:11424
	ds_load_b64 v[0:1], v51 offset:10424
	s_wait_dscnt 0x0
	ds_store_b64 v50, v[0:1] offset:11936
.LBB45_367:                             ;   in Loop: Header=BB45_3 Depth=1
	s_or_b32 exec_lo, exec_lo, s51
	s_wait_dscnt 0x0
	s_barrier_signal -1
	s_barrier_wait -1
	s_and_saveexec_b32 s51, s10
	s_cbranch_execz .LBB45_369
; %bb.368:                              ;   in Loop: Header=BB45_3 Depth=1
	ds_load_b64 v[0:1], v9 offset:11448
	v_mov_b32_e32 v2, v9
	ds_store_b64 v9, v[30:31] offset:11440
	s_wait_dscnt 0x1
	ds_store_b128 v9, v[0:3] offset:11952
.LBB45_369:                             ;   in Loop: Header=BB45_3 Depth=1
	s_or_b32 exec_lo, exec_lo, s51
	v_mov_b64_e32 v[0:1], 0
	s_wait_dscnt 0x0
	s_barrier_signal -1
	s_barrier_wait -1
	s_and_saveexec_b32 s61, s3
	s_cbranch_execz .LBB45_379
; %bb.370:                              ;   in Loop: Header=BB45_3 Depth=1
	ds_load_b64 v[0:1], v72 offset:8384
	ds_load_b64 v[42:43], v58 offset:8320
	s_wait_dscnt 0x0
	v_fma_f64 v[0:1], v[0:1], v[42:43], 0
	s_and_saveexec_b32 s51, s14
	s_cbranch_execnz .LBB45_1083
; %bb.371:                              ;   in Loop: Header=BB45_3 Depth=1
	s_or_b32 exec_lo, exec_lo, s51
	s_and_saveexec_b32 s51, s15
	s_cbranch_execnz .LBB45_1084
.LBB45_372:                             ;   in Loop: Header=BB45_3 Depth=1
	s_or_b32 exec_lo, exec_lo, s51
	s_and_saveexec_b32 s51, s16
	s_cbranch_execnz .LBB45_1085
.LBB45_373:                             ;   in Loop: Header=BB45_3 Depth=1
	s_or_b32 exec_lo, exec_lo, s51
	s_and_saveexec_b32 s51, s17
	s_cbranch_execnz .LBB45_1086
.LBB45_374:                             ;   in Loop: Header=BB45_3 Depth=1
	s_or_b32 exec_lo, exec_lo, s51
	s_and_saveexec_b32 s51, s18
	s_cbranch_execnz .LBB45_1087
.LBB45_375:                             ;   in Loop: Header=BB45_3 Depth=1
	s_or_b32 exec_lo, exec_lo, s51
	s_and_saveexec_b32 s51, s2
	s_cbranch_execnz .LBB45_1088
.LBB45_376:                             ;   in Loop: Header=BB45_3 Depth=1
	s_or_b32 exec_lo, exec_lo, s51
	s_and_saveexec_b32 s51, s13
	s_cbranch_execz .LBB45_378
.LBB45_377:                             ;   in Loop: Header=BB45_3 Depth=1
	ds_load_b64 v[42:43], v52 offset:11968
	ds_load_b64 v[44:45], v9 offset:8376
	s_wait_dscnt 0x0
	v_fmac_f64_e32 v[0:1], v[42:43], v[44:45]
.LBB45_378:                             ;   in Loop: Header=BB45_3 Depth=1
	s_or_b32 exec_lo, exec_lo, s51
	s_delay_alu instid0(VALU_DEP_1)
	v_xor_b32_e32 v1, 0x80000000, v1
.LBB45_379:                             ;   in Loop: Header=BB45_3 Depth=1
	s_or_b32 exec_lo, exec_lo, s61
	s_and_saveexec_b32 s51, s102
; %bb.380:                              ;   in Loop: Header=BB45_3 Depth=1
	ds_store_b64 v71, v[0:1]
; %bb.381:                              ;   in Loop: Header=BB45_3 Depth=1
	s_or_b32 exec_lo, exec_lo, s51
	s_wait_dscnt 0x0
	s_barrier_signal -1
	s_barrier_wait -1
	s_and_saveexec_b32 s51, s103
	s_cbranch_execz .LBB45_383
; %bb.382:                              ;   in Loop: Header=BB45_3 Depth=1
	ds_load_b64 v[42:43], v67 offset:12480
	ds_load_b64 v[44:45], v71
	s_wait_dscnt 0x0
	v_fmac_f64_e32 v[0:1], v[42:43], v[44:45]
.LBB45_383:                             ;   in Loop: Header=BB45_3 Depth=1
	s_or_b32 exec_lo, exec_lo, s51
	s_barrier_signal -1
	s_barrier_wait -1
	s_and_saveexec_b32 s51, s104
; %bb.384:                              ;   in Loop: Header=BB45_3 Depth=1
	ds_store_b64 v71, v[0:1]
; %bb.385:                              ;   in Loop: Header=BB45_3 Depth=1
	s_or_b32 exec_lo, exec_lo, s51
	s_wait_dscnt 0x0
	s_barrier_signal -1
	s_barrier_wait -1
	s_and_saveexec_b32 s51, vcc_hi
	s_cbranch_execz .LBB45_387
; %bb.386:                              ;   in Loop: Header=BB45_3 Depth=1
	ds_load_b64 v[42:43], v67 offset:12992
	ds_load_b64 v[44:45], v71
	s_wait_dscnt 0x0
	v_fmac_f64_e32 v[0:1], v[42:43], v[44:45]
.LBB45_387:                             ;   in Loop: Header=BB45_3 Depth=1
	s_or_b32 exec_lo, exec_lo, s51
	s_barrier_signal -1
	s_barrier_wait -1
	s_and_saveexec_b32 s51, s31
; %bb.388:                              ;   in Loop: Header=BB45_3 Depth=1
	ds_store_b64 v71, v[0:1]
; %bb.389:                              ;   in Loop: Header=BB45_3 Depth=1
	s_or_b32 exec_lo, exec_lo, s51
	s_wait_dscnt 0x0
	s_barrier_signal -1
	s_barrier_wait -1
	s_and_saveexec_b32 s51, s33
	s_cbranch_execz .LBB45_391
; %bb.390:                              ;   in Loop: Header=BB45_3 Depth=1
	ds_load_b64 v[42:43], v67 offset:13504
	ds_load_b64 v[44:45], v71
	s_wait_dscnt 0x0
	v_fmac_f64_e32 v[0:1], v[42:43], v[44:45]
.LBB45_391:                             ;   in Loop: Header=BB45_3 Depth=1
	s_or_b32 exec_lo, exec_lo, s51
	s_barrier_signal -1
	s_barrier_wait -1
	s_and_saveexec_b32 s51, s34
; %bb.392:                              ;   in Loop: Header=BB45_3 Depth=1
	ds_store_b64 v71, v[0:1]
; %bb.393:                              ;   in Loop: Header=BB45_3 Depth=1
	s_or_b32 exec_lo, exec_lo, s51
	s_wait_dscnt 0x0
	s_barrier_signal -1
	s_barrier_wait -1
	s_and_saveexec_b32 s51, s35
	;; [unrolled: 19-line block ×5, first 2 shown]
	s_cbranch_execz .LBB45_407
; %bb.406:                              ;   in Loop: Header=BB45_3 Depth=1
	ds_load_b64 v[42:43], v9 offset:15608
	ds_load_b64 v[44:45], v71
	s_wait_dscnt 0x0
	v_fmac_f64_e32 v[0:1], v[42:43], v[44:45]
.LBB45_407:                             ;   in Loop: Header=BB45_3 Depth=1
	s_or_b32 exec_lo, exec_lo, s51
	s_barrier_signal -1
	s_barrier_wait -1
	s_and_saveexec_b32 s51, s41
; %bb.408:                              ;   in Loop: Header=BB45_3 Depth=1
	ds_store_b64 v71, v[0:1]
; %bb.409:                              ;   in Loop: Header=BB45_3 Depth=1
	s_or_b32 exec_lo, exec_lo, s51
	s_wait_dscnt 0x0
	s_barrier_signal -1
	s_barrier_wait -1
	s_barrier_signal -1
	s_barrier_wait -1
	s_and_saveexec_b32 s51, s3
; %bb.410:                              ;   in Loop: Header=BB45_3 Depth=1
	v_xor_b32_e32 v1, 0x80000000, v1
	ds_store_b64 v72, v[0:1] offset:8384
; %bb.411:                              ;   in Loop: Header=BB45_3 Depth=1
	s_or_b32 exec_lo, exec_lo, s51
	s_wait_dscnt 0x0
	s_barrier_signal -1
	s_barrier_wait -1
	s_barrier_signal -1
	s_barrier_wait -1
	s_and_saveexec_b32 s51, s42
	s_cbranch_execz .LBB45_413
; %bb.412:                              ;   in Loop: Header=BB45_3 Depth=1
	ds_load_b64 v[0:1], v53 offset:8384
	s_wait_dscnt 0x0
	ds_store_b64 v54, v[0:1] offset:12416
	ds_load_b64 v[0:1], v53 offset:8392
	s_wait_dscnt 0x0
	ds_store_b64 v54, v[0:1] offset:12928
	;; [unrolled: 3-line block ×8, first 2 shown]
.LBB45_413:                             ;   in Loop: Header=BB45_3 Depth=1
	s_or_b32 exec_lo, exec_lo, s51
	s_wait_dscnt 0x0
	s_barrier_signal -1
	s_barrier_wait -1
	s_and_saveexec_b32 s51, s10
	s_cbranch_execz .LBB45_415
; %bb.414:                              ;   in Loop: Header=BB45_3 Depth=1
	ds_load_b64 v[0:1], v9 offset:12488
	v_mov_b32_e32 v2, v9
	ds_store_b64 v9, v[30:31] offset:12480
	s_wait_dscnt 0x1
	ds_store_b128 v9, v[0:3] offset:12992
.LBB45_415:                             ;   in Loop: Header=BB45_3 Depth=1
	s_or_b32 exec_lo, exec_lo, s51
	v_mov_b64_e32 v[0:1], 0
	s_wait_dscnt 0x0
	s_barrier_signal -1
	s_barrier_wait -1
	s_and_saveexec_b32 s51, s0
	s_cbranch_execz .LBB45_419
; %bb.416:                              ;   in Loop: Header=BB45_3 Depth=1
	ds_load_b64 v[0:1], v64 offset:12496
	ds_load_b64 v[42:43], v65 offset:12480
	s_wait_dscnt 0x0
	v_fma_f64 v[0:1], v[0:1], v[42:43], 0
	s_and_saveexec_b32 s52, s11
	s_cbranch_execz .LBB45_418
; %bb.417:                              ;   in Loop: Header=BB45_3 Depth=1
	ds_load_b64 v[42:43], v54 offset:13008
	ds_load_b64 v[44:45], v9 offset:12488
	s_wait_dscnt 0x0
	v_fmac_f64_e32 v[0:1], v[42:43], v[44:45]
.LBB45_418:                             ;   in Loop: Header=BB45_3 Depth=1
	s_or_b32 exec_lo, exec_lo, s52
	s_delay_alu instid0(VALU_DEP_1)
	v_xor_b32_e32 v1, 0x80000000, v1
.LBB45_419:                             ;   in Loop: Header=BB45_3 Depth=1
	s_or_b32 exec_lo, exec_lo, s51
	s_and_saveexec_b32 s51, s92
; %bb.420:                              ;   in Loop: Header=BB45_3 Depth=1
	ds_store_b64 v56, v[0:1]
; %bb.421:                              ;   in Loop: Header=BB45_3 Depth=1
	s_or_b32 exec_lo, exec_lo, s51
	s_wait_dscnt 0x0
	s_barrier_signal -1
	s_barrier_wait -1
	s_and_saveexec_b32 s51, s93
	s_cbranch_execz .LBB45_423
; %bb.422:                              ;   in Loop: Header=BB45_3 Depth=1
	ds_load_b64 v[42:43], v9 offset:13528
	ds_load_b64 v[44:45], v56
	s_wait_dscnt 0x0
	v_fmac_f64_e32 v[0:1], v[42:43], v[44:45]
.LBB45_423:                             ;   in Loop: Header=BB45_3 Depth=1
	s_or_b32 exec_lo, exec_lo, s51
	s_barrier_signal -1
	s_barrier_wait -1
	s_and_saveexec_b32 s51, s93
; %bb.424:                              ;   in Loop: Header=BB45_3 Depth=1
	ds_store_b64 v56, v[0:1]
; %bb.425:                              ;   in Loop: Header=BB45_3 Depth=1
	s_or_b32 exec_lo, exec_lo, s51
	s_wait_dscnt 0x0
	s_barrier_signal -1
	s_barrier_wait -1
	s_barrier_signal -1
	s_barrier_wait -1
	s_and_saveexec_b32 s51, s0
; %bb.426:                              ;   in Loop: Header=BB45_3 Depth=1
	v_xor_b32_e32 v1, 0x80000000, v1
	ds_store_b64 v64, v[0:1] offset:12496
; %bb.427:                              ;   in Loop: Header=BB45_3 Depth=1
	s_or_b32 exec_lo, exec_lo, s51
	s_wait_dscnt 0x0
	s_barrier_signal -1
	s_barrier_wait -1
	s_barrier_signal -1
	s_barrier_wait -1
	s_and_saveexec_b32 s51, s94
	s_cbranch_execz .LBB45_429
; %bb.428:                              ;   in Loop: Header=BB45_3 Depth=1
	ds_load_b64 v[0:1], v57 offset:12496
	s_wait_dscnt 0x0
	ds_store_b64 v54, v[0:1] offset:13504
	ds_load_b64 v[0:1], v57 offset:12504
	s_wait_dscnt 0x0
	ds_store_b64 v54, v[0:1] offset:14016
.LBB45_429:                             ;   in Loop: Header=BB45_3 Depth=1
	s_or_b32 exec_lo, exec_lo, s51
	s_wait_dscnt 0x0
	s_barrier_signal -1
	s_barrier_wait -1
	s_and_saveexec_b32 s51, s10
	s_cbranch_execz .LBB45_431
; %bb.430:                              ;   in Loop: Header=BB45_3 Depth=1
	ds_load_b64 v[0:1], v9 offset:13528
	v_mov_b32_e32 v2, v9
	ds_store_b64 v9, v[30:31] offset:13520
	s_wait_dscnt 0x1
	ds_store_b128 v9, v[0:3] offset:14032
.LBB45_431:                             ;   in Loop: Header=BB45_3 Depth=1
	s_or_b32 exec_lo, exec_lo, s51
	v_mov_b64_e32 v[0:1], 0
	s_wait_dscnt 0x0
	s_barrier_signal -1
	s_barrier_wait -1
	s_and_saveexec_b32 s61, s2
	s_cbranch_execz .LBB45_437
; %bb.432:                              ;   in Loop: Header=BB45_3 Depth=1
	ds_load_b64 v[0:1], v68 offset:12512
	ds_load_b64 v[42:43], v55 offset:12480
	s_wait_dscnt 0x0
	v_fma_f64 v[0:1], v[0:1], v[42:43], 0
	s_and_saveexec_b32 s51, s12
	s_cbranch_execnz .LBB45_1089
; %bb.433:                              ;   in Loop: Header=BB45_3 Depth=1
	s_or_b32 exec_lo, exec_lo, s51
	s_and_saveexec_b32 s51, s13
	s_cbranch_execnz .LBB45_1090
.LBB45_434:                             ;   in Loop: Header=BB45_3 Depth=1
	s_or_b32 exec_lo, exec_lo, s51
	s_and_saveexec_b32 s51, s0
	s_cbranch_execz .LBB45_436
.LBB45_435:                             ;   in Loop: Header=BB45_3 Depth=1
	ds_load_b64 v[42:43], v59 offset:14048
	ds_load_b64 v[44:45], v9 offset:12504
	s_wait_dscnt 0x0
	v_fmac_f64_e32 v[0:1], v[42:43], v[44:45]
.LBB45_436:                             ;   in Loop: Header=BB45_3 Depth=1
	s_or_b32 exec_lo, exec_lo, s51
	s_delay_alu instid0(VALU_DEP_1)
	v_xor_b32_e32 v1, 0x80000000, v1
.LBB45_437:                             ;   in Loop: Header=BB45_3 Depth=1
	s_or_b32 exec_lo, exec_lo, s61
	s_and_saveexec_b32 s51, s95
; %bb.438:                              ;   in Loop: Header=BB45_3 Depth=1
	ds_store_b64 v66, v[0:1]
; %bb.439:                              ;   in Loop: Header=BB45_3 Depth=1
	s_or_b32 exec_lo, exec_lo, s51
	s_wait_dscnt 0x0
	s_barrier_signal -1
	s_barrier_wait -1
	s_and_saveexec_b32 s51, s96
	s_cbranch_execz .LBB45_441
; %bb.440:                              ;   in Loop: Header=BB45_3 Depth=1
	ds_load_b64 v[42:43], v63 offset:14560
	ds_load_b64 v[44:45], v66
	s_wait_dscnt 0x0
	v_fmac_f64_e32 v[0:1], v[42:43], v[44:45]
.LBB45_441:                             ;   in Loop: Header=BB45_3 Depth=1
	s_or_b32 exec_lo, exec_lo, s51
	s_barrier_signal -1
	s_barrier_wait -1
	s_and_saveexec_b32 s51, s97
; %bb.442:                              ;   in Loop: Header=BB45_3 Depth=1
	ds_store_b64 v66, v[0:1]
; %bb.443:                              ;   in Loop: Header=BB45_3 Depth=1
	s_or_b32 exec_lo, exec_lo, s51
	s_wait_dscnt 0x0
	s_barrier_signal -1
	s_barrier_wait -1
	s_and_saveexec_b32 s51, s98
	s_cbranch_execz .LBB45_445
; %bb.444:                              ;   in Loop: Header=BB45_3 Depth=1
	ds_load_b64 v[42:43], v63 offset:15072
	ds_load_b64 v[44:45], v66
	s_wait_dscnt 0x0
	v_fmac_f64_e32 v[0:1], v[42:43], v[44:45]
.LBB45_445:                             ;   in Loop: Header=BB45_3 Depth=1
	s_or_b32 exec_lo, exec_lo, s51
	s_barrier_signal -1
	s_barrier_wait -1
	;; [unrolled: 19-line block ×3, first 2 shown]
	s_and_saveexec_b32 s51, s100
; %bb.450:                              ;   in Loop: Header=BB45_3 Depth=1
	ds_store_b64 v66, v[0:1]
; %bb.451:                              ;   in Loop: Header=BB45_3 Depth=1
	s_or_b32 exec_lo, exec_lo, s51
	s_wait_dscnt 0x0
	s_barrier_signal -1
	s_barrier_wait -1
	s_barrier_signal -1
	s_barrier_wait -1
	s_and_saveexec_b32 s51, s2
; %bb.452:                              ;   in Loop: Header=BB45_3 Depth=1
	v_xor_b32_e32 v1, 0x80000000, v1
	ds_store_b64 v68, v[0:1] offset:12512
; %bb.453:                              ;   in Loop: Header=BB45_3 Depth=1
	s_or_b32 exec_lo, exec_lo, s51
	s_wait_dscnt 0x0
	s_barrier_signal -1
	s_barrier_wait -1
	s_barrier_signal -1
	s_barrier_wait -1
	s_and_saveexec_b32 s51, s101
	s_cbranch_execz .LBB45_455
; %bb.454:                              ;   in Loop: Header=BB45_3 Depth=1
	ds_load_b64 v[0:1], v61 offset:12512
	s_wait_dscnt 0x0
	ds_store_b64 v79, v[0:1] offset:14528
	ds_load_b64 v[0:1], v61 offset:12520
	s_wait_dscnt 0x0
	ds_store_b64 v79, v[0:1] offset:15040
	;; [unrolled: 3-line block ×4, first 2 shown]
.LBB45_455:                             ;   in Loop: Header=BB45_3 Depth=1
	s_or_b32 exec_lo, exec_lo, s51
	s_wait_dscnt 0x0
	s_barrier_signal -1
	s_barrier_wait -1
	s_and_saveexec_b32 s51, s10
	s_cbranch_execz .LBB45_457
; %bb.456:                              ;   in Loop: Header=BB45_3 Depth=1
	ds_load_b64 v[0:1], v9 offset:14568
	v_mov_b32_e32 v2, v9
	ds_store_b64 v9, v[30:31] offset:14560
	s_wait_dscnt 0x1
	ds_store_b128 v9, v[0:3] offset:15072
.LBB45_457:                             ;   in Loop: Header=BB45_3 Depth=1
	s_or_b32 exec_lo, exec_lo, s51
	v_mov_b64_e32 v[0:1], 0
	s_wait_dscnt 0x0
	s_barrier_signal -1
	s_barrier_wait -1
	s_and_saveexec_b32 s51, s0
	s_cbranch_execz .LBB45_461
; %bb.458:                              ;   in Loop: Header=BB45_3 Depth=1
	ds_load_b64 v[0:1], v64 offset:14576
	ds_load_b64 v[42:43], v65 offset:14560
	s_wait_dscnt 0x0
	v_fma_f64 v[0:1], v[0:1], v[42:43], 0
	s_and_saveexec_b32 s52, s11
	s_cbranch_execz .LBB45_460
; %bb.459:                              ;   in Loop: Header=BB45_3 Depth=1
	ds_load_b64 v[42:43], v79 offset:15088
	ds_load_b64 v[44:45], v9 offset:14568
	s_wait_dscnt 0x0
	v_fmac_f64_e32 v[0:1], v[42:43], v[44:45]
.LBB45_460:                             ;   in Loop: Header=BB45_3 Depth=1
	s_or_b32 exec_lo, exec_lo, s52
	s_delay_alu instid0(VALU_DEP_1)
	v_xor_b32_e32 v1, 0x80000000, v1
.LBB45_461:                             ;   in Loop: Header=BB45_3 Depth=1
	s_or_b32 exec_lo, exec_lo, s51
	s_and_saveexec_b32 s51, s92
; %bb.462:                              ;   in Loop: Header=BB45_3 Depth=1
	ds_store_b64 v56, v[0:1]
; %bb.463:                              ;   in Loop: Header=BB45_3 Depth=1
	s_or_b32 exec_lo, exec_lo, s51
	s_wait_dscnt 0x0
	s_barrier_signal -1
	s_barrier_wait -1
	s_and_saveexec_b32 s51, s93
	s_cbranch_execz .LBB45_465
; %bb.464:                              ;   in Loop: Header=BB45_3 Depth=1
	ds_load_b64 v[42:43], v9 offset:15608
	ds_load_b64 v[44:45], v56
	s_wait_dscnt 0x0
	v_fmac_f64_e32 v[0:1], v[42:43], v[44:45]
.LBB45_465:                             ;   in Loop: Header=BB45_3 Depth=1
	s_or_b32 exec_lo, exec_lo, s51
	s_barrier_signal -1
	s_barrier_wait -1
	s_and_saveexec_b32 s51, s93
; %bb.466:                              ;   in Loop: Header=BB45_3 Depth=1
	ds_store_b64 v56, v[0:1]
; %bb.467:                              ;   in Loop: Header=BB45_3 Depth=1
	s_or_b32 exec_lo, exec_lo, s51
	s_wait_dscnt 0x0
	s_barrier_signal -1
	s_barrier_wait -1
	s_barrier_signal -1
	s_barrier_wait -1
	s_and_saveexec_b32 s51, s0
; %bb.468:                              ;   in Loop: Header=BB45_3 Depth=1
	v_xor_b32_e32 v1, 0x80000000, v1
	ds_store_b64 v64, v[0:1] offset:14576
; %bb.469:                              ;   in Loop: Header=BB45_3 Depth=1
	s_or_b32 exec_lo, exec_lo, s51
	s_wait_dscnt 0x0
	s_barrier_signal -1
	s_barrier_wait -1
	s_barrier_signal -1
	s_barrier_wait -1
	s_and_saveexec_b32 s51, s94
	s_cbranch_execz .LBB45_471
; %bb.470:                              ;   in Loop: Header=BB45_3 Depth=1
	ds_load_b64 v[0:1], v80 offset:14576
	s_wait_dscnt 0x0
	ds_store_b64 v79, v[0:1] offset:15584
	ds_load_b64 v[0:1], v80 offset:14584
	s_wait_dscnt 0x0
	ds_store_b64 v79, v[0:1] offset:16096
.LBB45_471:                             ;   in Loop: Header=BB45_3 Depth=1
	s_or_b32 exec_lo, exec_lo, s51
	s_wait_dscnt 0x0
	s_barrier_signal -1
	s_barrier_wait -1
	s_and_saveexec_b32 s51, s10
	s_cbranch_execz .LBB45_473
; %bb.472:                              ;   in Loop: Header=BB45_3 Depth=1
	ds_load_b64 v[0:1], v9 offset:15608
	v_mov_b32_e32 v2, v9
	ds_store_b64 v9, v[30:31] offset:15600
	s_wait_dscnt 0x1
	ds_store_b128 v9, v[0:3] offset:16112
.LBB45_473:                             ;   in Loop: Header=BB45_3 Depth=1
	s_or_b32 exec_lo, exec_lo, s51
	v_mov_b64_e32 v[0:1], 0
	s_wait_dscnt 0x0
	s_barrier_signal -1
	s_barrier_wait -1
	s_and_saveexec_b32 s82, s30
	s_cbranch_execz .LBB45_535
; %bb.474:                              ;   in Loop: Header=BB45_3 Depth=1
	v_add_nc_u32_e32 v2, v78, v62
	ds_load_b64 v[0:1], v81 offset:256
	ds_load_b64 v[42:43], v2
	s_wait_dscnt 0x0
	v_fma_f64 v[0:1], v[0:1], v[42:43], 0
	s_mov_b32 s51, exec_lo
	v_readlane_b32 s52, v97, 2
	s_and_b32 s52, s51, s52
	s_delay_alu instid0(SALU_CYCLE_1)
	s_mov_b32 exec_lo, s52
	s_cbranch_execz .LBB45_476
; %bb.475:                              ;   in Loop: Header=BB45_3 Depth=1
	ds_load_b64 v[42:43], v81 offset:768
	ds_load_b64 v[44:45], v2 offset:8
	s_wait_dscnt 0x0
	v_fmac_f64_e32 v[0:1], v[42:43], v[44:45]
.LBB45_476:                             ;   in Loop: Header=BB45_3 Depth=1
	s_or_b32 exec_lo, exec_lo, s51
	s_delay_alu instid0(SALU_CYCLE_1) | instskip(SKIP_2) | instid1(SALU_CYCLE_1)
	s_mov_b32 s51, exec_lo
	v_readlane_b32 s52, v97, 3
	s_and_b32 s52, s51, s52
	s_mov_b32 exec_lo, s52
	s_cbranch_execz .LBB45_478
; %bb.477:                              ;   in Loop: Header=BB45_3 Depth=1
	ds_load_b64 v[42:43], v81 offset:1280
	ds_load_b64 v[44:45], v2 offset:16
	s_wait_dscnt 0x0
	v_fmac_f64_e32 v[0:1], v[42:43], v[44:45]
.LBB45_478:                             ;   in Loop: Header=BB45_3 Depth=1
	s_or_b32 exec_lo, exec_lo, s51
	s_delay_alu instid0(SALU_CYCLE_1) | instskip(SKIP_2) | instid1(SALU_CYCLE_1)
	s_mov_b32 s51, exec_lo
	v_readlane_b32 s52, v97, 4
	s_and_b32 s52, s51, s52
	;; [unrolled: 13-line block ×22, first 2 shown]
	s_mov_b32 exec_lo, s52
	s_cbranch_execz .LBB45_520
; %bb.519:                              ;   in Loop: Header=BB45_3 Depth=1
	ds_load_b64 v[42:43], v81 offset:12032
	ds_load_b64 v[44:45], v2 offset:184
	s_wait_dscnt 0x0
	v_fmac_f64_e32 v[0:1], v[42:43], v[44:45]
.LBB45_520:                             ;   in Loop: Header=BB45_3 Depth=1
	s_or_b32 exec_lo, exec_lo, s51
	s_and_saveexec_b32 s51, s4
	s_cbranch_execz .LBB45_522
; %bb.521:                              ;   in Loop: Header=BB45_3 Depth=1
	ds_load_b64 v[42:43], v81 offset:12544
	ds_load_b64 v[44:45], v2 offset:192
	s_wait_dscnt 0x0
	v_fmac_f64_e32 v[0:1], v[42:43], v[44:45]
.LBB45_522:                             ;   in Loop: Header=BB45_3 Depth=1
	s_or_b32 exec_lo, exec_lo, s51
	s_delay_alu instid0(SALU_CYCLE_1) | instskip(SKIP_2) | instid1(SALU_CYCLE_1)
	s_mov_b32 s51, exec_lo
	v_readlane_b32 s52, v102, 24
	s_and_b32 s52, s51, s52
	s_mov_b32 exec_lo, s52
	s_cbranch_execz .LBB45_524
; %bb.523:                              ;   in Loop: Header=BB45_3 Depth=1
	ds_load_b64 v[42:43], v81 offset:13056
	ds_load_b64 v[44:45], v2 offset:200
	s_wait_dscnt 0x0
	v_fmac_f64_e32 v[0:1], v[42:43], v[44:45]
.LBB45_524:                             ;   in Loop: Header=BB45_3 Depth=1
	s_or_b32 exec_lo, exec_lo, s51
	s_delay_alu instid0(SALU_CYCLE_1) | instskip(SKIP_2) | instid1(SALU_CYCLE_1)
	s_mov_b32 s51, exec_lo
	v_readlane_b32 s52, v102, 26
	s_and_b32 s52, s51, s52
	s_mov_b32 exec_lo, s52
	;; [unrolled: 13-line block ×5, first 2 shown]
	s_cbranch_execnz .LBB45_1091
; %bb.531:                              ;   in Loop: Header=BB45_3 Depth=1
	s_or_b32 exec_lo, exec_lo, s51
	s_and_saveexec_b32 s51, s3
	s_cbranch_execnz .LBB45_1092
.LBB45_532:                             ;   in Loop: Header=BB45_3 Depth=1
	s_or_b32 exec_lo, exec_lo, s51
	s_and_saveexec_b32 s51, s17
	s_cbranch_execz .LBB45_534
.LBB45_533:                             ;   in Loop: Header=BB45_3 Depth=1
	ds_load_b64 v[42:43], v7 offset:16128
	ds_load_b64 v[44:45], v9 offset:248
	s_wait_dscnt 0x0
	v_fmac_f64_e32 v[0:1], v[42:43], v[44:45]
.LBB45_534:                             ;   in Loop: Header=BB45_3 Depth=1
	s_or_b32 exec_lo, exec_lo, s51
	s_delay_alu instid0(VALU_DEP_1)
	v_xor_b32_e32 v1, 0x80000000, v1
.LBB45_535:                             ;   in Loop: Header=BB45_3 Depth=1
	s_or_b32 exec_lo, exec_lo, s82
	v_dual_mov_b32 v2, v77 :: v_dual_mov_b32 v5, v88
	s_mov_b32 s61, 0
	s_branch .LBB45_537
.LBB45_536:                             ;   in Loop: Header=BB45_537 Depth=2
	s_or_b32 exec_lo, exec_lo, s51
	v_add_nc_u32_e32 v5, 0x800, v5
	v_add_nc_u32_e32 v2, -4, v2
	s_add_co_i32 s61, s61, 4
	s_delay_alu instid0(SALU_CYCLE_1)
	s_cmp_eq_u32 s61, 32
	s_barrier_signal -1
	s_barrier_wait -1
	s_cbranch_scc1 .LBB45_553
.LBB45_537:                             ;   Parent Loop BB45_3 Depth=1
                                        ; =>  This Inner Loop Header: Depth=2
	s_delay_alu instid0(VALU_DEP_1) | instskip(SKIP_1) | instid1(SALU_CYCLE_1)
	v_cmp_eq_u32_e32 vcc_lo, 0, v2
	s_and_b32 s52, s86, vcc_lo
	s_and_saveexec_b32 s51, s52
; %bb.538:                              ;   in Loop: Header=BB45_537 Depth=2
	ds_store_b64 v90, v[0:1]
; %bb.539:                              ;   in Loop: Header=BB45_537 Depth=2
	s_or_b32 exec_lo, exec_lo, s51
	v_cmp_lt_u32_e32 vcc_lo, s61, v77
	s_wait_dscnt 0x0
	s_barrier_signal -1
	s_barrier_wait -1
	s_and_b32 s52, s86, vcc_lo
	s_delay_alu instid0(SALU_CYCLE_1)
	s_and_saveexec_b32 s51, s52
	s_cbranch_execz .LBB45_541
; %bb.540:                              ;   in Loop: Header=BB45_537 Depth=2
	ds_load_b64 v[42:43], v5
	ds_load_b64 v[44:45], v90
	s_wait_dscnt 0x0
	v_fmac_f64_e32 v[0:1], v[42:43], v[44:45]
.LBB45_541:                             ;   in Loop: Header=BB45_537 Depth=2
	s_or_b32 exec_lo, exec_lo, s51
	s_or_b32 s51, s61, 1
	s_delay_alu instid0(SALU_CYCLE_1) | instskip(SKIP_3) | instid1(SALU_CYCLE_1)
	v_cmp_eq_u32_e32 vcc_lo, s51, v77
	s_barrier_signal -1
	s_barrier_wait -1
	s_and_b32 s53, s86, vcc_lo
	s_and_saveexec_b32 s52, s53
; %bb.542:                              ;   in Loop: Header=BB45_537 Depth=2
	ds_store_b64 v90, v[0:1]
; %bb.543:                              ;   in Loop: Header=BB45_537 Depth=2
	s_or_b32 exec_lo, exec_lo, s52
	v_cmp_lt_u32_e32 vcc_lo, s51, v77
	s_wait_dscnt 0x0
	s_barrier_signal -1
	s_barrier_wait -1
	s_and_b32 s52, s86, vcc_lo
	s_delay_alu instid0(SALU_CYCLE_1)
	s_and_saveexec_b32 s51, s52
	s_cbranch_execz .LBB45_545
; %bb.544:                              ;   in Loop: Header=BB45_537 Depth=2
	ds_load_b64 v[42:43], v5 offset:512
	ds_load_b64 v[44:45], v90
	s_wait_dscnt 0x0
	v_fmac_f64_e32 v[0:1], v[42:43], v[44:45]
.LBB45_545:                             ;   in Loop: Header=BB45_537 Depth=2
	s_or_b32 exec_lo, exec_lo, s51
	s_or_b32 s51, s61, 2
	s_delay_alu instid0(SALU_CYCLE_1) | instskip(SKIP_3) | instid1(SALU_CYCLE_1)
	v_cmp_eq_u32_e32 vcc_lo, s51, v77
	s_barrier_signal -1
	s_barrier_wait -1
	s_and_b32 s53, s86, vcc_lo
	s_and_saveexec_b32 s52, s53
; %bb.546:                              ;   in Loop: Header=BB45_537 Depth=2
	ds_store_b64 v90, v[0:1]
; %bb.547:                              ;   in Loop: Header=BB45_537 Depth=2
	s_or_b32 exec_lo, exec_lo, s52
	v_cmp_lt_u32_e32 vcc_lo, s51, v77
	s_wait_dscnt 0x0
	s_barrier_signal -1
	s_barrier_wait -1
	s_and_b32 s52, s86, vcc_lo
	s_delay_alu instid0(SALU_CYCLE_1)
	s_and_saveexec_b32 s51, s52
	s_cbranch_execz .LBB45_549
; %bb.548:                              ;   in Loop: Header=BB45_537 Depth=2
	ds_load_b64 v[42:43], v5 offset:1024
	ds_load_b64 v[44:45], v90
	s_wait_dscnt 0x0
	v_fmac_f64_e32 v[0:1], v[42:43], v[44:45]
.LBB45_549:                             ;   in Loop: Header=BB45_537 Depth=2
	s_or_b32 exec_lo, exec_lo, s51
	s_or_b32 s51, s61, 3
	s_delay_alu instid0(SALU_CYCLE_1) | instskip(SKIP_3) | instid1(SALU_CYCLE_1)
	v_cmp_eq_u32_e32 vcc_lo, s51, v77
	s_barrier_signal -1
	s_barrier_wait -1
	s_and_b32 s53, s86, vcc_lo
	s_and_saveexec_b32 s52, s53
; %bb.550:                              ;   in Loop: Header=BB45_537 Depth=2
	ds_store_b64 v90, v[0:1]
; %bb.551:                              ;   in Loop: Header=BB45_537 Depth=2
	s_or_b32 exec_lo, exec_lo, s52
	v_cmp_lt_u32_e32 vcc_lo, s51, v77
	s_wait_dscnt 0x0
	s_barrier_signal -1
	s_barrier_wait -1
	s_and_b32 s52, s86, vcc_lo
	s_delay_alu instid0(SALU_CYCLE_1)
	s_and_saveexec_b32 s51, s52
	s_cbranch_execz .LBB45_536
; %bb.552:                              ;   in Loop: Header=BB45_537 Depth=2
	ds_load_b64 v[42:43], v5 offset:1536
	ds_load_b64 v[44:45], v90
	s_wait_dscnt 0x0
	v_fmac_f64_e32 v[0:1], v[42:43], v[44:45]
	s_branch .LBB45_536
.LBB45_553:                             ;   in Loop: Header=BB45_3 Depth=1
	s_and_saveexec_b32 s51, s30
; %bb.554:                              ;   in Loop: Header=BB45_3 Depth=1
	s_delay_alu instid0(VALU_DEP_3)
	v_xor_b32_e32 v1, 0x80000000, v1
	ds_store_b64 v81, v[0:1] offset:256
; %bb.555:                              ;   in Loop: Header=BB45_3 Depth=1
	s_or_b32 exec_lo, exec_lo, s51
	s_wait_dscnt 0x0
	s_barrier_signal -1
	s_barrier_wait -1
	s_barrier_signal -1
	s_barrier_wait -1
	s_mov_b32 s61, exec_lo
	v_readlane_b32 s51, v102, 13
	s_and_b32 s51, s61, s51
	s_delay_alu instid0(SALU_CYCLE_1)
	s_mov_b32 exec_lo, s51
	s_cbranch_execz .LBB45_557
; %bb.556:                              ;   in Loop: Header=BB45_3 Depth=1
	ds_load_b64 v[0:1], v11 offset:256
	s_wait_dscnt 0x0
	ds_store_b64 v48, v[0:1] offset:16384
	ds_load_b64 v[0:1], v11 offset:264
	s_wait_dscnt 0x0
	ds_store_b64 v48, v[0:1] offset:16896
	;; [unrolled: 3-line block ×32, first 2 shown]
.LBB45_557:                             ;   in Loop: Header=BB45_3 Depth=1
	s_or_b32 exec_lo, exec_lo, s61
	s_wait_dscnt 0x0
	s_barrier_signal -1
	s_barrier_wait -1
	s_and_saveexec_b32 s51, s10
	s_cbranch_execz .LBB45_559
; %bb.558:                              ;   in Loop: Header=BB45_3 Depth=1
	ds_load_b64 v[0:1], v9 offset:16648
	v_mov_b32_e32 v2, v9
	ds_store_b64 v9, v[30:31] offset:16640
	s_wait_dscnt 0x1
	ds_store_b128 v9, v[0:3] offset:17152
.LBB45_559:                             ;   in Loop: Header=BB45_3 Depth=1
	s_or_b32 exec_lo, exec_lo, s51
	v_mov_b64_e32 v[0:1], 0
	s_wait_dscnt 0x0
	s_barrier_signal -1
	s_barrier_wait -1
	s_and_saveexec_b32 s51, s0
	s_cbranch_execz .LBB45_563
; %bb.560:                              ;   in Loop: Header=BB45_3 Depth=1
	ds_load_b64 v[0:1], v64 offset:16656
	ds_load_b64 v[42:43], v65 offset:16640
	s_wait_dscnt 0x0
	v_fma_f64 v[0:1], v[0:1], v[42:43], 0
	s_and_saveexec_b32 s52, s11
	s_cbranch_execz .LBB45_562
; %bb.561:                              ;   in Loop: Header=BB45_3 Depth=1
	ds_load_b64 v[42:43], v7 offset:17168
	ds_load_b64 v[44:45], v9 offset:16648
	s_wait_dscnt 0x0
	v_fmac_f64_e32 v[0:1], v[42:43], v[44:45]
.LBB45_562:                             ;   in Loop: Header=BB45_3 Depth=1
	s_or_b32 exec_lo, exec_lo, s52
	s_delay_alu instid0(VALU_DEP_1)
	v_xor_b32_e32 v1, 0x80000000, v1
.LBB45_563:                             ;   in Loop: Header=BB45_3 Depth=1
	s_or_b32 exec_lo, exec_lo, s51
	s_and_saveexec_b32 s51, s92
; %bb.564:                              ;   in Loop: Header=BB45_3 Depth=1
	ds_store_b64 v56, v[0:1]
; %bb.565:                              ;   in Loop: Header=BB45_3 Depth=1
	s_or_b32 exec_lo, exec_lo, s51
	s_wait_dscnt 0x0
	s_barrier_signal -1
	s_barrier_wait -1
	s_and_saveexec_b32 s51, s93
	s_cbranch_execz .LBB45_567
; %bb.566:                              ;   in Loop: Header=BB45_3 Depth=1
	ds_load_b64 v[42:43], v9 offset:17688
	ds_load_b64 v[44:45], v56
	s_wait_dscnt 0x0
	v_fmac_f64_e32 v[0:1], v[42:43], v[44:45]
.LBB45_567:                             ;   in Loop: Header=BB45_3 Depth=1
	s_or_b32 exec_lo, exec_lo, s51
	s_barrier_signal -1
	s_barrier_wait -1
	s_and_saveexec_b32 s51, s93
; %bb.568:                              ;   in Loop: Header=BB45_3 Depth=1
	ds_store_b64 v56, v[0:1]
; %bb.569:                              ;   in Loop: Header=BB45_3 Depth=1
	s_or_b32 exec_lo, exec_lo, s51
	s_wait_dscnt 0x0
	s_barrier_signal -1
	s_barrier_wait -1
	s_barrier_signal -1
	s_barrier_wait -1
	s_and_saveexec_b32 s51, s0
; %bb.570:                              ;   in Loop: Header=BB45_3 Depth=1
	v_xor_b32_e32 v1, 0x80000000, v1
	ds_store_b64 v64, v[0:1] offset:16656
; %bb.571:                              ;   in Loop: Header=BB45_3 Depth=1
	s_or_b32 exec_lo, exec_lo, s51
	s_wait_dscnt 0x0
	s_barrier_signal -1
	s_barrier_wait -1
	s_barrier_signal -1
	s_barrier_wait -1
	s_and_saveexec_b32 s51, s94
	s_cbranch_execz .LBB45_573
; %bb.572:                              ;   in Loop: Header=BB45_3 Depth=1
	ds_load_b64 v[0:1], v11 offset:16656
	s_wait_dscnt 0x0
	ds_store_b64 v7, v[0:1] offset:17664
	ds_load_b64 v[0:1], v11 offset:16664
	s_wait_dscnt 0x0
	ds_store_b64 v7, v[0:1] offset:18176
.LBB45_573:                             ;   in Loop: Header=BB45_3 Depth=1
	s_or_b32 exec_lo, exec_lo, s51
	s_wait_dscnt 0x0
	s_barrier_signal -1
	s_barrier_wait -1
	s_and_saveexec_b32 s51, s10
	s_cbranch_execz .LBB45_575
; %bb.574:                              ;   in Loop: Header=BB45_3 Depth=1
	ds_load_b64 v[0:1], v9 offset:17688
	v_mov_b32_e32 v2, v9
	ds_store_b64 v9, v[30:31] offset:17680
	s_wait_dscnt 0x1
	ds_store_b128 v9, v[0:3] offset:18192
.LBB45_575:                             ;   in Loop: Header=BB45_3 Depth=1
	s_or_b32 exec_lo, exec_lo, s51
	v_mov_b64_e32 v[0:1], 0
	s_wait_dscnt 0x0
	s_barrier_signal -1
	s_barrier_wait -1
	s_and_saveexec_b32 s61, s2
	s_cbranch_execz .LBB45_581
; %bb.576:                              ;   in Loop: Header=BB45_3 Depth=1
	ds_load_b64 v[0:1], v68 offset:16672
	ds_load_b64 v[42:43], v55 offset:16640
	s_wait_dscnt 0x0
	v_fma_f64 v[0:1], v[0:1], v[42:43], 0
	s_and_saveexec_b32 s51, s12
	s_cbranch_execnz .LBB45_1093
; %bb.577:                              ;   in Loop: Header=BB45_3 Depth=1
	s_or_b32 exec_lo, exec_lo, s51
	s_and_saveexec_b32 s51, s13
	s_cbranch_execnz .LBB45_1094
.LBB45_578:                             ;   in Loop: Header=BB45_3 Depth=1
	s_or_b32 exec_lo, exec_lo, s51
	s_and_saveexec_b32 s51, s0
	s_cbranch_execz .LBB45_580
.LBB45_579:                             ;   in Loop: Header=BB45_3 Depth=1
	ds_load_b64 v[42:43], v48 offset:18208
	ds_load_b64 v[44:45], v9 offset:16664
	s_wait_dscnt 0x0
	v_fmac_f64_e32 v[0:1], v[42:43], v[44:45]
.LBB45_580:                             ;   in Loop: Header=BB45_3 Depth=1
	s_or_b32 exec_lo, exec_lo, s51
	s_delay_alu instid0(VALU_DEP_1)
	v_xor_b32_e32 v1, 0x80000000, v1
.LBB45_581:                             ;   in Loop: Header=BB45_3 Depth=1
	s_or_b32 exec_lo, exec_lo, s61
	s_and_saveexec_b32 s51, s95
; %bb.582:                              ;   in Loop: Header=BB45_3 Depth=1
	ds_store_b64 v66, v[0:1]
; %bb.583:                              ;   in Loop: Header=BB45_3 Depth=1
	s_or_b32 exec_lo, exec_lo, s51
	s_wait_dscnt 0x0
	s_barrier_signal -1
	s_barrier_wait -1
	s_and_saveexec_b32 s51, s96
	s_cbranch_execz .LBB45_585
; %bb.584:                              ;   in Loop: Header=BB45_3 Depth=1
	ds_load_b64 v[42:43], v63 offset:18720
	ds_load_b64 v[44:45], v66
	s_wait_dscnt 0x0
	v_fmac_f64_e32 v[0:1], v[42:43], v[44:45]
.LBB45_585:                             ;   in Loop: Header=BB45_3 Depth=1
	s_or_b32 exec_lo, exec_lo, s51
	s_barrier_signal -1
	s_barrier_wait -1
	s_and_saveexec_b32 s51, s97
; %bb.586:                              ;   in Loop: Header=BB45_3 Depth=1
	ds_store_b64 v66, v[0:1]
; %bb.587:                              ;   in Loop: Header=BB45_3 Depth=1
	s_or_b32 exec_lo, exec_lo, s51
	s_wait_dscnt 0x0
	s_barrier_signal -1
	s_barrier_wait -1
	s_and_saveexec_b32 s51, s98
	s_cbranch_execz .LBB45_589
; %bb.588:                              ;   in Loop: Header=BB45_3 Depth=1
	ds_load_b64 v[42:43], v63 offset:19232
	ds_load_b64 v[44:45], v66
	s_wait_dscnt 0x0
	v_fmac_f64_e32 v[0:1], v[42:43], v[44:45]
.LBB45_589:                             ;   in Loop: Header=BB45_3 Depth=1
	s_or_b32 exec_lo, exec_lo, s51
	s_barrier_signal -1
	s_barrier_wait -1
	;; [unrolled: 19-line block ×3, first 2 shown]
	s_and_saveexec_b32 s51, s100
; %bb.594:                              ;   in Loop: Header=BB45_3 Depth=1
	ds_store_b64 v66, v[0:1]
; %bb.595:                              ;   in Loop: Header=BB45_3 Depth=1
	s_or_b32 exec_lo, exec_lo, s51
	s_wait_dscnt 0x0
	s_barrier_signal -1
	s_barrier_wait -1
	s_barrier_signal -1
	s_barrier_wait -1
	s_and_saveexec_b32 s51, s2
; %bb.596:                              ;   in Loop: Header=BB45_3 Depth=1
	v_xor_b32_e32 v1, 0x80000000, v1
	ds_store_b64 v68, v[0:1] offset:16672
; %bb.597:                              ;   in Loop: Header=BB45_3 Depth=1
	s_or_b32 exec_lo, exec_lo, s51
	s_wait_dscnt 0x0
	s_barrier_signal -1
	s_barrier_wait -1
	s_barrier_signal -1
	s_barrier_wait -1
	s_and_saveexec_b32 s51, s101
	s_cbranch_execz .LBB45_599
; %bb.598:                              ;   in Loop: Header=BB45_3 Depth=1
	ds_load_b64 v[0:1], v49 offset:16672
	s_wait_dscnt 0x0
	ds_store_b64 v50, v[0:1] offset:18688
	ds_load_b64 v[0:1], v49 offset:16680
	s_wait_dscnt 0x0
	ds_store_b64 v50, v[0:1] offset:19200
	;; [unrolled: 3-line block ×4, first 2 shown]
.LBB45_599:                             ;   in Loop: Header=BB45_3 Depth=1
	s_or_b32 exec_lo, exec_lo, s51
	s_wait_dscnt 0x0
	s_barrier_signal -1
	s_barrier_wait -1
	s_and_saveexec_b32 s51, s10
	s_cbranch_execz .LBB45_601
; %bb.600:                              ;   in Loop: Header=BB45_3 Depth=1
	ds_load_b64 v[0:1], v9 offset:18728
	v_mov_b32_e32 v2, v9
	ds_store_b64 v9, v[30:31] offset:18720
	s_wait_dscnt 0x1
	ds_store_b128 v9, v[0:3] offset:19232
.LBB45_601:                             ;   in Loop: Header=BB45_3 Depth=1
	s_or_b32 exec_lo, exec_lo, s51
	v_mov_b64_e32 v[0:1], 0
	s_wait_dscnt 0x0
	s_barrier_signal -1
	s_barrier_wait -1
	s_and_saveexec_b32 s51, s0
	s_cbranch_execz .LBB45_605
; %bb.602:                              ;   in Loop: Header=BB45_3 Depth=1
	ds_load_b64 v[0:1], v64 offset:18736
	ds_load_b64 v[42:43], v65 offset:18720
	s_wait_dscnt 0x0
	v_fma_f64 v[0:1], v[0:1], v[42:43], 0
	s_and_saveexec_b32 s52, s11
	s_cbranch_execz .LBB45_604
; %bb.603:                              ;   in Loop: Header=BB45_3 Depth=1
	ds_load_b64 v[42:43], v50 offset:19248
	ds_load_b64 v[44:45], v9 offset:18728
	s_wait_dscnt 0x0
	v_fmac_f64_e32 v[0:1], v[42:43], v[44:45]
.LBB45_604:                             ;   in Loop: Header=BB45_3 Depth=1
	s_or_b32 exec_lo, exec_lo, s52
	s_delay_alu instid0(VALU_DEP_1)
	v_xor_b32_e32 v1, 0x80000000, v1
.LBB45_605:                             ;   in Loop: Header=BB45_3 Depth=1
	s_or_b32 exec_lo, exec_lo, s51
	s_and_saveexec_b32 s51, s92
; %bb.606:                              ;   in Loop: Header=BB45_3 Depth=1
	ds_store_b64 v56, v[0:1]
; %bb.607:                              ;   in Loop: Header=BB45_3 Depth=1
	s_or_b32 exec_lo, exec_lo, s51
	s_wait_dscnt 0x0
	s_barrier_signal -1
	s_barrier_wait -1
	s_and_saveexec_b32 s51, s93
	s_cbranch_execz .LBB45_609
; %bb.608:                              ;   in Loop: Header=BB45_3 Depth=1
	ds_load_b64 v[42:43], v9 offset:19768
	ds_load_b64 v[44:45], v56
	s_wait_dscnt 0x0
	v_fmac_f64_e32 v[0:1], v[42:43], v[44:45]
.LBB45_609:                             ;   in Loop: Header=BB45_3 Depth=1
	s_or_b32 exec_lo, exec_lo, s51
	s_barrier_signal -1
	s_barrier_wait -1
	s_and_saveexec_b32 s51, s93
; %bb.610:                              ;   in Loop: Header=BB45_3 Depth=1
	ds_store_b64 v56, v[0:1]
; %bb.611:                              ;   in Loop: Header=BB45_3 Depth=1
	s_or_b32 exec_lo, exec_lo, s51
	s_wait_dscnt 0x0
	s_barrier_signal -1
	s_barrier_wait -1
	s_barrier_signal -1
	s_barrier_wait -1
	s_and_saveexec_b32 s51, s0
; %bb.612:                              ;   in Loop: Header=BB45_3 Depth=1
	v_xor_b32_e32 v1, 0x80000000, v1
	ds_store_b64 v64, v[0:1] offset:18736
; %bb.613:                              ;   in Loop: Header=BB45_3 Depth=1
	s_or_b32 exec_lo, exec_lo, s51
	s_wait_dscnt 0x0
	s_barrier_signal -1
	s_barrier_wait -1
	s_barrier_signal -1
	s_barrier_wait -1
	s_and_saveexec_b32 s51, s94
	s_cbranch_execz .LBB45_615
; %bb.614:                              ;   in Loop: Header=BB45_3 Depth=1
	ds_load_b64 v[0:1], v51 offset:18736
	s_wait_dscnt 0x0
	ds_store_b64 v50, v[0:1] offset:19744
	ds_load_b64 v[0:1], v51 offset:18744
	s_wait_dscnt 0x0
	ds_store_b64 v50, v[0:1] offset:20256
.LBB45_615:                             ;   in Loop: Header=BB45_3 Depth=1
	s_or_b32 exec_lo, exec_lo, s51
	s_wait_dscnt 0x0
	s_barrier_signal -1
	s_barrier_wait -1
	s_and_saveexec_b32 s51, s10
	s_cbranch_execz .LBB45_617
; %bb.616:                              ;   in Loop: Header=BB45_3 Depth=1
	ds_load_b64 v[0:1], v9 offset:19768
	v_mov_b32_e32 v2, v9
	ds_store_b64 v9, v[30:31] offset:19760
	s_wait_dscnt 0x1
	ds_store_b128 v9, v[0:3] offset:20272
.LBB45_617:                             ;   in Loop: Header=BB45_3 Depth=1
	s_or_b32 exec_lo, exec_lo, s51
	v_mov_b64_e32 v[0:1], 0
	s_wait_dscnt 0x0
	s_barrier_signal -1
	s_barrier_wait -1
	s_and_saveexec_b32 s61, s3
	s_cbranch_execz .LBB45_627
; %bb.618:                              ;   in Loop: Header=BB45_3 Depth=1
	ds_load_b64 v[0:1], v72 offset:16704
	ds_load_b64 v[42:43], v58 offset:16640
	s_wait_dscnt 0x0
	v_fma_f64 v[0:1], v[0:1], v[42:43], 0
	s_and_saveexec_b32 s51, s14
	s_cbranch_execnz .LBB45_1095
; %bb.619:                              ;   in Loop: Header=BB45_3 Depth=1
	s_or_b32 exec_lo, exec_lo, s51
	s_and_saveexec_b32 s51, s15
	s_cbranch_execnz .LBB45_1096
.LBB45_620:                             ;   in Loop: Header=BB45_3 Depth=1
	s_or_b32 exec_lo, exec_lo, s51
	s_and_saveexec_b32 s51, s16
	s_cbranch_execnz .LBB45_1097
.LBB45_621:                             ;   in Loop: Header=BB45_3 Depth=1
	s_or_b32 exec_lo, exec_lo, s51
	s_and_saveexec_b32 s51, s17
	s_cbranch_execnz .LBB45_1098
.LBB45_622:                             ;   in Loop: Header=BB45_3 Depth=1
	s_or_b32 exec_lo, exec_lo, s51
	s_and_saveexec_b32 s51, s18
	s_cbranch_execnz .LBB45_1099
.LBB45_623:                             ;   in Loop: Header=BB45_3 Depth=1
	s_or_b32 exec_lo, exec_lo, s51
	s_and_saveexec_b32 s51, s2
	s_cbranch_execnz .LBB45_1100
.LBB45_624:                             ;   in Loop: Header=BB45_3 Depth=1
	s_or_b32 exec_lo, exec_lo, s51
	s_and_saveexec_b32 s51, s13
	s_cbranch_execz .LBB45_626
.LBB45_625:                             ;   in Loop: Header=BB45_3 Depth=1
	ds_load_b64 v[42:43], v52 offset:20288
	ds_load_b64 v[44:45], v9 offset:16696
	s_wait_dscnt 0x0
	v_fmac_f64_e32 v[0:1], v[42:43], v[44:45]
.LBB45_626:                             ;   in Loop: Header=BB45_3 Depth=1
	s_or_b32 exec_lo, exec_lo, s51
	s_delay_alu instid0(VALU_DEP_1)
	v_xor_b32_e32 v1, 0x80000000, v1
.LBB45_627:                             ;   in Loop: Header=BB45_3 Depth=1
	s_or_b32 exec_lo, exec_lo, s61
	s_and_saveexec_b32 s51, s102
; %bb.628:                              ;   in Loop: Header=BB45_3 Depth=1
	ds_store_b64 v71, v[0:1]
; %bb.629:                              ;   in Loop: Header=BB45_3 Depth=1
	s_or_b32 exec_lo, exec_lo, s51
	s_wait_dscnt 0x0
	s_barrier_signal -1
	s_barrier_wait -1
	s_and_saveexec_b32 s51, s103
	s_cbranch_execz .LBB45_631
; %bb.630:                              ;   in Loop: Header=BB45_3 Depth=1
	ds_load_b64 v[42:43], v67 offset:20800
	ds_load_b64 v[44:45], v71
	s_wait_dscnt 0x0
	v_fmac_f64_e32 v[0:1], v[42:43], v[44:45]
.LBB45_631:                             ;   in Loop: Header=BB45_3 Depth=1
	s_or_b32 exec_lo, exec_lo, s51
	s_barrier_signal -1
	s_barrier_wait -1
	s_and_saveexec_b32 s51, s104
; %bb.632:                              ;   in Loop: Header=BB45_3 Depth=1
	ds_store_b64 v71, v[0:1]
; %bb.633:                              ;   in Loop: Header=BB45_3 Depth=1
	s_or_b32 exec_lo, exec_lo, s51
	s_wait_dscnt 0x0
	s_barrier_signal -1
	s_barrier_wait -1
	s_and_saveexec_b32 s51, vcc_hi
	s_cbranch_execz .LBB45_635
; %bb.634:                              ;   in Loop: Header=BB45_3 Depth=1
	ds_load_b64 v[42:43], v67 offset:21312
	ds_load_b64 v[44:45], v71
	s_wait_dscnt 0x0
	v_fmac_f64_e32 v[0:1], v[42:43], v[44:45]
.LBB45_635:                             ;   in Loop: Header=BB45_3 Depth=1
	s_or_b32 exec_lo, exec_lo, s51
	s_barrier_signal -1
	s_barrier_wait -1
	s_and_saveexec_b32 s51, s31
; %bb.636:                              ;   in Loop: Header=BB45_3 Depth=1
	ds_store_b64 v71, v[0:1]
; %bb.637:                              ;   in Loop: Header=BB45_3 Depth=1
	s_or_b32 exec_lo, exec_lo, s51
	s_wait_dscnt 0x0
	s_barrier_signal -1
	s_barrier_wait -1
	s_and_saveexec_b32 s51, s33
	s_cbranch_execz .LBB45_639
; %bb.638:                              ;   in Loop: Header=BB45_3 Depth=1
	ds_load_b64 v[42:43], v67 offset:21824
	ds_load_b64 v[44:45], v71
	s_wait_dscnt 0x0
	v_fmac_f64_e32 v[0:1], v[42:43], v[44:45]
.LBB45_639:                             ;   in Loop: Header=BB45_3 Depth=1
	s_or_b32 exec_lo, exec_lo, s51
	s_barrier_signal -1
	s_barrier_wait -1
	s_and_saveexec_b32 s51, s34
; %bb.640:                              ;   in Loop: Header=BB45_3 Depth=1
	ds_store_b64 v71, v[0:1]
; %bb.641:                              ;   in Loop: Header=BB45_3 Depth=1
	s_or_b32 exec_lo, exec_lo, s51
	s_wait_dscnt 0x0
	s_barrier_signal -1
	s_barrier_wait -1
	s_and_saveexec_b32 s51, s35
	s_cbranch_execz .LBB45_643
; %bb.642:                              ;   in Loop: Header=BB45_3 Depth=1
	ds_load_b64 v[42:43], v67 offset:22336
	ds_load_b64 v[44:45], v71
	s_wait_dscnt 0x0
	v_fmac_f64_e32 v[0:1], v[42:43], v[44:45]
.LBB45_643:                             ;   in Loop: Header=BB45_3 Depth=1
	s_or_b32 exec_lo, exec_lo, s51
	s_barrier_signal -1
	s_barrier_wait -1
	s_and_saveexec_b32 s51, s36
; %bb.644:                              ;   in Loop: Header=BB45_3 Depth=1
	ds_store_b64 v71, v[0:1]
; %bb.645:                              ;   in Loop: Header=BB45_3 Depth=1
	s_or_b32 exec_lo, exec_lo, s51
	s_wait_dscnt 0x0
	s_barrier_signal -1
	s_barrier_wait -1
	s_and_saveexec_b32 s51, s37
	s_cbranch_execz .LBB45_647
; %bb.646:                              ;   in Loop: Header=BB45_3 Depth=1
	ds_load_b64 v[42:43], v67 offset:22848
	ds_load_b64 v[44:45], v71
	s_wait_dscnt 0x0
	v_fmac_f64_e32 v[0:1], v[42:43], v[44:45]
.LBB45_647:                             ;   in Loop: Header=BB45_3 Depth=1
	s_or_b32 exec_lo, exec_lo, s51
	s_barrier_signal -1
	s_barrier_wait -1
	s_and_saveexec_b32 s51, s38
; %bb.648:                              ;   in Loop: Header=BB45_3 Depth=1
	ds_store_b64 v71, v[0:1]
; %bb.649:                              ;   in Loop: Header=BB45_3 Depth=1
	s_or_b32 exec_lo, exec_lo, s51
	s_wait_dscnt 0x0
	s_barrier_signal -1
	s_barrier_wait -1
	s_and_saveexec_b32 s51, s39
	s_cbranch_execz .LBB45_651
; %bb.650:                              ;   in Loop: Header=BB45_3 Depth=1
	ds_load_b64 v[42:43], v67 offset:23360
	ds_load_b64 v[44:45], v71
	s_wait_dscnt 0x0
	v_fmac_f64_e32 v[0:1], v[42:43], v[44:45]
.LBB45_651:                             ;   in Loop: Header=BB45_3 Depth=1
	s_or_b32 exec_lo, exec_lo, s51
	s_barrier_signal -1
	s_barrier_wait -1
	s_and_saveexec_b32 s51, s40
; %bb.652:                              ;   in Loop: Header=BB45_3 Depth=1
	ds_store_b64 v71, v[0:1]
; %bb.653:                              ;   in Loop: Header=BB45_3 Depth=1
	s_or_b32 exec_lo, exec_lo, s51
	s_wait_dscnt 0x0
	s_barrier_signal -1
	s_barrier_wait -1
	s_and_saveexec_b32 s51, s41
	s_cbranch_execz .LBB45_655
; %bb.654:                              ;   in Loop: Header=BB45_3 Depth=1
	ds_load_b64 v[42:43], v9 offset:23928
	ds_load_b64 v[44:45], v71
	s_wait_dscnt 0x0
	v_fmac_f64_e32 v[0:1], v[42:43], v[44:45]
.LBB45_655:                             ;   in Loop: Header=BB45_3 Depth=1
	s_or_b32 exec_lo, exec_lo, s51
	s_barrier_signal -1
	s_barrier_wait -1
	s_and_saveexec_b32 s51, s41
; %bb.656:                              ;   in Loop: Header=BB45_3 Depth=1
	ds_store_b64 v71, v[0:1]
; %bb.657:                              ;   in Loop: Header=BB45_3 Depth=1
	s_or_b32 exec_lo, exec_lo, s51
	s_wait_dscnt 0x0
	s_barrier_signal -1
	s_barrier_wait -1
	s_barrier_signal -1
	s_barrier_wait -1
	s_and_saveexec_b32 s51, s3
; %bb.658:                              ;   in Loop: Header=BB45_3 Depth=1
	v_xor_b32_e32 v1, 0x80000000, v1
	ds_store_b64 v72, v[0:1] offset:16704
; %bb.659:                              ;   in Loop: Header=BB45_3 Depth=1
	s_or_b32 exec_lo, exec_lo, s51
	s_wait_dscnt 0x0
	s_barrier_signal -1
	s_barrier_wait -1
	s_barrier_signal -1
	s_barrier_wait -1
	s_and_saveexec_b32 s51, s42
	s_cbranch_execz .LBB45_661
; %bb.660:                              ;   in Loop: Header=BB45_3 Depth=1
	ds_load_b64 v[0:1], v53 offset:16704
	s_wait_dscnt 0x0
	ds_store_b64 v54, v[0:1] offset:20736
	ds_load_b64 v[0:1], v53 offset:16712
	s_wait_dscnt 0x0
	ds_store_b64 v54, v[0:1] offset:21248
	;; [unrolled: 3-line block ×8, first 2 shown]
.LBB45_661:                             ;   in Loop: Header=BB45_3 Depth=1
	s_or_b32 exec_lo, exec_lo, s51
	s_wait_dscnt 0x0
	s_barrier_signal -1
	s_barrier_wait -1
	s_and_saveexec_b32 s51, s10
	s_cbranch_execz .LBB45_663
; %bb.662:                              ;   in Loop: Header=BB45_3 Depth=1
	ds_load_b64 v[0:1], v9 offset:20808
	v_mov_b32_e32 v2, v9
	ds_store_b64 v9, v[30:31] offset:20800
	s_wait_dscnt 0x1
	ds_store_b128 v9, v[0:3] offset:21312
.LBB45_663:                             ;   in Loop: Header=BB45_3 Depth=1
	s_or_b32 exec_lo, exec_lo, s51
	v_mov_b64_e32 v[0:1], 0
	s_wait_dscnt 0x0
	s_barrier_signal -1
	s_barrier_wait -1
	s_and_saveexec_b32 s51, s0
	s_cbranch_execz .LBB45_667
; %bb.664:                              ;   in Loop: Header=BB45_3 Depth=1
	ds_load_b64 v[0:1], v64 offset:20816
	ds_load_b64 v[42:43], v65 offset:20800
	s_wait_dscnt 0x0
	v_fma_f64 v[0:1], v[0:1], v[42:43], 0
	s_and_saveexec_b32 s52, s11
	s_cbranch_execz .LBB45_666
; %bb.665:                              ;   in Loop: Header=BB45_3 Depth=1
	ds_load_b64 v[42:43], v54 offset:21328
	ds_load_b64 v[44:45], v9 offset:20808
	s_wait_dscnt 0x0
	v_fmac_f64_e32 v[0:1], v[42:43], v[44:45]
.LBB45_666:                             ;   in Loop: Header=BB45_3 Depth=1
	s_or_b32 exec_lo, exec_lo, s52
	s_delay_alu instid0(VALU_DEP_1)
	v_xor_b32_e32 v1, 0x80000000, v1
.LBB45_667:                             ;   in Loop: Header=BB45_3 Depth=1
	s_or_b32 exec_lo, exec_lo, s51
	s_and_saveexec_b32 s51, s92
; %bb.668:                              ;   in Loop: Header=BB45_3 Depth=1
	ds_store_b64 v56, v[0:1]
; %bb.669:                              ;   in Loop: Header=BB45_3 Depth=1
	s_or_b32 exec_lo, exec_lo, s51
	s_wait_dscnt 0x0
	s_barrier_signal -1
	s_barrier_wait -1
	s_and_saveexec_b32 s51, s93
	s_cbranch_execz .LBB45_671
; %bb.670:                              ;   in Loop: Header=BB45_3 Depth=1
	ds_load_b64 v[42:43], v9 offset:21848
	ds_load_b64 v[44:45], v56
	s_wait_dscnt 0x0
	v_fmac_f64_e32 v[0:1], v[42:43], v[44:45]
.LBB45_671:                             ;   in Loop: Header=BB45_3 Depth=1
	s_or_b32 exec_lo, exec_lo, s51
	s_barrier_signal -1
	s_barrier_wait -1
	s_and_saveexec_b32 s51, s93
; %bb.672:                              ;   in Loop: Header=BB45_3 Depth=1
	ds_store_b64 v56, v[0:1]
; %bb.673:                              ;   in Loop: Header=BB45_3 Depth=1
	s_or_b32 exec_lo, exec_lo, s51
	s_wait_dscnt 0x0
	s_barrier_signal -1
	s_barrier_wait -1
	s_barrier_signal -1
	s_barrier_wait -1
	s_and_saveexec_b32 s51, s0
; %bb.674:                              ;   in Loop: Header=BB45_3 Depth=1
	v_xor_b32_e32 v1, 0x80000000, v1
	ds_store_b64 v64, v[0:1] offset:20816
; %bb.675:                              ;   in Loop: Header=BB45_3 Depth=1
	s_or_b32 exec_lo, exec_lo, s51
	s_wait_dscnt 0x0
	s_barrier_signal -1
	s_barrier_wait -1
	s_barrier_signal -1
	s_barrier_wait -1
	s_and_saveexec_b32 s51, s94
	s_cbranch_execz .LBB45_677
; %bb.676:                              ;   in Loop: Header=BB45_3 Depth=1
	ds_load_b64 v[0:1], v57 offset:20816
	s_wait_dscnt 0x0
	ds_store_b64 v54, v[0:1] offset:21824
	ds_load_b64 v[0:1], v57 offset:20824
	s_wait_dscnt 0x0
	ds_store_b64 v54, v[0:1] offset:22336
.LBB45_677:                             ;   in Loop: Header=BB45_3 Depth=1
	s_or_b32 exec_lo, exec_lo, s51
	s_wait_dscnt 0x0
	s_barrier_signal -1
	s_barrier_wait -1
	s_and_saveexec_b32 s51, s10
	s_cbranch_execz .LBB45_679
; %bb.678:                              ;   in Loop: Header=BB45_3 Depth=1
	ds_load_b64 v[0:1], v9 offset:21848
	v_mov_b32_e32 v2, v9
	ds_store_b64 v9, v[30:31] offset:21840
	s_wait_dscnt 0x1
	ds_store_b128 v9, v[0:3] offset:22352
.LBB45_679:                             ;   in Loop: Header=BB45_3 Depth=1
	s_or_b32 exec_lo, exec_lo, s51
	v_mov_b64_e32 v[0:1], 0
	s_wait_dscnt 0x0
	s_barrier_signal -1
	s_barrier_wait -1
	s_and_saveexec_b32 s61, s2
	s_cbranch_execz .LBB45_685
; %bb.680:                              ;   in Loop: Header=BB45_3 Depth=1
	ds_load_b64 v[0:1], v68 offset:20832
	ds_load_b64 v[42:43], v55 offset:20800
	s_wait_dscnt 0x0
	v_fma_f64 v[0:1], v[0:1], v[42:43], 0
	s_and_saveexec_b32 s51, s12
	s_cbranch_execnz .LBB45_1101
; %bb.681:                              ;   in Loop: Header=BB45_3 Depth=1
	s_or_b32 exec_lo, exec_lo, s51
	s_and_saveexec_b32 s51, s13
	s_cbranch_execnz .LBB45_1102
.LBB45_682:                             ;   in Loop: Header=BB45_3 Depth=1
	s_or_b32 exec_lo, exec_lo, s51
	s_and_saveexec_b32 s51, s0
	s_cbranch_execz .LBB45_684
.LBB45_683:                             ;   in Loop: Header=BB45_3 Depth=1
	ds_load_b64 v[42:43], v59 offset:22368
	ds_load_b64 v[44:45], v9 offset:20824
	s_wait_dscnt 0x0
	v_fmac_f64_e32 v[0:1], v[42:43], v[44:45]
.LBB45_684:                             ;   in Loop: Header=BB45_3 Depth=1
	s_or_b32 exec_lo, exec_lo, s51
	s_delay_alu instid0(VALU_DEP_1)
	v_xor_b32_e32 v1, 0x80000000, v1
.LBB45_685:                             ;   in Loop: Header=BB45_3 Depth=1
	s_or_b32 exec_lo, exec_lo, s61
	s_and_saveexec_b32 s51, s95
; %bb.686:                              ;   in Loop: Header=BB45_3 Depth=1
	ds_store_b64 v66, v[0:1]
; %bb.687:                              ;   in Loop: Header=BB45_3 Depth=1
	s_or_b32 exec_lo, exec_lo, s51
	s_wait_dscnt 0x0
	s_barrier_signal -1
	s_barrier_wait -1
	s_and_saveexec_b32 s51, s96
	s_cbranch_execz .LBB45_689
; %bb.688:                              ;   in Loop: Header=BB45_3 Depth=1
	ds_load_b64 v[42:43], v63 offset:22880
	ds_load_b64 v[44:45], v66
	s_wait_dscnt 0x0
	v_fmac_f64_e32 v[0:1], v[42:43], v[44:45]
.LBB45_689:                             ;   in Loop: Header=BB45_3 Depth=1
	s_or_b32 exec_lo, exec_lo, s51
	s_barrier_signal -1
	s_barrier_wait -1
	s_and_saveexec_b32 s51, s97
; %bb.690:                              ;   in Loop: Header=BB45_3 Depth=1
	ds_store_b64 v66, v[0:1]
; %bb.691:                              ;   in Loop: Header=BB45_3 Depth=1
	s_or_b32 exec_lo, exec_lo, s51
	s_wait_dscnt 0x0
	s_barrier_signal -1
	s_barrier_wait -1
	s_and_saveexec_b32 s51, s98
	s_cbranch_execz .LBB45_693
; %bb.692:                              ;   in Loop: Header=BB45_3 Depth=1
	ds_load_b64 v[42:43], v63 offset:23392
	ds_load_b64 v[44:45], v66
	s_wait_dscnt 0x0
	v_fmac_f64_e32 v[0:1], v[42:43], v[44:45]
.LBB45_693:                             ;   in Loop: Header=BB45_3 Depth=1
	s_or_b32 exec_lo, exec_lo, s51
	s_barrier_signal -1
	s_barrier_wait -1
	;; [unrolled: 19-line block ×3, first 2 shown]
	s_and_saveexec_b32 s51, s100
; %bb.698:                              ;   in Loop: Header=BB45_3 Depth=1
	ds_store_b64 v66, v[0:1]
; %bb.699:                              ;   in Loop: Header=BB45_3 Depth=1
	s_or_b32 exec_lo, exec_lo, s51
	s_wait_dscnt 0x0
	s_barrier_signal -1
	s_barrier_wait -1
	s_barrier_signal -1
	s_barrier_wait -1
	s_and_saveexec_b32 s51, s2
; %bb.700:                              ;   in Loop: Header=BB45_3 Depth=1
	v_xor_b32_e32 v1, 0x80000000, v1
	ds_store_b64 v68, v[0:1] offset:20832
; %bb.701:                              ;   in Loop: Header=BB45_3 Depth=1
	s_or_b32 exec_lo, exec_lo, s51
	s_wait_dscnt 0x0
	s_barrier_signal -1
	s_barrier_wait -1
	s_barrier_signal -1
	s_barrier_wait -1
	s_and_saveexec_b32 s51, s101
	s_cbranch_execz .LBB45_703
; %bb.702:                              ;   in Loop: Header=BB45_3 Depth=1
	ds_load_b64 v[0:1], v61 offset:20832
	s_wait_dscnt 0x0
	ds_store_b64 v79, v[0:1] offset:22848
	ds_load_b64 v[0:1], v61 offset:20840
	s_wait_dscnt 0x0
	ds_store_b64 v79, v[0:1] offset:23360
	;; [unrolled: 3-line block ×4, first 2 shown]
.LBB45_703:                             ;   in Loop: Header=BB45_3 Depth=1
	s_or_b32 exec_lo, exec_lo, s51
	s_wait_dscnt 0x0
	s_barrier_signal -1
	s_barrier_wait -1
	s_and_saveexec_b32 s51, s10
	s_cbranch_execz .LBB45_705
; %bb.704:                              ;   in Loop: Header=BB45_3 Depth=1
	ds_load_b64 v[0:1], v9 offset:22888
	v_mov_b32_e32 v2, v9
	ds_store_b64 v9, v[30:31] offset:22880
	s_wait_dscnt 0x1
	ds_store_b128 v9, v[0:3] offset:23392
.LBB45_705:                             ;   in Loop: Header=BB45_3 Depth=1
	s_or_b32 exec_lo, exec_lo, s51
	v_mov_b64_e32 v[0:1], 0
	s_wait_dscnt 0x0
	s_barrier_signal -1
	s_barrier_wait -1
	s_and_saveexec_b32 s51, s0
	s_cbranch_execz .LBB45_709
; %bb.706:                              ;   in Loop: Header=BB45_3 Depth=1
	ds_load_b64 v[0:1], v64 offset:22896
	ds_load_b64 v[42:43], v65 offset:22880
	s_wait_dscnt 0x0
	v_fma_f64 v[0:1], v[0:1], v[42:43], 0
	s_and_saveexec_b32 s52, s11
	s_cbranch_execz .LBB45_708
; %bb.707:                              ;   in Loop: Header=BB45_3 Depth=1
	ds_load_b64 v[42:43], v79 offset:23408
	ds_load_b64 v[44:45], v9 offset:22888
	s_wait_dscnt 0x0
	v_fmac_f64_e32 v[0:1], v[42:43], v[44:45]
.LBB45_708:                             ;   in Loop: Header=BB45_3 Depth=1
	s_or_b32 exec_lo, exec_lo, s52
	s_delay_alu instid0(VALU_DEP_1)
	v_xor_b32_e32 v1, 0x80000000, v1
.LBB45_709:                             ;   in Loop: Header=BB45_3 Depth=1
	s_or_b32 exec_lo, exec_lo, s51
	s_and_saveexec_b32 s51, s92
; %bb.710:                              ;   in Loop: Header=BB45_3 Depth=1
	ds_store_b64 v56, v[0:1]
; %bb.711:                              ;   in Loop: Header=BB45_3 Depth=1
	s_or_b32 exec_lo, exec_lo, s51
	s_wait_dscnt 0x0
	s_barrier_signal -1
	s_barrier_wait -1
	s_and_saveexec_b32 s51, s93
	s_cbranch_execz .LBB45_713
; %bb.712:                              ;   in Loop: Header=BB45_3 Depth=1
	ds_load_b64 v[42:43], v9 offset:23928
	ds_load_b64 v[44:45], v56
	s_wait_dscnt 0x0
	v_fmac_f64_e32 v[0:1], v[42:43], v[44:45]
.LBB45_713:                             ;   in Loop: Header=BB45_3 Depth=1
	s_or_b32 exec_lo, exec_lo, s51
	s_barrier_signal -1
	s_barrier_wait -1
	s_and_saveexec_b32 s51, s93
; %bb.714:                              ;   in Loop: Header=BB45_3 Depth=1
	ds_store_b64 v56, v[0:1]
; %bb.715:                              ;   in Loop: Header=BB45_3 Depth=1
	s_or_b32 exec_lo, exec_lo, s51
	s_wait_dscnt 0x0
	s_barrier_signal -1
	s_barrier_wait -1
	s_barrier_signal -1
	s_barrier_wait -1
	s_and_saveexec_b32 s51, s0
; %bb.716:                              ;   in Loop: Header=BB45_3 Depth=1
	v_xor_b32_e32 v1, 0x80000000, v1
	ds_store_b64 v64, v[0:1] offset:22896
; %bb.717:                              ;   in Loop: Header=BB45_3 Depth=1
	s_or_b32 exec_lo, exec_lo, s51
	s_wait_dscnt 0x0
	s_barrier_signal -1
	s_barrier_wait -1
	s_barrier_signal -1
	s_barrier_wait -1
	s_and_saveexec_b32 s51, s94
	s_cbranch_execz .LBB45_719
; %bb.718:                              ;   in Loop: Header=BB45_3 Depth=1
	ds_load_b64 v[0:1], v80 offset:22896
	s_wait_dscnt 0x0
	ds_store_b64 v79, v[0:1] offset:23904
	ds_load_b64 v[0:1], v80 offset:22904
	s_wait_dscnt 0x0
	ds_store_b64 v79, v[0:1] offset:24416
.LBB45_719:                             ;   in Loop: Header=BB45_3 Depth=1
	s_or_b32 exec_lo, exec_lo, s51
	s_wait_dscnt 0x0
	s_barrier_signal -1
	s_barrier_wait -1
	s_and_saveexec_b32 s51, s10
	s_cbranch_execz .LBB45_721
; %bb.720:                              ;   in Loop: Header=BB45_3 Depth=1
	ds_load_b64 v[0:1], v9 offset:23928
	v_mov_b32_e32 v2, v9
	ds_store_b64 v9, v[30:31] offset:23920
	s_wait_dscnt 0x1
	ds_store_b128 v9, v[0:3] offset:24432
.LBB45_721:                             ;   in Loop: Header=BB45_3 Depth=1
	s_or_b32 exec_lo, exec_lo, s51
	v_mov_b64_e32 v[0:1], 0
	s_wait_dscnt 0x0
	s_barrier_signal -1
	s_barrier_wait -1
	s_and_saveexec_b32 s82, s4
	s_cbranch_execz .LBB45_749
; %bb.722:                              ;   in Loop: Header=BB45_3 Depth=1
	ds_load_b64 v[0:1], v75 offset:16768
	ds_load_b64 v[42:43], v60 offset:16640
	s_wait_dscnt 0x0
	v_fma_f64 v[0:1], v[0:1], v[42:43], 0
	s_mov_b32 s51, exec_lo
	v_readlane_b32 s52, v102, 23
	s_and_b32 s52, s51, s52
	s_delay_alu instid0(SALU_CYCLE_1)
	s_mov_b32 exec_lo, s52
	s_cbranch_execz .LBB45_724
; %bb.723:                              ;   in Loop: Header=BB45_3 Depth=1
	ds_load_b64 v[42:43], v76 offset:17280
	ds_load_b64 v[44:45], v60 offset:16648
	s_wait_dscnt 0x0
	v_fmac_f64_e32 v[0:1], v[42:43], v[44:45]
.LBB45_724:                             ;   in Loop: Header=BB45_3 Depth=1
	s_or_b32 exec_lo, exec_lo, s51
	s_delay_alu instid0(SALU_CYCLE_1) | instskip(SKIP_2) | instid1(SALU_CYCLE_1)
	s_mov_b32 s51, exec_lo
	v_readlane_b32 s52, v102, 24
	s_and_b32 s52, s51, s52
	s_mov_b32 exec_lo, s52
	s_cbranch_execz .LBB45_726
; %bb.725:                              ;   in Loop: Header=BB45_3 Depth=1
	ds_load_b64 v[42:43], v76 offset:17792
	ds_load_b64 v[44:45], v60 offset:16656
	s_wait_dscnt 0x0
	v_fmac_f64_e32 v[0:1], v[42:43], v[44:45]
.LBB45_726:                             ;   in Loop: Header=BB45_3 Depth=1
	s_or_b32 exec_lo, exec_lo, s51
	s_delay_alu instid0(SALU_CYCLE_1) | instskip(SKIP_2) | instid1(SALU_CYCLE_1)
	s_mov_b32 s51, exec_lo
	v_readlane_b32 s52, v102, 25
	s_and_b32 s52, s51, s52
	;; [unrolled: 13-line block ×10, first 2 shown]
	s_mov_b32 exec_lo, s52
	s_cbranch_execnz .LBB45_1103
; %bb.743:                              ;   in Loop: Header=BB45_3 Depth=1
	s_or_b32 exec_lo, exec_lo, s51
	s_and_saveexec_b32 s51, s3
	s_cbranch_execnz .LBB45_1104
.LBB45_744:                             ;   in Loop: Header=BB45_3 Depth=1
	s_or_b32 exec_lo, exec_lo, s51
	s_and_saveexec_b32 s51, s15
	s_cbranch_execnz .LBB45_1105
.LBB45_745:                             ;   in Loop: Header=BB45_3 Depth=1
	s_or_b32 exec_lo, exec_lo, s51
	s_and_saveexec_b32 s51, s17
	s_cbranch_execnz .LBB45_1106
.LBB45_746:                             ;   in Loop: Header=BB45_3 Depth=1
	s_or_b32 exec_lo, exec_lo, s51
	s_and_saveexec_b32 s51, s2
	s_cbranch_execz .LBB45_748
.LBB45_747:                             ;   in Loop: Header=BB45_3 Depth=1
	ds_load_b64 v[42:43], v7 offset:24448
	ds_load_b64 v[44:45], v9 offset:16760
	s_wait_dscnt 0x0
	v_fmac_f64_e32 v[0:1], v[42:43], v[44:45]
.LBB45_748:                             ;   in Loop: Header=BB45_3 Depth=1
	s_or_b32 exec_lo, exec_lo, s51
	s_delay_alu instid0(VALU_DEP_1)
	v_xor_b32_e32 v1, 0x80000000, v1
.LBB45_749:                             ;   in Loop: Header=BB45_3 Depth=1
	s_or_b32 exec_lo, exec_lo, s82
	s_delay_alu instid0(SALU_CYCLE_1) | instskip(SKIP_2) | instid1(SALU_CYCLE_1)
	s_mov_b32 s51, exec_lo
	v_readlane_b32 s52, v102, 2
	s_and_b32 s52, s51, s52
	s_mov_b32 exec_lo, s52
; %bb.750:                              ;   in Loop: Header=BB45_3 Depth=1
	ds_store_b64 v74, v[0:1]
; %bb.751:                              ;   in Loop: Header=BB45_3 Depth=1
	s_or_b32 exec_lo, exec_lo, s51
	s_wait_dscnt 0x0
	s_barrier_signal -1
	s_barrier_wait -1
	s_mov_b32 s51, exec_lo
	v_readlane_b32 s52, v102, 3
	s_and_b32 s52, s51, s52
	s_delay_alu instid0(SALU_CYCLE_1)
	s_mov_b32 exec_lo, s52
	s_cbranch_execz .LBB45_753
; %bb.752:                              ;   in Loop: Header=BB45_3 Depth=1
	ds_load_b64 v[42:43], v70 offset:24960
	ds_load_b64 v[44:45], v74
	s_wait_dscnt 0x0
	v_fmac_f64_e32 v[0:1], v[42:43], v[44:45]
.LBB45_753:                             ;   in Loop: Header=BB45_3 Depth=1
	s_or_b32 exec_lo, exec_lo, s51
	s_barrier_signal -1
	s_barrier_wait -1
	s_mov_b32 s51, exec_lo
	v_readlane_b32 s52, v102, 4
	s_and_b32 s52, s51, s52
	s_delay_alu instid0(SALU_CYCLE_1)
	s_mov_b32 exec_lo, s52
; %bb.754:                              ;   in Loop: Header=BB45_3 Depth=1
	ds_store_b64 v74, v[0:1]
; %bb.755:                              ;   in Loop: Header=BB45_3 Depth=1
	s_or_b32 exec_lo, exec_lo, s51
	s_wait_dscnt 0x0
	s_barrier_signal -1
	s_barrier_wait -1
	s_mov_b32 s51, exec_lo
	v_readlane_b32 s52, v102, 5
	s_and_b32 s52, s51, s52
	s_delay_alu instid0(SALU_CYCLE_1)
	s_mov_b32 exec_lo, s52
	s_cbranch_execz .LBB45_757
; %bb.756:                              ;   in Loop: Header=BB45_3 Depth=1
	ds_load_b64 v[42:43], v70 offset:25472
	ds_load_b64 v[44:45], v74
	s_wait_dscnt 0x0
	v_fmac_f64_e32 v[0:1], v[42:43], v[44:45]
.LBB45_757:                             ;   in Loop: Header=BB45_3 Depth=1
	s_or_b32 exec_lo, exec_lo, s51
	s_barrier_signal -1
	s_barrier_wait -1
	s_mov_b32 s51, exec_lo
	v_readlane_b32 s52, v102, 6
	s_and_b32 s52, s51, s52
	s_delay_alu instid0(SALU_CYCLE_1)
	;; [unrolled: 27-line block ×5, first 2 shown]
	s_mov_b32 exec_lo, s52
; %bb.770:                              ;   in Loop: Header=BB45_3 Depth=1
	ds_store_b64 v74, v[0:1]
; %bb.771:                              ;   in Loop: Header=BB45_3 Depth=1
	s_or_b32 exec_lo, exec_lo, s51
	s_wait_dscnt 0x0
	s_barrier_signal -1
	s_barrier_wait -1
	s_and_saveexec_b32 s51, s54
	s_cbranch_execz .LBB45_773
; %bb.772:                              ;   in Loop: Header=BB45_3 Depth=1
	ds_load_b64 v[42:43], v70 offset:27520
	ds_load_b64 v[44:45], v74
	s_wait_dscnt 0x0
	v_fmac_f64_e32 v[0:1], v[42:43], v[44:45]
.LBB45_773:                             ;   in Loop: Header=BB45_3 Depth=1
	s_or_b32 exec_lo, exec_lo, s51
	s_barrier_signal -1
	s_barrier_wait -1
	s_and_saveexec_b32 s51, s19
; %bb.774:                              ;   in Loop: Header=BB45_3 Depth=1
	ds_store_b64 v74, v[0:1]
; %bb.775:                              ;   in Loop: Header=BB45_3 Depth=1
	s_or_b32 exec_lo, exec_lo, s51
	s_wait_dscnt 0x0
	s_barrier_signal -1
	s_barrier_wait -1
	s_and_saveexec_b32 s51, s21
	s_cbranch_execz .LBB45_777
; %bb.776:                              ;   in Loop: Header=BB45_3 Depth=1
	ds_load_b64 v[42:43], v70 offset:28032
	ds_load_b64 v[44:45], v74
	s_wait_dscnt 0x0
	v_fmac_f64_e32 v[0:1], v[42:43], v[44:45]
.LBB45_777:                             ;   in Loop: Header=BB45_3 Depth=1
	s_or_b32 exec_lo, exec_lo, s51
	s_barrier_signal -1
	s_barrier_wait -1
	s_and_saveexec_b32 s51, s23
	;; [unrolled: 19-line block ×10, first 2 shown]
; %bb.810:                              ;   in Loop: Header=BB45_3 Depth=1
	ds_store_b64 v74, v[0:1]
; %bb.811:                              ;   in Loop: Header=BB45_3 Depth=1
	s_or_b32 exec_lo, exec_lo, s51
	s_wait_dscnt 0x0
	s_barrier_signal -1
	s_barrier_wait -1
	s_barrier_signal -1
	s_barrier_wait -1
	s_and_saveexec_b32 s51, s4
; %bb.812:                              ;   in Loop: Header=BB45_3 Depth=1
	v_xor_b32_e32 v1, 0x80000000, v1
	ds_store_b64 v75, v[0:1] offset:16768
; %bb.813:                              ;   in Loop: Header=BB45_3 Depth=1
	s_or_b32 exec_lo, exec_lo, s51
	s_wait_dscnt 0x0
	s_barrier_signal -1
	s_barrier_wait -1
	s_barrier_signal -1
	s_barrier_wait -1
	s_and_saveexec_b32 s51, s48
	s_cbranch_execz .LBB45_815
; %bb.814:                              ;   in Loop: Header=BB45_3 Depth=1
	ds_load_b64 v[0:1], v11 offset:16768
	s_wait_dscnt 0x0
	ds_store_b64 v48, v[0:1] offset:24832
	ds_load_b64 v[0:1], v11 offset:16776
	s_wait_dscnt 0x0
	ds_store_b64 v48, v[0:1] offset:25344
	;; [unrolled: 3-line block ×16, first 2 shown]
.LBB45_815:                             ;   in Loop: Header=BB45_3 Depth=1
	s_or_b32 exec_lo, exec_lo, s51
	s_wait_dscnt 0x0
	s_barrier_signal -1
	s_barrier_wait -1
	s_and_saveexec_b32 s51, s10
	s_cbranch_execz .LBB45_817
; %bb.816:                              ;   in Loop: Header=BB45_3 Depth=1
	ds_load_b64 v[0:1], v9 offset:24968
	v_mov_b32_e32 v2, v9
	ds_store_b64 v9, v[30:31] offset:24960
	s_wait_dscnt 0x1
	ds_store_b128 v9, v[0:3] offset:25472
.LBB45_817:                             ;   in Loop: Header=BB45_3 Depth=1
	s_or_b32 exec_lo, exec_lo, s51
	v_mov_b64_e32 v[0:1], 0
	s_wait_dscnt 0x0
	s_barrier_signal -1
	s_barrier_wait -1
	s_and_saveexec_b32 s51, s0
	s_cbranch_execz .LBB45_821
; %bb.818:                              ;   in Loop: Header=BB45_3 Depth=1
	ds_load_b64 v[0:1], v64 offset:24976
	ds_load_b64 v[42:43], v65 offset:24960
	s_wait_dscnt 0x0
	v_fma_f64 v[0:1], v[0:1], v[42:43], 0
	s_and_saveexec_b32 s52, s11
	s_cbranch_execz .LBB45_820
; %bb.819:                              ;   in Loop: Header=BB45_3 Depth=1
	ds_load_b64 v[42:43], v7 offset:25488
	ds_load_b64 v[44:45], v9 offset:24968
	s_wait_dscnt 0x0
	v_fmac_f64_e32 v[0:1], v[42:43], v[44:45]
.LBB45_820:                             ;   in Loop: Header=BB45_3 Depth=1
	s_or_b32 exec_lo, exec_lo, s52
	s_delay_alu instid0(VALU_DEP_1)
	v_xor_b32_e32 v1, 0x80000000, v1
.LBB45_821:                             ;   in Loop: Header=BB45_3 Depth=1
	s_or_b32 exec_lo, exec_lo, s51
	s_and_saveexec_b32 s51, s92
; %bb.822:                              ;   in Loop: Header=BB45_3 Depth=1
	ds_store_b64 v56, v[0:1]
; %bb.823:                              ;   in Loop: Header=BB45_3 Depth=1
	s_or_b32 exec_lo, exec_lo, s51
	s_wait_dscnt 0x0
	s_barrier_signal -1
	s_barrier_wait -1
	s_and_saveexec_b32 s51, s93
	s_cbranch_execz .LBB45_825
; %bb.824:                              ;   in Loop: Header=BB45_3 Depth=1
	ds_load_b64 v[42:43], v9 offset:26008
	ds_load_b64 v[44:45], v56
	s_wait_dscnt 0x0
	v_fmac_f64_e32 v[0:1], v[42:43], v[44:45]
.LBB45_825:                             ;   in Loop: Header=BB45_3 Depth=1
	s_or_b32 exec_lo, exec_lo, s51
	s_barrier_signal -1
	s_barrier_wait -1
	s_and_saveexec_b32 s51, s93
; %bb.826:                              ;   in Loop: Header=BB45_3 Depth=1
	ds_store_b64 v56, v[0:1]
; %bb.827:                              ;   in Loop: Header=BB45_3 Depth=1
	s_or_b32 exec_lo, exec_lo, s51
	s_wait_dscnt 0x0
	s_barrier_signal -1
	s_barrier_wait -1
	s_barrier_signal -1
	s_barrier_wait -1
	s_and_saveexec_b32 s51, s0
; %bb.828:                              ;   in Loop: Header=BB45_3 Depth=1
	v_xor_b32_e32 v1, 0x80000000, v1
	ds_store_b64 v64, v[0:1] offset:24976
; %bb.829:                              ;   in Loop: Header=BB45_3 Depth=1
	s_or_b32 exec_lo, exec_lo, s51
	s_wait_dscnt 0x0
	s_barrier_signal -1
	s_barrier_wait -1
	s_barrier_signal -1
	s_barrier_wait -1
	s_and_saveexec_b32 s51, s94
	s_cbranch_execz .LBB45_831
; %bb.830:                              ;   in Loop: Header=BB45_3 Depth=1
	ds_load_b64 v[0:1], v11 offset:24976
	s_wait_dscnt 0x0
	ds_store_b64 v7, v[0:1] offset:25984
	ds_load_b64 v[0:1], v11 offset:24984
	s_wait_dscnt 0x0
	ds_store_b64 v7, v[0:1] offset:26496
.LBB45_831:                             ;   in Loop: Header=BB45_3 Depth=1
	s_or_b32 exec_lo, exec_lo, s51
	s_wait_dscnt 0x0
	s_barrier_signal -1
	s_barrier_wait -1
	s_and_saveexec_b32 s51, s10
	s_cbranch_execz .LBB45_833
; %bb.832:                              ;   in Loop: Header=BB45_3 Depth=1
	ds_load_b64 v[0:1], v9 offset:26008
	v_mov_b32_e32 v2, v9
	ds_store_b64 v9, v[30:31] offset:26000
	s_wait_dscnt 0x1
	ds_store_b128 v9, v[0:3] offset:26512
.LBB45_833:                             ;   in Loop: Header=BB45_3 Depth=1
	s_or_b32 exec_lo, exec_lo, s51
	v_mov_b64_e32 v[0:1], 0
	s_wait_dscnt 0x0
	s_barrier_signal -1
	s_barrier_wait -1
	s_and_saveexec_b32 s61, s2
	s_cbranch_execz .LBB45_839
; %bb.834:                              ;   in Loop: Header=BB45_3 Depth=1
	ds_load_b64 v[0:1], v68 offset:24992
	ds_load_b64 v[42:43], v55 offset:24960
	s_wait_dscnt 0x0
	v_fma_f64 v[0:1], v[0:1], v[42:43], 0
	s_and_saveexec_b32 s51, s12
	s_cbranch_execnz .LBB45_1107
; %bb.835:                              ;   in Loop: Header=BB45_3 Depth=1
	s_or_b32 exec_lo, exec_lo, s51
	s_and_saveexec_b32 s51, s13
	s_cbranch_execnz .LBB45_1108
.LBB45_836:                             ;   in Loop: Header=BB45_3 Depth=1
	s_or_b32 exec_lo, exec_lo, s51
	s_and_saveexec_b32 s51, s0
	s_cbranch_execz .LBB45_838
.LBB45_837:                             ;   in Loop: Header=BB45_3 Depth=1
	ds_load_b64 v[42:43], v48 offset:26528
	ds_load_b64 v[44:45], v9 offset:24984
	s_wait_dscnt 0x0
	v_fmac_f64_e32 v[0:1], v[42:43], v[44:45]
.LBB45_838:                             ;   in Loop: Header=BB45_3 Depth=1
	s_or_b32 exec_lo, exec_lo, s51
	s_delay_alu instid0(VALU_DEP_1)
	v_xor_b32_e32 v1, 0x80000000, v1
.LBB45_839:                             ;   in Loop: Header=BB45_3 Depth=1
	s_or_b32 exec_lo, exec_lo, s61
	s_and_saveexec_b32 s51, s95
; %bb.840:                              ;   in Loop: Header=BB45_3 Depth=1
	ds_store_b64 v66, v[0:1]
; %bb.841:                              ;   in Loop: Header=BB45_3 Depth=1
	s_or_b32 exec_lo, exec_lo, s51
	s_wait_dscnt 0x0
	s_barrier_signal -1
	s_barrier_wait -1
	s_and_saveexec_b32 s51, s96
	s_cbranch_execz .LBB45_843
; %bb.842:                              ;   in Loop: Header=BB45_3 Depth=1
	ds_load_b64 v[42:43], v63 offset:27040
	ds_load_b64 v[44:45], v66
	s_wait_dscnt 0x0
	v_fmac_f64_e32 v[0:1], v[42:43], v[44:45]
.LBB45_843:                             ;   in Loop: Header=BB45_3 Depth=1
	s_or_b32 exec_lo, exec_lo, s51
	s_barrier_signal -1
	s_barrier_wait -1
	s_and_saveexec_b32 s51, s97
; %bb.844:                              ;   in Loop: Header=BB45_3 Depth=1
	ds_store_b64 v66, v[0:1]
; %bb.845:                              ;   in Loop: Header=BB45_3 Depth=1
	s_or_b32 exec_lo, exec_lo, s51
	s_wait_dscnt 0x0
	s_barrier_signal -1
	s_barrier_wait -1
	s_and_saveexec_b32 s51, s98
	s_cbranch_execz .LBB45_847
; %bb.846:                              ;   in Loop: Header=BB45_3 Depth=1
	ds_load_b64 v[42:43], v63 offset:27552
	ds_load_b64 v[44:45], v66
	s_wait_dscnt 0x0
	v_fmac_f64_e32 v[0:1], v[42:43], v[44:45]
.LBB45_847:                             ;   in Loop: Header=BB45_3 Depth=1
	s_or_b32 exec_lo, exec_lo, s51
	s_barrier_signal -1
	s_barrier_wait -1
	;; [unrolled: 19-line block ×3, first 2 shown]
	s_and_saveexec_b32 s51, s100
; %bb.852:                              ;   in Loop: Header=BB45_3 Depth=1
	ds_store_b64 v66, v[0:1]
; %bb.853:                              ;   in Loop: Header=BB45_3 Depth=1
	s_or_b32 exec_lo, exec_lo, s51
	s_wait_dscnt 0x0
	s_barrier_signal -1
	s_barrier_wait -1
	s_barrier_signal -1
	s_barrier_wait -1
	s_and_saveexec_b32 s51, s2
; %bb.854:                              ;   in Loop: Header=BB45_3 Depth=1
	v_xor_b32_e32 v1, 0x80000000, v1
	ds_store_b64 v68, v[0:1] offset:24992
; %bb.855:                              ;   in Loop: Header=BB45_3 Depth=1
	s_or_b32 exec_lo, exec_lo, s51
	s_wait_dscnt 0x0
	s_barrier_signal -1
	s_barrier_wait -1
	s_barrier_signal -1
	s_barrier_wait -1
	s_and_saveexec_b32 s51, s101
	s_cbranch_execz .LBB45_857
; %bb.856:                              ;   in Loop: Header=BB45_3 Depth=1
	ds_load_b64 v[0:1], v49 offset:24992
	s_wait_dscnt 0x0
	ds_store_b64 v50, v[0:1] offset:27008
	ds_load_b64 v[0:1], v49 offset:25000
	s_wait_dscnt 0x0
	ds_store_b64 v50, v[0:1] offset:27520
	ds_load_b64 v[0:1], v49 offset:25008
	s_wait_dscnt 0x0
	ds_store_b64 v50, v[0:1] offset:28032
	ds_load_b64 v[0:1], v49 offset:25016
	s_wait_dscnt 0x0
	ds_store_b64 v50, v[0:1] offset:28544
.LBB45_857:                             ;   in Loop: Header=BB45_3 Depth=1
	s_or_b32 exec_lo, exec_lo, s51
	s_wait_dscnt 0x0
	s_barrier_signal -1
	s_barrier_wait -1
	s_and_saveexec_b32 s51, s10
	s_cbranch_execz .LBB45_859
; %bb.858:                              ;   in Loop: Header=BB45_3 Depth=1
	ds_load_b64 v[0:1], v9 offset:27048
	v_mov_b32_e32 v2, v9
	ds_store_b64 v9, v[30:31] offset:27040
	s_wait_dscnt 0x1
	ds_store_b128 v9, v[0:3] offset:27552
.LBB45_859:                             ;   in Loop: Header=BB45_3 Depth=1
	s_or_b32 exec_lo, exec_lo, s51
	v_mov_b64_e32 v[0:1], 0
	s_wait_dscnt 0x0
	s_barrier_signal -1
	s_barrier_wait -1
	s_and_saveexec_b32 s51, s0
	s_cbranch_execz .LBB45_863
; %bb.860:                              ;   in Loop: Header=BB45_3 Depth=1
	ds_load_b64 v[0:1], v64 offset:27056
	ds_load_b64 v[42:43], v65 offset:27040
	s_wait_dscnt 0x0
	v_fma_f64 v[0:1], v[0:1], v[42:43], 0
	s_and_saveexec_b32 s52, s11
	s_cbranch_execz .LBB45_862
; %bb.861:                              ;   in Loop: Header=BB45_3 Depth=1
	ds_load_b64 v[42:43], v50 offset:27568
	ds_load_b64 v[44:45], v9 offset:27048
	s_wait_dscnt 0x0
	v_fmac_f64_e32 v[0:1], v[42:43], v[44:45]
.LBB45_862:                             ;   in Loop: Header=BB45_3 Depth=1
	s_or_b32 exec_lo, exec_lo, s52
	s_delay_alu instid0(VALU_DEP_1)
	v_xor_b32_e32 v1, 0x80000000, v1
.LBB45_863:                             ;   in Loop: Header=BB45_3 Depth=1
	s_or_b32 exec_lo, exec_lo, s51
	s_and_saveexec_b32 s51, s92
; %bb.864:                              ;   in Loop: Header=BB45_3 Depth=1
	ds_store_b64 v56, v[0:1]
; %bb.865:                              ;   in Loop: Header=BB45_3 Depth=1
	s_or_b32 exec_lo, exec_lo, s51
	s_wait_dscnt 0x0
	s_barrier_signal -1
	s_barrier_wait -1
	s_and_saveexec_b32 s51, s93
	s_cbranch_execz .LBB45_867
; %bb.866:                              ;   in Loop: Header=BB45_3 Depth=1
	ds_load_b64 v[42:43], v9 offset:28088
	ds_load_b64 v[44:45], v56
	s_wait_dscnt 0x0
	v_fmac_f64_e32 v[0:1], v[42:43], v[44:45]
.LBB45_867:                             ;   in Loop: Header=BB45_3 Depth=1
	s_or_b32 exec_lo, exec_lo, s51
	s_barrier_signal -1
	s_barrier_wait -1
	s_and_saveexec_b32 s51, s93
; %bb.868:                              ;   in Loop: Header=BB45_3 Depth=1
	ds_store_b64 v56, v[0:1]
; %bb.869:                              ;   in Loop: Header=BB45_3 Depth=1
	s_or_b32 exec_lo, exec_lo, s51
	s_wait_dscnt 0x0
	s_barrier_signal -1
	s_barrier_wait -1
	s_barrier_signal -1
	s_barrier_wait -1
	s_and_saveexec_b32 s51, s0
; %bb.870:                              ;   in Loop: Header=BB45_3 Depth=1
	v_xor_b32_e32 v1, 0x80000000, v1
	ds_store_b64 v64, v[0:1] offset:27056
; %bb.871:                              ;   in Loop: Header=BB45_3 Depth=1
	s_or_b32 exec_lo, exec_lo, s51
	s_wait_dscnt 0x0
	s_barrier_signal -1
	s_barrier_wait -1
	s_barrier_signal -1
	s_barrier_wait -1
	s_and_saveexec_b32 s51, s94
	s_cbranch_execz .LBB45_873
; %bb.872:                              ;   in Loop: Header=BB45_3 Depth=1
	ds_load_b64 v[0:1], v51 offset:27056
	s_wait_dscnt 0x0
	ds_store_b64 v50, v[0:1] offset:28064
	ds_load_b64 v[0:1], v51 offset:27064
	s_wait_dscnt 0x0
	ds_store_b64 v50, v[0:1] offset:28576
.LBB45_873:                             ;   in Loop: Header=BB45_3 Depth=1
	s_or_b32 exec_lo, exec_lo, s51
	s_wait_dscnt 0x0
	s_barrier_signal -1
	s_barrier_wait -1
	s_and_saveexec_b32 s51, s10
	s_cbranch_execz .LBB45_875
; %bb.874:                              ;   in Loop: Header=BB45_3 Depth=1
	ds_load_b64 v[0:1], v9 offset:28088
	v_mov_b32_e32 v2, v9
	ds_store_b64 v9, v[30:31] offset:28080
	s_wait_dscnt 0x1
	ds_store_b128 v9, v[0:3] offset:28592
.LBB45_875:                             ;   in Loop: Header=BB45_3 Depth=1
	s_or_b32 exec_lo, exec_lo, s51
	v_mov_b64_e32 v[0:1], 0
	s_wait_dscnt 0x0
	s_barrier_signal -1
	s_barrier_wait -1
	s_and_saveexec_b32 s61, s3
	s_cbranch_execz .LBB45_885
; %bb.876:                              ;   in Loop: Header=BB45_3 Depth=1
	ds_load_b64 v[0:1], v72 offset:25024
	ds_load_b64 v[42:43], v58 offset:24960
	s_wait_dscnt 0x0
	v_fma_f64 v[0:1], v[0:1], v[42:43], 0
	s_and_saveexec_b32 s51, s14
	s_cbranch_execnz .LBB45_1109
; %bb.877:                              ;   in Loop: Header=BB45_3 Depth=1
	s_or_b32 exec_lo, exec_lo, s51
	s_and_saveexec_b32 s51, s15
	s_cbranch_execnz .LBB45_1110
.LBB45_878:                             ;   in Loop: Header=BB45_3 Depth=1
	s_or_b32 exec_lo, exec_lo, s51
	s_and_saveexec_b32 s51, s16
	s_cbranch_execnz .LBB45_1111
.LBB45_879:                             ;   in Loop: Header=BB45_3 Depth=1
	s_or_b32 exec_lo, exec_lo, s51
	s_and_saveexec_b32 s51, s17
	s_cbranch_execnz .LBB45_1112
.LBB45_880:                             ;   in Loop: Header=BB45_3 Depth=1
	s_or_b32 exec_lo, exec_lo, s51
	s_and_saveexec_b32 s51, s18
	s_cbranch_execnz .LBB45_1113
.LBB45_881:                             ;   in Loop: Header=BB45_3 Depth=1
	s_or_b32 exec_lo, exec_lo, s51
	s_and_saveexec_b32 s51, s2
	s_cbranch_execnz .LBB45_1114
.LBB45_882:                             ;   in Loop: Header=BB45_3 Depth=1
	s_or_b32 exec_lo, exec_lo, s51
	s_and_saveexec_b32 s51, s13
	s_cbranch_execz .LBB45_884
.LBB45_883:                             ;   in Loop: Header=BB45_3 Depth=1
	ds_load_b64 v[42:43], v52 offset:28608
	ds_load_b64 v[44:45], v9 offset:25016
	s_wait_dscnt 0x0
	v_fmac_f64_e32 v[0:1], v[42:43], v[44:45]
.LBB45_884:                             ;   in Loop: Header=BB45_3 Depth=1
	s_or_b32 exec_lo, exec_lo, s51
	s_delay_alu instid0(VALU_DEP_1)
	v_xor_b32_e32 v1, 0x80000000, v1
.LBB45_885:                             ;   in Loop: Header=BB45_3 Depth=1
	s_or_b32 exec_lo, exec_lo, s61
	s_and_saveexec_b32 s51, s102
; %bb.886:                              ;   in Loop: Header=BB45_3 Depth=1
	ds_store_b64 v71, v[0:1]
; %bb.887:                              ;   in Loop: Header=BB45_3 Depth=1
	s_or_b32 exec_lo, exec_lo, s51
	s_wait_dscnt 0x0
	s_barrier_signal -1
	s_barrier_wait -1
	s_and_saveexec_b32 s51, s103
	s_cbranch_execz .LBB45_889
; %bb.888:                              ;   in Loop: Header=BB45_3 Depth=1
	ds_load_b64 v[42:43], v67 offset:29120
	ds_load_b64 v[44:45], v71
	s_wait_dscnt 0x0
	v_fmac_f64_e32 v[0:1], v[42:43], v[44:45]
.LBB45_889:                             ;   in Loop: Header=BB45_3 Depth=1
	s_or_b32 exec_lo, exec_lo, s51
	s_barrier_signal -1
	s_barrier_wait -1
	s_and_saveexec_b32 s51, s104
; %bb.890:                              ;   in Loop: Header=BB45_3 Depth=1
	ds_store_b64 v71, v[0:1]
; %bb.891:                              ;   in Loop: Header=BB45_3 Depth=1
	s_or_b32 exec_lo, exec_lo, s51
	s_wait_dscnt 0x0
	s_barrier_signal -1
	s_barrier_wait -1
	s_and_saveexec_b32 s51, vcc_hi
	s_cbranch_execz .LBB45_893
; %bb.892:                              ;   in Loop: Header=BB45_3 Depth=1
	ds_load_b64 v[42:43], v67 offset:29632
	ds_load_b64 v[44:45], v71
	s_wait_dscnt 0x0
	v_fmac_f64_e32 v[0:1], v[42:43], v[44:45]
.LBB45_893:                             ;   in Loop: Header=BB45_3 Depth=1
	s_or_b32 exec_lo, exec_lo, s51
	s_barrier_signal -1
	s_barrier_wait -1
	s_and_saveexec_b32 s51, s31
; %bb.894:                              ;   in Loop: Header=BB45_3 Depth=1
	ds_store_b64 v71, v[0:1]
; %bb.895:                              ;   in Loop: Header=BB45_3 Depth=1
	s_or_b32 exec_lo, exec_lo, s51
	s_wait_dscnt 0x0
	s_barrier_signal -1
	s_barrier_wait -1
	s_and_saveexec_b32 s51, s33
	s_cbranch_execz .LBB45_897
; %bb.896:                              ;   in Loop: Header=BB45_3 Depth=1
	ds_load_b64 v[42:43], v67 offset:30144
	ds_load_b64 v[44:45], v71
	s_wait_dscnt 0x0
	v_fmac_f64_e32 v[0:1], v[42:43], v[44:45]
.LBB45_897:                             ;   in Loop: Header=BB45_3 Depth=1
	s_or_b32 exec_lo, exec_lo, s51
	s_barrier_signal -1
	s_barrier_wait -1
	s_and_saveexec_b32 s51, s34
; %bb.898:                              ;   in Loop: Header=BB45_3 Depth=1
	ds_store_b64 v71, v[0:1]
; %bb.899:                              ;   in Loop: Header=BB45_3 Depth=1
	s_or_b32 exec_lo, exec_lo, s51
	s_wait_dscnt 0x0
	s_barrier_signal -1
	s_barrier_wait -1
	s_and_saveexec_b32 s51, s35
	;; [unrolled: 19-line block ×5, first 2 shown]
	s_cbranch_execz .LBB45_913
; %bb.912:                              ;   in Loop: Header=BB45_3 Depth=1
	ds_load_b64 v[42:43], v9 offset:32248
	ds_load_b64 v[44:45], v71
	s_wait_dscnt 0x0
	v_fmac_f64_e32 v[0:1], v[42:43], v[44:45]
.LBB45_913:                             ;   in Loop: Header=BB45_3 Depth=1
	s_or_b32 exec_lo, exec_lo, s51
	s_barrier_signal -1
	s_barrier_wait -1
	s_and_saveexec_b32 s51, s41
; %bb.914:                              ;   in Loop: Header=BB45_3 Depth=1
	ds_store_b64 v71, v[0:1]
; %bb.915:                              ;   in Loop: Header=BB45_3 Depth=1
	s_or_b32 exec_lo, exec_lo, s51
	s_wait_dscnt 0x0
	s_barrier_signal -1
	s_barrier_wait -1
	s_barrier_signal -1
	s_barrier_wait -1
	s_and_saveexec_b32 s51, s3
; %bb.916:                              ;   in Loop: Header=BB45_3 Depth=1
	v_xor_b32_e32 v1, 0x80000000, v1
	ds_store_b64 v72, v[0:1] offset:25024
; %bb.917:                              ;   in Loop: Header=BB45_3 Depth=1
	s_or_b32 exec_lo, exec_lo, s51
	s_wait_dscnt 0x0
	s_barrier_signal -1
	s_barrier_wait -1
	s_barrier_signal -1
	s_barrier_wait -1
	s_and_saveexec_b32 s51, s42
	s_cbranch_execz .LBB45_919
; %bb.918:                              ;   in Loop: Header=BB45_3 Depth=1
	ds_load_b64 v[0:1], v53 offset:25024
	s_wait_dscnt 0x0
	ds_store_b64 v54, v[0:1] offset:29056
	ds_load_b64 v[0:1], v53 offset:25032
	s_wait_dscnt 0x0
	ds_store_b64 v54, v[0:1] offset:29568
	;; [unrolled: 3-line block ×8, first 2 shown]
.LBB45_919:                             ;   in Loop: Header=BB45_3 Depth=1
	s_or_b32 exec_lo, exec_lo, s51
	s_wait_dscnt 0x0
	s_barrier_signal -1
	s_barrier_wait -1
	s_and_saveexec_b32 s51, s10
	s_cbranch_execz .LBB45_921
; %bb.920:                              ;   in Loop: Header=BB45_3 Depth=1
	ds_load_b64 v[0:1], v9 offset:29128
	v_mov_b32_e32 v2, v9
	ds_store_b64 v9, v[30:31] offset:29120
	s_wait_dscnt 0x1
	ds_store_b128 v9, v[0:3] offset:29632
.LBB45_921:                             ;   in Loop: Header=BB45_3 Depth=1
	s_or_b32 exec_lo, exec_lo, s51
	v_mov_b64_e32 v[0:1], 0
	s_wait_dscnt 0x0
	s_barrier_signal -1
	s_barrier_wait -1
	s_and_saveexec_b32 s51, s0
	s_cbranch_execz .LBB45_925
; %bb.922:                              ;   in Loop: Header=BB45_3 Depth=1
	ds_load_b64 v[0:1], v64 offset:29136
	ds_load_b64 v[42:43], v65 offset:29120
	s_wait_dscnt 0x0
	v_fma_f64 v[0:1], v[0:1], v[42:43], 0
	s_and_saveexec_b32 s52, s11
	s_cbranch_execz .LBB45_924
; %bb.923:                              ;   in Loop: Header=BB45_3 Depth=1
	ds_load_b64 v[42:43], v54 offset:29648
	ds_load_b64 v[44:45], v9 offset:29128
	s_wait_dscnt 0x0
	v_fmac_f64_e32 v[0:1], v[42:43], v[44:45]
.LBB45_924:                             ;   in Loop: Header=BB45_3 Depth=1
	s_or_b32 exec_lo, exec_lo, s52
	s_delay_alu instid0(VALU_DEP_1)
	v_xor_b32_e32 v1, 0x80000000, v1
.LBB45_925:                             ;   in Loop: Header=BB45_3 Depth=1
	s_or_b32 exec_lo, exec_lo, s51
	s_and_saveexec_b32 s51, s92
; %bb.926:                              ;   in Loop: Header=BB45_3 Depth=1
	ds_store_b64 v56, v[0:1]
; %bb.927:                              ;   in Loop: Header=BB45_3 Depth=1
	s_or_b32 exec_lo, exec_lo, s51
	s_wait_dscnt 0x0
	s_barrier_signal -1
	s_barrier_wait -1
	s_and_saveexec_b32 s51, s93
	s_cbranch_execz .LBB45_929
; %bb.928:                              ;   in Loop: Header=BB45_3 Depth=1
	ds_load_b64 v[42:43], v9 offset:30168
	ds_load_b64 v[44:45], v56
	s_wait_dscnt 0x0
	v_fmac_f64_e32 v[0:1], v[42:43], v[44:45]
.LBB45_929:                             ;   in Loop: Header=BB45_3 Depth=1
	s_or_b32 exec_lo, exec_lo, s51
	s_barrier_signal -1
	s_barrier_wait -1
	s_and_saveexec_b32 s51, s93
; %bb.930:                              ;   in Loop: Header=BB45_3 Depth=1
	ds_store_b64 v56, v[0:1]
; %bb.931:                              ;   in Loop: Header=BB45_3 Depth=1
	s_or_b32 exec_lo, exec_lo, s51
	s_wait_dscnt 0x0
	s_barrier_signal -1
	s_barrier_wait -1
	s_barrier_signal -1
	s_barrier_wait -1
	s_and_saveexec_b32 s51, s0
; %bb.932:                              ;   in Loop: Header=BB45_3 Depth=1
	v_xor_b32_e32 v1, 0x80000000, v1
	ds_store_b64 v64, v[0:1] offset:29136
; %bb.933:                              ;   in Loop: Header=BB45_3 Depth=1
	s_or_b32 exec_lo, exec_lo, s51
	s_wait_dscnt 0x0
	s_barrier_signal -1
	s_barrier_wait -1
	s_barrier_signal -1
	s_barrier_wait -1
	s_and_saveexec_b32 s51, s94
	s_cbranch_execz .LBB45_935
; %bb.934:                              ;   in Loop: Header=BB45_3 Depth=1
	ds_load_b64 v[0:1], v57 offset:29136
	s_wait_dscnt 0x0
	ds_store_b64 v54, v[0:1] offset:30144
	ds_load_b64 v[0:1], v57 offset:29144
	s_wait_dscnt 0x0
	ds_store_b64 v54, v[0:1] offset:30656
.LBB45_935:                             ;   in Loop: Header=BB45_3 Depth=1
	s_or_b32 exec_lo, exec_lo, s51
	s_wait_dscnt 0x0
	s_barrier_signal -1
	s_barrier_wait -1
	s_and_saveexec_b32 s51, s10
	s_cbranch_execz .LBB45_937
; %bb.936:                              ;   in Loop: Header=BB45_3 Depth=1
	ds_load_b64 v[0:1], v9 offset:30168
	v_mov_b32_e32 v2, v9
	ds_store_b64 v9, v[30:31] offset:30160
	s_wait_dscnt 0x1
	ds_store_b128 v9, v[0:3] offset:30672
.LBB45_937:                             ;   in Loop: Header=BB45_3 Depth=1
	s_or_b32 exec_lo, exec_lo, s51
	v_mov_b64_e32 v[0:1], 0
	s_wait_dscnt 0x0
	s_barrier_signal -1
	s_barrier_wait -1
	s_and_saveexec_b32 s61, s2
	s_cbranch_execz .LBB45_943
; %bb.938:                              ;   in Loop: Header=BB45_3 Depth=1
	ds_load_b64 v[0:1], v68 offset:29152
	ds_load_b64 v[42:43], v55 offset:29120
	s_wait_dscnt 0x0
	v_fma_f64 v[0:1], v[0:1], v[42:43], 0
	s_and_saveexec_b32 s51, s12
	s_cbranch_execnz .LBB45_1115
; %bb.939:                              ;   in Loop: Header=BB45_3 Depth=1
	s_or_b32 exec_lo, exec_lo, s51
	s_and_saveexec_b32 s51, s13
	s_cbranch_execnz .LBB45_1116
.LBB45_940:                             ;   in Loop: Header=BB45_3 Depth=1
	s_or_b32 exec_lo, exec_lo, s51
	s_and_saveexec_b32 s51, s0
	s_cbranch_execz .LBB45_942
.LBB45_941:                             ;   in Loop: Header=BB45_3 Depth=1
	ds_load_b64 v[42:43], v59 offset:30688
	ds_load_b64 v[44:45], v9 offset:29144
	s_wait_dscnt 0x0
	v_fmac_f64_e32 v[0:1], v[42:43], v[44:45]
.LBB45_942:                             ;   in Loop: Header=BB45_3 Depth=1
	s_or_b32 exec_lo, exec_lo, s51
	s_delay_alu instid0(VALU_DEP_1)
	v_xor_b32_e32 v1, 0x80000000, v1
.LBB45_943:                             ;   in Loop: Header=BB45_3 Depth=1
	s_or_b32 exec_lo, exec_lo, s61
	s_and_saveexec_b32 s51, s95
; %bb.944:                              ;   in Loop: Header=BB45_3 Depth=1
	ds_store_b64 v66, v[0:1]
; %bb.945:                              ;   in Loop: Header=BB45_3 Depth=1
	s_or_b32 exec_lo, exec_lo, s51
	s_wait_dscnt 0x0
	s_barrier_signal -1
	s_barrier_wait -1
	s_and_saveexec_b32 s51, s96
	s_cbranch_execz .LBB45_947
; %bb.946:                              ;   in Loop: Header=BB45_3 Depth=1
	ds_load_b64 v[42:43], v63 offset:31200
	ds_load_b64 v[44:45], v66
	s_wait_dscnt 0x0
	v_fmac_f64_e32 v[0:1], v[42:43], v[44:45]
.LBB45_947:                             ;   in Loop: Header=BB45_3 Depth=1
	s_or_b32 exec_lo, exec_lo, s51
	s_barrier_signal -1
	s_barrier_wait -1
	s_and_saveexec_b32 s51, s97
; %bb.948:                              ;   in Loop: Header=BB45_3 Depth=1
	ds_store_b64 v66, v[0:1]
; %bb.949:                              ;   in Loop: Header=BB45_3 Depth=1
	s_or_b32 exec_lo, exec_lo, s51
	s_wait_dscnt 0x0
	s_barrier_signal -1
	s_barrier_wait -1
	s_and_saveexec_b32 s51, s98
	s_cbranch_execz .LBB45_951
; %bb.950:                              ;   in Loop: Header=BB45_3 Depth=1
	ds_load_b64 v[42:43], v63 offset:31712
	ds_load_b64 v[44:45], v66
	s_wait_dscnt 0x0
	v_fmac_f64_e32 v[0:1], v[42:43], v[44:45]
.LBB45_951:                             ;   in Loop: Header=BB45_3 Depth=1
	s_or_b32 exec_lo, exec_lo, s51
	s_barrier_signal -1
	s_barrier_wait -1
	;; [unrolled: 19-line block ×3, first 2 shown]
	s_and_saveexec_b32 s51, s100
; %bb.956:                              ;   in Loop: Header=BB45_3 Depth=1
	ds_store_b64 v66, v[0:1]
; %bb.957:                              ;   in Loop: Header=BB45_3 Depth=1
	s_or_b32 exec_lo, exec_lo, s51
	s_wait_dscnt 0x0
	s_barrier_signal -1
	s_barrier_wait -1
	s_barrier_signal -1
	s_barrier_wait -1
	s_and_saveexec_b32 s51, s2
; %bb.958:                              ;   in Loop: Header=BB45_3 Depth=1
	v_xor_b32_e32 v1, 0x80000000, v1
	ds_store_b64 v68, v[0:1] offset:29152
; %bb.959:                              ;   in Loop: Header=BB45_3 Depth=1
	s_or_b32 exec_lo, exec_lo, s51
	s_wait_dscnt 0x0
	s_barrier_signal -1
	s_barrier_wait -1
	s_barrier_signal -1
	s_barrier_wait -1
	s_and_saveexec_b32 s51, s101
	s_cbranch_execz .LBB45_961
; %bb.960:                              ;   in Loop: Header=BB45_3 Depth=1
	ds_load_b64 v[0:1], v61 offset:29152
	s_wait_dscnt 0x0
	ds_store_b64 v79, v[0:1] offset:31168
	ds_load_b64 v[0:1], v61 offset:29160
	s_wait_dscnt 0x0
	ds_store_b64 v79, v[0:1] offset:31680
	;; [unrolled: 3-line block ×4, first 2 shown]
.LBB45_961:                             ;   in Loop: Header=BB45_3 Depth=1
	s_or_b32 exec_lo, exec_lo, s51
	s_wait_dscnt 0x0
	s_barrier_signal -1
	s_barrier_wait -1
	s_and_saveexec_b32 s51, s10
	s_cbranch_execz .LBB45_963
; %bb.962:                              ;   in Loop: Header=BB45_3 Depth=1
	ds_load_b64 v[0:1], v9 offset:31208
	v_mov_b32_e32 v2, v9
	ds_store_b64 v9, v[30:31] offset:31200
	s_wait_dscnt 0x1
	ds_store_b128 v9, v[0:3] offset:31712
.LBB45_963:                             ;   in Loop: Header=BB45_3 Depth=1
	s_or_b32 exec_lo, exec_lo, s51
	v_mov_b64_e32 v[0:1], 0
	s_wait_dscnt 0x0
	s_barrier_signal -1
	s_barrier_wait -1
	s_and_saveexec_b32 s51, s0
	s_cbranch_execz .LBB45_967
; %bb.964:                              ;   in Loop: Header=BB45_3 Depth=1
	ds_load_b64 v[0:1], v64 offset:31216
	ds_load_b64 v[42:43], v65 offset:31200
	s_wait_dscnt 0x0
	v_fma_f64 v[0:1], v[0:1], v[42:43], 0
	s_and_saveexec_b32 s52, s11
	s_cbranch_execz .LBB45_966
; %bb.965:                              ;   in Loop: Header=BB45_3 Depth=1
	ds_load_b64 v[42:43], v79 offset:31728
	ds_load_b64 v[44:45], v9 offset:31208
	s_wait_dscnt 0x0
	v_fmac_f64_e32 v[0:1], v[42:43], v[44:45]
.LBB45_966:                             ;   in Loop: Header=BB45_3 Depth=1
	s_or_b32 exec_lo, exec_lo, s52
	s_delay_alu instid0(VALU_DEP_1)
	v_xor_b32_e32 v1, 0x80000000, v1
.LBB45_967:                             ;   in Loop: Header=BB45_3 Depth=1
	s_or_b32 exec_lo, exec_lo, s51
	s_and_saveexec_b32 s51, s92
; %bb.968:                              ;   in Loop: Header=BB45_3 Depth=1
	ds_store_b64 v56, v[0:1]
; %bb.969:                              ;   in Loop: Header=BB45_3 Depth=1
	s_or_b32 exec_lo, exec_lo, s51
	s_wait_dscnt 0x0
	s_barrier_signal -1
	s_barrier_wait -1
	s_and_saveexec_b32 s51, s93
	s_cbranch_execz .LBB45_971
; %bb.970:                              ;   in Loop: Header=BB45_3 Depth=1
	ds_load_b64 v[42:43], v9 offset:32248
	ds_load_b64 v[44:45], v56
	s_wait_dscnt 0x0
	v_fmac_f64_e32 v[0:1], v[42:43], v[44:45]
.LBB45_971:                             ;   in Loop: Header=BB45_3 Depth=1
	s_or_b32 exec_lo, exec_lo, s51
	s_barrier_signal -1
	s_barrier_wait -1
	s_and_saveexec_b32 s51, s93
; %bb.972:                              ;   in Loop: Header=BB45_3 Depth=1
	ds_store_b64 v56, v[0:1]
; %bb.973:                              ;   in Loop: Header=BB45_3 Depth=1
	s_or_b32 exec_lo, exec_lo, s51
	s_wait_dscnt 0x0
	s_barrier_signal -1
	s_barrier_wait -1
	s_barrier_signal -1
	s_barrier_wait -1
	s_and_saveexec_b32 s51, s0
; %bb.974:                              ;   in Loop: Header=BB45_3 Depth=1
	v_xor_b32_e32 v1, 0x80000000, v1
	ds_store_b64 v64, v[0:1] offset:31216
; %bb.975:                              ;   in Loop: Header=BB45_3 Depth=1
	s_or_b32 exec_lo, exec_lo, s51
	s_wait_dscnt 0x0
	s_barrier_signal -1
	s_barrier_wait -1
	s_barrier_signal -1
	s_barrier_wait -1
	s_and_saveexec_b32 s51, s94
	s_cbranch_execz .LBB45_977
; %bb.976:                              ;   in Loop: Header=BB45_3 Depth=1
	ds_load_b64 v[0:1], v80 offset:31216
	s_wait_dscnt 0x0
	ds_store_b64 v79, v[0:1] offset:32224
	ds_load_b64 v[0:1], v80 offset:31224
	s_wait_dscnt 0x0
	ds_store_b64 v79, v[0:1] offset:32736
.LBB45_977:                             ;   in Loop: Header=BB45_3 Depth=1
	s_or_b32 exec_lo, exec_lo, s51
	s_wait_dscnt 0x0
	s_barrier_signal -1
	s_barrier_wait -1
	s_and_saveexec_b32 s51, s10
	s_cbranch_execz .LBB45_979
; %bb.978:                              ;   in Loop: Header=BB45_3 Depth=1
	ds_load_b64 v[0:1], v9 offset:32248
	v_mov_b32_e32 v2, v9
	ds_store_b64 v9, v[30:31] offset:32240
	s_wait_dscnt 0x1
	ds_store_b128 v9, v[0:3] offset:32752
.LBB45_979:                             ;   in Loop: Header=BB45_3 Depth=1
	s_or_b32 exec_lo, exec_lo, s51
.LBB45_980:                             ;   in Loop: Header=BB45_3 Depth=1
	v_mov_b64_e32 v[0:1], 0
	s_mul_u64 s[52:53], s[72:73], s[76:77]
	s_wait_dscnt 0x0
	s_lshl_b64 s[52:53], s[52:53], 3
	s_barrier_signal -1
	s_add_nc_u64 s[82:83], s[66:67], s[52:53]
	s_barrier_wait -1
	s_and_saveexec_b32 s51, s49
	s_cbranch_execz .LBB45_982
; %bb.981:                              ;   in Loop: Header=BB45_3 Depth=1
	v_lshl_add_u64 v[0:1], v[18:19], 3, s[82:83]
	global_load_b64 v[0:1], v[0:1], off
	s_wait_loadcnt 0x0
	v_mul_f64_e64 v[0:1], v[0:1], -s[64:65]
.LBB45_982:                             ;   in Loop: Header=BB45_3 Depth=1
	s_or_b32 exec_lo, exec_lo, s51
	s_delay_alu instid0(SALU_CYCLE_1)
	s_and_not1_b32 vcc_lo, exec_lo, s50
	s_cbranch_vccnz .LBB45_1008
; %bb.983:                              ;   in Loop: Header=BB45_3 Depth=1
	v_mov_b32_e32 v2, -1
	s_lshl_b64 s[52:53], s[76:77], 2
	s_mov_b32 s61, 0
	s_add_nc_u64 s[84:85], s[74:75], s[52:53]
	s_branch .LBB45_986
.LBB45_984:                             ;   in Loop: Header=BB45_986 Depth=2
	s_wait_xcnt 0x0
	ds_load_b64 v[42:43], v86 offset:384
	s_wait_loadcnt_dscnt 0x0
	v_fmac_f64_e32 v[0:1], v[44:45], v[42:43]
.LBB45_985:                             ;   in Loop: Header=BB45_986 Depth=2
	s_or_b32 exec_lo, exec_lo, s51
	s_add_co_i32 s61, s61, 1
	s_delay_alu instid0(SALU_CYCLE_1)
	s_cmp_eq_u32 s61, s87
	s_cbranch_scc1 .LBB45_1008
.LBB45_986:                             ;   Parent Loop BB45_3 Depth=1
                                        ; =>  This Loop Header: Depth=2
                                        ;       Child Loop BB45_988 Depth 3
	v_cmp_gt_i32_e32 vcc_lo, s61, v2
	s_and_b32 s52, s55, vcc_lo
	s_delay_alu instid0(SALU_CYCLE_1)
	s_and_saveexec_b32 s51, s52
	s_cbranch_execz .LBB45_989
; %bb.987:                              ;   in Loop: Header=BB45_986 Depth=2
	global_load_b32 v2, v9, s[84:85]
	s_wait_loadcnt 0x0
	v_cmp_le_i32_e32 vcc_lo, s61, v2
	s_cbranch_vccnz .LBB45_989
.LBB45_988:                             ;   Parent Loop BB45_3 Depth=1
                                        ;     Parent Loop BB45_986 Depth=2
                                        ; =>    This Inner Loop Header: Depth=3
	global_wb scope:SCOPE_DEV
	s_wait_storecnt 0x0
	global_inv scope:SCOPE_DEV
	global_load_b32 v2, v9, s[84:85]
	s_wait_loadcnt 0x0
	v_cmp_gt_i32_e32 vcc_lo, s61, v2
	s_cbranch_vccnz .LBB45_988
.LBB45_989:                             ;   in Loop: Header=BB45_986 Depth=2
	s_or_b32 exec_lo, exec_lo, s51
	s_sub_co_i32 s60, s88, s61
	global_wb scope:SCOPE_DEV
	s_wait_storecnt 0x0
	global_inv scope:SCOPE_DEV
	s_lshl_b32 s51, s60, 6
	s_wait_loadcnt 0x0
	s_barrier_signal -1
	s_barrier_wait -1
	s_and_saveexec_b32 s52, s56
	s_cbranch_execz .LBB45_993
; %bb.990:                              ;   in Loop: Header=BB45_986 Depth=2
	s_ashr_i32 s53, s51, 31
	v_mov_b64_e32 v[44:45], 0
	v_dual_mov_b32 v43, s53 :: v_dual_bitop2_b32 v42, s51, v10 bitop3:0x54
	s_mov_b32 s53, exec_lo
	s_delay_alu instid0(VALU_DEP_1)
	v_cmpx_gt_i64_e64 s[78:79], v[42:43]
	s_cbranch_execz .LBB45_992
; %bb.991:                              ;   in Loop: Header=BB45_986 Depth=2
	v_mul_u64_e32 v[42:43], s[70:71], v[42:43]
	s_delay_alu instid0(VALU_DEP_1)
	v_lshl_add_u64 v[42:43], v[42:43], 3, s[82:83]
	global_load_b64 v[44:45], v[42:43], off
.LBB45_992:                             ;   in Loop: Header=BB45_986 Depth=2
	s_wait_xcnt 0x0
	s_or_b32 exec_lo, exec_lo, s53
	s_wait_loadcnt 0x0
	ds_store_b64 v91, v[44:45]
.LBB45_993:                             ;   in Loop: Header=BB45_986 Depth=2
	s_or_b32 exec_lo, exec_lo, s52
	v_add_nc_u32_e32 v44, s51, v4
	s_cmp_lg_u32 s60, s57
	s_wait_dscnt 0x0
	s_cselect_b32 s52, -1, 0
	s_barrier_signal -1
	v_ashrrev_i32_e32 v45, 31, v44
	v_cmp_gt_i32_e32 vcc_lo, s78, v44
	v_cndmask_b32_e64 v5, 0, 1, s52
	s_barrier_wait -1
	s_delay_alu instid0(VALU_DEP_3) | instskip(SKIP_1) | instid1(SALU_CYCLE_1)
	v_lshl_add_u64 v[42:43], v[44:45], 3, v[40:41]
	s_and_b32 s53, vcc_lo, s5
	s_and_saveexec_b32 s51, s53
	s_cbranch_execz .LBB45_997
; %bb.994:                              ;   in Loop: Header=BB45_986 Depth=2
	v_mov_b64_e32 v[46:47], v[32:33]
	s_and_not1_b32 vcc_lo, exec_lo, s52
	s_cbranch_vccnz .LBB45_996
; %bb.995:                              ;   in Loop: Header=BB45_986 Depth=2
	global_load_b64 v[46:47], v[42:43], off
.LBB45_996:                             ;   in Loop: Header=BB45_986 Depth=2
	ds_load_b64 v[98:99], v86
	s_wait_loadcnt_dscnt 0x0
	v_fmac_f64_e32 v[0:1], v[46:47], v[98:99]
.LBB45_997:                             ;   in Loop: Header=BB45_986 Depth=2
	s_or_b32 exec_lo, exec_lo, s51
	v_add_nc_u32_e32 v45, 16, v44
	s_delay_alu instid0(VALU_DEP_1) | instskip(SKIP_1) | instid1(SALU_CYCLE_1)
	v_cmp_gt_i32_e32 vcc_lo, s78, v45
	s_and_b32 s52, vcc_lo, s5
	s_and_saveexec_b32 s51, s52
	s_cbranch_execz .LBB45_1001
; %bb.998:                              ;   in Loop: Header=BB45_986 Depth=2
	v_cmp_ne_u32_e32 vcc_lo, 1, v5
	v_mov_b64_e32 v[46:47], v[34:35]
	s_cbranch_vccnz .LBB45_1000
; %bb.999:                              ;   in Loop: Header=BB45_986 Depth=2
	global_load_b64 v[46:47], v[42:43], off offset:128
.LBB45_1000:                            ;   in Loop: Header=BB45_986 Depth=2
	ds_load_b64 v[98:99], v86 offset:128
	s_wait_loadcnt_dscnt 0x0
	v_fmac_f64_e32 v[0:1], v[46:47], v[98:99]
.LBB45_1001:                            ;   in Loop: Header=BB45_986 Depth=2
	s_or_b32 exec_lo, exec_lo, s51
	v_add_nc_u32_e32 v45, 32, v44
	s_delay_alu instid0(VALU_DEP_1) | instskip(SKIP_1) | instid1(SALU_CYCLE_1)
	v_cmp_gt_i32_e32 vcc_lo, s78, v45
	s_and_b32 s52, vcc_lo, s5
	s_and_saveexec_b32 s51, s52
	s_cbranch_execz .LBB45_1005
; %bb.1002:                             ;   in Loop: Header=BB45_986 Depth=2
	v_cmp_ne_u32_e32 vcc_lo, 1, v5
	v_mov_b64_e32 v[46:47], v[36:37]
	s_cbranch_vccnz .LBB45_1004
; %bb.1003:                             ;   in Loop: Header=BB45_986 Depth=2
	global_load_b64 v[46:47], v[42:43], off offset:256
.LBB45_1004:                            ;   in Loop: Header=BB45_986 Depth=2
	ds_load_b64 v[98:99], v86 offset:256
	s_wait_loadcnt_dscnt 0x0
	v_fmac_f64_e32 v[0:1], v[46:47], v[98:99]
.LBB45_1005:                            ;   in Loop: Header=BB45_986 Depth=2
	s_or_b32 exec_lo, exec_lo, s51
	v_add_nc_u32_e32 v44, 48, v44
	s_delay_alu instid0(VALU_DEP_1) | instskip(SKIP_1) | instid1(SALU_CYCLE_1)
	v_cmp_gt_i32_e32 vcc_lo, s78, v44
	s_and_b32 s52, vcc_lo, s5
	s_and_saveexec_b32 s51, s52
	s_cbranch_execz .LBB45_985
; %bb.1006:                             ;   in Loop: Header=BB45_986 Depth=2
	v_cmp_ne_u32_e32 vcc_lo, 1, v5
	v_mov_b64_e32 v[44:45], v[38:39]
	s_cbranch_vccnz .LBB45_984
; %bb.1007:                             ;   in Loop: Header=BB45_986 Depth=2
	global_load_b64 v[44:45], v[42:43], off offset:384
	s_branch .LBB45_984
.LBB45_1008:                            ;   in Loop: Header=BB45_3 Depth=1
	ds_store_b64 v92, v[0:1]
	s_wait_dscnt 0x0
	s_barrier_signal -1
	s_barrier_wait -1
	s_and_saveexec_b32 s61, s1
	s_cbranch_execz .LBB45_1010
; %bb.1009:                             ;   in Loop: Header=BB45_3 Depth=1
	ds_load_2addr_stride64_b64 v[40:43], v93 offset0:1 offset1:2
	ds_load_2addr_stride64_b64 v[44:47], v93 offset0:3 offset1:4
	s_wait_dscnt 0x1
	v_add_f64_e32 v[0:1], v[0:1], v[40:41]
	s_delay_alu instid0(VALU_DEP_1) | instskip(SKIP_1) | instid1(VALU_DEP_1)
	v_add_f64_e32 v[0:1], v[0:1], v[42:43]
	s_wait_dscnt 0x0
	v_add_f64_e32 v[0:1], v[0:1], v[44:45]
	s_delay_alu instid0(VALU_DEP_1) | instskip(SKIP_4) | instid1(VALU_DEP_1)
	v_add_f64_e32 v[0:1], v[0:1], v[46:47]
	ds_load_2addr_stride64_b64 v[40:43], v93 offset0:5 offset1:6
	ds_load_2addr_stride64_b64 v[44:47], v93 offset0:7 offset1:8
	s_wait_dscnt 0x1
	v_add_f64_e32 v[0:1], v[0:1], v[40:41]
	v_add_f64_e32 v[0:1], v[0:1], v[42:43]
	s_wait_dscnt 0x0
	s_delay_alu instid0(VALU_DEP_1) | instskip(NEXT) | instid1(VALU_DEP_1)
	v_add_f64_e32 v[0:1], v[0:1], v[44:45]
	v_add_f64_e32 v[0:1], v[0:1], v[46:47]
	ds_load_2addr_stride64_b64 v[40:43], v93 offset0:9 offset1:10
	ds_load_2addr_stride64_b64 v[44:47], v93 offset0:11 offset1:12
	s_wait_dscnt 0x1
	v_add_f64_e32 v[0:1], v[0:1], v[40:41]
	s_delay_alu instid0(VALU_DEP_1) | instskip(SKIP_1) | instid1(VALU_DEP_1)
	v_add_f64_e32 v[0:1], v[0:1], v[42:43]
	s_wait_dscnt 0x0
	v_add_f64_e32 v[0:1], v[0:1], v[44:45]
	ds_load_2addr_stride64_b64 v[40:43], v93 offset0:13 offset1:14
	ds_load_b64 v[44:45], v93 offset:7680
	v_add_f64_e32 v[0:1], v[0:1], v[46:47]
	s_wait_dscnt 0x1
	s_delay_alu instid0(VALU_DEP_1) | instskip(NEXT) | instid1(VALU_DEP_1)
	v_add_f64_e32 v[0:1], v[0:1], v[40:41]
	v_add_f64_e32 v[0:1], v[0:1], v[42:43]
	s_wait_dscnt 0x0
	s_delay_alu instid0(VALU_DEP_1) | instskip(NEXT) | instid1(VALU_DEP_1)
	v_add_f64_e32 v[0:1], v[0:1], v[44:45]
	v_xor_b32_e32 v1, 0x80000000, v1
	s_delay_alu instid0(VALU_DEP_2) | instskip(NEXT) | instid1(VALU_DEP_2)
	v_cndmask_b32_e64 v0, v0, 0, s47
	v_cndmask_b32_e64 v1, v1, 0, s47
.LBB45_1010:                            ;   in Loop: Header=BB45_3 Depth=1
	s_or_b32 exec_lo, exec_lo, s61
	s_delay_alu instid0(SALU_CYCLE_1)
	s_and_not1_b32 vcc_lo, exec_lo, s91
	s_cbranch_vccnz .LBB45_1020
; %bb.1011:                             ;   in Loop: Header=BB45_3 Depth=1
	s_and_saveexec_b32 s51, s1
; %bb.1012:                             ;   in Loop: Header=BB45_3 Depth=1
	ds_store_b64 v95, v[0:1]
; %bb.1013:                             ;   in Loop: Header=BB45_3 Depth=1
	s_or_b32 exec_lo, exec_lo, s51
	v_mov_b64_e32 v[40:41], 0
	s_wait_dscnt 0x0
	s_barrier_signal -1
	s_barrier_wait -1
	s_and_saveexec_b32 s51, s6
	s_cbranch_execnz .LBB45_1060
; %bb.1014:                             ;   in Loop: Header=BB45_3 Depth=1
	s_or_b32 exec_lo, exec_lo, s51
	s_and_saveexec_b32 s51, s7
	s_cbranch_execnz .LBB45_1061
.LBB45_1015:                            ;   in Loop: Header=BB45_3 Depth=1
	s_or_b32 exec_lo, exec_lo, s51
	s_and_saveexec_b32 s51, s8
	s_cbranch_execnz .LBB45_1062
.LBB45_1016:                            ;   in Loop: Header=BB45_3 Depth=1
	s_or_b32 exec_lo, exec_lo, s51
	s_and_saveexec_b32 s51, s9
	s_cbranch_execz .LBB45_1018
.LBB45_1017:                            ;   in Loop: Header=BB45_3 Depth=1
	ds_load_b64 v[42:43], v94 offset:24576
	ds_load_b64 v[44:45], v86 offset:384
	s_wait_dscnt 0x0
	v_fmac_f64_e32 v[40:41], v[42:43], v[44:45]
.LBB45_1018:                            ;   in Loop: Header=BB45_3 Depth=1
	s_or_b32 exec_lo, exec_lo, s51
	s_mov_b32 s61, 0
	s_mov_b32 s84, 0
	ds_store_b64 v92, v[40:41]
	s_wait_dscnt 0x0
	s_barrier_signal -1
	s_barrier_wait -1
                                        ; implicit-def: $vgpr42_vgpr43
	s_and_saveexec_b32 s85, s1
	s_cbranch_execz .LBB45_1063
; %bb.1019:                             ;   in Loop: Header=BB45_3 Depth=1
	ds_load_2addr_stride64_b64 v[42:45], v93 offset0:1 offset1:2
	ds_load_2addr_stride64_b64 v[98:101], v93 offset0:3 offset1:4
	s_mov_b32 s84, exec_lo
	s_wait_dscnt 0x1
	v_add_f64_e32 v[40:41], v[40:41], v[42:43]
	s_delay_alu instid0(VALU_DEP_1) | instskip(SKIP_1) | instid1(VALU_DEP_1)
	v_add_f64_e32 v[40:41], v[44:45], v[40:41]
	s_wait_dscnt 0x0
	v_add_f64_e32 v[40:41], v[98:99], v[40:41]
	s_delay_alu instid0(VALU_DEP_1) | instskip(SKIP_4) | instid1(VALU_DEP_1)
	v_add_f64_e32 v[98:99], v[100:101], v[40:41]
	ds_load_2addr_stride64_b64 v[40:43], v93 offset0:5 offset1:6
	ds_load_2addr_stride64_b64 v[44:47], v93 offset0:7 offset1:8
	s_wait_dscnt 0x1
	v_add_f64_e32 v[40:41], v[40:41], v[98:99]
	v_add_f64_e32 v[40:41], v[42:43], v[40:41]
	s_wait_dscnt 0x0
	s_delay_alu instid0(VALU_DEP_1) | instskip(NEXT) | instid1(VALU_DEP_1)
	v_add_f64_e32 v[40:41], v[44:45], v[40:41]
	v_add_f64_e32 v[98:99], v[46:47], v[40:41]
	ds_load_2addr_stride64_b64 v[40:43], v93 offset0:9 offset1:10
	ds_load_2addr_stride64_b64 v[44:47], v93 offset0:11 offset1:12
	s_wait_dscnt 0x1
	v_add_f64_e32 v[40:41], v[40:41], v[98:99]
	s_delay_alu instid0(VALU_DEP_1) | instskip(SKIP_1) | instid1(VALU_DEP_1)
	v_add_f64_e32 v[40:41], v[42:43], v[40:41]
	s_wait_dscnt 0x0
	v_add_f64_e32 v[40:41], v[44:45], v[40:41]
	s_delay_alu instid0(VALU_DEP_1) | instskip(SKIP_4) | instid1(VALU_DEP_1)
	v_add_f64_e32 v[44:45], v[46:47], v[40:41]
	ds_load_2addr_stride64_b64 v[40:43], v93 offset0:13 offset1:14
	ds_load_b64 v[46:47], v93 offset:7680
	s_wait_dscnt 0x1
	v_add_f64_e32 v[40:41], v[40:41], v[44:45]
	v_add_f64_e32 v[40:41], v[42:43], v[40:41]
	s_wait_dscnt 0x0
	s_delay_alu instid0(VALU_DEP_1) | instskip(SKIP_1) | instid1(SALU_CYCLE_1)
	v_add_f64_e32 v[42:43], v[46:47], v[40:41]
	s_or_b32 exec_lo, exec_lo, s85
	s_and_b32 vcc_lo, exec_lo, s61
	s_cbranch_vccnz .LBB45_1021
	s_branch .LBB45_1064
.LBB45_1020:                            ;   in Loop: Header=BB45_3 Depth=1
	s_mov_b32 s84, 0
                                        ; implicit-def: $vgpr42_vgpr43
	s_cbranch_execz .LBB45_1064
.LBB45_1021:                            ;   in Loop: Header=BB45_3 Depth=1
	v_dual_mov_b32 v2, v96 :: v_dual_mov_b32 v5, v89
	s_mov_b32 s61, 63
	s_branch .LBB45_1023
.LBB45_1022:                            ;   in Loop: Header=BB45_1023 Depth=2
	s_or_b32 exec_lo, exec_lo, s51
	v_add_nc_u32_e32 v5, 0xfffff800, v5
	v_add_nc_u32_e32 v2, 4, v2
	s_add_co_i32 s61, s61, -4
	s_cmp_lg_u32 s60, 0
	s_barrier_signal -1
	s_barrier_wait -1
	s_cbranch_scc0 .LBB45_1039
.LBB45_1023:                            ;   Parent Loop BB45_3 Depth=1
                                        ; =>  This Inner Loop Header: Depth=2
	s_delay_alu instid0(VALU_DEP_1) | instskip(SKIP_1) | instid1(SALU_CYCLE_1)
	v_cmp_eq_u32_e32 vcc_lo, 0, v2
	s_and_b32 s52, s1, vcc_lo
	s_and_saveexec_b32 s51, s52
; %bb.1024:                             ;   in Loop: Header=BB45_1023 Depth=2
	ds_store_b64 v9, v[0:1] offset:41472
; %bb.1025:                             ;   in Loop: Header=BB45_1023 Depth=2
	s_or_b32 exec_lo, exec_lo, s51
	v_cmp_gt_u32_e32 vcc_lo, s61, v6
	s_wait_dscnt 0x0
	s_barrier_signal -1
	s_barrier_wait -1
	s_and_b32 s52, s1, vcc_lo
	s_delay_alu instid0(SALU_CYCLE_1)
	s_and_saveexec_b32 s51, s52
	s_cbranch_execz .LBB45_1027
; %bb.1026:                             ;   in Loop: Header=BB45_1023 Depth=2
	ds_load_b64 v[40:41], v5 offset:1536
	ds_load_b64 v[42:43], v9 offset:41472
	s_wait_dscnt 0x0
	v_fmac_f64_e32 v[0:1], v[40:41], v[42:43]
.LBB45_1027:                            ;   in Loop: Header=BB45_1023 Depth=2
	s_or_b32 exec_lo, exec_lo, s51
	s_add_co_i32 s51, s61, -1
	s_delay_alu instid0(SALU_CYCLE_1) | instskip(SKIP_3) | instid1(SALU_CYCLE_1)
	v_cmp_eq_u32_e32 vcc_lo, s51, v6
	s_barrier_signal -1
	s_barrier_wait -1
	s_and_b32 s53, s1, vcc_lo
	s_and_saveexec_b32 s52, s53
; %bb.1028:                             ;   in Loop: Header=BB45_1023 Depth=2
	ds_store_b64 v9, v[0:1] offset:41472
; %bb.1029:                             ;   in Loop: Header=BB45_1023 Depth=2
	s_or_b32 exec_lo, exec_lo, s52
	v_cmp_gt_u32_e32 vcc_lo, s51, v6
	s_wait_dscnt 0x0
	s_barrier_signal -1
	s_barrier_wait -1
	s_and_b32 s52, s1, vcc_lo
	s_delay_alu instid0(SALU_CYCLE_1)
	s_and_saveexec_b32 s51, s52
	s_cbranch_execz .LBB45_1031
; %bb.1030:                             ;   in Loop: Header=BB45_1023 Depth=2
	ds_load_b64 v[40:41], v5 offset:1024
	ds_load_b64 v[42:43], v9 offset:41472
	s_wait_dscnt 0x0
	v_fmac_f64_e32 v[0:1], v[40:41], v[42:43]
.LBB45_1031:                            ;   in Loop: Header=BB45_1023 Depth=2
	s_or_b32 exec_lo, exec_lo, s51
	s_add_co_i32 s51, s61, -2
	s_delay_alu instid0(SALU_CYCLE_1) | instskip(SKIP_3) | instid1(SALU_CYCLE_1)
	v_cmp_eq_u32_e32 vcc_lo, s51, v6
	s_barrier_signal -1
	s_barrier_wait -1
	s_and_b32 s53, s1, vcc_lo
	s_and_saveexec_b32 s52, s53
; %bb.1032:                             ;   in Loop: Header=BB45_1023 Depth=2
	ds_store_b64 v9, v[0:1] offset:41472
; %bb.1033:                             ;   in Loop: Header=BB45_1023 Depth=2
	s_or_b32 exec_lo, exec_lo, s52
	v_cmp_gt_u32_e32 vcc_lo, s51, v6
	s_wait_dscnt 0x0
	s_barrier_signal -1
	s_barrier_wait -1
	s_and_b32 s52, s1, vcc_lo
	s_delay_alu instid0(SALU_CYCLE_1)
	s_and_saveexec_b32 s51, s52
	s_cbranch_execz .LBB45_1035
; %bb.1034:                             ;   in Loop: Header=BB45_1023 Depth=2
	ds_load_b64 v[40:41], v5 offset:512
	ds_load_b64 v[42:43], v9 offset:41472
	s_wait_dscnt 0x0
	v_fmac_f64_e32 v[0:1], v[40:41], v[42:43]
.LBB45_1035:                            ;   in Loop: Header=BB45_1023 Depth=2
	s_or_b32 exec_lo, exec_lo, s51
	s_add_co_i32 s60, s61, -3
	s_delay_alu instid0(SALU_CYCLE_1) | instskip(SKIP_3) | instid1(SALU_CYCLE_1)
	v_cmp_eq_u32_e32 vcc_lo, s60, v6
	s_barrier_signal -1
	s_barrier_wait -1
	s_and_b32 s52, s1, vcc_lo
	s_and_saveexec_b32 s51, s52
; %bb.1036:                             ;   in Loop: Header=BB45_1023 Depth=2
	ds_store_b64 v9, v[0:1] offset:41472
; %bb.1037:                             ;   in Loop: Header=BB45_1023 Depth=2
	s_or_b32 exec_lo, exec_lo, s51
	v_cmp_gt_u32_e32 vcc_lo, s60, v6
	s_wait_dscnt 0x0
	s_barrier_signal -1
	s_barrier_wait -1
	s_and_b32 s52, s1, vcc_lo
	s_delay_alu instid0(SALU_CYCLE_1)
	s_and_saveexec_b32 s51, s52
	s_cbranch_execz .LBB45_1022
; %bb.1038:                             ;   in Loop: Header=BB45_1023 Depth=2
	ds_load_b64 v[40:41], v5
	ds_load_b64 v[42:43], v9 offset:41472
	s_wait_dscnt 0x0
	v_fmac_f64_e32 v[0:1], v[40:41], v[42:43]
	s_branch .LBB45_1022
.LBB45_1039:                            ;   in Loop: Header=BB45_3 Depth=1
	s_and_b32 vcc_lo, exec_lo, s89
	s_mov_b32 s51, -1
	s_cbranch_vccnz .LBB45_1065
; %bb.1040:                             ;   in Loop: Header=BB45_3 Depth=1
	s_and_not1_b32 vcc_lo, exec_lo, s51
	s_cbranch_vccz .LBB45_1066
.LBB45_1041:                            ;   in Loop: Header=BB45_3 Depth=1
	s_and_saveexec_b32 s51, s84
	s_cbranch_execz .LBB45_1043
.LBB45_1042:                            ;   in Loop: Header=BB45_3 Depth=1
	v_lshl_add_u64 v[40:41], v[14:15], 3, s[82:83]
	global_store_b64 v[40:41], v[0:1], off
.LBB45_1043:                            ;   in Loop: Header=BB45_3 Depth=1
	s_wait_xcnt 0x0
	s_or_b32 exec_lo, exec_lo, s51
	global_wb scope:SCOPE_DEV
	s_wait_storecnt 0x0
	global_inv scope:SCOPE_DEV
	s_wait_loadcnt 0x0
	s_barrier_signal -1
	s_barrier_wait -1
	s_and_saveexec_b32 s51, s55
	s_cbranch_execz .LBB45_2
; %bb.1044:                             ;   in Loop: Header=BB45_3 Depth=1
	s_lshl_b64 s[52:53], s[76:77], 2
	s_delay_alu instid0(SALU_CYCLE_1)
	s_add_nc_u64 s[52:53], s[74:75], s[52:53]
	global_load_b32 v0, v9, s[52:53]
	s_wait_loadcnt 0x0
	v_add_nc_u32_e32 v0, 1, v0
	global_store_b32 v9, v0, s[52:53]
	s_branch .LBB45_2
.LBB45_1045:                            ;   in Loop: Header=BB45_3 Depth=1
	s_mov_b32 s52, exec_lo
	v_readlane_b32 s53, v97, 25
	s_and_b32 s53, s52, s53
	s_delay_alu instid0(SALU_CYCLE_1)
	s_mov_b32 exec_lo, s53
; %bb.1046:                             ;   in Loop: Header=BB45_3 Depth=1
	ds_store_b64 v82, v[28:29]
; %bb.1047:                             ;   in Loop: Header=BB45_3 Depth=1
	s_or_b32 exec_lo, exec_lo, s52
	s_and_not1_saveexec_b32 s51, s51
	s_cbranch_execz .LBB45_16
.LBB45_1048:                            ;   in Loop: Header=BB45_3 Depth=1
	v_lshl_add_u64 v[42:43], v[26:27], 3, v[0:1]
	global_load_b64 v[42:43], v[42:43], off
	s_wait_loadcnt 0x0
	v_xor_b32_e32 v43, 0x80000000, v43
	ds_store_b64 v82, v[42:43]
	s_or_b32 exec_lo, exec_lo, s51
	s_and_saveexec_b32 s51, s7
	s_delay_alu instid0(SALU_CYCLE_1)
	s_xor_b32 s51, exec_lo, s51
	s_cbranch_execz .LBB45_17
.LBB45_1049:                            ;   in Loop: Header=BB45_3 Depth=1
	s_mov_b32 s52, exec_lo
	v_readlane_b32 s53, v97, 26
	s_and_b32 s53, s52, s53
	s_delay_alu instid0(SALU_CYCLE_1)
	s_mov_b32 exec_lo, s53
; %bb.1050:                             ;   in Loop: Header=BB45_3 Depth=1
	ds_store_b64 v83, v[28:29]
; %bb.1051:                             ;   in Loop: Header=BB45_3 Depth=1
	s_or_b32 exec_lo, exec_lo, s52
	s_and_not1_saveexec_b32 s51, s51
	s_cbranch_execz .LBB45_18
.LBB45_1052:                            ;   in Loop: Header=BB45_3 Depth=1
	v_lshl_add_u64 v[42:43], v[24:25], 3, v[0:1]
	global_load_b64 v[42:43], v[42:43], off
	s_wait_loadcnt 0x0
	v_xor_b32_e32 v43, 0x80000000, v43
	ds_store_b64 v83, v[42:43]
	s_or_b32 exec_lo, exec_lo, s51
	s_and_saveexec_b32 s51, s8
	s_delay_alu instid0(SALU_CYCLE_1)
	s_xor_b32 s51, exec_lo, s51
	s_cbranch_execz .LBB45_19
.LBB45_1053:                            ;   in Loop: Header=BB45_3 Depth=1
	s_mov_b32 s52, exec_lo
	v_readlane_b32 s53, v97, 27
	s_and_b32 s53, s52, s53
	s_delay_alu instid0(SALU_CYCLE_1)
	s_mov_b32 exec_lo, s53
; %bb.1054:                             ;   in Loop: Header=BB45_3 Depth=1
	ds_store_b64 v84, v[28:29]
; %bb.1055:                             ;   in Loop: Header=BB45_3 Depth=1
	s_or_b32 exec_lo, exec_lo, s52
	s_and_not1_saveexec_b32 s51, s51
	s_cbranch_execz .LBB45_20
.LBB45_1056:                            ;   in Loop: Header=BB45_3 Depth=1
	v_lshl_add_u64 v[42:43], v[20:21], 3, v[0:1]
	global_load_b64 v[42:43], v[42:43], off
	s_wait_loadcnt 0x0
	v_xor_b32_e32 v43, 0x80000000, v43
	ds_store_b64 v84, v[42:43]
	s_or_b32 exec_lo, exec_lo, s51
	s_and_saveexec_b32 s51, s9
	s_delay_alu instid0(SALU_CYCLE_1)
	s_xor_b32 s51, exec_lo, s51
	s_cbranch_execz .LBB45_21
.LBB45_1057:                            ;   in Loop: Header=BB45_3 Depth=1
	s_mov_b32 s52, exec_lo
	v_readlane_b32 s53, v97, 28
	s_and_b32 s53, s52, s53
	s_delay_alu instid0(SALU_CYCLE_1)
	s_mov_b32 exec_lo, s53
; %bb.1058:                             ;   in Loop: Header=BB45_3 Depth=1
	ds_store_b64 v85, v[28:29]
; %bb.1059:                             ;   in Loop: Header=BB45_3 Depth=1
	s_or_b32 exec_lo, exec_lo, s52
	s_and_not1_saveexec_b32 s51, s51
	s_cbranch_execnz .LBB45_22
	s_branch .LBB45_23
.LBB45_1060:                            ;   in Loop: Header=BB45_3 Depth=1
	ds_load_b64 v[40:41], v94
	ds_load_b64 v[42:43], v86
	s_wait_dscnt 0x0
	v_fma_f64 v[40:41], v[40:41], v[42:43], 0
	s_or_b32 exec_lo, exec_lo, s51
	s_and_saveexec_b32 s51, s7
	s_cbranch_execz .LBB45_1015
.LBB45_1061:                            ;   in Loop: Header=BB45_3 Depth=1
	ds_load_b64 v[42:43], v94 offset:8192
	ds_load_b64 v[44:45], v86 offset:128
	s_wait_dscnt 0x0
	v_fmac_f64_e32 v[40:41], v[42:43], v[44:45]
	s_or_b32 exec_lo, exec_lo, s51
	s_and_saveexec_b32 s51, s8
	s_cbranch_execz .LBB45_1016
.LBB45_1062:                            ;   in Loop: Header=BB45_3 Depth=1
	ds_load_b64 v[42:43], v94 offset:16384
	ds_load_b64 v[44:45], v86 offset:256
	s_wait_dscnt 0x0
	v_fmac_f64_e32 v[40:41], v[42:43], v[44:45]
	s_or_b32 exec_lo, exec_lo, s51
	s_and_saveexec_b32 s51, s9
	s_cbranch_execnz .LBB45_1017
	s_branch .LBB45_1018
.LBB45_1063:                            ;   in Loop: Header=BB45_3 Depth=1
	s_or_b32 exec_lo, exec_lo, s85
	s_delay_alu instid0(SALU_CYCLE_1)
	s_and_b32 vcc_lo, exec_lo, s61
	s_cbranch_vccnz .LBB45_1021
.LBB45_1064:                            ;   in Loop: Header=BB45_3 Depth=1
	s_delay_alu instid0(VALU_DEP_1)
	v_mov_b64_e32 v[0:1], v[42:43]
	s_and_saveexec_b32 s51, s84
	s_cbranch_execnz .LBB45_1042
	s_branch .LBB45_1043
.LBB45_1065:                            ;   in Loop: Header=BB45_3 Depth=1
	s_and_not1_b32 s52, s84, exec_lo
	s_and_b32 s53, s1, exec_lo
	s_delay_alu instid0(SALU_CYCLE_1)
	s_or_b32 s84, s52, s53
	s_cbranch_execnz .LBB45_1041
.LBB45_1066:                            ;   in Loop: Header=BB45_3 Depth=1
	v_readlane_b32 s52, v102, 14
	s_and_not1_b32 s51, s84, exec_lo
	s_and_b32 s52, s52, exec_lo
	s_delay_alu instid0(SALU_CYCLE_1) | instskip(NEXT) | instid1(SALU_CYCLE_1)
	s_or_b32 s84, s51, s52
	s_and_saveexec_b32 s51, s84
	s_cbranch_execnz .LBB45_1042
	s_branch .LBB45_1043
.LBB45_1067:                            ;   in Loop: Header=BB45_3 Depth=1
	ds_load_b64 v[42:43], v69 offset:544
	ds_load_b64 v[44:45], v55 offset:8
	s_wait_dscnt 0x0
	v_fmac_f64_e32 v[0:1], v[42:43], v[44:45]
	s_or_b32 exec_lo, exec_lo, s51
	s_and_saveexec_b32 s51, s13
	s_cbranch_execz .LBB45_72
.LBB45_1068:                            ;   in Loop: Header=BB45_3 Depth=1
	ds_load_b64 v[42:43], v68 offset:1056
	ds_load_b64 v[44:45], v55 offset:16
	s_wait_dscnt 0x0
	v_fmac_f64_e32 v[0:1], v[42:43], v[44:45]
	s_or_b32 exec_lo, exec_lo, s51
	s_and_saveexec_b32 s51, s0
	s_cbranch_execnz .LBB45_73
	s_branch .LBB45_74
.LBB45_1069:                            ;   in Loop: Header=BB45_3 Depth=1
	ds_load_b64 v[42:43], v73 offset:576
	ds_load_b64 v[44:45], v58 offset:8
	s_wait_dscnt 0x0
	v_fmac_f64_e32 v[0:1], v[42:43], v[44:45]
	s_or_b32 exec_lo, exec_lo, s51
	s_and_saveexec_b32 s51, s15
	s_cbranch_execz .LBB45_114
.LBB45_1070:                            ;   in Loop: Header=BB45_3 Depth=1
	ds_load_b64 v[42:43], v73 offset:1088
	ds_load_b64 v[44:45], v58 offset:16
	s_wait_dscnt 0x0
	v_fmac_f64_e32 v[0:1], v[42:43], v[44:45]
	s_or_b32 exec_lo, exec_lo, s51
	s_and_saveexec_b32 s51, s16
	s_cbranch_execz .LBB45_115
.LBB45_1071:                            ;   in Loop: Header=BB45_3 Depth=1
	ds_load_b64 v[42:43], v73 offset:1600
	ds_load_b64 v[44:45], v58 offset:24
	s_wait_dscnt 0x0
	v_fmac_f64_e32 v[0:1], v[42:43], v[44:45]
	s_or_b32 exec_lo, exec_lo, s51
	s_and_saveexec_b32 s51, s17
	s_cbranch_execz .LBB45_116
.LBB45_1072:                            ;   in Loop: Header=BB45_3 Depth=1
	ds_load_b64 v[42:43], v72 offset:2112
	ds_load_b64 v[44:45], v58 offset:32
	s_wait_dscnt 0x0
	v_fmac_f64_e32 v[0:1], v[42:43], v[44:45]
	s_or_b32 exec_lo, exec_lo, s51
	s_and_saveexec_b32 s51, s18
	s_cbranch_execz .LBB45_117
.LBB45_1073:                            ;   in Loop: Header=BB45_3 Depth=1
	ds_load_b64 v[42:43], v73 offset:2624
	ds_load_b64 v[44:45], v58 offset:40
	s_wait_dscnt 0x0
	v_fmac_f64_e32 v[0:1], v[42:43], v[44:45]
	s_or_b32 exec_lo, exec_lo, s51
	s_and_saveexec_b32 s51, s2
	s_cbranch_execz .LBB45_118
.LBB45_1074:                            ;   in Loop: Header=BB45_3 Depth=1
	ds_load_b64 v[42:43], v72 offset:3136
	ds_load_b64 v[44:45], v58 offset:48
	s_wait_dscnt 0x0
	v_fmac_f64_e32 v[0:1], v[42:43], v[44:45]
	s_or_b32 exec_lo, exec_lo, s51
	s_and_saveexec_b32 s51, s13
	s_cbranch_execnz .LBB45_119
	s_branch .LBB45_120
.LBB45_1075:                            ;   in Loop: Header=BB45_3 Depth=1
	ds_load_b64 v[42:43], v69 offset:4704
	ds_load_b64 v[44:45], v55 offset:4168
	s_wait_dscnt 0x0
	v_fmac_f64_e32 v[0:1], v[42:43], v[44:45]
	s_or_b32 exec_lo, exec_lo, s51
	s_and_saveexec_b32 s51, s13
	s_cbranch_execz .LBB45_176
.LBB45_1076:                            ;   in Loop: Header=BB45_3 Depth=1
	ds_load_b64 v[42:43], v68 offset:5216
	ds_load_b64 v[44:45], v55 offset:4176
	s_wait_dscnt 0x0
	v_fmac_f64_e32 v[0:1], v[42:43], v[44:45]
	s_or_b32 exec_lo, exec_lo, s51
	s_and_saveexec_b32 s51, s0
	s_cbranch_execnz .LBB45_177
	s_branch .LBB45_178
.LBB45_1077:                            ;   in Loop: Header=BB45_3 Depth=1
	ds_load_b64 v[42:43], v76 offset:5760
	ds_load_b64 v[44:45], v60 offset:88
	s_wait_dscnt 0x0
	v_fmac_f64_e32 v[0:1], v[42:43], v[44:45]
	s_or_b32 exec_lo, exec_lo, s51
	s_and_saveexec_b32 s51, s3
	s_cbranch_execz .LBB45_238
.LBB45_1078:                            ;   in Loop: Header=BB45_3 Depth=1
	ds_load_b64 v[42:43], v75 offset:6272
	ds_load_b64 v[44:45], v60 offset:96
	s_wait_dscnt 0x0
	v_fmac_f64_e32 v[0:1], v[42:43], v[44:45]
	s_or_b32 exec_lo, exec_lo, s51
	s_and_saveexec_b32 s51, s15
	s_cbranch_execz .LBB45_239
.LBB45_1079:                            ;   in Loop: Header=BB45_3 Depth=1
	ds_load_b64 v[42:43], v76 offset:6784
	ds_load_b64 v[44:45], v60 offset:104
	s_wait_dscnt 0x0
	v_fmac_f64_e32 v[0:1], v[42:43], v[44:45]
	s_or_b32 exec_lo, exec_lo, s51
	s_and_saveexec_b32 s51, s17
	s_cbranch_execz .LBB45_240
.LBB45_1080:                            ;   in Loop: Header=BB45_3 Depth=1
	ds_load_b64 v[42:43], v75 offset:7296
	ds_load_b64 v[44:45], v60 offset:112
	s_wait_dscnt 0x0
	v_fmac_f64_e32 v[0:1], v[42:43], v[44:45]
	s_or_b32 exec_lo, exec_lo, s51
	s_and_saveexec_b32 s51, s2
	s_cbranch_execnz .LBB45_241
	s_branch .LBB45_242
.LBB45_1081:                            ;   in Loop: Header=BB45_3 Depth=1
	ds_load_b64 v[42:43], v69 offset:8864
	ds_load_b64 v[44:45], v55 offset:8328
	s_wait_dscnt 0x0
	v_fmac_f64_e32 v[0:1], v[42:43], v[44:45]
	s_or_b32 exec_lo, exec_lo, s51
	s_and_saveexec_b32 s51, s13
	s_cbranch_execz .LBB45_330
.LBB45_1082:                            ;   in Loop: Header=BB45_3 Depth=1
	ds_load_b64 v[42:43], v68 offset:9376
	ds_load_b64 v[44:45], v55 offset:8336
	s_wait_dscnt 0x0
	v_fmac_f64_e32 v[0:1], v[42:43], v[44:45]
	s_or_b32 exec_lo, exec_lo, s51
	s_and_saveexec_b32 s51, s0
	s_cbranch_execnz .LBB45_331
	s_branch .LBB45_332
.LBB45_1083:                            ;   in Loop: Header=BB45_3 Depth=1
	ds_load_b64 v[42:43], v73 offset:8896
	ds_load_b64 v[44:45], v58 offset:8328
	s_wait_dscnt 0x0
	v_fmac_f64_e32 v[0:1], v[42:43], v[44:45]
	s_or_b32 exec_lo, exec_lo, s51
	s_and_saveexec_b32 s51, s15
	s_cbranch_execz .LBB45_372
.LBB45_1084:                            ;   in Loop: Header=BB45_3 Depth=1
	ds_load_b64 v[42:43], v73 offset:9408
	ds_load_b64 v[44:45], v58 offset:8336
	s_wait_dscnt 0x0
	v_fmac_f64_e32 v[0:1], v[42:43], v[44:45]
	s_or_b32 exec_lo, exec_lo, s51
	s_and_saveexec_b32 s51, s16
	s_cbranch_execz .LBB45_373
.LBB45_1085:                            ;   in Loop: Header=BB45_3 Depth=1
	ds_load_b64 v[42:43], v73 offset:9920
	ds_load_b64 v[44:45], v58 offset:8344
	s_wait_dscnt 0x0
	v_fmac_f64_e32 v[0:1], v[42:43], v[44:45]
	s_or_b32 exec_lo, exec_lo, s51
	s_and_saveexec_b32 s51, s17
	s_cbranch_execz .LBB45_374
.LBB45_1086:                            ;   in Loop: Header=BB45_3 Depth=1
	ds_load_b64 v[42:43], v72 offset:10432
	ds_load_b64 v[44:45], v58 offset:8352
	s_wait_dscnt 0x0
	v_fmac_f64_e32 v[0:1], v[42:43], v[44:45]
	s_or_b32 exec_lo, exec_lo, s51
	s_and_saveexec_b32 s51, s18
	s_cbranch_execz .LBB45_375
.LBB45_1087:                            ;   in Loop: Header=BB45_3 Depth=1
	ds_load_b64 v[42:43], v73 offset:10944
	ds_load_b64 v[44:45], v58 offset:8360
	s_wait_dscnt 0x0
	v_fmac_f64_e32 v[0:1], v[42:43], v[44:45]
	s_or_b32 exec_lo, exec_lo, s51
	s_and_saveexec_b32 s51, s2
	s_cbranch_execz .LBB45_376
.LBB45_1088:                            ;   in Loop: Header=BB45_3 Depth=1
	ds_load_b64 v[42:43], v72 offset:11456
	ds_load_b64 v[44:45], v58 offset:8368
	s_wait_dscnt 0x0
	v_fmac_f64_e32 v[0:1], v[42:43], v[44:45]
	s_or_b32 exec_lo, exec_lo, s51
	s_and_saveexec_b32 s51, s13
	s_cbranch_execnz .LBB45_377
	s_branch .LBB45_378
.LBB45_1089:                            ;   in Loop: Header=BB45_3 Depth=1
	ds_load_b64 v[42:43], v69 offset:13024
	ds_load_b64 v[44:45], v55 offset:12488
	s_wait_dscnt 0x0
	v_fmac_f64_e32 v[0:1], v[42:43], v[44:45]
	s_or_b32 exec_lo, exec_lo, s51
	s_and_saveexec_b32 s51, s13
	s_cbranch_execz .LBB45_434
.LBB45_1090:                            ;   in Loop: Header=BB45_3 Depth=1
	ds_load_b64 v[42:43], v68 offset:13536
	ds_load_b64 v[44:45], v55 offset:12496
	s_wait_dscnt 0x0
	v_fmac_f64_e32 v[0:1], v[42:43], v[44:45]
	s_or_b32 exec_lo, exec_lo, s51
	s_and_saveexec_b32 s51, s0
	s_cbranch_execnz .LBB45_435
	s_branch .LBB45_436
.LBB45_1091:                            ;   in Loop: Header=BB45_3 Depth=1
	ds_load_b64 v[42:43], v81 offset:15104
	ds_load_b64 v[44:45], v2 offset:232
	s_wait_dscnt 0x0
	v_fmac_f64_e32 v[0:1], v[42:43], v[44:45]
	s_or_b32 exec_lo, exec_lo, s51
	s_and_saveexec_b32 s51, s3
	s_cbranch_execz .LBB45_532
.LBB45_1092:                            ;   in Loop: Header=BB45_3 Depth=1
	ds_load_b64 v[42:43], v81 offset:15616
	ds_load_b64 v[44:45], v2 offset:240
	s_wait_dscnt 0x0
	v_fmac_f64_e32 v[0:1], v[42:43], v[44:45]
	s_or_b32 exec_lo, exec_lo, s51
	s_and_saveexec_b32 s51, s17
	s_cbranch_execnz .LBB45_533
	s_branch .LBB45_534
.LBB45_1093:                            ;   in Loop: Header=BB45_3 Depth=1
	ds_load_b64 v[42:43], v69 offset:17184
	ds_load_b64 v[44:45], v55 offset:16648
	s_wait_dscnt 0x0
	v_fmac_f64_e32 v[0:1], v[42:43], v[44:45]
	s_or_b32 exec_lo, exec_lo, s51
	s_and_saveexec_b32 s51, s13
	s_cbranch_execz .LBB45_578
.LBB45_1094:                            ;   in Loop: Header=BB45_3 Depth=1
	ds_load_b64 v[42:43], v68 offset:17696
	ds_load_b64 v[44:45], v55 offset:16656
	s_wait_dscnt 0x0
	v_fmac_f64_e32 v[0:1], v[42:43], v[44:45]
	s_or_b32 exec_lo, exec_lo, s51
	s_and_saveexec_b32 s51, s0
	s_cbranch_execnz .LBB45_579
	s_branch .LBB45_580
.LBB45_1095:                            ;   in Loop: Header=BB45_3 Depth=1
	ds_load_b64 v[42:43], v73 offset:17216
	ds_load_b64 v[44:45], v58 offset:16648
	s_wait_dscnt 0x0
	v_fmac_f64_e32 v[0:1], v[42:43], v[44:45]
	s_or_b32 exec_lo, exec_lo, s51
	s_and_saveexec_b32 s51, s15
	s_cbranch_execz .LBB45_620
.LBB45_1096:                            ;   in Loop: Header=BB45_3 Depth=1
	ds_load_b64 v[42:43], v73 offset:17728
	ds_load_b64 v[44:45], v58 offset:16656
	s_wait_dscnt 0x0
	v_fmac_f64_e32 v[0:1], v[42:43], v[44:45]
	s_or_b32 exec_lo, exec_lo, s51
	s_and_saveexec_b32 s51, s16
	s_cbranch_execz .LBB45_621
.LBB45_1097:                            ;   in Loop: Header=BB45_3 Depth=1
	ds_load_b64 v[42:43], v73 offset:18240
	ds_load_b64 v[44:45], v58 offset:16664
	s_wait_dscnt 0x0
	v_fmac_f64_e32 v[0:1], v[42:43], v[44:45]
	s_or_b32 exec_lo, exec_lo, s51
	s_and_saveexec_b32 s51, s17
	s_cbranch_execz .LBB45_622
.LBB45_1098:                            ;   in Loop: Header=BB45_3 Depth=1
	ds_load_b64 v[42:43], v72 offset:18752
	ds_load_b64 v[44:45], v58 offset:16672
	s_wait_dscnt 0x0
	v_fmac_f64_e32 v[0:1], v[42:43], v[44:45]
	s_or_b32 exec_lo, exec_lo, s51
	s_and_saveexec_b32 s51, s18
	s_cbranch_execz .LBB45_623
.LBB45_1099:                            ;   in Loop: Header=BB45_3 Depth=1
	ds_load_b64 v[42:43], v73 offset:19264
	ds_load_b64 v[44:45], v58 offset:16680
	s_wait_dscnt 0x0
	v_fmac_f64_e32 v[0:1], v[42:43], v[44:45]
	s_or_b32 exec_lo, exec_lo, s51
	s_and_saveexec_b32 s51, s2
	s_cbranch_execz .LBB45_624
.LBB45_1100:                            ;   in Loop: Header=BB45_3 Depth=1
	ds_load_b64 v[42:43], v72 offset:19776
	ds_load_b64 v[44:45], v58 offset:16688
	s_wait_dscnt 0x0
	v_fmac_f64_e32 v[0:1], v[42:43], v[44:45]
	s_or_b32 exec_lo, exec_lo, s51
	s_and_saveexec_b32 s51, s13
	s_cbranch_execnz .LBB45_625
	s_branch .LBB45_626
.LBB45_1101:                            ;   in Loop: Header=BB45_3 Depth=1
	ds_load_b64 v[42:43], v69 offset:21344
	ds_load_b64 v[44:45], v55 offset:20808
	s_wait_dscnt 0x0
	v_fmac_f64_e32 v[0:1], v[42:43], v[44:45]
	s_or_b32 exec_lo, exec_lo, s51
	s_and_saveexec_b32 s51, s13
	s_cbranch_execz .LBB45_682
.LBB45_1102:                            ;   in Loop: Header=BB45_3 Depth=1
	ds_load_b64 v[42:43], v68 offset:21856
	ds_load_b64 v[44:45], v55 offset:20816
	s_wait_dscnt 0x0
	v_fmac_f64_e32 v[0:1], v[42:43], v[44:45]
	s_or_b32 exec_lo, exec_lo, s51
	s_and_saveexec_b32 s51, s0
	s_cbranch_execnz .LBB45_683
	s_branch .LBB45_684
.LBB45_1103:                            ;   in Loop: Header=BB45_3 Depth=1
	ds_load_b64 v[42:43], v76 offset:22400
	ds_load_b64 v[44:45], v60 offset:16728
	s_wait_dscnt 0x0
	v_fmac_f64_e32 v[0:1], v[42:43], v[44:45]
	s_or_b32 exec_lo, exec_lo, s51
	s_and_saveexec_b32 s51, s3
	s_cbranch_execz .LBB45_744
.LBB45_1104:                            ;   in Loop: Header=BB45_3 Depth=1
	ds_load_b64 v[42:43], v75 offset:22912
	ds_load_b64 v[44:45], v60 offset:16736
	s_wait_dscnt 0x0
	v_fmac_f64_e32 v[0:1], v[42:43], v[44:45]
	s_or_b32 exec_lo, exec_lo, s51
	s_and_saveexec_b32 s51, s15
	s_cbranch_execz .LBB45_745
.LBB45_1105:                            ;   in Loop: Header=BB45_3 Depth=1
	ds_load_b64 v[42:43], v76 offset:23424
	ds_load_b64 v[44:45], v60 offset:16744
	s_wait_dscnt 0x0
	v_fmac_f64_e32 v[0:1], v[42:43], v[44:45]
	s_or_b32 exec_lo, exec_lo, s51
	s_and_saveexec_b32 s51, s17
	s_cbranch_execz .LBB45_746
.LBB45_1106:                            ;   in Loop: Header=BB45_3 Depth=1
	ds_load_b64 v[42:43], v75 offset:23936
	ds_load_b64 v[44:45], v60 offset:16752
	s_wait_dscnt 0x0
	v_fmac_f64_e32 v[0:1], v[42:43], v[44:45]
	s_or_b32 exec_lo, exec_lo, s51
	s_and_saveexec_b32 s51, s2
	s_cbranch_execnz .LBB45_747
	s_branch .LBB45_748
.LBB45_1107:                            ;   in Loop: Header=BB45_3 Depth=1
	ds_load_b64 v[42:43], v69 offset:25504
	ds_load_b64 v[44:45], v55 offset:24968
	s_wait_dscnt 0x0
	v_fmac_f64_e32 v[0:1], v[42:43], v[44:45]
	s_or_b32 exec_lo, exec_lo, s51
	s_and_saveexec_b32 s51, s13
	s_cbranch_execz .LBB45_836
.LBB45_1108:                            ;   in Loop: Header=BB45_3 Depth=1
	ds_load_b64 v[42:43], v68 offset:26016
	ds_load_b64 v[44:45], v55 offset:24976
	s_wait_dscnt 0x0
	v_fmac_f64_e32 v[0:1], v[42:43], v[44:45]
	s_or_b32 exec_lo, exec_lo, s51
	s_and_saveexec_b32 s51, s0
	s_cbranch_execnz .LBB45_837
	s_branch .LBB45_838
.LBB45_1109:                            ;   in Loop: Header=BB45_3 Depth=1
	ds_load_b64 v[42:43], v73 offset:25536
	ds_load_b64 v[44:45], v58 offset:24968
	s_wait_dscnt 0x0
	v_fmac_f64_e32 v[0:1], v[42:43], v[44:45]
	s_or_b32 exec_lo, exec_lo, s51
	s_and_saveexec_b32 s51, s15
	s_cbranch_execz .LBB45_878
.LBB45_1110:                            ;   in Loop: Header=BB45_3 Depth=1
	ds_load_b64 v[42:43], v73 offset:26048
	ds_load_b64 v[44:45], v58 offset:24976
	s_wait_dscnt 0x0
	v_fmac_f64_e32 v[0:1], v[42:43], v[44:45]
	s_or_b32 exec_lo, exec_lo, s51
	s_and_saveexec_b32 s51, s16
	s_cbranch_execz .LBB45_879
.LBB45_1111:                            ;   in Loop: Header=BB45_3 Depth=1
	ds_load_b64 v[42:43], v73 offset:26560
	ds_load_b64 v[44:45], v58 offset:24984
	s_wait_dscnt 0x0
	v_fmac_f64_e32 v[0:1], v[42:43], v[44:45]
	s_or_b32 exec_lo, exec_lo, s51
	s_and_saveexec_b32 s51, s17
	s_cbranch_execz .LBB45_880
.LBB45_1112:                            ;   in Loop: Header=BB45_3 Depth=1
	ds_load_b64 v[42:43], v72 offset:27072
	ds_load_b64 v[44:45], v58 offset:24992
	s_wait_dscnt 0x0
	v_fmac_f64_e32 v[0:1], v[42:43], v[44:45]
	s_or_b32 exec_lo, exec_lo, s51
	s_and_saveexec_b32 s51, s18
	s_cbranch_execz .LBB45_881
.LBB45_1113:                            ;   in Loop: Header=BB45_3 Depth=1
	ds_load_b64 v[42:43], v73 offset:27584
	ds_load_b64 v[44:45], v58 offset:25000
	s_wait_dscnt 0x0
	v_fmac_f64_e32 v[0:1], v[42:43], v[44:45]
	s_or_b32 exec_lo, exec_lo, s51
	s_and_saveexec_b32 s51, s2
	s_cbranch_execz .LBB45_882
.LBB45_1114:                            ;   in Loop: Header=BB45_3 Depth=1
	ds_load_b64 v[42:43], v72 offset:28096
	ds_load_b64 v[44:45], v58 offset:25008
	s_wait_dscnt 0x0
	v_fmac_f64_e32 v[0:1], v[42:43], v[44:45]
	s_or_b32 exec_lo, exec_lo, s51
	s_and_saveexec_b32 s51, s13
	s_cbranch_execnz .LBB45_883
	s_branch .LBB45_884
.LBB45_1115:                            ;   in Loop: Header=BB45_3 Depth=1
	ds_load_b64 v[42:43], v69 offset:29664
	ds_load_b64 v[44:45], v55 offset:29128
	s_wait_dscnt 0x0
	v_fmac_f64_e32 v[0:1], v[42:43], v[44:45]
	s_or_b32 exec_lo, exec_lo, s51
	s_and_saveexec_b32 s51, s13
	s_cbranch_execz .LBB45_940
.LBB45_1116:                            ;   in Loop: Header=BB45_3 Depth=1
	ds_load_b64 v[42:43], v68 offset:30176
	ds_load_b64 v[44:45], v55 offset:29136
	s_wait_dscnt 0x0
	v_fmac_f64_e32 v[0:1], v[42:43], v[44:45]
	s_or_b32 exec_lo, exec_lo, s51
	s_and_saveexec_b32 s51, s0
	s_cbranch_execnz .LBB45_941
	s_branch .LBB45_942
.LBB45_1117:
	s_endpgm
	.section	.rodata,"a",@progbits
	.p2align	6, 0x0
	.amdhsa_kernel _ZL19rocblas_trsv_deviceILi64ELi16ELb1ELb1ELb1ELb1EddPKdPdEviT7_lllT6_T8_lllPii
		.amdhsa_group_segment_fixed_size 41480
		.amdhsa_private_segment_fixed_size 0
		.amdhsa_kernarg_size 352
		.amdhsa_user_sgpr_count 2
		.amdhsa_user_sgpr_dispatch_ptr 0
		.amdhsa_user_sgpr_queue_ptr 0
		.amdhsa_user_sgpr_kernarg_segment_ptr 1
		.amdhsa_user_sgpr_dispatch_id 0
		.amdhsa_user_sgpr_kernarg_preload_length 0
		.amdhsa_user_sgpr_kernarg_preload_offset 0
		.amdhsa_user_sgpr_private_segment_size 0
		.amdhsa_wavefront_size32 1
		.amdhsa_uses_dynamic_stack 0
		.amdhsa_enable_private_segment 0
		.amdhsa_system_sgpr_workgroup_id_x 1
		.amdhsa_system_sgpr_workgroup_id_y 0
		.amdhsa_system_sgpr_workgroup_id_z 1
		.amdhsa_system_sgpr_workgroup_info 0
		.amdhsa_system_vgpr_workitem_id 1
		.amdhsa_next_free_vgpr 103
		.amdhsa_next_free_sgpr 105
		.amdhsa_named_barrier_count 0
		.amdhsa_reserve_vcc 1
		.amdhsa_float_round_mode_32 0
		.amdhsa_float_round_mode_16_64 0
		.amdhsa_float_denorm_mode_32 3
		.amdhsa_float_denorm_mode_16_64 3
		.amdhsa_fp16_overflow 0
		.amdhsa_memory_ordered 1
		.amdhsa_forward_progress 1
		.amdhsa_inst_pref_size 241
		.amdhsa_round_robin_scheduling 0
		.amdhsa_exception_fp_ieee_invalid_op 0
		.amdhsa_exception_fp_denorm_src 0
		.amdhsa_exception_fp_ieee_div_zero 0
		.amdhsa_exception_fp_ieee_overflow 0
		.amdhsa_exception_fp_ieee_underflow 0
		.amdhsa_exception_fp_ieee_inexact 0
		.amdhsa_exception_int_div_zero 0
	.end_amdhsa_kernel
	.section	.text._ZL19rocblas_trsv_deviceILi64ELi16ELb1ELb1ELb1ELb1EddPKdPdEviT7_lllT6_T8_lllPii,"axG",@progbits,_ZL19rocblas_trsv_deviceILi64ELi16ELb1ELb1ELb1ELb1EddPKdPdEviT7_lllT6_T8_lllPii,comdat
.Lfunc_end45:
	.size	_ZL19rocblas_trsv_deviceILi64ELi16ELb1ELb1ELb1ELb1EddPKdPdEviT7_lllT6_T8_lllPii, .Lfunc_end45-_ZL19rocblas_trsv_deviceILi64ELi16ELb1ELb1ELb1ELb1EddPKdPdEviT7_lllT6_T8_lllPii
                                        ; -- End function
	.set _ZL19rocblas_trsv_deviceILi64ELi16ELb1ELb1ELb1ELb1EddPKdPdEviT7_lllT6_T8_lllPii.num_vgpr, 103
	.set _ZL19rocblas_trsv_deviceILi64ELi16ELb1ELb1ELb1ELb1EddPKdPdEviT7_lllT6_T8_lllPii.num_agpr, 0
	.set _ZL19rocblas_trsv_deviceILi64ELi16ELb1ELb1ELb1ELb1EddPKdPdEviT7_lllT6_T8_lllPii.numbered_sgpr, 105
	.set _ZL19rocblas_trsv_deviceILi64ELi16ELb1ELb1ELb1ELb1EddPKdPdEviT7_lllT6_T8_lllPii.num_named_barrier, 0
	.set _ZL19rocblas_trsv_deviceILi64ELi16ELb1ELb1ELb1ELb1EddPKdPdEviT7_lllT6_T8_lllPii.private_seg_size, 0
	.set _ZL19rocblas_trsv_deviceILi64ELi16ELb1ELb1ELb1ELb1EddPKdPdEviT7_lllT6_T8_lllPii.uses_vcc, 1
	.set _ZL19rocblas_trsv_deviceILi64ELi16ELb1ELb1ELb1ELb1EddPKdPdEviT7_lllT6_T8_lllPii.uses_flat_scratch, 0
	.set _ZL19rocblas_trsv_deviceILi64ELi16ELb1ELb1ELb1ELb1EddPKdPdEviT7_lllT6_T8_lllPii.has_dyn_sized_stack, 0
	.set _ZL19rocblas_trsv_deviceILi64ELi16ELb1ELb1ELb1ELb1EddPKdPdEviT7_lllT6_T8_lllPii.has_recursion, 0
	.set _ZL19rocblas_trsv_deviceILi64ELi16ELb1ELb1ELb1ELb1EddPKdPdEviT7_lllT6_T8_lllPii.has_indirect_call, 0
	.section	.AMDGPU.csdata,"",@progbits
; Kernel info:
; codeLenInByte = 30800
; TotalNumSgprs: 107
; NumVgprs: 103
; ScratchSize: 0
; MemoryBound: 0
; FloatMode: 240
; IeeeMode: 1
; LDSByteSize: 41480 bytes/workgroup (compile time only)
; SGPRBlocks: 0
; VGPRBlocks: 6
; NumSGPRsForWavesPerEU: 107
; NumVGPRsForWavesPerEU: 103
; NamedBarCnt: 0
; Occupancy: 9
; WaveLimiterHint : 0
; COMPUTE_PGM_RSRC2:SCRATCH_EN: 0
; COMPUTE_PGM_RSRC2:USER_SGPR: 2
; COMPUTE_PGM_RSRC2:TRAP_HANDLER: 0
; COMPUTE_PGM_RSRC2:TGID_X_EN: 1
; COMPUTE_PGM_RSRC2:TGID_Y_EN: 0
; COMPUTE_PGM_RSRC2:TGID_Z_EN: 1
; COMPUTE_PGM_RSRC2:TIDIG_COMP_CNT: 1
	.section	.text._ZL19rocblas_trsv_deviceILi64ELi16ELb1ELb0ELb0ELb0EddPKdPdEviT7_lllT6_T8_lllPii,"axG",@progbits,_ZL19rocblas_trsv_deviceILi64ELi16ELb1ELb0ELb0ELb0EddPKdPdEviT7_lllT6_T8_lllPii,comdat
	.globl	_ZL19rocblas_trsv_deviceILi64ELi16ELb1ELb0ELb0ELb0EddPKdPdEviT7_lllT6_T8_lllPii ; -- Begin function _ZL19rocblas_trsv_deviceILi64ELi16ELb1ELb0ELb0ELb0EddPKdPdEviT7_lllT6_T8_lllPii
	.p2align	8
	.type	_ZL19rocblas_trsv_deviceILi64ELi16ELb1ELb0ELb0ELb0EddPKdPdEviT7_lllT6_T8_lllPii,@function
_ZL19rocblas_trsv_deviceILi64ELi16ELb1ELb0ELb0ELb0EddPKdPdEviT7_lllT6_T8_lllPii: ; @_ZL19rocblas_trsv_deviceILi64ELi16ELb1ELb0ELb0ELb0EddPKdPdEviT7_lllT6_T8_lllPii
; %bb.0:
	s_load_b32 s98, s[0:1], 0x58
	s_bfe_u32 s2, ttmp6, 0x40014
	s_lshr_b32 s3, ttmp7, 16
	s_add_co_i32 s2, s2, 1
	s_bfe_u32 s5, ttmp6, 0x40008
	s_mul_i32 s4, s3, s2
	s_getreg_b32 s2, hwreg(HW_REG_IB_STS2, 6, 4)
	s_add_co_i32 s5, s5, s4
	s_cmp_eq_u32 s2, 0
	s_mov_b32 s89, 0
	s_cselect_b32 s88, s3, s5
	s_wait_kmcnt 0x0
	s_cmp_ge_u32 s88, s98
	s_cbranch_scc1 .LBB46_1087
; %bb.1:
	s_clause 0x2
	s_load_b512 s[68:83], s[0:1], 0x8
	s_load_b32 s3, s[0:1], 0x6c
	s_load_b32 s99, s[0:1], 0x0
	s_bfe_u32 s5, ttmp6, 0x4000c
	s_and_b32 s4, ttmp6, 15
	s_add_co_i32 s5, s5, 1
	s_load_b128 s[84:87], s[0:1], 0x48
	s_wait_xcnt 0x0
	s_mul_i32 s0, ttmp9, s5
	v_bfe_u32 v42, v0, 10, 10
	s_add_co_i32 s6, s4, s0
                                        ; implicit-def: $vgpr84 : SGPR spill to VGPR lane
	v_mov_b32_e32 v1, 0
	v_and_b32_e32 v2, 0x3ff, v0
                                        ; implicit-def: $vgpr83 : SGPR spill to VGPR lane
                                        ; implicit-def: $vgpr82 : SGPR spill to VGPR lane
	v_mov_b64_e32 v[24:25], 0
	v_dual_lshlrev_b32 v10, 6, v42 :: v_dual_add_nc_u32 v36, 16, v42
	s_delay_alu instid0(VALU_DEP_4) | instskip(SKIP_2) | instid1(VALU_DEP_4)
	v_dual_add_nc_u32 v37, 32, v42 :: v_dual_mov_b32 v5, v1
	v_mov_b32_e32 v3, v1
	v_lshl_add_u32 v69, v42, 3, 0xa000
                                        ; implicit-def: $vgpr26_vgpr27
                                        ; implicit-def: $vgpr28_vgpr29
                                        ; implicit-def: $vgpr30_vgpr31
                                        ; implicit-def: $vgpr32_vgpr33
	v_add_nc_u32_e32 v35, v10, v2
	s_wait_kmcnt 0x0
	s_lshl_b64 s[0:1], s[70:71], 3
	s_lshl_b64 s[4:5], s[80:81], 3
	s_cmp_eq_u32 s2, 0
	s_add_nc_u64 s[0:1], s[68:69], s[0:1]
	s_cselect_b32 s100, ttmp9, s6
	s_add_co_i32 s2, s99, -1
	s_and_b32 s6, s3, 0xffff
	s_ashr_i32 s3, s99, 31
	s_ashr_i32 s7, s2, 31
	s_lshr_b32 s3, s3, 26
	s_lshr_b32 s7, s7, 26
	s_add_co_i32 s3, s99, s3
	s_add_co_i32 s2, s2, s7
	s_and_not1_b32 s3, s3, 63
	s_ashr_i32 s2, s2, 6
	s_sub_co_i32 s9, s99, s3
	v_writelane_b32 v84, s0, 0
	s_cmp_eq_u32 s2, s100
	s_add_nc_u64 s[2:3], s[72:73], 1
	s_cselect_b32 s7, -1, 0
	s_cmp_lg_u32 s9, 0
	v_writelane_b32 v84, s1, 1
	s_cselect_b32 s0, -1, 0
	s_lshl_b32 s10, s100, 6
	s_delay_alu instid0(SALU_CYCLE_1) | instskip(SKIP_3) | instid1(VALU_DEP_4)
	v_dual_add_nc_u32 v6, s10, v2 :: v_dual_bitop2_b32 v11, v10, v2 bitop3:0x14
	v_add_nc_u32_e32 v12, s10, v42
	v_mad_nc_u64_u32 v[18:19], s2, s10, v[2:3]
	v_and_b32_e32 v3, v10, v2
	v_lshrrev_b16 v11, 1, v11
	s_add_nc_u64 s[4:5], s[78:79], s[4:5]
	v_sub_co_u32 v43, s1, s100, 1
	v_writelane_b32 v84, s4, 2
	s_delay_alu instid0(VALU_DEP_3)
	v_add_nc_u16 v3, v3, v11
	v_and_b32_e32 v11, 1, v0
	v_subrev_nc_u32_e32 v14, 64, v12
	s_xor_b32 s1, s1, -1
	v_writelane_b32 v84, s5, 3
	s_ashr_i32 s11, s10, 31
	v_ashrrev_i32_e32 v7, 31, v6
	v_dual_ashrrev_i32 v15, 31, v14 :: v_dual_lshrrev_b32 v13, 10, v0
	v_writelane_b32 v84, s1, 4
	s_mul_i32 s1, s3, s10
	s_mul_i32 s2, s2, s11
	s_delay_alu instid0(VALU_DEP_2)
	v_mul_u64_e32 v[8:9], s[72:73], v[14:15]
	v_add3_u32 v19, s2, s1, v19
	v_and_b32_e32 v10, 0xffff, v3
	v_lshlrev_b32_e32 v15, 3, v11
	v_cmp_eq_u32_e64 s2, 1, v11
	v_dual_lshrrev_b32 v11, 2, v35 :: v_dual_lshlrev_b32 v46, 3, v2
	s_and_b32 s15, s0, s7
	v_bitop3_b32 v34, v0, v13, 0x3ff bitop3:0xa8
	s_xor_b32 s102, s15, -1
	v_lshl_add_u32 v3, v10, 3, 0x8000
	v_lshl_or_b32 v44, v10, 9, v15
	v_mul_u32_u24_e32 v45, 0x208, v10
	v_dual_lshlrev_b32 v10, 3, v11 :: v_dual_bitop2_b32 v13, 3, v0 bitop3:0x40
	v_mul_u32_u24_e32 v47, 0x208, v11
	s_cmp_gt_i32 s100, 4
	v_mad_u32_u24 v4, v42, s6, v2
	s_cselect_b32 s1, -1, 0
	v_add_nc_u32_e32 v48, 0x8000, v10
	s_and_b32 s103, s1, s102
	v_cmp_gt_u32_e64 s1, 4, v35
	v_dual_lshlrev_b32 v49, 3, v13 :: v_dual_sub_nc_u32 v10, v47, v10
	s_xor_b32 s3, s2, -1
	v_cmp_ne_u32_e64 s4, 0, v13
	s_and_b32 s104, s3, s1
	s_and_b32 vcc_hi, s2, s1
	v_cmp_gt_u32_e64 s2, 16, v35
	v_cmp_eq_u32_e64 s3, 0, v13
	v_cmp_eq_u32_e64 s5, 1, v13
	v_dual_add_nc_u32 v51, v10, v49 :: v_dual_lshrrev_b32 v10, 3, v35
	v_lshl_or_b32 v50, v11, 9, v49
	s_and_b32 s36, s3, s2
	s_and_b32 s37, s4, s2
	;; [unrolled: 1-line block ×3, first 2 shown]
	v_cmp_lt_u32_e64 s3, 1, v13
	v_cmp_eq_u32_e64 s4, 2, v13
	v_cmp_eq_u32_e64 s5, 3, v13
	v_and_b32_e32 v13, 0x1fff8, v35
	v_mul_u32_u24_e32 v52, 0x208, v10
	v_and_b32_e32 v11, 7, v0
	s_and_b32 s39, s3, s2
	s_and_b32 s40, s4, s2
	v_cmp_gt_u32_e64 s3, 64, v35
	v_sub_nc_u32_e32 v15, v52, v13
	v_cmp_eq_u32_e64 s4, 0, v11
	s_and_b32 s41, s5, s2
	v_cmp_ne_u32_e64 s5, 0, v11
	v_cmp_lt_u32_e64 s6, 1, v11
	v_cmp_eq_u32_e64 s7, 2, v11
	s_and_b32 s42, s4, s3
	v_cmp_eq_u32_e64 s4, 1, v11
	v_cmp_lt_u32_e64 s8, 2, v11
	s_and_b32 s43, s5, s3
	s_and_b32 s45, s6, s3
	v_cmp_lt_u32_e64 s5, 3, v11
	s_and_b32 s44, s4, s3
	v_cmp_eq_u32_e64 s4, 3, v11
	v_cmp_eq_u32_e64 s6, 4, v11
	v_lshlrev_b32_e32 v53, 3, v11
	s_and_b32 s46, s7, s3
	s_and_b32 s47, s8, s3
	v_cmp_lt_u32_e64 s7, 4, v11
	v_cmp_eq_u32_e64 s8, 5, v11
	s_and_b32 s48, s4, s3
	s_and_b32 s49, s5, s3
	;; [unrolled: 1-line block ×3, first 2 shown]
	v_cmp_lt_u32_e64 s4, 5, v11
	v_cmp_eq_u32_e64 s5, 6, v11
	v_cmp_eq_u32_e64 s6, 7, v11
	v_and_b32_e32 v11, 15, v0
	s_and_b32 s51, s7, s3
	s_and_b32 s53, s4, s3
	;; [unrolled: 1-line block ×3, first 2 shown]
	v_cmp_gt_u32_e64 s4, 0x100, v35
	v_cmp_eq_u32_e64 s5, 0, v11
	s_and_b32 s55, s6, s3
	v_cmp_ne_u32_e64 s6, 0, v11
	v_cmp_eq_u32_e64 s7, 1, v11
	s_and_b32 s52, s8, s3
	s_and_b32 s5, s5, s4
	v_cmp_lt_u32_e64 s8, 1, v11
	v_writelane_b32 v84, s5, 5
	v_cmp_eq_u32_e64 s5, 2, v11
	s_and_b32 s6, s6, s4
	v_lshl_or_b32 v55, v10, 9, v53
	v_dual_add_nc_u32 v56, v15, v53 :: v_dual_lshrrev_b32 v10, 4, v35
	v_writelane_b32 v84, s6, 6
	s_and_b32 s66, s5, s4
	v_cmp_eq_u32_e64 s5, 3, v11
	s_and_b32 s6, s7, s4
	v_cmp_lt_u32_e64 s7, 3, v11
	v_writelane_b32 v84, s6, 7
	s_and_b32 s6, s8, s4
	s_and_b32 s68, s5, s4
	v_cmp_eq_u32_e64 s5, 5, v11
	v_cmp_eq_u32_e64 s8, 4, v11
	v_writelane_b32 v84, s6, 8
	v_cmp_lt_u32_e64 s6, 2, v11
	s_and_b32 s12, s7, s4
	s_and_b32 s25, s5, s4
	v_cmp_eq_u32_e64 s5, 7, v11
	s_and_b32 s13, s8, s4
	s_and_b32 s67, s6, s4
	v_cmp_lt_u32_e64 s6, 4, v11
	v_cmp_eq_u32_e64 s7, 6, v11
	s_and_b32 s34, s5, s4
	v_cmp_eq_u32_e64 s5, 8, v11
	v_cmp_lt_u32_e64 s8, 6, v11
	s_and_b32 s23, s6, s4
	v_cmp_lt_u32_e64 s6, 5, v11
	s_and_b32 s29, s7, s4
	s_and_b32 s62, s5, s4
	v_cmp_eq_u32_e64 s5, 10, v11
	s_and_b32 s31, s8, s4
	s_and_b32 s27, s6, s4
	v_cmp_lt_u32_e64 s6, 7, v11
	v_cmp_lt_u32_e64 s7, 8, v11
	s_and_b32 s26, s5, s4
	v_cmp_eq_u32_e64 s5, 12, v11
	v_cmp_eq_u32_e64 s8, 9, v11
	s_and_b32 s61, s6, s4
	v_cmp_lt_u32_e64 s6, 9, v11
	s_and_b32 s63, s7, s4
	s_and_b32 s70, s5, s4
	v_cmp_eq_u32_e64 s5, 13, v11
	s_and_b32 s64, s8, s4
	s_and_b32 s24, s6, s4
	v_cmp_lt_u32_e64 s6, 10, v11
	v_cmp_eq_u32_e64 s7, 11, v11
	v_cmp_lt_u32_e64 s8, 11, v11
	s_and_b32 s78, s5, s4
	v_cmp_eq_u32_e64 s5, 15, v11
	v_cmp_le_i32_e64 s14, s9, v2
	v_add_nc_u32_e32 v54, 0x8000, v13
	v_dual_lshlrev_b32 v13, 3, v10 :: v_dual_lshlrev_b32 v58, 3, v11
	v_mul_u32_u24_e32 v57, 0x208, v10
	s_and_b32 s28, s6, s4
	v_cmp_lt_u32_e64 s6, 12, v11
	s_and_b32 s30, s7, s4
	s_and_b32 s33, s8, s4
	v_cmp_lt_u32_e64 s7, 13, v11
	v_cmp_eq_u32_e64 s8, 14, v11
	s_and_b32 s56, s5, s4
	v_cmp_eq_u32_e64 s5, 0, v42
	s_and_b32 s57, s14, s15
	v_cmp_gt_i32_e32 vcc_lo, s9, v2
	v_sub_nc_u32_e32 v15, v57, v13
	s_and_b32 s71, s6, s4
	s_xor_b32 s6, s57, -1
	s_and_b32 s79, s7, s4
	s_and_b32 s101, s8, s4
	;; [unrolled: 1-line block ×3, first 2 shown]
	s_cmp_gt_i32 s100, 0
	v_cmp_gt_i32_e64 s0, s99, v6
	v_lshl_or_b32 v60, v10, 9, v58
	v_dual_lshrrev_b32 v10, 5, v35 :: v_dual_add_nc_u32 v61, v15, v58
	v_and_b32_e32 v63, 31, v0
	s_cselect_b32 s65, -1, 0
	s_and_b32 s6, s5, vcc_lo
	v_subrev_nc_u32_e32 v15, 48, v12
	v_cmp_gt_i32_e32 vcc_lo, s99, v14
	v_writelane_b32 v84, s6, 9
	v_dual_lshlrev_b32 v62, 3, v10 :: v_dual_lshlrev_b32 v64, 9, v10
	v_add_nc_u64_e32 v[10:11], s[10:11], v[4:5]
	v_dual_add_nc_u32 v38, 48, v42 :: v_dual_add_nc_u32 v0, s10, v4
	v_subrev_nc_u32_e32 v21, 32, v12
	v_cmp_gt_i32_e64 s6, s99, v15
	s_and_b32 s10, s0, vcc_lo
	v_dual_add_nc_u32 v22, -16, v12 :: v_dual_bitop2_b32 v39, v36, v2 bitop3:0x54
	v_writelane_b32 v84, s10, 10
	v_cmp_gt_i32_e64 s7, s99, v21
	s_and_b32 s6, s0, s6
	v_cmp_gt_i32_e64 s8, s99, v22
	v_cmp_le_i32_e32 vcc_lo, s9, v42
	v_writelane_b32 v84, s6, 11
	s_and_b32 s6, s0, s7
	v_cmp_le_i32_e64 s7, s9, v37
	v_mul_u32_u24_e32 v67, 0x208, v63
	v_dual_lshlrev_b32 v20, 9, v63 :: v_dual_add_nc_u32 v5, v69, v46
	v_writelane_b32 v84, s6, 12
	s_and_b32 s6, s0, s8
	v_cmp_le_u32_e64 s8, v2, v42
	s_or_b32 s7, s7, s14
	v_dual_sub_nc_u32 v22, v67, v20 :: v_dual_bitop2_b32 v40, v37, v2 bitop3:0x54
	v_writelane_b32 v84, s6, 13
	s_or_b32 s6, vcc_lo, s14
	v_cmp_le_i32_e32 vcc_lo, s9, v36
	s_or_b32 s6, s6, s8
	v_cmp_le_i32_e64 s9, s9, v38
	v_writelane_b32 v84, s8, 14
	v_cmp_le_u32_e64 s8, v2, v36
	v_mul_u64_e32 v[10:11], s[82:83], v[10:11]
	v_mul_u64_e32 v[20:21], s[82:83], v[6:7]
	v_add_nc_u32_e32 v76, 0x4100, v22
	v_writelane_b32 v84, s6, 15
	s_or_b32 s6, vcc_lo, s14
	v_mul_u64_e32 v[22:23], s[82:83], v[0:1]
	s_or_b32 s6, s6, s8
	v_add_nc_u32_e32 v59, 0x8000, v13
	v_writelane_b32 v84, s8, 16
	v_cmp_ne_u32_e64 s8, v2, v37
	v_mad_nc_u64_u32 v[12:13], s72, v42, v[18:19]
	v_mad_nc_u64_u32 v[14:15], s72, v36, v[18:19]
	;; [unrolled: 1-line block ×3, first 2 shown]
	v_writelane_b32 v84, s6, 17
	v_cmp_le_u32_e64 s6, v2, v37
	v_mad_nc_u64_u32 v[18:19], s72, v38, v[18:19]
	v_or_b32_e32 v41, v38, v2
	v_cmp_lt_u32_e32 vcc_lo, 0x3ff, v35
	v_add_nc_u32_e32 v65, 0x8000, v62
	v_writelane_b32 v84, s6, 18
	s_or_b32 s6, s7, s6
	v_cmp_le_u32_e64 s7, v2, v38
	v_mad_u32 v13, s73, v42, v13
	v_mad_u32 v15, s73, v36, v15
	v_writelane_b32 v84, s6, 19
	s_or_b32 s6, s9, s14
	v_cmp_ne_u32_e64 s9, v2, v38
	s_or_b32 s6, s6, s7
	v_mad_u32 v17, s73, v37, v17
	v_writelane_b32 v84, s7, 20
	v_cmp_ne_u32_e64 s7, v2, v36
	v_mad_u32 v19, s73, v38, v19
	v_lshl_or_b32 v66, v63, 3, v64
	v_lshl_add_u32 v68, v4, 3, 0xa000
	v_writelane_b32 v84, s6, 21
	v_cmp_ne_u32_e64 s6, v2, v42
	v_lshl_add_u32 v70, v35, 3, 0x8000
	v_add_nc_u32_e32 v71, 0x8000, v46
	v_lshl_add_u32 v72, v42, 9, v46
	v_lshl_add_u32 v73, v2, 9, v46
	v_writelane_b32 v84, s6, 22
	s_or_b32 s6, s14, s6
	v_lshl_add_u32 v74, v36, 9, v46
	v_lshl_add_u32 v75, v37, 9, v46
	;; [unrolled: 1-line block ×3, first 2 shown]
	v_writelane_b32 v84, s6, 23
	s_or_b32 s6, s14, s7
	v_cmp_gt_u32_e64 s15, 2, v35
	v_cmp_gt_u32_e64 s16, 12, v35
	;; [unrolled: 1-line block ×3, first 2 shown]
	v_writelane_b32 v84, s7, 24
	v_cmp_gt_u32_e64 s18, 56, v35
	v_cmp_gt_u32_e64 s19, 48, v35
	;; [unrolled: 1-line block ×4, first 2 shown]
	v_writelane_b32 v84, s6, 25
	s_or_b32 s6, s14, s8
	v_cmp_gt_u32_e64 s22, 24, v35
	v_cmp_gt_u32_e64 s7, 0x80, v35
	;; [unrolled: 1-line block ×3, first 2 shown]
	v_writelane_b32 v84, s8, 26
	v_cmp_gt_u32_e64 s8, 0x60, v35
	v_cmp_eq_u32_e64 s59, 0, v4
	v_cmp_gt_u32_e64 s60, 64, v4
	s_lshl_b64 s[80:81], s[72:73], 7
	v_writelane_b32 v84, s6, 27
	s_or_b32 s6, s14, s9
	v_cmp_eq_u32_e64 s14, 0, v34
	s_lshl_b64 s[90:91], s[72:73], 8
	s_mul_u64 s[92:93], s[72:73], 0x180
	v_writelane_b32 v84, s9, 28
	s_xor_b32 s9, vcc_lo, -1
	v_writelane_b32 v84, s6, 29
	v_cmp_gt_u32_e64 s6, 0xf0, v35
	s_delay_alu instid0(VALU_DEP_1) | instskip(SKIP_1) | instid1(VALU_DEP_1)
	v_writelane_b32 v84, s6, 30
	v_cmp_gt_u32_e64 s6, 0xe0, v35
	v_writelane_b32 v84, s6, 31
	v_cmp_gt_u32_e64 s6, 0xd0, v35
	s_delay_alu instid0(VALU_DEP_1) | instskip(SKIP_1) | instid1(VALU_DEP_1)
	v_writelane_b32 v83, s6, 0
	v_cmp_gt_u32_e64 s6, 0xc0, v35
	;; [unrolled: 5-line block ×16, first 2 shown]
	v_writelane_b32 v83, s6, 29
	v_cmp_ge_u32_e64 s6, v2, v42
	s_delay_alu instid0(VALU_DEP_1) | instskip(SKIP_1) | instid1(VALU_DEP_1)
	v_writelane_b32 v83, s6, 30
	v_cmp_ge_u32_e64 s6, v2, v36
	v_writelane_b32 v83, s6, 31
	v_cmp_ge_u32_e64 s6, v2, v37
	s_delay_alu instid0(VALU_DEP_1) | instskip(SKIP_1) | instid1(VALU_DEP_1)
	v_writelane_b32 v82, s6, 0
	v_cmp_ge_u32_e64 s6, v2, v38
	v_writelane_b32 v82, s6, 1
	v_cmp_gt_u32_e64 s6, 64, v34
	s_delay_alu instid0(VALU_DEP_1) | instskip(SKIP_1) | instid1(VALU_DEP_1)
	v_writelane_b32 v82, s6, 2
	v_cmp_gt_u32_e64 s6, 64, v39
	v_writelane_b32 v82, s6, 3
	v_cmp_gt_u32_e64 s6, 64, v40
	s_delay_alu instid0(VALU_DEP_1) | instskip(SKIP_1) | instid1(VALU_DEP_1)
	v_writelane_b32 v82, s6, 4
	v_cmp_gt_u32_e64 s6, 64, v41
	v_writelane_b32 v82, s6, 5
	s_branch .LBB46_3
.LBB46_2:                               ;   in Loop: Header=BB46_3 Depth=1
	s_wait_xcnt 0x0
	s_or_b32 exec_lo, exec_lo, s6
	s_add_co_i32 s88, s88, 0x10000
	global_wb scope:SCOPE_DEV
	s_wait_storecnt 0x0
	global_inv scope:SCOPE_DEV
	s_cmp_lt_u32 s88, s98
	s_cbranch_scc0 .LBB46_1087
.LBB46_3:                               ; =>This Loop Header: Depth=1
                                        ;     Child Loop BB46_540 Depth 2
                                        ;     Child Loop BB46_957 Depth 2
                                        ;       Child Loop BB46_959 Depth 3
                                        ;     Child Loop BB46_997 Depth 2
	v_readlane_b32 s94, v84, 0
	v_readlane_b32 s6, v84, 4
	;; [unrolled: 1-line block ×3, first 2 shown]
	s_mul_u64 s[10:11], s[74:75], s[88:89]
	s_delay_alu instid0(SALU_CYCLE_1)
	s_lshl_b64 s[10:11], s[10:11], 3
	s_and_not1_b32 vcc_lo, exec_lo, s6
	s_add_nc_u64 s[94:95], s[94:95], s[10:11]
	s_cbranch_vccz .LBB46_6
; %bb.4:                                ;   in Loop: Header=BB46_3 Depth=1
	s_and_not1_b32 vcc_lo, exec_lo, s102
	s_mov_b32 s6, -1
	s_cbranch_vccz .LBB46_15
.LBB46_5:                               ;   in Loop: Header=BB46_3 Depth=1
	s_and_b32 vcc_lo, exec_lo, s6
	s_cbranch_vccnz .LBB46_50
	s_branch .LBB46_85
.LBB46_6:                               ;   in Loop: Header=BB46_3 Depth=1
	v_lshl_add_u64 v[30:31], v[8:9], 3, s[94:95]
	v_mov_b64_e32 v[28:29], 0
	v_mov_b64_e32 v[26:27], 0
	s_barrier_signal -1
	s_delay_alu instid0(VALU_DEP_3) | instskip(SKIP_4) | instid1(SALU_CYCLE_1)
	v_lshl_add_u64 v[34:35], v[6:7], 3, v[30:31]
	s_barrier_wait -1
	s_mov_b32 s6, exec_lo
	v_readlane_b32 s10, v84, 10
	s_and_b32 s10, s6, s10
	s_mov_b32 exec_lo, s10
	s_cbranch_execz .LBB46_8
; %bb.7:                                ;   in Loop: Header=BB46_3 Depth=1
	global_load_b64 v[26:27], v[34:35], off
.LBB46_8:                               ;   in Loop: Header=BB46_3 Depth=1
	s_wait_xcnt 0x0
	s_or_b32 exec_lo, exec_lo, s6
	s_wait_loadcnt 0x0
	s_barrier_signal -1
	s_barrier_wait -1
	s_mov_b32 s6, exec_lo
	v_readlane_b32 s10, v84, 11
	s_and_b32 s10, s6, s10
	s_delay_alu instid0(SALU_CYCLE_1)
	s_mov_b32 exec_lo, s10
	s_cbranch_execz .LBB46_10
; %bb.9:                                ;   in Loop: Header=BB46_3 Depth=1
	v_add_nc_u64_e32 v[28:29], s[80:81], v[34:35]
	global_load_b64 v[28:29], v[28:29], off
.LBB46_10:                              ;   in Loop: Header=BB46_3 Depth=1
	s_wait_xcnt 0x0
	s_or_b32 exec_lo, exec_lo, s6
	v_mov_b64_e32 v[32:33], 0
	v_mov_b64_e32 v[30:31], 0
	s_wait_loadcnt 0x0
	s_barrier_signal -1
	s_barrier_wait -1
	s_mov_b32 s6, exec_lo
	v_readlane_b32 s10, v84, 12
	s_and_b32 s10, s6, s10
	s_delay_alu instid0(SALU_CYCLE_1)
	s_mov_b32 exec_lo, s10
	s_cbranch_execz .LBB46_12
; %bb.11:                               ;   in Loop: Header=BB46_3 Depth=1
	v_add_nc_u64_e32 v[30:31], s[90:91], v[34:35]
	global_load_b64 v[30:31], v[30:31], off
.LBB46_12:                              ;   in Loop: Header=BB46_3 Depth=1
	s_wait_xcnt 0x0
	s_or_b32 exec_lo, exec_lo, s6
	s_wait_loadcnt 0x0
	s_barrier_signal -1
	s_barrier_wait -1
	s_mov_b32 s6, exec_lo
	v_readlane_b32 s10, v84, 13
	s_and_b32 s10, s6, s10
	s_delay_alu instid0(SALU_CYCLE_1)
	s_mov_b32 exec_lo, s10
	s_cbranch_execz .LBB46_14
; %bb.13:                               ;   in Loop: Header=BB46_3 Depth=1
	v_add_nc_u64_e32 v[32:33], s[92:93], v[34:35]
	global_load_b64 v[32:33], v[32:33], off
.LBB46_14:                              ;   in Loop: Header=BB46_3 Depth=1
	s_wait_xcnt 0x0
	s_or_b32 exec_lo, exec_lo, s6
	s_delay_alu instid0(SALU_CYCLE_1)
	s_and_not1_b32 vcc_lo, exec_lo, s102
	s_mov_b32 s6, -1
	s_cbranch_vccnz .LBB46_5
.LBB46_15:                              ;   in Loop: Header=BB46_3 Depth=1
	v_readlane_b32 s10, v84, 14
	s_mov_b32 s69, 0
                                        ; implicit-def: $vgpr34_vgpr35
	s_and_saveexec_b32 s6, s10
	s_delay_alu instid0(SALU_CYCLE_1)
	s_xor_b32 s10, exec_lo, s6
	s_cbranch_execnz .LBB46_1018
; %bb.16:                               ;   in Loop: Header=BB46_3 Depth=1
	s_and_not1_saveexec_b32 s10, s10
	s_cbranch_execnz .LBB46_1023
.LBB46_17:                              ;   in Loop: Header=BB46_3 Depth=1
	s_or_b32 exec_lo, exec_lo, s10
	s_and_saveexec_b32 s6, s69
.LBB46_18:                              ;   in Loop: Header=BB46_3 Depth=1
	ds_store_b64 v72, v[34:35]
.LBB46_19:                              ;   in Loop: Header=BB46_3 Depth=1
	s_or_b32 exec_lo, exec_lo, s6
	v_readlane_b32 s10, v84, 16
	s_and_saveexec_b32 s6, s10
	s_delay_alu instid0(SALU_CYCLE_1)
	s_xor_b32 s10, exec_lo, s6
	s_cbranch_execz .LBB46_27
; %bb.20:                               ;   in Loop: Header=BB46_3 Depth=1
	v_readlane_b32 s11, v84, 24
	s_and_saveexec_b32 s6, s11
	s_delay_alu instid0(SALU_CYCLE_1)
	s_xor_b32 s11, exec_lo, s6
	s_cbranch_execz .LBB46_24
; %bb.21:                               ;   in Loop: Header=BB46_3 Depth=1
	s_mov_b32 s6, exec_lo
	v_readlane_b32 s69, v82, 3
	s_and_b32 s69, s6, s69
	s_delay_alu instid0(SALU_CYCLE_1)
	s_mov_b32 exec_lo, s69
; %bb.22:                               ;   in Loop: Header=BB46_3 Depth=1
	ds_store_b64 v74, v[24:25]
; %bb.23:                               ;   in Loop: Header=BB46_3 Depth=1
	s_or_b32 exec_lo, exec_lo, s6
.LBB46_24:                              ;   in Loop: Header=BB46_3 Depth=1
	s_and_not1_saveexec_b32 s11, s11
	s_cbranch_execz .LBB46_26
; %bb.25:                               ;   in Loop: Header=BB46_3 Depth=1
	v_lshl_add_u64 v[34:35], v[14:15], 3, s[94:95]
	global_load_b64 v[34:35], v[34:35], off
	s_wait_loadcnt 0x0
	v_div_scale_f64 v[36:37], null, v[34:35], v[34:35], 1.0
	s_delay_alu instid0(VALU_DEP_1) | instskip(SKIP_1) | instid1(TRANS32_DEP_1)
	v_rcp_f64_e32 v[38:39], v[36:37]
	v_nop
	v_fma_f64 v[40:41], -v[36:37], v[38:39], 1.0
	s_delay_alu instid0(VALU_DEP_1) | instskip(NEXT) | instid1(VALU_DEP_1)
	v_fmac_f64_e32 v[38:39], v[38:39], v[40:41]
	v_fma_f64 v[40:41], -v[36:37], v[38:39], 1.0
	s_delay_alu instid0(VALU_DEP_1) | instskip(SKIP_1) | instid1(VALU_DEP_1)
	v_fmac_f64_e32 v[38:39], v[38:39], v[40:41]
	v_div_scale_f64 v[40:41], vcc_lo, 1.0, v[34:35], 1.0
	v_mul_f64_e32 v[78:79], v[40:41], v[38:39]
	s_delay_alu instid0(VALU_DEP_1) | instskip(NEXT) | instid1(VALU_DEP_1)
	v_fma_f64 v[36:37], -v[36:37], v[78:79], v[40:41]
	v_div_fmas_f64 v[36:37], v[36:37], v[38:39], v[78:79]
	s_delay_alu instid0(VALU_DEP_1)
	v_div_fixup_f64 v[34:35], v[36:37], v[34:35], 1.0
	ds_store_b64 v74, v[34:35]
.LBB46_26:                              ;   in Loop: Header=BB46_3 Depth=1
	s_or_b32 exec_lo, exec_lo, s11
.LBB46_27:                              ;   in Loop: Header=BB46_3 Depth=1
	s_and_not1_saveexec_b32 s10, s10
	s_cbranch_execz .LBB46_29
; %bb.28:                               ;   in Loop: Header=BB46_3 Depth=1
	v_lshl_add_u64 v[34:35], v[14:15], 3, s[94:95]
	global_load_b64 v[34:35], v[34:35], off
	s_wait_loadcnt 0x0
	v_xor_b32_e32 v35, 0x80000000, v35
	ds_store_b64 v74, v[34:35]
.LBB46_29:                              ;   in Loop: Header=BB46_3 Depth=1
	s_or_b32 exec_lo, exec_lo, s10
	v_readlane_b32 s10, v84, 18
	s_and_saveexec_b32 s6, s10
	s_delay_alu instid0(SALU_CYCLE_1)
	s_xor_b32 s10, exec_lo, s6
	s_cbranch_execz .LBB46_37
; %bb.30:                               ;   in Loop: Header=BB46_3 Depth=1
	v_readlane_b32 s11, v84, 26
	s_and_saveexec_b32 s6, s11
	s_delay_alu instid0(SALU_CYCLE_1)
	s_xor_b32 s11, exec_lo, s6
	s_cbranch_execz .LBB46_34
; %bb.31:                               ;   in Loop: Header=BB46_3 Depth=1
	s_mov_b32 s6, exec_lo
	v_readlane_b32 s69, v82, 4
	s_and_b32 s69, s6, s69
	s_delay_alu instid0(SALU_CYCLE_1)
	s_mov_b32 exec_lo, s69
; %bb.32:                               ;   in Loop: Header=BB46_3 Depth=1
	ds_store_b64 v75, v[24:25]
; %bb.33:                               ;   in Loop: Header=BB46_3 Depth=1
	s_or_b32 exec_lo, exec_lo, s6
.LBB46_34:                              ;   in Loop: Header=BB46_3 Depth=1
	s_and_not1_saveexec_b32 s11, s11
	s_cbranch_execz .LBB46_36
; %bb.35:                               ;   in Loop: Header=BB46_3 Depth=1
	v_lshl_add_u64 v[34:35], v[16:17], 3, s[94:95]
	global_load_b64 v[34:35], v[34:35], off
	s_wait_loadcnt 0x0
	v_div_scale_f64 v[36:37], null, v[34:35], v[34:35], 1.0
	s_delay_alu instid0(VALU_DEP_1) | instskip(SKIP_1) | instid1(TRANS32_DEP_1)
	v_rcp_f64_e32 v[38:39], v[36:37]
	v_nop
	v_fma_f64 v[40:41], -v[36:37], v[38:39], 1.0
	s_delay_alu instid0(VALU_DEP_1) | instskip(NEXT) | instid1(VALU_DEP_1)
	v_fmac_f64_e32 v[38:39], v[38:39], v[40:41]
	v_fma_f64 v[40:41], -v[36:37], v[38:39], 1.0
	s_delay_alu instid0(VALU_DEP_1) | instskip(SKIP_1) | instid1(VALU_DEP_1)
	v_fmac_f64_e32 v[38:39], v[38:39], v[40:41]
	v_div_scale_f64 v[40:41], vcc_lo, 1.0, v[34:35], 1.0
	v_mul_f64_e32 v[78:79], v[40:41], v[38:39]
	s_delay_alu instid0(VALU_DEP_1) | instskip(NEXT) | instid1(VALU_DEP_1)
	v_fma_f64 v[36:37], -v[36:37], v[78:79], v[40:41]
	v_div_fmas_f64 v[36:37], v[36:37], v[38:39], v[78:79]
	s_delay_alu instid0(VALU_DEP_1)
	v_div_fixup_f64 v[34:35], v[36:37], v[34:35], 1.0
	ds_store_b64 v75, v[34:35]
.LBB46_36:                              ;   in Loop: Header=BB46_3 Depth=1
	s_or_b32 exec_lo, exec_lo, s11
.LBB46_37:                              ;   in Loop: Header=BB46_3 Depth=1
	s_and_not1_saveexec_b32 s10, s10
	s_cbranch_execz .LBB46_39
; %bb.38:                               ;   in Loop: Header=BB46_3 Depth=1
	v_lshl_add_u64 v[34:35], v[16:17], 3, s[94:95]
	global_load_b64 v[34:35], v[34:35], off
	s_wait_loadcnt 0x0
	v_xor_b32_e32 v35, 0x80000000, v35
	ds_store_b64 v75, v[34:35]
.LBB46_39:                              ;   in Loop: Header=BB46_3 Depth=1
	;; [unrolled: 59-line block ×3, first 2 shown]
	s_or_b32 exec_lo, exec_lo, s10
	s_branch .LBB46_85
.LBB46_50:                              ;   in Loop: Header=BB46_3 Depth=1
	v_readlane_b32 s10, v84, 15
	s_mov_b32 s69, 0
                                        ; implicit-def: $vgpr34_vgpr35
	s_and_saveexec_b32 s6, s10
	s_delay_alu instid0(SALU_CYCLE_1)
	s_xor_b32 s10, exec_lo, s6
	s_cbranch_execnz .LBB46_1024
; %bb.51:                               ;   in Loop: Header=BB46_3 Depth=1
	s_and_not1_saveexec_b32 s10, s10
	s_cbranch_execnz .LBB46_1029
.LBB46_52:                              ;   in Loop: Header=BB46_3 Depth=1
	s_or_b32 exec_lo, exec_lo, s10
	s_and_saveexec_b32 s6, s69
.LBB46_53:                              ;   in Loop: Header=BB46_3 Depth=1
	ds_store_b64 v72, v[34:35]
.LBB46_54:                              ;   in Loop: Header=BB46_3 Depth=1
	s_or_b32 exec_lo, exec_lo, s6
	v_readlane_b32 s10, v84, 17
	s_and_saveexec_b32 s6, s10
	s_delay_alu instid0(SALU_CYCLE_1)
	s_xor_b32 s10, exec_lo, s6
	s_cbranch_execz .LBB46_62
; %bb.55:                               ;   in Loop: Header=BB46_3 Depth=1
	v_readlane_b32 s11, v84, 25
	s_and_saveexec_b32 s6, s11
	s_delay_alu instid0(SALU_CYCLE_1)
	s_xor_b32 s11, exec_lo, s6
	s_cbranch_execz .LBB46_59
; %bb.56:                               ;   in Loop: Header=BB46_3 Depth=1
	s_mov_b32 s6, exec_lo
	v_readlane_b32 s69, v82, 3
	s_and_b32 s69, s6, s69
	s_delay_alu instid0(SALU_CYCLE_1)
	s_mov_b32 exec_lo, s69
; %bb.57:                               ;   in Loop: Header=BB46_3 Depth=1
	ds_store_b64 v74, v[24:25]
; %bb.58:                               ;   in Loop: Header=BB46_3 Depth=1
	s_or_b32 exec_lo, exec_lo, s6
.LBB46_59:                              ;   in Loop: Header=BB46_3 Depth=1
	s_and_not1_saveexec_b32 s11, s11
	s_cbranch_execz .LBB46_61
; %bb.60:                               ;   in Loop: Header=BB46_3 Depth=1
	v_lshl_add_u64 v[34:35], v[14:15], 3, s[94:95]
	global_load_b64 v[34:35], v[34:35], off
	s_wait_loadcnt 0x0
	v_div_scale_f64 v[36:37], null, v[34:35], v[34:35], 1.0
	s_delay_alu instid0(VALU_DEP_1) | instskip(SKIP_1) | instid1(TRANS32_DEP_1)
	v_rcp_f64_e32 v[38:39], v[36:37]
	v_nop
	v_fma_f64 v[40:41], -v[36:37], v[38:39], 1.0
	s_delay_alu instid0(VALU_DEP_1) | instskip(NEXT) | instid1(VALU_DEP_1)
	v_fmac_f64_e32 v[38:39], v[38:39], v[40:41]
	v_fma_f64 v[40:41], -v[36:37], v[38:39], 1.0
	s_delay_alu instid0(VALU_DEP_1) | instskip(SKIP_1) | instid1(VALU_DEP_1)
	v_fmac_f64_e32 v[38:39], v[38:39], v[40:41]
	v_div_scale_f64 v[40:41], vcc_lo, 1.0, v[34:35], 1.0
	v_mul_f64_e32 v[78:79], v[40:41], v[38:39]
	s_delay_alu instid0(VALU_DEP_1) | instskip(NEXT) | instid1(VALU_DEP_1)
	v_fma_f64 v[36:37], -v[36:37], v[78:79], v[40:41]
	v_div_fmas_f64 v[36:37], v[36:37], v[38:39], v[78:79]
	s_delay_alu instid0(VALU_DEP_1)
	v_div_fixup_f64 v[34:35], v[36:37], v[34:35], 1.0
	ds_store_b64 v74, v[34:35]
.LBB46_61:                              ;   in Loop: Header=BB46_3 Depth=1
	s_or_b32 exec_lo, exec_lo, s11
.LBB46_62:                              ;   in Loop: Header=BB46_3 Depth=1
	s_and_not1_saveexec_b32 s10, s10
	s_cbranch_execz .LBB46_64
; %bb.63:                               ;   in Loop: Header=BB46_3 Depth=1
	v_lshl_add_u64 v[34:35], v[14:15], 3, s[94:95]
	global_load_b64 v[34:35], v[34:35], off
	s_wait_loadcnt 0x0
	v_xor_b32_e32 v35, 0x80000000, v35
	ds_store_b64 v74, v[34:35]
.LBB46_64:                              ;   in Loop: Header=BB46_3 Depth=1
	s_or_b32 exec_lo, exec_lo, s10
	v_readlane_b32 s10, v84, 19
	s_and_saveexec_b32 s6, s10
	s_delay_alu instid0(SALU_CYCLE_1)
	s_xor_b32 s10, exec_lo, s6
	s_cbranch_execz .LBB46_72
; %bb.65:                               ;   in Loop: Header=BB46_3 Depth=1
	v_readlane_b32 s11, v84, 27
	s_and_saveexec_b32 s6, s11
	s_delay_alu instid0(SALU_CYCLE_1)
	s_xor_b32 s11, exec_lo, s6
	s_cbranch_execz .LBB46_69
; %bb.66:                               ;   in Loop: Header=BB46_3 Depth=1
	s_mov_b32 s6, exec_lo
	v_readlane_b32 s69, v82, 4
	s_and_b32 s69, s6, s69
	s_delay_alu instid0(SALU_CYCLE_1)
	s_mov_b32 exec_lo, s69
; %bb.67:                               ;   in Loop: Header=BB46_3 Depth=1
	ds_store_b64 v75, v[24:25]
; %bb.68:                               ;   in Loop: Header=BB46_3 Depth=1
	s_or_b32 exec_lo, exec_lo, s6
.LBB46_69:                              ;   in Loop: Header=BB46_3 Depth=1
	s_and_not1_saveexec_b32 s11, s11
	s_cbranch_execz .LBB46_71
; %bb.70:                               ;   in Loop: Header=BB46_3 Depth=1
	v_lshl_add_u64 v[34:35], v[16:17], 3, s[94:95]
	global_load_b64 v[34:35], v[34:35], off
	s_wait_loadcnt 0x0
	v_div_scale_f64 v[36:37], null, v[34:35], v[34:35], 1.0
	s_delay_alu instid0(VALU_DEP_1) | instskip(SKIP_1) | instid1(TRANS32_DEP_1)
	v_rcp_f64_e32 v[38:39], v[36:37]
	v_nop
	v_fma_f64 v[40:41], -v[36:37], v[38:39], 1.0
	s_delay_alu instid0(VALU_DEP_1) | instskip(NEXT) | instid1(VALU_DEP_1)
	v_fmac_f64_e32 v[38:39], v[38:39], v[40:41]
	v_fma_f64 v[40:41], -v[36:37], v[38:39], 1.0
	s_delay_alu instid0(VALU_DEP_1) | instskip(SKIP_1) | instid1(VALU_DEP_1)
	v_fmac_f64_e32 v[38:39], v[38:39], v[40:41]
	v_div_scale_f64 v[40:41], vcc_lo, 1.0, v[34:35], 1.0
	v_mul_f64_e32 v[78:79], v[40:41], v[38:39]
	s_delay_alu instid0(VALU_DEP_1) | instskip(NEXT) | instid1(VALU_DEP_1)
	v_fma_f64 v[36:37], -v[36:37], v[78:79], v[40:41]
	v_div_fmas_f64 v[36:37], v[36:37], v[38:39], v[78:79]
	s_delay_alu instid0(VALU_DEP_1)
	v_div_fixup_f64 v[34:35], v[36:37], v[34:35], 1.0
	ds_store_b64 v75, v[34:35]
.LBB46_71:                              ;   in Loop: Header=BB46_3 Depth=1
	s_or_b32 exec_lo, exec_lo, s11
.LBB46_72:                              ;   in Loop: Header=BB46_3 Depth=1
	s_and_not1_saveexec_b32 s10, s10
	s_cbranch_execz .LBB46_74
; %bb.73:                               ;   in Loop: Header=BB46_3 Depth=1
	v_lshl_add_u64 v[34:35], v[16:17], 3, s[94:95]
	global_load_b64 v[34:35], v[34:35], off
	s_wait_loadcnt 0x0
	v_xor_b32_e32 v35, 0x80000000, v35
	ds_store_b64 v75, v[34:35]
.LBB46_74:                              ;   in Loop: Header=BB46_3 Depth=1
	;; [unrolled: 59-line block ×3, first 2 shown]
	s_or_b32 exec_lo, exec_lo, s10
.LBB46_85:                              ;   in Loop: Header=BB46_3 Depth=1
	s_delay_alu instid0(SALU_CYCLE_1)
	s_and_not1_b32 vcc_lo, exec_lo, s103
	s_wait_loadcnt_dscnt 0x0
	s_barrier_signal -1
	s_barrier_wait -1
	s_cbranch_vccnz .LBB46_951
; %bb.86:                               ;   in Loop: Header=BB46_3 Depth=1
	s_and_saveexec_b32 s10, s14
	s_cbranch_execz .LBB46_88
; %bb.87:                               ;   in Loop: Header=BB46_3 Depth=1
	ds_load_b128 v[34:37], v1
	ds_load_b64 v[38:39], v1 offset:520
	s_wait_dscnt 0x0
	v_mul_f64_e32 v[34:35], v[34:35], v[38:39]
	s_delay_alu instid0(VALU_DEP_1)
	v_mul_f64_e32 v[34:35], v[36:37], v[34:35]
	ds_store_b64 v1, v[34:35] offset:8
.LBB46_88:                              ;   in Loop: Header=BB46_3 Depth=1
	s_or_b32 exec_lo, exec_lo, s10
	v_mov_b64_e32 v[34:35], 0
	s_wait_dscnt 0x0
	s_barrier_signal -1
	s_barrier_wait -1
	s_and_saveexec_b32 s10, s1
	s_cbranch_execz .LBB46_92
; %bb.89:                               ;   in Loop: Header=BB46_3 Depth=1
	ds_load_b64 v[34:35], v44 offset:16
	ds_load_b64 v[36:37], v45
	s_wait_dscnt 0x0
	v_fma_f64 v[34:35], v[34:35], v[36:37], 0
	s_and_saveexec_b32 s6, s15
	s_cbranch_execz .LBB46_91
; %bb.90:                               ;   in Loop: Header=BB46_3 Depth=1
	ds_load_b64 v[36:37], v46 offset:528
	ds_load_b64 v[38:39], v1 offset:8
	s_wait_dscnt 0x0
	v_fmac_f64_e32 v[34:35], v[36:37], v[38:39]
.LBB46_91:                              ;   in Loop: Header=BB46_3 Depth=1
	s_or_b32 exec_lo, exec_lo, s6
	s_delay_alu instid0(VALU_DEP_1)
	v_xor_b32_e32 v35, 0x80000000, v35
.LBB46_92:                              ;   in Loop: Header=BB46_3 Depth=1
	s_or_b32 exec_lo, exec_lo, s10
	s_and_saveexec_b32 s6, s104
	s_cbranch_execz .LBB46_94
; %bb.93:                               ;   in Loop: Header=BB46_3 Depth=1
	ds_load_b64 v[36:37], v1 offset:1040
	s_wait_dscnt 0x0
	v_mul_f64_e32 v[34:35], v[34:35], v[36:37]
	ds_store_b64 v3, v[34:35]
.LBB46_94:                              ;   in Loop: Header=BB46_3 Depth=1
	s_or_b32 exec_lo, exec_lo, s6
	s_wait_dscnt 0x0
	s_barrier_signal -1
	s_barrier_wait -1
	s_and_saveexec_b32 s6, vcc_hi
	s_cbranch_execz .LBB46_96
; %bb.95:                               ;   in Loop: Header=BB46_3 Depth=1
	ds_load_b64 v[36:37], v1 offset:1048
	ds_load_b64 v[38:39], v3
	s_wait_dscnt 0x0
	v_fmac_f64_e32 v[34:35], v[36:37], v[38:39]
.LBB46_96:                              ;   in Loop: Header=BB46_3 Depth=1
	s_or_b32 exec_lo, exec_lo, s6
	s_barrier_signal -1
	s_barrier_wait -1
	s_and_saveexec_b32 s6, vcc_hi
	s_cbranch_execz .LBB46_98
; %bb.97:                               ;   in Loop: Header=BB46_3 Depth=1
	ds_load_b64 v[36:37], v1 offset:1560
	s_wait_dscnt 0x0
	v_mul_f64_e32 v[34:35], v[34:35], v[36:37]
	ds_store_b64 v3, v[34:35]
.LBB46_98:                              ;   in Loop: Header=BB46_3 Depth=1
	s_or_b32 exec_lo, exec_lo, s6
	s_wait_dscnt 0x0
	s_barrier_signal -1
	s_barrier_wait -1
	s_barrier_signal -1
	s_barrier_wait -1
	s_and_saveexec_b32 s6, s1
; %bb.99:                               ;   in Loop: Header=BB46_3 Depth=1
	s_delay_alu instid0(VALU_DEP_1)
	v_xor_b32_e32 v35, 0x80000000, v35
	ds_store_b64 v44, v[34:35] offset:16
; %bb.100:                              ;   in Loop: Header=BB46_3 Depth=1
	s_or_b32 exec_lo, exec_lo, s6
	s_wait_dscnt 0x0
	s_barrier_signal -1
	s_barrier_wait -1
	s_barrier_signal -1
	s_barrier_wait -1
	s_and_saveexec_b32 s10, s14
	s_cbranch_execz .LBB46_102
; %bb.101:                              ;   in Loop: Header=BB46_3 Depth=1
	ds_load_b128 v[34:37], v1 offset:1040
	ds_load_b64 v[38:39], v1 offset:1560
	s_wait_dscnt 0x0
	v_mul_f64_e32 v[34:35], v[34:35], v[38:39]
	s_delay_alu instid0(VALU_DEP_1)
	v_mul_f64_e32 v[34:35], v[36:37], v[34:35]
	ds_store_b64 v1, v[34:35] offset:1048
.LBB46_102:                             ;   in Loop: Header=BB46_3 Depth=1
	s_or_b32 exec_lo, exec_lo, s10
	v_mov_b64_e32 v[34:35], 0
	s_wait_dscnt 0x0
	s_barrier_signal -1
	s_barrier_wait -1
	s_and_saveexec_b32 s10, s2
	s_cbranch_execz .LBB46_108
; %bb.103:                              ;   in Loop: Header=BB46_3 Depth=1
	ds_load_b64 v[34:35], v50 offset:32
	ds_load_b64 v[36:37], v47
	s_wait_dscnt 0x0
	v_fma_f64 v[34:35], v[34:35], v[36:37], 0
	s_and_saveexec_b32 s6, s16
	s_cbranch_execnz .LBB46_1035
; %bb.104:                              ;   in Loop: Header=BB46_3 Depth=1
	s_or_b32 exec_lo, exec_lo, s6
	s_and_saveexec_b32 s6, s17
	s_cbranch_execnz .LBB46_1036
.LBB46_105:                             ;   in Loop: Header=BB46_3 Depth=1
	s_or_b32 exec_lo, exec_lo, s6
	s_and_saveexec_b32 s6, s1
	s_cbranch_execz .LBB46_107
.LBB46_106:                             ;   in Loop: Header=BB46_3 Depth=1
	ds_load_b64 v[36:37], v46 offset:1568
	ds_load_b64 v[38:39], v1 offset:24
	s_wait_dscnt 0x0
	v_fmac_f64_e32 v[34:35], v[36:37], v[38:39]
.LBB46_107:                             ;   in Loop: Header=BB46_3 Depth=1
	s_or_b32 exec_lo, exec_lo, s6
	s_delay_alu instid0(VALU_DEP_1)
	v_xor_b32_e32 v35, 0x80000000, v35
.LBB46_108:                             ;   in Loop: Header=BB46_3 Depth=1
	s_or_b32 exec_lo, exec_lo, s10
	s_and_saveexec_b32 s6, s36
	s_cbranch_execz .LBB46_110
; %bb.109:                              ;   in Loop: Header=BB46_3 Depth=1
	ds_load_b64 v[36:37], v1 offset:2080
	s_wait_dscnt 0x0
	v_mul_f64_e32 v[34:35], v[34:35], v[36:37]
	ds_store_b64 v48, v[34:35]
.LBB46_110:                             ;   in Loop: Header=BB46_3 Depth=1
	s_or_b32 exec_lo, exec_lo, s6
	s_wait_dscnt 0x0
	s_barrier_signal -1
	s_barrier_wait -1
	s_and_saveexec_b32 s6, s37
	s_cbranch_execz .LBB46_112
; %bb.111:                              ;   in Loop: Header=BB46_3 Depth=1
	ds_load_b64 v[36:37], v49 offset:2080
	ds_load_b64 v[38:39], v48
	s_wait_dscnt 0x0
	v_fmac_f64_e32 v[34:35], v[36:37], v[38:39]
.LBB46_112:                             ;   in Loop: Header=BB46_3 Depth=1
	s_or_b32 exec_lo, exec_lo, s6
	s_barrier_signal -1
	s_barrier_wait -1
	s_and_saveexec_b32 s6, s38
	s_cbranch_execz .LBB46_114
; %bb.113:                              ;   in Loop: Header=BB46_3 Depth=1
	ds_load_b64 v[36:37], v1 offset:2600
	s_wait_dscnt 0x0
	v_mul_f64_e32 v[34:35], v[34:35], v[36:37]
	ds_store_b64 v48, v[34:35]
.LBB46_114:                             ;   in Loop: Header=BB46_3 Depth=1
	s_or_b32 exec_lo, exec_lo, s6
	s_wait_dscnt 0x0
	s_barrier_signal -1
	s_barrier_wait -1
	s_and_saveexec_b32 s6, s39
	s_cbranch_execz .LBB46_116
; %bb.115:                              ;   in Loop: Header=BB46_3 Depth=1
	ds_load_b64 v[36:37], v49 offset:2592
	ds_load_b64 v[38:39], v48
	s_wait_dscnt 0x0
	v_fmac_f64_e32 v[34:35], v[36:37], v[38:39]
.LBB46_116:                             ;   in Loop: Header=BB46_3 Depth=1
	s_or_b32 exec_lo, exec_lo, s6
	s_barrier_signal -1
	s_barrier_wait -1
	;; [unrolled: 23-line block ×3, first 2 shown]
	s_and_saveexec_b32 s6, s41
	s_cbranch_execz .LBB46_122
; %bb.121:                              ;   in Loop: Header=BB46_3 Depth=1
	ds_load_b64 v[36:37], v1 offset:3640
	s_wait_dscnt 0x0
	v_mul_f64_e32 v[34:35], v[34:35], v[36:37]
	ds_store_b64 v48, v[34:35]
.LBB46_122:                             ;   in Loop: Header=BB46_3 Depth=1
	s_or_b32 exec_lo, exec_lo, s6
	s_wait_dscnt 0x0
	s_barrier_signal -1
	s_barrier_wait -1
	s_barrier_signal -1
	s_barrier_wait -1
	s_and_saveexec_b32 s6, s2
; %bb.123:                              ;   in Loop: Header=BB46_3 Depth=1
	s_delay_alu instid0(VALU_DEP_1)
	v_xor_b32_e32 v35, 0x80000000, v35
	ds_store_b64 v50, v[34:35] offset:32
; %bb.124:                              ;   in Loop: Header=BB46_3 Depth=1
	s_or_b32 exec_lo, exec_lo, s6
	s_wait_dscnt 0x0
	s_barrier_signal -1
	s_barrier_wait -1
	s_barrier_signal -1
	s_barrier_wait -1
	s_and_saveexec_b32 s10, s14
	s_cbranch_execz .LBB46_126
; %bb.125:                              ;   in Loop: Header=BB46_3 Depth=1
	ds_load_b128 v[34:37], v1 offset:2080
	ds_load_b64 v[38:39], v1 offset:2600
	s_wait_dscnt 0x0
	v_mul_f64_e32 v[34:35], v[34:35], v[38:39]
	s_delay_alu instid0(VALU_DEP_1)
	v_mul_f64_e32 v[34:35], v[36:37], v[34:35]
	ds_store_b64 v1, v[34:35] offset:2088
.LBB46_126:                             ;   in Loop: Header=BB46_3 Depth=1
	s_or_b32 exec_lo, exec_lo, s10
	v_mov_b64_e32 v[34:35], 0
	s_wait_dscnt 0x0
	s_barrier_signal -1
	s_barrier_wait -1
	s_and_saveexec_b32 s10, s1
	s_cbranch_execz .LBB46_130
; %bb.127:                              ;   in Loop: Header=BB46_3 Depth=1
	ds_load_b64 v[34:35], v44 offset:2096
	ds_load_b64 v[36:37], v45 offset:2080
	s_wait_dscnt 0x0
	v_fma_f64 v[34:35], v[34:35], v[36:37], 0
	s_and_saveexec_b32 s6, s15
	s_cbranch_execz .LBB46_129
; %bb.128:                              ;   in Loop: Header=BB46_3 Depth=1
	ds_load_b64 v[36:37], v46 offset:2608
	ds_load_b64 v[38:39], v1 offset:2088
	s_wait_dscnt 0x0
	v_fmac_f64_e32 v[34:35], v[36:37], v[38:39]
.LBB46_129:                             ;   in Loop: Header=BB46_3 Depth=1
	s_or_b32 exec_lo, exec_lo, s6
	s_delay_alu instid0(VALU_DEP_1)
	v_xor_b32_e32 v35, 0x80000000, v35
.LBB46_130:                             ;   in Loop: Header=BB46_3 Depth=1
	s_or_b32 exec_lo, exec_lo, s10
	s_and_saveexec_b32 s6, s104
	s_cbranch_execz .LBB46_132
; %bb.131:                              ;   in Loop: Header=BB46_3 Depth=1
	ds_load_b64 v[36:37], v1 offset:3120
	s_wait_dscnt 0x0
	v_mul_f64_e32 v[34:35], v[34:35], v[36:37]
	ds_store_b64 v3, v[34:35]
.LBB46_132:                             ;   in Loop: Header=BB46_3 Depth=1
	s_or_b32 exec_lo, exec_lo, s6
	s_wait_dscnt 0x0
	s_barrier_signal -1
	s_barrier_wait -1
	s_and_saveexec_b32 s6, vcc_hi
	s_cbranch_execz .LBB46_134
; %bb.133:                              ;   in Loop: Header=BB46_3 Depth=1
	ds_load_b64 v[36:37], v1 offset:3128
	ds_load_b64 v[38:39], v3
	s_wait_dscnt 0x0
	v_fmac_f64_e32 v[34:35], v[36:37], v[38:39]
.LBB46_134:                             ;   in Loop: Header=BB46_3 Depth=1
	s_or_b32 exec_lo, exec_lo, s6
	s_barrier_signal -1
	s_barrier_wait -1
	s_and_saveexec_b32 s6, vcc_hi
	s_cbranch_execz .LBB46_136
; %bb.135:                              ;   in Loop: Header=BB46_3 Depth=1
	ds_load_b64 v[36:37], v1 offset:3640
	s_wait_dscnt 0x0
	v_mul_f64_e32 v[34:35], v[34:35], v[36:37]
	ds_store_b64 v3, v[34:35]
.LBB46_136:                             ;   in Loop: Header=BB46_3 Depth=1
	s_or_b32 exec_lo, exec_lo, s6
	s_wait_dscnt 0x0
	s_barrier_signal -1
	s_barrier_wait -1
	s_barrier_signal -1
	s_barrier_wait -1
	s_and_saveexec_b32 s6, s1
; %bb.137:                              ;   in Loop: Header=BB46_3 Depth=1
	s_delay_alu instid0(VALU_DEP_1)
	v_xor_b32_e32 v35, 0x80000000, v35
	ds_store_b64 v44, v[34:35] offset:2096
; %bb.138:                              ;   in Loop: Header=BB46_3 Depth=1
	s_or_b32 exec_lo, exec_lo, s6
	s_wait_dscnt 0x0
	s_barrier_signal -1
	s_barrier_wait -1
	s_barrier_signal -1
	s_barrier_wait -1
	s_and_saveexec_b32 s10, s14
	s_cbranch_execz .LBB46_140
; %bb.139:                              ;   in Loop: Header=BB46_3 Depth=1
	ds_load_b128 v[34:37], v1 offset:3120
	ds_load_b64 v[38:39], v1 offset:3640
	s_wait_dscnt 0x0
	v_mul_f64_e32 v[34:35], v[34:35], v[38:39]
	s_delay_alu instid0(VALU_DEP_1)
	v_mul_f64_e32 v[34:35], v[36:37], v[34:35]
	ds_store_b64 v1, v[34:35] offset:3128
.LBB46_140:                             ;   in Loop: Header=BB46_3 Depth=1
	s_or_b32 exec_lo, exec_lo, s10
	v_mov_b64_e32 v[34:35], 0
	s_wait_dscnt 0x0
	s_barrier_signal -1
	s_barrier_wait -1
	s_and_saveexec_b32 s10, s3
	s_cbranch_execz .LBB46_150
; %bb.141:                              ;   in Loop: Header=BB46_3 Depth=1
	ds_load_b64 v[34:35], v55 offset:64
	ds_load_b64 v[36:37], v52
	s_wait_dscnt 0x0
	v_fma_f64 v[34:35], v[34:35], v[36:37], 0
	s_and_saveexec_b32 s6, s18
	s_cbranch_execnz .LBB46_1037
; %bb.142:                              ;   in Loop: Header=BB46_3 Depth=1
	s_or_b32 exec_lo, exec_lo, s6
	s_and_saveexec_b32 s6, s19
	s_cbranch_execnz .LBB46_1038
.LBB46_143:                             ;   in Loop: Header=BB46_3 Depth=1
	s_or_b32 exec_lo, exec_lo, s6
	s_and_saveexec_b32 s6, s20
	s_cbranch_execnz .LBB46_1039
.LBB46_144:                             ;   in Loop: Header=BB46_3 Depth=1
	s_or_b32 exec_lo, exec_lo, s6
	s_and_saveexec_b32 s6, s21
	s_cbranch_execnz .LBB46_1040
.LBB46_145:                             ;   in Loop: Header=BB46_3 Depth=1
	s_or_b32 exec_lo, exec_lo, s6
	s_and_saveexec_b32 s6, s22
	s_cbranch_execnz .LBB46_1041
.LBB46_146:                             ;   in Loop: Header=BB46_3 Depth=1
	s_or_b32 exec_lo, exec_lo, s6
	s_and_saveexec_b32 s6, s2
	s_cbranch_execnz .LBB46_1042
.LBB46_147:                             ;   in Loop: Header=BB46_3 Depth=1
	s_or_b32 exec_lo, exec_lo, s6
	s_and_saveexec_b32 s6, s17
	s_cbranch_execz .LBB46_149
.LBB46_148:                             ;   in Loop: Header=BB46_3 Depth=1
	ds_load_b64 v[36:37], v46 offset:3648
	ds_load_b64 v[38:39], v1 offset:56
	s_wait_dscnt 0x0
	v_fmac_f64_e32 v[34:35], v[36:37], v[38:39]
.LBB46_149:                             ;   in Loop: Header=BB46_3 Depth=1
	s_or_b32 exec_lo, exec_lo, s6
	s_delay_alu instid0(VALU_DEP_1)
	v_xor_b32_e32 v35, 0x80000000, v35
.LBB46_150:                             ;   in Loop: Header=BB46_3 Depth=1
	s_or_b32 exec_lo, exec_lo, s10
	s_and_saveexec_b32 s6, s42
	s_cbranch_execz .LBB46_152
; %bb.151:                              ;   in Loop: Header=BB46_3 Depth=1
	ds_load_b64 v[36:37], v1 offset:4160
	s_wait_dscnt 0x0
	v_mul_f64_e32 v[34:35], v[34:35], v[36:37]
	ds_store_b64 v54, v[34:35]
.LBB46_152:                             ;   in Loop: Header=BB46_3 Depth=1
	s_or_b32 exec_lo, exec_lo, s6
	s_wait_dscnt 0x0
	s_barrier_signal -1
	s_barrier_wait -1
	s_and_saveexec_b32 s6, s43
	s_cbranch_execz .LBB46_154
; %bb.153:                              ;   in Loop: Header=BB46_3 Depth=1
	ds_load_b64 v[36:37], v53 offset:4160
	ds_load_b64 v[38:39], v54
	s_wait_dscnt 0x0
	v_fmac_f64_e32 v[34:35], v[36:37], v[38:39]
.LBB46_154:                             ;   in Loop: Header=BB46_3 Depth=1
	s_or_b32 exec_lo, exec_lo, s6
	s_barrier_signal -1
	s_barrier_wait -1
	s_and_saveexec_b32 s6, s44
	s_cbranch_execz .LBB46_156
; %bb.155:                              ;   in Loop: Header=BB46_3 Depth=1
	ds_load_b64 v[36:37], v1 offset:4680
	s_wait_dscnt 0x0
	v_mul_f64_e32 v[34:35], v[34:35], v[36:37]
	ds_store_b64 v54, v[34:35]
.LBB46_156:                             ;   in Loop: Header=BB46_3 Depth=1
	s_or_b32 exec_lo, exec_lo, s6
	s_wait_dscnt 0x0
	s_barrier_signal -1
	s_barrier_wait -1
	s_and_saveexec_b32 s6, s45
	s_cbranch_execz .LBB46_158
; %bb.157:                              ;   in Loop: Header=BB46_3 Depth=1
	ds_load_b64 v[36:37], v53 offset:4672
	ds_load_b64 v[38:39], v54
	s_wait_dscnt 0x0
	v_fmac_f64_e32 v[34:35], v[36:37], v[38:39]
.LBB46_158:                             ;   in Loop: Header=BB46_3 Depth=1
	s_or_b32 exec_lo, exec_lo, s6
	s_barrier_signal -1
	s_barrier_wait -1
	;; [unrolled: 23-line block ×7, first 2 shown]
	s_and_saveexec_b32 s6, s55
	s_cbranch_execz .LBB46_180
; %bb.179:                              ;   in Loop: Header=BB46_3 Depth=1
	ds_load_b64 v[36:37], v1 offset:7800
	s_wait_dscnt 0x0
	v_mul_f64_e32 v[34:35], v[34:35], v[36:37]
	ds_store_b64 v54, v[34:35]
.LBB46_180:                             ;   in Loop: Header=BB46_3 Depth=1
	s_or_b32 exec_lo, exec_lo, s6
	s_wait_dscnt 0x0
	s_barrier_signal -1
	s_barrier_wait -1
	s_barrier_signal -1
	s_barrier_wait -1
	s_and_saveexec_b32 s6, s3
; %bb.181:                              ;   in Loop: Header=BB46_3 Depth=1
	s_delay_alu instid0(VALU_DEP_1)
	v_xor_b32_e32 v35, 0x80000000, v35
	ds_store_b64 v55, v[34:35] offset:64
; %bb.182:                              ;   in Loop: Header=BB46_3 Depth=1
	s_or_b32 exec_lo, exec_lo, s6
	s_wait_dscnt 0x0
	s_barrier_signal -1
	s_barrier_wait -1
	s_barrier_signal -1
	s_barrier_wait -1
	s_and_saveexec_b32 s10, s14
	s_cbranch_execz .LBB46_184
; %bb.183:                              ;   in Loop: Header=BB46_3 Depth=1
	ds_load_b128 v[34:37], v1 offset:4160
	ds_load_b64 v[38:39], v1 offset:4680
	s_wait_dscnt 0x0
	v_mul_f64_e32 v[34:35], v[34:35], v[38:39]
	s_delay_alu instid0(VALU_DEP_1)
	v_mul_f64_e32 v[34:35], v[36:37], v[34:35]
	ds_store_b64 v1, v[34:35] offset:4168
.LBB46_184:                             ;   in Loop: Header=BB46_3 Depth=1
	s_or_b32 exec_lo, exec_lo, s10
	v_mov_b64_e32 v[34:35], 0
	s_wait_dscnt 0x0
	s_barrier_signal -1
	s_barrier_wait -1
	s_and_saveexec_b32 s10, s1
	s_cbranch_execz .LBB46_188
; %bb.185:                              ;   in Loop: Header=BB46_3 Depth=1
	ds_load_b64 v[34:35], v44 offset:4176
	ds_load_b64 v[36:37], v45 offset:4160
	s_wait_dscnt 0x0
	v_fma_f64 v[34:35], v[34:35], v[36:37], 0
	s_and_saveexec_b32 s6, s15
	s_cbranch_execz .LBB46_187
; %bb.186:                              ;   in Loop: Header=BB46_3 Depth=1
	ds_load_b64 v[36:37], v46 offset:4688
	ds_load_b64 v[38:39], v1 offset:4168
	s_wait_dscnt 0x0
	v_fmac_f64_e32 v[34:35], v[36:37], v[38:39]
.LBB46_187:                             ;   in Loop: Header=BB46_3 Depth=1
	s_or_b32 exec_lo, exec_lo, s6
	s_delay_alu instid0(VALU_DEP_1)
	v_xor_b32_e32 v35, 0x80000000, v35
.LBB46_188:                             ;   in Loop: Header=BB46_3 Depth=1
	s_or_b32 exec_lo, exec_lo, s10
	s_and_saveexec_b32 s6, s104
	s_cbranch_execz .LBB46_190
; %bb.189:                              ;   in Loop: Header=BB46_3 Depth=1
	ds_load_b64 v[36:37], v1 offset:5200
	s_wait_dscnt 0x0
	v_mul_f64_e32 v[34:35], v[34:35], v[36:37]
	ds_store_b64 v3, v[34:35]
.LBB46_190:                             ;   in Loop: Header=BB46_3 Depth=1
	s_or_b32 exec_lo, exec_lo, s6
	s_wait_dscnt 0x0
	s_barrier_signal -1
	s_barrier_wait -1
	s_and_saveexec_b32 s6, vcc_hi
	s_cbranch_execz .LBB46_192
; %bb.191:                              ;   in Loop: Header=BB46_3 Depth=1
	ds_load_b64 v[36:37], v1 offset:5208
	ds_load_b64 v[38:39], v3
	s_wait_dscnt 0x0
	v_fmac_f64_e32 v[34:35], v[36:37], v[38:39]
.LBB46_192:                             ;   in Loop: Header=BB46_3 Depth=1
	s_or_b32 exec_lo, exec_lo, s6
	s_barrier_signal -1
	s_barrier_wait -1
	s_and_saveexec_b32 s6, vcc_hi
	s_cbranch_execz .LBB46_194
; %bb.193:                              ;   in Loop: Header=BB46_3 Depth=1
	ds_load_b64 v[36:37], v1 offset:5720
	s_wait_dscnt 0x0
	v_mul_f64_e32 v[34:35], v[34:35], v[36:37]
	ds_store_b64 v3, v[34:35]
.LBB46_194:                             ;   in Loop: Header=BB46_3 Depth=1
	s_or_b32 exec_lo, exec_lo, s6
	s_wait_dscnt 0x0
	s_barrier_signal -1
	s_barrier_wait -1
	s_barrier_signal -1
	s_barrier_wait -1
	s_and_saveexec_b32 s6, s1
; %bb.195:                              ;   in Loop: Header=BB46_3 Depth=1
	s_delay_alu instid0(VALU_DEP_1)
	v_xor_b32_e32 v35, 0x80000000, v35
	ds_store_b64 v44, v[34:35] offset:4176
; %bb.196:                              ;   in Loop: Header=BB46_3 Depth=1
	s_or_b32 exec_lo, exec_lo, s6
	s_wait_dscnt 0x0
	s_barrier_signal -1
	s_barrier_wait -1
	s_barrier_signal -1
	s_barrier_wait -1
	s_and_saveexec_b32 s10, s14
	s_cbranch_execz .LBB46_198
; %bb.197:                              ;   in Loop: Header=BB46_3 Depth=1
	ds_load_b128 v[34:37], v1 offset:5200
	ds_load_b64 v[38:39], v1 offset:5720
	s_wait_dscnt 0x0
	v_mul_f64_e32 v[34:35], v[34:35], v[38:39]
	s_delay_alu instid0(VALU_DEP_1)
	v_mul_f64_e32 v[34:35], v[36:37], v[34:35]
	ds_store_b64 v1, v[34:35] offset:5208
.LBB46_198:                             ;   in Loop: Header=BB46_3 Depth=1
	s_or_b32 exec_lo, exec_lo, s10
	v_mov_b64_e32 v[34:35], 0
	s_wait_dscnt 0x0
	s_barrier_signal -1
	s_barrier_wait -1
	s_and_saveexec_b32 s10, s2
	s_cbranch_execz .LBB46_204
; %bb.199:                              ;   in Loop: Header=BB46_3 Depth=1
	ds_load_b64 v[34:35], v50 offset:4192
	ds_load_b64 v[36:37], v47 offset:4160
	s_wait_dscnt 0x0
	v_fma_f64 v[34:35], v[34:35], v[36:37], 0
	s_and_saveexec_b32 s6, s16
	s_cbranch_execnz .LBB46_1043
; %bb.200:                              ;   in Loop: Header=BB46_3 Depth=1
	s_or_b32 exec_lo, exec_lo, s6
	s_and_saveexec_b32 s6, s17
	s_cbranch_execnz .LBB46_1044
.LBB46_201:                             ;   in Loop: Header=BB46_3 Depth=1
	s_or_b32 exec_lo, exec_lo, s6
	s_and_saveexec_b32 s6, s1
	s_cbranch_execz .LBB46_203
.LBB46_202:                             ;   in Loop: Header=BB46_3 Depth=1
	ds_load_b64 v[36:37], v46 offset:5728
	ds_load_b64 v[38:39], v1 offset:4184
	s_wait_dscnt 0x0
	v_fmac_f64_e32 v[34:35], v[36:37], v[38:39]
.LBB46_203:                             ;   in Loop: Header=BB46_3 Depth=1
	s_or_b32 exec_lo, exec_lo, s6
	s_delay_alu instid0(VALU_DEP_1)
	v_xor_b32_e32 v35, 0x80000000, v35
.LBB46_204:                             ;   in Loop: Header=BB46_3 Depth=1
	s_or_b32 exec_lo, exec_lo, s10
	s_and_saveexec_b32 s6, s36
	s_cbranch_execz .LBB46_206
; %bb.205:                              ;   in Loop: Header=BB46_3 Depth=1
	ds_load_b64 v[36:37], v1 offset:6240
	s_wait_dscnt 0x0
	v_mul_f64_e32 v[34:35], v[34:35], v[36:37]
	ds_store_b64 v48, v[34:35]
.LBB46_206:                             ;   in Loop: Header=BB46_3 Depth=1
	s_or_b32 exec_lo, exec_lo, s6
	s_wait_dscnt 0x0
	s_barrier_signal -1
	s_barrier_wait -1
	s_and_saveexec_b32 s6, s37
	s_cbranch_execz .LBB46_208
; %bb.207:                              ;   in Loop: Header=BB46_3 Depth=1
	ds_load_b64 v[36:37], v49 offset:6240
	ds_load_b64 v[38:39], v48
	s_wait_dscnt 0x0
	v_fmac_f64_e32 v[34:35], v[36:37], v[38:39]
.LBB46_208:                             ;   in Loop: Header=BB46_3 Depth=1
	s_or_b32 exec_lo, exec_lo, s6
	s_barrier_signal -1
	s_barrier_wait -1
	s_and_saveexec_b32 s6, s38
	s_cbranch_execz .LBB46_210
; %bb.209:                              ;   in Loop: Header=BB46_3 Depth=1
	ds_load_b64 v[36:37], v1 offset:6760
	s_wait_dscnt 0x0
	v_mul_f64_e32 v[34:35], v[34:35], v[36:37]
	ds_store_b64 v48, v[34:35]
.LBB46_210:                             ;   in Loop: Header=BB46_3 Depth=1
	s_or_b32 exec_lo, exec_lo, s6
	s_wait_dscnt 0x0
	s_barrier_signal -1
	s_barrier_wait -1
	s_and_saveexec_b32 s6, s39
	s_cbranch_execz .LBB46_212
; %bb.211:                              ;   in Loop: Header=BB46_3 Depth=1
	ds_load_b64 v[36:37], v49 offset:6752
	ds_load_b64 v[38:39], v48
	s_wait_dscnt 0x0
	v_fmac_f64_e32 v[34:35], v[36:37], v[38:39]
.LBB46_212:                             ;   in Loop: Header=BB46_3 Depth=1
	s_or_b32 exec_lo, exec_lo, s6
	s_barrier_signal -1
	s_barrier_wait -1
	;; [unrolled: 23-line block ×3, first 2 shown]
	s_and_saveexec_b32 s6, s41
	s_cbranch_execz .LBB46_218
; %bb.217:                              ;   in Loop: Header=BB46_3 Depth=1
	ds_load_b64 v[36:37], v1 offset:7800
	s_wait_dscnt 0x0
	v_mul_f64_e32 v[34:35], v[34:35], v[36:37]
	ds_store_b64 v48, v[34:35]
.LBB46_218:                             ;   in Loop: Header=BB46_3 Depth=1
	s_or_b32 exec_lo, exec_lo, s6
	s_wait_dscnt 0x0
	s_barrier_signal -1
	s_barrier_wait -1
	s_barrier_signal -1
	s_barrier_wait -1
	s_and_saveexec_b32 s6, s2
; %bb.219:                              ;   in Loop: Header=BB46_3 Depth=1
	s_delay_alu instid0(VALU_DEP_1)
	v_xor_b32_e32 v35, 0x80000000, v35
	ds_store_b64 v50, v[34:35] offset:4192
; %bb.220:                              ;   in Loop: Header=BB46_3 Depth=1
	s_or_b32 exec_lo, exec_lo, s6
	s_wait_dscnt 0x0
	s_barrier_signal -1
	s_barrier_wait -1
	s_barrier_signal -1
	s_barrier_wait -1
	s_and_saveexec_b32 s10, s14
	s_cbranch_execz .LBB46_222
; %bb.221:                              ;   in Loop: Header=BB46_3 Depth=1
	ds_load_b128 v[34:37], v1 offset:6240
	ds_load_b64 v[38:39], v1 offset:6760
	s_wait_dscnt 0x0
	v_mul_f64_e32 v[34:35], v[34:35], v[38:39]
	s_delay_alu instid0(VALU_DEP_1)
	v_mul_f64_e32 v[34:35], v[36:37], v[34:35]
	ds_store_b64 v1, v[34:35] offset:6248
.LBB46_222:                             ;   in Loop: Header=BB46_3 Depth=1
	s_or_b32 exec_lo, exec_lo, s10
	v_mov_b64_e32 v[34:35], 0
	s_wait_dscnt 0x0
	s_barrier_signal -1
	s_barrier_wait -1
	s_and_saveexec_b32 s10, s1
	s_cbranch_execz .LBB46_226
; %bb.223:                              ;   in Loop: Header=BB46_3 Depth=1
	ds_load_b64 v[34:35], v44 offset:6256
	ds_load_b64 v[36:37], v45 offset:6240
	s_wait_dscnt 0x0
	v_fma_f64 v[34:35], v[34:35], v[36:37], 0
	s_and_saveexec_b32 s6, s15
	s_cbranch_execz .LBB46_225
; %bb.224:                              ;   in Loop: Header=BB46_3 Depth=1
	ds_load_b64 v[36:37], v46 offset:6768
	ds_load_b64 v[38:39], v1 offset:6248
	s_wait_dscnt 0x0
	v_fmac_f64_e32 v[34:35], v[36:37], v[38:39]
.LBB46_225:                             ;   in Loop: Header=BB46_3 Depth=1
	s_or_b32 exec_lo, exec_lo, s6
	s_delay_alu instid0(VALU_DEP_1)
	v_xor_b32_e32 v35, 0x80000000, v35
.LBB46_226:                             ;   in Loop: Header=BB46_3 Depth=1
	s_or_b32 exec_lo, exec_lo, s10
	s_and_saveexec_b32 s6, s104
	s_cbranch_execz .LBB46_228
; %bb.227:                              ;   in Loop: Header=BB46_3 Depth=1
	ds_load_b64 v[36:37], v1 offset:7280
	s_wait_dscnt 0x0
	v_mul_f64_e32 v[34:35], v[34:35], v[36:37]
	ds_store_b64 v3, v[34:35]
.LBB46_228:                             ;   in Loop: Header=BB46_3 Depth=1
	s_or_b32 exec_lo, exec_lo, s6
	s_wait_dscnt 0x0
	s_barrier_signal -1
	s_barrier_wait -1
	s_and_saveexec_b32 s6, vcc_hi
	s_cbranch_execz .LBB46_230
; %bb.229:                              ;   in Loop: Header=BB46_3 Depth=1
	ds_load_b64 v[36:37], v1 offset:7288
	ds_load_b64 v[38:39], v3
	s_wait_dscnt 0x0
	v_fmac_f64_e32 v[34:35], v[36:37], v[38:39]
.LBB46_230:                             ;   in Loop: Header=BB46_3 Depth=1
	s_or_b32 exec_lo, exec_lo, s6
	s_barrier_signal -1
	s_barrier_wait -1
	s_and_saveexec_b32 s6, vcc_hi
	s_cbranch_execz .LBB46_232
; %bb.231:                              ;   in Loop: Header=BB46_3 Depth=1
	ds_load_b64 v[36:37], v1 offset:7800
	s_wait_dscnt 0x0
	v_mul_f64_e32 v[34:35], v[34:35], v[36:37]
	ds_store_b64 v3, v[34:35]
.LBB46_232:                             ;   in Loop: Header=BB46_3 Depth=1
	s_or_b32 exec_lo, exec_lo, s6
	s_wait_dscnt 0x0
	s_barrier_signal -1
	s_barrier_wait -1
	s_barrier_signal -1
	s_barrier_wait -1
	s_and_saveexec_b32 s6, s1
; %bb.233:                              ;   in Loop: Header=BB46_3 Depth=1
	s_delay_alu instid0(VALU_DEP_1)
	v_xor_b32_e32 v35, 0x80000000, v35
	ds_store_b64 v44, v[34:35] offset:6256
; %bb.234:                              ;   in Loop: Header=BB46_3 Depth=1
	s_or_b32 exec_lo, exec_lo, s6
	s_wait_dscnt 0x0
	s_barrier_signal -1
	s_barrier_wait -1
	s_barrier_signal -1
	s_barrier_wait -1
	s_and_saveexec_b32 s10, s14
	s_cbranch_execz .LBB46_236
; %bb.235:                              ;   in Loop: Header=BB46_3 Depth=1
	ds_load_b128 v[34:37], v1 offset:7280
	ds_load_b64 v[38:39], v1 offset:7800
	s_wait_dscnt 0x0
	v_mul_f64_e32 v[34:35], v[34:35], v[38:39]
	s_delay_alu instid0(VALU_DEP_1)
	v_mul_f64_e32 v[34:35], v[36:37], v[34:35]
	ds_store_b64 v1, v[34:35] offset:7288
.LBB46_236:                             ;   in Loop: Header=BB46_3 Depth=1
	s_or_b32 exec_lo, exec_lo, s10
	v_mov_b64_e32 v[34:35], 0
	s_wait_dscnt 0x0
	s_barrier_signal -1
	s_barrier_wait -1
	s_and_saveexec_b32 s69, s4
	s_cbranch_execz .LBB46_264
; %bb.237:                              ;   in Loop: Header=BB46_3 Depth=1
	ds_load_b64 v[34:35], v60 offset:128
	ds_load_b64 v[36:37], v57
	s_wait_dscnt 0x0
	v_fma_f64 v[34:35], v[34:35], v[36:37], 0
	s_mov_b32 s6, exec_lo
	v_readlane_b32 s10, v84, 30
	s_and_b32 s10, s6, s10
	s_delay_alu instid0(SALU_CYCLE_1)
	s_mov_b32 exec_lo, s10
	s_cbranch_execz .LBB46_239
; %bb.238:                              ;   in Loop: Header=BB46_3 Depth=1
	ds_load_b64 v[36:37], v61 offset:640
	ds_load_b64 v[38:39], v57 offset:8
	s_wait_dscnt 0x0
	v_fmac_f64_e32 v[34:35], v[36:37], v[38:39]
.LBB46_239:                             ;   in Loop: Header=BB46_3 Depth=1
	s_or_b32 exec_lo, exec_lo, s6
	s_delay_alu instid0(SALU_CYCLE_1) | instskip(SKIP_2) | instid1(SALU_CYCLE_1)
	s_mov_b32 s6, exec_lo
	v_readlane_b32 s10, v84, 31
	s_and_b32 s10, s6, s10
	s_mov_b32 exec_lo, s10
	s_cbranch_execz .LBB46_241
; %bb.240:                              ;   in Loop: Header=BB46_3 Depth=1
	ds_load_b64 v[36:37], v61 offset:1152
	ds_load_b64 v[38:39], v57 offset:16
	s_wait_dscnt 0x0
	v_fmac_f64_e32 v[34:35], v[36:37], v[38:39]
.LBB46_241:                             ;   in Loop: Header=BB46_3 Depth=1
	s_or_b32 exec_lo, exec_lo, s6
	s_delay_alu instid0(SALU_CYCLE_1) | instskip(SKIP_2) | instid1(SALU_CYCLE_1)
	s_mov_b32 s6, exec_lo
	v_readlane_b32 s10, v83, 0
	s_and_b32 s10, s6, s10
	;; [unrolled: 13-line block ×6, first 2 shown]
	s_mov_b32 exec_lo, s10
	s_cbranch_execz .LBB46_251
; %bb.250:                              ;   in Loop: Header=BB46_3 Depth=1
	ds_load_b64 v[36:37], v61 offset:3712
	ds_load_b64 v[38:39], v57 offset:56
	s_wait_dscnt 0x0
	v_fmac_f64_e32 v[34:35], v[36:37], v[38:39]
.LBB46_251:                             ;   in Loop: Header=BB46_3 Depth=1
	s_or_b32 exec_lo, exec_lo, s6
	s_and_saveexec_b32 s6, s7
	s_cbranch_execz .LBB46_253
; %bb.252:                              ;   in Loop: Header=BB46_3 Depth=1
	ds_load_b64 v[36:37], v60 offset:4224
	ds_load_b64 v[38:39], v57 offset:64
	s_wait_dscnt 0x0
	v_fmac_f64_e32 v[34:35], v[36:37], v[38:39]
.LBB46_253:                             ;   in Loop: Header=BB46_3 Depth=1
	s_or_b32 exec_lo, exec_lo, s6
	s_delay_alu instid0(SALU_CYCLE_1) | instskip(SKIP_2) | instid1(SALU_CYCLE_1)
	s_mov_b32 s6, exec_lo
	v_readlane_b32 s10, v83, 5
	s_and_b32 s10, s6, s10
	s_mov_b32 exec_lo, s10
	s_cbranch_execz .LBB46_255
; %bb.254:                              ;   in Loop: Header=BB46_3 Depth=1
	ds_load_b64 v[36:37], v61 offset:4736
	ds_load_b64 v[38:39], v57 offset:72
	s_wait_dscnt 0x0
	v_fmac_f64_e32 v[34:35], v[36:37], v[38:39]
.LBB46_255:                             ;   in Loop: Header=BB46_3 Depth=1
	s_or_b32 exec_lo, exec_lo, s6
	s_and_saveexec_b32 s6, s8
	s_cbranch_execz .LBB46_257
; %bb.256:                              ;   in Loop: Header=BB46_3 Depth=1
	ds_load_b64 v[36:37], v61 offset:5248
	ds_load_b64 v[38:39], v57 offset:80
	s_wait_dscnt 0x0
	v_fmac_f64_e32 v[34:35], v[36:37], v[38:39]
.LBB46_257:                             ;   in Loop: Header=BB46_3 Depth=1
	s_or_b32 exec_lo, exec_lo, s6
	s_delay_alu instid0(SALU_CYCLE_1) | instskip(SKIP_2) | instid1(SALU_CYCLE_1)
	s_mov_b32 s6, exec_lo
	v_readlane_b32 s10, v83, 6
	s_and_b32 s10, s6, s10
	s_mov_b32 exec_lo, s10
	s_cbranch_execnz .LBB46_1045
; %bb.258:                              ;   in Loop: Header=BB46_3 Depth=1
	s_or_b32 exec_lo, exec_lo, s6
	s_and_saveexec_b32 s6, s3
	s_cbranch_execnz .LBB46_1046
.LBB46_259:                             ;   in Loop: Header=BB46_3 Depth=1
	s_or_b32 exec_lo, exec_lo, s6
	s_and_saveexec_b32 s6, s19
	s_cbranch_execnz .LBB46_1047
.LBB46_260:                             ;   in Loop: Header=BB46_3 Depth=1
	s_or_b32 exec_lo, exec_lo, s6
	s_and_saveexec_b32 s6, s21
	s_cbranch_execnz .LBB46_1048
.LBB46_261:                             ;   in Loop: Header=BB46_3 Depth=1
	s_or_b32 exec_lo, exec_lo, s6
	s_and_saveexec_b32 s6, s2
	s_cbranch_execz .LBB46_263
.LBB46_262:                             ;   in Loop: Header=BB46_3 Depth=1
	ds_load_b64 v[36:37], v46 offset:7808
	ds_load_b64 v[38:39], v1 offset:120
	s_wait_dscnt 0x0
	v_fmac_f64_e32 v[34:35], v[36:37], v[38:39]
.LBB46_263:                             ;   in Loop: Header=BB46_3 Depth=1
	s_or_b32 exec_lo, exec_lo, s6
	s_delay_alu instid0(VALU_DEP_1)
	v_xor_b32_e32 v35, 0x80000000, v35
.LBB46_264:                             ;   in Loop: Header=BB46_3 Depth=1
	s_or_b32 exec_lo, exec_lo, s69
	s_delay_alu instid0(SALU_CYCLE_1) | instskip(SKIP_2) | instid1(SALU_CYCLE_1)
	s_mov_b32 s6, exec_lo
	v_readlane_b32 s10, v84, 5
	s_and_b32 s10, s6, s10
	s_mov_b32 exec_lo, s10
	s_cbranch_execz .LBB46_266
; %bb.265:                              ;   in Loop: Header=BB46_3 Depth=1
	ds_load_b64 v[36:37], v1 offset:8320
	s_wait_dscnt 0x0
	v_mul_f64_e32 v[34:35], v[34:35], v[36:37]
	ds_store_b64 v59, v[34:35]
.LBB46_266:                             ;   in Loop: Header=BB46_3 Depth=1
	s_or_b32 exec_lo, exec_lo, s6
	s_wait_dscnt 0x0
	s_barrier_signal -1
	s_barrier_wait -1
	s_mov_b32 s6, exec_lo
	v_readlane_b32 s10, v84, 6
	s_and_b32 s10, s6, s10
	s_delay_alu instid0(SALU_CYCLE_1)
	s_mov_b32 exec_lo, s10
	s_cbranch_execz .LBB46_268
; %bb.267:                              ;   in Loop: Header=BB46_3 Depth=1
	ds_load_b64 v[36:37], v58 offset:8320
	ds_load_b64 v[38:39], v59
	s_wait_dscnt 0x0
	v_fmac_f64_e32 v[34:35], v[36:37], v[38:39]
.LBB46_268:                             ;   in Loop: Header=BB46_3 Depth=1
	s_or_b32 exec_lo, exec_lo, s6
	s_barrier_signal -1
	s_barrier_wait -1
	s_mov_b32 s6, exec_lo
	v_readlane_b32 s10, v84, 7
	s_and_b32 s10, s6, s10
	s_delay_alu instid0(SALU_CYCLE_1)
	s_mov_b32 exec_lo, s10
	s_cbranch_execz .LBB46_270
; %bb.269:                              ;   in Loop: Header=BB46_3 Depth=1
	ds_load_b64 v[36:37], v1 offset:8840
	s_wait_dscnt 0x0
	v_mul_f64_e32 v[34:35], v[34:35], v[36:37]
	ds_store_b64 v59, v[34:35]
.LBB46_270:                             ;   in Loop: Header=BB46_3 Depth=1
	s_or_b32 exec_lo, exec_lo, s6
	s_wait_dscnt 0x0
	s_barrier_signal -1
	s_barrier_wait -1
	s_mov_b32 s6, exec_lo
	v_readlane_b32 s10, v84, 8
	s_and_b32 s10, s6, s10
	s_delay_alu instid0(SALU_CYCLE_1)
	s_mov_b32 exec_lo, s10
	s_cbranch_execz .LBB46_272
; %bb.271:                              ;   in Loop: Header=BB46_3 Depth=1
	ds_load_b64 v[36:37], v58 offset:8832
	ds_load_b64 v[38:39], v59
	s_wait_dscnt 0x0
	v_fmac_f64_e32 v[34:35], v[36:37], v[38:39]
.LBB46_272:                             ;   in Loop: Header=BB46_3 Depth=1
	s_or_b32 exec_lo, exec_lo, s6
	s_barrier_signal -1
	s_barrier_wait -1
	s_and_saveexec_b32 s6, s66
	s_cbranch_execz .LBB46_274
; %bb.273:                              ;   in Loop: Header=BB46_3 Depth=1
	ds_load_b64 v[36:37], v1 offset:9360
	s_wait_dscnt 0x0
	v_mul_f64_e32 v[34:35], v[34:35], v[36:37]
	ds_store_b64 v59, v[34:35]
.LBB46_274:                             ;   in Loop: Header=BB46_3 Depth=1
	s_or_b32 exec_lo, exec_lo, s6
	s_wait_dscnt 0x0
	s_barrier_signal -1
	s_barrier_wait -1
	s_and_saveexec_b32 s6, s67
	s_cbranch_execz .LBB46_276
; %bb.275:                              ;   in Loop: Header=BB46_3 Depth=1
	ds_load_b64 v[36:37], v58 offset:9344
	ds_load_b64 v[38:39], v59
	s_wait_dscnt 0x0
	v_fmac_f64_e32 v[34:35], v[36:37], v[38:39]
.LBB46_276:                             ;   in Loop: Header=BB46_3 Depth=1
	s_or_b32 exec_lo, exec_lo, s6
	s_barrier_signal -1
	s_barrier_wait -1
	s_and_saveexec_b32 s6, s68
	s_cbranch_execz .LBB46_278
; %bb.277:                              ;   in Loop: Header=BB46_3 Depth=1
	ds_load_b64 v[36:37], v1 offset:9880
	s_wait_dscnt 0x0
	v_mul_f64_e32 v[34:35], v[34:35], v[36:37]
	ds_store_b64 v59, v[34:35]
.LBB46_278:                             ;   in Loop: Header=BB46_3 Depth=1
	s_or_b32 exec_lo, exec_lo, s6
	s_wait_dscnt 0x0
	s_barrier_signal -1
	s_barrier_wait -1
	s_and_saveexec_b32 s6, s12
	;; [unrolled: 23-line block ×13, first 2 shown]
	s_cbranch_execz .LBB46_324
; %bb.323:                              ;   in Loop: Header=BB46_3 Depth=1
	ds_load_b64 v[36:37], v1 offset:15608
	ds_load_b64 v[38:39], v59
	s_wait_dscnt 0x0
	v_fmac_f64_e32 v[34:35], v[36:37], v[38:39]
.LBB46_324:                             ;   in Loop: Header=BB46_3 Depth=1
	s_or_b32 exec_lo, exec_lo, s6
	s_barrier_signal -1
	s_barrier_wait -1
	s_and_saveexec_b32 s6, s56
	s_cbranch_execz .LBB46_326
; %bb.325:                              ;   in Loop: Header=BB46_3 Depth=1
	ds_load_b64 v[36:37], v1 offset:16120
	s_wait_dscnt 0x0
	v_mul_f64_e32 v[34:35], v[34:35], v[36:37]
	ds_store_b64 v59, v[34:35]
.LBB46_326:                             ;   in Loop: Header=BB46_3 Depth=1
	s_or_b32 exec_lo, exec_lo, s6
	s_wait_dscnt 0x0
	s_barrier_signal -1
	s_barrier_wait -1
	s_barrier_signal -1
	s_barrier_wait -1
	s_and_saveexec_b32 s6, s4
; %bb.327:                              ;   in Loop: Header=BB46_3 Depth=1
	s_delay_alu instid0(VALU_DEP_1)
	v_xor_b32_e32 v35, 0x80000000, v35
	ds_store_b64 v60, v[34:35] offset:128
; %bb.328:                              ;   in Loop: Header=BB46_3 Depth=1
	s_or_b32 exec_lo, exec_lo, s6
	s_wait_dscnt 0x0
	s_barrier_signal -1
	s_barrier_wait -1
	s_barrier_signal -1
	s_barrier_wait -1
	s_and_saveexec_b32 s10, s14
	s_cbranch_execz .LBB46_330
; %bb.329:                              ;   in Loop: Header=BB46_3 Depth=1
	ds_load_b128 v[34:37], v1 offset:8320
	ds_load_b64 v[38:39], v1 offset:8840
	s_wait_dscnt 0x0
	v_mul_f64_e32 v[34:35], v[34:35], v[38:39]
	s_delay_alu instid0(VALU_DEP_1)
	v_mul_f64_e32 v[34:35], v[36:37], v[34:35]
	ds_store_b64 v1, v[34:35] offset:8328
.LBB46_330:                             ;   in Loop: Header=BB46_3 Depth=1
	s_or_b32 exec_lo, exec_lo, s10
	v_mov_b64_e32 v[34:35], 0
	s_wait_dscnt 0x0
	s_barrier_signal -1
	s_barrier_wait -1
	s_and_saveexec_b32 s10, s1
	s_cbranch_execz .LBB46_334
; %bb.331:                              ;   in Loop: Header=BB46_3 Depth=1
	ds_load_b64 v[34:35], v44 offset:8336
	ds_load_b64 v[36:37], v45 offset:8320
	s_wait_dscnt 0x0
	v_fma_f64 v[34:35], v[34:35], v[36:37], 0
	s_and_saveexec_b32 s6, s15
	s_cbranch_execz .LBB46_333
; %bb.332:                              ;   in Loop: Header=BB46_3 Depth=1
	ds_load_b64 v[36:37], v46 offset:8848
	ds_load_b64 v[38:39], v1 offset:8328
	s_wait_dscnt 0x0
	v_fmac_f64_e32 v[34:35], v[36:37], v[38:39]
.LBB46_333:                             ;   in Loop: Header=BB46_3 Depth=1
	s_or_b32 exec_lo, exec_lo, s6
	s_delay_alu instid0(VALU_DEP_1)
	v_xor_b32_e32 v35, 0x80000000, v35
.LBB46_334:                             ;   in Loop: Header=BB46_3 Depth=1
	s_or_b32 exec_lo, exec_lo, s10
	s_and_saveexec_b32 s6, s104
	s_cbranch_execz .LBB46_336
; %bb.335:                              ;   in Loop: Header=BB46_3 Depth=1
	ds_load_b64 v[36:37], v1 offset:9360
	s_wait_dscnt 0x0
	v_mul_f64_e32 v[34:35], v[34:35], v[36:37]
	ds_store_b64 v3, v[34:35]
.LBB46_336:                             ;   in Loop: Header=BB46_3 Depth=1
	s_or_b32 exec_lo, exec_lo, s6
	s_wait_dscnt 0x0
	s_barrier_signal -1
	s_barrier_wait -1
	s_and_saveexec_b32 s6, vcc_hi
	s_cbranch_execz .LBB46_338
; %bb.337:                              ;   in Loop: Header=BB46_3 Depth=1
	ds_load_b64 v[36:37], v1 offset:9368
	ds_load_b64 v[38:39], v3
	s_wait_dscnt 0x0
	v_fmac_f64_e32 v[34:35], v[36:37], v[38:39]
.LBB46_338:                             ;   in Loop: Header=BB46_3 Depth=1
	s_or_b32 exec_lo, exec_lo, s6
	s_barrier_signal -1
	s_barrier_wait -1
	s_and_saveexec_b32 s6, vcc_hi
	s_cbranch_execz .LBB46_340
; %bb.339:                              ;   in Loop: Header=BB46_3 Depth=1
	ds_load_b64 v[36:37], v1 offset:9880
	s_wait_dscnt 0x0
	v_mul_f64_e32 v[34:35], v[34:35], v[36:37]
	ds_store_b64 v3, v[34:35]
.LBB46_340:                             ;   in Loop: Header=BB46_3 Depth=1
	s_or_b32 exec_lo, exec_lo, s6
	s_wait_dscnt 0x0
	s_barrier_signal -1
	s_barrier_wait -1
	s_barrier_signal -1
	s_barrier_wait -1
	s_and_saveexec_b32 s6, s1
; %bb.341:                              ;   in Loop: Header=BB46_3 Depth=1
	s_delay_alu instid0(VALU_DEP_1)
	v_xor_b32_e32 v35, 0x80000000, v35
	ds_store_b64 v44, v[34:35] offset:8336
; %bb.342:                              ;   in Loop: Header=BB46_3 Depth=1
	s_or_b32 exec_lo, exec_lo, s6
	s_wait_dscnt 0x0
	s_barrier_signal -1
	s_barrier_wait -1
	s_barrier_signal -1
	s_barrier_wait -1
	s_and_saveexec_b32 s10, s14
	s_cbranch_execz .LBB46_344
; %bb.343:                              ;   in Loop: Header=BB46_3 Depth=1
	ds_load_b128 v[34:37], v1 offset:9360
	ds_load_b64 v[38:39], v1 offset:9880
	s_wait_dscnt 0x0
	v_mul_f64_e32 v[34:35], v[34:35], v[38:39]
	s_delay_alu instid0(VALU_DEP_1)
	v_mul_f64_e32 v[34:35], v[36:37], v[34:35]
	ds_store_b64 v1, v[34:35] offset:9368
.LBB46_344:                             ;   in Loop: Header=BB46_3 Depth=1
	s_or_b32 exec_lo, exec_lo, s10
	v_mov_b64_e32 v[34:35], 0
	s_wait_dscnt 0x0
	s_barrier_signal -1
	s_barrier_wait -1
	s_and_saveexec_b32 s10, s2
	s_cbranch_execz .LBB46_350
; %bb.345:                              ;   in Loop: Header=BB46_3 Depth=1
	ds_load_b64 v[34:35], v50 offset:8352
	ds_load_b64 v[36:37], v47 offset:8320
	s_wait_dscnt 0x0
	v_fma_f64 v[34:35], v[34:35], v[36:37], 0
	s_and_saveexec_b32 s6, s16
	s_cbranch_execnz .LBB46_1049
; %bb.346:                              ;   in Loop: Header=BB46_3 Depth=1
	s_or_b32 exec_lo, exec_lo, s6
	s_and_saveexec_b32 s6, s17
	s_cbranch_execnz .LBB46_1050
.LBB46_347:                             ;   in Loop: Header=BB46_3 Depth=1
	s_or_b32 exec_lo, exec_lo, s6
	s_and_saveexec_b32 s6, s1
	s_cbranch_execz .LBB46_349
.LBB46_348:                             ;   in Loop: Header=BB46_3 Depth=1
	ds_load_b64 v[36:37], v46 offset:9888
	ds_load_b64 v[38:39], v1 offset:8344
	s_wait_dscnt 0x0
	v_fmac_f64_e32 v[34:35], v[36:37], v[38:39]
.LBB46_349:                             ;   in Loop: Header=BB46_3 Depth=1
	s_or_b32 exec_lo, exec_lo, s6
	s_delay_alu instid0(VALU_DEP_1)
	v_xor_b32_e32 v35, 0x80000000, v35
.LBB46_350:                             ;   in Loop: Header=BB46_3 Depth=1
	s_or_b32 exec_lo, exec_lo, s10
	s_and_saveexec_b32 s6, s36
	s_cbranch_execz .LBB46_352
; %bb.351:                              ;   in Loop: Header=BB46_3 Depth=1
	ds_load_b64 v[36:37], v1 offset:10400
	s_wait_dscnt 0x0
	v_mul_f64_e32 v[34:35], v[34:35], v[36:37]
	ds_store_b64 v48, v[34:35]
.LBB46_352:                             ;   in Loop: Header=BB46_3 Depth=1
	s_or_b32 exec_lo, exec_lo, s6
	s_wait_dscnt 0x0
	s_barrier_signal -1
	s_barrier_wait -1
	s_and_saveexec_b32 s6, s37
	s_cbranch_execz .LBB46_354
; %bb.353:                              ;   in Loop: Header=BB46_3 Depth=1
	ds_load_b64 v[36:37], v49 offset:10400
	ds_load_b64 v[38:39], v48
	s_wait_dscnt 0x0
	v_fmac_f64_e32 v[34:35], v[36:37], v[38:39]
.LBB46_354:                             ;   in Loop: Header=BB46_3 Depth=1
	s_or_b32 exec_lo, exec_lo, s6
	s_barrier_signal -1
	s_barrier_wait -1
	s_and_saveexec_b32 s6, s38
	s_cbranch_execz .LBB46_356
; %bb.355:                              ;   in Loop: Header=BB46_3 Depth=1
	ds_load_b64 v[36:37], v1 offset:10920
	s_wait_dscnt 0x0
	v_mul_f64_e32 v[34:35], v[34:35], v[36:37]
	ds_store_b64 v48, v[34:35]
.LBB46_356:                             ;   in Loop: Header=BB46_3 Depth=1
	s_or_b32 exec_lo, exec_lo, s6
	s_wait_dscnt 0x0
	s_barrier_signal -1
	s_barrier_wait -1
	s_and_saveexec_b32 s6, s39
	s_cbranch_execz .LBB46_358
; %bb.357:                              ;   in Loop: Header=BB46_3 Depth=1
	ds_load_b64 v[36:37], v49 offset:10912
	ds_load_b64 v[38:39], v48
	s_wait_dscnt 0x0
	v_fmac_f64_e32 v[34:35], v[36:37], v[38:39]
.LBB46_358:                             ;   in Loop: Header=BB46_3 Depth=1
	s_or_b32 exec_lo, exec_lo, s6
	s_barrier_signal -1
	s_barrier_wait -1
	;; [unrolled: 23-line block ×3, first 2 shown]
	s_and_saveexec_b32 s6, s41
	s_cbranch_execz .LBB46_364
; %bb.363:                              ;   in Loop: Header=BB46_3 Depth=1
	ds_load_b64 v[36:37], v1 offset:11960
	s_wait_dscnt 0x0
	v_mul_f64_e32 v[34:35], v[34:35], v[36:37]
	ds_store_b64 v48, v[34:35]
.LBB46_364:                             ;   in Loop: Header=BB46_3 Depth=1
	s_or_b32 exec_lo, exec_lo, s6
	s_wait_dscnt 0x0
	s_barrier_signal -1
	s_barrier_wait -1
	s_barrier_signal -1
	s_barrier_wait -1
	s_and_saveexec_b32 s6, s2
; %bb.365:                              ;   in Loop: Header=BB46_3 Depth=1
	s_delay_alu instid0(VALU_DEP_1)
	v_xor_b32_e32 v35, 0x80000000, v35
	ds_store_b64 v50, v[34:35] offset:8352
; %bb.366:                              ;   in Loop: Header=BB46_3 Depth=1
	s_or_b32 exec_lo, exec_lo, s6
	s_wait_dscnt 0x0
	s_barrier_signal -1
	s_barrier_wait -1
	s_barrier_signal -1
	s_barrier_wait -1
	s_and_saveexec_b32 s10, s14
	s_cbranch_execz .LBB46_368
; %bb.367:                              ;   in Loop: Header=BB46_3 Depth=1
	ds_load_b128 v[34:37], v1 offset:10400
	ds_load_b64 v[38:39], v1 offset:10920
	s_wait_dscnt 0x0
	v_mul_f64_e32 v[34:35], v[34:35], v[38:39]
	s_delay_alu instid0(VALU_DEP_1)
	v_mul_f64_e32 v[34:35], v[36:37], v[34:35]
	ds_store_b64 v1, v[34:35] offset:10408
.LBB46_368:                             ;   in Loop: Header=BB46_3 Depth=1
	s_or_b32 exec_lo, exec_lo, s10
	v_mov_b64_e32 v[34:35], 0
	s_wait_dscnt 0x0
	s_barrier_signal -1
	s_barrier_wait -1
	s_and_saveexec_b32 s10, s1
	s_cbranch_execz .LBB46_372
; %bb.369:                              ;   in Loop: Header=BB46_3 Depth=1
	ds_load_b64 v[34:35], v44 offset:10416
	ds_load_b64 v[36:37], v45 offset:10400
	s_wait_dscnt 0x0
	v_fma_f64 v[34:35], v[34:35], v[36:37], 0
	s_and_saveexec_b32 s6, s15
	s_cbranch_execz .LBB46_371
; %bb.370:                              ;   in Loop: Header=BB46_3 Depth=1
	ds_load_b64 v[36:37], v46 offset:10928
	ds_load_b64 v[38:39], v1 offset:10408
	s_wait_dscnt 0x0
	v_fmac_f64_e32 v[34:35], v[36:37], v[38:39]
.LBB46_371:                             ;   in Loop: Header=BB46_3 Depth=1
	s_or_b32 exec_lo, exec_lo, s6
	s_delay_alu instid0(VALU_DEP_1)
	v_xor_b32_e32 v35, 0x80000000, v35
.LBB46_372:                             ;   in Loop: Header=BB46_3 Depth=1
	s_or_b32 exec_lo, exec_lo, s10
	s_and_saveexec_b32 s6, s104
	s_cbranch_execz .LBB46_374
; %bb.373:                              ;   in Loop: Header=BB46_3 Depth=1
	ds_load_b64 v[36:37], v1 offset:11440
	s_wait_dscnt 0x0
	v_mul_f64_e32 v[34:35], v[34:35], v[36:37]
	ds_store_b64 v3, v[34:35]
.LBB46_374:                             ;   in Loop: Header=BB46_3 Depth=1
	s_or_b32 exec_lo, exec_lo, s6
	s_wait_dscnt 0x0
	s_barrier_signal -1
	s_barrier_wait -1
	s_and_saveexec_b32 s6, vcc_hi
	s_cbranch_execz .LBB46_376
; %bb.375:                              ;   in Loop: Header=BB46_3 Depth=1
	ds_load_b64 v[36:37], v1 offset:11448
	ds_load_b64 v[38:39], v3
	s_wait_dscnt 0x0
	v_fmac_f64_e32 v[34:35], v[36:37], v[38:39]
.LBB46_376:                             ;   in Loop: Header=BB46_3 Depth=1
	s_or_b32 exec_lo, exec_lo, s6
	s_barrier_signal -1
	s_barrier_wait -1
	s_and_saveexec_b32 s6, vcc_hi
	s_cbranch_execz .LBB46_378
; %bb.377:                              ;   in Loop: Header=BB46_3 Depth=1
	ds_load_b64 v[36:37], v1 offset:11960
	s_wait_dscnt 0x0
	v_mul_f64_e32 v[34:35], v[34:35], v[36:37]
	ds_store_b64 v3, v[34:35]
.LBB46_378:                             ;   in Loop: Header=BB46_3 Depth=1
	s_or_b32 exec_lo, exec_lo, s6
	s_wait_dscnt 0x0
	s_barrier_signal -1
	s_barrier_wait -1
	s_barrier_signal -1
	s_barrier_wait -1
	s_and_saveexec_b32 s6, s1
; %bb.379:                              ;   in Loop: Header=BB46_3 Depth=1
	s_delay_alu instid0(VALU_DEP_1)
	v_xor_b32_e32 v35, 0x80000000, v35
	ds_store_b64 v44, v[34:35] offset:10416
; %bb.380:                              ;   in Loop: Header=BB46_3 Depth=1
	s_or_b32 exec_lo, exec_lo, s6
	s_wait_dscnt 0x0
	s_barrier_signal -1
	s_barrier_wait -1
	s_barrier_signal -1
	s_barrier_wait -1
	s_and_saveexec_b32 s10, s14
	s_cbranch_execz .LBB46_382
; %bb.381:                              ;   in Loop: Header=BB46_3 Depth=1
	ds_load_b128 v[34:37], v1 offset:11440
	ds_load_b64 v[38:39], v1 offset:11960
	s_wait_dscnt 0x0
	v_mul_f64_e32 v[34:35], v[34:35], v[38:39]
	s_delay_alu instid0(VALU_DEP_1)
	v_mul_f64_e32 v[34:35], v[36:37], v[34:35]
	ds_store_b64 v1, v[34:35] offset:11448
.LBB46_382:                             ;   in Loop: Header=BB46_3 Depth=1
	s_or_b32 exec_lo, exec_lo, s10
	v_mov_b64_e32 v[34:35], 0
	s_wait_dscnt 0x0
	s_barrier_signal -1
	s_barrier_wait -1
	s_and_saveexec_b32 s10, s3
	s_cbranch_execz .LBB46_392
; %bb.383:                              ;   in Loop: Header=BB46_3 Depth=1
	ds_load_b64 v[34:35], v55 offset:8384
	ds_load_b64 v[36:37], v52 offset:8320
	s_wait_dscnt 0x0
	v_fma_f64 v[34:35], v[34:35], v[36:37], 0
	s_and_saveexec_b32 s6, s18
	s_cbranch_execnz .LBB46_1051
; %bb.384:                              ;   in Loop: Header=BB46_3 Depth=1
	s_or_b32 exec_lo, exec_lo, s6
	s_and_saveexec_b32 s6, s19
	s_cbranch_execnz .LBB46_1052
.LBB46_385:                             ;   in Loop: Header=BB46_3 Depth=1
	s_or_b32 exec_lo, exec_lo, s6
	s_and_saveexec_b32 s6, s20
	s_cbranch_execnz .LBB46_1053
.LBB46_386:                             ;   in Loop: Header=BB46_3 Depth=1
	s_or_b32 exec_lo, exec_lo, s6
	s_and_saveexec_b32 s6, s21
	s_cbranch_execnz .LBB46_1054
.LBB46_387:                             ;   in Loop: Header=BB46_3 Depth=1
	s_or_b32 exec_lo, exec_lo, s6
	s_and_saveexec_b32 s6, s22
	s_cbranch_execnz .LBB46_1055
.LBB46_388:                             ;   in Loop: Header=BB46_3 Depth=1
	s_or_b32 exec_lo, exec_lo, s6
	s_and_saveexec_b32 s6, s2
	s_cbranch_execnz .LBB46_1056
.LBB46_389:                             ;   in Loop: Header=BB46_3 Depth=1
	s_or_b32 exec_lo, exec_lo, s6
	s_and_saveexec_b32 s6, s17
	s_cbranch_execz .LBB46_391
.LBB46_390:                             ;   in Loop: Header=BB46_3 Depth=1
	ds_load_b64 v[36:37], v46 offset:11968
	ds_load_b64 v[38:39], v1 offset:8376
	s_wait_dscnt 0x0
	v_fmac_f64_e32 v[34:35], v[36:37], v[38:39]
.LBB46_391:                             ;   in Loop: Header=BB46_3 Depth=1
	s_or_b32 exec_lo, exec_lo, s6
	s_delay_alu instid0(VALU_DEP_1)
	v_xor_b32_e32 v35, 0x80000000, v35
.LBB46_392:                             ;   in Loop: Header=BB46_3 Depth=1
	s_or_b32 exec_lo, exec_lo, s10
	s_and_saveexec_b32 s6, s42
	s_cbranch_execz .LBB46_394
; %bb.393:                              ;   in Loop: Header=BB46_3 Depth=1
	ds_load_b64 v[36:37], v1 offset:12480
	s_wait_dscnt 0x0
	v_mul_f64_e32 v[34:35], v[34:35], v[36:37]
	ds_store_b64 v54, v[34:35]
.LBB46_394:                             ;   in Loop: Header=BB46_3 Depth=1
	s_or_b32 exec_lo, exec_lo, s6
	s_wait_dscnt 0x0
	s_barrier_signal -1
	s_barrier_wait -1
	s_and_saveexec_b32 s6, s43
	s_cbranch_execz .LBB46_396
; %bb.395:                              ;   in Loop: Header=BB46_3 Depth=1
	ds_load_b64 v[36:37], v53 offset:12480
	ds_load_b64 v[38:39], v54
	s_wait_dscnt 0x0
	v_fmac_f64_e32 v[34:35], v[36:37], v[38:39]
.LBB46_396:                             ;   in Loop: Header=BB46_3 Depth=1
	s_or_b32 exec_lo, exec_lo, s6
	s_barrier_signal -1
	s_barrier_wait -1
	s_and_saveexec_b32 s6, s44
	s_cbranch_execz .LBB46_398
; %bb.397:                              ;   in Loop: Header=BB46_3 Depth=1
	ds_load_b64 v[36:37], v1 offset:13000
	s_wait_dscnt 0x0
	v_mul_f64_e32 v[34:35], v[34:35], v[36:37]
	ds_store_b64 v54, v[34:35]
.LBB46_398:                             ;   in Loop: Header=BB46_3 Depth=1
	s_or_b32 exec_lo, exec_lo, s6
	s_wait_dscnt 0x0
	s_barrier_signal -1
	s_barrier_wait -1
	s_and_saveexec_b32 s6, s45
	s_cbranch_execz .LBB46_400
; %bb.399:                              ;   in Loop: Header=BB46_3 Depth=1
	ds_load_b64 v[36:37], v53 offset:12992
	ds_load_b64 v[38:39], v54
	s_wait_dscnt 0x0
	v_fmac_f64_e32 v[34:35], v[36:37], v[38:39]
.LBB46_400:                             ;   in Loop: Header=BB46_3 Depth=1
	s_or_b32 exec_lo, exec_lo, s6
	s_barrier_signal -1
	s_barrier_wait -1
	;; [unrolled: 23-line block ×7, first 2 shown]
	s_and_saveexec_b32 s6, s55
	s_cbranch_execz .LBB46_422
; %bb.421:                              ;   in Loop: Header=BB46_3 Depth=1
	ds_load_b64 v[36:37], v1 offset:16120
	s_wait_dscnt 0x0
	v_mul_f64_e32 v[34:35], v[34:35], v[36:37]
	ds_store_b64 v54, v[34:35]
.LBB46_422:                             ;   in Loop: Header=BB46_3 Depth=1
	s_or_b32 exec_lo, exec_lo, s6
	s_wait_dscnt 0x0
	s_barrier_signal -1
	s_barrier_wait -1
	s_barrier_signal -1
	s_barrier_wait -1
	s_and_saveexec_b32 s6, s3
; %bb.423:                              ;   in Loop: Header=BB46_3 Depth=1
	s_delay_alu instid0(VALU_DEP_1)
	v_xor_b32_e32 v35, 0x80000000, v35
	ds_store_b64 v55, v[34:35] offset:8384
; %bb.424:                              ;   in Loop: Header=BB46_3 Depth=1
	s_or_b32 exec_lo, exec_lo, s6
	s_wait_dscnt 0x0
	s_barrier_signal -1
	s_barrier_wait -1
	s_barrier_signal -1
	s_barrier_wait -1
	s_and_saveexec_b32 s10, s14
	s_cbranch_execz .LBB46_426
; %bb.425:                              ;   in Loop: Header=BB46_3 Depth=1
	ds_load_b128 v[34:37], v1 offset:12480
	ds_load_b64 v[38:39], v1 offset:13000
	s_wait_dscnt 0x0
	v_mul_f64_e32 v[34:35], v[34:35], v[38:39]
	s_delay_alu instid0(VALU_DEP_1)
	v_mul_f64_e32 v[34:35], v[36:37], v[34:35]
	ds_store_b64 v1, v[34:35] offset:12488
.LBB46_426:                             ;   in Loop: Header=BB46_3 Depth=1
	s_or_b32 exec_lo, exec_lo, s10
	v_mov_b64_e32 v[34:35], 0
	s_wait_dscnt 0x0
	s_barrier_signal -1
	s_barrier_wait -1
	s_and_saveexec_b32 s10, s1
	s_cbranch_execz .LBB46_430
; %bb.427:                              ;   in Loop: Header=BB46_3 Depth=1
	ds_load_b64 v[34:35], v44 offset:12496
	ds_load_b64 v[36:37], v45 offset:12480
	s_wait_dscnt 0x0
	v_fma_f64 v[34:35], v[34:35], v[36:37], 0
	s_and_saveexec_b32 s6, s15
	s_cbranch_execz .LBB46_429
; %bb.428:                              ;   in Loop: Header=BB46_3 Depth=1
	ds_load_b64 v[36:37], v46 offset:13008
	ds_load_b64 v[38:39], v1 offset:12488
	s_wait_dscnt 0x0
	v_fmac_f64_e32 v[34:35], v[36:37], v[38:39]
.LBB46_429:                             ;   in Loop: Header=BB46_3 Depth=1
	s_or_b32 exec_lo, exec_lo, s6
	s_delay_alu instid0(VALU_DEP_1)
	v_xor_b32_e32 v35, 0x80000000, v35
.LBB46_430:                             ;   in Loop: Header=BB46_3 Depth=1
	s_or_b32 exec_lo, exec_lo, s10
	s_and_saveexec_b32 s6, s104
	s_cbranch_execz .LBB46_432
; %bb.431:                              ;   in Loop: Header=BB46_3 Depth=1
	ds_load_b64 v[36:37], v1 offset:13520
	s_wait_dscnt 0x0
	v_mul_f64_e32 v[34:35], v[34:35], v[36:37]
	ds_store_b64 v3, v[34:35]
.LBB46_432:                             ;   in Loop: Header=BB46_3 Depth=1
	s_or_b32 exec_lo, exec_lo, s6
	s_wait_dscnt 0x0
	s_barrier_signal -1
	s_barrier_wait -1
	s_and_saveexec_b32 s6, vcc_hi
	s_cbranch_execz .LBB46_434
; %bb.433:                              ;   in Loop: Header=BB46_3 Depth=1
	ds_load_b64 v[36:37], v1 offset:13528
	ds_load_b64 v[38:39], v3
	s_wait_dscnt 0x0
	v_fmac_f64_e32 v[34:35], v[36:37], v[38:39]
.LBB46_434:                             ;   in Loop: Header=BB46_3 Depth=1
	s_or_b32 exec_lo, exec_lo, s6
	s_barrier_signal -1
	s_barrier_wait -1
	s_and_saveexec_b32 s6, vcc_hi
	s_cbranch_execz .LBB46_436
; %bb.435:                              ;   in Loop: Header=BB46_3 Depth=1
	ds_load_b64 v[36:37], v1 offset:14040
	s_wait_dscnt 0x0
	v_mul_f64_e32 v[34:35], v[34:35], v[36:37]
	ds_store_b64 v3, v[34:35]
.LBB46_436:                             ;   in Loop: Header=BB46_3 Depth=1
	s_or_b32 exec_lo, exec_lo, s6
	s_wait_dscnt 0x0
	s_barrier_signal -1
	s_barrier_wait -1
	s_barrier_signal -1
	s_barrier_wait -1
	s_and_saveexec_b32 s6, s1
; %bb.437:                              ;   in Loop: Header=BB46_3 Depth=1
	s_delay_alu instid0(VALU_DEP_1)
	v_xor_b32_e32 v35, 0x80000000, v35
	ds_store_b64 v44, v[34:35] offset:12496
; %bb.438:                              ;   in Loop: Header=BB46_3 Depth=1
	s_or_b32 exec_lo, exec_lo, s6
	s_wait_dscnt 0x0
	s_barrier_signal -1
	s_barrier_wait -1
	s_barrier_signal -1
	s_barrier_wait -1
	s_and_saveexec_b32 s10, s14
	s_cbranch_execz .LBB46_440
; %bb.439:                              ;   in Loop: Header=BB46_3 Depth=1
	ds_load_b128 v[34:37], v1 offset:13520
	ds_load_b64 v[38:39], v1 offset:14040
	s_wait_dscnt 0x0
	v_mul_f64_e32 v[34:35], v[34:35], v[38:39]
	s_delay_alu instid0(VALU_DEP_1)
	v_mul_f64_e32 v[34:35], v[36:37], v[34:35]
	ds_store_b64 v1, v[34:35] offset:13528
.LBB46_440:                             ;   in Loop: Header=BB46_3 Depth=1
	s_or_b32 exec_lo, exec_lo, s10
	v_mov_b64_e32 v[34:35], 0
	s_wait_dscnt 0x0
	s_barrier_signal -1
	s_barrier_wait -1
	s_and_saveexec_b32 s10, s2
	s_cbranch_execz .LBB46_446
; %bb.441:                              ;   in Loop: Header=BB46_3 Depth=1
	ds_load_b64 v[34:35], v50 offset:12512
	ds_load_b64 v[36:37], v47 offset:12480
	s_wait_dscnt 0x0
	v_fma_f64 v[34:35], v[34:35], v[36:37], 0
	s_and_saveexec_b32 s6, s16
	s_cbranch_execnz .LBB46_1057
; %bb.442:                              ;   in Loop: Header=BB46_3 Depth=1
	s_or_b32 exec_lo, exec_lo, s6
	s_and_saveexec_b32 s6, s17
	s_cbranch_execnz .LBB46_1058
.LBB46_443:                             ;   in Loop: Header=BB46_3 Depth=1
	s_or_b32 exec_lo, exec_lo, s6
	s_and_saveexec_b32 s6, s1
	s_cbranch_execz .LBB46_445
.LBB46_444:                             ;   in Loop: Header=BB46_3 Depth=1
	ds_load_b64 v[36:37], v46 offset:14048
	ds_load_b64 v[38:39], v1 offset:12504
	s_wait_dscnt 0x0
	v_fmac_f64_e32 v[34:35], v[36:37], v[38:39]
.LBB46_445:                             ;   in Loop: Header=BB46_3 Depth=1
	s_or_b32 exec_lo, exec_lo, s6
	s_delay_alu instid0(VALU_DEP_1)
	v_xor_b32_e32 v35, 0x80000000, v35
.LBB46_446:                             ;   in Loop: Header=BB46_3 Depth=1
	s_or_b32 exec_lo, exec_lo, s10
	s_and_saveexec_b32 s6, s36
	s_cbranch_execz .LBB46_448
; %bb.447:                              ;   in Loop: Header=BB46_3 Depth=1
	ds_load_b64 v[36:37], v1 offset:14560
	s_wait_dscnt 0x0
	v_mul_f64_e32 v[34:35], v[34:35], v[36:37]
	ds_store_b64 v48, v[34:35]
.LBB46_448:                             ;   in Loop: Header=BB46_3 Depth=1
	s_or_b32 exec_lo, exec_lo, s6
	s_wait_dscnt 0x0
	s_barrier_signal -1
	s_barrier_wait -1
	s_and_saveexec_b32 s6, s37
	s_cbranch_execz .LBB46_450
; %bb.449:                              ;   in Loop: Header=BB46_3 Depth=1
	ds_load_b64 v[36:37], v49 offset:14560
	ds_load_b64 v[38:39], v48
	s_wait_dscnt 0x0
	v_fmac_f64_e32 v[34:35], v[36:37], v[38:39]
.LBB46_450:                             ;   in Loop: Header=BB46_3 Depth=1
	s_or_b32 exec_lo, exec_lo, s6
	s_barrier_signal -1
	s_barrier_wait -1
	s_and_saveexec_b32 s6, s38
	s_cbranch_execz .LBB46_452
; %bb.451:                              ;   in Loop: Header=BB46_3 Depth=1
	ds_load_b64 v[36:37], v1 offset:15080
	s_wait_dscnt 0x0
	v_mul_f64_e32 v[34:35], v[34:35], v[36:37]
	ds_store_b64 v48, v[34:35]
.LBB46_452:                             ;   in Loop: Header=BB46_3 Depth=1
	s_or_b32 exec_lo, exec_lo, s6
	s_wait_dscnt 0x0
	s_barrier_signal -1
	s_barrier_wait -1
	s_and_saveexec_b32 s6, s39
	s_cbranch_execz .LBB46_454
; %bb.453:                              ;   in Loop: Header=BB46_3 Depth=1
	ds_load_b64 v[36:37], v49 offset:15072
	ds_load_b64 v[38:39], v48
	s_wait_dscnt 0x0
	v_fmac_f64_e32 v[34:35], v[36:37], v[38:39]
.LBB46_454:                             ;   in Loop: Header=BB46_3 Depth=1
	s_or_b32 exec_lo, exec_lo, s6
	s_barrier_signal -1
	s_barrier_wait -1
	;; [unrolled: 23-line block ×3, first 2 shown]
	s_and_saveexec_b32 s6, s41
	s_cbranch_execz .LBB46_460
; %bb.459:                              ;   in Loop: Header=BB46_3 Depth=1
	ds_load_b64 v[36:37], v1 offset:16120
	s_wait_dscnt 0x0
	v_mul_f64_e32 v[34:35], v[34:35], v[36:37]
	ds_store_b64 v48, v[34:35]
.LBB46_460:                             ;   in Loop: Header=BB46_3 Depth=1
	s_or_b32 exec_lo, exec_lo, s6
	s_wait_dscnt 0x0
	s_barrier_signal -1
	s_barrier_wait -1
	s_barrier_signal -1
	s_barrier_wait -1
	s_and_saveexec_b32 s6, s2
; %bb.461:                              ;   in Loop: Header=BB46_3 Depth=1
	s_delay_alu instid0(VALU_DEP_1)
	v_xor_b32_e32 v35, 0x80000000, v35
	ds_store_b64 v50, v[34:35] offset:12512
; %bb.462:                              ;   in Loop: Header=BB46_3 Depth=1
	s_or_b32 exec_lo, exec_lo, s6
	s_wait_dscnt 0x0
	s_barrier_signal -1
	s_barrier_wait -1
	s_barrier_signal -1
	s_barrier_wait -1
	s_and_saveexec_b32 s10, s14
	s_cbranch_execz .LBB46_464
; %bb.463:                              ;   in Loop: Header=BB46_3 Depth=1
	ds_load_b128 v[34:37], v1 offset:14560
	ds_load_b64 v[38:39], v1 offset:15080
	s_wait_dscnt 0x0
	v_mul_f64_e32 v[34:35], v[34:35], v[38:39]
	s_delay_alu instid0(VALU_DEP_1)
	v_mul_f64_e32 v[34:35], v[36:37], v[34:35]
	ds_store_b64 v1, v[34:35] offset:14568
.LBB46_464:                             ;   in Loop: Header=BB46_3 Depth=1
	s_or_b32 exec_lo, exec_lo, s10
	v_mov_b64_e32 v[34:35], 0
	s_wait_dscnt 0x0
	s_barrier_signal -1
	s_barrier_wait -1
	s_and_saveexec_b32 s10, s1
	s_cbranch_execz .LBB46_468
; %bb.465:                              ;   in Loop: Header=BB46_3 Depth=1
	ds_load_b64 v[34:35], v44 offset:14576
	ds_load_b64 v[36:37], v45 offset:14560
	s_wait_dscnt 0x0
	v_fma_f64 v[34:35], v[34:35], v[36:37], 0
	s_and_saveexec_b32 s6, s15
	s_cbranch_execz .LBB46_467
; %bb.466:                              ;   in Loop: Header=BB46_3 Depth=1
	ds_load_b64 v[36:37], v46 offset:15088
	ds_load_b64 v[38:39], v1 offset:14568
	s_wait_dscnt 0x0
	v_fmac_f64_e32 v[34:35], v[36:37], v[38:39]
.LBB46_467:                             ;   in Loop: Header=BB46_3 Depth=1
	s_or_b32 exec_lo, exec_lo, s6
	s_delay_alu instid0(VALU_DEP_1)
	v_xor_b32_e32 v35, 0x80000000, v35
.LBB46_468:                             ;   in Loop: Header=BB46_3 Depth=1
	s_or_b32 exec_lo, exec_lo, s10
	s_and_saveexec_b32 s6, s104
	s_cbranch_execz .LBB46_470
; %bb.469:                              ;   in Loop: Header=BB46_3 Depth=1
	ds_load_b64 v[36:37], v1 offset:15600
	s_wait_dscnt 0x0
	v_mul_f64_e32 v[34:35], v[34:35], v[36:37]
	ds_store_b64 v3, v[34:35]
.LBB46_470:                             ;   in Loop: Header=BB46_3 Depth=1
	s_or_b32 exec_lo, exec_lo, s6
	s_wait_dscnt 0x0
	s_barrier_signal -1
	s_barrier_wait -1
	s_and_saveexec_b32 s6, vcc_hi
	s_cbranch_execz .LBB46_472
; %bb.471:                              ;   in Loop: Header=BB46_3 Depth=1
	ds_load_b64 v[36:37], v1 offset:15608
	ds_load_b64 v[38:39], v3
	s_wait_dscnt 0x0
	v_fmac_f64_e32 v[34:35], v[36:37], v[38:39]
.LBB46_472:                             ;   in Loop: Header=BB46_3 Depth=1
	s_or_b32 exec_lo, exec_lo, s6
	s_barrier_signal -1
	s_barrier_wait -1
	s_and_saveexec_b32 s6, vcc_hi
	s_cbranch_execz .LBB46_474
; %bb.473:                              ;   in Loop: Header=BB46_3 Depth=1
	ds_load_b64 v[36:37], v1 offset:16120
	s_wait_dscnt 0x0
	v_mul_f64_e32 v[34:35], v[34:35], v[36:37]
	ds_store_b64 v3, v[34:35]
.LBB46_474:                             ;   in Loop: Header=BB46_3 Depth=1
	s_or_b32 exec_lo, exec_lo, s6
	s_wait_dscnt 0x0
	s_barrier_signal -1
	s_barrier_wait -1
	s_barrier_signal -1
	s_barrier_wait -1
	s_and_saveexec_b32 s6, s1
; %bb.475:                              ;   in Loop: Header=BB46_3 Depth=1
	s_delay_alu instid0(VALU_DEP_1)
	v_xor_b32_e32 v35, 0x80000000, v35
	ds_store_b64 v44, v[34:35] offset:14576
; %bb.476:                              ;   in Loop: Header=BB46_3 Depth=1
	s_or_b32 exec_lo, exec_lo, s6
	s_wait_dscnt 0x0
	s_barrier_signal -1
	s_barrier_wait -1
	s_barrier_signal -1
	s_barrier_wait -1
	s_and_saveexec_b32 s10, s14
	s_cbranch_execz .LBB46_478
; %bb.477:                              ;   in Loop: Header=BB46_3 Depth=1
	ds_load_b128 v[34:37], v1 offset:15600
	ds_load_b64 v[38:39], v1 offset:16120
	s_wait_dscnt 0x0
	v_mul_f64_e32 v[34:35], v[34:35], v[38:39]
	s_delay_alu instid0(VALU_DEP_1)
	v_mul_f64_e32 v[34:35], v[36:37], v[34:35]
	ds_store_b64 v1, v[34:35] offset:15608
.LBB46_478:                             ;   in Loop: Header=BB46_3 Depth=1
	s_or_b32 exec_lo, exec_lo, s10
	v_mov_b64_e32 v[34:35], 0
	s_wait_dscnt 0x0
	s_barrier_signal -1
	s_barrier_wait -1
	s_and_saveexec_b32 s69, s35
	s_cbranch_execz .LBB46_538
; %bb.479:                              ;   in Loop: Header=BB46_3 Depth=1
	v_add_nc_u32_e32 v0, v64, v62
	ds_load_b64 v[34:35], v66 offset:256
	ds_load_b64 v[36:37], v0
	s_wait_dscnt 0x0
	v_fma_f64 v[34:35], v[34:35], v[36:37], 0
	s_mov_b32 s6, exec_lo
	v_readlane_b32 s10, v83, 7
	s_and_b32 s10, s6, s10
	s_delay_alu instid0(SALU_CYCLE_1)
	s_mov_b32 exec_lo, s10
	s_cbranch_execz .LBB46_481
; %bb.480:                              ;   in Loop: Header=BB46_3 Depth=1
	ds_load_b64 v[36:37], v66 offset:768
	ds_load_b64 v[38:39], v0 offset:8
	s_wait_dscnt 0x0
	v_fmac_f64_e32 v[34:35], v[36:37], v[38:39]
.LBB46_481:                             ;   in Loop: Header=BB46_3 Depth=1
	s_or_b32 exec_lo, exec_lo, s6
	s_delay_alu instid0(SALU_CYCLE_1) | instskip(SKIP_2) | instid1(SALU_CYCLE_1)
	s_mov_b32 s6, exec_lo
	v_readlane_b32 s10, v83, 8
	s_and_b32 s10, s6, s10
	s_mov_b32 exec_lo, s10
	s_cbranch_execz .LBB46_483
; %bb.482:                              ;   in Loop: Header=BB46_3 Depth=1
	ds_load_b64 v[36:37], v66 offset:1280
	ds_load_b64 v[38:39], v0 offset:16
	s_wait_dscnt 0x0
	v_fmac_f64_e32 v[34:35], v[36:37], v[38:39]
.LBB46_483:                             ;   in Loop: Header=BB46_3 Depth=1
	s_or_b32 exec_lo, exec_lo, s6
	s_delay_alu instid0(SALU_CYCLE_1) | instskip(SKIP_2) | instid1(SALU_CYCLE_1)
	s_mov_b32 s6, exec_lo
	v_readlane_b32 s10, v83, 9
	s_and_b32 s10, s6, s10
	;; [unrolled: 13-line block ×22, first 2 shown]
	s_mov_b32 exec_lo, s10
	s_cbranch_execz .LBB46_525
; %bb.524:                              ;   in Loop: Header=BB46_3 Depth=1
	ds_load_b64 v[36:37], v66 offset:12032
	ds_load_b64 v[38:39], v0 offset:184
	s_wait_dscnt 0x0
	v_fmac_f64_e32 v[34:35], v[36:37], v[38:39]
.LBB46_525:                             ;   in Loop: Header=BB46_3 Depth=1
	s_or_b32 exec_lo, exec_lo, s6
	s_and_saveexec_b32 s6, s4
	s_cbranch_execz .LBB46_527
; %bb.526:                              ;   in Loop: Header=BB46_3 Depth=1
	ds_load_b64 v[36:37], v66 offset:12544
	ds_load_b64 v[38:39], v0 offset:192
	s_wait_dscnt 0x0
	v_fmac_f64_e32 v[34:35], v[36:37], v[38:39]
.LBB46_527:                             ;   in Loop: Header=BB46_3 Depth=1
	s_or_b32 exec_lo, exec_lo, s6
	s_delay_alu instid0(SALU_CYCLE_1) | instskip(SKIP_2) | instid1(SALU_CYCLE_1)
	s_mov_b32 s6, exec_lo
	v_readlane_b32 s10, v84, 31
	s_and_b32 s10, s6, s10
	s_mov_b32 exec_lo, s10
	s_cbranch_execz .LBB46_529
; %bb.528:                              ;   in Loop: Header=BB46_3 Depth=1
	ds_load_b64 v[36:37], v66 offset:13056
	ds_load_b64 v[38:39], v0 offset:200
	s_wait_dscnt 0x0
	v_fmac_f64_e32 v[34:35], v[36:37], v[38:39]
.LBB46_529:                             ;   in Loop: Header=BB46_3 Depth=1
	s_or_b32 exec_lo, exec_lo, s6
	s_delay_alu instid0(SALU_CYCLE_1) | instskip(SKIP_2) | instid1(SALU_CYCLE_1)
	s_mov_b32 s6, exec_lo
	v_readlane_b32 s10, v83, 1
	s_and_b32 s10, s6, s10
	s_mov_b32 exec_lo, s10
	;; [unrolled: 13-line block ×3, first 2 shown]
	s_cbranch_execnz .LBB46_1059
; %bb.532:                              ;   in Loop: Header=BB46_3 Depth=1
	s_or_b32 exec_lo, exec_lo, s6
	s_and_saveexec_b32 s6, s7
	s_cbranch_execnz .LBB46_1060
.LBB46_533:                             ;   in Loop: Header=BB46_3 Depth=1
	s_or_b32 exec_lo, exec_lo, s6
	s_and_saveexec_b32 s6, s8
	s_cbranch_execnz .LBB46_1061
.LBB46_534:                             ;   in Loop: Header=BB46_3 Depth=1
	s_or_b32 exec_lo, exec_lo, s6
	s_and_saveexec_b32 s6, s3
	s_cbranch_execnz .LBB46_1062
.LBB46_535:                             ;   in Loop: Header=BB46_3 Depth=1
	s_or_b32 exec_lo, exec_lo, s6
	s_and_saveexec_b32 s6, s21
	s_cbranch_execz .LBB46_537
.LBB46_536:                             ;   in Loop: Header=BB46_3 Depth=1
	ds_load_b64 v[36:37], v46 offset:16128
	ds_load_b64 v[38:39], v1 offset:248
	s_wait_dscnt 0x0
	v_fmac_f64_e32 v[34:35], v[36:37], v[38:39]
.LBB46_537:                             ;   in Loop: Header=BB46_3 Depth=1
	s_or_b32 exec_lo, exec_lo, s6
	s_delay_alu instid0(VALU_DEP_1)
	v_xor_b32_e32 v35, 0x80000000, v35
.LBB46_538:                             ;   in Loop: Header=BB46_3 Depth=1
	s_or_b32 exec_lo, exec_lo, s69
	v_dual_mov_b32 v0, v63 :: v_dual_mov_b32 v36, v76
	s_mov_b32 s10, 0
	s_branch .LBB46_540
.LBB46_539:                             ;   in Loop: Header=BB46_540 Depth=2
	s_or_b32 exec_lo, exec_lo, s6
	v_add_nc_u32_e32 v36, 0x800, v36
	v_add_nc_u32_e32 v0, -4, v0
	s_add_co_i32 s10, s10, 4
	s_delay_alu instid0(SALU_CYCLE_1)
	s_cmp_eq_u32 s10, 32
	s_barrier_signal -1
	s_barrier_wait -1
	s_cbranch_scc1 .LBB46_556
.LBB46_540:                             ;   Parent Loop BB46_3 Depth=1
                                        ; =>  This Inner Loop Header: Depth=2
	s_delay_alu instid0(VALU_DEP_1) | instskip(SKIP_1) | instid1(SALU_CYCLE_1)
	v_cmp_eq_u32_e32 vcc_lo, 0, v0
	s_and_b32 s11, s9, vcc_lo
	s_and_saveexec_b32 s6, s11
	s_cbranch_execz .LBB46_542
; %bb.541:                              ;   in Loop: Header=BB46_540 Depth=2
	ds_load_b64 v[38:39], v67 offset:16640
	s_wait_dscnt 0x0
	v_mul_f64_e32 v[34:35], v[34:35], v[38:39]
	ds_store_b64 v65, v[34:35]
.LBB46_542:                             ;   in Loop: Header=BB46_540 Depth=2
	s_or_b32 exec_lo, exec_lo, s6
	v_cmp_lt_u32_e32 vcc_lo, s10, v63
	s_wait_dscnt 0x0
	s_barrier_signal -1
	s_barrier_wait -1
	s_and_b32 s11, s9, vcc_lo
	s_delay_alu instid0(SALU_CYCLE_1)
	s_and_saveexec_b32 s6, s11
	s_cbranch_execz .LBB46_544
; %bb.543:                              ;   in Loop: Header=BB46_540 Depth=2
	ds_load_b64 v[38:39], v36
	ds_load_b64 v[40:41], v65
	s_wait_dscnt 0x0
	v_fmac_f64_e32 v[34:35], v[38:39], v[40:41]
.LBB46_544:                             ;   in Loop: Header=BB46_540 Depth=2
	s_or_b32 exec_lo, exec_lo, s6
	s_or_b32 s11, s10, 1
	s_delay_alu instid0(SALU_CYCLE_1) | instskip(SKIP_3) | instid1(SALU_CYCLE_1)
	v_cmp_eq_u32_e32 vcc_lo, s11, v63
	s_barrier_signal -1
	s_barrier_wait -1
	s_and_b32 s69, s9, vcc_lo
	s_and_saveexec_b32 s6, s69
	s_cbranch_execz .LBB46_546
; %bb.545:                              ;   in Loop: Header=BB46_540 Depth=2
	ds_load_b64 v[38:39], v67 offset:16640
	s_wait_dscnt 0x0
	v_mul_f64_e32 v[34:35], v[34:35], v[38:39]
	ds_store_b64 v65, v[34:35]
.LBB46_546:                             ;   in Loop: Header=BB46_540 Depth=2
	s_or_b32 exec_lo, exec_lo, s6
	v_cmp_lt_u32_e32 vcc_lo, s11, v63
	s_wait_dscnt 0x0
	s_barrier_signal -1
	s_barrier_wait -1
	s_and_b32 s11, s9, vcc_lo
	s_delay_alu instid0(SALU_CYCLE_1)
	s_and_saveexec_b32 s6, s11
	s_cbranch_execz .LBB46_548
; %bb.547:                              ;   in Loop: Header=BB46_540 Depth=2
	ds_load_b64 v[38:39], v36 offset:512
	ds_load_b64 v[40:41], v65
	s_wait_dscnt 0x0
	v_fmac_f64_e32 v[34:35], v[38:39], v[40:41]
.LBB46_548:                             ;   in Loop: Header=BB46_540 Depth=2
	s_or_b32 exec_lo, exec_lo, s6
	s_or_b32 s11, s10, 2
	s_delay_alu instid0(SALU_CYCLE_1) | instskip(SKIP_3) | instid1(SALU_CYCLE_1)
	v_cmp_eq_u32_e32 vcc_lo, s11, v63
	s_barrier_signal -1
	s_barrier_wait -1
	s_and_b32 s69, s9, vcc_lo
	s_and_saveexec_b32 s6, s69
	s_cbranch_execz .LBB46_550
; %bb.549:                              ;   in Loop: Header=BB46_540 Depth=2
	ds_load_b64 v[38:39], v67 offset:16640
	s_wait_dscnt 0x0
	v_mul_f64_e32 v[34:35], v[34:35], v[38:39]
	ds_store_b64 v65, v[34:35]
.LBB46_550:                             ;   in Loop: Header=BB46_540 Depth=2
	s_or_b32 exec_lo, exec_lo, s6
	v_cmp_lt_u32_e32 vcc_lo, s11, v63
	s_wait_dscnt 0x0
	s_barrier_signal -1
	s_barrier_wait -1
	s_and_b32 s11, s9, vcc_lo
	s_delay_alu instid0(SALU_CYCLE_1)
	s_and_saveexec_b32 s6, s11
	s_cbranch_execz .LBB46_552
; %bb.551:                              ;   in Loop: Header=BB46_540 Depth=2
	ds_load_b64 v[38:39], v36 offset:1024
	ds_load_b64 v[40:41], v65
	s_wait_dscnt 0x0
	v_fmac_f64_e32 v[34:35], v[38:39], v[40:41]
.LBB46_552:                             ;   in Loop: Header=BB46_540 Depth=2
	s_or_b32 exec_lo, exec_lo, s6
	s_or_b32 s11, s10, 3
	s_delay_alu instid0(SALU_CYCLE_1) | instskip(SKIP_3) | instid1(SALU_CYCLE_1)
	v_cmp_eq_u32_e32 vcc_lo, s11, v63
	s_barrier_signal -1
	s_barrier_wait -1
	s_and_b32 s69, s9, vcc_lo
	s_and_saveexec_b32 s6, s69
	s_cbranch_execz .LBB46_554
; %bb.553:                              ;   in Loop: Header=BB46_540 Depth=2
	ds_load_b64 v[38:39], v67 offset:16640
	s_wait_dscnt 0x0
	v_mul_f64_e32 v[34:35], v[34:35], v[38:39]
	ds_store_b64 v65, v[34:35]
.LBB46_554:                             ;   in Loop: Header=BB46_540 Depth=2
	s_or_b32 exec_lo, exec_lo, s6
	v_cmp_lt_u32_e32 vcc_lo, s11, v63
	s_wait_dscnt 0x0
	s_barrier_signal -1
	s_barrier_wait -1
	s_and_b32 s11, s9, vcc_lo
	s_delay_alu instid0(SALU_CYCLE_1)
	s_and_saveexec_b32 s6, s11
	s_cbranch_execz .LBB46_539
; %bb.555:                              ;   in Loop: Header=BB46_540 Depth=2
	ds_load_b64 v[38:39], v36 offset:1536
	ds_load_b64 v[40:41], v65
	s_wait_dscnt 0x0
	v_fmac_f64_e32 v[34:35], v[38:39], v[40:41]
	s_branch .LBB46_539
.LBB46_556:                             ;   in Loop: Header=BB46_3 Depth=1
	s_and_saveexec_b32 s6, s35
; %bb.557:                              ;   in Loop: Header=BB46_3 Depth=1
	s_delay_alu instid0(VALU_DEP_3)
	v_xor_b32_e32 v35, 0x80000000, v35
	ds_store_b64 v66, v[34:35] offset:256
; %bb.558:                              ;   in Loop: Header=BB46_3 Depth=1
	s_or_b32 exec_lo, exec_lo, s6
	s_wait_dscnt 0x0
	s_barrier_signal -1
	s_barrier_wait -1
	s_barrier_signal -1
	s_barrier_wait -1
	s_and_saveexec_b32 s10, s14
	s_cbranch_execz .LBB46_560
; %bb.559:                              ;   in Loop: Header=BB46_3 Depth=1
	ds_load_b128 v[34:37], v1 offset:16640
	ds_load_b64 v[38:39], v1 offset:17160
	s_wait_dscnt 0x0
	v_mul_f64_e32 v[34:35], v[34:35], v[38:39]
	s_delay_alu instid0(VALU_DEP_1)
	v_mul_f64_e32 v[34:35], v[36:37], v[34:35]
	ds_store_b64 v1, v[34:35] offset:16648
.LBB46_560:                             ;   in Loop: Header=BB46_3 Depth=1
	s_or_b32 exec_lo, exec_lo, s10
	v_mov_b64_e32 v[34:35], 0
	s_wait_dscnt 0x0
	s_barrier_signal -1
	s_barrier_wait -1
	s_and_saveexec_b32 s10, s1
	s_cbranch_execz .LBB46_564
; %bb.561:                              ;   in Loop: Header=BB46_3 Depth=1
	ds_load_b64 v[34:35], v44 offset:16656
	ds_load_b64 v[36:37], v45 offset:16640
	s_wait_dscnt 0x0
	v_fma_f64 v[34:35], v[34:35], v[36:37], 0
	s_and_saveexec_b32 s6, s15
	s_cbranch_execz .LBB46_563
; %bb.562:                              ;   in Loop: Header=BB46_3 Depth=1
	ds_load_b64 v[36:37], v46 offset:17168
	ds_load_b64 v[38:39], v1 offset:16648
	s_wait_dscnt 0x0
	v_fmac_f64_e32 v[34:35], v[36:37], v[38:39]
.LBB46_563:                             ;   in Loop: Header=BB46_3 Depth=1
	s_or_b32 exec_lo, exec_lo, s6
	s_delay_alu instid0(VALU_DEP_1)
	v_xor_b32_e32 v35, 0x80000000, v35
.LBB46_564:                             ;   in Loop: Header=BB46_3 Depth=1
	s_or_b32 exec_lo, exec_lo, s10
	s_and_saveexec_b32 s6, s104
	s_cbranch_execz .LBB46_566
; %bb.565:                              ;   in Loop: Header=BB46_3 Depth=1
	ds_load_b64 v[36:37], v1 offset:17680
	s_wait_dscnt 0x0
	v_mul_f64_e32 v[34:35], v[34:35], v[36:37]
	ds_store_b64 v3, v[34:35]
.LBB46_566:                             ;   in Loop: Header=BB46_3 Depth=1
	s_or_b32 exec_lo, exec_lo, s6
	s_wait_dscnt 0x0
	s_barrier_signal -1
	s_barrier_wait -1
	s_and_saveexec_b32 s6, vcc_hi
	s_cbranch_execz .LBB46_568
; %bb.567:                              ;   in Loop: Header=BB46_3 Depth=1
	ds_load_b64 v[36:37], v1 offset:17688
	ds_load_b64 v[38:39], v3
	s_wait_dscnt 0x0
	v_fmac_f64_e32 v[34:35], v[36:37], v[38:39]
.LBB46_568:                             ;   in Loop: Header=BB46_3 Depth=1
	s_or_b32 exec_lo, exec_lo, s6
	s_barrier_signal -1
	s_barrier_wait -1
	s_and_saveexec_b32 s6, vcc_hi
	s_cbranch_execz .LBB46_570
; %bb.569:                              ;   in Loop: Header=BB46_3 Depth=1
	ds_load_b64 v[36:37], v1 offset:18200
	s_wait_dscnt 0x0
	v_mul_f64_e32 v[34:35], v[34:35], v[36:37]
	ds_store_b64 v3, v[34:35]
.LBB46_570:                             ;   in Loop: Header=BB46_3 Depth=1
	s_or_b32 exec_lo, exec_lo, s6
	s_wait_dscnt 0x0
	s_barrier_signal -1
	s_barrier_wait -1
	s_barrier_signal -1
	s_barrier_wait -1
	s_and_saveexec_b32 s6, s1
; %bb.571:                              ;   in Loop: Header=BB46_3 Depth=1
	s_delay_alu instid0(VALU_DEP_1)
	v_xor_b32_e32 v35, 0x80000000, v35
	ds_store_b64 v44, v[34:35] offset:16656
; %bb.572:                              ;   in Loop: Header=BB46_3 Depth=1
	s_or_b32 exec_lo, exec_lo, s6
	s_wait_dscnt 0x0
	s_barrier_signal -1
	s_barrier_wait -1
	s_barrier_signal -1
	s_barrier_wait -1
	s_and_saveexec_b32 s10, s14
	s_cbranch_execz .LBB46_574
; %bb.573:                              ;   in Loop: Header=BB46_3 Depth=1
	ds_load_b128 v[34:37], v1 offset:17680
	ds_load_b64 v[38:39], v1 offset:18200
	s_wait_dscnt 0x0
	v_mul_f64_e32 v[34:35], v[34:35], v[38:39]
	s_delay_alu instid0(VALU_DEP_1)
	v_mul_f64_e32 v[34:35], v[36:37], v[34:35]
	ds_store_b64 v1, v[34:35] offset:17688
.LBB46_574:                             ;   in Loop: Header=BB46_3 Depth=1
	s_or_b32 exec_lo, exec_lo, s10
	v_mov_b64_e32 v[34:35], 0
	s_wait_dscnt 0x0
	s_barrier_signal -1
	s_barrier_wait -1
	s_and_saveexec_b32 s10, s2
	s_cbranch_execz .LBB46_580
; %bb.575:                              ;   in Loop: Header=BB46_3 Depth=1
	ds_load_b64 v[34:35], v50 offset:16672
	ds_load_b64 v[36:37], v47 offset:16640
	s_wait_dscnt 0x0
	v_fma_f64 v[34:35], v[34:35], v[36:37], 0
	s_and_saveexec_b32 s6, s16
	s_cbranch_execnz .LBB46_1063
; %bb.576:                              ;   in Loop: Header=BB46_3 Depth=1
	s_or_b32 exec_lo, exec_lo, s6
	s_and_saveexec_b32 s6, s17
	s_cbranch_execnz .LBB46_1064
.LBB46_577:                             ;   in Loop: Header=BB46_3 Depth=1
	s_or_b32 exec_lo, exec_lo, s6
	s_and_saveexec_b32 s6, s1
	s_cbranch_execz .LBB46_579
.LBB46_578:                             ;   in Loop: Header=BB46_3 Depth=1
	ds_load_b64 v[36:37], v46 offset:18208
	ds_load_b64 v[38:39], v1 offset:16664
	s_wait_dscnt 0x0
	v_fmac_f64_e32 v[34:35], v[36:37], v[38:39]
.LBB46_579:                             ;   in Loop: Header=BB46_3 Depth=1
	s_or_b32 exec_lo, exec_lo, s6
	s_delay_alu instid0(VALU_DEP_1)
	v_xor_b32_e32 v35, 0x80000000, v35
.LBB46_580:                             ;   in Loop: Header=BB46_3 Depth=1
	s_or_b32 exec_lo, exec_lo, s10
	s_and_saveexec_b32 s6, s36
	s_cbranch_execz .LBB46_582
; %bb.581:                              ;   in Loop: Header=BB46_3 Depth=1
	ds_load_b64 v[36:37], v1 offset:18720
	s_wait_dscnt 0x0
	v_mul_f64_e32 v[34:35], v[34:35], v[36:37]
	ds_store_b64 v48, v[34:35]
.LBB46_582:                             ;   in Loop: Header=BB46_3 Depth=1
	s_or_b32 exec_lo, exec_lo, s6
	s_wait_dscnt 0x0
	s_barrier_signal -1
	s_barrier_wait -1
	s_and_saveexec_b32 s6, s37
	s_cbranch_execz .LBB46_584
; %bb.583:                              ;   in Loop: Header=BB46_3 Depth=1
	ds_load_b64 v[36:37], v49 offset:18720
	ds_load_b64 v[38:39], v48
	s_wait_dscnt 0x0
	v_fmac_f64_e32 v[34:35], v[36:37], v[38:39]
.LBB46_584:                             ;   in Loop: Header=BB46_3 Depth=1
	s_or_b32 exec_lo, exec_lo, s6
	s_barrier_signal -1
	s_barrier_wait -1
	s_and_saveexec_b32 s6, s38
	s_cbranch_execz .LBB46_586
; %bb.585:                              ;   in Loop: Header=BB46_3 Depth=1
	ds_load_b64 v[36:37], v1 offset:19240
	s_wait_dscnt 0x0
	v_mul_f64_e32 v[34:35], v[34:35], v[36:37]
	ds_store_b64 v48, v[34:35]
.LBB46_586:                             ;   in Loop: Header=BB46_3 Depth=1
	s_or_b32 exec_lo, exec_lo, s6
	s_wait_dscnt 0x0
	s_barrier_signal -1
	s_barrier_wait -1
	s_and_saveexec_b32 s6, s39
	s_cbranch_execz .LBB46_588
; %bb.587:                              ;   in Loop: Header=BB46_3 Depth=1
	ds_load_b64 v[36:37], v49 offset:19232
	ds_load_b64 v[38:39], v48
	s_wait_dscnt 0x0
	v_fmac_f64_e32 v[34:35], v[36:37], v[38:39]
.LBB46_588:                             ;   in Loop: Header=BB46_3 Depth=1
	s_or_b32 exec_lo, exec_lo, s6
	s_barrier_signal -1
	s_barrier_wait -1
	;; [unrolled: 23-line block ×3, first 2 shown]
	s_and_saveexec_b32 s6, s41
	s_cbranch_execz .LBB46_594
; %bb.593:                              ;   in Loop: Header=BB46_3 Depth=1
	ds_load_b64 v[36:37], v1 offset:20280
	s_wait_dscnt 0x0
	v_mul_f64_e32 v[34:35], v[34:35], v[36:37]
	ds_store_b64 v48, v[34:35]
.LBB46_594:                             ;   in Loop: Header=BB46_3 Depth=1
	s_or_b32 exec_lo, exec_lo, s6
	s_wait_dscnt 0x0
	s_barrier_signal -1
	s_barrier_wait -1
	s_barrier_signal -1
	s_barrier_wait -1
	s_and_saveexec_b32 s6, s2
; %bb.595:                              ;   in Loop: Header=BB46_3 Depth=1
	s_delay_alu instid0(VALU_DEP_1)
	v_xor_b32_e32 v35, 0x80000000, v35
	ds_store_b64 v50, v[34:35] offset:16672
; %bb.596:                              ;   in Loop: Header=BB46_3 Depth=1
	s_or_b32 exec_lo, exec_lo, s6
	s_wait_dscnt 0x0
	s_barrier_signal -1
	s_barrier_wait -1
	s_barrier_signal -1
	s_barrier_wait -1
	s_and_saveexec_b32 s10, s14
	s_cbranch_execz .LBB46_598
; %bb.597:                              ;   in Loop: Header=BB46_3 Depth=1
	ds_load_b128 v[34:37], v1 offset:18720
	ds_load_b64 v[38:39], v1 offset:19240
	s_wait_dscnt 0x0
	v_mul_f64_e32 v[34:35], v[34:35], v[38:39]
	s_delay_alu instid0(VALU_DEP_1)
	v_mul_f64_e32 v[34:35], v[36:37], v[34:35]
	ds_store_b64 v1, v[34:35] offset:18728
.LBB46_598:                             ;   in Loop: Header=BB46_3 Depth=1
	s_or_b32 exec_lo, exec_lo, s10
	v_mov_b64_e32 v[34:35], 0
	s_wait_dscnt 0x0
	s_barrier_signal -1
	s_barrier_wait -1
	s_and_saveexec_b32 s10, s1
	s_cbranch_execz .LBB46_602
; %bb.599:                              ;   in Loop: Header=BB46_3 Depth=1
	ds_load_b64 v[34:35], v44 offset:18736
	ds_load_b64 v[36:37], v45 offset:18720
	s_wait_dscnt 0x0
	v_fma_f64 v[34:35], v[34:35], v[36:37], 0
	s_and_saveexec_b32 s6, s15
	s_cbranch_execz .LBB46_601
; %bb.600:                              ;   in Loop: Header=BB46_3 Depth=1
	ds_load_b64 v[36:37], v46 offset:19248
	ds_load_b64 v[38:39], v1 offset:18728
	s_wait_dscnt 0x0
	v_fmac_f64_e32 v[34:35], v[36:37], v[38:39]
.LBB46_601:                             ;   in Loop: Header=BB46_3 Depth=1
	s_or_b32 exec_lo, exec_lo, s6
	s_delay_alu instid0(VALU_DEP_1)
	v_xor_b32_e32 v35, 0x80000000, v35
.LBB46_602:                             ;   in Loop: Header=BB46_3 Depth=1
	s_or_b32 exec_lo, exec_lo, s10
	s_and_saveexec_b32 s6, s104
	s_cbranch_execz .LBB46_604
; %bb.603:                              ;   in Loop: Header=BB46_3 Depth=1
	ds_load_b64 v[36:37], v1 offset:19760
	s_wait_dscnt 0x0
	v_mul_f64_e32 v[34:35], v[34:35], v[36:37]
	ds_store_b64 v3, v[34:35]
.LBB46_604:                             ;   in Loop: Header=BB46_3 Depth=1
	s_or_b32 exec_lo, exec_lo, s6
	s_wait_dscnt 0x0
	s_barrier_signal -1
	s_barrier_wait -1
	s_and_saveexec_b32 s6, vcc_hi
	s_cbranch_execz .LBB46_606
; %bb.605:                              ;   in Loop: Header=BB46_3 Depth=1
	ds_load_b64 v[36:37], v1 offset:19768
	ds_load_b64 v[38:39], v3
	s_wait_dscnt 0x0
	v_fmac_f64_e32 v[34:35], v[36:37], v[38:39]
.LBB46_606:                             ;   in Loop: Header=BB46_3 Depth=1
	s_or_b32 exec_lo, exec_lo, s6
	s_barrier_signal -1
	s_barrier_wait -1
	s_and_saveexec_b32 s6, vcc_hi
	s_cbranch_execz .LBB46_608
; %bb.607:                              ;   in Loop: Header=BB46_3 Depth=1
	ds_load_b64 v[36:37], v1 offset:20280
	s_wait_dscnt 0x0
	v_mul_f64_e32 v[34:35], v[34:35], v[36:37]
	ds_store_b64 v3, v[34:35]
.LBB46_608:                             ;   in Loop: Header=BB46_3 Depth=1
	s_or_b32 exec_lo, exec_lo, s6
	s_wait_dscnt 0x0
	s_barrier_signal -1
	s_barrier_wait -1
	s_barrier_signal -1
	s_barrier_wait -1
	s_and_saveexec_b32 s6, s1
; %bb.609:                              ;   in Loop: Header=BB46_3 Depth=1
	s_delay_alu instid0(VALU_DEP_1)
	v_xor_b32_e32 v35, 0x80000000, v35
	ds_store_b64 v44, v[34:35] offset:18736
; %bb.610:                              ;   in Loop: Header=BB46_3 Depth=1
	s_or_b32 exec_lo, exec_lo, s6
	s_wait_dscnt 0x0
	s_barrier_signal -1
	s_barrier_wait -1
	s_barrier_signal -1
	s_barrier_wait -1
	s_and_saveexec_b32 s10, s14
	s_cbranch_execz .LBB46_612
; %bb.611:                              ;   in Loop: Header=BB46_3 Depth=1
	ds_load_b128 v[34:37], v1 offset:19760
	ds_load_b64 v[38:39], v1 offset:20280
	s_wait_dscnt 0x0
	v_mul_f64_e32 v[34:35], v[34:35], v[38:39]
	s_delay_alu instid0(VALU_DEP_1)
	v_mul_f64_e32 v[34:35], v[36:37], v[34:35]
	ds_store_b64 v1, v[34:35] offset:19768
.LBB46_612:                             ;   in Loop: Header=BB46_3 Depth=1
	s_or_b32 exec_lo, exec_lo, s10
	v_mov_b64_e32 v[34:35], 0
	s_wait_dscnt 0x0
	s_barrier_signal -1
	s_barrier_wait -1
	s_and_saveexec_b32 s10, s3
	s_cbranch_execz .LBB46_622
; %bb.613:                              ;   in Loop: Header=BB46_3 Depth=1
	ds_load_b64 v[34:35], v55 offset:16704
	ds_load_b64 v[36:37], v52 offset:16640
	s_wait_dscnt 0x0
	v_fma_f64 v[34:35], v[34:35], v[36:37], 0
	s_and_saveexec_b32 s6, s18
	s_cbranch_execnz .LBB46_1065
; %bb.614:                              ;   in Loop: Header=BB46_3 Depth=1
	s_or_b32 exec_lo, exec_lo, s6
	s_and_saveexec_b32 s6, s19
	s_cbranch_execnz .LBB46_1066
.LBB46_615:                             ;   in Loop: Header=BB46_3 Depth=1
	s_or_b32 exec_lo, exec_lo, s6
	s_and_saveexec_b32 s6, s20
	s_cbranch_execnz .LBB46_1067
.LBB46_616:                             ;   in Loop: Header=BB46_3 Depth=1
	s_or_b32 exec_lo, exec_lo, s6
	s_and_saveexec_b32 s6, s21
	s_cbranch_execnz .LBB46_1068
.LBB46_617:                             ;   in Loop: Header=BB46_3 Depth=1
	s_or_b32 exec_lo, exec_lo, s6
	s_and_saveexec_b32 s6, s22
	s_cbranch_execnz .LBB46_1069
.LBB46_618:                             ;   in Loop: Header=BB46_3 Depth=1
	s_or_b32 exec_lo, exec_lo, s6
	s_and_saveexec_b32 s6, s2
	s_cbranch_execnz .LBB46_1070
.LBB46_619:                             ;   in Loop: Header=BB46_3 Depth=1
	s_or_b32 exec_lo, exec_lo, s6
	s_and_saveexec_b32 s6, s17
	s_cbranch_execz .LBB46_621
.LBB46_620:                             ;   in Loop: Header=BB46_3 Depth=1
	ds_load_b64 v[36:37], v46 offset:20288
	ds_load_b64 v[38:39], v1 offset:16696
	s_wait_dscnt 0x0
	v_fmac_f64_e32 v[34:35], v[36:37], v[38:39]
.LBB46_621:                             ;   in Loop: Header=BB46_3 Depth=1
	s_or_b32 exec_lo, exec_lo, s6
	s_delay_alu instid0(VALU_DEP_1)
	v_xor_b32_e32 v35, 0x80000000, v35
.LBB46_622:                             ;   in Loop: Header=BB46_3 Depth=1
	s_or_b32 exec_lo, exec_lo, s10
	s_and_saveexec_b32 s6, s42
	s_cbranch_execz .LBB46_624
; %bb.623:                              ;   in Loop: Header=BB46_3 Depth=1
	ds_load_b64 v[36:37], v1 offset:20800
	s_wait_dscnt 0x0
	v_mul_f64_e32 v[34:35], v[34:35], v[36:37]
	ds_store_b64 v54, v[34:35]
.LBB46_624:                             ;   in Loop: Header=BB46_3 Depth=1
	s_or_b32 exec_lo, exec_lo, s6
	s_wait_dscnt 0x0
	s_barrier_signal -1
	s_barrier_wait -1
	s_and_saveexec_b32 s6, s43
	s_cbranch_execz .LBB46_626
; %bb.625:                              ;   in Loop: Header=BB46_3 Depth=1
	ds_load_b64 v[36:37], v53 offset:20800
	ds_load_b64 v[38:39], v54
	s_wait_dscnt 0x0
	v_fmac_f64_e32 v[34:35], v[36:37], v[38:39]
.LBB46_626:                             ;   in Loop: Header=BB46_3 Depth=1
	s_or_b32 exec_lo, exec_lo, s6
	s_barrier_signal -1
	s_barrier_wait -1
	s_and_saveexec_b32 s6, s44
	s_cbranch_execz .LBB46_628
; %bb.627:                              ;   in Loop: Header=BB46_3 Depth=1
	ds_load_b64 v[36:37], v1 offset:21320
	s_wait_dscnt 0x0
	v_mul_f64_e32 v[34:35], v[34:35], v[36:37]
	ds_store_b64 v54, v[34:35]
.LBB46_628:                             ;   in Loop: Header=BB46_3 Depth=1
	s_or_b32 exec_lo, exec_lo, s6
	s_wait_dscnt 0x0
	s_barrier_signal -1
	s_barrier_wait -1
	s_and_saveexec_b32 s6, s45
	s_cbranch_execz .LBB46_630
; %bb.629:                              ;   in Loop: Header=BB46_3 Depth=1
	ds_load_b64 v[36:37], v53 offset:21312
	ds_load_b64 v[38:39], v54
	s_wait_dscnt 0x0
	v_fmac_f64_e32 v[34:35], v[36:37], v[38:39]
.LBB46_630:                             ;   in Loop: Header=BB46_3 Depth=1
	s_or_b32 exec_lo, exec_lo, s6
	s_barrier_signal -1
	s_barrier_wait -1
	;; [unrolled: 23-line block ×7, first 2 shown]
	s_and_saveexec_b32 s6, s55
	s_cbranch_execz .LBB46_652
; %bb.651:                              ;   in Loop: Header=BB46_3 Depth=1
	ds_load_b64 v[36:37], v1 offset:24440
	s_wait_dscnt 0x0
	v_mul_f64_e32 v[34:35], v[34:35], v[36:37]
	ds_store_b64 v54, v[34:35]
.LBB46_652:                             ;   in Loop: Header=BB46_3 Depth=1
	s_or_b32 exec_lo, exec_lo, s6
	s_wait_dscnt 0x0
	s_barrier_signal -1
	s_barrier_wait -1
	s_barrier_signal -1
	s_barrier_wait -1
	s_and_saveexec_b32 s6, s3
; %bb.653:                              ;   in Loop: Header=BB46_3 Depth=1
	s_delay_alu instid0(VALU_DEP_1)
	v_xor_b32_e32 v35, 0x80000000, v35
	ds_store_b64 v55, v[34:35] offset:16704
; %bb.654:                              ;   in Loop: Header=BB46_3 Depth=1
	s_or_b32 exec_lo, exec_lo, s6
	s_wait_dscnt 0x0
	s_barrier_signal -1
	s_barrier_wait -1
	s_barrier_signal -1
	s_barrier_wait -1
	s_and_saveexec_b32 s10, s14
	s_cbranch_execz .LBB46_656
; %bb.655:                              ;   in Loop: Header=BB46_3 Depth=1
	ds_load_b128 v[34:37], v1 offset:20800
	ds_load_b64 v[38:39], v1 offset:21320
	s_wait_dscnt 0x0
	v_mul_f64_e32 v[34:35], v[34:35], v[38:39]
	s_delay_alu instid0(VALU_DEP_1)
	v_mul_f64_e32 v[34:35], v[36:37], v[34:35]
	ds_store_b64 v1, v[34:35] offset:20808
.LBB46_656:                             ;   in Loop: Header=BB46_3 Depth=1
	s_or_b32 exec_lo, exec_lo, s10
	v_mov_b64_e32 v[34:35], 0
	s_wait_dscnt 0x0
	s_barrier_signal -1
	s_barrier_wait -1
	s_and_saveexec_b32 s10, s1
	s_cbranch_execz .LBB46_660
; %bb.657:                              ;   in Loop: Header=BB46_3 Depth=1
	ds_load_b64 v[34:35], v44 offset:20816
	ds_load_b64 v[36:37], v45 offset:20800
	s_wait_dscnt 0x0
	v_fma_f64 v[34:35], v[34:35], v[36:37], 0
	s_and_saveexec_b32 s6, s15
	s_cbranch_execz .LBB46_659
; %bb.658:                              ;   in Loop: Header=BB46_3 Depth=1
	ds_load_b64 v[36:37], v46 offset:21328
	ds_load_b64 v[38:39], v1 offset:20808
	s_wait_dscnt 0x0
	v_fmac_f64_e32 v[34:35], v[36:37], v[38:39]
.LBB46_659:                             ;   in Loop: Header=BB46_3 Depth=1
	s_or_b32 exec_lo, exec_lo, s6
	s_delay_alu instid0(VALU_DEP_1)
	v_xor_b32_e32 v35, 0x80000000, v35
.LBB46_660:                             ;   in Loop: Header=BB46_3 Depth=1
	s_or_b32 exec_lo, exec_lo, s10
	s_and_saveexec_b32 s6, s104
	s_cbranch_execz .LBB46_662
; %bb.661:                              ;   in Loop: Header=BB46_3 Depth=1
	ds_load_b64 v[36:37], v1 offset:21840
	s_wait_dscnt 0x0
	v_mul_f64_e32 v[34:35], v[34:35], v[36:37]
	ds_store_b64 v3, v[34:35]
.LBB46_662:                             ;   in Loop: Header=BB46_3 Depth=1
	s_or_b32 exec_lo, exec_lo, s6
	s_wait_dscnt 0x0
	s_barrier_signal -1
	s_barrier_wait -1
	s_and_saveexec_b32 s6, vcc_hi
	s_cbranch_execz .LBB46_664
; %bb.663:                              ;   in Loop: Header=BB46_3 Depth=1
	ds_load_b64 v[36:37], v1 offset:21848
	ds_load_b64 v[38:39], v3
	s_wait_dscnt 0x0
	v_fmac_f64_e32 v[34:35], v[36:37], v[38:39]
.LBB46_664:                             ;   in Loop: Header=BB46_3 Depth=1
	s_or_b32 exec_lo, exec_lo, s6
	s_barrier_signal -1
	s_barrier_wait -1
	s_and_saveexec_b32 s6, vcc_hi
	s_cbranch_execz .LBB46_666
; %bb.665:                              ;   in Loop: Header=BB46_3 Depth=1
	ds_load_b64 v[36:37], v1 offset:22360
	s_wait_dscnt 0x0
	v_mul_f64_e32 v[34:35], v[34:35], v[36:37]
	ds_store_b64 v3, v[34:35]
.LBB46_666:                             ;   in Loop: Header=BB46_3 Depth=1
	s_or_b32 exec_lo, exec_lo, s6
	s_wait_dscnt 0x0
	s_barrier_signal -1
	s_barrier_wait -1
	s_barrier_signal -1
	s_barrier_wait -1
	s_and_saveexec_b32 s6, s1
; %bb.667:                              ;   in Loop: Header=BB46_3 Depth=1
	s_delay_alu instid0(VALU_DEP_1)
	v_xor_b32_e32 v35, 0x80000000, v35
	ds_store_b64 v44, v[34:35] offset:20816
; %bb.668:                              ;   in Loop: Header=BB46_3 Depth=1
	s_or_b32 exec_lo, exec_lo, s6
	s_wait_dscnt 0x0
	s_barrier_signal -1
	s_barrier_wait -1
	s_barrier_signal -1
	s_barrier_wait -1
	s_and_saveexec_b32 s10, s14
	s_cbranch_execz .LBB46_670
; %bb.669:                              ;   in Loop: Header=BB46_3 Depth=1
	ds_load_b128 v[34:37], v1 offset:21840
	ds_load_b64 v[38:39], v1 offset:22360
	s_wait_dscnt 0x0
	v_mul_f64_e32 v[34:35], v[34:35], v[38:39]
	s_delay_alu instid0(VALU_DEP_1)
	v_mul_f64_e32 v[34:35], v[36:37], v[34:35]
	ds_store_b64 v1, v[34:35] offset:21848
.LBB46_670:                             ;   in Loop: Header=BB46_3 Depth=1
	s_or_b32 exec_lo, exec_lo, s10
	v_mov_b64_e32 v[34:35], 0
	s_wait_dscnt 0x0
	s_barrier_signal -1
	s_barrier_wait -1
	s_and_saveexec_b32 s10, s2
	s_cbranch_execz .LBB46_676
; %bb.671:                              ;   in Loop: Header=BB46_3 Depth=1
	ds_load_b64 v[34:35], v50 offset:20832
	ds_load_b64 v[36:37], v47 offset:20800
	s_wait_dscnt 0x0
	v_fma_f64 v[34:35], v[34:35], v[36:37], 0
	s_and_saveexec_b32 s6, s16
	s_cbranch_execnz .LBB46_1071
; %bb.672:                              ;   in Loop: Header=BB46_3 Depth=1
	s_or_b32 exec_lo, exec_lo, s6
	s_and_saveexec_b32 s6, s17
	s_cbranch_execnz .LBB46_1072
.LBB46_673:                             ;   in Loop: Header=BB46_3 Depth=1
	s_or_b32 exec_lo, exec_lo, s6
	s_and_saveexec_b32 s6, s1
	s_cbranch_execz .LBB46_675
.LBB46_674:                             ;   in Loop: Header=BB46_3 Depth=1
	ds_load_b64 v[36:37], v46 offset:22368
	ds_load_b64 v[38:39], v1 offset:20824
	s_wait_dscnt 0x0
	v_fmac_f64_e32 v[34:35], v[36:37], v[38:39]
.LBB46_675:                             ;   in Loop: Header=BB46_3 Depth=1
	s_or_b32 exec_lo, exec_lo, s6
	s_delay_alu instid0(VALU_DEP_1)
	v_xor_b32_e32 v35, 0x80000000, v35
.LBB46_676:                             ;   in Loop: Header=BB46_3 Depth=1
	s_or_b32 exec_lo, exec_lo, s10
	s_and_saveexec_b32 s6, s36
	s_cbranch_execz .LBB46_678
; %bb.677:                              ;   in Loop: Header=BB46_3 Depth=1
	ds_load_b64 v[36:37], v1 offset:22880
	s_wait_dscnt 0x0
	v_mul_f64_e32 v[34:35], v[34:35], v[36:37]
	ds_store_b64 v48, v[34:35]
.LBB46_678:                             ;   in Loop: Header=BB46_3 Depth=1
	s_or_b32 exec_lo, exec_lo, s6
	s_wait_dscnt 0x0
	s_barrier_signal -1
	s_barrier_wait -1
	s_and_saveexec_b32 s6, s37
	s_cbranch_execz .LBB46_680
; %bb.679:                              ;   in Loop: Header=BB46_3 Depth=1
	ds_load_b64 v[36:37], v49 offset:22880
	ds_load_b64 v[38:39], v48
	s_wait_dscnt 0x0
	v_fmac_f64_e32 v[34:35], v[36:37], v[38:39]
.LBB46_680:                             ;   in Loop: Header=BB46_3 Depth=1
	s_or_b32 exec_lo, exec_lo, s6
	s_barrier_signal -1
	s_barrier_wait -1
	s_and_saveexec_b32 s6, s38
	s_cbranch_execz .LBB46_682
; %bb.681:                              ;   in Loop: Header=BB46_3 Depth=1
	ds_load_b64 v[36:37], v1 offset:23400
	s_wait_dscnt 0x0
	v_mul_f64_e32 v[34:35], v[34:35], v[36:37]
	ds_store_b64 v48, v[34:35]
.LBB46_682:                             ;   in Loop: Header=BB46_3 Depth=1
	s_or_b32 exec_lo, exec_lo, s6
	s_wait_dscnt 0x0
	s_barrier_signal -1
	s_barrier_wait -1
	s_and_saveexec_b32 s6, s39
	s_cbranch_execz .LBB46_684
; %bb.683:                              ;   in Loop: Header=BB46_3 Depth=1
	ds_load_b64 v[36:37], v49 offset:23392
	ds_load_b64 v[38:39], v48
	s_wait_dscnt 0x0
	v_fmac_f64_e32 v[34:35], v[36:37], v[38:39]
.LBB46_684:                             ;   in Loop: Header=BB46_3 Depth=1
	s_or_b32 exec_lo, exec_lo, s6
	s_barrier_signal -1
	s_barrier_wait -1
	;; [unrolled: 23-line block ×3, first 2 shown]
	s_and_saveexec_b32 s6, s41
	s_cbranch_execz .LBB46_690
; %bb.689:                              ;   in Loop: Header=BB46_3 Depth=1
	ds_load_b64 v[36:37], v1 offset:24440
	s_wait_dscnt 0x0
	v_mul_f64_e32 v[34:35], v[34:35], v[36:37]
	ds_store_b64 v48, v[34:35]
.LBB46_690:                             ;   in Loop: Header=BB46_3 Depth=1
	s_or_b32 exec_lo, exec_lo, s6
	s_wait_dscnt 0x0
	s_barrier_signal -1
	s_barrier_wait -1
	s_barrier_signal -1
	s_barrier_wait -1
	s_and_saveexec_b32 s6, s2
; %bb.691:                              ;   in Loop: Header=BB46_3 Depth=1
	s_delay_alu instid0(VALU_DEP_1)
	v_xor_b32_e32 v35, 0x80000000, v35
	ds_store_b64 v50, v[34:35] offset:20832
; %bb.692:                              ;   in Loop: Header=BB46_3 Depth=1
	s_or_b32 exec_lo, exec_lo, s6
	s_wait_dscnt 0x0
	s_barrier_signal -1
	s_barrier_wait -1
	s_barrier_signal -1
	s_barrier_wait -1
	s_and_saveexec_b32 s10, s14
	s_cbranch_execz .LBB46_694
; %bb.693:                              ;   in Loop: Header=BB46_3 Depth=1
	ds_load_b128 v[34:37], v1 offset:22880
	ds_load_b64 v[38:39], v1 offset:23400
	s_wait_dscnt 0x0
	v_mul_f64_e32 v[34:35], v[34:35], v[38:39]
	s_delay_alu instid0(VALU_DEP_1)
	v_mul_f64_e32 v[34:35], v[36:37], v[34:35]
	ds_store_b64 v1, v[34:35] offset:22888
.LBB46_694:                             ;   in Loop: Header=BB46_3 Depth=1
	s_or_b32 exec_lo, exec_lo, s10
	v_mov_b64_e32 v[34:35], 0
	s_wait_dscnt 0x0
	s_barrier_signal -1
	s_barrier_wait -1
	s_and_saveexec_b32 s10, s1
	s_cbranch_execz .LBB46_698
; %bb.695:                              ;   in Loop: Header=BB46_3 Depth=1
	ds_load_b64 v[34:35], v44 offset:22896
	ds_load_b64 v[36:37], v45 offset:22880
	s_wait_dscnt 0x0
	v_fma_f64 v[34:35], v[34:35], v[36:37], 0
	s_and_saveexec_b32 s6, s15
	s_cbranch_execz .LBB46_697
; %bb.696:                              ;   in Loop: Header=BB46_3 Depth=1
	ds_load_b64 v[36:37], v46 offset:23408
	ds_load_b64 v[38:39], v1 offset:22888
	s_wait_dscnt 0x0
	v_fmac_f64_e32 v[34:35], v[36:37], v[38:39]
.LBB46_697:                             ;   in Loop: Header=BB46_3 Depth=1
	s_or_b32 exec_lo, exec_lo, s6
	s_delay_alu instid0(VALU_DEP_1)
	v_xor_b32_e32 v35, 0x80000000, v35
.LBB46_698:                             ;   in Loop: Header=BB46_3 Depth=1
	s_or_b32 exec_lo, exec_lo, s10
	s_and_saveexec_b32 s6, s104
	s_cbranch_execz .LBB46_700
; %bb.699:                              ;   in Loop: Header=BB46_3 Depth=1
	ds_load_b64 v[36:37], v1 offset:23920
	s_wait_dscnt 0x0
	v_mul_f64_e32 v[34:35], v[34:35], v[36:37]
	ds_store_b64 v3, v[34:35]
.LBB46_700:                             ;   in Loop: Header=BB46_3 Depth=1
	s_or_b32 exec_lo, exec_lo, s6
	s_wait_dscnt 0x0
	s_barrier_signal -1
	s_barrier_wait -1
	s_and_saveexec_b32 s6, vcc_hi
	s_cbranch_execz .LBB46_702
; %bb.701:                              ;   in Loop: Header=BB46_3 Depth=1
	ds_load_b64 v[36:37], v1 offset:23928
	ds_load_b64 v[38:39], v3
	s_wait_dscnt 0x0
	v_fmac_f64_e32 v[34:35], v[36:37], v[38:39]
.LBB46_702:                             ;   in Loop: Header=BB46_3 Depth=1
	s_or_b32 exec_lo, exec_lo, s6
	s_barrier_signal -1
	s_barrier_wait -1
	s_and_saveexec_b32 s6, vcc_hi
	s_cbranch_execz .LBB46_704
; %bb.703:                              ;   in Loop: Header=BB46_3 Depth=1
	ds_load_b64 v[36:37], v1 offset:24440
	s_wait_dscnt 0x0
	v_mul_f64_e32 v[34:35], v[34:35], v[36:37]
	ds_store_b64 v3, v[34:35]
.LBB46_704:                             ;   in Loop: Header=BB46_3 Depth=1
	s_or_b32 exec_lo, exec_lo, s6
	s_wait_dscnt 0x0
	s_barrier_signal -1
	s_barrier_wait -1
	s_barrier_signal -1
	s_barrier_wait -1
	s_and_saveexec_b32 s6, s1
; %bb.705:                              ;   in Loop: Header=BB46_3 Depth=1
	s_delay_alu instid0(VALU_DEP_1)
	v_xor_b32_e32 v35, 0x80000000, v35
	ds_store_b64 v44, v[34:35] offset:22896
; %bb.706:                              ;   in Loop: Header=BB46_3 Depth=1
	s_or_b32 exec_lo, exec_lo, s6
	s_wait_dscnt 0x0
	s_barrier_signal -1
	s_barrier_wait -1
	s_barrier_signal -1
	s_barrier_wait -1
	s_and_saveexec_b32 s10, s14
	s_cbranch_execz .LBB46_708
; %bb.707:                              ;   in Loop: Header=BB46_3 Depth=1
	ds_load_b128 v[34:37], v1 offset:23920
	ds_load_b64 v[38:39], v1 offset:24440
	s_wait_dscnt 0x0
	v_mul_f64_e32 v[34:35], v[34:35], v[38:39]
	s_delay_alu instid0(VALU_DEP_1)
	v_mul_f64_e32 v[34:35], v[36:37], v[34:35]
	ds_store_b64 v1, v[34:35] offset:23928
.LBB46_708:                             ;   in Loop: Header=BB46_3 Depth=1
	s_or_b32 exec_lo, exec_lo, s10
	v_mov_b64_e32 v[34:35], 0
	s_wait_dscnt 0x0
	s_barrier_signal -1
	s_barrier_wait -1
	s_and_saveexec_b32 s69, s4
	s_cbranch_execz .LBB46_736
; %bb.709:                              ;   in Loop: Header=BB46_3 Depth=1
	ds_load_b64 v[34:35], v60 offset:16768
	ds_load_b64 v[36:37], v57 offset:16640
	s_wait_dscnt 0x0
	v_fma_f64 v[34:35], v[34:35], v[36:37], 0
	s_mov_b32 s6, exec_lo
	v_readlane_b32 s10, v84, 30
	s_and_b32 s10, s6, s10
	s_delay_alu instid0(SALU_CYCLE_1)
	s_mov_b32 exec_lo, s10
	s_cbranch_execz .LBB46_711
; %bb.710:                              ;   in Loop: Header=BB46_3 Depth=1
	ds_load_b64 v[36:37], v61 offset:17280
	ds_load_b64 v[38:39], v57 offset:16648
	s_wait_dscnt 0x0
	v_fmac_f64_e32 v[34:35], v[36:37], v[38:39]
.LBB46_711:                             ;   in Loop: Header=BB46_3 Depth=1
	s_or_b32 exec_lo, exec_lo, s6
	s_delay_alu instid0(SALU_CYCLE_1) | instskip(SKIP_2) | instid1(SALU_CYCLE_1)
	s_mov_b32 s6, exec_lo
	v_readlane_b32 s10, v84, 31
	s_and_b32 s10, s6, s10
	s_mov_b32 exec_lo, s10
	s_cbranch_execz .LBB46_713
; %bb.712:                              ;   in Loop: Header=BB46_3 Depth=1
	ds_load_b64 v[36:37], v61 offset:17792
	ds_load_b64 v[38:39], v57 offset:16656
	s_wait_dscnt 0x0
	v_fmac_f64_e32 v[34:35], v[36:37], v[38:39]
.LBB46_713:                             ;   in Loop: Header=BB46_3 Depth=1
	s_or_b32 exec_lo, exec_lo, s6
	s_delay_alu instid0(SALU_CYCLE_1) | instskip(SKIP_2) | instid1(SALU_CYCLE_1)
	s_mov_b32 s6, exec_lo
	v_readlane_b32 s10, v83, 0
	s_and_b32 s10, s6, s10
	;; [unrolled: 13-line block ×6, first 2 shown]
	s_mov_b32 exec_lo, s10
	s_cbranch_execz .LBB46_723
; %bb.722:                              ;   in Loop: Header=BB46_3 Depth=1
	ds_load_b64 v[36:37], v61 offset:20352
	ds_load_b64 v[38:39], v57 offset:16696
	s_wait_dscnt 0x0
	v_fmac_f64_e32 v[34:35], v[36:37], v[38:39]
.LBB46_723:                             ;   in Loop: Header=BB46_3 Depth=1
	s_or_b32 exec_lo, exec_lo, s6
	s_and_saveexec_b32 s6, s7
	s_cbranch_execz .LBB46_725
; %bb.724:                              ;   in Loop: Header=BB46_3 Depth=1
	ds_load_b64 v[36:37], v60 offset:20864
	ds_load_b64 v[38:39], v57 offset:16704
	s_wait_dscnt 0x0
	v_fmac_f64_e32 v[34:35], v[36:37], v[38:39]
.LBB46_725:                             ;   in Loop: Header=BB46_3 Depth=1
	s_or_b32 exec_lo, exec_lo, s6
	s_delay_alu instid0(SALU_CYCLE_1) | instskip(SKIP_2) | instid1(SALU_CYCLE_1)
	s_mov_b32 s6, exec_lo
	v_readlane_b32 s10, v83, 5
	s_and_b32 s10, s6, s10
	s_mov_b32 exec_lo, s10
	s_cbranch_execz .LBB46_727
; %bb.726:                              ;   in Loop: Header=BB46_3 Depth=1
	ds_load_b64 v[36:37], v61 offset:21376
	ds_load_b64 v[38:39], v57 offset:16712
	s_wait_dscnt 0x0
	v_fmac_f64_e32 v[34:35], v[36:37], v[38:39]
.LBB46_727:                             ;   in Loop: Header=BB46_3 Depth=1
	s_or_b32 exec_lo, exec_lo, s6
	s_and_saveexec_b32 s6, s8
	s_cbranch_execz .LBB46_729
; %bb.728:                              ;   in Loop: Header=BB46_3 Depth=1
	ds_load_b64 v[36:37], v61 offset:21888
	ds_load_b64 v[38:39], v57 offset:16720
	s_wait_dscnt 0x0
	v_fmac_f64_e32 v[34:35], v[36:37], v[38:39]
.LBB46_729:                             ;   in Loop: Header=BB46_3 Depth=1
	s_or_b32 exec_lo, exec_lo, s6
	s_delay_alu instid0(SALU_CYCLE_1) | instskip(SKIP_2) | instid1(SALU_CYCLE_1)
	s_mov_b32 s6, exec_lo
	v_readlane_b32 s10, v83, 6
	s_and_b32 s10, s6, s10
	s_mov_b32 exec_lo, s10
	s_cbranch_execnz .LBB46_1073
; %bb.730:                              ;   in Loop: Header=BB46_3 Depth=1
	s_or_b32 exec_lo, exec_lo, s6
	s_and_saveexec_b32 s6, s3
	s_cbranch_execnz .LBB46_1074
.LBB46_731:                             ;   in Loop: Header=BB46_3 Depth=1
	s_or_b32 exec_lo, exec_lo, s6
	s_and_saveexec_b32 s6, s19
	s_cbranch_execnz .LBB46_1075
.LBB46_732:                             ;   in Loop: Header=BB46_3 Depth=1
	s_or_b32 exec_lo, exec_lo, s6
	s_and_saveexec_b32 s6, s21
	s_cbranch_execnz .LBB46_1076
.LBB46_733:                             ;   in Loop: Header=BB46_3 Depth=1
	s_or_b32 exec_lo, exec_lo, s6
	s_and_saveexec_b32 s6, s2
	s_cbranch_execz .LBB46_735
.LBB46_734:                             ;   in Loop: Header=BB46_3 Depth=1
	ds_load_b64 v[36:37], v46 offset:24448
	ds_load_b64 v[38:39], v1 offset:16760
	s_wait_dscnt 0x0
	v_fmac_f64_e32 v[34:35], v[36:37], v[38:39]
.LBB46_735:                             ;   in Loop: Header=BB46_3 Depth=1
	s_or_b32 exec_lo, exec_lo, s6
	s_delay_alu instid0(VALU_DEP_1)
	v_xor_b32_e32 v35, 0x80000000, v35
.LBB46_736:                             ;   in Loop: Header=BB46_3 Depth=1
	s_or_b32 exec_lo, exec_lo, s69
	s_delay_alu instid0(SALU_CYCLE_1) | instskip(SKIP_2) | instid1(SALU_CYCLE_1)
	s_mov_b32 s6, exec_lo
	v_readlane_b32 s10, v84, 5
	s_and_b32 s10, s6, s10
	s_mov_b32 exec_lo, s10
	s_cbranch_execz .LBB46_738
; %bb.737:                              ;   in Loop: Header=BB46_3 Depth=1
	ds_load_b64 v[36:37], v1 offset:24960
	s_wait_dscnt 0x0
	v_mul_f64_e32 v[34:35], v[34:35], v[36:37]
	ds_store_b64 v59, v[34:35]
.LBB46_738:                             ;   in Loop: Header=BB46_3 Depth=1
	s_or_b32 exec_lo, exec_lo, s6
	s_wait_dscnt 0x0
	s_barrier_signal -1
	s_barrier_wait -1
	s_mov_b32 s6, exec_lo
	v_readlane_b32 s10, v84, 6
	s_and_b32 s10, s6, s10
	s_delay_alu instid0(SALU_CYCLE_1)
	s_mov_b32 exec_lo, s10
	s_cbranch_execz .LBB46_740
; %bb.739:                              ;   in Loop: Header=BB46_3 Depth=1
	ds_load_b64 v[36:37], v58 offset:24960
	ds_load_b64 v[38:39], v59
	s_wait_dscnt 0x0
	v_fmac_f64_e32 v[34:35], v[36:37], v[38:39]
.LBB46_740:                             ;   in Loop: Header=BB46_3 Depth=1
	s_or_b32 exec_lo, exec_lo, s6
	s_barrier_signal -1
	s_barrier_wait -1
	s_mov_b32 s6, exec_lo
	v_readlane_b32 s10, v84, 7
	s_and_b32 s10, s6, s10
	s_delay_alu instid0(SALU_CYCLE_1)
	s_mov_b32 exec_lo, s10
	s_cbranch_execz .LBB46_742
; %bb.741:                              ;   in Loop: Header=BB46_3 Depth=1
	ds_load_b64 v[36:37], v1 offset:25480
	s_wait_dscnt 0x0
	v_mul_f64_e32 v[34:35], v[34:35], v[36:37]
	ds_store_b64 v59, v[34:35]
.LBB46_742:                             ;   in Loop: Header=BB46_3 Depth=1
	s_or_b32 exec_lo, exec_lo, s6
	s_wait_dscnt 0x0
	s_barrier_signal -1
	s_barrier_wait -1
	s_mov_b32 s6, exec_lo
	v_readlane_b32 s10, v84, 8
	s_and_b32 s10, s6, s10
	s_delay_alu instid0(SALU_CYCLE_1)
	s_mov_b32 exec_lo, s10
	s_cbranch_execz .LBB46_744
; %bb.743:                              ;   in Loop: Header=BB46_3 Depth=1
	ds_load_b64 v[36:37], v58 offset:25472
	ds_load_b64 v[38:39], v59
	s_wait_dscnt 0x0
	v_fmac_f64_e32 v[34:35], v[36:37], v[38:39]
.LBB46_744:                             ;   in Loop: Header=BB46_3 Depth=1
	s_or_b32 exec_lo, exec_lo, s6
	s_barrier_signal -1
	s_barrier_wait -1
	s_and_saveexec_b32 s6, s66
	s_cbranch_execz .LBB46_746
; %bb.745:                              ;   in Loop: Header=BB46_3 Depth=1
	ds_load_b64 v[36:37], v1 offset:26000
	s_wait_dscnt 0x0
	v_mul_f64_e32 v[34:35], v[34:35], v[36:37]
	ds_store_b64 v59, v[34:35]
.LBB46_746:                             ;   in Loop: Header=BB46_3 Depth=1
	s_or_b32 exec_lo, exec_lo, s6
	s_wait_dscnt 0x0
	s_barrier_signal -1
	s_barrier_wait -1
	s_and_saveexec_b32 s6, s67
	s_cbranch_execz .LBB46_748
; %bb.747:                              ;   in Loop: Header=BB46_3 Depth=1
	ds_load_b64 v[36:37], v58 offset:25984
	ds_load_b64 v[38:39], v59
	s_wait_dscnt 0x0
	v_fmac_f64_e32 v[34:35], v[36:37], v[38:39]
.LBB46_748:                             ;   in Loop: Header=BB46_3 Depth=1
	s_or_b32 exec_lo, exec_lo, s6
	s_barrier_signal -1
	s_barrier_wait -1
	s_and_saveexec_b32 s6, s68
	s_cbranch_execz .LBB46_750
; %bb.749:                              ;   in Loop: Header=BB46_3 Depth=1
	ds_load_b64 v[36:37], v1 offset:26520
	s_wait_dscnt 0x0
	v_mul_f64_e32 v[34:35], v[34:35], v[36:37]
	ds_store_b64 v59, v[34:35]
.LBB46_750:                             ;   in Loop: Header=BB46_3 Depth=1
	s_or_b32 exec_lo, exec_lo, s6
	s_wait_dscnt 0x0
	s_barrier_signal -1
	s_barrier_wait -1
	s_and_saveexec_b32 s6, s12
	;; [unrolled: 23-line block ×13, first 2 shown]
	s_cbranch_execz .LBB46_796
; %bb.795:                              ;   in Loop: Header=BB46_3 Depth=1
	ds_load_b64 v[36:37], v1 offset:32248
	ds_load_b64 v[38:39], v59
	s_wait_dscnt 0x0
	v_fmac_f64_e32 v[34:35], v[36:37], v[38:39]
.LBB46_796:                             ;   in Loop: Header=BB46_3 Depth=1
	s_or_b32 exec_lo, exec_lo, s6
	s_barrier_signal -1
	s_barrier_wait -1
	s_and_saveexec_b32 s6, s56
	s_cbranch_execz .LBB46_798
; %bb.797:                              ;   in Loop: Header=BB46_3 Depth=1
	ds_load_b64 v[36:37], v1 offset:32760
	s_wait_dscnt 0x0
	v_mul_f64_e32 v[34:35], v[34:35], v[36:37]
	ds_store_b64 v59, v[34:35]
.LBB46_798:                             ;   in Loop: Header=BB46_3 Depth=1
	s_or_b32 exec_lo, exec_lo, s6
	s_wait_dscnt 0x0
	s_barrier_signal -1
	s_barrier_wait -1
	s_barrier_signal -1
	s_barrier_wait -1
	s_and_saveexec_b32 s6, s4
; %bb.799:                              ;   in Loop: Header=BB46_3 Depth=1
	s_delay_alu instid0(VALU_DEP_1)
	v_xor_b32_e32 v35, 0x80000000, v35
	ds_store_b64 v60, v[34:35] offset:16768
; %bb.800:                              ;   in Loop: Header=BB46_3 Depth=1
	s_or_b32 exec_lo, exec_lo, s6
	s_wait_dscnt 0x0
	s_barrier_signal -1
	s_barrier_wait -1
	s_barrier_signal -1
	s_barrier_wait -1
	s_and_saveexec_b32 s10, s14
	s_cbranch_execz .LBB46_802
; %bb.801:                              ;   in Loop: Header=BB46_3 Depth=1
	ds_load_b128 v[34:37], v1 offset:24960
	ds_load_b64 v[38:39], v1 offset:25480
	s_wait_dscnt 0x0
	v_mul_f64_e32 v[34:35], v[34:35], v[38:39]
	s_delay_alu instid0(VALU_DEP_1)
	v_mul_f64_e32 v[34:35], v[36:37], v[34:35]
	ds_store_b64 v1, v[34:35] offset:24968
.LBB46_802:                             ;   in Loop: Header=BB46_3 Depth=1
	s_or_b32 exec_lo, exec_lo, s10
	v_mov_b64_e32 v[34:35], 0
	s_wait_dscnt 0x0
	s_barrier_signal -1
	s_barrier_wait -1
	s_and_saveexec_b32 s10, s1
	s_cbranch_execz .LBB46_806
; %bb.803:                              ;   in Loop: Header=BB46_3 Depth=1
	ds_load_b64 v[34:35], v44 offset:24976
	ds_load_b64 v[36:37], v45 offset:24960
	s_wait_dscnt 0x0
	v_fma_f64 v[34:35], v[34:35], v[36:37], 0
	s_and_saveexec_b32 s6, s15
	s_cbranch_execz .LBB46_805
; %bb.804:                              ;   in Loop: Header=BB46_3 Depth=1
	ds_load_b64 v[36:37], v46 offset:25488
	ds_load_b64 v[38:39], v1 offset:24968
	s_wait_dscnt 0x0
	v_fmac_f64_e32 v[34:35], v[36:37], v[38:39]
.LBB46_805:                             ;   in Loop: Header=BB46_3 Depth=1
	s_or_b32 exec_lo, exec_lo, s6
	s_delay_alu instid0(VALU_DEP_1)
	v_xor_b32_e32 v35, 0x80000000, v35
.LBB46_806:                             ;   in Loop: Header=BB46_3 Depth=1
	s_or_b32 exec_lo, exec_lo, s10
	s_and_saveexec_b32 s6, s104
	s_cbranch_execz .LBB46_808
; %bb.807:                              ;   in Loop: Header=BB46_3 Depth=1
	ds_load_b64 v[36:37], v1 offset:26000
	s_wait_dscnt 0x0
	v_mul_f64_e32 v[34:35], v[34:35], v[36:37]
	ds_store_b64 v3, v[34:35]
.LBB46_808:                             ;   in Loop: Header=BB46_3 Depth=1
	s_or_b32 exec_lo, exec_lo, s6
	s_wait_dscnt 0x0
	s_barrier_signal -1
	s_barrier_wait -1
	s_and_saveexec_b32 s6, vcc_hi
	s_cbranch_execz .LBB46_810
; %bb.809:                              ;   in Loop: Header=BB46_3 Depth=1
	ds_load_b64 v[36:37], v1 offset:26008
	ds_load_b64 v[38:39], v3
	s_wait_dscnt 0x0
	v_fmac_f64_e32 v[34:35], v[36:37], v[38:39]
.LBB46_810:                             ;   in Loop: Header=BB46_3 Depth=1
	s_or_b32 exec_lo, exec_lo, s6
	s_barrier_signal -1
	s_barrier_wait -1
	s_and_saveexec_b32 s6, vcc_hi
	s_cbranch_execz .LBB46_812
; %bb.811:                              ;   in Loop: Header=BB46_3 Depth=1
	ds_load_b64 v[36:37], v1 offset:26520
	s_wait_dscnt 0x0
	v_mul_f64_e32 v[34:35], v[34:35], v[36:37]
	ds_store_b64 v3, v[34:35]
.LBB46_812:                             ;   in Loop: Header=BB46_3 Depth=1
	s_or_b32 exec_lo, exec_lo, s6
	s_wait_dscnt 0x0
	s_barrier_signal -1
	s_barrier_wait -1
	s_barrier_signal -1
	s_barrier_wait -1
	s_and_saveexec_b32 s6, s1
; %bb.813:                              ;   in Loop: Header=BB46_3 Depth=1
	s_delay_alu instid0(VALU_DEP_1)
	v_xor_b32_e32 v35, 0x80000000, v35
	ds_store_b64 v44, v[34:35] offset:24976
; %bb.814:                              ;   in Loop: Header=BB46_3 Depth=1
	s_or_b32 exec_lo, exec_lo, s6
	s_wait_dscnt 0x0
	s_barrier_signal -1
	s_barrier_wait -1
	s_barrier_signal -1
	s_barrier_wait -1
	s_and_saveexec_b32 s10, s14
	s_cbranch_execz .LBB46_816
; %bb.815:                              ;   in Loop: Header=BB46_3 Depth=1
	ds_load_b128 v[34:37], v1 offset:26000
	ds_load_b64 v[38:39], v1 offset:26520
	s_wait_dscnt 0x0
	v_mul_f64_e32 v[34:35], v[34:35], v[38:39]
	s_delay_alu instid0(VALU_DEP_1)
	v_mul_f64_e32 v[34:35], v[36:37], v[34:35]
	ds_store_b64 v1, v[34:35] offset:26008
.LBB46_816:                             ;   in Loop: Header=BB46_3 Depth=1
	s_or_b32 exec_lo, exec_lo, s10
	v_mov_b64_e32 v[34:35], 0
	s_wait_dscnt 0x0
	s_barrier_signal -1
	s_barrier_wait -1
	s_and_saveexec_b32 s10, s2
	s_cbranch_execz .LBB46_822
; %bb.817:                              ;   in Loop: Header=BB46_3 Depth=1
	ds_load_b64 v[34:35], v50 offset:24992
	ds_load_b64 v[36:37], v47 offset:24960
	s_wait_dscnt 0x0
	v_fma_f64 v[34:35], v[34:35], v[36:37], 0
	s_and_saveexec_b32 s6, s16
	s_cbranch_execnz .LBB46_1077
; %bb.818:                              ;   in Loop: Header=BB46_3 Depth=1
	s_or_b32 exec_lo, exec_lo, s6
	s_and_saveexec_b32 s6, s17
	s_cbranch_execnz .LBB46_1078
.LBB46_819:                             ;   in Loop: Header=BB46_3 Depth=1
	s_or_b32 exec_lo, exec_lo, s6
	s_and_saveexec_b32 s6, s1
	s_cbranch_execz .LBB46_821
.LBB46_820:                             ;   in Loop: Header=BB46_3 Depth=1
	ds_load_b64 v[36:37], v46 offset:26528
	ds_load_b64 v[38:39], v1 offset:24984
	s_wait_dscnt 0x0
	v_fmac_f64_e32 v[34:35], v[36:37], v[38:39]
.LBB46_821:                             ;   in Loop: Header=BB46_3 Depth=1
	s_or_b32 exec_lo, exec_lo, s6
	s_delay_alu instid0(VALU_DEP_1)
	v_xor_b32_e32 v35, 0x80000000, v35
.LBB46_822:                             ;   in Loop: Header=BB46_3 Depth=1
	s_or_b32 exec_lo, exec_lo, s10
	s_and_saveexec_b32 s6, s36
	s_cbranch_execz .LBB46_824
; %bb.823:                              ;   in Loop: Header=BB46_3 Depth=1
	ds_load_b64 v[36:37], v1 offset:27040
	s_wait_dscnt 0x0
	v_mul_f64_e32 v[34:35], v[34:35], v[36:37]
	ds_store_b64 v48, v[34:35]
.LBB46_824:                             ;   in Loop: Header=BB46_3 Depth=1
	s_or_b32 exec_lo, exec_lo, s6
	s_wait_dscnt 0x0
	s_barrier_signal -1
	s_barrier_wait -1
	s_and_saveexec_b32 s6, s37
	s_cbranch_execz .LBB46_826
; %bb.825:                              ;   in Loop: Header=BB46_3 Depth=1
	ds_load_b64 v[36:37], v49 offset:27040
	ds_load_b64 v[38:39], v48
	s_wait_dscnt 0x0
	v_fmac_f64_e32 v[34:35], v[36:37], v[38:39]
.LBB46_826:                             ;   in Loop: Header=BB46_3 Depth=1
	s_or_b32 exec_lo, exec_lo, s6
	s_barrier_signal -1
	s_barrier_wait -1
	s_and_saveexec_b32 s6, s38
	s_cbranch_execz .LBB46_828
; %bb.827:                              ;   in Loop: Header=BB46_3 Depth=1
	ds_load_b64 v[36:37], v1 offset:27560
	s_wait_dscnt 0x0
	v_mul_f64_e32 v[34:35], v[34:35], v[36:37]
	ds_store_b64 v48, v[34:35]
.LBB46_828:                             ;   in Loop: Header=BB46_3 Depth=1
	s_or_b32 exec_lo, exec_lo, s6
	s_wait_dscnt 0x0
	s_barrier_signal -1
	s_barrier_wait -1
	s_and_saveexec_b32 s6, s39
	s_cbranch_execz .LBB46_830
; %bb.829:                              ;   in Loop: Header=BB46_3 Depth=1
	ds_load_b64 v[36:37], v49 offset:27552
	ds_load_b64 v[38:39], v48
	s_wait_dscnt 0x0
	v_fmac_f64_e32 v[34:35], v[36:37], v[38:39]
.LBB46_830:                             ;   in Loop: Header=BB46_3 Depth=1
	s_or_b32 exec_lo, exec_lo, s6
	s_barrier_signal -1
	s_barrier_wait -1
	;; [unrolled: 23-line block ×3, first 2 shown]
	s_and_saveexec_b32 s6, s41
	s_cbranch_execz .LBB46_836
; %bb.835:                              ;   in Loop: Header=BB46_3 Depth=1
	ds_load_b64 v[36:37], v1 offset:28600
	s_wait_dscnt 0x0
	v_mul_f64_e32 v[34:35], v[34:35], v[36:37]
	ds_store_b64 v48, v[34:35]
.LBB46_836:                             ;   in Loop: Header=BB46_3 Depth=1
	s_or_b32 exec_lo, exec_lo, s6
	s_wait_dscnt 0x0
	s_barrier_signal -1
	s_barrier_wait -1
	s_barrier_signal -1
	s_barrier_wait -1
	s_and_saveexec_b32 s6, s2
; %bb.837:                              ;   in Loop: Header=BB46_3 Depth=1
	s_delay_alu instid0(VALU_DEP_1)
	v_xor_b32_e32 v35, 0x80000000, v35
	ds_store_b64 v50, v[34:35] offset:24992
; %bb.838:                              ;   in Loop: Header=BB46_3 Depth=1
	s_or_b32 exec_lo, exec_lo, s6
	s_wait_dscnt 0x0
	s_barrier_signal -1
	s_barrier_wait -1
	s_barrier_signal -1
	s_barrier_wait -1
	s_and_saveexec_b32 s10, s14
	s_cbranch_execz .LBB46_840
; %bb.839:                              ;   in Loop: Header=BB46_3 Depth=1
	ds_load_b128 v[34:37], v1 offset:27040
	ds_load_b64 v[38:39], v1 offset:27560
	s_wait_dscnt 0x0
	v_mul_f64_e32 v[34:35], v[34:35], v[38:39]
	s_delay_alu instid0(VALU_DEP_1)
	v_mul_f64_e32 v[34:35], v[36:37], v[34:35]
	ds_store_b64 v1, v[34:35] offset:27048
.LBB46_840:                             ;   in Loop: Header=BB46_3 Depth=1
	s_or_b32 exec_lo, exec_lo, s10
	v_mov_b64_e32 v[34:35], 0
	s_wait_dscnt 0x0
	s_barrier_signal -1
	s_barrier_wait -1
	s_and_saveexec_b32 s10, s1
	s_cbranch_execz .LBB46_844
; %bb.841:                              ;   in Loop: Header=BB46_3 Depth=1
	ds_load_b64 v[34:35], v44 offset:27056
	ds_load_b64 v[36:37], v45 offset:27040
	s_wait_dscnt 0x0
	v_fma_f64 v[34:35], v[34:35], v[36:37], 0
	s_and_saveexec_b32 s6, s15
	s_cbranch_execz .LBB46_843
; %bb.842:                              ;   in Loop: Header=BB46_3 Depth=1
	ds_load_b64 v[36:37], v46 offset:27568
	ds_load_b64 v[38:39], v1 offset:27048
	s_wait_dscnt 0x0
	v_fmac_f64_e32 v[34:35], v[36:37], v[38:39]
.LBB46_843:                             ;   in Loop: Header=BB46_3 Depth=1
	s_or_b32 exec_lo, exec_lo, s6
	s_delay_alu instid0(VALU_DEP_1)
	v_xor_b32_e32 v35, 0x80000000, v35
.LBB46_844:                             ;   in Loop: Header=BB46_3 Depth=1
	s_or_b32 exec_lo, exec_lo, s10
	s_and_saveexec_b32 s6, s104
	s_cbranch_execz .LBB46_846
; %bb.845:                              ;   in Loop: Header=BB46_3 Depth=1
	ds_load_b64 v[36:37], v1 offset:28080
	s_wait_dscnt 0x0
	v_mul_f64_e32 v[34:35], v[34:35], v[36:37]
	ds_store_b64 v3, v[34:35]
.LBB46_846:                             ;   in Loop: Header=BB46_3 Depth=1
	s_or_b32 exec_lo, exec_lo, s6
	s_wait_dscnt 0x0
	s_barrier_signal -1
	s_barrier_wait -1
	s_and_saveexec_b32 s6, vcc_hi
	s_cbranch_execz .LBB46_848
; %bb.847:                              ;   in Loop: Header=BB46_3 Depth=1
	ds_load_b64 v[36:37], v1 offset:28088
	ds_load_b64 v[38:39], v3
	s_wait_dscnt 0x0
	v_fmac_f64_e32 v[34:35], v[36:37], v[38:39]
.LBB46_848:                             ;   in Loop: Header=BB46_3 Depth=1
	s_or_b32 exec_lo, exec_lo, s6
	s_barrier_signal -1
	s_barrier_wait -1
	s_and_saveexec_b32 s6, vcc_hi
	s_cbranch_execz .LBB46_850
; %bb.849:                              ;   in Loop: Header=BB46_3 Depth=1
	ds_load_b64 v[36:37], v1 offset:28600
	s_wait_dscnt 0x0
	v_mul_f64_e32 v[34:35], v[34:35], v[36:37]
	ds_store_b64 v3, v[34:35]
.LBB46_850:                             ;   in Loop: Header=BB46_3 Depth=1
	s_or_b32 exec_lo, exec_lo, s6
	s_wait_dscnt 0x0
	s_barrier_signal -1
	s_barrier_wait -1
	s_barrier_signal -1
	s_barrier_wait -1
	s_and_saveexec_b32 s6, s1
; %bb.851:                              ;   in Loop: Header=BB46_3 Depth=1
	s_delay_alu instid0(VALU_DEP_1)
	v_xor_b32_e32 v35, 0x80000000, v35
	ds_store_b64 v44, v[34:35] offset:27056
; %bb.852:                              ;   in Loop: Header=BB46_3 Depth=1
	s_or_b32 exec_lo, exec_lo, s6
	s_wait_dscnt 0x0
	s_barrier_signal -1
	s_barrier_wait -1
	s_barrier_signal -1
	s_barrier_wait -1
	s_and_saveexec_b32 s10, s14
	s_cbranch_execz .LBB46_854
; %bb.853:                              ;   in Loop: Header=BB46_3 Depth=1
	ds_load_b128 v[34:37], v1 offset:28080
	ds_load_b64 v[38:39], v1 offset:28600
	s_wait_dscnt 0x0
	v_mul_f64_e32 v[34:35], v[34:35], v[38:39]
	s_delay_alu instid0(VALU_DEP_1)
	v_mul_f64_e32 v[34:35], v[36:37], v[34:35]
	ds_store_b64 v1, v[34:35] offset:28088
.LBB46_854:                             ;   in Loop: Header=BB46_3 Depth=1
	s_or_b32 exec_lo, exec_lo, s10
	v_mov_b64_e32 v[34:35], 0
	s_wait_dscnt 0x0
	s_barrier_signal -1
	s_barrier_wait -1
	s_and_saveexec_b32 s10, s3
	s_cbranch_execz .LBB46_864
; %bb.855:                              ;   in Loop: Header=BB46_3 Depth=1
	ds_load_b64 v[34:35], v55 offset:25024
	ds_load_b64 v[36:37], v52 offset:24960
	s_wait_dscnt 0x0
	v_fma_f64 v[34:35], v[34:35], v[36:37], 0
	s_and_saveexec_b32 s6, s18
	s_cbranch_execnz .LBB46_1079
; %bb.856:                              ;   in Loop: Header=BB46_3 Depth=1
	s_or_b32 exec_lo, exec_lo, s6
	s_and_saveexec_b32 s6, s19
	s_cbranch_execnz .LBB46_1080
.LBB46_857:                             ;   in Loop: Header=BB46_3 Depth=1
	s_or_b32 exec_lo, exec_lo, s6
	s_and_saveexec_b32 s6, s20
	s_cbranch_execnz .LBB46_1081
.LBB46_858:                             ;   in Loop: Header=BB46_3 Depth=1
	s_or_b32 exec_lo, exec_lo, s6
	s_and_saveexec_b32 s6, s21
	s_cbranch_execnz .LBB46_1082
.LBB46_859:                             ;   in Loop: Header=BB46_3 Depth=1
	s_or_b32 exec_lo, exec_lo, s6
	s_and_saveexec_b32 s6, s22
	s_cbranch_execnz .LBB46_1083
.LBB46_860:                             ;   in Loop: Header=BB46_3 Depth=1
	s_or_b32 exec_lo, exec_lo, s6
	s_and_saveexec_b32 s6, s2
	s_cbranch_execnz .LBB46_1084
.LBB46_861:                             ;   in Loop: Header=BB46_3 Depth=1
	s_or_b32 exec_lo, exec_lo, s6
	s_and_saveexec_b32 s6, s17
	s_cbranch_execz .LBB46_863
.LBB46_862:                             ;   in Loop: Header=BB46_3 Depth=1
	ds_load_b64 v[36:37], v46 offset:28608
	ds_load_b64 v[38:39], v1 offset:25016
	s_wait_dscnt 0x0
	v_fmac_f64_e32 v[34:35], v[36:37], v[38:39]
.LBB46_863:                             ;   in Loop: Header=BB46_3 Depth=1
	s_or_b32 exec_lo, exec_lo, s6
	s_delay_alu instid0(VALU_DEP_1)
	v_xor_b32_e32 v35, 0x80000000, v35
.LBB46_864:                             ;   in Loop: Header=BB46_3 Depth=1
	s_or_b32 exec_lo, exec_lo, s10
	s_and_saveexec_b32 s6, s42
	s_cbranch_execz .LBB46_866
; %bb.865:                              ;   in Loop: Header=BB46_3 Depth=1
	ds_load_b64 v[36:37], v1 offset:29120
	s_wait_dscnt 0x0
	v_mul_f64_e32 v[34:35], v[34:35], v[36:37]
	ds_store_b64 v54, v[34:35]
.LBB46_866:                             ;   in Loop: Header=BB46_3 Depth=1
	s_or_b32 exec_lo, exec_lo, s6
	s_wait_dscnt 0x0
	s_barrier_signal -1
	s_barrier_wait -1
	s_and_saveexec_b32 s6, s43
	s_cbranch_execz .LBB46_868
; %bb.867:                              ;   in Loop: Header=BB46_3 Depth=1
	ds_load_b64 v[36:37], v53 offset:29120
	ds_load_b64 v[38:39], v54
	s_wait_dscnt 0x0
	v_fmac_f64_e32 v[34:35], v[36:37], v[38:39]
.LBB46_868:                             ;   in Loop: Header=BB46_3 Depth=1
	s_or_b32 exec_lo, exec_lo, s6
	s_barrier_signal -1
	s_barrier_wait -1
	s_and_saveexec_b32 s6, s44
	s_cbranch_execz .LBB46_870
; %bb.869:                              ;   in Loop: Header=BB46_3 Depth=1
	ds_load_b64 v[36:37], v1 offset:29640
	s_wait_dscnt 0x0
	v_mul_f64_e32 v[34:35], v[34:35], v[36:37]
	ds_store_b64 v54, v[34:35]
.LBB46_870:                             ;   in Loop: Header=BB46_3 Depth=1
	s_or_b32 exec_lo, exec_lo, s6
	s_wait_dscnt 0x0
	s_barrier_signal -1
	s_barrier_wait -1
	s_and_saveexec_b32 s6, s45
	s_cbranch_execz .LBB46_872
; %bb.871:                              ;   in Loop: Header=BB46_3 Depth=1
	ds_load_b64 v[36:37], v53 offset:29632
	ds_load_b64 v[38:39], v54
	s_wait_dscnt 0x0
	v_fmac_f64_e32 v[34:35], v[36:37], v[38:39]
.LBB46_872:                             ;   in Loop: Header=BB46_3 Depth=1
	s_or_b32 exec_lo, exec_lo, s6
	s_barrier_signal -1
	s_barrier_wait -1
	;; [unrolled: 23-line block ×7, first 2 shown]
	s_and_saveexec_b32 s6, s55
	s_cbranch_execz .LBB46_894
; %bb.893:                              ;   in Loop: Header=BB46_3 Depth=1
	ds_load_b64 v[36:37], v1 offset:32760
	s_wait_dscnt 0x0
	v_mul_f64_e32 v[34:35], v[34:35], v[36:37]
	ds_store_b64 v54, v[34:35]
.LBB46_894:                             ;   in Loop: Header=BB46_3 Depth=1
	s_or_b32 exec_lo, exec_lo, s6
	s_wait_dscnt 0x0
	s_barrier_signal -1
	s_barrier_wait -1
	s_barrier_signal -1
	s_barrier_wait -1
	s_and_saveexec_b32 s6, s3
; %bb.895:                              ;   in Loop: Header=BB46_3 Depth=1
	s_delay_alu instid0(VALU_DEP_1)
	v_xor_b32_e32 v35, 0x80000000, v35
	ds_store_b64 v55, v[34:35] offset:25024
; %bb.896:                              ;   in Loop: Header=BB46_3 Depth=1
	s_or_b32 exec_lo, exec_lo, s6
	s_wait_dscnt 0x0
	s_barrier_signal -1
	s_barrier_wait -1
	s_barrier_signal -1
	s_barrier_wait -1
	s_and_saveexec_b32 s10, s14
	s_cbranch_execz .LBB46_898
; %bb.897:                              ;   in Loop: Header=BB46_3 Depth=1
	ds_load_b128 v[34:37], v1 offset:29120
	ds_load_b64 v[38:39], v1 offset:29640
	s_wait_dscnt 0x0
	v_mul_f64_e32 v[34:35], v[34:35], v[38:39]
	s_delay_alu instid0(VALU_DEP_1)
	v_mul_f64_e32 v[34:35], v[36:37], v[34:35]
	ds_store_b64 v1, v[34:35] offset:29128
.LBB46_898:                             ;   in Loop: Header=BB46_3 Depth=1
	s_or_b32 exec_lo, exec_lo, s10
	v_mov_b64_e32 v[34:35], 0
	s_wait_dscnt 0x0
	s_barrier_signal -1
	s_barrier_wait -1
	s_and_saveexec_b32 s10, s1
	s_cbranch_execz .LBB46_902
; %bb.899:                              ;   in Loop: Header=BB46_3 Depth=1
	ds_load_b64 v[34:35], v44 offset:29136
	ds_load_b64 v[36:37], v45 offset:29120
	s_wait_dscnt 0x0
	v_fma_f64 v[34:35], v[34:35], v[36:37], 0
	s_and_saveexec_b32 s6, s15
	s_cbranch_execz .LBB46_901
; %bb.900:                              ;   in Loop: Header=BB46_3 Depth=1
	ds_load_b64 v[36:37], v46 offset:29648
	ds_load_b64 v[38:39], v1 offset:29128
	s_wait_dscnt 0x0
	v_fmac_f64_e32 v[34:35], v[36:37], v[38:39]
.LBB46_901:                             ;   in Loop: Header=BB46_3 Depth=1
	s_or_b32 exec_lo, exec_lo, s6
	s_delay_alu instid0(VALU_DEP_1)
	v_xor_b32_e32 v35, 0x80000000, v35
.LBB46_902:                             ;   in Loop: Header=BB46_3 Depth=1
	s_or_b32 exec_lo, exec_lo, s10
	s_and_saveexec_b32 s6, s104
	s_cbranch_execz .LBB46_904
; %bb.903:                              ;   in Loop: Header=BB46_3 Depth=1
	ds_load_b64 v[36:37], v1 offset:30160
	s_wait_dscnt 0x0
	v_mul_f64_e32 v[34:35], v[34:35], v[36:37]
	ds_store_b64 v3, v[34:35]
.LBB46_904:                             ;   in Loop: Header=BB46_3 Depth=1
	s_or_b32 exec_lo, exec_lo, s6
	s_wait_dscnt 0x0
	s_barrier_signal -1
	s_barrier_wait -1
	s_and_saveexec_b32 s6, vcc_hi
	s_cbranch_execz .LBB46_906
; %bb.905:                              ;   in Loop: Header=BB46_3 Depth=1
	ds_load_b64 v[36:37], v1 offset:30168
	ds_load_b64 v[38:39], v3
	s_wait_dscnt 0x0
	v_fmac_f64_e32 v[34:35], v[36:37], v[38:39]
.LBB46_906:                             ;   in Loop: Header=BB46_3 Depth=1
	s_or_b32 exec_lo, exec_lo, s6
	s_barrier_signal -1
	s_barrier_wait -1
	s_and_saveexec_b32 s6, vcc_hi
	s_cbranch_execz .LBB46_908
; %bb.907:                              ;   in Loop: Header=BB46_3 Depth=1
	ds_load_b64 v[36:37], v1 offset:30680
	s_wait_dscnt 0x0
	v_mul_f64_e32 v[34:35], v[34:35], v[36:37]
	ds_store_b64 v3, v[34:35]
.LBB46_908:                             ;   in Loop: Header=BB46_3 Depth=1
	s_or_b32 exec_lo, exec_lo, s6
	s_wait_dscnt 0x0
	s_barrier_signal -1
	s_barrier_wait -1
	s_barrier_signal -1
	s_barrier_wait -1
	s_and_saveexec_b32 s6, s1
; %bb.909:                              ;   in Loop: Header=BB46_3 Depth=1
	s_delay_alu instid0(VALU_DEP_1)
	v_xor_b32_e32 v35, 0x80000000, v35
	ds_store_b64 v44, v[34:35] offset:29136
; %bb.910:                              ;   in Loop: Header=BB46_3 Depth=1
	s_or_b32 exec_lo, exec_lo, s6
	s_wait_dscnt 0x0
	s_barrier_signal -1
	s_barrier_wait -1
	s_barrier_signal -1
	s_barrier_wait -1
	s_and_saveexec_b32 s10, s14
	s_cbranch_execz .LBB46_912
; %bb.911:                              ;   in Loop: Header=BB46_3 Depth=1
	ds_load_b128 v[34:37], v1 offset:30160
	ds_load_b64 v[38:39], v1 offset:30680
	s_wait_dscnt 0x0
	v_mul_f64_e32 v[34:35], v[34:35], v[38:39]
	s_delay_alu instid0(VALU_DEP_1)
	v_mul_f64_e32 v[34:35], v[36:37], v[34:35]
	ds_store_b64 v1, v[34:35] offset:30168
.LBB46_912:                             ;   in Loop: Header=BB46_3 Depth=1
	s_or_b32 exec_lo, exec_lo, s10
	v_mov_b64_e32 v[34:35], 0
	s_wait_dscnt 0x0
	s_barrier_signal -1
	s_barrier_wait -1
	s_and_saveexec_b32 s10, s2
	s_cbranch_execz .LBB46_918
; %bb.913:                              ;   in Loop: Header=BB46_3 Depth=1
	ds_load_b64 v[34:35], v50 offset:29152
	ds_load_b64 v[36:37], v47 offset:29120
	s_wait_dscnt 0x0
	v_fma_f64 v[34:35], v[34:35], v[36:37], 0
	s_and_saveexec_b32 s6, s16
	s_cbranch_execnz .LBB46_1085
; %bb.914:                              ;   in Loop: Header=BB46_3 Depth=1
	s_or_b32 exec_lo, exec_lo, s6
	s_and_saveexec_b32 s6, s17
	s_cbranch_execnz .LBB46_1086
.LBB46_915:                             ;   in Loop: Header=BB46_3 Depth=1
	s_or_b32 exec_lo, exec_lo, s6
	s_and_saveexec_b32 s6, s1
	s_cbranch_execz .LBB46_917
.LBB46_916:                             ;   in Loop: Header=BB46_3 Depth=1
	ds_load_b64 v[36:37], v46 offset:30688
	ds_load_b64 v[38:39], v1 offset:29144
	s_wait_dscnt 0x0
	v_fmac_f64_e32 v[34:35], v[36:37], v[38:39]
.LBB46_917:                             ;   in Loop: Header=BB46_3 Depth=1
	s_or_b32 exec_lo, exec_lo, s6
	s_delay_alu instid0(VALU_DEP_1)
	v_xor_b32_e32 v35, 0x80000000, v35
.LBB46_918:                             ;   in Loop: Header=BB46_3 Depth=1
	s_or_b32 exec_lo, exec_lo, s10
	s_and_saveexec_b32 s6, s36
	s_cbranch_execz .LBB46_920
; %bb.919:                              ;   in Loop: Header=BB46_3 Depth=1
	ds_load_b64 v[36:37], v1 offset:31200
	s_wait_dscnt 0x0
	v_mul_f64_e32 v[34:35], v[34:35], v[36:37]
	ds_store_b64 v48, v[34:35]
.LBB46_920:                             ;   in Loop: Header=BB46_3 Depth=1
	s_or_b32 exec_lo, exec_lo, s6
	s_wait_dscnt 0x0
	s_barrier_signal -1
	s_barrier_wait -1
	s_and_saveexec_b32 s6, s37
	s_cbranch_execz .LBB46_922
; %bb.921:                              ;   in Loop: Header=BB46_3 Depth=1
	ds_load_b64 v[36:37], v49 offset:31200
	ds_load_b64 v[38:39], v48
	s_wait_dscnt 0x0
	v_fmac_f64_e32 v[34:35], v[36:37], v[38:39]
.LBB46_922:                             ;   in Loop: Header=BB46_3 Depth=1
	s_or_b32 exec_lo, exec_lo, s6
	s_barrier_signal -1
	s_barrier_wait -1
	s_and_saveexec_b32 s6, s38
	s_cbranch_execz .LBB46_924
; %bb.923:                              ;   in Loop: Header=BB46_3 Depth=1
	ds_load_b64 v[36:37], v1 offset:31720
	s_wait_dscnt 0x0
	v_mul_f64_e32 v[34:35], v[34:35], v[36:37]
	ds_store_b64 v48, v[34:35]
.LBB46_924:                             ;   in Loop: Header=BB46_3 Depth=1
	s_or_b32 exec_lo, exec_lo, s6
	s_wait_dscnt 0x0
	s_barrier_signal -1
	s_barrier_wait -1
	s_and_saveexec_b32 s6, s39
	s_cbranch_execz .LBB46_926
; %bb.925:                              ;   in Loop: Header=BB46_3 Depth=1
	ds_load_b64 v[36:37], v49 offset:31712
	ds_load_b64 v[38:39], v48
	s_wait_dscnt 0x0
	v_fmac_f64_e32 v[34:35], v[36:37], v[38:39]
.LBB46_926:                             ;   in Loop: Header=BB46_3 Depth=1
	s_or_b32 exec_lo, exec_lo, s6
	s_barrier_signal -1
	s_barrier_wait -1
	;; [unrolled: 23-line block ×3, first 2 shown]
	s_and_saveexec_b32 s6, s41
	s_cbranch_execz .LBB46_932
; %bb.931:                              ;   in Loop: Header=BB46_3 Depth=1
	ds_load_b64 v[36:37], v1 offset:32760
	s_wait_dscnt 0x0
	v_mul_f64_e32 v[34:35], v[34:35], v[36:37]
	ds_store_b64 v48, v[34:35]
.LBB46_932:                             ;   in Loop: Header=BB46_3 Depth=1
	s_or_b32 exec_lo, exec_lo, s6
	s_wait_dscnt 0x0
	s_barrier_signal -1
	s_barrier_wait -1
	s_barrier_signal -1
	s_barrier_wait -1
	s_and_saveexec_b32 s6, s2
; %bb.933:                              ;   in Loop: Header=BB46_3 Depth=1
	s_delay_alu instid0(VALU_DEP_1)
	v_xor_b32_e32 v35, 0x80000000, v35
	ds_store_b64 v50, v[34:35] offset:29152
; %bb.934:                              ;   in Loop: Header=BB46_3 Depth=1
	s_or_b32 exec_lo, exec_lo, s6
	s_wait_dscnt 0x0
	s_barrier_signal -1
	s_barrier_wait -1
	s_barrier_signal -1
	s_barrier_wait -1
	s_and_saveexec_b32 s10, s14
	s_cbranch_execz .LBB46_936
; %bb.935:                              ;   in Loop: Header=BB46_3 Depth=1
	ds_load_b128 v[34:37], v1 offset:31200
	ds_load_b64 v[38:39], v1 offset:31720
	s_wait_dscnt 0x0
	v_mul_f64_e32 v[34:35], v[34:35], v[38:39]
	s_delay_alu instid0(VALU_DEP_1)
	v_mul_f64_e32 v[34:35], v[36:37], v[34:35]
	ds_store_b64 v1, v[34:35] offset:31208
.LBB46_936:                             ;   in Loop: Header=BB46_3 Depth=1
	s_or_b32 exec_lo, exec_lo, s10
	v_mov_b64_e32 v[34:35], 0
	s_wait_dscnt 0x0
	s_barrier_signal -1
	s_barrier_wait -1
	s_and_saveexec_b32 s10, s1
	s_cbranch_execz .LBB46_940
; %bb.937:                              ;   in Loop: Header=BB46_3 Depth=1
	ds_load_b64 v[34:35], v44 offset:31216
	ds_load_b64 v[36:37], v45 offset:31200
	s_wait_dscnt 0x0
	v_fma_f64 v[34:35], v[34:35], v[36:37], 0
	s_and_saveexec_b32 s6, s15
	s_cbranch_execz .LBB46_939
; %bb.938:                              ;   in Loop: Header=BB46_3 Depth=1
	ds_load_b64 v[36:37], v46 offset:31728
	ds_load_b64 v[38:39], v1 offset:31208
	s_wait_dscnt 0x0
	v_fmac_f64_e32 v[34:35], v[36:37], v[38:39]
.LBB46_939:                             ;   in Loop: Header=BB46_3 Depth=1
	s_or_b32 exec_lo, exec_lo, s6
	s_delay_alu instid0(VALU_DEP_1)
	v_xor_b32_e32 v35, 0x80000000, v35
.LBB46_940:                             ;   in Loop: Header=BB46_3 Depth=1
	s_or_b32 exec_lo, exec_lo, s10
	s_and_saveexec_b32 s6, s104
	s_cbranch_execz .LBB46_942
; %bb.941:                              ;   in Loop: Header=BB46_3 Depth=1
	ds_load_b64 v[36:37], v1 offset:32240
	s_wait_dscnt 0x0
	v_mul_f64_e32 v[34:35], v[34:35], v[36:37]
	ds_store_b64 v3, v[34:35]
.LBB46_942:                             ;   in Loop: Header=BB46_3 Depth=1
	s_or_b32 exec_lo, exec_lo, s6
	s_wait_dscnt 0x0
	s_barrier_signal -1
	s_barrier_wait -1
	s_and_saveexec_b32 s6, vcc_hi
	s_cbranch_execz .LBB46_944
; %bb.943:                              ;   in Loop: Header=BB46_3 Depth=1
	ds_load_b64 v[36:37], v1 offset:32248
	ds_load_b64 v[38:39], v3
	s_wait_dscnt 0x0
	v_fmac_f64_e32 v[34:35], v[36:37], v[38:39]
.LBB46_944:                             ;   in Loop: Header=BB46_3 Depth=1
	s_or_b32 exec_lo, exec_lo, s6
	s_barrier_signal -1
	s_barrier_wait -1
	s_and_saveexec_b32 s6, vcc_hi
	s_cbranch_execz .LBB46_946
; %bb.945:                              ;   in Loop: Header=BB46_3 Depth=1
	ds_load_b64 v[36:37], v1 offset:32760
	s_wait_dscnt 0x0
	v_mul_f64_e32 v[34:35], v[34:35], v[36:37]
	ds_store_b64 v3, v[34:35]
.LBB46_946:                             ;   in Loop: Header=BB46_3 Depth=1
	s_or_b32 exec_lo, exec_lo, s6
	s_wait_dscnt 0x0
	s_barrier_signal -1
	s_barrier_wait -1
	s_barrier_signal -1
	s_barrier_wait -1
	s_and_saveexec_b32 s6, s1
; %bb.947:                              ;   in Loop: Header=BB46_3 Depth=1
	s_delay_alu instid0(VALU_DEP_1)
	v_xor_b32_e32 v35, 0x80000000, v35
	ds_store_b64 v44, v[34:35] offset:31216
; %bb.948:                              ;   in Loop: Header=BB46_3 Depth=1
	s_or_b32 exec_lo, exec_lo, s6
	s_wait_dscnt 0x0
	s_barrier_signal -1
	s_barrier_wait -1
	s_barrier_signal -1
	s_barrier_wait -1
	s_and_saveexec_b32 s10, s14
	s_cbranch_execz .LBB46_950
; %bb.949:                              ;   in Loop: Header=BB46_3 Depth=1
	ds_load_b128 v[34:37], v1 offset:32240
	ds_load_b64 v[38:39], v1 offset:32760
	s_wait_dscnt 0x0
	v_mul_f64_e32 v[34:35], v[34:35], v[38:39]
	s_delay_alu instid0(VALU_DEP_1)
	v_mul_f64_e32 v[34:35], v[36:37], v[34:35]
	ds_store_b64 v1, v[34:35] offset:32248
.LBB46_950:                             ;   in Loop: Header=BB46_3 Depth=1
	s_or_b32 exec_lo, exec_lo, s10
.LBB46_951:                             ;   in Loop: Header=BB46_3 Depth=1
	v_readlane_b32 s96, v84, 2
	v_mov_b64_e32 v[34:35], 0
	v_readlane_b32 s97, v84, 3
	s_mul_u64 s[10:11], s[84:85], s[88:89]
	s_wait_dscnt 0x0
	s_lshl_b64 s[10:11], s[10:11], 3
	s_barrier_signal -1
	s_add_nc_u64 s[96:97], s[96:97], s[10:11]
	s_barrier_wait -1
	s_and_saveexec_b32 s6, s58
	s_cbranch_execz .LBB46_953
; %bb.952:                              ;   in Loop: Header=BB46_3 Depth=1
	v_lshl_add_u64 v[34:35], v[20:21], 3, s[96:97]
	global_load_b64 v[34:35], v[34:35], off
	s_wait_loadcnt 0x0
	v_mul_f64_e64 v[34:35], v[34:35], -s[76:77]
.LBB46_953:                             ;   in Loop: Header=BB46_3 Depth=1
	s_or_b32 exec_lo, exec_lo, s6
	s_delay_alu instid0(SALU_CYCLE_1)
	s_and_not1_b32 vcc_lo, exec_lo, s65
	s_cbranch_vccnz .LBB46_979
; %bb.954:                              ;   in Loop: Header=BB46_3 Depth=1
	v_lshl_add_u64 v[36:37], v[6:7], 3, s[94:95]
	v_mov_b32_e32 v78, -1
	s_lshl_b64 s[10:11], s[88:89], 2
	s_delay_alu instid0(SALU_CYCLE_1)
	s_add_nc_u64 s[94:95], s[86:87], s[10:11]
	s_mov_b32 s10, 0
	s_branch .LBB46_957
.LBB46_955:                             ;   in Loop: Header=BB46_957 Depth=2
	s_wait_xcnt 0x0
	ds_load_b64 v[38:39], v69 offset:384
	s_wait_loadcnt_dscnt 0x0
	v_fmac_f64_e32 v[34:35], v[40:41], v[38:39]
.LBB46_956:                             ;   in Loop: Header=BB46_957 Depth=2
	s_or_b32 exec_lo, exec_lo, s11
	s_add_co_i32 s10, s10, 1
	s_delay_alu instid0(SALU_CYCLE_1)
	s_cmp_eq_u32 s10, s100
	s_cbranch_scc1 .LBB46_979
.LBB46_957:                             ;   Parent Loop BB46_3 Depth=1
                                        ; =>  This Loop Header: Depth=2
                                        ;       Child Loop BB46_959 Depth 3
	v_cmp_gt_i32_e32 vcc_lo, s10, v78
	s_and_b32 s6, s59, vcc_lo
	s_delay_alu instid0(SALU_CYCLE_1)
	s_and_saveexec_b32 s11, s6
	s_cbranch_execz .LBB46_960
; %bb.958:                              ;   in Loop: Header=BB46_957 Depth=2
	global_load_b32 v78, v1, s[94:95]
	s_wait_loadcnt 0x0
	v_cmp_le_i32_e32 vcc_lo, s10, v78
	s_cbranch_vccnz .LBB46_960
.LBB46_959:                             ;   Parent Loop BB46_3 Depth=1
                                        ;     Parent Loop BB46_957 Depth=2
                                        ; =>    This Inner Loop Header: Depth=3
	global_wb scope:SCOPE_DEV
	s_wait_storecnt 0x0
	global_inv scope:SCOPE_DEV
	global_load_b32 v78, v1, s[94:95]
	s_wait_loadcnt 0x0
	v_cmp_gt_i32_e32 vcc_lo, s10, v78
	s_cbranch_vccnz .LBB46_959
.LBB46_960:                             ;   in Loop: Header=BB46_957 Depth=2
	s_or_b32 exec_lo, exec_lo, s11
	s_lshl_b32 s69, s10, 6
	global_wb scope:SCOPE_DEV
	s_wait_storecnt 0x0
	global_inv scope:SCOPE_DEV
	s_wait_loadcnt 0x0
	s_barrier_signal -1
	s_barrier_wait -1
	s_and_saveexec_b32 s11, s60
	s_cbranch_execz .LBB46_964
; %bb.961:                              ;   in Loop: Header=BB46_957 Depth=2
	v_mov_b64_e32 v[38:39], 0
	v_or_b32_e32 v0, s69, v4
	s_mov_b32 s6, exec_lo
	s_delay_alu instid0(VALU_DEP_1)
	v_cmpx_gt_i32_e64 s99, v0
	s_cbranch_execz .LBB46_963
; %bb.962:                              ;   in Loop: Header=BB46_957 Depth=2
	v_mul_u64_e32 v[38:39], s[82:83], v[0:1]
	s_delay_alu instid0(VALU_DEP_1)
	v_lshl_add_u64 v[38:39], v[38:39], 3, s[96:97]
	global_load_b64 v[38:39], v[38:39], off
.LBB46_963:                             ;   in Loop: Header=BB46_957 Depth=2
	s_wait_xcnt 0x0
	s_or_b32 exec_lo, exec_lo, s6
	s_wait_loadcnt 0x0
	ds_store_b64 v68, v[38:39]
.LBB46_964:                             ;   in Loop: Header=BB46_957 Depth=2
	s_or_b32 exec_lo, exec_lo, s11
	v_add_nc_u32_e32 v0, s69, v42
	v_cmp_ne_u32_e32 vcc_lo, s10, v43
	s_wait_dscnt 0x0
	s_barrier_signal -1
	s_barrier_wait -1
	v_mul_u64_e32 v[38:39], s[72:73], v[0:1]
	v_cmp_gt_i32_e64 s69, s99, v0
	v_cndmask_b32_e64 v79, 0, 1, vcc_lo
	s_and_b32 s6, s0, s69
	v_lshl_add_u64 v[38:39], v[38:39], 3, v[36:37]
	s_and_saveexec_b32 s11, s6
	s_cbranch_execz .LBB46_968
; %bb.965:                              ;   in Loop: Header=BB46_957 Depth=2
	v_mov_b64_e32 v[40:41], v[26:27]
	s_and_not1_b32 vcc_lo, exec_lo, vcc_lo
	s_cbranch_vccnz .LBB46_967
; %bb.966:                              ;   in Loop: Header=BB46_957 Depth=2
	global_load_b64 v[40:41], v[38:39], off
.LBB46_967:                             ;   in Loop: Header=BB46_957 Depth=2
	ds_load_b64 v[80:81], v69
	s_wait_loadcnt_dscnt 0x0
	v_fmac_f64_e32 v[34:35], v[40:41], v[80:81]
.LBB46_968:                             ;   in Loop: Header=BB46_957 Depth=2
	s_or_b32 exec_lo, exec_lo, s11
	v_add_nc_u32_e32 v40, 16, v0
	s_delay_alu instid0(VALU_DEP_1) | instskip(SKIP_1) | instid1(SALU_CYCLE_1)
	v_cmp_gt_i32_e32 vcc_lo, s99, v40
	s_and_b32 s6, s0, vcc_lo
	s_and_saveexec_b32 s11, s6
	s_cbranch_execz .LBB46_972
; %bb.969:                              ;   in Loop: Header=BB46_957 Depth=2
	v_cmp_ne_u32_e32 vcc_lo, 1, v79
	v_mov_b64_e32 v[40:41], v[28:29]
	s_cbranch_vccnz .LBB46_971
; %bb.970:                              ;   in Loop: Header=BB46_957 Depth=2
	v_add_nc_u64_e32 v[40:41], s[80:81], v[38:39]
	global_load_b64 v[40:41], v[40:41], off
.LBB46_971:                             ;   in Loop: Header=BB46_957 Depth=2
	ds_load_b64 v[80:81], v69 offset:128
	s_wait_loadcnt_dscnt 0x0
	v_fmac_f64_e32 v[34:35], v[40:41], v[80:81]
.LBB46_972:                             ;   in Loop: Header=BB46_957 Depth=2
	s_or_b32 exec_lo, exec_lo, s11
	v_add_nc_u32_e32 v40, 32, v0
	s_delay_alu instid0(VALU_DEP_1) | instskip(SKIP_1) | instid1(SALU_CYCLE_1)
	v_cmp_gt_i32_e32 vcc_lo, s99, v40
	s_and_b32 s6, s0, vcc_lo
	s_and_saveexec_b32 s11, s6
	s_cbranch_execz .LBB46_976
; %bb.973:                              ;   in Loop: Header=BB46_957 Depth=2
	v_cmp_ne_u32_e32 vcc_lo, 1, v79
	v_mov_b64_e32 v[40:41], v[30:31]
	s_cbranch_vccnz .LBB46_975
; %bb.974:                              ;   in Loop: Header=BB46_957 Depth=2
	v_add_nc_u64_e32 v[40:41], s[90:91], v[38:39]
	global_load_b64 v[40:41], v[40:41], off
.LBB46_975:                             ;   in Loop: Header=BB46_957 Depth=2
	ds_load_b64 v[80:81], v69 offset:256
	s_wait_loadcnt_dscnt 0x0
	v_fmac_f64_e32 v[34:35], v[40:41], v[80:81]
.LBB46_976:                             ;   in Loop: Header=BB46_957 Depth=2
	s_or_b32 exec_lo, exec_lo, s11
	v_add_nc_u32_e32 v0, 48, v0
	s_delay_alu instid0(VALU_DEP_1) | instskip(SKIP_1) | instid1(SALU_CYCLE_1)
	v_cmp_gt_i32_e32 vcc_lo, s99, v0
	s_and_b32 s6, s0, vcc_lo
	s_and_saveexec_b32 s11, s6
	s_cbranch_execz .LBB46_956
; %bb.977:                              ;   in Loop: Header=BB46_957 Depth=2
	v_cmp_ne_u32_e32 vcc_lo, 1, v79
	v_mov_b64_e32 v[40:41], v[32:33]
	s_cbranch_vccnz .LBB46_955
; %bb.978:                              ;   in Loop: Header=BB46_957 Depth=2
	v_add_nc_u64_e32 v[38:39], s[92:93], v[38:39]
	global_load_b64 v[40:41], v[38:39], off
	s_branch .LBB46_955
.LBB46_979:                             ;   in Loop: Header=BB46_3 Depth=1
	ds_store_b64 v70, v[34:35]
	s_wait_dscnt 0x0
	s_barrier_signal -1
	s_barrier_wait -1
	s_and_saveexec_b32 s10, s5
	s_cbranch_execz .LBB46_981
; %bb.980:                              ;   in Loop: Header=BB46_3 Depth=1
	ds_load_2addr_stride64_b64 v[36:39], v71 offset0:1 offset1:2
	ds_load_2addr_stride64_b64 v[78:81], v71 offset0:3 offset1:4
	s_wait_dscnt 0x1
	v_add_f64_e32 v[34:35], v[34:35], v[36:37]
	s_delay_alu instid0(VALU_DEP_1) | instskip(SKIP_1) | instid1(VALU_DEP_1)
	v_add_f64_e32 v[34:35], v[34:35], v[38:39]
	s_wait_dscnt 0x0
	v_add_f64_e32 v[34:35], v[34:35], v[78:79]
	s_delay_alu instid0(VALU_DEP_1) | instskip(SKIP_4) | instid1(VALU_DEP_1)
	v_add_f64_e32 v[78:79], v[34:35], v[80:81]
	ds_load_2addr_stride64_b64 v[34:37], v71 offset0:5 offset1:6
	ds_load_2addr_stride64_b64 v[38:41], v71 offset0:7 offset1:8
	s_wait_dscnt 0x1
	v_add_f64_e32 v[34:35], v[78:79], v[34:35]
	v_add_f64_e32 v[34:35], v[34:35], v[36:37]
	s_wait_dscnt 0x0
	s_delay_alu instid0(VALU_DEP_1) | instskip(NEXT) | instid1(VALU_DEP_1)
	v_add_f64_e32 v[34:35], v[34:35], v[38:39]
	v_add_f64_e32 v[78:79], v[34:35], v[40:41]
	ds_load_2addr_stride64_b64 v[34:37], v71 offset0:9 offset1:10
	ds_load_2addr_stride64_b64 v[38:41], v71 offset0:11 offset1:12
	s_wait_dscnt 0x1
	v_add_f64_e32 v[34:35], v[78:79], v[34:35]
	s_delay_alu instid0(VALU_DEP_1) | instskip(SKIP_1) | instid1(VALU_DEP_1)
	v_add_f64_e32 v[34:35], v[34:35], v[36:37]
	s_wait_dscnt 0x0
	v_add_f64_e32 v[34:35], v[34:35], v[38:39]
	s_delay_alu instid0(VALU_DEP_1) | instskip(SKIP_4) | instid1(VALU_DEP_1)
	v_add_f64_e32 v[38:39], v[34:35], v[40:41]
	ds_load_2addr_stride64_b64 v[34:37], v71 offset0:13 offset1:14
	ds_load_b64 v[40:41], v71 offset:7680
	s_wait_dscnt 0x1
	v_add_f64_e32 v[34:35], v[38:39], v[34:35]
	v_add_f64_e32 v[34:35], v[34:35], v[36:37]
	s_wait_dscnt 0x0
	s_delay_alu instid0(VALU_DEP_1) | instskip(NEXT) | instid1(VALU_DEP_1)
	v_add_f64_e32 v[34:35], v[34:35], v[40:41]
	v_xor_b32_e32 v0, 0x80000000, v35
	s_delay_alu instid0(VALU_DEP_2) | instskip(NEXT) | instid1(VALU_DEP_2)
	v_cndmask_b32_e64 v34, v34, 0, s57
	v_cndmask_b32_e64 v35, v0, 0, s57
.LBB46_981:                             ;   in Loop: Header=BB46_3 Depth=1
	s_or_b32 exec_lo, exec_lo, s10
	s_delay_alu instid0(SALU_CYCLE_1)
	s_and_not1_b32 vcc_lo, exec_lo, s103
	s_cbranch_vccnz .LBB46_994
; %bb.982:                              ;   in Loop: Header=BB46_3 Depth=1
	s_and_saveexec_b32 s6, s5
; %bb.983:                              ;   in Loop: Header=BB46_3 Depth=1
	ds_store_b64 v5, v[34:35]
; %bb.984:                              ;   in Loop: Header=BB46_3 Depth=1
	s_or_b32 exec_lo, exec_lo, s6
	v_mov_b64_e32 v[36:37], 0
	s_wait_dscnt 0x0
	s_barrier_signal -1
	s_barrier_wait -1
	s_mov_b32 s6, exec_lo
	v_readlane_b32 s10, v83, 30
	s_and_b32 s10, s6, s10
	s_delay_alu instid0(SALU_CYCLE_1)
	s_mov_b32 exec_lo, s10
	s_cbranch_execz .LBB46_986
; %bb.985:                              ;   in Loop: Header=BB46_3 Depth=1
	ds_load_b64 v[36:37], v72
	ds_load_b64 v[38:39], v69
	s_wait_dscnt 0x0
	v_fma_f64 v[36:37], v[36:37], v[38:39], 0
.LBB46_986:                             ;   in Loop: Header=BB46_3 Depth=1
	s_or_b32 exec_lo, exec_lo, s6
	s_delay_alu instid0(SALU_CYCLE_1) | instskip(SKIP_2) | instid1(SALU_CYCLE_1)
	s_mov_b32 s6, exec_lo
	v_readlane_b32 s10, v83, 31
	s_and_b32 s10, s6, s10
	s_mov_b32 exec_lo, s10
	s_cbranch_execz .LBB46_988
; %bb.987:                              ;   in Loop: Header=BB46_3 Depth=1
	ds_load_b64 v[38:39], v72 offset:8192
	ds_load_b64 v[40:41], v69 offset:128
	s_wait_dscnt 0x0
	v_fmac_f64_e32 v[36:37], v[38:39], v[40:41]
.LBB46_988:                             ;   in Loop: Header=BB46_3 Depth=1
	s_or_b32 exec_lo, exec_lo, s6
	s_delay_alu instid0(SALU_CYCLE_1) | instskip(SKIP_2) | instid1(SALU_CYCLE_1)
	s_mov_b32 s6, exec_lo
	v_readlane_b32 s10, v82, 0
	s_and_b32 s10, s6, s10
	s_mov_b32 exec_lo, s10
	s_cbranch_execz .LBB46_990
; %bb.989:                              ;   in Loop: Header=BB46_3 Depth=1
	ds_load_b64 v[38:39], v72 offset:16384
	ds_load_b64 v[40:41], v69 offset:256
	s_wait_dscnt 0x0
	v_fmac_f64_e32 v[36:37], v[38:39], v[40:41]
.LBB46_990:                             ;   in Loop: Header=BB46_3 Depth=1
	;; [unrolled: 13-line block ×3, first 2 shown]
	s_or_b32 exec_lo, exec_lo, s6
	s_mov_b32 s10, 0
	s_mov_b32 s69, 0
	ds_store_b64 v70, v[36:37]
	s_wait_dscnt 0x0
	s_barrier_signal -1
	s_barrier_wait -1
                                        ; implicit-def: $vgpr38_vgpr39
	s_and_saveexec_b32 s94, s5
	s_cbranch_execz .LBB46_1030
; %bb.993:                              ;   in Loop: Header=BB46_3 Depth=1
	ds_load_2addr_stride64_b64 v[38:41], v71 offset0:1 offset1:2
	ds_load_2addr_stride64_b64 v[78:81], v71 offset0:3 offset1:4
	s_mov_b32 s69, exec_lo
	s_wait_dscnt 0x1
	v_add_f64_e32 v[36:37], v[36:37], v[38:39]
	s_delay_alu instid0(VALU_DEP_1) | instskip(SKIP_1) | instid1(VALU_DEP_1)
	v_add_f64_e32 v[36:37], v[40:41], v[36:37]
	s_wait_dscnt 0x0
	v_add_f64_e32 v[36:37], v[78:79], v[36:37]
	s_delay_alu instid0(VALU_DEP_1) | instskip(SKIP_4) | instid1(VALU_DEP_1)
	v_add_f64_e32 v[40:41], v[80:81], v[36:37]
	ds_load_2addr_stride64_b64 v[36:39], v71 offset0:5 offset1:6
	ds_load_2addr_stride64_b64 v[78:81], v71 offset0:7 offset1:8
	s_wait_dscnt 0x1
	v_add_f64_e32 v[36:37], v[36:37], v[40:41]
	v_add_f64_e32 v[36:37], v[38:39], v[36:37]
	s_wait_dscnt 0x0
	s_delay_alu instid0(VALU_DEP_1) | instskip(NEXT) | instid1(VALU_DEP_1)
	v_add_f64_e32 v[36:37], v[78:79], v[36:37]
	v_add_f64_e32 v[40:41], v[80:81], v[36:37]
	ds_load_2addr_stride64_b64 v[36:39], v71 offset0:9 offset1:10
	ds_load_2addr_stride64_b64 v[78:81], v71 offset0:11 offset1:12
	s_wait_dscnt 0x1
	v_add_f64_e32 v[36:37], v[36:37], v[40:41]
	s_delay_alu instid0(VALU_DEP_1) | instskip(SKIP_1) | instid1(VALU_DEP_1)
	v_add_f64_e32 v[36:37], v[38:39], v[36:37]
	s_wait_dscnt 0x0
	v_add_f64_e32 v[36:37], v[78:79], v[36:37]
	s_delay_alu instid0(VALU_DEP_1) | instskip(SKIP_4) | instid1(VALU_DEP_1)
	v_add_f64_e32 v[40:41], v[80:81], v[36:37]
	ds_load_2addr_stride64_b64 v[36:39], v71 offset0:13 offset1:14
	ds_load_b64 v[78:79], v71 offset:7680
	s_wait_dscnt 0x1
	v_add_f64_e32 v[36:37], v[36:37], v[40:41]
	v_add_f64_e32 v[36:37], v[38:39], v[36:37]
	s_wait_dscnt 0x0
	s_delay_alu instid0(VALU_DEP_1) | instskip(SKIP_1) | instid1(SALU_CYCLE_1)
	v_add_f64_e32 v[38:39], v[78:79], v[36:37]
	s_or_b32 exec_lo, exec_lo, s94
	s_and_b32 vcc_lo, exec_lo, s10
	s_cbranch_vccnz .LBB46_995
	s_branch .LBB46_1031
.LBB46_994:                             ;   in Loop: Header=BB46_3 Depth=1
	s_mov_b32 s69, 0
                                        ; implicit-def: $vgpr38_vgpr39
	s_cbranch_execz .LBB46_1031
.LBB46_995:                             ;   in Loop: Header=BB46_3 Depth=1
	v_dual_mov_b32 v0, v2 :: v_dual_mov_b32 v36, v46
	s_mov_b32 s10, 0
	s_branch .LBB46_997
.LBB46_996:                             ;   in Loop: Header=BB46_997 Depth=2
	s_or_b32 exec_lo, exec_lo, s6
	v_add_nc_u32_e32 v36, 0x800, v36
	v_add_nc_u32_e32 v0, -4, v0
	s_add_co_i32 s10, s10, 4
	s_delay_alu instid0(SALU_CYCLE_1)
	s_cmp_lg_u32 s10, 64
	s_barrier_signal -1
	s_barrier_wait -1
	s_cbranch_scc0 .LBB46_1013
.LBB46_997:                             ;   Parent Loop BB46_3 Depth=1
                                        ; =>  This Inner Loop Header: Depth=2
	s_delay_alu instid0(VALU_DEP_1) | instskip(SKIP_1) | instid1(SALU_CYCLE_1)
	v_cmp_eq_u32_e32 vcc_lo, 0, v0
	s_and_b32 s11, s5, vcc_lo
	s_and_saveexec_b32 s6, s11
	s_cbranch_execz .LBB46_999
; %bb.998:                              ;   in Loop: Header=BB46_997 Depth=2
	ds_load_b64 v[38:39], v73
	s_wait_dscnt 0x0
	v_mul_f64_e32 v[34:35], v[34:35], v[38:39]
	ds_store_b64 v1, v[34:35] offset:41472
.LBB46_999:                             ;   in Loop: Header=BB46_997 Depth=2
	s_or_b32 exec_lo, exec_lo, s6
	v_cmp_lt_u32_e32 vcc_lo, s10, v2
	s_wait_dscnt 0x0
	s_barrier_signal -1
	s_barrier_wait -1
	s_and_b32 s11, s5, vcc_lo
	s_delay_alu instid0(SALU_CYCLE_1)
	s_and_saveexec_b32 s6, s11
	s_cbranch_execz .LBB46_1001
; %bb.1000:                             ;   in Loop: Header=BB46_997 Depth=2
	ds_load_b64 v[38:39], v36
	ds_load_b64 v[40:41], v1 offset:41472
	s_wait_dscnt 0x0
	v_fmac_f64_e32 v[34:35], v[38:39], v[40:41]
.LBB46_1001:                            ;   in Loop: Header=BB46_997 Depth=2
	s_or_b32 exec_lo, exec_lo, s6
	s_or_b32 s11, s10, 1
	s_delay_alu instid0(SALU_CYCLE_1) | instskip(SKIP_3) | instid1(SALU_CYCLE_1)
	v_cmp_eq_u32_e32 vcc_lo, s11, v2
	s_barrier_signal -1
	s_barrier_wait -1
	s_and_b32 s94, s5, vcc_lo
	s_and_saveexec_b32 s6, s94
	s_cbranch_execz .LBB46_1003
; %bb.1002:                             ;   in Loop: Header=BB46_997 Depth=2
	ds_load_b64 v[38:39], v73
	s_wait_dscnt 0x0
	v_mul_f64_e32 v[34:35], v[34:35], v[38:39]
	ds_store_b64 v1, v[34:35] offset:41472
.LBB46_1003:                            ;   in Loop: Header=BB46_997 Depth=2
	s_or_b32 exec_lo, exec_lo, s6
	v_cmp_lt_u32_e32 vcc_lo, s11, v2
	s_wait_dscnt 0x0
	s_barrier_signal -1
	s_barrier_wait -1
	s_and_b32 s11, s5, vcc_lo
	s_delay_alu instid0(SALU_CYCLE_1)
	s_and_saveexec_b32 s6, s11
	s_cbranch_execz .LBB46_1005
; %bb.1004:                             ;   in Loop: Header=BB46_997 Depth=2
	ds_load_b64 v[38:39], v36 offset:512
	ds_load_b64 v[40:41], v1 offset:41472
	s_wait_dscnt 0x0
	v_fmac_f64_e32 v[34:35], v[38:39], v[40:41]
.LBB46_1005:                            ;   in Loop: Header=BB46_997 Depth=2
	s_or_b32 exec_lo, exec_lo, s6
	s_or_b32 s11, s10, 2
	s_delay_alu instid0(SALU_CYCLE_1) | instskip(SKIP_3) | instid1(SALU_CYCLE_1)
	v_cmp_eq_u32_e32 vcc_lo, s11, v2
	s_barrier_signal -1
	s_barrier_wait -1
	s_and_b32 s94, s5, vcc_lo
	s_and_saveexec_b32 s6, s94
	s_cbranch_execz .LBB46_1007
; %bb.1006:                             ;   in Loop: Header=BB46_997 Depth=2
	ds_load_b64 v[38:39], v73
	s_wait_dscnt 0x0
	v_mul_f64_e32 v[34:35], v[34:35], v[38:39]
	ds_store_b64 v1, v[34:35] offset:41472
.LBB46_1007:                            ;   in Loop: Header=BB46_997 Depth=2
	s_or_b32 exec_lo, exec_lo, s6
	v_cmp_lt_u32_e32 vcc_lo, s11, v2
	s_wait_dscnt 0x0
	s_barrier_signal -1
	s_barrier_wait -1
	s_and_b32 s11, s5, vcc_lo
	s_delay_alu instid0(SALU_CYCLE_1)
	s_and_saveexec_b32 s6, s11
	s_cbranch_execz .LBB46_1009
; %bb.1008:                             ;   in Loop: Header=BB46_997 Depth=2
	ds_load_b64 v[38:39], v36 offset:1024
	ds_load_b64 v[40:41], v1 offset:41472
	s_wait_dscnt 0x0
	v_fmac_f64_e32 v[34:35], v[38:39], v[40:41]
.LBB46_1009:                            ;   in Loop: Header=BB46_997 Depth=2
	s_or_b32 exec_lo, exec_lo, s6
	s_or_b32 s11, s10, 3
	s_delay_alu instid0(SALU_CYCLE_1) | instskip(SKIP_3) | instid1(SALU_CYCLE_1)
	v_cmp_eq_u32_e32 vcc_lo, s11, v2
	s_barrier_signal -1
	s_barrier_wait -1
	s_and_b32 s94, s5, vcc_lo
	s_and_saveexec_b32 s6, s94
	s_cbranch_execz .LBB46_1011
; %bb.1010:                             ;   in Loop: Header=BB46_997 Depth=2
	ds_load_b64 v[38:39], v73
	s_wait_dscnt 0x0
	v_mul_f64_e32 v[34:35], v[34:35], v[38:39]
	ds_store_b64 v1, v[34:35] offset:41472
.LBB46_1011:                            ;   in Loop: Header=BB46_997 Depth=2
	s_or_b32 exec_lo, exec_lo, s6
	v_cmp_lt_u32_e32 vcc_lo, s11, v2
	s_wait_dscnt 0x0
	s_barrier_signal -1
	s_barrier_wait -1
	s_and_b32 s11, s5, vcc_lo
	s_delay_alu instid0(SALU_CYCLE_1)
	s_and_saveexec_b32 s6, s11
	s_cbranch_execz .LBB46_996
; %bb.1012:                             ;   in Loop: Header=BB46_997 Depth=2
	ds_load_b64 v[38:39], v36 offset:1536
	ds_load_b64 v[40:41], v1 offset:41472
	s_wait_dscnt 0x0
	v_fmac_f64_e32 v[34:35], v[38:39], v[40:41]
	s_branch .LBB46_996
.LBB46_1013:                            ;   in Loop: Header=BB46_3 Depth=1
	s_and_b32 vcc_lo, exec_lo, s102
	s_mov_b32 s10, -1
	s_cbranch_vccz .LBB46_1015
; %bb.1014:                             ;   in Loop: Header=BB46_3 Depth=1
	s_and_not1_b32 s6, s69, exec_lo
	s_and_b32 s11, s5, exec_lo
	s_mov_b32 s10, 0
	s_or_b32 s69, s6, s11
.LBB46_1015:                            ;   in Loop: Header=BB46_3 Depth=1
	s_and_not1_b32 vcc_lo, exec_lo, s10
	s_cbranch_vccnz .LBB46_1017
; %bb.1016:                             ;   in Loop: Header=BB46_3 Depth=1
	v_readlane_b32 s10, v84, 9
	s_and_not1_b32 s6, s69, exec_lo
	s_and_b32 s10, s10, exec_lo
	s_delay_alu instid0(SALU_CYCLE_1)
	s_or_b32 s69, s6, s10
.LBB46_1017:                            ;   in Loop: Header=BB46_3 Depth=1
	v_mov_b64_e32 v[36:37], v[10:11]
	s_and_saveexec_b32 s6, s69
	s_cbranch_execnz .LBB46_1032
	s_branch .LBB46_1033
.LBB46_1018:                            ;   in Loop: Header=BB46_3 Depth=1
	s_mov_b32 s6, exec_lo
	v_readlane_b32 s11, v84, 22
	s_and_b32 s11, s6, s11
	s_delay_alu instid0(SALU_CYCLE_1)
	s_xor_b32 s6, s11, s6
	s_mov_b32 exec_lo, s11
	s_cbranch_execz .LBB46_1020
; %bb.1019:                             ;   in Loop: Header=BB46_3 Depth=1
	v_readlane_b32 s11, v82, 2
	s_and_b32 s69, s11, exec_lo
.LBB46_1020:                            ;   in Loop: Header=BB46_3 Depth=1
	s_or_saveexec_b32 s96, s6
	v_mov_b64_e32 v[34:35], 0
	s_xor_b32 exec_lo, exec_lo, s96
	s_cbranch_execz .LBB46_1022
; %bb.1021:                             ;   in Loop: Header=BB46_3 Depth=1
	v_lshl_add_u64 v[34:35], v[12:13], 3, s[94:95]
	s_or_b32 s69, s69, exec_lo
	global_load_b64 v[34:35], v[34:35], off
	s_wait_loadcnt 0x0
	v_div_scale_f64 v[36:37], null, v[34:35], v[34:35], 1.0
	s_delay_alu instid0(VALU_DEP_1) | instskip(SKIP_1) | instid1(TRANS32_DEP_1)
	v_rcp_f64_e32 v[38:39], v[36:37]
	v_nop
	v_fma_f64 v[40:41], -v[36:37], v[38:39], 1.0
	s_delay_alu instid0(VALU_DEP_1) | instskip(NEXT) | instid1(VALU_DEP_1)
	v_fmac_f64_e32 v[38:39], v[38:39], v[40:41]
	v_fma_f64 v[40:41], -v[36:37], v[38:39], 1.0
	s_delay_alu instid0(VALU_DEP_1) | instskip(SKIP_1) | instid1(VALU_DEP_1)
	v_fmac_f64_e32 v[38:39], v[38:39], v[40:41]
	v_div_scale_f64 v[40:41], vcc_lo, 1.0, v[34:35], 1.0
	v_mul_f64_e32 v[78:79], v[40:41], v[38:39]
	s_delay_alu instid0(VALU_DEP_1) | instskip(NEXT) | instid1(VALU_DEP_1)
	v_fma_f64 v[36:37], -v[36:37], v[78:79], v[40:41]
	v_div_fmas_f64 v[36:37], v[36:37], v[38:39], v[78:79]
	s_delay_alu instid0(VALU_DEP_1)
	v_div_fixup_f64 v[34:35], v[36:37], v[34:35], 1.0
.LBB46_1022:                            ;   in Loop: Header=BB46_3 Depth=1
	s_or_b32 exec_lo, exec_lo, s96
	s_delay_alu instid0(SALU_CYCLE_1)
	s_and_b32 s69, s69, exec_lo
	s_and_not1_saveexec_b32 s10, s10
	s_cbranch_execz .LBB46_17
.LBB46_1023:                            ;   in Loop: Header=BB46_3 Depth=1
	v_lshl_add_u64 v[34:35], v[12:13], 3, s[94:95]
	s_or_b32 s69, s69, exec_lo
	global_load_b64 v[34:35], v[34:35], off
	s_wait_loadcnt 0x0
	v_xor_b32_e32 v35, 0x80000000, v35
	s_or_b32 exec_lo, exec_lo, s10
	s_and_saveexec_b32 s6, s69
	s_cbranch_execnz .LBB46_18
	s_branch .LBB46_19
.LBB46_1024:                            ;   in Loop: Header=BB46_3 Depth=1
	s_mov_b32 s6, exec_lo
	v_readlane_b32 s11, v84, 23
	s_and_b32 s11, s6, s11
	s_delay_alu instid0(SALU_CYCLE_1)
	s_xor_b32 s6, s11, s6
	s_mov_b32 exec_lo, s11
	s_cbranch_execz .LBB46_1026
; %bb.1025:                             ;   in Loop: Header=BB46_3 Depth=1
	v_readlane_b32 s11, v82, 2
	s_and_b32 s69, s11, exec_lo
.LBB46_1026:                            ;   in Loop: Header=BB46_3 Depth=1
	s_or_saveexec_b32 s96, s6
	v_mov_b64_e32 v[34:35], 0
	s_xor_b32 exec_lo, exec_lo, s96
	s_cbranch_execz .LBB46_1028
; %bb.1027:                             ;   in Loop: Header=BB46_3 Depth=1
	v_lshl_add_u64 v[34:35], v[12:13], 3, s[94:95]
	s_or_b32 s69, s69, exec_lo
	global_load_b64 v[34:35], v[34:35], off
	s_wait_loadcnt 0x0
	v_div_scale_f64 v[36:37], null, v[34:35], v[34:35], 1.0
	s_delay_alu instid0(VALU_DEP_1) | instskip(SKIP_1) | instid1(TRANS32_DEP_1)
	v_rcp_f64_e32 v[38:39], v[36:37]
	v_nop
	v_fma_f64 v[40:41], -v[36:37], v[38:39], 1.0
	s_delay_alu instid0(VALU_DEP_1) | instskip(NEXT) | instid1(VALU_DEP_1)
	v_fmac_f64_e32 v[38:39], v[38:39], v[40:41]
	v_fma_f64 v[40:41], -v[36:37], v[38:39], 1.0
	s_delay_alu instid0(VALU_DEP_1) | instskip(SKIP_1) | instid1(VALU_DEP_1)
	v_fmac_f64_e32 v[38:39], v[38:39], v[40:41]
	v_div_scale_f64 v[40:41], vcc_lo, 1.0, v[34:35], 1.0
	v_mul_f64_e32 v[78:79], v[40:41], v[38:39]
	s_delay_alu instid0(VALU_DEP_1) | instskip(NEXT) | instid1(VALU_DEP_1)
	v_fma_f64 v[36:37], -v[36:37], v[78:79], v[40:41]
	v_div_fmas_f64 v[36:37], v[36:37], v[38:39], v[78:79]
	s_delay_alu instid0(VALU_DEP_1)
	v_div_fixup_f64 v[34:35], v[36:37], v[34:35], 1.0
.LBB46_1028:                            ;   in Loop: Header=BB46_3 Depth=1
	s_or_b32 exec_lo, exec_lo, s96
	s_delay_alu instid0(SALU_CYCLE_1)
	s_and_b32 s69, s69, exec_lo
	s_and_not1_saveexec_b32 s10, s10
	s_cbranch_execz .LBB46_52
.LBB46_1029:                            ;   in Loop: Header=BB46_3 Depth=1
	v_lshl_add_u64 v[34:35], v[12:13], 3, s[94:95]
	s_or_b32 s69, s69, exec_lo
	global_load_b64 v[34:35], v[34:35], off
	s_wait_loadcnt 0x0
	v_xor_b32_e32 v35, 0x80000000, v35
	s_or_b32 exec_lo, exec_lo, s10
	s_and_saveexec_b32 s6, s69
	s_cbranch_execnz .LBB46_53
	s_branch .LBB46_54
.LBB46_1030:                            ;   in Loop: Header=BB46_3 Depth=1
	s_or_b32 exec_lo, exec_lo, s94
	s_delay_alu instid0(SALU_CYCLE_1)
	s_and_b32 vcc_lo, exec_lo, s10
	s_cbranch_vccnz .LBB46_995
.LBB46_1031:                            ;   in Loop: Header=BB46_3 Depth=1
	s_delay_alu instid0(VALU_DEP_1)
	v_mov_b64_e32 v[34:35], v[38:39]
	v_mov_b64_e32 v[36:37], v[22:23]
	s_and_saveexec_b32 s6, s69
	s_cbranch_execz .LBB46_1033
.LBB46_1032:                            ;   in Loop: Header=BB46_3 Depth=1
	s_delay_alu instid0(VALU_DEP_1)
	v_lshl_add_u64 v[36:37], v[36:37], 3, s[96:97]
	global_store_b64 v[36:37], v[34:35], off
.LBB46_1033:                            ;   in Loop: Header=BB46_3 Depth=1
	s_wait_xcnt 0x0
	s_or_b32 exec_lo, exec_lo, s6
	global_wb scope:SCOPE_DEV
	s_wait_storecnt 0x0
	global_inv scope:SCOPE_DEV
	s_wait_loadcnt 0x0
	s_barrier_signal -1
	s_barrier_wait -1
	s_and_saveexec_b32 s6, s59
	s_cbranch_execz .LBB46_2
; %bb.1034:                             ;   in Loop: Header=BB46_3 Depth=1
	s_lshl_b64 s[10:11], s[88:89], 2
	s_delay_alu instid0(SALU_CYCLE_1)
	s_add_nc_u64 s[10:11], s[86:87], s[10:11]
	global_load_b32 v0, v1, s[10:11]
	s_wait_loadcnt 0x0
	v_add_nc_u32_e32 v0, 1, v0
	global_store_b32 v1, v0, s[10:11]
	s_branch .LBB46_2
.LBB46_1035:                            ;   in Loop: Header=BB46_3 Depth=1
	ds_load_b64 v[36:37], v51 offset:544
	ds_load_b64 v[38:39], v47 offset:8
	s_wait_dscnt 0x0
	v_fmac_f64_e32 v[34:35], v[36:37], v[38:39]
	s_or_b32 exec_lo, exec_lo, s6
	s_and_saveexec_b32 s6, s17
	s_cbranch_execz .LBB46_105
.LBB46_1036:                            ;   in Loop: Header=BB46_3 Depth=1
	ds_load_b64 v[36:37], v50 offset:1056
	ds_load_b64 v[38:39], v47 offset:16
	s_wait_dscnt 0x0
	v_fmac_f64_e32 v[34:35], v[36:37], v[38:39]
	s_or_b32 exec_lo, exec_lo, s6
	s_and_saveexec_b32 s6, s1
	s_cbranch_execnz .LBB46_106
	s_branch .LBB46_107
.LBB46_1037:                            ;   in Loop: Header=BB46_3 Depth=1
	ds_load_b64 v[36:37], v56 offset:576
	ds_load_b64 v[38:39], v52 offset:8
	s_wait_dscnt 0x0
	v_fmac_f64_e32 v[34:35], v[36:37], v[38:39]
	s_or_b32 exec_lo, exec_lo, s6
	s_and_saveexec_b32 s6, s19
	s_cbranch_execz .LBB46_143
.LBB46_1038:                            ;   in Loop: Header=BB46_3 Depth=1
	ds_load_b64 v[36:37], v56 offset:1088
	ds_load_b64 v[38:39], v52 offset:16
	s_wait_dscnt 0x0
	v_fmac_f64_e32 v[34:35], v[36:37], v[38:39]
	s_or_b32 exec_lo, exec_lo, s6
	s_and_saveexec_b32 s6, s20
	s_cbranch_execz .LBB46_144
.LBB46_1039:                            ;   in Loop: Header=BB46_3 Depth=1
	ds_load_b64 v[36:37], v56 offset:1600
	ds_load_b64 v[38:39], v52 offset:24
	s_wait_dscnt 0x0
	v_fmac_f64_e32 v[34:35], v[36:37], v[38:39]
	s_or_b32 exec_lo, exec_lo, s6
	s_and_saveexec_b32 s6, s21
	s_cbranch_execz .LBB46_145
.LBB46_1040:                            ;   in Loop: Header=BB46_3 Depth=1
	ds_load_b64 v[36:37], v55 offset:2112
	ds_load_b64 v[38:39], v52 offset:32
	s_wait_dscnt 0x0
	v_fmac_f64_e32 v[34:35], v[36:37], v[38:39]
	s_or_b32 exec_lo, exec_lo, s6
	s_and_saveexec_b32 s6, s22
	s_cbranch_execz .LBB46_146
.LBB46_1041:                            ;   in Loop: Header=BB46_3 Depth=1
	ds_load_b64 v[36:37], v56 offset:2624
	ds_load_b64 v[38:39], v52 offset:40
	s_wait_dscnt 0x0
	v_fmac_f64_e32 v[34:35], v[36:37], v[38:39]
	s_or_b32 exec_lo, exec_lo, s6
	s_and_saveexec_b32 s6, s2
	s_cbranch_execz .LBB46_147
.LBB46_1042:                            ;   in Loop: Header=BB46_3 Depth=1
	ds_load_b64 v[36:37], v55 offset:3136
	ds_load_b64 v[38:39], v52 offset:48
	s_wait_dscnt 0x0
	v_fmac_f64_e32 v[34:35], v[36:37], v[38:39]
	s_or_b32 exec_lo, exec_lo, s6
	s_and_saveexec_b32 s6, s17
	s_cbranch_execnz .LBB46_148
	s_branch .LBB46_149
.LBB46_1043:                            ;   in Loop: Header=BB46_3 Depth=1
	ds_load_b64 v[36:37], v51 offset:4704
	ds_load_b64 v[38:39], v47 offset:4168
	s_wait_dscnt 0x0
	v_fmac_f64_e32 v[34:35], v[36:37], v[38:39]
	s_or_b32 exec_lo, exec_lo, s6
	s_and_saveexec_b32 s6, s17
	s_cbranch_execz .LBB46_201
.LBB46_1044:                            ;   in Loop: Header=BB46_3 Depth=1
	ds_load_b64 v[36:37], v50 offset:5216
	ds_load_b64 v[38:39], v47 offset:4176
	s_wait_dscnt 0x0
	v_fmac_f64_e32 v[34:35], v[36:37], v[38:39]
	s_or_b32 exec_lo, exec_lo, s6
	s_and_saveexec_b32 s6, s1
	s_cbranch_execnz .LBB46_202
	s_branch .LBB46_203
.LBB46_1045:                            ;   in Loop: Header=BB46_3 Depth=1
	ds_load_b64 v[36:37], v61 offset:5760
	ds_load_b64 v[38:39], v57 offset:88
	s_wait_dscnt 0x0
	v_fmac_f64_e32 v[34:35], v[36:37], v[38:39]
	s_or_b32 exec_lo, exec_lo, s6
	s_and_saveexec_b32 s6, s3
	s_cbranch_execz .LBB46_259
.LBB46_1046:                            ;   in Loop: Header=BB46_3 Depth=1
	ds_load_b64 v[36:37], v60 offset:6272
	ds_load_b64 v[38:39], v57 offset:96
	s_wait_dscnt 0x0
	v_fmac_f64_e32 v[34:35], v[36:37], v[38:39]
	s_or_b32 exec_lo, exec_lo, s6
	s_and_saveexec_b32 s6, s19
	s_cbranch_execz .LBB46_260
.LBB46_1047:                            ;   in Loop: Header=BB46_3 Depth=1
	ds_load_b64 v[36:37], v61 offset:6784
	ds_load_b64 v[38:39], v57 offset:104
	s_wait_dscnt 0x0
	v_fmac_f64_e32 v[34:35], v[36:37], v[38:39]
	s_or_b32 exec_lo, exec_lo, s6
	s_and_saveexec_b32 s6, s21
	s_cbranch_execz .LBB46_261
.LBB46_1048:                            ;   in Loop: Header=BB46_3 Depth=1
	ds_load_b64 v[36:37], v60 offset:7296
	ds_load_b64 v[38:39], v57 offset:112
	s_wait_dscnt 0x0
	v_fmac_f64_e32 v[34:35], v[36:37], v[38:39]
	s_or_b32 exec_lo, exec_lo, s6
	s_and_saveexec_b32 s6, s2
	s_cbranch_execnz .LBB46_262
	s_branch .LBB46_263
.LBB46_1049:                            ;   in Loop: Header=BB46_3 Depth=1
	ds_load_b64 v[36:37], v51 offset:8864
	ds_load_b64 v[38:39], v47 offset:8328
	s_wait_dscnt 0x0
	v_fmac_f64_e32 v[34:35], v[36:37], v[38:39]
	s_or_b32 exec_lo, exec_lo, s6
	s_and_saveexec_b32 s6, s17
	s_cbranch_execz .LBB46_347
.LBB46_1050:                            ;   in Loop: Header=BB46_3 Depth=1
	ds_load_b64 v[36:37], v50 offset:9376
	ds_load_b64 v[38:39], v47 offset:8336
	s_wait_dscnt 0x0
	v_fmac_f64_e32 v[34:35], v[36:37], v[38:39]
	s_or_b32 exec_lo, exec_lo, s6
	s_and_saveexec_b32 s6, s1
	s_cbranch_execnz .LBB46_348
	s_branch .LBB46_349
.LBB46_1051:                            ;   in Loop: Header=BB46_3 Depth=1
	ds_load_b64 v[36:37], v56 offset:8896
	ds_load_b64 v[38:39], v52 offset:8328
	s_wait_dscnt 0x0
	v_fmac_f64_e32 v[34:35], v[36:37], v[38:39]
	s_or_b32 exec_lo, exec_lo, s6
	s_and_saveexec_b32 s6, s19
	s_cbranch_execz .LBB46_385
.LBB46_1052:                            ;   in Loop: Header=BB46_3 Depth=1
	ds_load_b64 v[36:37], v56 offset:9408
	ds_load_b64 v[38:39], v52 offset:8336
	s_wait_dscnt 0x0
	v_fmac_f64_e32 v[34:35], v[36:37], v[38:39]
	s_or_b32 exec_lo, exec_lo, s6
	s_and_saveexec_b32 s6, s20
	s_cbranch_execz .LBB46_386
.LBB46_1053:                            ;   in Loop: Header=BB46_3 Depth=1
	ds_load_b64 v[36:37], v56 offset:9920
	ds_load_b64 v[38:39], v52 offset:8344
	s_wait_dscnt 0x0
	v_fmac_f64_e32 v[34:35], v[36:37], v[38:39]
	s_or_b32 exec_lo, exec_lo, s6
	s_and_saveexec_b32 s6, s21
	s_cbranch_execz .LBB46_387
.LBB46_1054:                            ;   in Loop: Header=BB46_3 Depth=1
	ds_load_b64 v[36:37], v55 offset:10432
	ds_load_b64 v[38:39], v52 offset:8352
	s_wait_dscnt 0x0
	v_fmac_f64_e32 v[34:35], v[36:37], v[38:39]
	s_or_b32 exec_lo, exec_lo, s6
	s_and_saveexec_b32 s6, s22
	s_cbranch_execz .LBB46_388
.LBB46_1055:                            ;   in Loop: Header=BB46_3 Depth=1
	ds_load_b64 v[36:37], v56 offset:10944
	ds_load_b64 v[38:39], v52 offset:8360
	s_wait_dscnt 0x0
	v_fmac_f64_e32 v[34:35], v[36:37], v[38:39]
	s_or_b32 exec_lo, exec_lo, s6
	s_and_saveexec_b32 s6, s2
	s_cbranch_execz .LBB46_389
.LBB46_1056:                            ;   in Loop: Header=BB46_3 Depth=1
	ds_load_b64 v[36:37], v55 offset:11456
	ds_load_b64 v[38:39], v52 offset:8368
	s_wait_dscnt 0x0
	v_fmac_f64_e32 v[34:35], v[36:37], v[38:39]
	s_or_b32 exec_lo, exec_lo, s6
	s_and_saveexec_b32 s6, s17
	s_cbranch_execnz .LBB46_390
	s_branch .LBB46_391
.LBB46_1057:                            ;   in Loop: Header=BB46_3 Depth=1
	ds_load_b64 v[36:37], v51 offset:13024
	ds_load_b64 v[38:39], v47 offset:12488
	s_wait_dscnt 0x0
	v_fmac_f64_e32 v[34:35], v[36:37], v[38:39]
	s_or_b32 exec_lo, exec_lo, s6
	s_and_saveexec_b32 s6, s17
	s_cbranch_execz .LBB46_443
.LBB46_1058:                            ;   in Loop: Header=BB46_3 Depth=1
	ds_load_b64 v[36:37], v50 offset:13536
	ds_load_b64 v[38:39], v47 offset:12496
	s_wait_dscnt 0x0
	v_fmac_f64_e32 v[34:35], v[36:37], v[38:39]
	s_or_b32 exec_lo, exec_lo, s6
	s_and_saveexec_b32 s6, s1
	s_cbranch_execnz .LBB46_444
	s_branch .LBB46_445
.LBB46_1059:                            ;   in Loop: Header=BB46_3 Depth=1
	ds_load_b64 v[36:37], v66 offset:14080
	ds_load_b64 v[38:39], v0 offset:216
	s_wait_dscnt 0x0
	v_fmac_f64_e32 v[34:35], v[36:37], v[38:39]
	s_or_b32 exec_lo, exec_lo, s6
	s_and_saveexec_b32 s6, s7
	s_cbranch_execz .LBB46_533
.LBB46_1060:                            ;   in Loop: Header=BB46_3 Depth=1
	ds_load_b64 v[36:37], v66 offset:14592
	ds_load_b64 v[38:39], v0 offset:224
	s_wait_dscnt 0x0
	v_fmac_f64_e32 v[34:35], v[36:37], v[38:39]
	s_or_b32 exec_lo, exec_lo, s6
	s_and_saveexec_b32 s6, s8
	s_cbranch_execz .LBB46_534
.LBB46_1061:                            ;   in Loop: Header=BB46_3 Depth=1
	ds_load_b64 v[36:37], v66 offset:15104
	ds_load_b64 v[38:39], v0 offset:232
	s_wait_dscnt 0x0
	v_fmac_f64_e32 v[34:35], v[36:37], v[38:39]
	s_or_b32 exec_lo, exec_lo, s6
	s_and_saveexec_b32 s6, s3
	s_cbranch_execz .LBB46_535
.LBB46_1062:                            ;   in Loop: Header=BB46_3 Depth=1
	ds_load_b64 v[36:37], v66 offset:15616
	ds_load_b64 v[38:39], v0 offset:240
	s_wait_dscnt 0x0
	v_fmac_f64_e32 v[34:35], v[36:37], v[38:39]
	s_or_b32 exec_lo, exec_lo, s6
	s_and_saveexec_b32 s6, s21
	s_cbranch_execnz .LBB46_536
	s_branch .LBB46_537
.LBB46_1063:                            ;   in Loop: Header=BB46_3 Depth=1
	ds_load_b64 v[36:37], v51 offset:17184
	ds_load_b64 v[38:39], v47 offset:16648
	s_wait_dscnt 0x0
	v_fmac_f64_e32 v[34:35], v[36:37], v[38:39]
	s_or_b32 exec_lo, exec_lo, s6
	s_and_saveexec_b32 s6, s17
	s_cbranch_execz .LBB46_577
.LBB46_1064:                            ;   in Loop: Header=BB46_3 Depth=1
	ds_load_b64 v[36:37], v50 offset:17696
	ds_load_b64 v[38:39], v47 offset:16656
	s_wait_dscnt 0x0
	v_fmac_f64_e32 v[34:35], v[36:37], v[38:39]
	s_or_b32 exec_lo, exec_lo, s6
	s_and_saveexec_b32 s6, s1
	s_cbranch_execnz .LBB46_578
	s_branch .LBB46_579
.LBB46_1065:                            ;   in Loop: Header=BB46_3 Depth=1
	ds_load_b64 v[36:37], v56 offset:17216
	ds_load_b64 v[38:39], v52 offset:16648
	s_wait_dscnt 0x0
	v_fmac_f64_e32 v[34:35], v[36:37], v[38:39]
	s_or_b32 exec_lo, exec_lo, s6
	s_and_saveexec_b32 s6, s19
	s_cbranch_execz .LBB46_615
.LBB46_1066:                            ;   in Loop: Header=BB46_3 Depth=1
	ds_load_b64 v[36:37], v56 offset:17728
	ds_load_b64 v[38:39], v52 offset:16656
	s_wait_dscnt 0x0
	v_fmac_f64_e32 v[34:35], v[36:37], v[38:39]
	s_or_b32 exec_lo, exec_lo, s6
	s_and_saveexec_b32 s6, s20
	s_cbranch_execz .LBB46_616
.LBB46_1067:                            ;   in Loop: Header=BB46_3 Depth=1
	ds_load_b64 v[36:37], v56 offset:18240
	ds_load_b64 v[38:39], v52 offset:16664
	s_wait_dscnt 0x0
	v_fmac_f64_e32 v[34:35], v[36:37], v[38:39]
	s_or_b32 exec_lo, exec_lo, s6
	s_and_saveexec_b32 s6, s21
	s_cbranch_execz .LBB46_617
.LBB46_1068:                            ;   in Loop: Header=BB46_3 Depth=1
	ds_load_b64 v[36:37], v55 offset:18752
	ds_load_b64 v[38:39], v52 offset:16672
	s_wait_dscnt 0x0
	v_fmac_f64_e32 v[34:35], v[36:37], v[38:39]
	s_or_b32 exec_lo, exec_lo, s6
	s_and_saveexec_b32 s6, s22
	s_cbranch_execz .LBB46_618
.LBB46_1069:                            ;   in Loop: Header=BB46_3 Depth=1
	ds_load_b64 v[36:37], v56 offset:19264
	ds_load_b64 v[38:39], v52 offset:16680
	s_wait_dscnt 0x0
	v_fmac_f64_e32 v[34:35], v[36:37], v[38:39]
	s_or_b32 exec_lo, exec_lo, s6
	s_and_saveexec_b32 s6, s2
	s_cbranch_execz .LBB46_619
.LBB46_1070:                            ;   in Loop: Header=BB46_3 Depth=1
	ds_load_b64 v[36:37], v55 offset:19776
	ds_load_b64 v[38:39], v52 offset:16688
	s_wait_dscnt 0x0
	v_fmac_f64_e32 v[34:35], v[36:37], v[38:39]
	s_or_b32 exec_lo, exec_lo, s6
	s_and_saveexec_b32 s6, s17
	s_cbranch_execnz .LBB46_620
	s_branch .LBB46_621
.LBB46_1071:                            ;   in Loop: Header=BB46_3 Depth=1
	ds_load_b64 v[36:37], v51 offset:21344
	ds_load_b64 v[38:39], v47 offset:20808
	s_wait_dscnt 0x0
	v_fmac_f64_e32 v[34:35], v[36:37], v[38:39]
	s_or_b32 exec_lo, exec_lo, s6
	s_and_saveexec_b32 s6, s17
	s_cbranch_execz .LBB46_673
.LBB46_1072:                            ;   in Loop: Header=BB46_3 Depth=1
	ds_load_b64 v[36:37], v50 offset:21856
	ds_load_b64 v[38:39], v47 offset:20816
	s_wait_dscnt 0x0
	v_fmac_f64_e32 v[34:35], v[36:37], v[38:39]
	s_or_b32 exec_lo, exec_lo, s6
	s_and_saveexec_b32 s6, s1
	s_cbranch_execnz .LBB46_674
	s_branch .LBB46_675
.LBB46_1073:                            ;   in Loop: Header=BB46_3 Depth=1
	ds_load_b64 v[36:37], v61 offset:22400
	ds_load_b64 v[38:39], v57 offset:16728
	s_wait_dscnt 0x0
	v_fmac_f64_e32 v[34:35], v[36:37], v[38:39]
	s_or_b32 exec_lo, exec_lo, s6
	s_and_saveexec_b32 s6, s3
	s_cbranch_execz .LBB46_731
.LBB46_1074:                            ;   in Loop: Header=BB46_3 Depth=1
	ds_load_b64 v[36:37], v60 offset:22912
	ds_load_b64 v[38:39], v57 offset:16736
	s_wait_dscnt 0x0
	v_fmac_f64_e32 v[34:35], v[36:37], v[38:39]
	s_or_b32 exec_lo, exec_lo, s6
	s_and_saveexec_b32 s6, s19
	s_cbranch_execz .LBB46_732
.LBB46_1075:                            ;   in Loop: Header=BB46_3 Depth=1
	ds_load_b64 v[36:37], v61 offset:23424
	ds_load_b64 v[38:39], v57 offset:16744
	s_wait_dscnt 0x0
	v_fmac_f64_e32 v[34:35], v[36:37], v[38:39]
	s_or_b32 exec_lo, exec_lo, s6
	s_and_saveexec_b32 s6, s21
	s_cbranch_execz .LBB46_733
.LBB46_1076:                            ;   in Loop: Header=BB46_3 Depth=1
	ds_load_b64 v[36:37], v60 offset:23936
	ds_load_b64 v[38:39], v57 offset:16752
	s_wait_dscnt 0x0
	v_fmac_f64_e32 v[34:35], v[36:37], v[38:39]
	s_or_b32 exec_lo, exec_lo, s6
	s_and_saveexec_b32 s6, s2
	s_cbranch_execnz .LBB46_734
	s_branch .LBB46_735
.LBB46_1077:                            ;   in Loop: Header=BB46_3 Depth=1
	ds_load_b64 v[36:37], v51 offset:25504
	ds_load_b64 v[38:39], v47 offset:24968
	s_wait_dscnt 0x0
	v_fmac_f64_e32 v[34:35], v[36:37], v[38:39]
	s_or_b32 exec_lo, exec_lo, s6
	s_and_saveexec_b32 s6, s17
	s_cbranch_execz .LBB46_819
.LBB46_1078:                            ;   in Loop: Header=BB46_3 Depth=1
	ds_load_b64 v[36:37], v50 offset:26016
	ds_load_b64 v[38:39], v47 offset:24976
	s_wait_dscnt 0x0
	v_fmac_f64_e32 v[34:35], v[36:37], v[38:39]
	s_or_b32 exec_lo, exec_lo, s6
	s_and_saveexec_b32 s6, s1
	s_cbranch_execnz .LBB46_820
	s_branch .LBB46_821
.LBB46_1079:                            ;   in Loop: Header=BB46_3 Depth=1
	ds_load_b64 v[36:37], v56 offset:25536
	ds_load_b64 v[38:39], v52 offset:24968
	s_wait_dscnt 0x0
	v_fmac_f64_e32 v[34:35], v[36:37], v[38:39]
	s_or_b32 exec_lo, exec_lo, s6
	s_and_saveexec_b32 s6, s19
	s_cbranch_execz .LBB46_857
.LBB46_1080:                            ;   in Loop: Header=BB46_3 Depth=1
	ds_load_b64 v[36:37], v56 offset:26048
	ds_load_b64 v[38:39], v52 offset:24976
	s_wait_dscnt 0x0
	v_fmac_f64_e32 v[34:35], v[36:37], v[38:39]
	s_or_b32 exec_lo, exec_lo, s6
	s_and_saveexec_b32 s6, s20
	s_cbranch_execz .LBB46_858
.LBB46_1081:                            ;   in Loop: Header=BB46_3 Depth=1
	ds_load_b64 v[36:37], v56 offset:26560
	ds_load_b64 v[38:39], v52 offset:24984
	s_wait_dscnt 0x0
	v_fmac_f64_e32 v[34:35], v[36:37], v[38:39]
	s_or_b32 exec_lo, exec_lo, s6
	s_and_saveexec_b32 s6, s21
	s_cbranch_execz .LBB46_859
.LBB46_1082:                            ;   in Loop: Header=BB46_3 Depth=1
	ds_load_b64 v[36:37], v55 offset:27072
	ds_load_b64 v[38:39], v52 offset:24992
	s_wait_dscnt 0x0
	v_fmac_f64_e32 v[34:35], v[36:37], v[38:39]
	s_or_b32 exec_lo, exec_lo, s6
	s_and_saveexec_b32 s6, s22
	s_cbranch_execz .LBB46_860
.LBB46_1083:                            ;   in Loop: Header=BB46_3 Depth=1
	ds_load_b64 v[36:37], v56 offset:27584
	ds_load_b64 v[38:39], v52 offset:25000
	s_wait_dscnt 0x0
	v_fmac_f64_e32 v[34:35], v[36:37], v[38:39]
	s_or_b32 exec_lo, exec_lo, s6
	s_and_saveexec_b32 s6, s2
	s_cbranch_execz .LBB46_861
.LBB46_1084:                            ;   in Loop: Header=BB46_3 Depth=1
	ds_load_b64 v[36:37], v55 offset:28096
	ds_load_b64 v[38:39], v52 offset:25008
	s_wait_dscnt 0x0
	v_fmac_f64_e32 v[34:35], v[36:37], v[38:39]
	s_or_b32 exec_lo, exec_lo, s6
	s_and_saveexec_b32 s6, s17
	s_cbranch_execnz .LBB46_862
	s_branch .LBB46_863
.LBB46_1085:                            ;   in Loop: Header=BB46_3 Depth=1
	ds_load_b64 v[36:37], v51 offset:29664
	ds_load_b64 v[38:39], v47 offset:29128
	s_wait_dscnt 0x0
	v_fmac_f64_e32 v[34:35], v[36:37], v[38:39]
	s_or_b32 exec_lo, exec_lo, s6
	s_and_saveexec_b32 s6, s17
	s_cbranch_execz .LBB46_915
.LBB46_1086:                            ;   in Loop: Header=BB46_3 Depth=1
	ds_load_b64 v[36:37], v50 offset:30176
	ds_load_b64 v[38:39], v47 offset:29136
	s_wait_dscnt 0x0
	v_fmac_f64_e32 v[34:35], v[36:37], v[38:39]
	s_or_b32 exec_lo, exec_lo, s6
	s_and_saveexec_b32 s6, s1
	s_cbranch_execnz .LBB46_916
	s_branch .LBB46_917
.LBB46_1087:
	s_endpgm
	.section	.rodata,"a",@progbits
	.p2align	6, 0x0
	.amdhsa_kernel _ZL19rocblas_trsv_deviceILi64ELi16ELb1ELb0ELb0ELb0EddPKdPdEviT7_lllT6_T8_lllPii
		.amdhsa_group_segment_fixed_size 41480
		.amdhsa_private_segment_fixed_size 0
		.amdhsa_kernarg_size 352
		.amdhsa_user_sgpr_count 2
		.amdhsa_user_sgpr_dispatch_ptr 0
		.amdhsa_user_sgpr_queue_ptr 0
		.amdhsa_user_sgpr_kernarg_segment_ptr 1
		.amdhsa_user_sgpr_dispatch_id 0
		.amdhsa_user_sgpr_kernarg_preload_length 0
		.amdhsa_user_sgpr_kernarg_preload_offset 0
		.amdhsa_user_sgpr_private_segment_size 0
		.amdhsa_wavefront_size32 1
		.amdhsa_uses_dynamic_stack 0
		.amdhsa_enable_private_segment 0
		.amdhsa_system_sgpr_workgroup_id_x 1
		.amdhsa_system_sgpr_workgroup_id_y 0
		.amdhsa_system_sgpr_workgroup_id_z 1
		.amdhsa_system_sgpr_workgroup_info 0
		.amdhsa_system_vgpr_workitem_id 1
		.amdhsa_next_free_vgpr 85
		.amdhsa_next_free_sgpr 105
		.amdhsa_named_barrier_count 0
		.amdhsa_reserve_vcc 1
		.amdhsa_float_round_mode_32 0
		.amdhsa_float_round_mode_16_64 0
		.amdhsa_float_denorm_mode_32 3
		.amdhsa_float_denorm_mode_16_64 3
		.amdhsa_fp16_overflow 0
		.amdhsa_memory_ordered 1
		.amdhsa_forward_progress 1
		.amdhsa_inst_pref_size 242
		.amdhsa_round_robin_scheduling 0
		.amdhsa_exception_fp_ieee_invalid_op 0
		.amdhsa_exception_fp_denorm_src 0
		.amdhsa_exception_fp_ieee_div_zero 0
		.amdhsa_exception_fp_ieee_overflow 0
		.amdhsa_exception_fp_ieee_underflow 0
		.amdhsa_exception_fp_ieee_inexact 0
		.amdhsa_exception_int_div_zero 0
	.end_amdhsa_kernel
	.section	.text._ZL19rocblas_trsv_deviceILi64ELi16ELb1ELb0ELb0ELb0EddPKdPdEviT7_lllT6_T8_lllPii,"axG",@progbits,_ZL19rocblas_trsv_deviceILi64ELi16ELb1ELb0ELb0ELb0EddPKdPdEviT7_lllT6_T8_lllPii,comdat
.Lfunc_end46:
	.size	_ZL19rocblas_trsv_deviceILi64ELi16ELb1ELb0ELb0ELb0EddPKdPdEviT7_lllT6_T8_lllPii, .Lfunc_end46-_ZL19rocblas_trsv_deviceILi64ELi16ELb1ELb0ELb0ELb0EddPKdPdEviT7_lllT6_T8_lllPii
                                        ; -- End function
	.set _ZL19rocblas_trsv_deviceILi64ELi16ELb1ELb0ELb0ELb0EddPKdPdEviT7_lllT6_T8_lllPii.num_vgpr, 85
	.set _ZL19rocblas_trsv_deviceILi64ELi16ELb1ELb0ELb0ELb0EddPKdPdEviT7_lllT6_T8_lllPii.num_agpr, 0
	.set _ZL19rocblas_trsv_deviceILi64ELi16ELb1ELb0ELb0ELb0EddPKdPdEviT7_lllT6_T8_lllPii.numbered_sgpr, 105
	.set _ZL19rocblas_trsv_deviceILi64ELi16ELb1ELb0ELb0ELb0EddPKdPdEviT7_lllT6_T8_lllPii.num_named_barrier, 0
	.set _ZL19rocblas_trsv_deviceILi64ELi16ELb1ELb0ELb0ELb0EddPKdPdEviT7_lllT6_T8_lllPii.private_seg_size, 0
	.set _ZL19rocblas_trsv_deviceILi64ELi16ELb1ELb0ELb0ELb0EddPKdPdEviT7_lllT6_T8_lllPii.uses_vcc, 1
	.set _ZL19rocblas_trsv_deviceILi64ELi16ELb1ELb0ELb0ELb0EddPKdPdEviT7_lllT6_T8_lllPii.uses_flat_scratch, 0
	.set _ZL19rocblas_trsv_deviceILi64ELi16ELb1ELb0ELb0ELb0EddPKdPdEviT7_lllT6_T8_lllPii.has_dyn_sized_stack, 0
	.set _ZL19rocblas_trsv_deviceILi64ELi16ELb1ELb0ELb0ELb0EddPKdPdEviT7_lllT6_T8_lllPii.has_recursion, 0
	.set _ZL19rocblas_trsv_deviceILi64ELi16ELb1ELb0ELb0ELb0EddPKdPdEviT7_lllT6_T8_lllPii.has_indirect_call, 0
	.section	.AMDGPU.csdata,"",@progbits
; Kernel info:
; codeLenInByte = 30896
; TotalNumSgprs: 107
; NumVgprs: 85
; ScratchSize: 0
; MemoryBound: 0
; FloatMode: 240
; IeeeMode: 1
; LDSByteSize: 41480 bytes/workgroup (compile time only)
; SGPRBlocks: 0
; VGPRBlocks: 5
; NumSGPRsForWavesPerEU: 107
; NumVGPRsForWavesPerEU: 85
; NamedBarCnt: 0
; Occupancy: 10
; WaveLimiterHint : 0
; COMPUTE_PGM_RSRC2:SCRATCH_EN: 0
; COMPUTE_PGM_RSRC2:USER_SGPR: 2
; COMPUTE_PGM_RSRC2:TRAP_HANDLER: 0
; COMPUTE_PGM_RSRC2:TGID_X_EN: 1
; COMPUTE_PGM_RSRC2:TGID_Y_EN: 0
; COMPUTE_PGM_RSRC2:TGID_Z_EN: 1
; COMPUTE_PGM_RSRC2:TIDIG_COMP_CNT: 1
	.section	.text._ZL19rocblas_trsv_deviceILi64ELi16ELb1ELb1ELb0ELb0EddPKdPdEviT7_lllT6_T8_lllPii,"axG",@progbits,_ZL19rocblas_trsv_deviceILi64ELi16ELb1ELb1ELb0ELb0EddPKdPdEviT7_lllT6_T8_lllPii,comdat
	.globl	_ZL19rocblas_trsv_deviceILi64ELi16ELb1ELb1ELb0ELb0EddPKdPdEviT7_lllT6_T8_lllPii ; -- Begin function _ZL19rocblas_trsv_deviceILi64ELi16ELb1ELb1ELb0ELb0EddPKdPdEviT7_lllT6_T8_lllPii
	.p2align	8
	.type	_ZL19rocblas_trsv_deviceILi64ELi16ELb1ELb1ELb0ELb0EddPKdPdEviT7_lllT6_T8_lllPii,@function
_ZL19rocblas_trsv_deviceILi64ELi16ELb1ELb1ELb0ELb0EddPKdPdEviT7_lllT6_T8_lllPii: ; @_ZL19rocblas_trsv_deviceILi64ELi16ELb1ELb1ELb0ELb0EddPKdPdEviT7_lllT6_T8_lllPii
; %bb.0:
	s_load_b32 s6, s[0:1], 0x58
	s_bfe_u32 s2, ttmp6, 0x40014
	s_lshr_b32 s3, ttmp7, 16
	s_add_co_i32 s2, s2, 1
	s_bfe_u32 s5, ttmp6, 0x40008
	s_mul_i32 s4, s3, s2
	s_getreg_b32 s2, hwreg(HW_REG_IB_STS2, 6, 4)
	s_add_co_i32 s5, s5, s4
	s_cmp_eq_u32 s2, 0
	s_mov_b32 s81, 0
	s_cselect_b32 s80, s3, s5
                                        ; implicit-def: $vgpr98 : SGPR spill to VGPR lane
	s_wait_kmcnt 0x0
	s_cmp_ge_u32 s80, s6
	v_writelane_b32 v98, s6, 0
	s_cbranch_scc1 .LBB47_1149
; %bb.1:
	s_clause 0x3
	s_load_b512 s[60:75], s[0:1], 0x8
	s_load_b32 s3, s[0:1], 0x6c
	s_load_b32 s90, s[0:1], 0x60
	;; [unrolled: 1-line block ×3, first 2 shown]
	s_bfe_u32 s5, ttmp6, 0x4000c
	s_and_b32 s4, ttmp6, 15
	s_add_co_i32 s5, s5, 1
	s_load_b128 s[76:79], s[0:1], 0x48
	s_mul_i32 s5, ttmp9, s5
	v_and_b32_e32 v2, 0x3ff, v0
	s_add_co_i32 s6, s4, s5
	v_mov_b32_e32 v5, 0
	v_bfe_u32 v40, v0, 10, 10
                                        ; implicit-def: $vgpr97 : SGPR spill to VGPR lane
                                        ; implicit-def: $vgpr96 : SGPR spill to VGPR lane
	s_delay_alu instid0(VALU_DEP_3) | instskip(NEXT) | instid1(VALU_DEP_3)
	v_dual_lshlrev_b32 v1, 6, v2 :: v_dual_bitop2_b32 v65, 31, v0 bitop3:0x40
	v_dual_lshlrev_b32 v43, 3, v2 :: v_dual_mov_b32 v3, v5
	s_delay_alu instid0(VALU_DEP_3)
	v_add_nc_u32_e32 v20, 16, v40
	v_lshl_add_u32 v30, v40, 6, v2
	v_add_nc_u32_e32 v25, 48, v40
	s_wait_kmcnt 0x0
	s_lshl_b64 s[0:1], s[62:63], 3
	s_lshl_b64 s[4:5], s[72:73], 3
	s_cmp_eq_u32 s2, 0
	s_add_nc_u64 s[0:1], s[60:61], s[0:1]
	s_cselect_b32 s89, ttmp9, s6
	s_add_co_i32 s2, s82, -1
	s_ashr_i32 s83, s82, 31
	s_and_b32 s6, s3, 0xffff
	s_ashr_i32 s3, s2, 31
	s_lshr_b32 s7, s83, 26
	s_lshr_b32 s3, s3, 26
	s_add_co_i32 s7, s82, s7
	s_add_co_i32 s90, s90, -1
	s_add_co_i32 s2, s2, s3
	s_and_not1_b32 s7, s7, 63
	s_sub_co_i32 s49, s90, s89
	s_ashr_i32 s2, s2, 6
	s_sub_co_i32 s9, s82, s7
	s_cmp_eq_u32 s2, s49
	v_lshl_add_u32 v14, v20, 6, v2
	s_cselect_b32 s2, -1, 0
	s_cmp_lg_u32 s9, 0
	v_mad_u32_u24 v4, v40, s6, v2
	s_cselect_b32 s3, -1, 0
	v_lshl_add_u32 v27, v25, 6, v2
	s_and_b32 s15, s3, s2
	v_add_nc_u32_e32 v24, 32, v40
	s_xor_b32 s91, s15, -1
	s_cmp_lg_u32 s89, 0
	v_cmp_le_i32_e64 s14, s9, v2
	s_cselect_b32 s2, -1, 0
	s_lshl_b32 s10, s49, 6
	v_writelane_b32 v98, s2, 1
	s_add_nc_u64 s[2:3], s[64:65], 1
	v_dual_add_nc_u32 v10, v40, v1 :: v_dual_add_nc_u32 v21, s10, v40
	s_cmp_lt_i32 s89, 5
	v_writelane_b32 v98, s0, 2
	v_mad_nc_u64_u32 v[18:19], s2, s10, v[2:3]
	s_cselect_b32 vcc_lo, -1, 0
	s_delay_alu instid0(SALU_CYCLE_1)
	v_dual_cndmask_b32 v22, v30, v10, vcc_lo :: v_dual_bitop2_b32 v3, 1, v0 bitop3:0x40
	v_writelane_b32 v98, s1, 3
	s_add_nc_u64 s[0:1], s[70:71], s[4:5]
	v_dual_add_nc_u32 v11, v20, v1 :: v_dual_add_nc_u32 v12, s10, v2
	v_add_nc_u32_e32 v6, 64, v21
	v_writelane_b32 v98, s0, 4
	s_ashr_i32 s11, s10, 31
	s_or_b32 vcc_lo, vcc_lo, s15
	s_delay_alu instid0(VALU_DEP_2)
	v_dual_ashrrev_i32 v13, 31, v12 :: v_dual_ashrrev_i32 v7, 31, v6
	v_cndmask_b32_e32 v23, v14, v11, vcc_lo
	v_writelane_b32 v98, s1, 5
	s_mul_i32 s0, s2, s11
	s_mul_i32 s1, s3, s10
	v_cmp_eq_u32_e64 s2, 1, v3
	v_dual_lshrrev_b32 v10, 10, v0 :: v_dual_lshrrev_b32 v11, 1, v30
	v_add3_u32 v19, s0, s1, v19
	v_lshlrev_b32_e32 v14, 3, v3
	v_cmp_gt_u32_e64 s0, 4, v30
	s_xor_b32 s1, s2, -1
	v_bitop3_b32 v31, v0, v10, 0x3ff bitop3:0xa8
	v_lshl_add_u32 v3, v11, 3, 0x8000
	v_lshl_or_b32 v41, v11, 9, v14
	v_mul_u32_u24_e32 v42, 0x208, v11
	s_and_b32 s94, s1, s0
	v_dual_lshrrev_b32 v10, 2, v30 :: v_dual_bitop2_b32 v11, 3, v0 bitop3:0x40
	v_cmp_eq_u32_e64 s1, 0, v40
	v_cmp_gt_u32_e64 s3, 2, v2
	s_and_b32 s95, s2, s0
	v_cmp_gt_u32_e64 s2, 16, v30
	v_dual_lshlrev_b32 v14, 3, v10 :: v_dual_lshlrev_b32 v45, 3, v11
	s_and_b32 s96, s1, s3
	v_cmp_eq_u32_e64 s3, 0, v11
	v_mul_u32_u24_e32 v44, 0x208, v10
	v_cmp_ne_u32_e64 s4, 0, v11
	v_cmp_lt_u32_e64 s5, 1, v11
	v_cmp_eq_u32_e64 s6, 2, v11
	s_and_b32 s97, s3, s2
	v_cmp_eq_u32_e64 s3, 1, v11
	v_sub_nc_u32_e32 v16, v44, v14
	s_and_b32 s98, s4, s2
	v_cmp_eq_u32_e64 s4, 3, v11
	v_and_b32_e32 v11, 7, v0
	s_and_b32 s99, s3, s2
	v_cmp_gt_u32_e64 s3, 4, v2
	s_and_b32 s100, s5, s2
	s_and_b32 s102, s4, s2
	v_cmp_eq_u32_e64 s4, 0, v11
	v_cmp_ne_u32_e64 s5, 0, v11
	s_and_b32 s103, s1, s3
	v_cmp_gt_u32_e64 s3, 64, v30
	v_lshl_or_b32 v48, v10, 9, v45
	v_dual_add_nc_u32 v49, v16, v45 :: v_dual_lshrrev_b32 v10, 3, v30
	v_dual_lshlrev_b32 v54, 3, v11 :: v_dual_bitop2_b32 v16, -8, v30 bitop3:0x40
	s_and_b32 s104, s4, s3
	s_and_b32 vcc_hi, s5, s3
	v_cmp_lt_u32_e64 s4, 1, v11
	v_cmp_eq_u32_e64 s5, 2, v11
	v_mul_u32_u24_e32 v53, 0x208, v10
	s_and_b32 s101, s6, s2
	v_cmp_eq_u32_e64 s6, 1, v11
	s_and_b32 s37, s4, s3
	v_cmp_lt_u32_e64 s4, 3, v11
	s_and_b32 s38, s5, s3
	v_cmp_eq_u32_e64 s5, 4, v11
	v_sub_nc_u32_e32 v17, v53, v16
	v_add_nc_u32_e32 v56, 0x8000, v16
	s_and_b32 s41, s4, s3
	v_cmp_lt_u32_e64 s4, 4, v11
	s_and_b32 s42, s5, s3
	v_cmp_eq_u32_e64 s5, 6, v11
	v_lshl_or_b32 v57, v10, 9, v54
	s_and_b32 s36, s6, s3
	v_cmp_lt_u32_e64 s6, 2, v11
	s_and_b32 s43, s4, s3
	v_lshrrev_b32_e32 v10, 4, v30
	v_dual_add_nc_u32 v58, v17, v54 :: v_dual_bitop2_b32 v16, 15, v0 bitop3:0x40
	s_and_b32 s46, s5, s3
	v_cmp_eq_u32_e64 s4, 7, v11
	v_cmp_gt_u32_e64 s5, 8, v2
	s_and_b32 s39, s6, s3
	v_cmp_eq_u32_e64 s6, 5, v11
	v_cmp_eq_u32_e64 s7, 3, v11
	s_and_b32 s47, s4, s3
	s_and_b32 s48, s1, s5
	v_cmp_gt_u32_e64 s4, 0x100, v30
	v_cmp_eq_u32_e64 s5, 0, v16
	s_and_b32 s44, s6, s3
	v_cmp_ne_u32_e64 s6, 0, v16
	s_and_b32 s40, s7, s3
	v_cmp_lt_u32_e64 s7, 5, v11
	s_and_b32 s5, s5, s4
	v_dual_lshlrev_b32 v11, 3, v10 :: v_dual_lshlrev_b32 v61, 3, v16
	v_writelane_b32 v98, s5, 6
	v_cmp_eq_u32_e64 s5, 1, v16
	s_and_b32 s6, s6, s4
	s_and_b32 s45, s7, s3
	v_cmp_lt_u32_e64 s7, 1, v16
	v_writelane_b32 v98, s6, 7
	s_and_b32 s5, s5, s4
	v_cmp_eq_u32_e64 s6, 2, v16
	v_mul_u32_u24_e32 v60, 0x208, v10
	v_cmp_lt_u32_e64 s8, 2, v16
	v_writelane_b32 v98, s5, 8
	s_and_b32 s5, s7, s4
	s_and_b32 s6, s6, s4
	v_cmp_eq_u32_e64 s7, 4, v16
	v_sub_nc_u32_e32 v17, v60, v11
	v_writelane_b32 v98, s5, 9
	v_cmp_eq_u32_e64 s5, 3, v16
	s_and_b32 s54, s8, s4
	v_cmp_eq_u32_e64 s8, 5, v16
	s_and_b32 s57, s7, s4
	v_writelane_b32 v98, s6, 10
	v_cmp_lt_u32_e64 s6, 3, v16
	s_and_b32 s55, s5, s4
	v_cmp_lt_u32_e64 s5, 4, v16
	v_cmp_lt_u32_e64 s7, 6, v16
	v_add_nc_u32_e32 v64, v17, v61
	s_and_b32 s56, s6, s4
	v_cmp_lt_u32_e64 s6, 5, v16
	s_and_b32 s58, s5, s4
	v_cmp_eq_u32_e64 s5, 6, v16
	v_add_nc_u32_e32 v17, v24, v1
	v_lshl_add_u32 v26, v24, 6, v2
	s_and_b32 s62, s6, s4
	v_cmp_eq_u32_e64 s6, 7, v16
	s_and_b32 s63, s5, s4
	v_cmp_eq_u32_e64 s5, 8, v16
	v_add_nc_u32_e32 v1, v25, v1
	s_and_b32 s61, s8, s4
	s_and_b32 s13, s6, s4
	v_cmp_lt_u32_e64 s6, 8, v16
	s_and_b32 s25, s5, s4
	v_cmp_lt_u32_e64 s5, 9, v16
	v_cmp_lt_u32_e64 s8, 7, v16
	s_and_b32 s12, s7, s4
	s_and_b32 s27, s6, s4
	v_cmp_lt_u32_e64 s6, 10, v16
	s_and_b32 s31, s5, s4
	v_cmp_eq_u32_e64 s5, 11, v16
	v_cmp_eq_u32_e64 s7, 9, v16
	s_xor_b32 s93, vcc_lo, -1
	v_dual_cndmask_b32 v26, v26, v17 :: v_dual_add_nc_u32 v47, 0x8000, v14
	s_and_b32 s24, s6, s4
	v_cmp_eq_u32_e64 s6, 12, v16
	s_and_b32 s26, s5, s4
	v_cmp_eq_u32_e64 s5, 13, v16
	v_cndmask_b32_e32 v27, v27, v1, vcc_lo
	v_cmp_gt_u32_e32 vcc_lo, 16, v2
	s_and_b32 s23, s8, s4
	v_cmp_eq_u32_e64 s8, 10, v16
	s_and_b32 s29, s7, s4
	v_cmp_lt_u32_e64 s7, 11, v16
	v_add_nc_u32_e32 v62, 0x8000, v11
	v_lshl_or_b32 v63, v10, 9, v61
	s_and_b32 s30, s6, s4
	v_cmp_lt_u32_e64 s6, 13, v16
	v_add_nc_u64_e32 v[10:11], s[10:11], v[4:5]
	s_and_b32 s10, s5, s4
	v_cmp_eq_u32_e64 s5, 15, v16
	s_and_b32 s73, s1, vcc_lo
	v_cmp_gt_u32_e32 vcc_lo, 32, v2
	s_and_b32 s34, s8, s4
	v_cmp_lt_u32_e64 s8, 12, v16
	s_and_b32 s28, s7, s4
	v_cmp_eq_u32_e64 s7, 14, v16
	s_and_b32 s70, s14, s15
	s_and_b32 s11, s6, s4
	;; [unrolled: 1-line block ×3, first 2 shown]
	s_xor_b32 s5, s70, -1
	s_and_b32 s6, s1, vcc_lo
	v_cmp_gt_i32_e32 vcc_lo, s9, v2
	s_and_b32 s33, s8, s4
	s_and_b32 s92, s7, s4
	v_lshrrev_b32_e32 v1, 5, v30
	v_writelane_b32 v98, s6, 11
	s_and_b32 s71, s1, s5
	s_cmp_gt_i32 s89, 0
	v_mul_u64_e32 v[8:9], s[64:65], v[12:13]
	s_cselect_b32 s88, -1, 0
	s_and_b32 s5, s1, vcc_lo
	v_dual_lshlrev_b32 v66, 3, v1 :: v_dual_lshlrev_b32 v67, 9, v1
	v_mul_u64_e32 v[0:1], s[74:75], v[12:13]
	v_add_nc_u32_e32 v13, 0x50, v21
	v_writelane_b32 v98, s5, 12
	v_cmp_gt_i32_e64 s5, s82, v12
	v_cmp_gt_i32_e32 vcc_lo, s82, v6
	v_add_nc_u32_e32 v28, 0x60, v21
	v_add_nc_u32_e32 v21, 0x70, v21
	v_cmp_ne_u32_e64 s16, v2, v20
	v_cmp_ne_u32_e64 s17, v2, v24
	s_and_b32 s6, vcc_lo, s5
	v_cmp_gt_i32_e32 vcc_lo, s82, v13
	v_writelane_b32 v98, s6, 13
	v_cmp_ne_u32_e64 s18, v2, v25
	v_cmp_gt_u32_e64 s35, 0xf0, v30
	v_cmp_gt_u32_e64 s50, 0x3e0, v30
	s_and_b32 s6, vcc_lo, s5
	v_cmp_gt_i32_e32 vcc_lo, s82, v28
	v_writelane_b32 v98, s6, 14
	v_mad_u32_u24 v46, 0x1f8, v2, v43
	v_mul_i32_i24_e32 v14, 0xfffffe08, v2
	v_mul_u32_u24_e32 v15, 0x1f8, v2
	s_and_b32 s6, vcc_lo, s5
	v_cmp_gt_i32_e32 vcc_lo, s82, v21
	v_writelane_b32 v98, s6, 15
	v_mad_i32_i24 v50, 0xfffffe08, v2, v46
	v_mul_lo_u32 v14, v14, 6
	v_mul_u64_e32 v[10:11], s[74:75], v[10:11]
	s_and_b32 s6, vcc_lo, s5
	v_cmp_le_i32_e32 vcc_lo, s9, v40
	v_writelane_b32 v98, s6, 16
	v_cmp_le_u32_e64 s6, v2, v40
	v_mad_u32_u24 v51, 0x1f8, v2, v50
	v_dual_lshlrev_b32 v76, 3, v27 :: v_dual_lshlrev_b32 v21, 3, v40
	s_or_b32 s7, vcc_lo, s14
	v_cmp_le_i32_e32 vcc_lo, s9, v20
	s_or_b32 s7, s7, s6
	v_mad_i32_i24 v52, 0xfffffe08, v2, v51
	v_writelane_b32 v98, s7, 17
	v_cmp_le_u32_e64 s7, v2, v20
	s_or_b32 s8, vcc_lo, s14
	v_cmp_le_i32_e32 vcc_lo, s9, v24
	v_mad_u32_u24 v55, 0x1f8, v2, v52
	v_mad_u32 v14, v15, 7, v14
	s_or_b32 s8, s8, s7
	v_mul_u32_u24_e32 v15, 0x1f0, v2
	v_writelane_b32 v98, s8, 18
	v_cmp_le_u32_e64 s8, v2, v24
	s_or_b32 s15, vcc_lo, s14
	v_cmp_le_i32_e32 vcc_lo, s9, v25
	v_mad_i32_i24 v59, 0xfffffe08, v2, v55
	v_mad_nc_u64_u32 v[12:13], s64, v40, v[18:19]
	s_or_b32 s9, s15, s8
	v_mad_nc_u64_u32 v[16:17], s64, v24, v[18:19]
	v_writelane_b32 v98, s9, 19
	v_cmp_le_u32_e64 s9, v2, v25
	s_or_b32 s15, vcc_lo, s14
	v_mad_u32_u24 v68, 0x1f8, v2, v59
	v_dual_sub_nc_u32 v29, v14, v15 :: v_dual_lshlrev_b32 v72, 3, v22
	s_or_b32 s15, s15, s9
	v_mad_nc_u64_u32 v[14:15], s64, v20, v[18:19]
	v_writelane_b32 v98, s15, 20
	v_cmp_ne_u32_e64 s15, v2, v40
	v_mad_i32_i24 v69, 0xfffffe08, v2, v68
	v_mad_nc_u64_u32 v[18:19], s64, v25, v[18:19]
	v_or_b32_e32 v79, 0xa000, v21
	v_mul_u32_u24_e32 v81, 0x208, v65
	v_writelane_b32 v98, s15, 21
	s_or_b32 s15, s14, s15
	v_mad_u32_u24 v70, 0x1f8, v2, v69
	v_or_b32_e32 v32, v20, v2
	v_dual_add_nc_u32 v90, v79, v43 :: v_dual_bitop2_b32 v33, v24, v2 bitop3:0x54
	v_writelane_b32 v98, s15, 22
	s_or_b32 s15, s14, s16
	v_mad_i32_i24 v71, 0xfffffe08, v2, v70
	v_mad_u32 v13, s65, v40, v13
	v_mad_u32 v15, s65, v20, v15
	v_writelane_b32 v98, s16, 23
	v_mad_u32 v17, s65, v24, v17
	v_mad_u32_u24 v74, 0x1f8, v2, v71
	v_mad_u32 v19, s65, v25, v19
	v_or_b32_e32 v34, v25, v2
	v_writelane_b32 v98, s15, 24
	s_or_b32 s15, s14, s17
	s_or_b32 s14, s14, s18
	v_mad_i32_i24 v77, 0xfffffe08, v2, v74
	v_cmp_lt_u32_e32 vcc_lo, 0x3ff, v30
	v_writelane_b32 v98, s17, 25
	v_dual_lshlrev_b32 v73, 3, v23 :: v_dual_lshlrev_b32 v75, 3, v26
	s_delay_alu instid0(VALU_DEP_4)
	v_mad_u32_u24 v78, 0x1f8, v2, v77
	v_add_nc_u32_e32 v82, 0x8000, v66
	v_writelane_b32 v98, s15, 26
	v_lshl_or_b32 v83, v65, 3, v67
	v_lshl_add_u32 v84, v4, 3, 0xa000
	v_add_nc_u32_e32 v80, v78, v21
	v_lshlrev_b32_e32 v21, 9, v65
	v_writelane_b32 v98, s18, 27
	v_lshl_add_u32 v85, v30, 3, 0x8000
	v_add_nc_u32_e32 v86, 0x8000, v43
	v_add_nc_u32_e32 v88, 0x7800, v29
	v_sub_nc_u32_e32 v21, v81, v21
	v_writelane_b32 v98, s14, 28
	v_lshl_add_u32 v89, v40, 9, v71
	v_subrev_nc_u32_e32 v91, 63, v2
	v_cmp_eq_u32_e64 s14, 0, v31
	v_add_nc_u32_e32 v87, 0x4100, v21
	v_writelane_b32 v98, s35, 29
	v_cmp_gt_u32_e64 s35, 0xe0, v30
	v_mov_b64_e32 v[20:21], 0
	v_cmp_gt_u32_e64 s15, 2, v30
	v_cmp_gt_u32_e64 s16, 12, v30
	v_cmp_gt_u32_e64 s17, 8, v30
	v_writelane_b32 v98, s35, 30
	v_cmp_gt_u32_e64 s35, 0xd0, v30
	v_cmp_gt_u32_e64 s18, 56, v30
	;; [unrolled: 1-line block ×5, first 2 shown]
	v_writelane_b32 v98, s35, 31
	v_cmp_gt_u32_e64 s35, 0xc0, v30
	v_cmp_gt_u32_e64 s22, 24, v30
	v_cmp_eq_u32_e64 s59, 0, v4
	v_cmp_gt_u32_e64 s60, 64, v4
	s_add_co_i32 s49, s49, 1
	v_writelane_b32 v97, s35, 0
	v_cmp_gt_u32_e64 s35, 0xb0, v30
	s_xor_b32 s64, vcc_lo, -1
                                        ; implicit-def: $vgpr22_vgpr23
                                        ; implicit-def: $vgpr24_vgpr25
                                        ; implicit-def: $vgpr26_vgpr27
                                        ; implicit-def: $vgpr28_vgpr29
	v_writelane_b32 v97, s35, 1
	v_cmp_gt_u32_e64 s35, 0xa0, v30
	s_delay_alu instid0(VALU_DEP_1) | instskip(SKIP_1) | instid1(VALU_DEP_1)
	v_writelane_b32 v97, s35, 2
	v_cmp_gt_u32_e64 s35, 0x90, v30
	v_writelane_b32 v97, s35, 3
	v_cmp_gt_u32_e64 s35, 0x80, v30
	s_delay_alu instid0(VALU_DEP_1) | instskip(SKIP_1) | instid1(VALU_DEP_1)
	v_writelane_b32 v97, s35, 4
	v_cmp_gt_u32_e64 s35, 0x70, v30
	;; [unrolled: 5-line block ×3, first 2 shown]
	v_writelane_b32 v97, s35, 7
	v_cmp_gt_u32_e64 s35, 0x400, v30
	v_writelane_b32 v97, s50, 8
	v_cmp_gt_u32_e64 s50, 0x3c0, v30
	s_delay_alu instid0(VALU_DEP_1) | instskip(SKIP_1) | instid1(VALU_DEP_1)
	v_writelane_b32 v97, s50, 9
	v_cmp_gt_u32_e64 s50, 0x3a0, v30
	v_writelane_b32 v97, s50, 10
	v_cmp_gt_u32_e64 s50, 0x380, v30
	s_delay_alu instid0(VALU_DEP_1) | instskip(SKIP_1) | instid1(VALU_DEP_1)
	;; [unrolled: 5-line block ×13, first 2 shown]
	v_writelane_b32 v96, s50, 1
	v_cmp_gt_u32_e64 s50, 64, v34
	v_writelane_b32 v96, s50, 2
	s_branch .LBB47_3
.LBB47_2:                               ;   in Loop: Header=BB47_3 Depth=1
	s_wait_xcnt 0x0
	s_or_b32 exec_lo, exec_lo, s50
	v_readlane_b32 s50, v98, 0
	s_add_co_i32 s80, s80, 0x10000
	global_wb scope:SCOPE_DEV
	s_wait_storecnt 0x0
	global_inv scope:SCOPE_DEV
	s_cmp_lt_u32 s80, s50
	s_cbranch_scc0 .LBB47_1149
.LBB47_3:                               ; =>This Loop Header: Depth=1
                                        ;     Child Loop BB47_553 Depth 2
                                        ;     Child Loop BB47_1002 Depth 2
                                        ;       Child Loop BB47_1004 Depth 3
                                        ;     Child Loop BB47_1039 Depth 2
	v_readlane_b32 s52, v98, 2
	v_readlane_b32 s53, v98, 3
	s_mul_u64 s[50:51], s[66:67], s[80:81]
	s_delay_alu instid0(SALU_CYCLE_1) | instskip(NEXT) | instid1(SALU_CYCLE_1)
	s_lshl_b64 s[50:51], s[50:51], 3
	s_add_nc_u64 s[84:85], s[52:53], s[50:51]
	v_readlane_b32 s50, v98, 1
	v_lshl_add_u64 v[30:31], v[8:9], 3, s[84:85]
	s_and_not1_b32 vcc_lo, exec_lo, s50
	s_cbranch_vccnz .LBB47_13
; %bb.4:                                ;   in Loop: Header=BB47_3 Depth=1
	v_mov_b64_e32 v[24:25], 0
	v_mov_b64_e32 v[22:23], 0
	v_lshl_add_u64 v[32:33], v[6:7], 3, v[30:31]
	s_barrier_signal -1
	s_barrier_wait -1
	s_mov_b32 s50, exec_lo
	v_readlane_b32 s51, v98, 13
	s_and_b32 s51, s50, s51
	s_delay_alu instid0(SALU_CYCLE_1)
	s_mov_b32 exec_lo, s51
	s_cbranch_execz .LBB47_6
; %bb.5:                                ;   in Loop: Header=BB47_3 Depth=1
	global_load_b64 v[22:23], v[32:33], off
.LBB47_6:                               ;   in Loop: Header=BB47_3 Depth=1
	s_wait_xcnt 0x0
	s_or_b32 exec_lo, exec_lo, s50
	s_wait_loadcnt 0x0
	s_barrier_signal -1
	s_barrier_wait -1
	s_mov_b32 s50, exec_lo
	v_readlane_b32 s51, v98, 14
	s_and_b32 s51, s50, s51
	s_delay_alu instid0(SALU_CYCLE_1)
	s_mov_b32 exec_lo, s51
	s_cbranch_execz .LBB47_8
; %bb.7:                                ;   in Loop: Header=BB47_3 Depth=1
	global_load_b64 v[24:25], v[32:33], off offset:128
.LBB47_8:                               ;   in Loop: Header=BB47_3 Depth=1
	s_wait_xcnt 0x0
	s_or_b32 exec_lo, exec_lo, s50
	v_mov_b64_e32 v[28:29], 0
	v_mov_b64_e32 v[26:27], 0
	s_wait_loadcnt 0x0
	s_barrier_signal -1
	s_barrier_wait -1
	s_mov_b32 s50, exec_lo
	v_readlane_b32 s51, v98, 15
	s_and_b32 s51, s50, s51
	s_delay_alu instid0(SALU_CYCLE_1)
	s_mov_b32 exec_lo, s51
	s_cbranch_execz .LBB47_10
; %bb.9:                                ;   in Loop: Header=BB47_3 Depth=1
	global_load_b64 v[26:27], v[32:33], off offset:256
.LBB47_10:                              ;   in Loop: Header=BB47_3 Depth=1
	s_wait_xcnt 0x0
	s_or_b32 exec_lo, exec_lo, s50
	s_wait_loadcnt 0x0
	s_barrier_signal -1
	s_barrier_wait -1
	s_mov_b32 s50, exec_lo
	v_readlane_b32 s51, v98, 16
	s_and_b32 s51, s50, s51
	s_delay_alu instid0(SALU_CYCLE_1)
	s_mov_b32 exec_lo, s51
	s_cbranch_execz .LBB47_12
; %bb.11:                               ;   in Loop: Header=BB47_3 Depth=1
	global_load_b64 v[28:29], v[32:33], off offset:384
.LBB47_12:                              ;   in Loop: Header=BB47_3 Depth=1
	s_wait_xcnt 0x0
	s_or_b32 exec_lo, exec_lo, s50
.LBB47_13:                              ;   in Loop: Header=BB47_3 Depth=1
	s_delay_alu instid0(SALU_CYCLE_1)
	s_and_not1_b32 vcc_lo, exec_lo, s91
	s_mov_b32 s50, -1
	s_cbranch_vccnz .LBB47_24
; %bb.14:                               ;   in Loop: Header=BB47_3 Depth=1
	s_and_saveexec_b32 s50, s6
	s_delay_alu instid0(SALU_CYCLE_1)
	s_xor_b32 s65, exec_lo, s50
	s_cbranch_execnz .LBB47_1061
; %bb.15:                               ;   in Loop: Header=BB47_3 Depth=1
	s_and_not1_saveexec_b32 s50, s65
	s_cbranch_execnz .LBB47_1068
.LBB47_16:                              ;   in Loop: Header=BB47_3 Depth=1
	s_or_b32 exec_lo, exec_lo, s50
	s_and_saveexec_b32 s50, s7
	s_delay_alu instid0(SALU_CYCLE_1)
	s_xor_b32 s65, exec_lo, s50
	s_cbranch_execnz .LBB47_1069
.LBB47_17:                              ;   in Loop: Header=BB47_3 Depth=1
	s_and_not1_saveexec_b32 s50, s65
	s_cbranch_execnz .LBB47_1076
.LBB47_18:                              ;   in Loop: Header=BB47_3 Depth=1
	s_or_b32 exec_lo, exec_lo, s50
	s_and_saveexec_b32 s50, s8
	s_delay_alu instid0(SALU_CYCLE_1)
	s_xor_b32 s65, exec_lo, s50
	s_cbranch_execnz .LBB47_1077
.LBB47_19:                              ;   in Loop: Header=BB47_3 Depth=1
	s_and_not1_saveexec_b32 s50, s65
	s_cbranch_execnz .LBB47_1084
.LBB47_20:                              ;   in Loop: Header=BB47_3 Depth=1
	s_or_b32 exec_lo, exec_lo, s50
	s_and_saveexec_b32 s50, s9
	s_delay_alu instid0(SALU_CYCLE_1)
	s_xor_b32 s65, exec_lo, s50
	s_cbranch_execnz .LBB47_1085
.LBB47_21:                              ;   in Loop: Header=BB47_3 Depth=1
	s_and_not1_saveexec_b32 s50, s65
	s_cbranch_execz .LBB47_23
.LBB47_22:                              ;   in Loop: Header=BB47_3 Depth=1
	v_lshl_add_u64 v[32:33], v[18:19], 3, s[84:85]
	global_load_b64 v[32:33], v[32:33], off
	s_wait_loadcnt 0x0
	v_xor_b32_e32 v33, 0x80000000, v33
	ds_store_b64 v76, v[32:33]
.LBB47_23:                              ;   in Loop: Header=BB47_3 Depth=1
	s_or_b32 exec_lo, exec_lo, s50
	s_mov_b32 s50, 0
.LBB47_24:                              ;   in Loop: Header=BB47_3 Depth=1
	s_delay_alu instid0(SALU_CYCLE_1)
	s_and_b32 vcc_lo, exec_lo, s50
	s_cbranch_vccz .LBB47_66
; %bb.25:                               ;   in Loop: Header=BB47_3 Depth=1
	s_mov_b32 s50, exec_lo
	v_readlane_b32 s51, v98, 17
	s_and_b32 s51, s50, s51
	s_delay_alu instid0(SALU_CYCLE_1)
	s_xor_b32 s65, s51, s50
	s_mov_b32 exec_lo, s51
	s_cbranch_execz .LBB47_33
; %bb.26:                               ;   in Loop: Header=BB47_3 Depth=1
	s_mov_b32 s50, exec_lo
	v_readlane_b32 s51, v98, 22
	s_and_b32 s51, s50, s51
	s_delay_alu instid0(SALU_CYCLE_1)
	s_xor_b32 s50, s51, s50
	s_mov_b32 exec_lo, s51
	s_cbranch_execz .LBB47_30
; %bb.27:                               ;   in Loop: Header=BB47_3 Depth=1
	s_mov_b32 s51, exec_lo
	v_readlane_b32 s52, v97, 31
	s_and_b32 s52, s51, s52
	s_delay_alu instid0(SALU_CYCLE_1)
	s_mov_b32 exec_lo, s52
; %bb.28:                               ;   in Loop: Header=BB47_3 Depth=1
	ds_store_b64 v80, v[20:21]
; %bb.29:                               ;   in Loop: Header=BB47_3 Depth=1
	s_or_b32 exec_lo, exec_lo, s51
.LBB47_30:                              ;   in Loop: Header=BB47_3 Depth=1
	s_and_not1_saveexec_b32 s50, s50
	s_cbranch_execz .LBB47_32
; %bb.31:                               ;   in Loop: Header=BB47_3 Depth=1
	v_lshl_add_u64 v[32:33], v[12:13], 3, s[84:85]
	global_load_b64 v[32:33], v[32:33], off
	s_wait_loadcnt 0x0
	v_div_scale_f64 v[34:35], null, v[32:33], v[32:33], 1.0
	s_delay_alu instid0(VALU_DEP_1) | instskip(SKIP_1) | instid1(TRANS32_DEP_1)
	v_rcp_f64_e32 v[36:37], v[34:35]
	v_nop
	v_fma_f64 v[38:39], -v[34:35], v[36:37], 1.0
	s_delay_alu instid0(VALU_DEP_1) | instskip(NEXT) | instid1(VALU_DEP_1)
	v_fmac_f64_e32 v[36:37], v[36:37], v[38:39]
	v_fma_f64 v[38:39], -v[34:35], v[36:37], 1.0
	s_delay_alu instid0(VALU_DEP_1) | instskip(SKIP_1) | instid1(VALU_DEP_1)
	v_fmac_f64_e32 v[36:37], v[36:37], v[38:39]
	v_div_scale_f64 v[38:39], vcc_lo, 1.0, v[32:33], 1.0
	v_mul_f64_e32 v[92:93], v[38:39], v[36:37]
	s_delay_alu instid0(VALU_DEP_1) | instskip(NEXT) | instid1(VALU_DEP_1)
	v_fma_f64 v[34:35], -v[34:35], v[92:93], v[38:39]
	v_div_fmas_f64 v[34:35], v[34:35], v[36:37], v[92:93]
	s_delay_alu instid0(VALU_DEP_1)
	v_div_fixup_f64 v[32:33], v[34:35], v[32:33], 1.0
	ds_store_b64 v80, v[32:33]
.LBB47_32:                              ;   in Loop: Header=BB47_3 Depth=1
	s_or_b32 exec_lo, exec_lo, s50
.LBB47_33:                              ;   in Loop: Header=BB47_3 Depth=1
	s_and_not1_saveexec_b32 s50, s65
	s_cbranch_execz .LBB47_35
; %bb.34:                               ;   in Loop: Header=BB47_3 Depth=1
	v_lshl_add_u64 v[32:33], v[12:13], 3, s[84:85]
	global_load_b64 v[32:33], v[32:33], off
	s_wait_loadcnt 0x0
	v_xor_b32_e32 v33, 0x80000000, v33
	ds_store_b64 v80, v[32:33]
.LBB47_35:                              ;   in Loop: Header=BB47_3 Depth=1
	s_or_b32 exec_lo, exec_lo, s50
	s_delay_alu instid0(SALU_CYCLE_1) | instskip(SKIP_2) | instid1(SALU_CYCLE_1)
	s_mov_b32 s50, exec_lo
	v_readlane_b32 s51, v98, 18
	s_and_b32 s51, s50, s51
	s_xor_b32 s65, s51, s50
	s_mov_b32 exec_lo, s51
	s_cbranch_execz .LBB47_43
; %bb.36:                               ;   in Loop: Header=BB47_3 Depth=1
	s_mov_b32 s50, exec_lo
	v_readlane_b32 s51, v98, 24
	s_and_b32 s51, s50, s51
	s_delay_alu instid0(SALU_CYCLE_1)
	s_xor_b32 s50, s51, s50
	s_mov_b32 exec_lo, s51
	s_cbranch_execz .LBB47_40
; %bb.37:                               ;   in Loop: Header=BB47_3 Depth=1
	s_mov_b32 s51, exec_lo
	v_readlane_b32 s52, v96, 0
	s_and_b32 s52, s51, s52
	s_delay_alu instid0(SALU_CYCLE_1)
	s_mov_b32 exec_lo, s52
; %bb.38:                               ;   in Loop: Header=BB47_3 Depth=1
	ds_store_b64 v73, v[20:21]
; %bb.39:                               ;   in Loop: Header=BB47_3 Depth=1
	s_or_b32 exec_lo, exec_lo, s51
.LBB47_40:                              ;   in Loop: Header=BB47_3 Depth=1
	s_and_not1_saveexec_b32 s50, s50
	s_cbranch_execz .LBB47_42
; %bb.41:                               ;   in Loop: Header=BB47_3 Depth=1
	v_lshl_add_u64 v[32:33], v[14:15], 3, s[84:85]
	global_load_b64 v[32:33], v[32:33], off
	s_wait_loadcnt 0x0
	v_div_scale_f64 v[34:35], null, v[32:33], v[32:33], 1.0
	s_delay_alu instid0(VALU_DEP_1) | instskip(SKIP_1) | instid1(TRANS32_DEP_1)
	v_rcp_f64_e32 v[36:37], v[34:35]
	v_nop
	v_fma_f64 v[38:39], -v[34:35], v[36:37], 1.0
	s_delay_alu instid0(VALU_DEP_1) | instskip(NEXT) | instid1(VALU_DEP_1)
	v_fmac_f64_e32 v[36:37], v[36:37], v[38:39]
	v_fma_f64 v[38:39], -v[34:35], v[36:37], 1.0
	s_delay_alu instid0(VALU_DEP_1) | instskip(SKIP_1) | instid1(VALU_DEP_1)
	v_fmac_f64_e32 v[36:37], v[36:37], v[38:39]
	v_div_scale_f64 v[38:39], vcc_lo, 1.0, v[32:33], 1.0
	v_mul_f64_e32 v[92:93], v[38:39], v[36:37]
	s_delay_alu instid0(VALU_DEP_1) | instskip(NEXT) | instid1(VALU_DEP_1)
	v_fma_f64 v[34:35], -v[34:35], v[92:93], v[38:39]
	v_div_fmas_f64 v[34:35], v[34:35], v[36:37], v[92:93]
	s_delay_alu instid0(VALU_DEP_1)
	v_div_fixup_f64 v[32:33], v[34:35], v[32:33], 1.0
	ds_store_b64 v73, v[32:33]
.LBB47_42:                              ;   in Loop: Header=BB47_3 Depth=1
	s_or_b32 exec_lo, exec_lo, s50
.LBB47_43:                              ;   in Loop: Header=BB47_3 Depth=1
	s_and_not1_saveexec_b32 s50, s65
	s_cbranch_execz .LBB47_45
; %bb.44:                               ;   in Loop: Header=BB47_3 Depth=1
	v_lshl_add_u64 v[32:33], v[14:15], 3, s[84:85]
	global_load_b64 v[32:33], v[32:33], off
	s_wait_loadcnt 0x0
	v_xor_b32_e32 v33, 0x80000000, v33
	ds_store_b64 v73, v[32:33]
.LBB47_45:                              ;   in Loop: Header=BB47_3 Depth=1
	s_or_b32 exec_lo, exec_lo, s50
	s_delay_alu instid0(SALU_CYCLE_1) | instskip(SKIP_2) | instid1(SALU_CYCLE_1)
	s_mov_b32 s50, exec_lo
	v_readlane_b32 s51, v98, 19
	s_and_b32 s51, s50, s51
	;; [unrolled: 63-line block ×3, first 2 shown]
	s_xor_b32 s65, s51, s50
	s_mov_b32 exec_lo, s51
	s_cbranch_execz .LBB47_63
; %bb.56:                               ;   in Loop: Header=BB47_3 Depth=1
	s_mov_b32 s50, exec_lo
	v_readlane_b32 s51, v98, 28
	s_and_b32 s51, s50, s51
	s_delay_alu instid0(SALU_CYCLE_1)
	s_xor_b32 s50, s51, s50
	s_mov_b32 exec_lo, s51
	s_cbranch_execz .LBB47_60
; %bb.57:                               ;   in Loop: Header=BB47_3 Depth=1
	s_mov_b32 s51, exec_lo
	v_readlane_b32 s52, v96, 2
	s_and_b32 s52, s51, s52
	s_delay_alu instid0(SALU_CYCLE_1)
	s_mov_b32 exec_lo, s52
; %bb.58:                               ;   in Loop: Header=BB47_3 Depth=1
	ds_store_b64 v76, v[20:21]
; %bb.59:                               ;   in Loop: Header=BB47_3 Depth=1
	s_or_b32 exec_lo, exec_lo, s51
.LBB47_60:                              ;   in Loop: Header=BB47_3 Depth=1
	s_and_not1_saveexec_b32 s50, s50
	s_cbranch_execz .LBB47_62
; %bb.61:                               ;   in Loop: Header=BB47_3 Depth=1
	v_lshl_add_u64 v[32:33], v[18:19], 3, s[84:85]
	global_load_b64 v[32:33], v[32:33], off
	s_wait_loadcnt 0x0
	v_div_scale_f64 v[34:35], null, v[32:33], v[32:33], 1.0
	s_delay_alu instid0(VALU_DEP_1) | instskip(SKIP_1) | instid1(TRANS32_DEP_1)
	v_rcp_f64_e32 v[36:37], v[34:35]
	v_nop
	v_fma_f64 v[38:39], -v[34:35], v[36:37], 1.0
	s_delay_alu instid0(VALU_DEP_1) | instskip(NEXT) | instid1(VALU_DEP_1)
	v_fmac_f64_e32 v[36:37], v[36:37], v[38:39]
	v_fma_f64 v[38:39], -v[34:35], v[36:37], 1.0
	s_delay_alu instid0(VALU_DEP_1) | instskip(SKIP_1) | instid1(VALU_DEP_1)
	v_fmac_f64_e32 v[36:37], v[36:37], v[38:39]
	v_div_scale_f64 v[38:39], vcc_lo, 1.0, v[32:33], 1.0
	v_mul_f64_e32 v[92:93], v[38:39], v[36:37]
	s_delay_alu instid0(VALU_DEP_1) | instskip(NEXT) | instid1(VALU_DEP_1)
	v_fma_f64 v[34:35], -v[34:35], v[92:93], v[38:39]
	v_div_fmas_f64 v[34:35], v[34:35], v[36:37], v[92:93]
	s_delay_alu instid0(VALU_DEP_1)
	v_div_fixup_f64 v[32:33], v[34:35], v[32:33], 1.0
	ds_store_b64 v76, v[32:33]
.LBB47_62:                              ;   in Loop: Header=BB47_3 Depth=1
	s_or_b32 exec_lo, exec_lo, s50
.LBB47_63:                              ;   in Loop: Header=BB47_3 Depth=1
	s_and_not1_saveexec_b32 s50, s65
	s_cbranch_execz .LBB47_65
; %bb.64:                               ;   in Loop: Header=BB47_3 Depth=1
	v_lshl_add_u64 v[32:33], v[18:19], 3, s[84:85]
	global_load_b64 v[32:33], v[32:33], off
	s_wait_loadcnt 0x0
	v_xor_b32_e32 v33, 0x80000000, v33
	ds_store_b64 v76, v[32:33]
.LBB47_65:                              ;   in Loop: Header=BB47_3 Depth=1
	s_or_b32 exec_lo, exec_lo, s50
.LBB47_66:                              ;   in Loop: Header=BB47_3 Depth=1
	s_delay_alu instid0(SALU_CYCLE_1)
	s_and_not1_b32 vcc_lo, exec_lo, s93
	s_wait_loadcnt_dscnt 0x0
	s_barrier_signal -1
	s_barrier_wait -1
	s_cbranch_vccnz .LBB47_996
; %bb.67:                               ;   in Loop: Header=BB47_3 Depth=1
	s_and_saveexec_b32 s50, s14
	s_cbranch_execz .LBB47_69
; %bb.68:                               ;   in Loop: Header=BB47_3 Depth=1
	ds_load_b128 v[32:35], v5
	ds_load_b64 v[36:37], v5 offset:520
	s_wait_dscnt 0x0
	v_mul_f64_e32 v[32:33], v[32:33], v[36:37]
	s_delay_alu instid0(VALU_DEP_1)
	v_mul_f64_e32 v[32:33], v[34:35], v[32:33]
	ds_store_2addr_b64 v5, v[32:33], v[32:33] offset0:1 offset1:64
.LBB47_69:                              ;   in Loop: Header=BB47_3 Depth=1
	s_or_b32 exec_lo, exec_lo, s50
	v_mov_b64_e32 v[32:33], 0
	s_wait_dscnt 0x0
	s_barrier_signal -1
	s_barrier_wait -1
	s_and_saveexec_b32 s50, s0
	s_cbranch_execz .LBB47_73
; %bb.70:                               ;   in Loop: Header=BB47_3 Depth=1
	ds_load_b64 v[32:33], v41 offset:16
	ds_load_b64 v[34:35], v42
	s_wait_dscnt 0x0
	v_fma_f64 v[32:33], v[32:33], v[34:35], 0
	s_and_saveexec_b32 s51, s15
	s_cbranch_execz .LBB47_72
; %bb.71:                               ;   in Loop: Header=BB47_3 Depth=1
	ds_load_b64 v[34:35], v43 offset:528
	ds_load_b64 v[36:37], v5 offset:8
	s_wait_dscnt 0x0
	v_fmac_f64_e32 v[32:33], v[34:35], v[36:37]
.LBB47_72:                              ;   in Loop: Header=BB47_3 Depth=1
	s_or_b32 exec_lo, exec_lo, s51
	s_delay_alu instid0(VALU_DEP_1)
	v_xor_b32_e32 v33, 0x80000000, v33
.LBB47_73:                              ;   in Loop: Header=BB47_3 Depth=1
	s_or_b32 exec_lo, exec_lo, s50
	s_and_saveexec_b32 s50, s94
	s_cbranch_execz .LBB47_75
; %bb.74:                               ;   in Loop: Header=BB47_3 Depth=1
	ds_load_b64 v[34:35], v5 offset:1040
	s_wait_dscnt 0x0
	v_mul_f64_e32 v[32:33], v[32:33], v[34:35]
	ds_store_b64 v3, v[32:33]
.LBB47_75:                              ;   in Loop: Header=BB47_3 Depth=1
	s_or_b32 exec_lo, exec_lo, s50
	s_wait_dscnt 0x0
	s_barrier_signal -1
	s_barrier_wait -1
	s_and_saveexec_b32 s50, s95
	s_cbranch_execz .LBB47_77
; %bb.76:                               ;   in Loop: Header=BB47_3 Depth=1
	ds_load_b64 v[34:35], v5 offset:1048
	ds_load_b64 v[36:37], v3
	s_wait_dscnt 0x0
	v_fmac_f64_e32 v[32:33], v[34:35], v[36:37]
.LBB47_77:                              ;   in Loop: Header=BB47_3 Depth=1
	s_or_b32 exec_lo, exec_lo, s50
	s_barrier_signal -1
	s_barrier_wait -1
	s_and_saveexec_b32 s50, s95
	s_cbranch_execz .LBB47_79
; %bb.78:                               ;   in Loop: Header=BB47_3 Depth=1
	ds_load_b64 v[34:35], v5 offset:1560
	s_wait_dscnt 0x0
	v_mul_f64_e32 v[32:33], v[32:33], v[34:35]
	ds_store_b64 v3, v[32:33]
.LBB47_79:                              ;   in Loop: Header=BB47_3 Depth=1
	s_or_b32 exec_lo, exec_lo, s50
	s_wait_dscnt 0x0
	s_barrier_signal -1
	s_barrier_wait -1
	s_barrier_signal -1
	s_barrier_wait -1
	s_and_saveexec_b32 s50, s0
; %bb.80:                               ;   in Loop: Header=BB47_3 Depth=1
	s_delay_alu instid0(VALU_DEP_1)
	v_xor_b32_e32 v33, 0x80000000, v33
	ds_store_b64 v41, v[32:33] offset:16
; %bb.81:                               ;   in Loop: Header=BB47_3 Depth=1
	s_or_b32 exec_lo, exec_lo, s50
	s_wait_dscnt 0x0
	s_barrier_signal -1
	s_barrier_wait -1
	s_barrier_signal -1
	s_barrier_wait -1
	s_and_saveexec_b32 s50, s96
	s_cbranch_execz .LBB47_83
; %bb.82:                               ;   in Loop: Header=BB47_3 Depth=1
	ds_load_b64 v[32:33], v46 offset:16
	s_wait_dscnt 0x0
	ds_store_b64 v43, v[32:33] offset:1024
	ds_load_b64 v[32:33], v46 offset:24
	s_wait_dscnt 0x0
	ds_store_b64 v43, v[32:33] offset:1536
.LBB47_83:                              ;   in Loop: Header=BB47_3 Depth=1
	s_or_b32 exec_lo, exec_lo, s50
	s_wait_dscnt 0x0
	s_barrier_signal -1
	s_barrier_wait -1
	s_and_saveexec_b32 s50, s14
	s_cbranch_execz .LBB47_85
; %bb.84:                               ;   in Loop: Header=BB47_3 Depth=1
	ds_load_b128 v[32:35], v5 offset:1040
	ds_load_b64 v[36:37], v5 offset:1560
	s_wait_dscnt 0x0
	v_mul_f64_e32 v[32:33], v[32:33], v[36:37]
	s_delay_alu instid0(VALU_DEP_1)
	v_mul_f64_e32 v[32:33], v[34:35], v[32:33]
	ds_store_2addr_b64 v5, v[32:33], v[32:33] offset0:131 offset1:194
.LBB47_85:                              ;   in Loop: Header=BB47_3 Depth=1
	s_or_b32 exec_lo, exec_lo, s50
	v_mov_b64_e32 v[32:33], 0
	s_wait_dscnt 0x0
	s_barrier_signal -1
	s_barrier_wait -1
	s_and_saveexec_b32 s65, s2
	s_cbranch_execz .LBB47_91
; %bb.86:                               ;   in Loop: Header=BB47_3 Depth=1
	ds_load_b64 v[32:33], v48 offset:32
	ds_load_b64 v[34:35], v44
	s_wait_dscnt 0x0
	v_fma_f64 v[32:33], v[32:33], v[34:35], 0
	s_and_saveexec_b32 s50, s16
	s_cbranch_execnz .LBB47_1099
; %bb.87:                               ;   in Loop: Header=BB47_3 Depth=1
	s_or_b32 exec_lo, exec_lo, s50
	s_and_saveexec_b32 s50, s17
	s_cbranch_execnz .LBB47_1100
.LBB47_88:                              ;   in Loop: Header=BB47_3 Depth=1
	s_or_b32 exec_lo, exec_lo, s50
	s_and_saveexec_b32 s50, s0
	s_cbranch_execz .LBB47_90
.LBB47_89:                              ;   in Loop: Header=BB47_3 Depth=1
	ds_load_b64 v[34:35], v50 offset:1568
	ds_load_b64 v[36:37], v5 offset:24
	s_wait_dscnt 0x0
	v_fmac_f64_e32 v[32:33], v[34:35], v[36:37]
.LBB47_90:                              ;   in Loop: Header=BB47_3 Depth=1
	s_or_b32 exec_lo, exec_lo, s50
	s_delay_alu instid0(VALU_DEP_1)
	v_xor_b32_e32 v33, 0x80000000, v33
.LBB47_91:                              ;   in Loop: Header=BB47_3 Depth=1
	s_or_b32 exec_lo, exec_lo, s65
	s_and_saveexec_b32 s50, s97
	s_cbranch_execz .LBB47_93
; %bb.92:                               ;   in Loop: Header=BB47_3 Depth=1
	ds_load_b64 v[34:35], v5 offset:2080
	s_wait_dscnt 0x0
	v_mul_f64_e32 v[32:33], v[32:33], v[34:35]
	ds_store_b64 v47, v[32:33]
.LBB47_93:                              ;   in Loop: Header=BB47_3 Depth=1
	s_or_b32 exec_lo, exec_lo, s50
	s_wait_dscnt 0x0
	s_barrier_signal -1
	s_barrier_wait -1
	s_and_saveexec_b32 s50, s98
	s_cbranch_execz .LBB47_95
; %bb.94:                               ;   in Loop: Header=BB47_3 Depth=1
	ds_load_b64 v[34:35], v45 offset:2080
	ds_load_b64 v[36:37], v47
	s_wait_dscnt 0x0
	v_fmac_f64_e32 v[32:33], v[34:35], v[36:37]
.LBB47_95:                              ;   in Loop: Header=BB47_3 Depth=1
	s_or_b32 exec_lo, exec_lo, s50
	s_barrier_signal -1
	s_barrier_wait -1
	s_and_saveexec_b32 s50, s99
	s_cbranch_execz .LBB47_97
; %bb.96:                               ;   in Loop: Header=BB47_3 Depth=1
	ds_load_b64 v[34:35], v5 offset:2600
	s_wait_dscnt 0x0
	v_mul_f64_e32 v[32:33], v[32:33], v[34:35]
	ds_store_b64 v47, v[32:33]
.LBB47_97:                              ;   in Loop: Header=BB47_3 Depth=1
	s_or_b32 exec_lo, exec_lo, s50
	s_wait_dscnt 0x0
	s_barrier_signal -1
	s_barrier_wait -1
	s_and_saveexec_b32 s50, s100
	s_cbranch_execz .LBB47_99
; %bb.98:                               ;   in Loop: Header=BB47_3 Depth=1
	ds_load_b64 v[34:35], v45 offset:2592
	ds_load_b64 v[36:37], v47
	s_wait_dscnt 0x0
	v_fmac_f64_e32 v[32:33], v[34:35], v[36:37]
.LBB47_99:                              ;   in Loop: Header=BB47_3 Depth=1
	s_or_b32 exec_lo, exec_lo, s50
	s_barrier_signal -1
	s_barrier_wait -1
	s_and_saveexec_b32 s50, s101
	s_cbranch_execz .LBB47_101
; %bb.100:                              ;   in Loop: Header=BB47_3 Depth=1
	ds_load_b64 v[34:35], v5 offset:3120
	s_wait_dscnt 0x0
	v_mul_f64_e32 v[32:33], v[32:33], v[34:35]
	ds_store_b64 v47, v[32:33]
.LBB47_101:                             ;   in Loop: Header=BB47_3 Depth=1
	s_or_b32 exec_lo, exec_lo, s50
	s_wait_dscnt 0x0
	s_barrier_signal -1
	s_barrier_wait -1
	s_and_saveexec_b32 s50, s102
	s_cbranch_execz .LBB47_103
; %bb.102:                              ;   in Loop: Header=BB47_3 Depth=1
	ds_load_b64 v[34:35], v5 offset:3128
	ds_load_b64 v[36:37], v47
	s_wait_dscnt 0x0
	v_fmac_f64_e32 v[32:33], v[34:35], v[36:37]
.LBB47_103:                             ;   in Loop: Header=BB47_3 Depth=1
	s_or_b32 exec_lo, exec_lo, s50
	s_barrier_signal -1
	s_barrier_wait -1
	s_and_saveexec_b32 s50, s102
	s_cbranch_execz .LBB47_105
; %bb.104:                              ;   in Loop: Header=BB47_3 Depth=1
	ds_load_b64 v[34:35], v5 offset:3640
	s_wait_dscnt 0x0
	v_mul_f64_e32 v[32:33], v[32:33], v[34:35]
	ds_store_b64 v47, v[32:33]
.LBB47_105:                             ;   in Loop: Header=BB47_3 Depth=1
	s_or_b32 exec_lo, exec_lo, s50
	s_wait_dscnt 0x0
	s_barrier_signal -1
	s_barrier_wait -1
	s_barrier_signal -1
	s_barrier_wait -1
	s_and_saveexec_b32 s50, s2
; %bb.106:                              ;   in Loop: Header=BB47_3 Depth=1
	s_delay_alu instid0(VALU_DEP_1)
	v_xor_b32_e32 v33, 0x80000000, v33
	ds_store_b64 v48, v[32:33] offset:32
; %bb.107:                              ;   in Loop: Header=BB47_3 Depth=1
	s_or_b32 exec_lo, exec_lo, s50
	s_wait_dscnt 0x0
	s_barrier_signal -1
	s_barrier_wait -1
	s_barrier_signal -1
	s_barrier_wait -1
	s_and_saveexec_b32 s50, s103
	s_cbranch_execz .LBB47_109
; %bb.108:                              ;   in Loop: Header=BB47_3 Depth=1
	ds_load_b64 v[32:33], v51 offset:32
	s_wait_dscnt 0x0
	ds_store_b64 v52, v[32:33] offset:2048
	ds_load_b64 v[32:33], v51 offset:40
	s_wait_dscnt 0x0
	ds_store_b64 v52, v[32:33] offset:2560
	;; [unrolled: 3-line block ×4, first 2 shown]
.LBB47_109:                             ;   in Loop: Header=BB47_3 Depth=1
	s_or_b32 exec_lo, exec_lo, s50
	s_wait_dscnt 0x0
	s_barrier_signal -1
	s_barrier_wait -1
	s_and_saveexec_b32 s50, s14
	s_cbranch_execz .LBB47_111
; %bb.110:                              ;   in Loop: Header=BB47_3 Depth=1
	ds_load_b128 v[32:35], v5 offset:2080
	ds_load_b64 v[36:37], v5 offset:2600
	s_wait_dscnt 0x0
	v_mul_f64_e32 v[32:33], v[32:33], v[36:37]
	s_delay_alu instid0(VALU_DEP_1)
	v_mul_f64_e32 v[32:33], v[34:35], v[32:33]
	v_add_nc_u32_e64 v34, 0x800, 0
	ds_store_2addr_b64 v34, v[32:33], v[32:33] offset0:5 offset1:68
.LBB47_111:                             ;   in Loop: Header=BB47_3 Depth=1
	s_or_b32 exec_lo, exec_lo, s50
	v_mov_b64_e32 v[32:33], 0
	s_wait_dscnt 0x0
	s_barrier_signal -1
	s_barrier_wait -1
	s_and_saveexec_b32 s50, s0
	s_cbranch_execz .LBB47_115
; %bb.112:                              ;   in Loop: Header=BB47_3 Depth=1
	ds_load_b64 v[32:33], v41 offset:2096
	ds_load_b64 v[34:35], v42 offset:2080
	s_wait_dscnt 0x0
	v_fma_f64 v[32:33], v[32:33], v[34:35], 0
	s_and_saveexec_b32 s51, s15
	s_cbranch_execz .LBB47_114
; %bb.113:                              ;   in Loop: Header=BB47_3 Depth=1
	ds_load_b64 v[34:35], v52 offset:2608
	ds_load_b64 v[36:37], v5 offset:2088
	s_wait_dscnt 0x0
	v_fmac_f64_e32 v[32:33], v[34:35], v[36:37]
.LBB47_114:                             ;   in Loop: Header=BB47_3 Depth=1
	s_or_b32 exec_lo, exec_lo, s51
	s_delay_alu instid0(VALU_DEP_1)
	v_xor_b32_e32 v33, 0x80000000, v33
.LBB47_115:                             ;   in Loop: Header=BB47_3 Depth=1
	s_or_b32 exec_lo, exec_lo, s50
	s_and_saveexec_b32 s50, s94
	s_cbranch_execz .LBB47_117
; %bb.116:                              ;   in Loop: Header=BB47_3 Depth=1
	ds_load_b64 v[34:35], v5 offset:3120
	s_wait_dscnt 0x0
	v_mul_f64_e32 v[32:33], v[32:33], v[34:35]
	ds_store_b64 v3, v[32:33]
.LBB47_117:                             ;   in Loop: Header=BB47_3 Depth=1
	s_or_b32 exec_lo, exec_lo, s50
	s_wait_dscnt 0x0
	s_barrier_signal -1
	s_barrier_wait -1
	s_and_saveexec_b32 s50, s95
	s_cbranch_execz .LBB47_119
; %bb.118:                              ;   in Loop: Header=BB47_3 Depth=1
	ds_load_b64 v[34:35], v5 offset:3128
	ds_load_b64 v[36:37], v3
	s_wait_dscnt 0x0
	v_fmac_f64_e32 v[32:33], v[34:35], v[36:37]
.LBB47_119:                             ;   in Loop: Header=BB47_3 Depth=1
	s_or_b32 exec_lo, exec_lo, s50
	s_barrier_signal -1
	s_barrier_wait -1
	s_and_saveexec_b32 s50, s95
	s_cbranch_execz .LBB47_121
; %bb.120:                              ;   in Loop: Header=BB47_3 Depth=1
	ds_load_b64 v[34:35], v5 offset:3640
	s_wait_dscnt 0x0
	v_mul_f64_e32 v[32:33], v[32:33], v[34:35]
	ds_store_b64 v3, v[32:33]
.LBB47_121:                             ;   in Loop: Header=BB47_3 Depth=1
	s_or_b32 exec_lo, exec_lo, s50
	s_wait_dscnt 0x0
	s_barrier_signal -1
	s_barrier_wait -1
	s_barrier_signal -1
	s_barrier_wait -1
	s_and_saveexec_b32 s50, s0
; %bb.122:                              ;   in Loop: Header=BB47_3 Depth=1
	s_delay_alu instid0(VALU_DEP_1)
	v_xor_b32_e32 v33, 0x80000000, v33
	ds_store_b64 v41, v[32:33] offset:2096
; %bb.123:                              ;   in Loop: Header=BB47_3 Depth=1
	s_or_b32 exec_lo, exec_lo, s50
	s_wait_dscnt 0x0
	s_barrier_signal -1
	s_barrier_wait -1
	s_barrier_signal -1
	s_barrier_wait -1
	s_and_saveexec_b32 s50, s96
	s_cbranch_execz .LBB47_125
; %bb.124:                              ;   in Loop: Header=BB47_3 Depth=1
	ds_load_b64 v[32:33], v55 offset:2096
	s_wait_dscnt 0x0
	ds_store_b64 v52, v[32:33] offset:3104
	ds_load_b64 v[32:33], v55 offset:2104
	s_wait_dscnt 0x0
	ds_store_b64 v52, v[32:33] offset:3616
.LBB47_125:                             ;   in Loop: Header=BB47_3 Depth=1
	s_or_b32 exec_lo, exec_lo, s50
	s_wait_dscnt 0x0
	s_barrier_signal -1
	s_barrier_wait -1
	s_and_saveexec_b32 s50, s14
	s_cbranch_execz .LBB47_127
; %bb.126:                              ;   in Loop: Header=BB47_3 Depth=1
	ds_load_b128 v[32:35], v5 offset:3120
	ds_load_b64 v[36:37], v5 offset:3640
	s_wait_dscnt 0x0
	v_mul_f64_e32 v[32:33], v[32:33], v[36:37]
	s_delay_alu instid0(VALU_DEP_1)
	v_mul_f64_e32 v[32:33], v[34:35], v[32:33]
	v_add_nc_u32_e64 v34, 0x800, 0
	ds_store_2addr_b64 v34, v[32:33], v[32:33] offset0:135 offset1:198
.LBB47_127:                             ;   in Loop: Header=BB47_3 Depth=1
	s_or_b32 exec_lo, exec_lo, s50
	v_mov_b64_e32 v[32:33], 0
	s_wait_dscnt 0x0
	s_barrier_signal -1
	s_barrier_wait -1
	s_and_saveexec_b32 s65, s3
	s_cbranch_execz .LBB47_137
; %bb.128:                              ;   in Loop: Header=BB47_3 Depth=1
	ds_load_b64 v[32:33], v57 offset:64
	ds_load_b64 v[34:35], v53
	s_wait_dscnt 0x0
	v_fma_f64 v[32:33], v[32:33], v[34:35], 0
	s_and_saveexec_b32 s50, s18
	s_cbranch_execnz .LBB47_1101
; %bb.129:                              ;   in Loop: Header=BB47_3 Depth=1
	s_or_b32 exec_lo, exec_lo, s50
	s_and_saveexec_b32 s50, s19
	s_cbranch_execnz .LBB47_1102
.LBB47_130:                             ;   in Loop: Header=BB47_3 Depth=1
	s_or_b32 exec_lo, exec_lo, s50
	s_and_saveexec_b32 s50, s20
	s_cbranch_execnz .LBB47_1103
.LBB47_131:                             ;   in Loop: Header=BB47_3 Depth=1
	s_or_b32 exec_lo, exec_lo, s50
	s_and_saveexec_b32 s50, s21
	s_cbranch_execnz .LBB47_1104
.LBB47_132:                             ;   in Loop: Header=BB47_3 Depth=1
	s_or_b32 exec_lo, exec_lo, s50
	s_and_saveexec_b32 s50, s22
	s_cbranch_execnz .LBB47_1105
.LBB47_133:                             ;   in Loop: Header=BB47_3 Depth=1
	s_or_b32 exec_lo, exec_lo, s50
	s_and_saveexec_b32 s50, s2
	s_cbranch_execnz .LBB47_1106
.LBB47_134:                             ;   in Loop: Header=BB47_3 Depth=1
	s_or_b32 exec_lo, exec_lo, s50
	s_and_saveexec_b32 s50, s17
	s_cbranch_execz .LBB47_136
.LBB47_135:                             ;   in Loop: Header=BB47_3 Depth=1
	ds_load_b64 v[34:35], v59 offset:3648
	ds_load_b64 v[36:37], v5 offset:56
	s_wait_dscnt 0x0
	v_fmac_f64_e32 v[32:33], v[34:35], v[36:37]
.LBB47_136:                             ;   in Loop: Header=BB47_3 Depth=1
	s_or_b32 exec_lo, exec_lo, s50
	s_delay_alu instid0(VALU_DEP_1)
	v_xor_b32_e32 v33, 0x80000000, v33
.LBB47_137:                             ;   in Loop: Header=BB47_3 Depth=1
	s_or_b32 exec_lo, exec_lo, s65
	s_and_saveexec_b32 s50, s104
	s_cbranch_execz .LBB47_139
; %bb.138:                              ;   in Loop: Header=BB47_3 Depth=1
	ds_load_b64 v[34:35], v5 offset:4160
	s_wait_dscnt 0x0
	v_mul_f64_e32 v[32:33], v[32:33], v[34:35]
	ds_store_b64 v56, v[32:33]
.LBB47_139:                             ;   in Loop: Header=BB47_3 Depth=1
	s_or_b32 exec_lo, exec_lo, s50
	s_wait_dscnt 0x0
	s_barrier_signal -1
	s_barrier_wait -1
	s_and_saveexec_b32 s50, vcc_hi
	s_cbranch_execz .LBB47_141
; %bb.140:                              ;   in Loop: Header=BB47_3 Depth=1
	ds_load_b64 v[34:35], v54 offset:4160
	ds_load_b64 v[36:37], v56
	s_wait_dscnt 0x0
	v_fmac_f64_e32 v[32:33], v[34:35], v[36:37]
.LBB47_141:                             ;   in Loop: Header=BB47_3 Depth=1
	s_or_b32 exec_lo, exec_lo, s50
	s_barrier_signal -1
	s_barrier_wait -1
	s_and_saveexec_b32 s50, s36
	s_cbranch_execz .LBB47_143
; %bb.142:                              ;   in Loop: Header=BB47_3 Depth=1
	ds_load_b64 v[34:35], v5 offset:4680
	s_wait_dscnt 0x0
	v_mul_f64_e32 v[32:33], v[32:33], v[34:35]
	ds_store_b64 v56, v[32:33]
.LBB47_143:                             ;   in Loop: Header=BB47_3 Depth=1
	s_or_b32 exec_lo, exec_lo, s50
	s_wait_dscnt 0x0
	s_barrier_signal -1
	s_barrier_wait -1
	s_and_saveexec_b32 s50, s37
	s_cbranch_execz .LBB47_145
; %bb.144:                              ;   in Loop: Header=BB47_3 Depth=1
	ds_load_b64 v[34:35], v54 offset:4672
	ds_load_b64 v[36:37], v56
	s_wait_dscnt 0x0
	v_fmac_f64_e32 v[32:33], v[34:35], v[36:37]
.LBB47_145:                             ;   in Loop: Header=BB47_3 Depth=1
	s_or_b32 exec_lo, exec_lo, s50
	s_barrier_signal -1
	s_barrier_wait -1
	s_and_saveexec_b32 s50, s38
	s_cbranch_execz .LBB47_147
; %bb.146:                              ;   in Loop: Header=BB47_3 Depth=1
	ds_load_b64 v[34:35], v5 offset:5200
	s_wait_dscnt 0x0
	v_mul_f64_e32 v[32:33], v[32:33], v[34:35]
	ds_store_b64 v56, v[32:33]
.LBB47_147:                             ;   in Loop: Header=BB47_3 Depth=1
	s_or_b32 exec_lo, exec_lo, s50
	s_wait_dscnt 0x0
	s_barrier_signal -1
	s_barrier_wait -1
	s_and_saveexec_b32 s50, s39
	;; [unrolled: 23-line block ×6, first 2 shown]
	s_cbranch_execz .LBB47_165
; %bb.164:                              ;   in Loop: Header=BB47_3 Depth=1
	ds_load_b64 v[34:35], v5 offset:7288
	ds_load_b64 v[36:37], v56
	s_wait_dscnt 0x0
	v_fmac_f64_e32 v[32:33], v[34:35], v[36:37]
.LBB47_165:                             ;   in Loop: Header=BB47_3 Depth=1
	s_or_b32 exec_lo, exec_lo, s50
	s_barrier_signal -1
	s_barrier_wait -1
	s_and_saveexec_b32 s50, s47
	s_cbranch_execz .LBB47_167
; %bb.166:                              ;   in Loop: Header=BB47_3 Depth=1
	ds_load_b64 v[34:35], v5 offset:7800
	s_wait_dscnt 0x0
	v_mul_f64_e32 v[32:33], v[32:33], v[34:35]
	ds_store_b64 v56, v[32:33]
.LBB47_167:                             ;   in Loop: Header=BB47_3 Depth=1
	s_or_b32 exec_lo, exec_lo, s50
	s_wait_dscnt 0x0
	s_barrier_signal -1
	s_barrier_wait -1
	s_barrier_signal -1
	s_barrier_wait -1
	s_and_saveexec_b32 s50, s3
; %bb.168:                              ;   in Loop: Header=BB47_3 Depth=1
	s_delay_alu instid0(VALU_DEP_1)
	v_xor_b32_e32 v33, 0x80000000, v33
	ds_store_b64 v57, v[32:33] offset:64
; %bb.169:                              ;   in Loop: Header=BB47_3 Depth=1
	s_or_b32 exec_lo, exec_lo, s50
	s_wait_dscnt 0x0
	s_barrier_signal -1
	s_barrier_wait -1
	s_barrier_signal -1
	s_barrier_wait -1
	s_and_saveexec_b32 s50, s48
	s_cbranch_execz .LBB47_171
; %bb.170:                              ;   in Loop: Header=BB47_3 Depth=1
	ds_load_b64 v[32:33], v68 offset:64
	s_wait_dscnt 0x0
	ds_store_b64 v69, v[32:33] offset:4096
	ds_load_b64 v[32:33], v68 offset:72
	s_wait_dscnt 0x0
	ds_store_b64 v69, v[32:33] offset:4608
	;; [unrolled: 3-line block ×8, first 2 shown]
.LBB47_171:                             ;   in Loop: Header=BB47_3 Depth=1
	s_or_b32 exec_lo, exec_lo, s50
	s_wait_dscnt 0x0
	s_barrier_signal -1
	s_barrier_wait -1
	s_and_saveexec_b32 s50, s14
	s_cbranch_execz .LBB47_173
; %bb.172:                              ;   in Loop: Header=BB47_3 Depth=1
	ds_load_b128 v[32:35], v5 offset:4160
	ds_load_b64 v[36:37], v5 offset:4680
	s_wait_dscnt 0x0
	v_mul_f64_e32 v[32:33], v[32:33], v[36:37]
	s_delay_alu instid0(VALU_DEP_1)
	v_mul_f64_e32 v[32:33], v[34:35], v[32:33]
	v_add_nc_u32_e64 v34, 0x1000, 0
	ds_store_2addr_b64 v34, v[32:33], v[32:33] offset0:9 offset1:72
.LBB47_173:                             ;   in Loop: Header=BB47_3 Depth=1
	s_or_b32 exec_lo, exec_lo, s50
	v_mov_b64_e32 v[32:33], 0
	s_wait_dscnt 0x0
	s_barrier_signal -1
	s_barrier_wait -1
	s_and_saveexec_b32 s50, s0
	s_cbranch_execz .LBB47_177
; %bb.174:                              ;   in Loop: Header=BB47_3 Depth=1
	ds_load_b64 v[32:33], v41 offset:4176
	ds_load_b64 v[34:35], v42 offset:4160
	s_wait_dscnt 0x0
	v_fma_f64 v[32:33], v[32:33], v[34:35], 0
	s_and_saveexec_b32 s51, s15
	s_cbranch_execz .LBB47_176
; %bb.175:                              ;   in Loop: Header=BB47_3 Depth=1
	ds_load_b64 v[34:35], v69 offset:4688
	ds_load_b64 v[36:37], v5 offset:4168
	s_wait_dscnt 0x0
	v_fmac_f64_e32 v[32:33], v[34:35], v[36:37]
.LBB47_176:                             ;   in Loop: Header=BB47_3 Depth=1
	s_or_b32 exec_lo, exec_lo, s51
	s_delay_alu instid0(VALU_DEP_1)
	v_xor_b32_e32 v33, 0x80000000, v33
.LBB47_177:                             ;   in Loop: Header=BB47_3 Depth=1
	s_or_b32 exec_lo, exec_lo, s50
	s_and_saveexec_b32 s50, s94
	s_cbranch_execz .LBB47_179
; %bb.178:                              ;   in Loop: Header=BB47_3 Depth=1
	ds_load_b64 v[34:35], v5 offset:5200
	s_wait_dscnt 0x0
	v_mul_f64_e32 v[32:33], v[32:33], v[34:35]
	ds_store_b64 v3, v[32:33]
.LBB47_179:                             ;   in Loop: Header=BB47_3 Depth=1
	s_or_b32 exec_lo, exec_lo, s50
	s_wait_dscnt 0x0
	s_barrier_signal -1
	s_barrier_wait -1
	s_and_saveexec_b32 s50, s95
	s_cbranch_execz .LBB47_181
; %bb.180:                              ;   in Loop: Header=BB47_3 Depth=1
	ds_load_b64 v[34:35], v5 offset:5208
	ds_load_b64 v[36:37], v3
	s_wait_dscnt 0x0
	v_fmac_f64_e32 v[32:33], v[34:35], v[36:37]
.LBB47_181:                             ;   in Loop: Header=BB47_3 Depth=1
	s_or_b32 exec_lo, exec_lo, s50
	s_barrier_signal -1
	s_barrier_wait -1
	s_and_saveexec_b32 s50, s95
	s_cbranch_execz .LBB47_183
; %bb.182:                              ;   in Loop: Header=BB47_3 Depth=1
	ds_load_b64 v[34:35], v5 offset:5720
	s_wait_dscnt 0x0
	v_mul_f64_e32 v[32:33], v[32:33], v[34:35]
	ds_store_b64 v3, v[32:33]
.LBB47_183:                             ;   in Loop: Header=BB47_3 Depth=1
	s_or_b32 exec_lo, exec_lo, s50
	s_wait_dscnt 0x0
	s_barrier_signal -1
	s_barrier_wait -1
	s_barrier_signal -1
	s_barrier_wait -1
	s_and_saveexec_b32 s50, s0
; %bb.184:                              ;   in Loop: Header=BB47_3 Depth=1
	s_delay_alu instid0(VALU_DEP_1)
	v_xor_b32_e32 v33, 0x80000000, v33
	ds_store_b64 v41, v[32:33] offset:4176
; %bb.185:                              ;   in Loop: Header=BB47_3 Depth=1
	s_or_b32 exec_lo, exec_lo, s50
	s_wait_dscnt 0x0
	s_barrier_signal -1
	s_barrier_wait -1
	s_barrier_signal -1
	s_barrier_wait -1
	s_and_saveexec_b32 s50, s96
	s_cbranch_execz .LBB47_187
; %bb.186:                              ;   in Loop: Header=BB47_3 Depth=1
	ds_load_b64 v[32:33], v70 offset:4176
	s_wait_dscnt 0x0
	ds_store_b64 v69, v[32:33] offset:5184
	ds_load_b64 v[32:33], v70 offset:4184
	s_wait_dscnt 0x0
	ds_store_b64 v69, v[32:33] offset:5696
.LBB47_187:                             ;   in Loop: Header=BB47_3 Depth=1
	s_or_b32 exec_lo, exec_lo, s50
	s_wait_dscnt 0x0
	s_barrier_signal -1
	s_barrier_wait -1
	s_and_saveexec_b32 s50, s14
	s_cbranch_execz .LBB47_189
; %bb.188:                              ;   in Loop: Header=BB47_3 Depth=1
	ds_load_b128 v[32:35], v5 offset:5200
	ds_load_b64 v[36:37], v5 offset:5720
	s_wait_dscnt 0x0
	v_mul_f64_e32 v[32:33], v[32:33], v[36:37]
	s_delay_alu instid0(VALU_DEP_1)
	v_mul_f64_e32 v[32:33], v[34:35], v[32:33]
	v_add_nc_u32_e64 v34, 0x1000, 0
	ds_store_2addr_b64 v34, v[32:33], v[32:33] offset0:139 offset1:202
.LBB47_189:                             ;   in Loop: Header=BB47_3 Depth=1
	s_or_b32 exec_lo, exec_lo, s50
	v_mov_b64_e32 v[32:33], 0
	s_wait_dscnt 0x0
	s_barrier_signal -1
	s_barrier_wait -1
	s_and_saveexec_b32 s65, s2
	s_cbranch_execz .LBB47_195
; %bb.190:                              ;   in Loop: Header=BB47_3 Depth=1
	ds_load_b64 v[32:33], v48 offset:4192
	ds_load_b64 v[34:35], v44 offset:4160
	s_wait_dscnt 0x0
	v_fma_f64 v[32:33], v[32:33], v[34:35], 0
	s_and_saveexec_b32 s50, s16
	s_cbranch_execnz .LBB47_1107
; %bb.191:                              ;   in Loop: Header=BB47_3 Depth=1
	s_or_b32 exec_lo, exec_lo, s50
	s_and_saveexec_b32 s50, s17
	s_cbranch_execnz .LBB47_1108
.LBB47_192:                             ;   in Loop: Header=BB47_3 Depth=1
	s_or_b32 exec_lo, exec_lo, s50
	s_and_saveexec_b32 s50, s0
	s_cbranch_execz .LBB47_194
.LBB47_193:                             ;   in Loop: Header=BB47_3 Depth=1
	ds_load_b64 v[34:35], v71 offset:5728
	ds_load_b64 v[36:37], v5 offset:4184
	s_wait_dscnt 0x0
	v_fmac_f64_e32 v[32:33], v[34:35], v[36:37]
.LBB47_194:                             ;   in Loop: Header=BB47_3 Depth=1
	s_or_b32 exec_lo, exec_lo, s50
	s_delay_alu instid0(VALU_DEP_1)
	v_xor_b32_e32 v33, 0x80000000, v33
.LBB47_195:                             ;   in Loop: Header=BB47_3 Depth=1
	s_or_b32 exec_lo, exec_lo, s65
	s_and_saveexec_b32 s50, s97
	s_cbranch_execz .LBB47_197
; %bb.196:                              ;   in Loop: Header=BB47_3 Depth=1
	ds_load_b64 v[34:35], v5 offset:6240
	s_wait_dscnt 0x0
	v_mul_f64_e32 v[32:33], v[32:33], v[34:35]
	ds_store_b64 v47, v[32:33]
.LBB47_197:                             ;   in Loop: Header=BB47_3 Depth=1
	s_or_b32 exec_lo, exec_lo, s50
	s_wait_dscnt 0x0
	s_barrier_signal -1
	s_barrier_wait -1
	s_and_saveexec_b32 s50, s98
	s_cbranch_execz .LBB47_199
; %bb.198:                              ;   in Loop: Header=BB47_3 Depth=1
	ds_load_b64 v[34:35], v45 offset:6240
	ds_load_b64 v[36:37], v47
	s_wait_dscnt 0x0
	v_fmac_f64_e32 v[32:33], v[34:35], v[36:37]
.LBB47_199:                             ;   in Loop: Header=BB47_3 Depth=1
	s_or_b32 exec_lo, exec_lo, s50
	s_barrier_signal -1
	s_barrier_wait -1
	s_and_saveexec_b32 s50, s99
	s_cbranch_execz .LBB47_201
; %bb.200:                              ;   in Loop: Header=BB47_3 Depth=1
	ds_load_b64 v[34:35], v5 offset:6760
	s_wait_dscnt 0x0
	v_mul_f64_e32 v[32:33], v[32:33], v[34:35]
	ds_store_b64 v47, v[32:33]
.LBB47_201:                             ;   in Loop: Header=BB47_3 Depth=1
	s_or_b32 exec_lo, exec_lo, s50
	s_wait_dscnt 0x0
	s_barrier_signal -1
	s_barrier_wait -1
	s_and_saveexec_b32 s50, s100
	s_cbranch_execz .LBB47_203
; %bb.202:                              ;   in Loop: Header=BB47_3 Depth=1
	ds_load_b64 v[34:35], v45 offset:6752
	ds_load_b64 v[36:37], v47
	s_wait_dscnt 0x0
	v_fmac_f64_e32 v[32:33], v[34:35], v[36:37]
.LBB47_203:                             ;   in Loop: Header=BB47_3 Depth=1
	s_or_b32 exec_lo, exec_lo, s50
	s_barrier_signal -1
	s_barrier_wait -1
	;; [unrolled: 23-line block ×3, first 2 shown]
	s_and_saveexec_b32 s50, s102
	s_cbranch_execz .LBB47_209
; %bb.208:                              ;   in Loop: Header=BB47_3 Depth=1
	ds_load_b64 v[34:35], v5 offset:7800
	s_wait_dscnt 0x0
	v_mul_f64_e32 v[32:33], v[32:33], v[34:35]
	ds_store_b64 v47, v[32:33]
.LBB47_209:                             ;   in Loop: Header=BB47_3 Depth=1
	s_or_b32 exec_lo, exec_lo, s50
	s_wait_dscnt 0x0
	s_barrier_signal -1
	s_barrier_wait -1
	s_barrier_signal -1
	s_barrier_wait -1
	s_and_saveexec_b32 s50, s2
; %bb.210:                              ;   in Loop: Header=BB47_3 Depth=1
	s_delay_alu instid0(VALU_DEP_1)
	v_xor_b32_e32 v33, 0x80000000, v33
	ds_store_b64 v48, v[32:33] offset:4192
; %bb.211:                              ;   in Loop: Header=BB47_3 Depth=1
	s_or_b32 exec_lo, exec_lo, s50
	s_wait_dscnt 0x0
	s_barrier_signal -1
	s_barrier_wait -1
	s_barrier_signal -1
	s_barrier_wait -1
	s_and_saveexec_b32 s50, s103
	s_cbranch_execz .LBB47_213
; %bb.212:                              ;   in Loop: Header=BB47_3 Depth=1
	ds_load_b64 v[32:33], v74 offset:4192
	s_wait_dscnt 0x0
	ds_store_b64 v77, v[32:33] offset:6208
	ds_load_b64 v[32:33], v74 offset:4200
	s_wait_dscnt 0x0
	ds_store_b64 v77, v[32:33] offset:6720
	;; [unrolled: 3-line block ×4, first 2 shown]
.LBB47_213:                             ;   in Loop: Header=BB47_3 Depth=1
	s_or_b32 exec_lo, exec_lo, s50
	s_wait_dscnt 0x0
	s_barrier_signal -1
	s_barrier_wait -1
	s_and_saveexec_b32 s50, s14
	s_cbranch_execz .LBB47_215
; %bb.214:                              ;   in Loop: Header=BB47_3 Depth=1
	ds_load_b128 v[32:35], v5 offset:6240
	ds_load_b64 v[36:37], v5 offset:6760
	s_wait_dscnt 0x0
	v_mul_f64_e32 v[32:33], v[32:33], v[36:37]
	s_delay_alu instid0(VALU_DEP_1)
	v_mul_f64_e32 v[32:33], v[34:35], v[32:33]
	v_add_nc_u32_e64 v34, 0x1800, 0
	ds_store_2addr_b64 v34, v[32:33], v[32:33] offset0:13 offset1:76
.LBB47_215:                             ;   in Loop: Header=BB47_3 Depth=1
	s_or_b32 exec_lo, exec_lo, s50
	v_mov_b64_e32 v[32:33], 0
	s_wait_dscnt 0x0
	s_barrier_signal -1
	s_barrier_wait -1
	s_and_saveexec_b32 s50, s0
	s_cbranch_execz .LBB47_219
; %bb.216:                              ;   in Loop: Header=BB47_3 Depth=1
	ds_load_b64 v[32:33], v41 offset:6256
	ds_load_b64 v[34:35], v42 offset:6240
	s_wait_dscnt 0x0
	v_fma_f64 v[32:33], v[32:33], v[34:35], 0
	s_and_saveexec_b32 s51, s15
	s_cbranch_execz .LBB47_218
; %bb.217:                              ;   in Loop: Header=BB47_3 Depth=1
	ds_load_b64 v[34:35], v77 offset:6768
	ds_load_b64 v[36:37], v5 offset:6248
	s_wait_dscnt 0x0
	v_fmac_f64_e32 v[32:33], v[34:35], v[36:37]
.LBB47_218:                             ;   in Loop: Header=BB47_3 Depth=1
	s_or_b32 exec_lo, exec_lo, s51
	s_delay_alu instid0(VALU_DEP_1)
	v_xor_b32_e32 v33, 0x80000000, v33
.LBB47_219:                             ;   in Loop: Header=BB47_3 Depth=1
	s_or_b32 exec_lo, exec_lo, s50
	s_and_saveexec_b32 s50, s94
	s_cbranch_execz .LBB47_221
; %bb.220:                              ;   in Loop: Header=BB47_3 Depth=1
	ds_load_b64 v[34:35], v5 offset:7280
	s_wait_dscnt 0x0
	v_mul_f64_e32 v[32:33], v[32:33], v[34:35]
	ds_store_b64 v3, v[32:33]
.LBB47_221:                             ;   in Loop: Header=BB47_3 Depth=1
	s_or_b32 exec_lo, exec_lo, s50
	s_wait_dscnt 0x0
	s_barrier_signal -1
	s_barrier_wait -1
	s_and_saveexec_b32 s50, s95
	s_cbranch_execz .LBB47_223
; %bb.222:                              ;   in Loop: Header=BB47_3 Depth=1
	ds_load_b64 v[34:35], v5 offset:7288
	ds_load_b64 v[36:37], v3
	s_wait_dscnt 0x0
	v_fmac_f64_e32 v[32:33], v[34:35], v[36:37]
.LBB47_223:                             ;   in Loop: Header=BB47_3 Depth=1
	s_or_b32 exec_lo, exec_lo, s50
	s_barrier_signal -1
	s_barrier_wait -1
	s_and_saveexec_b32 s50, s95
	s_cbranch_execz .LBB47_225
; %bb.224:                              ;   in Loop: Header=BB47_3 Depth=1
	ds_load_b64 v[34:35], v5 offset:7800
	s_wait_dscnt 0x0
	v_mul_f64_e32 v[32:33], v[32:33], v[34:35]
	ds_store_b64 v3, v[32:33]
.LBB47_225:                             ;   in Loop: Header=BB47_3 Depth=1
	s_or_b32 exec_lo, exec_lo, s50
	s_wait_dscnt 0x0
	s_barrier_signal -1
	s_barrier_wait -1
	s_barrier_signal -1
	s_barrier_wait -1
	s_and_saveexec_b32 s50, s0
; %bb.226:                              ;   in Loop: Header=BB47_3 Depth=1
	s_delay_alu instid0(VALU_DEP_1)
	v_xor_b32_e32 v33, 0x80000000, v33
	ds_store_b64 v41, v[32:33] offset:6256
; %bb.227:                              ;   in Loop: Header=BB47_3 Depth=1
	s_or_b32 exec_lo, exec_lo, s50
	s_wait_dscnt 0x0
	s_barrier_signal -1
	s_barrier_wait -1
	s_barrier_signal -1
	s_barrier_wait -1
	s_and_saveexec_b32 s50, s96
	s_cbranch_execz .LBB47_229
; %bb.228:                              ;   in Loop: Header=BB47_3 Depth=1
	ds_load_b64 v[32:33], v78 offset:6256
	s_wait_dscnt 0x0
	ds_store_b64 v77, v[32:33] offset:7264
	ds_load_b64 v[32:33], v78 offset:6264
	s_wait_dscnt 0x0
	ds_store_b64 v77, v[32:33] offset:7776
.LBB47_229:                             ;   in Loop: Header=BB47_3 Depth=1
	s_or_b32 exec_lo, exec_lo, s50
	s_wait_dscnt 0x0
	s_barrier_signal -1
	s_barrier_wait -1
	s_and_saveexec_b32 s50, s14
	s_cbranch_execz .LBB47_231
; %bb.230:                              ;   in Loop: Header=BB47_3 Depth=1
	ds_load_b128 v[32:35], v5 offset:7280
	ds_load_b64 v[36:37], v5 offset:7800
	s_wait_dscnt 0x0
	v_mul_f64_e32 v[32:33], v[32:33], v[36:37]
	s_delay_alu instid0(VALU_DEP_1)
	v_mul_f64_e32 v[32:33], v[34:35], v[32:33]
	v_add_nc_u32_e64 v34, 0x1800, 0
	ds_store_2addr_b64 v34, v[32:33], v[32:33] offset0:143 offset1:206
.LBB47_231:                             ;   in Loop: Header=BB47_3 Depth=1
	s_or_b32 exec_lo, exec_lo, s50
	v_mov_b64_e32 v[32:33], 0
	s_wait_dscnt 0x0
	s_barrier_signal -1
	s_barrier_wait -1
	s_and_saveexec_b32 s84, s4
	s_cbranch_execz .LBB47_259
; %bb.232:                              ;   in Loop: Header=BB47_3 Depth=1
	ds_load_b64 v[32:33], v63 offset:128
	ds_load_b64 v[34:35], v60
	s_wait_dscnt 0x0
	v_fma_f64 v[32:33], v[32:33], v[34:35], 0
	s_mov_b32 s50, exec_lo
	v_readlane_b32 s51, v98, 29
	s_and_b32 s51, s50, s51
	s_delay_alu instid0(SALU_CYCLE_1)
	s_mov_b32 exec_lo, s51
	s_cbranch_execz .LBB47_234
; %bb.233:                              ;   in Loop: Header=BB47_3 Depth=1
	ds_load_b64 v[34:35], v64 offset:640
	ds_load_b64 v[36:37], v60 offset:8
	s_wait_dscnt 0x0
	v_fmac_f64_e32 v[32:33], v[34:35], v[36:37]
.LBB47_234:                             ;   in Loop: Header=BB47_3 Depth=1
	s_or_b32 exec_lo, exec_lo, s50
	s_delay_alu instid0(SALU_CYCLE_1) | instskip(SKIP_2) | instid1(SALU_CYCLE_1)
	s_mov_b32 s50, exec_lo
	v_readlane_b32 s51, v98, 30
	s_and_b32 s51, s50, s51
	s_mov_b32 exec_lo, s51
	s_cbranch_execz .LBB47_236
; %bb.235:                              ;   in Loop: Header=BB47_3 Depth=1
	ds_load_b64 v[34:35], v64 offset:1152
	ds_load_b64 v[36:37], v60 offset:16
	s_wait_dscnt 0x0
	v_fmac_f64_e32 v[32:33], v[34:35], v[36:37]
.LBB47_236:                             ;   in Loop: Header=BB47_3 Depth=1
	s_or_b32 exec_lo, exec_lo, s50
	s_delay_alu instid0(SALU_CYCLE_1) | instskip(SKIP_2) | instid1(SALU_CYCLE_1)
	s_mov_b32 s50, exec_lo
	v_readlane_b32 s51, v98, 31
	s_and_b32 s51, s50, s51
	s_mov_b32 exec_lo, s51
	s_cbranch_execz .LBB47_238
; %bb.237:                              ;   in Loop: Header=BB47_3 Depth=1
	ds_load_b64 v[34:35], v64 offset:1664
	ds_load_b64 v[36:37], v60 offset:24
	s_wait_dscnt 0x0
	v_fmac_f64_e32 v[32:33], v[34:35], v[36:37]
.LBB47_238:                             ;   in Loop: Header=BB47_3 Depth=1
	s_or_b32 exec_lo, exec_lo, s50
	s_delay_alu instid0(SALU_CYCLE_1) | instskip(SKIP_2) | instid1(SALU_CYCLE_1)
	s_mov_b32 s50, exec_lo
	v_readlane_b32 s51, v97, 0
	s_and_b32 s51, s50, s51
	s_mov_b32 exec_lo, s51
	s_cbranch_execz .LBB47_240
; %bb.239:                              ;   in Loop: Header=BB47_3 Depth=1
	ds_load_b64 v[34:35], v64 offset:2176
	ds_load_b64 v[36:37], v60 offset:32
	s_wait_dscnt 0x0
	v_fmac_f64_e32 v[32:33], v[34:35], v[36:37]
.LBB47_240:                             ;   in Loop: Header=BB47_3 Depth=1
	s_or_b32 exec_lo, exec_lo, s50
	s_delay_alu instid0(SALU_CYCLE_1) | instskip(SKIP_2) | instid1(SALU_CYCLE_1)
	s_mov_b32 s50, exec_lo
	v_readlane_b32 s51, v97, 1
	s_and_b32 s51, s50, s51
	s_mov_b32 exec_lo, s51
	s_cbranch_execz .LBB47_242
; %bb.241:                              ;   in Loop: Header=BB47_3 Depth=1
	ds_load_b64 v[34:35], v64 offset:2688
	ds_load_b64 v[36:37], v60 offset:40
	s_wait_dscnt 0x0
	v_fmac_f64_e32 v[32:33], v[34:35], v[36:37]
.LBB47_242:                             ;   in Loop: Header=BB47_3 Depth=1
	s_or_b32 exec_lo, exec_lo, s50
	s_delay_alu instid0(SALU_CYCLE_1) | instskip(SKIP_2) | instid1(SALU_CYCLE_1)
	s_mov_b32 s50, exec_lo
	v_readlane_b32 s51, v97, 2
	s_and_b32 s51, s50, s51
	s_mov_b32 exec_lo, s51
	s_cbranch_execz .LBB47_244
; %bb.243:                              ;   in Loop: Header=BB47_3 Depth=1
	ds_load_b64 v[34:35], v64 offset:3200
	ds_load_b64 v[36:37], v60 offset:48
	s_wait_dscnt 0x0
	v_fmac_f64_e32 v[32:33], v[34:35], v[36:37]
.LBB47_244:                             ;   in Loop: Header=BB47_3 Depth=1
	s_or_b32 exec_lo, exec_lo, s50
	s_delay_alu instid0(SALU_CYCLE_1) | instskip(SKIP_2) | instid1(SALU_CYCLE_1)
	s_mov_b32 s50, exec_lo
	v_readlane_b32 s51, v97, 3
	s_and_b32 s51, s50, s51
	s_mov_b32 exec_lo, s51
	s_cbranch_execz .LBB47_246
; %bb.245:                              ;   in Loop: Header=BB47_3 Depth=1
	ds_load_b64 v[34:35], v64 offset:3712
	ds_load_b64 v[36:37], v60 offset:56
	s_wait_dscnt 0x0
	v_fmac_f64_e32 v[32:33], v[34:35], v[36:37]
.LBB47_246:                             ;   in Loop: Header=BB47_3 Depth=1
	s_or_b32 exec_lo, exec_lo, s50
	s_delay_alu instid0(SALU_CYCLE_1) | instskip(SKIP_2) | instid1(SALU_CYCLE_1)
	s_mov_b32 s50, exec_lo
	v_readlane_b32 s51, v97, 4
	s_and_b32 s51, s50, s51
	s_mov_b32 exec_lo, s51
	s_cbranch_execz .LBB47_248
; %bb.247:                              ;   in Loop: Header=BB47_3 Depth=1
	ds_load_b64 v[34:35], v63 offset:4224
	ds_load_b64 v[36:37], v60 offset:64
	s_wait_dscnt 0x0
	v_fmac_f64_e32 v[32:33], v[34:35], v[36:37]
.LBB47_248:                             ;   in Loop: Header=BB47_3 Depth=1
	s_or_b32 exec_lo, exec_lo, s50
	s_delay_alu instid0(SALU_CYCLE_1) | instskip(SKIP_2) | instid1(SALU_CYCLE_1)
	s_mov_b32 s50, exec_lo
	v_readlane_b32 s51, v97, 5
	s_and_b32 s51, s50, s51
	s_mov_b32 exec_lo, s51
	s_cbranch_execz .LBB47_250
; %bb.249:                              ;   in Loop: Header=BB47_3 Depth=1
	ds_load_b64 v[34:35], v64 offset:4736
	ds_load_b64 v[36:37], v60 offset:72
	s_wait_dscnt 0x0
	v_fmac_f64_e32 v[32:33], v[34:35], v[36:37]
.LBB47_250:                             ;   in Loop: Header=BB47_3 Depth=1
	s_or_b32 exec_lo, exec_lo, s50
	s_delay_alu instid0(SALU_CYCLE_1) | instskip(SKIP_2) | instid1(SALU_CYCLE_1)
	s_mov_b32 s50, exec_lo
	v_readlane_b32 s51, v97, 6
	s_and_b32 s51, s50, s51
	s_mov_b32 exec_lo, s51
	s_cbranch_execz .LBB47_252
; %bb.251:                              ;   in Loop: Header=BB47_3 Depth=1
	ds_load_b64 v[34:35], v64 offset:5248
	ds_load_b64 v[36:37], v60 offset:80
	s_wait_dscnt 0x0
	v_fmac_f64_e32 v[32:33], v[34:35], v[36:37]
.LBB47_252:                             ;   in Loop: Header=BB47_3 Depth=1
	s_or_b32 exec_lo, exec_lo, s50
	s_delay_alu instid0(SALU_CYCLE_1) | instskip(SKIP_2) | instid1(SALU_CYCLE_1)
	s_mov_b32 s50, exec_lo
	v_readlane_b32 s51, v97, 7
	s_and_b32 s51, s50, s51
	s_mov_b32 exec_lo, s51
	s_cbranch_execnz .LBB47_1109
; %bb.253:                              ;   in Loop: Header=BB47_3 Depth=1
	s_or_b32 exec_lo, exec_lo, s50
	s_and_saveexec_b32 s50, s3
	s_cbranch_execnz .LBB47_1110
.LBB47_254:                             ;   in Loop: Header=BB47_3 Depth=1
	s_or_b32 exec_lo, exec_lo, s50
	s_and_saveexec_b32 s50, s19
	s_cbranch_execnz .LBB47_1111
.LBB47_255:                             ;   in Loop: Header=BB47_3 Depth=1
	s_or_b32 exec_lo, exec_lo, s50
	s_and_saveexec_b32 s50, s21
	s_cbranch_execnz .LBB47_1112
.LBB47_256:                             ;   in Loop: Header=BB47_3 Depth=1
	s_or_b32 exec_lo, exec_lo, s50
	s_and_saveexec_b32 s50, s2
	s_cbranch_execz .LBB47_258
.LBB47_257:                             ;   in Loop: Header=BB47_3 Depth=1
	ds_load_b64 v[34:35], v43 offset:7808
	ds_load_b64 v[36:37], v5 offset:120
	s_wait_dscnt 0x0
	v_fmac_f64_e32 v[32:33], v[34:35], v[36:37]
.LBB47_258:                             ;   in Loop: Header=BB47_3 Depth=1
	s_or_b32 exec_lo, exec_lo, s50
	s_delay_alu instid0(VALU_DEP_1)
	v_xor_b32_e32 v33, 0x80000000, v33
.LBB47_259:                             ;   in Loop: Header=BB47_3 Depth=1
	s_or_b32 exec_lo, exec_lo, s84
	s_delay_alu instid0(SALU_CYCLE_1) | instskip(SKIP_2) | instid1(SALU_CYCLE_1)
	s_mov_b32 s50, exec_lo
	v_readlane_b32 s51, v98, 6
	s_and_b32 s51, s50, s51
	s_mov_b32 exec_lo, s51
	s_cbranch_execz .LBB47_261
; %bb.260:                              ;   in Loop: Header=BB47_3 Depth=1
	ds_load_b64 v[34:35], v5 offset:8320
	s_wait_dscnt 0x0
	v_mul_f64_e32 v[32:33], v[32:33], v[34:35]
	ds_store_b64 v62, v[32:33]
.LBB47_261:                             ;   in Loop: Header=BB47_3 Depth=1
	s_or_b32 exec_lo, exec_lo, s50
	s_wait_dscnt 0x0
	s_barrier_signal -1
	s_barrier_wait -1
	s_mov_b32 s50, exec_lo
	v_readlane_b32 s51, v98, 7
	s_and_b32 s51, s50, s51
	s_delay_alu instid0(SALU_CYCLE_1)
	s_mov_b32 exec_lo, s51
	s_cbranch_execz .LBB47_263
; %bb.262:                              ;   in Loop: Header=BB47_3 Depth=1
	ds_load_b64 v[34:35], v61 offset:8320
	ds_load_b64 v[36:37], v62
	s_wait_dscnt 0x0
	v_fmac_f64_e32 v[32:33], v[34:35], v[36:37]
.LBB47_263:                             ;   in Loop: Header=BB47_3 Depth=1
	s_or_b32 exec_lo, exec_lo, s50
	s_barrier_signal -1
	s_barrier_wait -1
	s_mov_b32 s50, exec_lo
	v_readlane_b32 s51, v98, 8
	s_and_b32 s51, s50, s51
	s_delay_alu instid0(SALU_CYCLE_1)
	s_mov_b32 exec_lo, s51
	s_cbranch_execz .LBB47_265
; %bb.264:                              ;   in Loop: Header=BB47_3 Depth=1
	ds_load_b64 v[34:35], v5 offset:8840
	s_wait_dscnt 0x0
	v_mul_f64_e32 v[32:33], v[32:33], v[34:35]
	ds_store_b64 v62, v[32:33]
.LBB47_265:                             ;   in Loop: Header=BB47_3 Depth=1
	s_or_b32 exec_lo, exec_lo, s50
	s_wait_dscnt 0x0
	s_barrier_signal -1
	s_barrier_wait -1
	s_mov_b32 s50, exec_lo
	v_readlane_b32 s51, v98, 9
	s_and_b32 s51, s50, s51
	s_delay_alu instid0(SALU_CYCLE_1)
	s_mov_b32 exec_lo, s51
	s_cbranch_execz .LBB47_267
; %bb.266:                              ;   in Loop: Header=BB47_3 Depth=1
	ds_load_b64 v[34:35], v61 offset:8832
	ds_load_b64 v[36:37], v62
	s_wait_dscnt 0x0
	v_fmac_f64_e32 v[32:33], v[34:35], v[36:37]
.LBB47_267:                             ;   in Loop: Header=BB47_3 Depth=1
	s_or_b32 exec_lo, exec_lo, s50
	s_barrier_signal -1
	s_barrier_wait -1
	s_mov_b32 s50, exec_lo
	v_readlane_b32 s51, v98, 10
	s_and_b32 s51, s50, s51
	s_delay_alu instid0(SALU_CYCLE_1)
	s_mov_b32 exec_lo, s51
	s_cbranch_execz .LBB47_269
; %bb.268:                              ;   in Loop: Header=BB47_3 Depth=1
	ds_load_b64 v[34:35], v5 offset:9360
	s_wait_dscnt 0x0
	v_mul_f64_e32 v[32:33], v[32:33], v[34:35]
	ds_store_b64 v62, v[32:33]
.LBB47_269:                             ;   in Loop: Header=BB47_3 Depth=1
	s_or_b32 exec_lo, exec_lo, s50
	s_wait_dscnt 0x0
	s_barrier_signal -1
	s_barrier_wait -1
	s_and_saveexec_b32 s50, s54
	s_cbranch_execz .LBB47_271
; %bb.270:                              ;   in Loop: Header=BB47_3 Depth=1
	ds_load_b64 v[34:35], v61 offset:9344
	ds_load_b64 v[36:37], v62
	s_wait_dscnt 0x0
	v_fmac_f64_e32 v[32:33], v[34:35], v[36:37]
.LBB47_271:                             ;   in Loop: Header=BB47_3 Depth=1
	s_or_b32 exec_lo, exec_lo, s50
	s_barrier_signal -1
	s_barrier_wait -1
	s_and_saveexec_b32 s50, s55
	s_cbranch_execz .LBB47_273
; %bb.272:                              ;   in Loop: Header=BB47_3 Depth=1
	ds_load_b64 v[34:35], v5 offset:9880
	s_wait_dscnt 0x0
	v_mul_f64_e32 v[32:33], v[32:33], v[34:35]
	ds_store_b64 v62, v[32:33]
.LBB47_273:                             ;   in Loop: Header=BB47_3 Depth=1
	s_or_b32 exec_lo, exec_lo, s50
	s_wait_dscnt 0x0
	s_barrier_signal -1
	s_barrier_wait -1
	s_and_saveexec_b32 s50, s56
	s_cbranch_execz .LBB47_275
; %bb.274:                              ;   in Loop: Header=BB47_3 Depth=1
	ds_load_b64 v[34:35], v61 offset:9856
	ds_load_b64 v[36:37], v62
	s_wait_dscnt 0x0
	v_fmac_f64_e32 v[32:33], v[34:35], v[36:37]
.LBB47_275:                             ;   in Loop: Header=BB47_3 Depth=1
	s_or_b32 exec_lo, exec_lo, s50
	s_barrier_signal -1
	s_barrier_wait -1
	s_and_saveexec_b32 s50, s57
	;; [unrolled: 23-line block ×13, first 2 shown]
	s_cbranch_execz .LBB47_321
; %bb.320:                              ;   in Loop: Header=BB47_3 Depth=1
	ds_load_b64 v[34:35], v5 offset:16120
	s_wait_dscnt 0x0
	v_mul_f64_e32 v[32:33], v[32:33], v[34:35]
	ds_store_b64 v62, v[32:33]
.LBB47_321:                             ;   in Loop: Header=BB47_3 Depth=1
	s_or_b32 exec_lo, exec_lo, s50
	s_wait_dscnt 0x0
	s_barrier_signal -1
	s_barrier_wait -1
	s_barrier_signal -1
	s_barrier_wait -1
	s_and_saveexec_b32 s50, s4
; %bb.322:                              ;   in Loop: Header=BB47_3 Depth=1
	s_delay_alu instid0(VALU_DEP_1)
	v_xor_b32_e32 v33, 0x80000000, v33
	ds_store_b64 v63, v[32:33] offset:128
; %bb.323:                              ;   in Loop: Header=BB47_3 Depth=1
	s_or_b32 exec_lo, exec_lo, s50
	s_wait_dscnt 0x0
	s_barrier_signal -1
	s_barrier_wait -1
	s_barrier_signal -1
	s_barrier_wait -1
	s_and_saveexec_b32 s50, s73
	s_cbranch_execz .LBB47_325
; %bb.324:                              ;   in Loop: Header=BB47_3 Depth=1
	ds_load_b64 v[32:33], v46 offset:128
	s_wait_dscnt 0x0
	ds_store_b64 v50, v[32:33] offset:8192
	ds_load_b64 v[32:33], v46 offset:136
	s_wait_dscnt 0x0
	ds_store_b64 v50, v[32:33] offset:8704
	;; [unrolled: 3-line block ×16, first 2 shown]
.LBB47_325:                             ;   in Loop: Header=BB47_3 Depth=1
	s_or_b32 exec_lo, exec_lo, s50
	s_wait_dscnt 0x0
	s_barrier_signal -1
	s_barrier_wait -1
	s_and_saveexec_b32 s50, s14
	s_cbranch_execz .LBB47_327
; %bb.326:                              ;   in Loop: Header=BB47_3 Depth=1
	ds_load_b128 v[32:35], v5 offset:8320
	ds_load_b64 v[36:37], v5 offset:8840
	s_wait_dscnt 0x0
	v_mul_f64_e32 v[32:33], v[32:33], v[36:37]
	s_delay_alu instid0(VALU_DEP_1)
	v_mul_f64_e32 v[32:33], v[34:35], v[32:33]
	v_add_nc_u32_e64 v34, 0x2000, 0
	ds_store_2addr_b64 v34, v[32:33], v[32:33] offset0:17 offset1:80
.LBB47_327:                             ;   in Loop: Header=BB47_3 Depth=1
	s_or_b32 exec_lo, exec_lo, s50
	v_mov_b64_e32 v[32:33], 0
	s_wait_dscnt 0x0
	s_barrier_signal -1
	s_barrier_wait -1
	s_and_saveexec_b32 s50, s0
	s_cbranch_execz .LBB47_331
; %bb.328:                              ;   in Loop: Header=BB47_3 Depth=1
	ds_load_b64 v[32:33], v41 offset:8336
	ds_load_b64 v[34:35], v42 offset:8320
	s_wait_dscnt 0x0
	v_fma_f64 v[32:33], v[32:33], v[34:35], 0
	s_and_saveexec_b32 s51, s15
	s_cbranch_execz .LBB47_330
; %bb.329:                              ;   in Loop: Header=BB47_3 Depth=1
	ds_load_b64 v[34:35], v43 offset:8848
	ds_load_b64 v[36:37], v5 offset:8328
	s_wait_dscnt 0x0
	v_fmac_f64_e32 v[32:33], v[34:35], v[36:37]
.LBB47_330:                             ;   in Loop: Header=BB47_3 Depth=1
	s_or_b32 exec_lo, exec_lo, s51
	s_delay_alu instid0(VALU_DEP_1)
	v_xor_b32_e32 v33, 0x80000000, v33
.LBB47_331:                             ;   in Loop: Header=BB47_3 Depth=1
	s_or_b32 exec_lo, exec_lo, s50
	s_and_saveexec_b32 s50, s94
	s_cbranch_execz .LBB47_333
; %bb.332:                              ;   in Loop: Header=BB47_3 Depth=1
	ds_load_b64 v[34:35], v5 offset:9360
	s_wait_dscnt 0x0
	v_mul_f64_e32 v[32:33], v[32:33], v[34:35]
	ds_store_b64 v3, v[32:33]
.LBB47_333:                             ;   in Loop: Header=BB47_3 Depth=1
	s_or_b32 exec_lo, exec_lo, s50
	s_wait_dscnt 0x0
	s_barrier_signal -1
	s_barrier_wait -1
	s_and_saveexec_b32 s50, s95
	s_cbranch_execz .LBB47_335
; %bb.334:                              ;   in Loop: Header=BB47_3 Depth=1
	ds_load_b64 v[34:35], v5 offset:9368
	ds_load_b64 v[36:37], v3
	s_wait_dscnt 0x0
	v_fmac_f64_e32 v[32:33], v[34:35], v[36:37]
.LBB47_335:                             ;   in Loop: Header=BB47_3 Depth=1
	s_or_b32 exec_lo, exec_lo, s50
	s_barrier_signal -1
	s_barrier_wait -1
	s_and_saveexec_b32 s50, s95
	s_cbranch_execz .LBB47_337
; %bb.336:                              ;   in Loop: Header=BB47_3 Depth=1
	ds_load_b64 v[34:35], v5 offset:9880
	s_wait_dscnt 0x0
	v_mul_f64_e32 v[32:33], v[32:33], v[34:35]
	ds_store_b64 v3, v[32:33]
.LBB47_337:                             ;   in Loop: Header=BB47_3 Depth=1
	s_or_b32 exec_lo, exec_lo, s50
	s_wait_dscnt 0x0
	s_barrier_signal -1
	s_barrier_wait -1
	s_barrier_signal -1
	s_barrier_wait -1
	s_and_saveexec_b32 s50, s0
; %bb.338:                              ;   in Loop: Header=BB47_3 Depth=1
	s_delay_alu instid0(VALU_DEP_1)
	v_xor_b32_e32 v33, 0x80000000, v33
	ds_store_b64 v41, v[32:33] offset:8336
; %bb.339:                              ;   in Loop: Header=BB47_3 Depth=1
	s_or_b32 exec_lo, exec_lo, s50
	s_wait_dscnt 0x0
	s_barrier_signal -1
	s_barrier_wait -1
	s_barrier_signal -1
	s_barrier_wait -1
	s_and_saveexec_b32 s50, s96
	s_cbranch_execz .LBB47_341
; %bb.340:                              ;   in Loop: Header=BB47_3 Depth=1
	ds_load_b64 v[32:33], v46 offset:8336
	s_wait_dscnt 0x0
	ds_store_b64 v43, v[32:33] offset:9344
	ds_load_b64 v[32:33], v46 offset:8344
	s_wait_dscnt 0x0
	ds_store_b64 v43, v[32:33] offset:9856
.LBB47_341:                             ;   in Loop: Header=BB47_3 Depth=1
	s_or_b32 exec_lo, exec_lo, s50
	s_wait_dscnt 0x0
	s_barrier_signal -1
	s_barrier_wait -1
	s_and_saveexec_b32 s50, s14
	s_cbranch_execz .LBB47_343
; %bb.342:                              ;   in Loop: Header=BB47_3 Depth=1
	ds_load_b128 v[32:35], v5 offset:9360
	ds_load_b64 v[36:37], v5 offset:9880
	s_wait_dscnt 0x0
	v_mul_f64_e32 v[32:33], v[32:33], v[36:37]
	s_delay_alu instid0(VALU_DEP_1)
	v_mul_f64_e32 v[32:33], v[34:35], v[32:33]
	v_add_nc_u32_e64 v34, 0x2000, 0
	ds_store_2addr_b64 v34, v[32:33], v[32:33] offset0:147 offset1:210
.LBB47_343:                             ;   in Loop: Header=BB47_3 Depth=1
	s_or_b32 exec_lo, exec_lo, s50
	v_mov_b64_e32 v[32:33], 0
	s_wait_dscnt 0x0
	s_barrier_signal -1
	s_barrier_wait -1
	s_and_saveexec_b32 s65, s2
	s_cbranch_execz .LBB47_349
; %bb.344:                              ;   in Loop: Header=BB47_3 Depth=1
	ds_load_b64 v[32:33], v48 offset:8352
	ds_load_b64 v[34:35], v44 offset:8320
	s_wait_dscnt 0x0
	v_fma_f64 v[32:33], v[32:33], v[34:35], 0
	s_and_saveexec_b32 s50, s16
	s_cbranch_execnz .LBB47_1113
; %bb.345:                              ;   in Loop: Header=BB47_3 Depth=1
	s_or_b32 exec_lo, exec_lo, s50
	s_and_saveexec_b32 s50, s17
	s_cbranch_execnz .LBB47_1114
.LBB47_346:                             ;   in Loop: Header=BB47_3 Depth=1
	s_or_b32 exec_lo, exec_lo, s50
	s_and_saveexec_b32 s50, s0
	s_cbranch_execz .LBB47_348
.LBB47_347:                             ;   in Loop: Header=BB47_3 Depth=1
	ds_load_b64 v[34:35], v50 offset:9888
	ds_load_b64 v[36:37], v5 offset:8344
	s_wait_dscnt 0x0
	v_fmac_f64_e32 v[32:33], v[34:35], v[36:37]
.LBB47_348:                             ;   in Loop: Header=BB47_3 Depth=1
	s_or_b32 exec_lo, exec_lo, s50
	s_delay_alu instid0(VALU_DEP_1)
	v_xor_b32_e32 v33, 0x80000000, v33
.LBB47_349:                             ;   in Loop: Header=BB47_3 Depth=1
	s_or_b32 exec_lo, exec_lo, s65
	s_and_saveexec_b32 s50, s97
	s_cbranch_execz .LBB47_351
; %bb.350:                              ;   in Loop: Header=BB47_3 Depth=1
	ds_load_b64 v[34:35], v5 offset:10400
	s_wait_dscnt 0x0
	v_mul_f64_e32 v[32:33], v[32:33], v[34:35]
	ds_store_b64 v47, v[32:33]
.LBB47_351:                             ;   in Loop: Header=BB47_3 Depth=1
	s_or_b32 exec_lo, exec_lo, s50
	s_wait_dscnt 0x0
	s_barrier_signal -1
	s_barrier_wait -1
	s_and_saveexec_b32 s50, s98
	s_cbranch_execz .LBB47_353
; %bb.352:                              ;   in Loop: Header=BB47_3 Depth=1
	ds_load_b64 v[34:35], v45 offset:10400
	ds_load_b64 v[36:37], v47
	s_wait_dscnt 0x0
	v_fmac_f64_e32 v[32:33], v[34:35], v[36:37]
.LBB47_353:                             ;   in Loop: Header=BB47_3 Depth=1
	s_or_b32 exec_lo, exec_lo, s50
	s_barrier_signal -1
	s_barrier_wait -1
	s_and_saveexec_b32 s50, s99
	s_cbranch_execz .LBB47_355
; %bb.354:                              ;   in Loop: Header=BB47_3 Depth=1
	ds_load_b64 v[34:35], v5 offset:10920
	s_wait_dscnt 0x0
	v_mul_f64_e32 v[32:33], v[32:33], v[34:35]
	ds_store_b64 v47, v[32:33]
.LBB47_355:                             ;   in Loop: Header=BB47_3 Depth=1
	s_or_b32 exec_lo, exec_lo, s50
	s_wait_dscnt 0x0
	s_barrier_signal -1
	s_barrier_wait -1
	s_and_saveexec_b32 s50, s100
	s_cbranch_execz .LBB47_357
; %bb.356:                              ;   in Loop: Header=BB47_3 Depth=1
	ds_load_b64 v[34:35], v45 offset:10912
	ds_load_b64 v[36:37], v47
	s_wait_dscnt 0x0
	v_fmac_f64_e32 v[32:33], v[34:35], v[36:37]
.LBB47_357:                             ;   in Loop: Header=BB47_3 Depth=1
	s_or_b32 exec_lo, exec_lo, s50
	s_barrier_signal -1
	s_barrier_wait -1
	;; [unrolled: 23-line block ×3, first 2 shown]
	s_and_saveexec_b32 s50, s102
	s_cbranch_execz .LBB47_363
; %bb.362:                              ;   in Loop: Header=BB47_3 Depth=1
	ds_load_b64 v[34:35], v5 offset:11960
	s_wait_dscnt 0x0
	v_mul_f64_e32 v[32:33], v[32:33], v[34:35]
	ds_store_b64 v47, v[32:33]
.LBB47_363:                             ;   in Loop: Header=BB47_3 Depth=1
	s_or_b32 exec_lo, exec_lo, s50
	s_wait_dscnt 0x0
	s_barrier_signal -1
	s_barrier_wait -1
	s_barrier_signal -1
	s_barrier_wait -1
	s_and_saveexec_b32 s50, s2
; %bb.364:                              ;   in Loop: Header=BB47_3 Depth=1
	s_delay_alu instid0(VALU_DEP_1)
	v_xor_b32_e32 v33, 0x80000000, v33
	ds_store_b64 v48, v[32:33] offset:8352
; %bb.365:                              ;   in Loop: Header=BB47_3 Depth=1
	s_or_b32 exec_lo, exec_lo, s50
	s_wait_dscnt 0x0
	s_barrier_signal -1
	s_barrier_wait -1
	s_barrier_signal -1
	s_barrier_wait -1
	s_and_saveexec_b32 s50, s103
	s_cbranch_execz .LBB47_367
; %bb.366:                              ;   in Loop: Header=BB47_3 Depth=1
	ds_load_b64 v[32:33], v51 offset:8352
	s_wait_dscnt 0x0
	ds_store_b64 v52, v[32:33] offset:10368
	ds_load_b64 v[32:33], v51 offset:8360
	s_wait_dscnt 0x0
	ds_store_b64 v52, v[32:33] offset:10880
	ds_load_b64 v[32:33], v51 offset:8368
	s_wait_dscnt 0x0
	ds_store_b64 v52, v[32:33] offset:11392
	ds_load_b64 v[32:33], v51 offset:8376
	s_wait_dscnt 0x0
	ds_store_b64 v52, v[32:33] offset:11904
.LBB47_367:                             ;   in Loop: Header=BB47_3 Depth=1
	s_or_b32 exec_lo, exec_lo, s50
	s_wait_dscnt 0x0
	s_barrier_signal -1
	s_barrier_wait -1
	s_and_saveexec_b32 s50, s14
	s_cbranch_execz .LBB47_369
; %bb.368:                              ;   in Loop: Header=BB47_3 Depth=1
	ds_load_b128 v[32:35], v5 offset:10400
	ds_load_b64 v[36:37], v5 offset:10920
	s_wait_dscnt 0x0
	v_mul_f64_e32 v[32:33], v[32:33], v[36:37]
	s_delay_alu instid0(VALU_DEP_1)
	v_mul_f64_e32 v[32:33], v[34:35], v[32:33]
	v_add_nc_u32_e64 v34, 0x2800, 0
	ds_store_2addr_b64 v34, v[32:33], v[32:33] offset0:21 offset1:84
.LBB47_369:                             ;   in Loop: Header=BB47_3 Depth=1
	s_or_b32 exec_lo, exec_lo, s50
	v_mov_b64_e32 v[32:33], 0
	s_wait_dscnt 0x0
	s_barrier_signal -1
	s_barrier_wait -1
	s_and_saveexec_b32 s50, s0
	s_cbranch_execz .LBB47_373
; %bb.370:                              ;   in Loop: Header=BB47_3 Depth=1
	ds_load_b64 v[32:33], v41 offset:10416
	ds_load_b64 v[34:35], v42 offset:10400
	s_wait_dscnt 0x0
	v_fma_f64 v[32:33], v[32:33], v[34:35], 0
	s_and_saveexec_b32 s51, s15
	s_cbranch_execz .LBB47_372
; %bb.371:                              ;   in Loop: Header=BB47_3 Depth=1
	ds_load_b64 v[34:35], v52 offset:10928
	ds_load_b64 v[36:37], v5 offset:10408
	s_wait_dscnt 0x0
	v_fmac_f64_e32 v[32:33], v[34:35], v[36:37]
.LBB47_372:                             ;   in Loop: Header=BB47_3 Depth=1
	s_or_b32 exec_lo, exec_lo, s51
	s_delay_alu instid0(VALU_DEP_1)
	v_xor_b32_e32 v33, 0x80000000, v33
.LBB47_373:                             ;   in Loop: Header=BB47_3 Depth=1
	s_or_b32 exec_lo, exec_lo, s50
	s_and_saveexec_b32 s50, s94
	s_cbranch_execz .LBB47_375
; %bb.374:                              ;   in Loop: Header=BB47_3 Depth=1
	ds_load_b64 v[34:35], v5 offset:11440
	s_wait_dscnt 0x0
	v_mul_f64_e32 v[32:33], v[32:33], v[34:35]
	ds_store_b64 v3, v[32:33]
.LBB47_375:                             ;   in Loop: Header=BB47_3 Depth=1
	s_or_b32 exec_lo, exec_lo, s50
	s_wait_dscnt 0x0
	s_barrier_signal -1
	s_barrier_wait -1
	s_and_saveexec_b32 s50, s95
	s_cbranch_execz .LBB47_377
; %bb.376:                              ;   in Loop: Header=BB47_3 Depth=1
	ds_load_b64 v[34:35], v5 offset:11448
	ds_load_b64 v[36:37], v3
	s_wait_dscnt 0x0
	v_fmac_f64_e32 v[32:33], v[34:35], v[36:37]
.LBB47_377:                             ;   in Loop: Header=BB47_3 Depth=1
	s_or_b32 exec_lo, exec_lo, s50
	s_barrier_signal -1
	s_barrier_wait -1
	s_and_saveexec_b32 s50, s95
	s_cbranch_execz .LBB47_379
; %bb.378:                              ;   in Loop: Header=BB47_3 Depth=1
	ds_load_b64 v[34:35], v5 offset:11960
	s_wait_dscnt 0x0
	v_mul_f64_e32 v[32:33], v[32:33], v[34:35]
	ds_store_b64 v3, v[32:33]
.LBB47_379:                             ;   in Loop: Header=BB47_3 Depth=1
	s_or_b32 exec_lo, exec_lo, s50
	s_wait_dscnt 0x0
	s_barrier_signal -1
	s_barrier_wait -1
	s_barrier_signal -1
	s_barrier_wait -1
	s_and_saveexec_b32 s50, s0
; %bb.380:                              ;   in Loop: Header=BB47_3 Depth=1
	s_delay_alu instid0(VALU_DEP_1)
	v_xor_b32_e32 v33, 0x80000000, v33
	ds_store_b64 v41, v[32:33] offset:10416
; %bb.381:                              ;   in Loop: Header=BB47_3 Depth=1
	s_or_b32 exec_lo, exec_lo, s50
	s_wait_dscnt 0x0
	s_barrier_signal -1
	s_barrier_wait -1
	s_barrier_signal -1
	s_barrier_wait -1
	s_and_saveexec_b32 s50, s96
	s_cbranch_execz .LBB47_383
; %bb.382:                              ;   in Loop: Header=BB47_3 Depth=1
	ds_load_b64 v[32:33], v55 offset:10416
	s_wait_dscnt 0x0
	ds_store_b64 v52, v[32:33] offset:11424
	ds_load_b64 v[32:33], v55 offset:10424
	s_wait_dscnt 0x0
	ds_store_b64 v52, v[32:33] offset:11936
.LBB47_383:                             ;   in Loop: Header=BB47_3 Depth=1
	s_or_b32 exec_lo, exec_lo, s50
	s_wait_dscnt 0x0
	s_barrier_signal -1
	s_barrier_wait -1
	s_and_saveexec_b32 s50, s14
	s_cbranch_execz .LBB47_385
; %bb.384:                              ;   in Loop: Header=BB47_3 Depth=1
	ds_load_b128 v[32:35], v5 offset:11440
	ds_load_b64 v[36:37], v5 offset:11960
	s_wait_dscnt 0x0
	v_mul_f64_e32 v[32:33], v[32:33], v[36:37]
	s_delay_alu instid0(VALU_DEP_1)
	v_mul_f64_e32 v[32:33], v[34:35], v[32:33]
	v_add_nc_u32_e64 v34, 0x2800, 0
	ds_store_2addr_b64 v34, v[32:33], v[32:33] offset0:151 offset1:214
.LBB47_385:                             ;   in Loop: Header=BB47_3 Depth=1
	s_or_b32 exec_lo, exec_lo, s50
	v_mov_b64_e32 v[32:33], 0
	s_wait_dscnt 0x0
	s_barrier_signal -1
	s_barrier_wait -1
	s_and_saveexec_b32 s65, s3
	s_cbranch_execz .LBB47_395
; %bb.386:                              ;   in Loop: Header=BB47_3 Depth=1
	ds_load_b64 v[32:33], v57 offset:8384
	ds_load_b64 v[34:35], v53 offset:8320
	s_wait_dscnt 0x0
	v_fma_f64 v[32:33], v[32:33], v[34:35], 0
	s_and_saveexec_b32 s50, s18
	s_cbranch_execnz .LBB47_1115
; %bb.387:                              ;   in Loop: Header=BB47_3 Depth=1
	s_or_b32 exec_lo, exec_lo, s50
	s_and_saveexec_b32 s50, s19
	s_cbranch_execnz .LBB47_1116
.LBB47_388:                             ;   in Loop: Header=BB47_3 Depth=1
	s_or_b32 exec_lo, exec_lo, s50
	s_and_saveexec_b32 s50, s20
	s_cbranch_execnz .LBB47_1117
.LBB47_389:                             ;   in Loop: Header=BB47_3 Depth=1
	s_or_b32 exec_lo, exec_lo, s50
	s_and_saveexec_b32 s50, s21
	s_cbranch_execnz .LBB47_1118
.LBB47_390:                             ;   in Loop: Header=BB47_3 Depth=1
	s_or_b32 exec_lo, exec_lo, s50
	s_and_saveexec_b32 s50, s22
	s_cbranch_execnz .LBB47_1119
.LBB47_391:                             ;   in Loop: Header=BB47_3 Depth=1
	s_or_b32 exec_lo, exec_lo, s50
	s_and_saveexec_b32 s50, s2
	s_cbranch_execnz .LBB47_1120
.LBB47_392:                             ;   in Loop: Header=BB47_3 Depth=1
	s_or_b32 exec_lo, exec_lo, s50
	s_and_saveexec_b32 s50, s17
	s_cbranch_execz .LBB47_394
.LBB47_393:                             ;   in Loop: Header=BB47_3 Depth=1
	ds_load_b64 v[34:35], v59 offset:11968
	ds_load_b64 v[36:37], v5 offset:8376
	s_wait_dscnt 0x0
	v_fmac_f64_e32 v[32:33], v[34:35], v[36:37]
.LBB47_394:                             ;   in Loop: Header=BB47_3 Depth=1
	s_or_b32 exec_lo, exec_lo, s50
	s_delay_alu instid0(VALU_DEP_1)
	v_xor_b32_e32 v33, 0x80000000, v33
.LBB47_395:                             ;   in Loop: Header=BB47_3 Depth=1
	s_or_b32 exec_lo, exec_lo, s65
	s_and_saveexec_b32 s50, s104
	s_cbranch_execz .LBB47_397
; %bb.396:                              ;   in Loop: Header=BB47_3 Depth=1
	ds_load_b64 v[34:35], v5 offset:12480
	s_wait_dscnt 0x0
	v_mul_f64_e32 v[32:33], v[32:33], v[34:35]
	ds_store_b64 v56, v[32:33]
.LBB47_397:                             ;   in Loop: Header=BB47_3 Depth=1
	s_or_b32 exec_lo, exec_lo, s50
	s_wait_dscnt 0x0
	s_barrier_signal -1
	s_barrier_wait -1
	s_and_saveexec_b32 s50, vcc_hi
	s_cbranch_execz .LBB47_399
; %bb.398:                              ;   in Loop: Header=BB47_3 Depth=1
	ds_load_b64 v[34:35], v54 offset:12480
	ds_load_b64 v[36:37], v56
	s_wait_dscnt 0x0
	v_fmac_f64_e32 v[32:33], v[34:35], v[36:37]
.LBB47_399:                             ;   in Loop: Header=BB47_3 Depth=1
	s_or_b32 exec_lo, exec_lo, s50
	s_barrier_signal -1
	s_barrier_wait -1
	s_and_saveexec_b32 s50, s36
	s_cbranch_execz .LBB47_401
; %bb.400:                              ;   in Loop: Header=BB47_3 Depth=1
	ds_load_b64 v[34:35], v5 offset:13000
	s_wait_dscnt 0x0
	v_mul_f64_e32 v[32:33], v[32:33], v[34:35]
	ds_store_b64 v56, v[32:33]
.LBB47_401:                             ;   in Loop: Header=BB47_3 Depth=1
	s_or_b32 exec_lo, exec_lo, s50
	s_wait_dscnt 0x0
	s_barrier_signal -1
	s_barrier_wait -1
	s_and_saveexec_b32 s50, s37
	s_cbranch_execz .LBB47_403
; %bb.402:                              ;   in Loop: Header=BB47_3 Depth=1
	ds_load_b64 v[34:35], v54 offset:12992
	ds_load_b64 v[36:37], v56
	s_wait_dscnt 0x0
	v_fmac_f64_e32 v[32:33], v[34:35], v[36:37]
.LBB47_403:                             ;   in Loop: Header=BB47_3 Depth=1
	s_or_b32 exec_lo, exec_lo, s50
	s_barrier_signal -1
	s_barrier_wait -1
	s_and_saveexec_b32 s50, s38
	s_cbranch_execz .LBB47_405
; %bb.404:                              ;   in Loop: Header=BB47_3 Depth=1
	ds_load_b64 v[34:35], v5 offset:13520
	s_wait_dscnt 0x0
	v_mul_f64_e32 v[32:33], v[32:33], v[34:35]
	ds_store_b64 v56, v[32:33]
.LBB47_405:                             ;   in Loop: Header=BB47_3 Depth=1
	s_or_b32 exec_lo, exec_lo, s50
	s_wait_dscnt 0x0
	s_barrier_signal -1
	s_barrier_wait -1
	s_and_saveexec_b32 s50, s39
	;; [unrolled: 23-line block ×6, first 2 shown]
	s_cbranch_execz .LBB47_423
; %bb.422:                              ;   in Loop: Header=BB47_3 Depth=1
	ds_load_b64 v[34:35], v5 offset:15608
	ds_load_b64 v[36:37], v56
	s_wait_dscnt 0x0
	v_fmac_f64_e32 v[32:33], v[34:35], v[36:37]
.LBB47_423:                             ;   in Loop: Header=BB47_3 Depth=1
	s_or_b32 exec_lo, exec_lo, s50
	s_barrier_signal -1
	s_barrier_wait -1
	s_and_saveexec_b32 s50, s47
	s_cbranch_execz .LBB47_425
; %bb.424:                              ;   in Loop: Header=BB47_3 Depth=1
	ds_load_b64 v[34:35], v5 offset:16120
	s_wait_dscnt 0x0
	v_mul_f64_e32 v[32:33], v[32:33], v[34:35]
	ds_store_b64 v56, v[32:33]
.LBB47_425:                             ;   in Loop: Header=BB47_3 Depth=1
	s_or_b32 exec_lo, exec_lo, s50
	s_wait_dscnt 0x0
	s_barrier_signal -1
	s_barrier_wait -1
	s_barrier_signal -1
	s_barrier_wait -1
	s_and_saveexec_b32 s50, s3
; %bb.426:                              ;   in Loop: Header=BB47_3 Depth=1
	s_delay_alu instid0(VALU_DEP_1)
	v_xor_b32_e32 v33, 0x80000000, v33
	ds_store_b64 v57, v[32:33] offset:8384
; %bb.427:                              ;   in Loop: Header=BB47_3 Depth=1
	s_or_b32 exec_lo, exec_lo, s50
	s_wait_dscnt 0x0
	s_barrier_signal -1
	s_barrier_wait -1
	s_barrier_signal -1
	s_barrier_wait -1
	s_and_saveexec_b32 s50, s48
	s_cbranch_execz .LBB47_429
; %bb.428:                              ;   in Loop: Header=BB47_3 Depth=1
	ds_load_b64 v[32:33], v68 offset:8384
	s_wait_dscnt 0x0
	ds_store_b64 v69, v[32:33] offset:12416
	ds_load_b64 v[32:33], v68 offset:8392
	s_wait_dscnt 0x0
	ds_store_b64 v69, v[32:33] offset:12928
	;; [unrolled: 3-line block ×8, first 2 shown]
.LBB47_429:                             ;   in Loop: Header=BB47_3 Depth=1
	s_or_b32 exec_lo, exec_lo, s50
	s_wait_dscnt 0x0
	s_barrier_signal -1
	s_barrier_wait -1
	s_and_saveexec_b32 s50, s14
	s_cbranch_execz .LBB47_431
; %bb.430:                              ;   in Loop: Header=BB47_3 Depth=1
	ds_load_b128 v[32:35], v5 offset:12480
	ds_load_b64 v[36:37], v5 offset:13000
	s_wait_dscnt 0x0
	v_mul_f64_e32 v[32:33], v[32:33], v[36:37]
	s_delay_alu instid0(VALU_DEP_1)
	v_mul_f64_e32 v[32:33], v[34:35], v[32:33]
	v_add_nc_u32_e64 v34, 0x3000, 0
	ds_store_2addr_b64 v34, v[32:33], v[32:33] offset0:25 offset1:88
.LBB47_431:                             ;   in Loop: Header=BB47_3 Depth=1
	s_or_b32 exec_lo, exec_lo, s50
	v_mov_b64_e32 v[32:33], 0
	s_wait_dscnt 0x0
	s_barrier_signal -1
	s_barrier_wait -1
	s_and_saveexec_b32 s50, s0
	s_cbranch_execz .LBB47_435
; %bb.432:                              ;   in Loop: Header=BB47_3 Depth=1
	ds_load_b64 v[32:33], v41 offset:12496
	ds_load_b64 v[34:35], v42 offset:12480
	s_wait_dscnt 0x0
	v_fma_f64 v[32:33], v[32:33], v[34:35], 0
	s_and_saveexec_b32 s51, s15
	s_cbranch_execz .LBB47_434
; %bb.433:                              ;   in Loop: Header=BB47_3 Depth=1
	ds_load_b64 v[34:35], v69 offset:13008
	ds_load_b64 v[36:37], v5 offset:12488
	s_wait_dscnt 0x0
	v_fmac_f64_e32 v[32:33], v[34:35], v[36:37]
.LBB47_434:                             ;   in Loop: Header=BB47_3 Depth=1
	s_or_b32 exec_lo, exec_lo, s51
	s_delay_alu instid0(VALU_DEP_1)
	v_xor_b32_e32 v33, 0x80000000, v33
.LBB47_435:                             ;   in Loop: Header=BB47_3 Depth=1
	s_or_b32 exec_lo, exec_lo, s50
	s_and_saveexec_b32 s50, s94
	s_cbranch_execz .LBB47_437
; %bb.436:                              ;   in Loop: Header=BB47_3 Depth=1
	ds_load_b64 v[34:35], v5 offset:13520
	s_wait_dscnt 0x0
	v_mul_f64_e32 v[32:33], v[32:33], v[34:35]
	ds_store_b64 v3, v[32:33]
.LBB47_437:                             ;   in Loop: Header=BB47_3 Depth=1
	s_or_b32 exec_lo, exec_lo, s50
	s_wait_dscnt 0x0
	s_barrier_signal -1
	s_barrier_wait -1
	s_and_saveexec_b32 s50, s95
	s_cbranch_execz .LBB47_439
; %bb.438:                              ;   in Loop: Header=BB47_3 Depth=1
	ds_load_b64 v[34:35], v5 offset:13528
	ds_load_b64 v[36:37], v3
	s_wait_dscnt 0x0
	v_fmac_f64_e32 v[32:33], v[34:35], v[36:37]
.LBB47_439:                             ;   in Loop: Header=BB47_3 Depth=1
	s_or_b32 exec_lo, exec_lo, s50
	s_barrier_signal -1
	s_barrier_wait -1
	s_and_saveexec_b32 s50, s95
	s_cbranch_execz .LBB47_441
; %bb.440:                              ;   in Loop: Header=BB47_3 Depth=1
	ds_load_b64 v[34:35], v5 offset:14040
	s_wait_dscnt 0x0
	v_mul_f64_e32 v[32:33], v[32:33], v[34:35]
	ds_store_b64 v3, v[32:33]
.LBB47_441:                             ;   in Loop: Header=BB47_3 Depth=1
	s_or_b32 exec_lo, exec_lo, s50
	s_wait_dscnt 0x0
	s_barrier_signal -1
	s_barrier_wait -1
	s_barrier_signal -1
	s_barrier_wait -1
	s_and_saveexec_b32 s50, s0
; %bb.442:                              ;   in Loop: Header=BB47_3 Depth=1
	s_delay_alu instid0(VALU_DEP_1)
	v_xor_b32_e32 v33, 0x80000000, v33
	ds_store_b64 v41, v[32:33] offset:12496
; %bb.443:                              ;   in Loop: Header=BB47_3 Depth=1
	s_or_b32 exec_lo, exec_lo, s50
	s_wait_dscnt 0x0
	s_barrier_signal -1
	s_barrier_wait -1
	s_barrier_signal -1
	s_barrier_wait -1
	s_and_saveexec_b32 s50, s96
	s_cbranch_execz .LBB47_445
; %bb.444:                              ;   in Loop: Header=BB47_3 Depth=1
	ds_load_b64 v[32:33], v70 offset:12496
	s_wait_dscnt 0x0
	ds_store_b64 v69, v[32:33] offset:13504
	ds_load_b64 v[32:33], v70 offset:12504
	s_wait_dscnt 0x0
	ds_store_b64 v69, v[32:33] offset:14016
.LBB47_445:                             ;   in Loop: Header=BB47_3 Depth=1
	s_or_b32 exec_lo, exec_lo, s50
	s_wait_dscnt 0x0
	s_barrier_signal -1
	s_barrier_wait -1
	s_and_saveexec_b32 s50, s14
	s_cbranch_execz .LBB47_447
; %bb.446:                              ;   in Loop: Header=BB47_3 Depth=1
	ds_load_b128 v[32:35], v5 offset:13520
	ds_load_b64 v[36:37], v5 offset:14040
	s_wait_dscnt 0x0
	v_mul_f64_e32 v[32:33], v[32:33], v[36:37]
	s_delay_alu instid0(VALU_DEP_1)
	v_mul_f64_e32 v[32:33], v[34:35], v[32:33]
	v_add_nc_u32_e64 v34, 0x3000, 0
	ds_store_2addr_b64 v34, v[32:33], v[32:33] offset0:155 offset1:218
.LBB47_447:                             ;   in Loop: Header=BB47_3 Depth=1
	s_or_b32 exec_lo, exec_lo, s50
	v_mov_b64_e32 v[32:33], 0
	s_wait_dscnt 0x0
	s_barrier_signal -1
	s_barrier_wait -1
	s_and_saveexec_b32 s65, s2
	s_cbranch_execz .LBB47_453
; %bb.448:                              ;   in Loop: Header=BB47_3 Depth=1
	ds_load_b64 v[32:33], v48 offset:12512
	ds_load_b64 v[34:35], v44 offset:12480
	s_wait_dscnt 0x0
	v_fma_f64 v[32:33], v[32:33], v[34:35], 0
	s_and_saveexec_b32 s50, s16
	s_cbranch_execnz .LBB47_1121
; %bb.449:                              ;   in Loop: Header=BB47_3 Depth=1
	s_or_b32 exec_lo, exec_lo, s50
	s_and_saveexec_b32 s50, s17
	s_cbranch_execnz .LBB47_1122
.LBB47_450:                             ;   in Loop: Header=BB47_3 Depth=1
	s_or_b32 exec_lo, exec_lo, s50
	s_and_saveexec_b32 s50, s0
	s_cbranch_execz .LBB47_452
.LBB47_451:                             ;   in Loop: Header=BB47_3 Depth=1
	ds_load_b64 v[34:35], v71 offset:14048
	ds_load_b64 v[36:37], v5 offset:12504
	s_wait_dscnt 0x0
	v_fmac_f64_e32 v[32:33], v[34:35], v[36:37]
.LBB47_452:                             ;   in Loop: Header=BB47_3 Depth=1
	s_or_b32 exec_lo, exec_lo, s50
	s_delay_alu instid0(VALU_DEP_1)
	v_xor_b32_e32 v33, 0x80000000, v33
.LBB47_453:                             ;   in Loop: Header=BB47_3 Depth=1
	s_or_b32 exec_lo, exec_lo, s65
	s_and_saveexec_b32 s50, s97
	s_cbranch_execz .LBB47_455
; %bb.454:                              ;   in Loop: Header=BB47_3 Depth=1
	ds_load_b64 v[34:35], v5 offset:14560
	s_wait_dscnt 0x0
	v_mul_f64_e32 v[32:33], v[32:33], v[34:35]
	ds_store_b64 v47, v[32:33]
.LBB47_455:                             ;   in Loop: Header=BB47_3 Depth=1
	s_or_b32 exec_lo, exec_lo, s50
	s_wait_dscnt 0x0
	s_barrier_signal -1
	s_barrier_wait -1
	s_and_saveexec_b32 s50, s98
	s_cbranch_execz .LBB47_457
; %bb.456:                              ;   in Loop: Header=BB47_3 Depth=1
	ds_load_b64 v[34:35], v45 offset:14560
	ds_load_b64 v[36:37], v47
	s_wait_dscnt 0x0
	v_fmac_f64_e32 v[32:33], v[34:35], v[36:37]
.LBB47_457:                             ;   in Loop: Header=BB47_3 Depth=1
	s_or_b32 exec_lo, exec_lo, s50
	s_barrier_signal -1
	s_barrier_wait -1
	s_and_saveexec_b32 s50, s99
	s_cbranch_execz .LBB47_459
; %bb.458:                              ;   in Loop: Header=BB47_3 Depth=1
	ds_load_b64 v[34:35], v5 offset:15080
	s_wait_dscnt 0x0
	v_mul_f64_e32 v[32:33], v[32:33], v[34:35]
	ds_store_b64 v47, v[32:33]
.LBB47_459:                             ;   in Loop: Header=BB47_3 Depth=1
	s_or_b32 exec_lo, exec_lo, s50
	s_wait_dscnt 0x0
	s_barrier_signal -1
	s_barrier_wait -1
	s_and_saveexec_b32 s50, s100
	s_cbranch_execz .LBB47_461
; %bb.460:                              ;   in Loop: Header=BB47_3 Depth=1
	ds_load_b64 v[34:35], v45 offset:15072
	ds_load_b64 v[36:37], v47
	s_wait_dscnt 0x0
	v_fmac_f64_e32 v[32:33], v[34:35], v[36:37]
.LBB47_461:                             ;   in Loop: Header=BB47_3 Depth=1
	s_or_b32 exec_lo, exec_lo, s50
	s_barrier_signal -1
	s_barrier_wait -1
	s_and_saveexec_b32 s50, s101
	s_cbranch_execz .LBB47_463
; %bb.462:                              ;   in Loop: Header=BB47_3 Depth=1
	ds_load_b64 v[34:35], v5 offset:15600
	s_wait_dscnt 0x0
	v_mul_f64_e32 v[32:33], v[32:33], v[34:35]
	ds_store_b64 v47, v[32:33]
.LBB47_463:                             ;   in Loop: Header=BB47_3 Depth=1
	s_or_b32 exec_lo, exec_lo, s50
	s_wait_dscnt 0x0
	s_barrier_signal -1
	s_barrier_wait -1
	s_and_saveexec_b32 s50, s102
	s_cbranch_execz .LBB47_465
; %bb.464:                              ;   in Loop: Header=BB47_3 Depth=1
	ds_load_b64 v[34:35], v5 offset:15608
	ds_load_b64 v[36:37], v47
	s_wait_dscnt 0x0
	v_fmac_f64_e32 v[32:33], v[34:35], v[36:37]
.LBB47_465:                             ;   in Loop: Header=BB47_3 Depth=1
	s_or_b32 exec_lo, exec_lo, s50
	s_barrier_signal -1
	s_barrier_wait -1
	s_and_saveexec_b32 s50, s102
	s_cbranch_execz .LBB47_467
; %bb.466:                              ;   in Loop: Header=BB47_3 Depth=1
	ds_load_b64 v[34:35], v5 offset:16120
	s_wait_dscnt 0x0
	v_mul_f64_e32 v[32:33], v[32:33], v[34:35]
	ds_store_b64 v47, v[32:33]
.LBB47_467:                             ;   in Loop: Header=BB47_3 Depth=1
	s_or_b32 exec_lo, exec_lo, s50
	s_wait_dscnt 0x0
	s_barrier_signal -1
	s_barrier_wait -1
	s_barrier_signal -1
	s_barrier_wait -1
	s_and_saveexec_b32 s50, s2
; %bb.468:                              ;   in Loop: Header=BB47_3 Depth=1
	s_delay_alu instid0(VALU_DEP_1)
	v_xor_b32_e32 v33, 0x80000000, v33
	ds_store_b64 v48, v[32:33] offset:12512
; %bb.469:                              ;   in Loop: Header=BB47_3 Depth=1
	s_or_b32 exec_lo, exec_lo, s50
	s_wait_dscnt 0x0
	s_barrier_signal -1
	s_barrier_wait -1
	s_barrier_signal -1
	s_barrier_wait -1
	s_and_saveexec_b32 s50, s103
	s_cbranch_execz .LBB47_471
; %bb.470:                              ;   in Loop: Header=BB47_3 Depth=1
	ds_load_b64 v[32:33], v74 offset:12512
	s_wait_dscnt 0x0
	ds_store_b64 v77, v[32:33] offset:14528
	ds_load_b64 v[32:33], v74 offset:12520
	s_wait_dscnt 0x0
	ds_store_b64 v77, v[32:33] offset:15040
	;; [unrolled: 3-line block ×4, first 2 shown]
.LBB47_471:                             ;   in Loop: Header=BB47_3 Depth=1
	s_or_b32 exec_lo, exec_lo, s50
	s_wait_dscnt 0x0
	s_barrier_signal -1
	s_barrier_wait -1
	s_and_saveexec_b32 s50, s14
	s_cbranch_execz .LBB47_473
; %bb.472:                              ;   in Loop: Header=BB47_3 Depth=1
	ds_load_b128 v[32:35], v5 offset:14560
	ds_load_b64 v[36:37], v5 offset:15080
	s_wait_dscnt 0x0
	v_mul_f64_e32 v[32:33], v[32:33], v[36:37]
	s_delay_alu instid0(VALU_DEP_1)
	v_mul_f64_e32 v[32:33], v[34:35], v[32:33]
	v_add_nc_u32_e64 v34, 0x3800, 0
	ds_store_2addr_b64 v34, v[32:33], v[32:33] offset0:29 offset1:92
.LBB47_473:                             ;   in Loop: Header=BB47_3 Depth=1
	s_or_b32 exec_lo, exec_lo, s50
	v_mov_b64_e32 v[32:33], 0
	s_wait_dscnt 0x0
	s_barrier_signal -1
	s_barrier_wait -1
	s_and_saveexec_b32 s50, s0
	s_cbranch_execz .LBB47_477
; %bb.474:                              ;   in Loop: Header=BB47_3 Depth=1
	ds_load_b64 v[32:33], v41 offset:14576
	ds_load_b64 v[34:35], v42 offset:14560
	s_wait_dscnt 0x0
	v_fma_f64 v[32:33], v[32:33], v[34:35], 0
	s_and_saveexec_b32 s51, s15
	s_cbranch_execz .LBB47_476
; %bb.475:                              ;   in Loop: Header=BB47_3 Depth=1
	ds_load_b64 v[34:35], v77 offset:15088
	ds_load_b64 v[36:37], v5 offset:14568
	s_wait_dscnt 0x0
	v_fmac_f64_e32 v[32:33], v[34:35], v[36:37]
.LBB47_476:                             ;   in Loop: Header=BB47_3 Depth=1
	s_or_b32 exec_lo, exec_lo, s51
	s_delay_alu instid0(VALU_DEP_1)
	v_xor_b32_e32 v33, 0x80000000, v33
.LBB47_477:                             ;   in Loop: Header=BB47_3 Depth=1
	s_or_b32 exec_lo, exec_lo, s50
	s_and_saveexec_b32 s50, s94
	s_cbranch_execz .LBB47_479
; %bb.478:                              ;   in Loop: Header=BB47_3 Depth=1
	ds_load_b64 v[34:35], v5 offset:15600
	s_wait_dscnt 0x0
	v_mul_f64_e32 v[32:33], v[32:33], v[34:35]
	ds_store_b64 v3, v[32:33]
.LBB47_479:                             ;   in Loop: Header=BB47_3 Depth=1
	s_or_b32 exec_lo, exec_lo, s50
	s_wait_dscnt 0x0
	s_barrier_signal -1
	s_barrier_wait -1
	s_and_saveexec_b32 s50, s95
	s_cbranch_execz .LBB47_481
; %bb.480:                              ;   in Loop: Header=BB47_3 Depth=1
	ds_load_b64 v[34:35], v5 offset:15608
	ds_load_b64 v[36:37], v3
	s_wait_dscnt 0x0
	v_fmac_f64_e32 v[32:33], v[34:35], v[36:37]
.LBB47_481:                             ;   in Loop: Header=BB47_3 Depth=1
	s_or_b32 exec_lo, exec_lo, s50
	s_barrier_signal -1
	s_barrier_wait -1
	s_and_saveexec_b32 s50, s95
	s_cbranch_execz .LBB47_483
; %bb.482:                              ;   in Loop: Header=BB47_3 Depth=1
	ds_load_b64 v[34:35], v5 offset:16120
	s_wait_dscnt 0x0
	v_mul_f64_e32 v[32:33], v[32:33], v[34:35]
	ds_store_b64 v3, v[32:33]
.LBB47_483:                             ;   in Loop: Header=BB47_3 Depth=1
	s_or_b32 exec_lo, exec_lo, s50
	s_wait_dscnt 0x0
	s_barrier_signal -1
	s_barrier_wait -1
	s_barrier_signal -1
	s_barrier_wait -1
	s_and_saveexec_b32 s50, s0
; %bb.484:                              ;   in Loop: Header=BB47_3 Depth=1
	s_delay_alu instid0(VALU_DEP_1)
	v_xor_b32_e32 v33, 0x80000000, v33
	ds_store_b64 v41, v[32:33] offset:14576
; %bb.485:                              ;   in Loop: Header=BB47_3 Depth=1
	s_or_b32 exec_lo, exec_lo, s50
	s_wait_dscnt 0x0
	s_barrier_signal -1
	s_barrier_wait -1
	s_barrier_signal -1
	s_barrier_wait -1
	s_and_saveexec_b32 s50, s96
	s_cbranch_execz .LBB47_487
; %bb.486:                              ;   in Loop: Header=BB47_3 Depth=1
	ds_load_b64 v[32:33], v78 offset:14576
	s_wait_dscnt 0x0
	ds_store_b64 v77, v[32:33] offset:15584
	ds_load_b64 v[32:33], v78 offset:14584
	s_wait_dscnt 0x0
	ds_store_b64 v77, v[32:33] offset:16096
.LBB47_487:                             ;   in Loop: Header=BB47_3 Depth=1
	s_or_b32 exec_lo, exec_lo, s50
	s_wait_dscnt 0x0
	s_barrier_signal -1
	s_barrier_wait -1
	s_and_saveexec_b32 s50, s14
	s_cbranch_execz .LBB47_489
; %bb.488:                              ;   in Loop: Header=BB47_3 Depth=1
	ds_load_b128 v[32:35], v5 offset:15600
	ds_load_b64 v[36:37], v5 offset:16120
	s_wait_dscnt 0x0
	v_mul_f64_e32 v[32:33], v[32:33], v[36:37]
	s_delay_alu instid0(VALU_DEP_1)
	v_mul_f64_e32 v[32:33], v[34:35], v[32:33]
	v_add_nc_u32_e64 v34, 0x3800, 0
	ds_store_2addr_b64 v34, v[32:33], v[32:33] offset0:159 offset1:222
.LBB47_489:                             ;   in Loop: Header=BB47_3 Depth=1
	s_or_b32 exec_lo, exec_lo, s50
	v_mov_b64_e32 v[32:33], 0
	s_wait_dscnt 0x0
	s_barrier_signal -1
	s_barrier_wait -1
	s_and_saveexec_b32 s84, s35
	s_cbranch_execz .LBB47_551
; %bb.490:                              ;   in Loop: Header=BB47_3 Depth=1
	v_add_nc_u32_e32 v34, v67, v66
	ds_load_b64 v[32:33], v83 offset:256
	ds_load_b64 v[36:37], v34
	s_wait_dscnt 0x0
	v_fma_f64 v[32:33], v[32:33], v[36:37], 0
	s_mov_b32 s50, exec_lo
	v_readlane_b32 s51, v97, 8
	s_and_b32 s51, s50, s51
	s_delay_alu instid0(SALU_CYCLE_1)
	s_mov_b32 exec_lo, s51
	s_cbranch_execz .LBB47_492
; %bb.491:                              ;   in Loop: Header=BB47_3 Depth=1
	ds_load_b64 v[36:37], v83 offset:768
	ds_load_b64 v[38:39], v34 offset:8
	s_wait_dscnt 0x0
	v_fmac_f64_e32 v[32:33], v[36:37], v[38:39]
.LBB47_492:                             ;   in Loop: Header=BB47_3 Depth=1
	s_or_b32 exec_lo, exec_lo, s50
	s_delay_alu instid0(SALU_CYCLE_1) | instskip(SKIP_2) | instid1(SALU_CYCLE_1)
	s_mov_b32 s50, exec_lo
	v_readlane_b32 s51, v97, 9
	s_and_b32 s51, s50, s51
	s_mov_b32 exec_lo, s51
	s_cbranch_execz .LBB47_494
; %bb.493:                              ;   in Loop: Header=BB47_3 Depth=1
	ds_load_b64 v[36:37], v83 offset:1280
	ds_load_b64 v[38:39], v34 offset:16
	s_wait_dscnt 0x0
	v_fmac_f64_e32 v[32:33], v[36:37], v[38:39]
.LBB47_494:                             ;   in Loop: Header=BB47_3 Depth=1
	s_or_b32 exec_lo, exec_lo, s50
	s_delay_alu instid0(SALU_CYCLE_1) | instskip(SKIP_2) | instid1(SALU_CYCLE_1)
	s_mov_b32 s50, exec_lo
	v_readlane_b32 s51, v97, 10
	s_and_b32 s51, s50, s51
	;; [unrolled: 13-line block ×22, first 2 shown]
	s_mov_b32 exec_lo, s51
	s_cbranch_execz .LBB47_536
; %bb.535:                              ;   in Loop: Header=BB47_3 Depth=1
	ds_load_b64 v[36:37], v83 offset:12032
	ds_load_b64 v[38:39], v34 offset:184
	s_wait_dscnt 0x0
	v_fmac_f64_e32 v[32:33], v[36:37], v[38:39]
.LBB47_536:                             ;   in Loop: Header=BB47_3 Depth=1
	s_or_b32 exec_lo, exec_lo, s50
	s_and_saveexec_b32 s50, s4
	s_cbranch_execz .LBB47_538
; %bb.537:                              ;   in Loop: Header=BB47_3 Depth=1
	ds_load_b64 v[36:37], v83 offset:12544
	ds_load_b64 v[38:39], v34 offset:192
	s_wait_dscnt 0x0
	v_fmac_f64_e32 v[32:33], v[36:37], v[38:39]
.LBB47_538:                             ;   in Loop: Header=BB47_3 Depth=1
	s_or_b32 exec_lo, exec_lo, s50
	s_delay_alu instid0(SALU_CYCLE_1) | instskip(SKIP_2) | instid1(SALU_CYCLE_1)
	s_mov_b32 s50, exec_lo
	v_readlane_b32 s51, v98, 30
	s_and_b32 s51, s50, s51
	s_mov_b32 exec_lo, s51
	s_cbranch_execz .LBB47_540
; %bb.539:                              ;   in Loop: Header=BB47_3 Depth=1
	ds_load_b64 v[36:37], v83 offset:13056
	ds_load_b64 v[38:39], v34 offset:200
	s_wait_dscnt 0x0
	v_fmac_f64_e32 v[32:33], v[36:37], v[38:39]
.LBB47_540:                             ;   in Loop: Header=BB47_3 Depth=1
	s_or_b32 exec_lo, exec_lo, s50
	s_delay_alu instid0(SALU_CYCLE_1) | instskip(SKIP_2) | instid1(SALU_CYCLE_1)
	s_mov_b32 s50, exec_lo
	v_readlane_b32 s51, v97, 0
	s_and_b32 s51, s50, s51
	s_mov_b32 exec_lo, s51
	;; [unrolled: 13-line block ×5, first 2 shown]
	s_cbranch_execnz .LBB47_1123
; %bb.547:                              ;   in Loop: Header=BB47_3 Depth=1
	s_or_b32 exec_lo, exec_lo, s50
	s_and_saveexec_b32 s50, s3
	s_cbranch_execnz .LBB47_1124
.LBB47_548:                             ;   in Loop: Header=BB47_3 Depth=1
	s_or_b32 exec_lo, exec_lo, s50
	s_and_saveexec_b32 s50, s21
	s_cbranch_execz .LBB47_550
.LBB47_549:                             ;   in Loop: Header=BB47_3 Depth=1
	ds_load_b64 v[34:35], v43 offset:16128
	ds_load_b64 v[36:37], v5 offset:248
	s_wait_dscnt 0x0
	v_fmac_f64_e32 v[32:33], v[34:35], v[36:37]
.LBB47_550:                             ;   in Loop: Header=BB47_3 Depth=1
	s_or_b32 exec_lo, exec_lo, s50
	s_delay_alu instid0(VALU_DEP_1)
	v_xor_b32_e32 v33, 0x80000000, v33
.LBB47_551:                             ;   in Loop: Header=BB47_3 Depth=1
	s_or_b32 exec_lo, exec_lo, s84
	v_dual_mov_b32 v34, v65 :: v_dual_mov_b32 v35, v87
	s_mov_b32 s65, 0
	s_branch .LBB47_553
.LBB47_552:                             ;   in Loop: Header=BB47_553 Depth=2
	s_or_b32 exec_lo, exec_lo, s50
	v_add_nc_u32_e32 v35, 0x800, v35
	v_add_nc_u32_e32 v34, -4, v34
	s_add_co_i32 s65, s65, 4
	s_delay_alu instid0(SALU_CYCLE_1)
	s_cmp_eq_u32 s65, 32
	s_barrier_signal -1
	s_barrier_wait -1
	s_cbranch_scc1 .LBB47_569
.LBB47_553:                             ;   Parent Loop BB47_3 Depth=1
                                        ; =>  This Inner Loop Header: Depth=2
	s_delay_alu instid0(VALU_DEP_1) | instskip(SKIP_1) | instid1(SALU_CYCLE_1)
	v_cmp_eq_u32_e32 vcc_lo, 0, v34
	s_and_b32 s51, s64, vcc_lo
	s_and_saveexec_b32 s50, s51
	s_cbranch_execz .LBB47_555
; %bb.554:                              ;   in Loop: Header=BB47_553 Depth=2
	ds_load_b64 v[36:37], v81 offset:16640
	s_wait_dscnt 0x0
	v_mul_f64_e32 v[32:33], v[32:33], v[36:37]
	ds_store_b64 v82, v[32:33]
.LBB47_555:                             ;   in Loop: Header=BB47_553 Depth=2
	s_or_b32 exec_lo, exec_lo, s50
	v_cmp_lt_u32_e32 vcc_lo, s65, v65
	s_wait_dscnt 0x0
	s_barrier_signal -1
	s_barrier_wait -1
	s_and_b32 s51, s64, vcc_lo
	s_delay_alu instid0(SALU_CYCLE_1)
	s_and_saveexec_b32 s50, s51
	s_cbranch_execz .LBB47_557
; %bb.556:                              ;   in Loop: Header=BB47_553 Depth=2
	ds_load_b64 v[36:37], v35
	ds_load_b64 v[38:39], v82
	s_wait_dscnt 0x0
	v_fmac_f64_e32 v[32:33], v[36:37], v[38:39]
.LBB47_557:                             ;   in Loop: Header=BB47_553 Depth=2
	s_or_b32 exec_lo, exec_lo, s50
	s_or_b32 s50, s65, 1
	s_delay_alu instid0(SALU_CYCLE_1) | instskip(SKIP_3) | instid1(SALU_CYCLE_1)
	v_cmp_eq_u32_e32 vcc_lo, s50, v65
	s_barrier_signal -1
	s_barrier_wait -1
	s_and_b32 s52, s64, vcc_lo
	s_and_saveexec_b32 s51, s52
	s_cbranch_execz .LBB47_559
; %bb.558:                              ;   in Loop: Header=BB47_553 Depth=2
	ds_load_b64 v[36:37], v81 offset:16640
	s_wait_dscnt 0x0
	v_mul_f64_e32 v[32:33], v[32:33], v[36:37]
	ds_store_b64 v82, v[32:33]
.LBB47_559:                             ;   in Loop: Header=BB47_553 Depth=2
	s_or_b32 exec_lo, exec_lo, s51
	v_cmp_lt_u32_e32 vcc_lo, s50, v65
	s_wait_dscnt 0x0
	s_barrier_signal -1
	s_barrier_wait -1
	s_and_b32 s51, s64, vcc_lo
	s_delay_alu instid0(SALU_CYCLE_1)
	s_and_saveexec_b32 s50, s51
	s_cbranch_execz .LBB47_561
; %bb.560:                              ;   in Loop: Header=BB47_553 Depth=2
	ds_load_b64 v[36:37], v35 offset:512
	ds_load_b64 v[38:39], v82
	s_wait_dscnt 0x0
	v_fmac_f64_e32 v[32:33], v[36:37], v[38:39]
.LBB47_561:                             ;   in Loop: Header=BB47_553 Depth=2
	s_or_b32 exec_lo, exec_lo, s50
	s_or_b32 s50, s65, 2
	s_delay_alu instid0(SALU_CYCLE_1) | instskip(SKIP_3) | instid1(SALU_CYCLE_1)
	v_cmp_eq_u32_e32 vcc_lo, s50, v65
	s_barrier_signal -1
	s_barrier_wait -1
	s_and_b32 s52, s64, vcc_lo
	s_and_saveexec_b32 s51, s52
	s_cbranch_execz .LBB47_563
; %bb.562:                              ;   in Loop: Header=BB47_553 Depth=2
	ds_load_b64 v[36:37], v81 offset:16640
	s_wait_dscnt 0x0
	v_mul_f64_e32 v[32:33], v[32:33], v[36:37]
	ds_store_b64 v82, v[32:33]
.LBB47_563:                             ;   in Loop: Header=BB47_553 Depth=2
	s_or_b32 exec_lo, exec_lo, s51
	v_cmp_lt_u32_e32 vcc_lo, s50, v65
	s_wait_dscnt 0x0
	s_barrier_signal -1
	s_barrier_wait -1
	s_and_b32 s51, s64, vcc_lo
	s_delay_alu instid0(SALU_CYCLE_1)
	s_and_saveexec_b32 s50, s51
	s_cbranch_execz .LBB47_565
; %bb.564:                              ;   in Loop: Header=BB47_553 Depth=2
	ds_load_b64 v[36:37], v35 offset:1024
	ds_load_b64 v[38:39], v82
	s_wait_dscnt 0x0
	v_fmac_f64_e32 v[32:33], v[36:37], v[38:39]
.LBB47_565:                             ;   in Loop: Header=BB47_553 Depth=2
	s_or_b32 exec_lo, exec_lo, s50
	s_or_b32 s50, s65, 3
	s_delay_alu instid0(SALU_CYCLE_1) | instskip(SKIP_3) | instid1(SALU_CYCLE_1)
	v_cmp_eq_u32_e32 vcc_lo, s50, v65
	s_barrier_signal -1
	s_barrier_wait -1
	s_and_b32 s52, s64, vcc_lo
	s_and_saveexec_b32 s51, s52
	s_cbranch_execz .LBB47_567
; %bb.566:                              ;   in Loop: Header=BB47_553 Depth=2
	ds_load_b64 v[36:37], v81 offset:16640
	s_wait_dscnt 0x0
	v_mul_f64_e32 v[32:33], v[32:33], v[36:37]
	ds_store_b64 v82, v[32:33]
.LBB47_567:                             ;   in Loop: Header=BB47_553 Depth=2
	s_or_b32 exec_lo, exec_lo, s51
	v_cmp_lt_u32_e32 vcc_lo, s50, v65
	s_wait_dscnt 0x0
	s_barrier_signal -1
	s_barrier_wait -1
	s_and_b32 s51, s64, vcc_lo
	s_delay_alu instid0(SALU_CYCLE_1)
	s_and_saveexec_b32 s50, s51
	s_cbranch_execz .LBB47_552
; %bb.568:                              ;   in Loop: Header=BB47_553 Depth=2
	ds_load_b64 v[36:37], v35 offset:1536
	ds_load_b64 v[38:39], v82
	s_wait_dscnt 0x0
	v_fmac_f64_e32 v[32:33], v[36:37], v[38:39]
	s_branch .LBB47_552
.LBB47_569:                             ;   in Loop: Header=BB47_3 Depth=1
	s_and_saveexec_b32 s50, s35
; %bb.570:                              ;   in Loop: Header=BB47_3 Depth=1
	s_delay_alu instid0(VALU_DEP_3)
	v_xor_b32_e32 v33, 0x80000000, v33
	ds_store_b64 v83, v[32:33] offset:256
; %bb.571:                              ;   in Loop: Header=BB47_3 Depth=1
	s_or_b32 exec_lo, exec_lo, s50
	s_wait_dscnt 0x0
	s_barrier_signal -1
	s_barrier_wait -1
	s_barrier_signal -1
	s_barrier_wait -1
	s_mov_b32 s65, exec_lo
	v_readlane_b32 s50, v98, 11
	s_and_b32 s50, s65, s50
	s_delay_alu instid0(SALU_CYCLE_1)
	s_mov_b32 exec_lo, s50
	s_cbranch_execz .LBB47_573
; %bb.572:                              ;   in Loop: Header=BB47_3 Depth=1
	ds_load_b64 v[32:33], v46 offset:256
	s_wait_dscnt 0x0
	ds_store_b64 v50, v[32:33] offset:16384
	ds_load_b64 v[32:33], v46 offset:264
	s_wait_dscnt 0x0
	ds_store_b64 v50, v[32:33] offset:16896
	;; [unrolled: 3-line block ×32, first 2 shown]
.LBB47_573:                             ;   in Loop: Header=BB47_3 Depth=1
	s_or_b32 exec_lo, exec_lo, s65
	s_wait_dscnt 0x0
	s_barrier_signal -1
	s_barrier_wait -1
	s_and_saveexec_b32 s50, s14
	s_cbranch_execz .LBB47_575
; %bb.574:                              ;   in Loop: Header=BB47_3 Depth=1
	ds_load_b128 v[32:35], v5 offset:16640
	ds_load_b64 v[36:37], v5 offset:17160
	s_wait_dscnt 0x0
	v_mul_f64_e32 v[32:33], v[32:33], v[36:37]
	s_delay_alu instid0(VALU_DEP_1)
	v_mul_f64_e32 v[32:33], v[34:35], v[32:33]
	v_add_nc_u32_e64 v34, 0x4000, 0
	ds_store_2addr_b64 v34, v[32:33], v[32:33] offset0:33 offset1:96
.LBB47_575:                             ;   in Loop: Header=BB47_3 Depth=1
	s_or_b32 exec_lo, exec_lo, s50
	v_mov_b64_e32 v[32:33], 0
	s_wait_dscnt 0x0
	s_barrier_signal -1
	s_barrier_wait -1
	s_and_saveexec_b32 s50, s0
	s_cbranch_execz .LBB47_579
; %bb.576:                              ;   in Loop: Header=BB47_3 Depth=1
	ds_load_b64 v[32:33], v41 offset:16656
	ds_load_b64 v[34:35], v42 offset:16640
	s_wait_dscnt 0x0
	v_fma_f64 v[32:33], v[32:33], v[34:35], 0
	s_and_saveexec_b32 s51, s15
	s_cbranch_execz .LBB47_578
; %bb.577:                              ;   in Loop: Header=BB47_3 Depth=1
	ds_load_b64 v[34:35], v43 offset:17168
	ds_load_b64 v[36:37], v5 offset:16648
	s_wait_dscnt 0x0
	v_fmac_f64_e32 v[32:33], v[34:35], v[36:37]
.LBB47_578:                             ;   in Loop: Header=BB47_3 Depth=1
	s_or_b32 exec_lo, exec_lo, s51
	s_delay_alu instid0(VALU_DEP_1)
	v_xor_b32_e32 v33, 0x80000000, v33
.LBB47_579:                             ;   in Loop: Header=BB47_3 Depth=1
	s_or_b32 exec_lo, exec_lo, s50
	s_and_saveexec_b32 s50, s94
	s_cbranch_execz .LBB47_581
; %bb.580:                              ;   in Loop: Header=BB47_3 Depth=1
	ds_load_b64 v[34:35], v5 offset:17680
	s_wait_dscnt 0x0
	v_mul_f64_e32 v[32:33], v[32:33], v[34:35]
	ds_store_b64 v3, v[32:33]
.LBB47_581:                             ;   in Loop: Header=BB47_3 Depth=1
	s_or_b32 exec_lo, exec_lo, s50
	s_wait_dscnt 0x0
	s_barrier_signal -1
	s_barrier_wait -1
	s_and_saveexec_b32 s50, s95
	s_cbranch_execz .LBB47_583
; %bb.582:                              ;   in Loop: Header=BB47_3 Depth=1
	ds_load_b64 v[34:35], v5 offset:17688
	ds_load_b64 v[36:37], v3
	s_wait_dscnt 0x0
	v_fmac_f64_e32 v[32:33], v[34:35], v[36:37]
.LBB47_583:                             ;   in Loop: Header=BB47_3 Depth=1
	s_or_b32 exec_lo, exec_lo, s50
	s_barrier_signal -1
	s_barrier_wait -1
	s_and_saveexec_b32 s50, s95
	s_cbranch_execz .LBB47_585
; %bb.584:                              ;   in Loop: Header=BB47_3 Depth=1
	ds_load_b64 v[34:35], v5 offset:18200
	s_wait_dscnt 0x0
	v_mul_f64_e32 v[32:33], v[32:33], v[34:35]
	ds_store_b64 v3, v[32:33]
.LBB47_585:                             ;   in Loop: Header=BB47_3 Depth=1
	s_or_b32 exec_lo, exec_lo, s50
	s_wait_dscnt 0x0
	s_barrier_signal -1
	s_barrier_wait -1
	s_barrier_signal -1
	s_barrier_wait -1
	s_and_saveexec_b32 s50, s0
; %bb.586:                              ;   in Loop: Header=BB47_3 Depth=1
	s_delay_alu instid0(VALU_DEP_1)
	v_xor_b32_e32 v33, 0x80000000, v33
	ds_store_b64 v41, v[32:33] offset:16656
; %bb.587:                              ;   in Loop: Header=BB47_3 Depth=1
	s_or_b32 exec_lo, exec_lo, s50
	s_wait_dscnt 0x0
	s_barrier_signal -1
	s_barrier_wait -1
	s_barrier_signal -1
	s_barrier_wait -1
	s_and_saveexec_b32 s50, s96
	s_cbranch_execz .LBB47_589
; %bb.588:                              ;   in Loop: Header=BB47_3 Depth=1
	ds_load_b64 v[32:33], v46 offset:16656
	s_wait_dscnt 0x0
	ds_store_b64 v43, v[32:33] offset:17664
	ds_load_b64 v[32:33], v46 offset:16664
	s_wait_dscnt 0x0
	ds_store_b64 v43, v[32:33] offset:18176
.LBB47_589:                             ;   in Loop: Header=BB47_3 Depth=1
	s_or_b32 exec_lo, exec_lo, s50
	s_wait_dscnt 0x0
	s_barrier_signal -1
	s_barrier_wait -1
	s_and_saveexec_b32 s50, s14
	s_cbranch_execz .LBB47_591
; %bb.590:                              ;   in Loop: Header=BB47_3 Depth=1
	ds_load_b128 v[32:35], v5 offset:17680
	ds_load_b64 v[36:37], v5 offset:18200
	s_wait_dscnt 0x0
	v_mul_f64_e32 v[32:33], v[32:33], v[36:37]
	s_delay_alu instid0(VALU_DEP_1)
	v_mul_f64_e32 v[32:33], v[34:35], v[32:33]
	v_add_nc_u32_e64 v34, 0x4000, 0
	ds_store_2addr_b64 v34, v[32:33], v[32:33] offset0:163 offset1:226
.LBB47_591:                             ;   in Loop: Header=BB47_3 Depth=1
	s_or_b32 exec_lo, exec_lo, s50
	v_mov_b64_e32 v[32:33], 0
	s_wait_dscnt 0x0
	s_barrier_signal -1
	s_barrier_wait -1
	s_and_saveexec_b32 s65, s2
	s_cbranch_execz .LBB47_597
; %bb.592:                              ;   in Loop: Header=BB47_3 Depth=1
	ds_load_b64 v[32:33], v48 offset:16672
	ds_load_b64 v[34:35], v44 offset:16640
	s_wait_dscnt 0x0
	v_fma_f64 v[32:33], v[32:33], v[34:35], 0
	s_and_saveexec_b32 s50, s16
	s_cbranch_execnz .LBB47_1125
; %bb.593:                              ;   in Loop: Header=BB47_3 Depth=1
	s_or_b32 exec_lo, exec_lo, s50
	s_and_saveexec_b32 s50, s17
	s_cbranch_execnz .LBB47_1126
.LBB47_594:                             ;   in Loop: Header=BB47_3 Depth=1
	s_or_b32 exec_lo, exec_lo, s50
	s_and_saveexec_b32 s50, s0
	s_cbranch_execz .LBB47_596
.LBB47_595:                             ;   in Loop: Header=BB47_3 Depth=1
	ds_load_b64 v[34:35], v50 offset:18208
	ds_load_b64 v[36:37], v5 offset:16664
	s_wait_dscnt 0x0
	v_fmac_f64_e32 v[32:33], v[34:35], v[36:37]
.LBB47_596:                             ;   in Loop: Header=BB47_3 Depth=1
	s_or_b32 exec_lo, exec_lo, s50
	s_delay_alu instid0(VALU_DEP_1)
	v_xor_b32_e32 v33, 0x80000000, v33
.LBB47_597:                             ;   in Loop: Header=BB47_3 Depth=1
	s_or_b32 exec_lo, exec_lo, s65
	s_and_saveexec_b32 s50, s97
	s_cbranch_execz .LBB47_599
; %bb.598:                              ;   in Loop: Header=BB47_3 Depth=1
	ds_load_b64 v[34:35], v5 offset:18720
	s_wait_dscnt 0x0
	v_mul_f64_e32 v[32:33], v[32:33], v[34:35]
	ds_store_b64 v47, v[32:33]
.LBB47_599:                             ;   in Loop: Header=BB47_3 Depth=1
	s_or_b32 exec_lo, exec_lo, s50
	s_wait_dscnt 0x0
	s_barrier_signal -1
	s_barrier_wait -1
	s_and_saveexec_b32 s50, s98
	s_cbranch_execz .LBB47_601
; %bb.600:                              ;   in Loop: Header=BB47_3 Depth=1
	ds_load_b64 v[34:35], v45 offset:18720
	ds_load_b64 v[36:37], v47
	s_wait_dscnt 0x0
	v_fmac_f64_e32 v[32:33], v[34:35], v[36:37]
.LBB47_601:                             ;   in Loop: Header=BB47_3 Depth=1
	s_or_b32 exec_lo, exec_lo, s50
	s_barrier_signal -1
	s_barrier_wait -1
	s_and_saveexec_b32 s50, s99
	s_cbranch_execz .LBB47_603
; %bb.602:                              ;   in Loop: Header=BB47_3 Depth=1
	ds_load_b64 v[34:35], v5 offset:19240
	s_wait_dscnt 0x0
	v_mul_f64_e32 v[32:33], v[32:33], v[34:35]
	ds_store_b64 v47, v[32:33]
.LBB47_603:                             ;   in Loop: Header=BB47_3 Depth=1
	s_or_b32 exec_lo, exec_lo, s50
	s_wait_dscnt 0x0
	s_barrier_signal -1
	s_barrier_wait -1
	s_and_saveexec_b32 s50, s100
	s_cbranch_execz .LBB47_605
; %bb.604:                              ;   in Loop: Header=BB47_3 Depth=1
	ds_load_b64 v[34:35], v45 offset:19232
	ds_load_b64 v[36:37], v47
	s_wait_dscnt 0x0
	v_fmac_f64_e32 v[32:33], v[34:35], v[36:37]
.LBB47_605:                             ;   in Loop: Header=BB47_3 Depth=1
	s_or_b32 exec_lo, exec_lo, s50
	s_barrier_signal -1
	s_barrier_wait -1
	;; [unrolled: 23-line block ×3, first 2 shown]
	s_and_saveexec_b32 s50, s102
	s_cbranch_execz .LBB47_611
; %bb.610:                              ;   in Loop: Header=BB47_3 Depth=1
	ds_load_b64 v[34:35], v5 offset:20280
	s_wait_dscnt 0x0
	v_mul_f64_e32 v[32:33], v[32:33], v[34:35]
	ds_store_b64 v47, v[32:33]
.LBB47_611:                             ;   in Loop: Header=BB47_3 Depth=1
	s_or_b32 exec_lo, exec_lo, s50
	s_wait_dscnt 0x0
	s_barrier_signal -1
	s_barrier_wait -1
	s_barrier_signal -1
	s_barrier_wait -1
	s_and_saveexec_b32 s50, s2
; %bb.612:                              ;   in Loop: Header=BB47_3 Depth=1
	s_delay_alu instid0(VALU_DEP_1)
	v_xor_b32_e32 v33, 0x80000000, v33
	ds_store_b64 v48, v[32:33] offset:16672
; %bb.613:                              ;   in Loop: Header=BB47_3 Depth=1
	s_or_b32 exec_lo, exec_lo, s50
	s_wait_dscnt 0x0
	s_barrier_signal -1
	s_barrier_wait -1
	s_barrier_signal -1
	s_barrier_wait -1
	s_and_saveexec_b32 s50, s103
	s_cbranch_execz .LBB47_615
; %bb.614:                              ;   in Loop: Header=BB47_3 Depth=1
	ds_load_b64 v[32:33], v51 offset:16672
	s_wait_dscnt 0x0
	ds_store_b64 v52, v[32:33] offset:18688
	ds_load_b64 v[32:33], v51 offset:16680
	s_wait_dscnt 0x0
	ds_store_b64 v52, v[32:33] offset:19200
	;; [unrolled: 3-line block ×4, first 2 shown]
.LBB47_615:                             ;   in Loop: Header=BB47_3 Depth=1
	s_or_b32 exec_lo, exec_lo, s50
	s_wait_dscnt 0x0
	s_barrier_signal -1
	s_barrier_wait -1
	s_and_saveexec_b32 s50, s14
	s_cbranch_execz .LBB47_617
; %bb.616:                              ;   in Loop: Header=BB47_3 Depth=1
	ds_load_b128 v[32:35], v5 offset:18720
	ds_load_b64 v[36:37], v5 offset:19240
	s_wait_dscnt 0x0
	v_mul_f64_e32 v[32:33], v[32:33], v[36:37]
	s_delay_alu instid0(VALU_DEP_1)
	v_mul_f64_e32 v[32:33], v[34:35], v[32:33]
	v_add_nc_u32_e64 v34, 0x4800, 0
	ds_store_2addr_b64 v34, v[32:33], v[32:33] offset0:37 offset1:100
.LBB47_617:                             ;   in Loop: Header=BB47_3 Depth=1
	s_or_b32 exec_lo, exec_lo, s50
	v_mov_b64_e32 v[32:33], 0
	s_wait_dscnt 0x0
	s_barrier_signal -1
	s_barrier_wait -1
	s_and_saveexec_b32 s50, s0
	s_cbranch_execz .LBB47_621
; %bb.618:                              ;   in Loop: Header=BB47_3 Depth=1
	ds_load_b64 v[32:33], v41 offset:18736
	ds_load_b64 v[34:35], v42 offset:18720
	s_wait_dscnt 0x0
	v_fma_f64 v[32:33], v[32:33], v[34:35], 0
	s_and_saveexec_b32 s51, s15
	s_cbranch_execz .LBB47_620
; %bb.619:                              ;   in Loop: Header=BB47_3 Depth=1
	ds_load_b64 v[34:35], v52 offset:19248
	ds_load_b64 v[36:37], v5 offset:18728
	s_wait_dscnt 0x0
	v_fmac_f64_e32 v[32:33], v[34:35], v[36:37]
.LBB47_620:                             ;   in Loop: Header=BB47_3 Depth=1
	s_or_b32 exec_lo, exec_lo, s51
	s_delay_alu instid0(VALU_DEP_1)
	v_xor_b32_e32 v33, 0x80000000, v33
.LBB47_621:                             ;   in Loop: Header=BB47_3 Depth=1
	s_or_b32 exec_lo, exec_lo, s50
	s_and_saveexec_b32 s50, s94
	s_cbranch_execz .LBB47_623
; %bb.622:                              ;   in Loop: Header=BB47_3 Depth=1
	ds_load_b64 v[34:35], v5 offset:19760
	s_wait_dscnt 0x0
	v_mul_f64_e32 v[32:33], v[32:33], v[34:35]
	ds_store_b64 v3, v[32:33]
.LBB47_623:                             ;   in Loop: Header=BB47_3 Depth=1
	s_or_b32 exec_lo, exec_lo, s50
	s_wait_dscnt 0x0
	s_barrier_signal -1
	s_barrier_wait -1
	s_and_saveexec_b32 s50, s95
	s_cbranch_execz .LBB47_625
; %bb.624:                              ;   in Loop: Header=BB47_3 Depth=1
	ds_load_b64 v[34:35], v5 offset:19768
	ds_load_b64 v[36:37], v3
	s_wait_dscnt 0x0
	v_fmac_f64_e32 v[32:33], v[34:35], v[36:37]
.LBB47_625:                             ;   in Loop: Header=BB47_3 Depth=1
	s_or_b32 exec_lo, exec_lo, s50
	s_barrier_signal -1
	s_barrier_wait -1
	s_and_saveexec_b32 s50, s95
	s_cbranch_execz .LBB47_627
; %bb.626:                              ;   in Loop: Header=BB47_3 Depth=1
	ds_load_b64 v[34:35], v5 offset:20280
	s_wait_dscnt 0x0
	v_mul_f64_e32 v[32:33], v[32:33], v[34:35]
	ds_store_b64 v3, v[32:33]
.LBB47_627:                             ;   in Loop: Header=BB47_3 Depth=1
	s_or_b32 exec_lo, exec_lo, s50
	s_wait_dscnt 0x0
	s_barrier_signal -1
	s_barrier_wait -1
	s_barrier_signal -1
	s_barrier_wait -1
	s_and_saveexec_b32 s50, s0
; %bb.628:                              ;   in Loop: Header=BB47_3 Depth=1
	s_delay_alu instid0(VALU_DEP_1)
	v_xor_b32_e32 v33, 0x80000000, v33
	ds_store_b64 v41, v[32:33] offset:18736
; %bb.629:                              ;   in Loop: Header=BB47_3 Depth=1
	s_or_b32 exec_lo, exec_lo, s50
	s_wait_dscnt 0x0
	s_barrier_signal -1
	s_barrier_wait -1
	s_barrier_signal -1
	s_barrier_wait -1
	s_and_saveexec_b32 s50, s96
	s_cbranch_execz .LBB47_631
; %bb.630:                              ;   in Loop: Header=BB47_3 Depth=1
	ds_load_b64 v[32:33], v55 offset:18736
	s_wait_dscnt 0x0
	ds_store_b64 v52, v[32:33] offset:19744
	ds_load_b64 v[32:33], v55 offset:18744
	s_wait_dscnt 0x0
	ds_store_b64 v52, v[32:33] offset:20256
.LBB47_631:                             ;   in Loop: Header=BB47_3 Depth=1
	s_or_b32 exec_lo, exec_lo, s50
	s_wait_dscnt 0x0
	s_barrier_signal -1
	s_barrier_wait -1
	s_and_saveexec_b32 s50, s14
	s_cbranch_execz .LBB47_633
; %bb.632:                              ;   in Loop: Header=BB47_3 Depth=1
	ds_load_b128 v[32:35], v5 offset:19760
	ds_load_b64 v[36:37], v5 offset:20280
	s_wait_dscnt 0x0
	v_mul_f64_e32 v[32:33], v[32:33], v[36:37]
	s_delay_alu instid0(VALU_DEP_1)
	v_mul_f64_e32 v[32:33], v[34:35], v[32:33]
	v_add_nc_u32_e64 v34, 0x4800, 0
	ds_store_2addr_b64 v34, v[32:33], v[32:33] offset0:167 offset1:230
.LBB47_633:                             ;   in Loop: Header=BB47_3 Depth=1
	s_or_b32 exec_lo, exec_lo, s50
	v_mov_b64_e32 v[32:33], 0
	s_wait_dscnt 0x0
	s_barrier_signal -1
	s_barrier_wait -1
	s_and_saveexec_b32 s65, s3
	s_cbranch_execz .LBB47_643
; %bb.634:                              ;   in Loop: Header=BB47_3 Depth=1
	ds_load_b64 v[32:33], v57 offset:16704
	ds_load_b64 v[34:35], v53 offset:16640
	s_wait_dscnt 0x0
	v_fma_f64 v[32:33], v[32:33], v[34:35], 0
	s_and_saveexec_b32 s50, s18
	s_cbranch_execnz .LBB47_1127
; %bb.635:                              ;   in Loop: Header=BB47_3 Depth=1
	s_or_b32 exec_lo, exec_lo, s50
	s_and_saveexec_b32 s50, s19
	s_cbranch_execnz .LBB47_1128
.LBB47_636:                             ;   in Loop: Header=BB47_3 Depth=1
	s_or_b32 exec_lo, exec_lo, s50
	s_and_saveexec_b32 s50, s20
	s_cbranch_execnz .LBB47_1129
.LBB47_637:                             ;   in Loop: Header=BB47_3 Depth=1
	s_or_b32 exec_lo, exec_lo, s50
	s_and_saveexec_b32 s50, s21
	s_cbranch_execnz .LBB47_1130
.LBB47_638:                             ;   in Loop: Header=BB47_3 Depth=1
	s_or_b32 exec_lo, exec_lo, s50
	s_and_saveexec_b32 s50, s22
	s_cbranch_execnz .LBB47_1131
.LBB47_639:                             ;   in Loop: Header=BB47_3 Depth=1
	s_or_b32 exec_lo, exec_lo, s50
	s_and_saveexec_b32 s50, s2
	s_cbranch_execnz .LBB47_1132
.LBB47_640:                             ;   in Loop: Header=BB47_3 Depth=1
	s_or_b32 exec_lo, exec_lo, s50
	s_and_saveexec_b32 s50, s17
	s_cbranch_execz .LBB47_642
.LBB47_641:                             ;   in Loop: Header=BB47_3 Depth=1
	ds_load_b64 v[34:35], v59 offset:20288
	ds_load_b64 v[36:37], v5 offset:16696
	s_wait_dscnt 0x0
	v_fmac_f64_e32 v[32:33], v[34:35], v[36:37]
.LBB47_642:                             ;   in Loop: Header=BB47_3 Depth=1
	s_or_b32 exec_lo, exec_lo, s50
	s_delay_alu instid0(VALU_DEP_1)
	v_xor_b32_e32 v33, 0x80000000, v33
.LBB47_643:                             ;   in Loop: Header=BB47_3 Depth=1
	s_or_b32 exec_lo, exec_lo, s65
	s_and_saveexec_b32 s50, s104
	s_cbranch_execz .LBB47_645
; %bb.644:                              ;   in Loop: Header=BB47_3 Depth=1
	ds_load_b64 v[34:35], v5 offset:20800
	s_wait_dscnt 0x0
	v_mul_f64_e32 v[32:33], v[32:33], v[34:35]
	ds_store_b64 v56, v[32:33]
.LBB47_645:                             ;   in Loop: Header=BB47_3 Depth=1
	s_or_b32 exec_lo, exec_lo, s50
	s_wait_dscnt 0x0
	s_barrier_signal -1
	s_barrier_wait -1
	s_and_saveexec_b32 s50, vcc_hi
	s_cbranch_execz .LBB47_647
; %bb.646:                              ;   in Loop: Header=BB47_3 Depth=1
	ds_load_b64 v[34:35], v54 offset:20800
	ds_load_b64 v[36:37], v56
	s_wait_dscnt 0x0
	v_fmac_f64_e32 v[32:33], v[34:35], v[36:37]
.LBB47_647:                             ;   in Loop: Header=BB47_3 Depth=1
	s_or_b32 exec_lo, exec_lo, s50
	s_barrier_signal -1
	s_barrier_wait -1
	s_and_saveexec_b32 s50, s36
	s_cbranch_execz .LBB47_649
; %bb.648:                              ;   in Loop: Header=BB47_3 Depth=1
	ds_load_b64 v[34:35], v5 offset:21320
	s_wait_dscnt 0x0
	v_mul_f64_e32 v[32:33], v[32:33], v[34:35]
	ds_store_b64 v56, v[32:33]
.LBB47_649:                             ;   in Loop: Header=BB47_3 Depth=1
	s_or_b32 exec_lo, exec_lo, s50
	s_wait_dscnt 0x0
	s_barrier_signal -1
	s_barrier_wait -1
	s_and_saveexec_b32 s50, s37
	s_cbranch_execz .LBB47_651
; %bb.650:                              ;   in Loop: Header=BB47_3 Depth=1
	ds_load_b64 v[34:35], v54 offset:21312
	ds_load_b64 v[36:37], v56
	s_wait_dscnt 0x0
	v_fmac_f64_e32 v[32:33], v[34:35], v[36:37]
.LBB47_651:                             ;   in Loop: Header=BB47_3 Depth=1
	s_or_b32 exec_lo, exec_lo, s50
	s_barrier_signal -1
	s_barrier_wait -1
	s_and_saveexec_b32 s50, s38
	s_cbranch_execz .LBB47_653
; %bb.652:                              ;   in Loop: Header=BB47_3 Depth=1
	ds_load_b64 v[34:35], v5 offset:21840
	s_wait_dscnt 0x0
	v_mul_f64_e32 v[32:33], v[32:33], v[34:35]
	ds_store_b64 v56, v[32:33]
.LBB47_653:                             ;   in Loop: Header=BB47_3 Depth=1
	s_or_b32 exec_lo, exec_lo, s50
	s_wait_dscnt 0x0
	s_barrier_signal -1
	s_barrier_wait -1
	s_and_saveexec_b32 s50, s39
	;; [unrolled: 23-line block ×6, first 2 shown]
	s_cbranch_execz .LBB47_671
; %bb.670:                              ;   in Loop: Header=BB47_3 Depth=1
	ds_load_b64 v[34:35], v5 offset:23928
	ds_load_b64 v[36:37], v56
	s_wait_dscnt 0x0
	v_fmac_f64_e32 v[32:33], v[34:35], v[36:37]
.LBB47_671:                             ;   in Loop: Header=BB47_3 Depth=1
	s_or_b32 exec_lo, exec_lo, s50
	s_barrier_signal -1
	s_barrier_wait -1
	s_and_saveexec_b32 s50, s47
	s_cbranch_execz .LBB47_673
; %bb.672:                              ;   in Loop: Header=BB47_3 Depth=1
	ds_load_b64 v[34:35], v5 offset:24440
	s_wait_dscnt 0x0
	v_mul_f64_e32 v[32:33], v[32:33], v[34:35]
	ds_store_b64 v56, v[32:33]
.LBB47_673:                             ;   in Loop: Header=BB47_3 Depth=1
	s_or_b32 exec_lo, exec_lo, s50
	s_wait_dscnt 0x0
	s_barrier_signal -1
	s_barrier_wait -1
	s_barrier_signal -1
	s_barrier_wait -1
	s_and_saveexec_b32 s50, s3
; %bb.674:                              ;   in Loop: Header=BB47_3 Depth=1
	s_delay_alu instid0(VALU_DEP_1)
	v_xor_b32_e32 v33, 0x80000000, v33
	ds_store_b64 v57, v[32:33] offset:16704
; %bb.675:                              ;   in Loop: Header=BB47_3 Depth=1
	s_or_b32 exec_lo, exec_lo, s50
	s_wait_dscnt 0x0
	s_barrier_signal -1
	s_barrier_wait -1
	s_barrier_signal -1
	s_barrier_wait -1
	s_and_saveexec_b32 s50, s48
	s_cbranch_execz .LBB47_677
; %bb.676:                              ;   in Loop: Header=BB47_3 Depth=1
	ds_load_b64 v[32:33], v68 offset:16704
	s_wait_dscnt 0x0
	ds_store_b64 v69, v[32:33] offset:20736
	ds_load_b64 v[32:33], v68 offset:16712
	s_wait_dscnt 0x0
	ds_store_b64 v69, v[32:33] offset:21248
	;; [unrolled: 3-line block ×8, first 2 shown]
.LBB47_677:                             ;   in Loop: Header=BB47_3 Depth=1
	s_or_b32 exec_lo, exec_lo, s50
	s_wait_dscnt 0x0
	s_barrier_signal -1
	s_barrier_wait -1
	s_and_saveexec_b32 s50, s14
	s_cbranch_execz .LBB47_679
; %bb.678:                              ;   in Loop: Header=BB47_3 Depth=1
	ds_load_b128 v[32:35], v5 offset:20800
	ds_load_b64 v[36:37], v5 offset:21320
	s_wait_dscnt 0x0
	v_mul_f64_e32 v[32:33], v[32:33], v[36:37]
	s_delay_alu instid0(VALU_DEP_1)
	v_mul_f64_e32 v[32:33], v[34:35], v[32:33]
	v_add_nc_u32_e64 v34, 0x5000, 0
	ds_store_2addr_b64 v34, v[32:33], v[32:33] offset0:41 offset1:104
.LBB47_679:                             ;   in Loop: Header=BB47_3 Depth=1
	s_or_b32 exec_lo, exec_lo, s50
	v_mov_b64_e32 v[32:33], 0
	s_wait_dscnt 0x0
	s_barrier_signal -1
	s_barrier_wait -1
	s_and_saveexec_b32 s50, s0
	s_cbranch_execz .LBB47_683
; %bb.680:                              ;   in Loop: Header=BB47_3 Depth=1
	ds_load_b64 v[32:33], v41 offset:20816
	ds_load_b64 v[34:35], v42 offset:20800
	s_wait_dscnt 0x0
	v_fma_f64 v[32:33], v[32:33], v[34:35], 0
	s_and_saveexec_b32 s51, s15
	s_cbranch_execz .LBB47_682
; %bb.681:                              ;   in Loop: Header=BB47_3 Depth=1
	ds_load_b64 v[34:35], v69 offset:21328
	ds_load_b64 v[36:37], v5 offset:20808
	s_wait_dscnt 0x0
	v_fmac_f64_e32 v[32:33], v[34:35], v[36:37]
.LBB47_682:                             ;   in Loop: Header=BB47_3 Depth=1
	s_or_b32 exec_lo, exec_lo, s51
	s_delay_alu instid0(VALU_DEP_1)
	v_xor_b32_e32 v33, 0x80000000, v33
.LBB47_683:                             ;   in Loop: Header=BB47_3 Depth=1
	s_or_b32 exec_lo, exec_lo, s50
	s_and_saveexec_b32 s50, s94
	s_cbranch_execz .LBB47_685
; %bb.684:                              ;   in Loop: Header=BB47_3 Depth=1
	ds_load_b64 v[34:35], v5 offset:21840
	s_wait_dscnt 0x0
	v_mul_f64_e32 v[32:33], v[32:33], v[34:35]
	ds_store_b64 v3, v[32:33]
.LBB47_685:                             ;   in Loop: Header=BB47_3 Depth=1
	s_or_b32 exec_lo, exec_lo, s50
	s_wait_dscnt 0x0
	s_barrier_signal -1
	s_barrier_wait -1
	s_and_saveexec_b32 s50, s95
	s_cbranch_execz .LBB47_687
; %bb.686:                              ;   in Loop: Header=BB47_3 Depth=1
	ds_load_b64 v[34:35], v5 offset:21848
	ds_load_b64 v[36:37], v3
	s_wait_dscnt 0x0
	v_fmac_f64_e32 v[32:33], v[34:35], v[36:37]
.LBB47_687:                             ;   in Loop: Header=BB47_3 Depth=1
	s_or_b32 exec_lo, exec_lo, s50
	s_barrier_signal -1
	s_barrier_wait -1
	s_and_saveexec_b32 s50, s95
	s_cbranch_execz .LBB47_689
; %bb.688:                              ;   in Loop: Header=BB47_3 Depth=1
	ds_load_b64 v[34:35], v5 offset:22360
	s_wait_dscnt 0x0
	v_mul_f64_e32 v[32:33], v[32:33], v[34:35]
	ds_store_b64 v3, v[32:33]
.LBB47_689:                             ;   in Loop: Header=BB47_3 Depth=1
	s_or_b32 exec_lo, exec_lo, s50
	s_wait_dscnt 0x0
	s_barrier_signal -1
	s_barrier_wait -1
	s_barrier_signal -1
	s_barrier_wait -1
	s_and_saveexec_b32 s50, s0
; %bb.690:                              ;   in Loop: Header=BB47_3 Depth=1
	s_delay_alu instid0(VALU_DEP_1)
	v_xor_b32_e32 v33, 0x80000000, v33
	ds_store_b64 v41, v[32:33] offset:20816
; %bb.691:                              ;   in Loop: Header=BB47_3 Depth=1
	s_or_b32 exec_lo, exec_lo, s50
	s_wait_dscnt 0x0
	s_barrier_signal -1
	s_barrier_wait -1
	s_barrier_signal -1
	s_barrier_wait -1
	s_and_saveexec_b32 s50, s96
	s_cbranch_execz .LBB47_693
; %bb.692:                              ;   in Loop: Header=BB47_3 Depth=1
	ds_load_b64 v[32:33], v70 offset:20816
	s_wait_dscnt 0x0
	ds_store_b64 v69, v[32:33] offset:21824
	ds_load_b64 v[32:33], v70 offset:20824
	s_wait_dscnt 0x0
	ds_store_b64 v69, v[32:33] offset:22336
.LBB47_693:                             ;   in Loop: Header=BB47_3 Depth=1
	s_or_b32 exec_lo, exec_lo, s50
	s_wait_dscnt 0x0
	s_barrier_signal -1
	s_barrier_wait -1
	s_and_saveexec_b32 s50, s14
	s_cbranch_execz .LBB47_695
; %bb.694:                              ;   in Loop: Header=BB47_3 Depth=1
	ds_load_b128 v[32:35], v5 offset:21840
	ds_load_b64 v[36:37], v5 offset:22360
	s_wait_dscnt 0x0
	v_mul_f64_e32 v[32:33], v[32:33], v[36:37]
	s_delay_alu instid0(VALU_DEP_1)
	v_mul_f64_e32 v[32:33], v[34:35], v[32:33]
	v_add_nc_u32_e64 v34, 0x5000, 0
	ds_store_2addr_b64 v34, v[32:33], v[32:33] offset0:171 offset1:234
.LBB47_695:                             ;   in Loop: Header=BB47_3 Depth=1
	s_or_b32 exec_lo, exec_lo, s50
	v_mov_b64_e32 v[32:33], 0
	s_wait_dscnt 0x0
	s_barrier_signal -1
	s_barrier_wait -1
	s_and_saveexec_b32 s65, s2
	s_cbranch_execz .LBB47_701
; %bb.696:                              ;   in Loop: Header=BB47_3 Depth=1
	ds_load_b64 v[32:33], v48 offset:20832
	ds_load_b64 v[34:35], v44 offset:20800
	s_wait_dscnt 0x0
	v_fma_f64 v[32:33], v[32:33], v[34:35], 0
	s_and_saveexec_b32 s50, s16
	s_cbranch_execnz .LBB47_1133
; %bb.697:                              ;   in Loop: Header=BB47_3 Depth=1
	s_or_b32 exec_lo, exec_lo, s50
	s_and_saveexec_b32 s50, s17
	s_cbranch_execnz .LBB47_1134
.LBB47_698:                             ;   in Loop: Header=BB47_3 Depth=1
	s_or_b32 exec_lo, exec_lo, s50
	s_and_saveexec_b32 s50, s0
	s_cbranch_execz .LBB47_700
.LBB47_699:                             ;   in Loop: Header=BB47_3 Depth=1
	ds_load_b64 v[34:35], v71 offset:22368
	ds_load_b64 v[36:37], v5 offset:20824
	s_wait_dscnt 0x0
	v_fmac_f64_e32 v[32:33], v[34:35], v[36:37]
.LBB47_700:                             ;   in Loop: Header=BB47_3 Depth=1
	s_or_b32 exec_lo, exec_lo, s50
	s_delay_alu instid0(VALU_DEP_1)
	v_xor_b32_e32 v33, 0x80000000, v33
.LBB47_701:                             ;   in Loop: Header=BB47_3 Depth=1
	s_or_b32 exec_lo, exec_lo, s65
	s_and_saveexec_b32 s50, s97
	s_cbranch_execz .LBB47_703
; %bb.702:                              ;   in Loop: Header=BB47_3 Depth=1
	ds_load_b64 v[34:35], v5 offset:22880
	s_wait_dscnt 0x0
	v_mul_f64_e32 v[32:33], v[32:33], v[34:35]
	ds_store_b64 v47, v[32:33]
.LBB47_703:                             ;   in Loop: Header=BB47_3 Depth=1
	s_or_b32 exec_lo, exec_lo, s50
	s_wait_dscnt 0x0
	s_barrier_signal -1
	s_barrier_wait -1
	s_and_saveexec_b32 s50, s98
	s_cbranch_execz .LBB47_705
; %bb.704:                              ;   in Loop: Header=BB47_3 Depth=1
	ds_load_b64 v[34:35], v45 offset:22880
	ds_load_b64 v[36:37], v47
	s_wait_dscnt 0x0
	v_fmac_f64_e32 v[32:33], v[34:35], v[36:37]
.LBB47_705:                             ;   in Loop: Header=BB47_3 Depth=1
	s_or_b32 exec_lo, exec_lo, s50
	s_barrier_signal -1
	s_barrier_wait -1
	s_and_saveexec_b32 s50, s99
	s_cbranch_execz .LBB47_707
; %bb.706:                              ;   in Loop: Header=BB47_3 Depth=1
	ds_load_b64 v[34:35], v5 offset:23400
	s_wait_dscnt 0x0
	v_mul_f64_e32 v[32:33], v[32:33], v[34:35]
	ds_store_b64 v47, v[32:33]
.LBB47_707:                             ;   in Loop: Header=BB47_3 Depth=1
	s_or_b32 exec_lo, exec_lo, s50
	s_wait_dscnt 0x0
	s_barrier_signal -1
	s_barrier_wait -1
	s_and_saveexec_b32 s50, s100
	s_cbranch_execz .LBB47_709
; %bb.708:                              ;   in Loop: Header=BB47_3 Depth=1
	ds_load_b64 v[34:35], v45 offset:23392
	ds_load_b64 v[36:37], v47
	s_wait_dscnt 0x0
	v_fmac_f64_e32 v[32:33], v[34:35], v[36:37]
.LBB47_709:                             ;   in Loop: Header=BB47_3 Depth=1
	s_or_b32 exec_lo, exec_lo, s50
	s_barrier_signal -1
	s_barrier_wait -1
	;; [unrolled: 23-line block ×3, first 2 shown]
	s_and_saveexec_b32 s50, s102
	s_cbranch_execz .LBB47_715
; %bb.714:                              ;   in Loop: Header=BB47_3 Depth=1
	ds_load_b64 v[34:35], v5 offset:24440
	s_wait_dscnt 0x0
	v_mul_f64_e32 v[32:33], v[32:33], v[34:35]
	ds_store_b64 v47, v[32:33]
.LBB47_715:                             ;   in Loop: Header=BB47_3 Depth=1
	s_or_b32 exec_lo, exec_lo, s50
	s_wait_dscnt 0x0
	s_barrier_signal -1
	s_barrier_wait -1
	s_barrier_signal -1
	s_barrier_wait -1
	s_and_saveexec_b32 s50, s2
; %bb.716:                              ;   in Loop: Header=BB47_3 Depth=1
	s_delay_alu instid0(VALU_DEP_1)
	v_xor_b32_e32 v33, 0x80000000, v33
	ds_store_b64 v48, v[32:33] offset:20832
; %bb.717:                              ;   in Loop: Header=BB47_3 Depth=1
	s_or_b32 exec_lo, exec_lo, s50
	s_wait_dscnt 0x0
	s_barrier_signal -1
	s_barrier_wait -1
	s_barrier_signal -1
	s_barrier_wait -1
	s_and_saveexec_b32 s50, s103
	s_cbranch_execz .LBB47_719
; %bb.718:                              ;   in Loop: Header=BB47_3 Depth=1
	ds_load_b64 v[32:33], v74 offset:20832
	s_wait_dscnt 0x0
	ds_store_b64 v77, v[32:33] offset:22848
	ds_load_b64 v[32:33], v74 offset:20840
	s_wait_dscnt 0x0
	ds_store_b64 v77, v[32:33] offset:23360
	;; [unrolled: 3-line block ×4, first 2 shown]
.LBB47_719:                             ;   in Loop: Header=BB47_3 Depth=1
	s_or_b32 exec_lo, exec_lo, s50
	s_wait_dscnt 0x0
	s_barrier_signal -1
	s_barrier_wait -1
	s_and_saveexec_b32 s50, s14
	s_cbranch_execz .LBB47_721
; %bb.720:                              ;   in Loop: Header=BB47_3 Depth=1
	ds_load_b128 v[32:35], v5 offset:22880
	ds_load_b64 v[36:37], v5 offset:23400
	s_wait_dscnt 0x0
	v_mul_f64_e32 v[32:33], v[32:33], v[36:37]
	s_delay_alu instid0(VALU_DEP_1)
	v_mul_f64_e32 v[32:33], v[34:35], v[32:33]
	v_add_nc_u32_e64 v34, 0x5800, 0
	ds_store_2addr_b64 v34, v[32:33], v[32:33] offset0:45 offset1:108
.LBB47_721:                             ;   in Loop: Header=BB47_3 Depth=1
	s_or_b32 exec_lo, exec_lo, s50
	v_mov_b64_e32 v[32:33], 0
	s_wait_dscnt 0x0
	s_barrier_signal -1
	s_barrier_wait -1
	s_and_saveexec_b32 s50, s0
	s_cbranch_execz .LBB47_725
; %bb.722:                              ;   in Loop: Header=BB47_3 Depth=1
	ds_load_b64 v[32:33], v41 offset:22896
	ds_load_b64 v[34:35], v42 offset:22880
	s_wait_dscnt 0x0
	v_fma_f64 v[32:33], v[32:33], v[34:35], 0
	s_and_saveexec_b32 s51, s15
	s_cbranch_execz .LBB47_724
; %bb.723:                              ;   in Loop: Header=BB47_3 Depth=1
	ds_load_b64 v[34:35], v77 offset:23408
	ds_load_b64 v[36:37], v5 offset:22888
	s_wait_dscnt 0x0
	v_fmac_f64_e32 v[32:33], v[34:35], v[36:37]
.LBB47_724:                             ;   in Loop: Header=BB47_3 Depth=1
	s_or_b32 exec_lo, exec_lo, s51
	s_delay_alu instid0(VALU_DEP_1)
	v_xor_b32_e32 v33, 0x80000000, v33
.LBB47_725:                             ;   in Loop: Header=BB47_3 Depth=1
	s_or_b32 exec_lo, exec_lo, s50
	s_and_saveexec_b32 s50, s94
	s_cbranch_execz .LBB47_727
; %bb.726:                              ;   in Loop: Header=BB47_3 Depth=1
	ds_load_b64 v[34:35], v5 offset:23920
	s_wait_dscnt 0x0
	v_mul_f64_e32 v[32:33], v[32:33], v[34:35]
	ds_store_b64 v3, v[32:33]
.LBB47_727:                             ;   in Loop: Header=BB47_3 Depth=1
	s_or_b32 exec_lo, exec_lo, s50
	s_wait_dscnt 0x0
	s_barrier_signal -1
	s_barrier_wait -1
	s_and_saveexec_b32 s50, s95
	s_cbranch_execz .LBB47_729
; %bb.728:                              ;   in Loop: Header=BB47_3 Depth=1
	ds_load_b64 v[34:35], v5 offset:23928
	ds_load_b64 v[36:37], v3
	s_wait_dscnt 0x0
	v_fmac_f64_e32 v[32:33], v[34:35], v[36:37]
.LBB47_729:                             ;   in Loop: Header=BB47_3 Depth=1
	s_or_b32 exec_lo, exec_lo, s50
	s_barrier_signal -1
	s_barrier_wait -1
	s_and_saveexec_b32 s50, s95
	s_cbranch_execz .LBB47_731
; %bb.730:                              ;   in Loop: Header=BB47_3 Depth=1
	ds_load_b64 v[34:35], v5 offset:24440
	s_wait_dscnt 0x0
	v_mul_f64_e32 v[32:33], v[32:33], v[34:35]
	ds_store_b64 v3, v[32:33]
.LBB47_731:                             ;   in Loop: Header=BB47_3 Depth=1
	s_or_b32 exec_lo, exec_lo, s50
	s_wait_dscnt 0x0
	s_barrier_signal -1
	s_barrier_wait -1
	s_barrier_signal -1
	s_barrier_wait -1
	s_and_saveexec_b32 s50, s0
; %bb.732:                              ;   in Loop: Header=BB47_3 Depth=1
	s_delay_alu instid0(VALU_DEP_1)
	v_xor_b32_e32 v33, 0x80000000, v33
	ds_store_b64 v41, v[32:33] offset:22896
; %bb.733:                              ;   in Loop: Header=BB47_3 Depth=1
	s_or_b32 exec_lo, exec_lo, s50
	s_wait_dscnt 0x0
	s_barrier_signal -1
	s_barrier_wait -1
	s_barrier_signal -1
	s_barrier_wait -1
	s_and_saveexec_b32 s50, s96
	s_cbranch_execz .LBB47_735
; %bb.734:                              ;   in Loop: Header=BB47_3 Depth=1
	ds_load_b64 v[32:33], v78 offset:22896
	s_wait_dscnt 0x0
	ds_store_b64 v77, v[32:33] offset:23904
	ds_load_b64 v[32:33], v78 offset:22904
	s_wait_dscnt 0x0
	ds_store_b64 v77, v[32:33] offset:24416
.LBB47_735:                             ;   in Loop: Header=BB47_3 Depth=1
	s_or_b32 exec_lo, exec_lo, s50
	s_wait_dscnt 0x0
	s_barrier_signal -1
	s_barrier_wait -1
	s_and_saveexec_b32 s50, s14
	s_cbranch_execz .LBB47_737
; %bb.736:                              ;   in Loop: Header=BB47_3 Depth=1
	ds_load_b128 v[32:35], v5 offset:23920
	ds_load_b64 v[36:37], v5 offset:24440
	s_wait_dscnt 0x0
	v_mul_f64_e32 v[32:33], v[32:33], v[36:37]
	s_delay_alu instid0(VALU_DEP_1)
	v_mul_f64_e32 v[32:33], v[34:35], v[32:33]
	v_add_nc_u32_e64 v34, 0x5800, 0
	ds_store_2addr_b64 v34, v[32:33], v[32:33] offset0:175 offset1:238
.LBB47_737:                             ;   in Loop: Header=BB47_3 Depth=1
	s_or_b32 exec_lo, exec_lo, s50
	v_mov_b64_e32 v[32:33], 0
	s_wait_dscnt 0x0
	s_barrier_signal -1
	s_barrier_wait -1
	s_and_saveexec_b32 s84, s4
	s_cbranch_execz .LBB47_765
; %bb.738:                              ;   in Loop: Header=BB47_3 Depth=1
	ds_load_b64 v[32:33], v63 offset:16768
	ds_load_b64 v[34:35], v60 offset:16640
	s_wait_dscnt 0x0
	v_fma_f64 v[32:33], v[32:33], v[34:35], 0
	s_mov_b32 s50, exec_lo
	v_readlane_b32 s51, v98, 29
	s_and_b32 s51, s50, s51
	s_delay_alu instid0(SALU_CYCLE_1)
	s_mov_b32 exec_lo, s51
	s_cbranch_execz .LBB47_740
; %bb.739:                              ;   in Loop: Header=BB47_3 Depth=1
	ds_load_b64 v[34:35], v64 offset:17280
	ds_load_b64 v[36:37], v60 offset:16648
	s_wait_dscnt 0x0
	v_fmac_f64_e32 v[32:33], v[34:35], v[36:37]
.LBB47_740:                             ;   in Loop: Header=BB47_3 Depth=1
	s_or_b32 exec_lo, exec_lo, s50
	s_delay_alu instid0(SALU_CYCLE_1) | instskip(SKIP_2) | instid1(SALU_CYCLE_1)
	s_mov_b32 s50, exec_lo
	v_readlane_b32 s51, v98, 30
	s_and_b32 s51, s50, s51
	s_mov_b32 exec_lo, s51
	s_cbranch_execz .LBB47_742
; %bb.741:                              ;   in Loop: Header=BB47_3 Depth=1
	ds_load_b64 v[34:35], v64 offset:17792
	ds_load_b64 v[36:37], v60 offset:16656
	s_wait_dscnt 0x0
	v_fmac_f64_e32 v[32:33], v[34:35], v[36:37]
.LBB47_742:                             ;   in Loop: Header=BB47_3 Depth=1
	s_or_b32 exec_lo, exec_lo, s50
	s_delay_alu instid0(SALU_CYCLE_1) | instskip(SKIP_2) | instid1(SALU_CYCLE_1)
	s_mov_b32 s50, exec_lo
	v_readlane_b32 s51, v98, 31
	s_and_b32 s51, s50, s51
	;; [unrolled: 13-line block ×10, first 2 shown]
	s_mov_b32 exec_lo, s51
	s_cbranch_execnz .LBB47_1135
; %bb.759:                              ;   in Loop: Header=BB47_3 Depth=1
	s_or_b32 exec_lo, exec_lo, s50
	s_and_saveexec_b32 s50, s3
	s_cbranch_execnz .LBB47_1136
.LBB47_760:                             ;   in Loop: Header=BB47_3 Depth=1
	s_or_b32 exec_lo, exec_lo, s50
	s_and_saveexec_b32 s50, s19
	s_cbranch_execnz .LBB47_1137
.LBB47_761:                             ;   in Loop: Header=BB47_3 Depth=1
	s_or_b32 exec_lo, exec_lo, s50
	s_and_saveexec_b32 s50, s21
	s_cbranch_execnz .LBB47_1138
.LBB47_762:                             ;   in Loop: Header=BB47_3 Depth=1
	s_or_b32 exec_lo, exec_lo, s50
	s_and_saveexec_b32 s50, s2
	s_cbranch_execz .LBB47_764
.LBB47_763:                             ;   in Loop: Header=BB47_3 Depth=1
	ds_load_b64 v[34:35], v43 offset:24448
	ds_load_b64 v[36:37], v5 offset:16760
	s_wait_dscnt 0x0
	v_fmac_f64_e32 v[32:33], v[34:35], v[36:37]
.LBB47_764:                             ;   in Loop: Header=BB47_3 Depth=1
	s_or_b32 exec_lo, exec_lo, s50
	s_delay_alu instid0(VALU_DEP_1)
	v_xor_b32_e32 v33, 0x80000000, v33
.LBB47_765:                             ;   in Loop: Header=BB47_3 Depth=1
	s_or_b32 exec_lo, exec_lo, s84
	s_delay_alu instid0(SALU_CYCLE_1) | instskip(SKIP_2) | instid1(SALU_CYCLE_1)
	s_mov_b32 s50, exec_lo
	v_readlane_b32 s51, v98, 6
	s_and_b32 s51, s50, s51
	s_mov_b32 exec_lo, s51
	s_cbranch_execz .LBB47_767
; %bb.766:                              ;   in Loop: Header=BB47_3 Depth=1
	ds_load_b64 v[34:35], v5 offset:24960
	s_wait_dscnt 0x0
	v_mul_f64_e32 v[32:33], v[32:33], v[34:35]
	ds_store_b64 v62, v[32:33]
.LBB47_767:                             ;   in Loop: Header=BB47_3 Depth=1
	s_or_b32 exec_lo, exec_lo, s50
	s_wait_dscnt 0x0
	s_barrier_signal -1
	s_barrier_wait -1
	s_mov_b32 s50, exec_lo
	v_readlane_b32 s51, v98, 7
	s_and_b32 s51, s50, s51
	s_delay_alu instid0(SALU_CYCLE_1)
	s_mov_b32 exec_lo, s51
	s_cbranch_execz .LBB47_769
; %bb.768:                              ;   in Loop: Header=BB47_3 Depth=1
	ds_load_b64 v[34:35], v61 offset:24960
	ds_load_b64 v[36:37], v62
	s_wait_dscnt 0x0
	v_fmac_f64_e32 v[32:33], v[34:35], v[36:37]
.LBB47_769:                             ;   in Loop: Header=BB47_3 Depth=1
	s_or_b32 exec_lo, exec_lo, s50
	s_barrier_signal -1
	s_barrier_wait -1
	s_mov_b32 s50, exec_lo
	v_readlane_b32 s51, v98, 8
	s_and_b32 s51, s50, s51
	s_delay_alu instid0(SALU_CYCLE_1)
	s_mov_b32 exec_lo, s51
	s_cbranch_execz .LBB47_771
; %bb.770:                              ;   in Loop: Header=BB47_3 Depth=1
	ds_load_b64 v[34:35], v5 offset:25480
	s_wait_dscnt 0x0
	v_mul_f64_e32 v[32:33], v[32:33], v[34:35]
	ds_store_b64 v62, v[32:33]
.LBB47_771:                             ;   in Loop: Header=BB47_3 Depth=1
	s_or_b32 exec_lo, exec_lo, s50
	s_wait_dscnt 0x0
	s_barrier_signal -1
	s_barrier_wait -1
	s_mov_b32 s50, exec_lo
	v_readlane_b32 s51, v98, 9
	s_and_b32 s51, s50, s51
	s_delay_alu instid0(SALU_CYCLE_1)
	s_mov_b32 exec_lo, s51
	s_cbranch_execz .LBB47_773
; %bb.772:                              ;   in Loop: Header=BB47_3 Depth=1
	ds_load_b64 v[34:35], v61 offset:25472
	ds_load_b64 v[36:37], v62
	s_wait_dscnt 0x0
	v_fmac_f64_e32 v[32:33], v[34:35], v[36:37]
.LBB47_773:                             ;   in Loop: Header=BB47_3 Depth=1
	s_or_b32 exec_lo, exec_lo, s50
	s_barrier_signal -1
	s_barrier_wait -1
	s_mov_b32 s50, exec_lo
	v_readlane_b32 s51, v98, 10
	s_and_b32 s51, s50, s51
	s_delay_alu instid0(SALU_CYCLE_1)
	s_mov_b32 exec_lo, s51
	s_cbranch_execz .LBB47_775
; %bb.774:                              ;   in Loop: Header=BB47_3 Depth=1
	ds_load_b64 v[34:35], v5 offset:26000
	s_wait_dscnt 0x0
	v_mul_f64_e32 v[32:33], v[32:33], v[34:35]
	ds_store_b64 v62, v[32:33]
.LBB47_775:                             ;   in Loop: Header=BB47_3 Depth=1
	s_or_b32 exec_lo, exec_lo, s50
	s_wait_dscnt 0x0
	s_barrier_signal -1
	s_barrier_wait -1
	s_and_saveexec_b32 s50, s54
	s_cbranch_execz .LBB47_777
; %bb.776:                              ;   in Loop: Header=BB47_3 Depth=1
	ds_load_b64 v[34:35], v61 offset:25984
	ds_load_b64 v[36:37], v62
	s_wait_dscnt 0x0
	v_fmac_f64_e32 v[32:33], v[34:35], v[36:37]
.LBB47_777:                             ;   in Loop: Header=BB47_3 Depth=1
	s_or_b32 exec_lo, exec_lo, s50
	s_barrier_signal -1
	s_barrier_wait -1
	s_and_saveexec_b32 s50, s55
	s_cbranch_execz .LBB47_779
; %bb.778:                              ;   in Loop: Header=BB47_3 Depth=1
	ds_load_b64 v[34:35], v5 offset:26520
	s_wait_dscnt 0x0
	v_mul_f64_e32 v[32:33], v[32:33], v[34:35]
	ds_store_b64 v62, v[32:33]
.LBB47_779:                             ;   in Loop: Header=BB47_3 Depth=1
	s_or_b32 exec_lo, exec_lo, s50
	s_wait_dscnt 0x0
	s_barrier_signal -1
	s_barrier_wait -1
	s_and_saveexec_b32 s50, s56
	s_cbranch_execz .LBB47_781
; %bb.780:                              ;   in Loop: Header=BB47_3 Depth=1
	ds_load_b64 v[34:35], v61 offset:26496
	ds_load_b64 v[36:37], v62
	s_wait_dscnt 0x0
	v_fmac_f64_e32 v[32:33], v[34:35], v[36:37]
.LBB47_781:                             ;   in Loop: Header=BB47_3 Depth=1
	s_or_b32 exec_lo, exec_lo, s50
	s_barrier_signal -1
	s_barrier_wait -1
	s_and_saveexec_b32 s50, s57
	;; [unrolled: 23-line block ×13, first 2 shown]
	s_cbranch_execz .LBB47_827
; %bb.826:                              ;   in Loop: Header=BB47_3 Depth=1
	ds_load_b64 v[34:35], v5 offset:32760
	s_wait_dscnt 0x0
	v_mul_f64_e32 v[32:33], v[32:33], v[34:35]
	ds_store_b64 v62, v[32:33]
.LBB47_827:                             ;   in Loop: Header=BB47_3 Depth=1
	s_or_b32 exec_lo, exec_lo, s50
	s_wait_dscnt 0x0
	s_barrier_signal -1
	s_barrier_wait -1
	s_barrier_signal -1
	s_barrier_wait -1
	s_and_saveexec_b32 s50, s4
; %bb.828:                              ;   in Loop: Header=BB47_3 Depth=1
	s_delay_alu instid0(VALU_DEP_1)
	v_xor_b32_e32 v33, 0x80000000, v33
	ds_store_b64 v63, v[32:33] offset:16768
; %bb.829:                              ;   in Loop: Header=BB47_3 Depth=1
	s_or_b32 exec_lo, exec_lo, s50
	s_wait_dscnt 0x0
	s_barrier_signal -1
	s_barrier_wait -1
	s_barrier_signal -1
	s_barrier_wait -1
	s_and_saveexec_b32 s50, s73
	s_cbranch_execz .LBB47_831
; %bb.830:                              ;   in Loop: Header=BB47_3 Depth=1
	ds_load_b64 v[32:33], v46 offset:16768
	s_wait_dscnt 0x0
	ds_store_b64 v50, v[32:33] offset:24832
	ds_load_b64 v[32:33], v46 offset:16776
	s_wait_dscnt 0x0
	ds_store_b64 v50, v[32:33] offset:25344
	;; [unrolled: 3-line block ×16, first 2 shown]
.LBB47_831:                             ;   in Loop: Header=BB47_3 Depth=1
	s_or_b32 exec_lo, exec_lo, s50
	s_wait_dscnt 0x0
	s_barrier_signal -1
	s_barrier_wait -1
	s_and_saveexec_b32 s50, s14
	s_cbranch_execz .LBB47_833
; %bb.832:                              ;   in Loop: Header=BB47_3 Depth=1
	ds_load_b128 v[32:35], v5 offset:24960
	ds_load_b64 v[36:37], v5 offset:25480
	s_wait_dscnt 0x0
	v_mul_f64_e32 v[32:33], v[32:33], v[36:37]
	s_delay_alu instid0(VALU_DEP_1)
	v_mul_f64_e32 v[32:33], v[34:35], v[32:33]
	v_add_nc_u32_e64 v34, 0x6000, 0
	ds_store_2addr_b64 v34, v[32:33], v[32:33] offset0:49 offset1:112
.LBB47_833:                             ;   in Loop: Header=BB47_3 Depth=1
	s_or_b32 exec_lo, exec_lo, s50
	v_mov_b64_e32 v[32:33], 0
	s_wait_dscnt 0x0
	s_barrier_signal -1
	s_barrier_wait -1
	s_and_saveexec_b32 s50, s0
	s_cbranch_execz .LBB47_837
; %bb.834:                              ;   in Loop: Header=BB47_3 Depth=1
	ds_load_b64 v[32:33], v41 offset:24976
	ds_load_b64 v[34:35], v42 offset:24960
	s_wait_dscnt 0x0
	v_fma_f64 v[32:33], v[32:33], v[34:35], 0
	s_and_saveexec_b32 s51, s15
	s_cbranch_execz .LBB47_836
; %bb.835:                              ;   in Loop: Header=BB47_3 Depth=1
	ds_load_b64 v[34:35], v43 offset:25488
	ds_load_b64 v[36:37], v5 offset:24968
	s_wait_dscnt 0x0
	v_fmac_f64_e32 v[32:33], v[34:35], v[36:37]
.LBB47_836:                             ;   in Loop: Header=BB47_3 Depth=1
	s_or_b32 exec_lo, exec_lo, s51
	s_delay_alu instid0(VALU_DEP_1)
	v_xor_b32_e32 v33, 0x80000000, v33
.LBB47_837:                             ;   in Loop: Header=BB47_3 Depth=1
	s_or_b32 exec_lo, exec_lo, s50
	s_and_saveexec_b32 s50, s94
	s_cbranch_execz .LBB47_839
; %bb.838:                              ;   in Loop: Header=BB47_3 Depth=1
	ds_load_b64 v[34:35], v5 offset:26000
	s_wait_dscnt 0x0
	v_mul_f64_e32 v[32:33], v[32:33], v[34:35]
	ds_store_b64 v3, v[32:33]
.LBB47_839:                             ;   in Loop: Header=BB47_3 Depth=1
	s_or_b32 exec_lo, exec_lo, s50
	s_wait_dscnt 0x0
	s_barrier_signal -1
	s_barrier_wait -1
	s_and_saveexec_b32 s50, s95
	s_cbranch_execz .LBB47_841
; %bb.840:                              ;   in Loop: Header=BB47_3 Depth=1
	ds_load_b64 v[34:35], v5 offset:26008
	ds_load_b64 v[36:37], v3
	s_wait_dscnt 0x0
	v_fmac_f64_e32 v[32:33], v[34:35], v[36:37]
.LBB47_841:                             ;   in Loop: Header=BB47_3 Depth=1
	s_or_b32 exec_lo, exec_lo, s50
	s_barrier_signal -1
	s_barrier_wait -1
	s_and_saveexec_b32 s50, s95
	s_cbranch_execz .LBB47_843
; %bb.842:                              ;   in Loop: Header=BB47_3 Depth=1
	ds_load_b64 v[34:35], v5 offset:26520
	s_wait_dscnt 0x0
	v_mul_f64_e32 v[32:33], v[32:33], v[34:35]
	ds_store_b64 v3, v[32:33]
.LBB47_843:                             ;   in Loop: Header=BB47_3 Depth=1
	s_or_b32 exec_lo, exec_lo, s50
	s_wait_dscnt 0x0
	s_barrier_signal -1
	s_barrier_wait -1
	s_barrier_signal -1
	s_barrier_wait -1
	s_and_saveexec_b32 s50, s0
; %bb.844:                              ;   in Loop: Header=BB47_3 Depth=1
	s_delay_alu instid0(VALU_DEP_1)
	v_xor_b32_e32 v33, 0x80000000, v33
	ds_store_b64 v41, v[32:33] offset:24976
; %bb.845:                              ;   in Loop: Header=BB47_3 Depth=1
	s_or_b32 exec_lo, exec_lo, s50
	s_wait_dscnt 0x0
	s_barrier_signal -1
	s_barrier_wait -1
	s_barrier_signal -1
	s_barrier_wait -1
	s_and_saveexec_b32 s50, s96
	s_cbranch_execz .LBB47_847
; %bb.846:                              ;   in Loop: Header=BB47_3 Depth=1
	ds_load_b64 v[32:33], v46 offset:24976
	s_wait_dscnt 0x0
	ds_store_b64 v43, v[32:33] offset:25984
	ds_load_b64 v[32:33], v46 offset:24984
	s_wait_dscnt 0x0
	ds_store_b64 v43, v[32:33] offset:26496
.LBB47_847:                             ;   in Loop: Header=BB47_3 Depth=1
	s_or_b32 exec_lo, exec_lo, s50
	s_wait_dscnt 0x0
	s_barrier_signal -1
	s_barrier_wait -1
	s_and_saveexec_b32 s50, s14
	s_cbranch_execz .LBB47_849
; %bb.848:                              ;   in Loop: Header=BB47_3 Depth=1
	ds_load_b128 v[32:35], v5 offset:26000
	ds_load_b64 v[36:37], v5 offset:26520
	s_wait_dscnt 0x0
	v_mul_f64_e32 v[32:33], v[32:33], v[36:37]
	s_delay_alu instid0(VALU_DEP_1)
	v_mul_f64_e32 v[32:33], v[34:35], v[32:33]
	v_add_nc_u32_e64 v34, 0x6000, 0
	ds_store_2addr_b64 v34, v[32:33], v[32:33] offset0:179 offset1:242
.LBB47_849:                             ;   in Loop: Header=BB47_3 Depth=1
	s_or_b32 exec_lo, exec_lo, s50
	v_mov_b64_e32 v[32:33], 0
	s_wait_dscnt 0x0
	s_barrier_signal -1
	s_barrier_wait -1
	s_and_saveexec_b32 s65, s2
	s_cbranch_execz .LBB47_855
; %bb.850:                              ;   in Loop: Header=BB47_3 Depth=1
	ds_load_b64 v[32:33], v48 offset:24992
	ds_load_b64 v[34:35], v44 offset:24960
	s_wait_dscnt 0x0
	v_fma_f64 v[32:33], v[32:33], v[34:35], 0
	s_and_saveexec_b32 s50, s16
	s_cbranch_execnz .LBB47_1139
; %bb.851:                              ;   in Loop: Header=BB47_3 Depth=1
	s_or_b32 exec_lo, exec_lo, s50
	s_and_saveexec_b32 s50, s17
	s_cbranch_execnz .LBB47_1140
.LBB47_852:                             ;   in Loop: Header=BB47_3 Depth=1
	s_or_b32 exec_lo, exec_lo, s50
	s_and_saveexec_b32 s50, s0
	s_cbranch_execz .LBB47_854
.LBB47_853:                             ;   in Loop: Header=BB47_3 Depth=1
	ds_load_b64 v[34:35], v50 offset:26528
	ds_load_b64 v[36:37], v5 offset:24984
	s_wait_dscnt 0x0
	v_fmac_f64_e32 v[32:33], v[34:35], v[36:37]
.LBB47_854:                             ;   in Loop: Header=BB47_3 Depth=1
	s_or_b32 exec_lo, exec_lo, s50
	s_delay_alu instid0(VALU_DEP_1)
	v_xor_b32_e32 v33, 0x80000000, v33
.LBB47_855:                             ;   in Loop: Header=BB47_3 Depth=1
	s_or_b32 exec_lo, exec_lo, s65
	s_and_saveexec_b32 s50, s97
	s_cbranch_execz .LBB47_857
; %bb.856:                              ;   in Loop: Header=BB47_3 Depth=1
	ds_load_b64 v[34:35], v5 offset:27040
	s_wait_dscnt 0x0
	v_mul_f64_e32 v[32:33], v[32:33], v[34:35]
	ds_store_b64 v47, v[32:33]
.LBB47_857:                             ;   in Loop: Header=BB47_3 Depth=1
	s_or_b32 exec_lo, exec_lo, s50
	s_wait_dscnt 0x0
	s_barrier_signal -1
	s_barrier_wait -1
	s_and_saveexec_b32 s50, s98
	s_cbranch_execz .LBB47_859
; %bb.858:                              ;   in Loop: Header=BB47_3 Depth=1
	ds_load_b64 v[34:35], v45 offset:27040
	ds_load_b64 v[36:37], v47
	s_wait_dscnt 0x0
	v_fmac_f64_e32 v[32:33], v[34:35], v[36:37]
.LBB47_859:                             ;   in Loop: Header=BB47_3 Depth=1
	s_or_b32 exec_lo, exec_lo, s50
	s_barrier_signal -1
	s_barrier_wait -1
	s_and_saveexec_b32 s50, s99
	s_cbranch_execz .LBB47_861
; %bb.860:                              ;   in Loop: Header=BB47_3 Depth=1
	ds_load_b64 v[34:35], v5 offset:27560
	s_wait_dscnt 0x0
	v_mul_f64_e32 v[32:33], v[32:33], v[34:35]
	ds_store_b64 v47, v[32:33]
.LBB47_861:                             ;   in Loop: Header=BB47_3 Depth=1
	s_or_b32 exec_lo, exec_lo, s50
	s_wait_dscnt 0x0
	s_barrier_signal -1
	s_barrier_wait -1
	s_and_saveexec_b32 s50, s100
	s_cbranch_execz .LBB47_863
; %bb.862:                              ;   in Loop: Header=BB47_3 Depth=1
	ds_load_b64 v[34:35], v45 offset:27552
	ds_load_b64 v[36:37], v47
	s_wait_dscnt 0x0
	v_fmac_f64_e32 v[32:33], v[34:35], v[36:37]
.LBB47_863:                             ;   in Loop: Header=BB47_3 Depth=1
	s_or_b32 exec_lo, exec_lo, s50
	s_barrier_signal -1
	s_barrier_wait -1
	;; [unrolled: 23-line block ×3, first 2 shown]
	s_and_saveexec_b32 s50, s102
	s_cbranch_execz .LBB47_869
; %bb.868:                              ;   in Loop: Header=BB47_3 Depth=1
	ds_load_b64 v[34:35], v5 offset:28600
	s_wait_dscnt 0x0
	v_mul_f64_e32 v[32:33], v[32:33], v[34:35]
	ds_store_b64 v47, v[32:33]
.LBB47_869:                             ;   in Loop: Header=BB47_3 Depth=1
	s_or_b32 exec_lo, exec_lo, s50
	s_wait_dscnt 0x0
	s_barrier_signal -1
	s_barrier_wait -1
	s_barrier_signal -1
	s_barrier_wait -1
	s_and_saveexec_b32 s50, s2
; %bb.870:                              ;   in Loop: Header=BB47_3 Depth=1
	s_delay_alu instid0(VALU_DEP_1)
	v_xor_b32_e32 v33, 0x80000000, v33
	ds_store_b64 v48, v[32:33] offset:24992
; %bb.871:                              ;   in Loop: Header=BB47_3 Depth=1
	s_or_b32 exec_lo, exec_lo, s50
	s_wait_dscnt 0x0
	s_barrier_signal -1
	s_barrier_wait -1
	s_barrier_signal -1
	s_barrier_wait -1
	s_and_saveexec_b32 s50, s103
	s_cbranch_execz .LBB47_873
; %bb.872:                              ;   in Loop: Header=BB47_3 Depth=1
	ds_load_b64 v[32:33], v51 offset:24992
	s_wait_dscnt 0x0
	ds_store_b64 v52, v[32:33] offset:27008
	ds_load_b64 v[32:33], v51 offset:25000
	s_wait_dscnt 0x0
	ds_store_b64 v52, v[32:33] offset:27520
	ds_load_b64 v[32:33], v51 offset:25008
	s_wait_dscnt 0x0
	ds_store_b64 v52, v[32:33] offset:28032
	ds_load_b64 v[32:33], v51 offset:25016
	s_wait_dscnt 0x0
	ds_store_b64 v52, v[32:33] offset:28544
.LBB47_873:                             ;   in Loop: Header=BB47_3 Depth=1
	s_or_b32 exec_lo, exec_lo, s50
	s_wait_dscnt 0x0
	s_barrier_signal -1
	s_barrier_wait -1
	s_and_saveexec_b32 s50, s14
	s_cbranch_execz .LBB47_875
; %bb.874:                              ;   in Loop: Header=BB47_3 Depth=1
	ds_load_b128 v[32:35], v5 offset:27040
	ds_load_b64 v[36:37], v5 offset:27560
	s_wait_dscnt 0x0
	v_mul_f64_e32 v[32:33], v[32:33], v[36:37]
	s_delay_alu instid0(VALU_DEP_1)
	v_mul_f64_e32 v[32:33], v[34:35], v[32:33]
	v_add_nc_u32_e64 v34, 0x6800, 0
	ds_store_2addr_b64 v34, v[32:33], v[32:33] offset0:53 offset1:116
.LBB47_875:                             ;   in Loop: Header=BB47_3 Depth=1
	s_or_b32 exec_lo, exec_lo, s50
	v_mov_b64_e32 v[32:33], 0
	s_wait_dscnt 0x0
	s_barrier_signal -1
	s_barrier_wait -1
	s_and_saveexec_b32 s50, s0
	s_cbranch_execz .LBB47_879
; %bb.876:                              ;   in Loop: Header=BB47_3 Depth=1
	ds_load_b64 v[32:33], v41 offset:27056
	ds_load_b64 v[34:35], v42 offset:27040
	s_wait_dscnt 0x0
	v_fma_f64 v[32:33], v[32:33], v[34:35], 0
	s_and_saveexec_b32 s51, s15
	s_cbranch_execz .LBB47_878
; %bb.877:                              ;   in Loop: Header=BB47_3 Depth=1
	ds_load_b64 v[34:35], v52 offset:27568
	ds_load_b64 v[36:37], v5 offset:27048
	s_wait_dscnt 0x0
	v_fmac_f64_e32 v[32:33], v[34:35], v[36:37]
.LBB47_878:                             ;   in Loop: Header=BB47_3 Depth=1
	s_or_b32 exec_lo, exec_lo, s51
	s_delay_alu instid0(VALU_DEP_1)
	v_xor_b32_e32 v33, 0x80000000, v33
.LBB47_879:                             ;   in Loop: Header=BB47_3 Depth=1
	s_or_b32 exec_lo, exec_lo, s50
	s_and_saveexec_b32 s50, s94
	s_cbranch_execz .LBB47_881
; %bb.880:                              ;   in Loop: Header=BB47_3 Depth=1
	ds_load_b64 v[34:35], v5 offset:28080
	s_wait_dscnt 0x0
	v_mul_f64_e32 v[32:33], v[32:33], v[34:35]
	ds_store_b64 v3, v[32:33]
.LBB47_881:                             ;   in Loop: Header=BB47_3 Depth=1
	s_or_b32 exec_lo, exec_lo, s50
	s_wait_dscnt 0x0
	s_barrier_signal -1
	s_barrier_wait -1
	s_and_saveexec_b32 s50, s95
	s_cbranch_execz .LBB47_883
; %bb.882:                              ;   in Loop: Header=BB47_3 Depth=1
	ds_load_b64 v[34:35], v5 offset:28088
	ds_load_b64 v[36:37], v3
	s_wait_dscnt 0x0
	v_fmac_f64_e32 v[32:33], v[34:35], v[36:37]
.LBB47_883:                             ;   in Loop: Header=BB47_3 Depth=1
	s_or_b32 exec_lo, exec_lo, s50
	s_barrier_signal -1
	s_barrier_wait -1
	s_and_saveexec_b32 s50, s95
	s_cbranch_execz .LBB47_885
; %bb.884:                              ;   in Loop: Header=BB47_3 Depth=1
	ds_load_b64 v[34:35], v5 offset:28600
	s_wait_dscnt 0x0
	v_mul_f64_e32 v[32:33], v[32:33], v[34:35]
	ds_store_b64 v3, v[32:33]
.LBB47_885:                             ;   in Loop: Header=BB47_3 Depth=1
	s_or_b32 exec_lo, exec_lo, s50
	s_wait_dscnt 0x0
	s_barrier_signal -1
	s_barrier_wait -1
	s_barrier_signal -1
	s_barrier_wait -1
	s_and_saveexec_b32 s50, s0
; %bb.886:                              ;   in Loop: Header=BB47_3 Depth=1
	s_delay_alu instid0(VALU_DEP_1)
	v_xor_b32_e32 v33, 0x80000000, v33
	ds_store_b64 v41, v[32:33] offset:27056
; %bb.887:                              ;   in Loop: Header=BB47_3 Depth=1
	s_or_b32 exec_lo, exec_lo, s50
	s_wait_dscnt 0x0
	s_barrier_signal -1
	s_barrier_wait -1
	s_barrier_signal -1
	s_barrier_wait -1
	s_and_saveexec_b32 s50, s96
	s_cbranch_execz .LBB47_889
; %bb.888:                              ;   in Loop: Header=BB47_3 Depth=1
	ds_load_b64 v[32:33], v55 offset:27056
	s_wait_dscnt 0x0
	ds_store_b64 v52, v[32:33] offset:28064
	ds_load_b64 v[32:33], v55 offset:27064
	s_wait_dscnt 0x0
	ds_store_b64 v52, v[32:33] offset:28576
.LBB47_889:                             ;   in Loop: Header=BB47_3 Depth=1
	s_or_b32 exec_lo, exec_lo, s50
	s_wait_dscnt 0x0
	s_barrier_signal -1
	s_barrier_wait -1
	s_and_saveexec_b32 s50, s14
	s_cbranch_execz .LBB47_891
; %bb.890:                              ;   in Loop: Header=BB47_3 Depth=1
	ds_load_b128 v[32:35], v5 offset:28080
	ds_load_b64 v[36:37], v5 offset:28600
	s_wait_dscnt 0x0
	v_mul_f64_e32 v[32:33], v[32:33], v[36:37]
	s_delay_alu instid0(VALU_DEP_1)
	v_mul_f64_e32 v[32:33], v[34:35], v[32:33]
	v_add_nc_u32_e64 v34, 0x6800, 0
	ds_store_2addr_b64 v34, v[32:33], v[32:33] offset0:183 offset1:246
.LBB47_891:                             ;   in Loop: Header=BB47_3 Depth=1
	s_or_b32 exec_lo, exec_lo, s50
	v_mov_b64_e32 v[32:33], 0
	s_wait_dscnt 0x0
	s_barrier_signal -1
	s_barrier_wait -1
	s_and_saveexec_b32 s65, s3
	s_cbranch_execz .LBB47_901
; %bb.892:                              ;   in Loop: Header=BB47_3 Depth=1
	ds_load_b64 v[32:33], v57 offset:25024
	ds_load_b64 v[34:35], v53 offset:24960
	s_wait_dscnt 0x0
	v_fma_f64 v[32:33], v[32:33], v[34:35], 0
	s_and_saveexec_b32 s50, s18
	s_cbranch_execnz .LBB47_1141
; %bb.893:                              ;   in Loop: Header=BB47_3 Depth=1
	s_or_b32 exec_lo, exec_lo, s50
	s_and_saveexec_b32 s50, s19
	s_cbranch_execnz .LBB47_1142
.LBB47_894:                             ;   in Loop: Header=BB47_3 Depth=1
	s_or_b32 exec_lo, exec_lo, s50
	s_and_saveexec_b32 s50, s20
	s_cbranch_execnz .LBB47_1143
.LBB47_895:                             ;   in Loop: Header=BB47_3 Depth=1
	s_or_b32 exec_lo, exec_lo, s50
	s_and_saveexec_b32 s50, s21
	s_cbranch_execnz .LBB47_1144
.LBB47_896:                             ;   in Loop: Header=BB47_3 Depth=1
	s_or_b32 exec_lo, exec_lo, s50
	s_and_saveexec_b32 s50, s22
	s_cbranch_execnz .LBB47_1145
.LBB47_897:                             ;   in Loop: Header=BB47_3 Depth=1
	s_or_b32 exec_lo, exec_lo, s50
	s_and_saveexec_b32 s50, s2
	s_cbranch_execnz .LBB47_1146
.LBB47_898:                             ;   in Loop: Header=BB47_3 Depth=1
	s_or_b32 exec_lo, exec_lo, s50
	s_and_saveexec_b32 s50, s17
	s_cbranch_execz .LBB47_900
.LBB47_899:                             ;   in Loop: Header=BB47_3 Depth=1
	ds_load_b64 v[34:35], v59 offset:28608
	ds_load_b64 v[36:37], v5 offset:25016
	s_wait_dscnt 0x0
	v_fmac_f64_e32 v[32:33], v[34:35], v[36:37]
.LBB47_900:                             ;   in Loop: Header=BB47_3 Depth=1
	s_or_b32 exec_lo, exec_lo, s50
	s_delay_alu instid0(VALU_DEP_1)
	v_xor_b32_e32 v33, 0x80000000, v33
.LBB47_901:                             ;   in Loop: Header=BB47_3 Depth=1
	s_or_b32 exec_lo, exec_lo, s65
	s_and_saveexec_b32 s50, s104
	s_cbranch_execz .LBB47_903
; %bb.902:                              ;   in Loop: Header=BB47_3 Depth=1
	ds_load_b64 v[34:35], v5 offset:29120
	s_wait_dscnt 0x0
	v_mul_f64_e32 v[32:33], v[32:33], v[34:35]
	ds_store_b64 v56, v[32:33]
.LBB47_903:                             ;   in Loop: Header=BB47_3 Depth=1
	s_or_b32 exec_lo, exec_lo, s50
	s_wait_dscnt 0x0
	s_barrier_signal -1
	s_barrier_wait -1
	s_and_saveexec_b32 s50, vcc_hi
	s_cbranch_execz .LBB47_905
; %bb.904:                              ;   in Loop: Header=BB47_3 Depth=1
	ds_load_b64 v[34:35], v54 offset:29120
	ds_load_b64 v[36:37], v56
	s_wait_dscnt 0x0
	v_fmac_f64_e32 v[32:33], v[34:35], v[36:37]
.LBB47_905:                             ;   in Loop: Header=BB47_3 Depth=1
	s_or_b32 exec_lo, exec_lo, s50
	s_barrier_signal -1
	s_barrier_wait -1
	s_and_saveexec_b32 s50, s36
	s_cbranch_execz .LBB47_907
; %bb.906:                              ;   in Loop: Header=BB47_3 Depth=1
	ds_load_b64 v[34:35], v5 offset:29640
	s_wait_dscnt 0x0
	v_mul_f64_e32 v[32:33], v[32:33], v[34:35]
	ds_store_b64 v56, v[32:33]
.LBB47_907:                             ;   in Loop: Header=BB47_3 Depth=1
	s_or_b32 exec_lo, exec_lo, s50
	s_wait_dscnt 0x0
	s_barrier_signal -1
	s_barrier_wait -1
	s_and_saveexec_b32 s50, s37
	s_cbranch_execz .LBB47_909
; %bb.908:                              ;   in Loop: Header=BB47_3 Depth=1
	ds_load_b64 v[34:35], v54 offset:29632
	ds_load_b64 v[36:37], v56
	s_wait_dscnt 0x0
	v_fmac_f64_e32 v[32:33], v[34:35], v[36:37]
.LBB47_909:                             ;   in Loop: Header=BB47_3 Depth=1
	s_or_b32 exec_lo, exec_lo, s50
	s_barrier_signal -1
	s_barrier_wait -1
	s_and_saveexec_b32 s50, s38
	s_cbranch_execz .LBB47_911
; %bb.910:                              ;   in Loop: Header=BB47_3 Depth=1
	ds_load_b64 v[34:35], v5 offset:30160
	s_wait_dscnt 0x0
	v_mul_f64_e32 v[32:33], v[32:33], v[34:35]
	ds_store_b64 v56, v[32:33]
.LBB47_911:                             ;   in Loop: Header=BB47_3 Depth=1
	s_or_b32 exec_lo, exec_lo, s50
	s_wait_dscnt 0x0
	s_barrier_signal -1
	s_barrier_wait -1
	s_and_saveexec_b32 s50, s39
	;; [unrolled: 23-line block ×6, first 2 shown]
	s_cbranch_execz .LBB47_929
; %bb.928:                              ;   in Loop: Header=BB47_3 Depth=1
	ds_load_b64 v[34:35], v5 offset:32248
	ds_load_b64 v[36:37], v56
	s_wait_dscnt 0x0
	v_fmac_f64_e32 v[32:33], v[34:35], v[36:37]
.LBB47_929:                             ;   in Loop: Header=BB47_3 Depth=1
	s_or_b32 exec_lo, exec_lo, s50
	s_barrier_signal -1
	s_barrier_wait -1
	s_and_saveexec_b32 s50, s47
	s_cbranch_execz .LBB47_931
; %bb.930:                              ;   in Loop: Header=BB47_3 Depth=1
	ds_load_b64 v[34:35], v5 offset:32760
	s_wait_dscnt 0x0
	v_mul_f64_e32 v[32:33], v[32:33], v[34:35]
	ds_store_b64 v56, v[32:33]
.LBB47_931:                             ;   in Loop: Header=BB47_3 Depth=1
	s_or_b32 exec_lo, exec_lo, s50
	s_wait_dscnt 0x0
	s_barrier_signal -1
	s_barrier_wait -1
	s_barrier_signal -1
	s_barrier_wait -1
	s_and_saveexec_b32 s50, s3
; %bb.932:                              ;   in Loop: Header=BB47_3 Depth=1
	s_delay_alu instid0(VALU_DEP_1)
	v_xor_b32_e32 v33, 0x80000000, v33
	ds_store_b64 v57, v[32:33] offset:25024
; %bb.933:                              ;   in Loop: Header=BB47_3 Depth=1
	s_or_b32 exec_lo, exec_lo, s50
	s_wait_dscnt 0x0
	s_barrier_signal -1
	s_barrier_wait -1
	s_barrier_signal -1
	s_barrier_wait -1
	s_and_saveexec_b32 s50, s48
	s_cbranch_execz .LBB47_935
; %bb.934:                              ;   in Loop: Header=BB47_3 Depth=1
	ds_load_b64 v[32:33], v68 offset:25024
	s_wait_dscnt 0x0
	ds_store_b64 v69, v[32:33] offset:29056
	ds_load_b64 v[32:33], v68 offset:25032
	s_wait_dscnt 0x0
	ds_store_b64 v69, v[32:33] offset:29568
	;; [unrolled: 3-line block ×8, first 2 shown]
.LBB47_935:                             ;   in Loop: Header=BB47_3 Depth=1
	s_or_b32 exec_lo, exec_lo, s50
	s_wait_dscnt 0x0
	s_barrier_signal -1
	s_barrier_wait -1
	s_and_saveexec_b32 s50, s14
	s_cbranch_execz .LBB47_937
; %bb.936:                              ;   in Loop: Header=BB47_3 Depth=1
	ds_load_b128 v[32:35], v5 offset:29120
	ds_load_b64 v[36:37], v5 offset:29640
	s_wait_dscnt 0x0
	v_mul_f64_e32 v[32:33], v[32:33], v[36:37]
	s_delay_alu instid0(VALU_DEP_1)
	v_mul_f64_e32 v[32:33], v[34:35], v[32:33]
	v_add_nc_u32_e64 v34, 0x7000, 0
	ds_store_2addr_b64 v34, v[32:33], v[32:33] offset0:57 offset1:120
.LBB47_937:                             ;   in Loop: Header=BB47_3 Depth=1
	s_or_b32 exec_lo, exec_lo, s50
	v_mov_b64_e32 v[32:33], 0
	s_wait_dscnt 0x0
	s_barrier_signal -1
	s_barrier_wait -1
	s_and_saveexec_b32 s50, s0
	s_cbranch_execz .LBB47_941
; %bb.938:                              ;   in Loop: Header=BB47_3 Depth=1
	ds_load_b64 v[32:33], v41 offset:29136
	ds_load_b64 v[34:35], v42 offset:29120
	s_wait_dscnt 0x0
	v_fma_f64 v[32:33], v[32:33], v[34:35], 0
	s_and_saveexec_b32 s51, s15
	s_cbranch_execz .LBB47_940
; %bb.939:                              ;   in Loop: Header=BB47_3 Depth=1
	ds_load_b64 v[34:35], v69 offset:29648
	ds_load_b64 v[36:37], v5 offset:29128
	s_wait_dscnt 0x0
	v_fmac_f64_e32 v[32:33], v[34:35], v[36:37]
.LBB47_940:                             ;   in Loop: Header=BB47_3 Depth=1
	s_or_b32 exec_lo, exec_lo, s51
	s_delay_alu instid0(VALU_DEP_1)
	v_xor_b32_e32 v33, 0x80000000, v33
.LBB47_941:                             ;   in Loop: Header=BB47_3 Depth=1
	s_or_b32 exec_lo, exec_lo, s50
	s_and_saveexec_b32 s50, s94
	s_cbranch_execz .LBB47_943
; %bb.942:                              ;   in Loop: Header=BB47_3 Depth=1
	ds_load_b64 v[34:35], v5 offset:30160
	s_wait_dscnt 0x0
	v_mul_f64_e32 v[32:33], v[32:33], v[34:35]
	ds_store_b64 v3, v[32:33]
.LBB47_943:                             ;   in Loop: Header=BB47_3 Depth=1
	s_or_b32 exec_lo, exec_lo, s50
	s_wait_dscnt 0x0
	s_barrier_signal -1
	s_barrier_wait -1
	s_and_saveexec_b32 s50, s95
	s_cbranch_execz .LBB47_945
; %bb.944:                              ;   in Loop: Header=BB47_3 Depth=1
	ds_load_b64 v[34:35], v5 offset:30168
	ds_load_b64 v[36:37], v3
	s_wait_dscnt 0x0
	v_fmac_f64_e32 v[32:33], v[34:35], v[36:37]
.LBB47_945:                             ;   in Loop: Header=BB47_3 Depth=1
	s_or_b32 exec_lo, exec_lo, s50
	s_barrier_signal -1
	s_barrier_wait -1
	s_and_saveexec_b32 s50, s95
	s_cbranch_execz .LBB47_947
; %bb.946:                              ;   in Loop: Header=BB47_3 Depth=1
	ds_load_b64 v[34:35], v5 offset:30680
	s_wait_dscnt 0x0
	v_mul_f64_e32 v[32:33], v[32:33], v[34:35]
	ds_store_b64 v3, v[32:33]
.LBB47_947:                             ;   in Loop: Header=BB47_3 Depth=1
	s_or_b32 exec_lo, exec_lo, s50
	s_wait_dscnt 0x0
	s_barrier_signal -1
	s_barrier_wait -1
	s_barrier_signal -1
	s_barrier_wait -1
	s_and_saveexec_b32 s50, s0
; %bb.948:                              ;   in Loop: Header=BB47_3 Depth=1
	s_delay_alu instid0(VALU_DEP_1)
	v_xor_b32_e32 v33, 0x80000000, v33
	ds_store_b64 v41, v[32:33] offset:29136
; %bb.949:                              ;   in Loop: Header=BB47_3 Depth=1
	s_or_b32 exec_lo, exec_lo, s50
	s_wait_dscnt 0x0
	s_barrier_signal -1
	s_barrier_wait -1
	s_barrier_signal -1
	s_barrier_wait -1
	s_and_saveexec_b32 s50, s96
	s_cbranch_execz .LBB47_951
; %bb.950:                              ;   in Loop: Header=BB47_3 Depth=1
	ds_load_b64 v[32:33], v70 offset:29136
	s_wait_dscnt 0x0
	ds_store_b64 v69, v[32:33] offset:30144
	ds_load_b64 v[32:33], v70 offset:29144
	s_wait_dscnt 0x0
	ds_store_b64 v69, v[32:33] offset:30656
.LBB47_951:                             ;   in Loop: Header=BB47_3 Depth=1
	s_or_b32 exec_lo, exec_lo, s50
	s_wait_dscnt 0x0
	s_barrier_signal -1
	s_barrier_wait -1
	s_and_saveexec_b32 s50, s14
	s_cbranch_execz .LBB47_953
; %bb.952:                              ;   in Loop: Header=BB47_3 Depth=1
	ds_load_b128 v[32:35], v5 offset:30160
	ds_load_b64 v[36:37], v5 offset:30680
	s_wait_dscnt 0x0
	v_mul_f64_e32 v[32:33], v[32:33], v[36:37]
	s_delay_alu instid0(VALU_DEP_1)
	v_mul_f64_e32 v[32:33], v[34:35], v[32:33]
	v_add_nc_u32_e64 v34, 0x7000, 0
	ds_store_2addr_b64 v34, v[32:33], v[32:33] offset0:187 offset1:250
.LBB47_953:                             ;   in Loop: Header=BB47_3 Depth=1
	s_or_b32 exec_lo, exec_lo, s50
	v_mov_b64_e32 v[32:33], 0
	s_wait_dscnt 0x0
	s_barrier_signal -1
	s_barrier_wait -1
	s_and_saveexec_b32 s65, s2
	s_cbranch_execz .LBB47_959
; %bb.954:                              ;   in Loop: Header=BB47_3 Depth=1
	ds_load_b64 v[32:33], v48 offset:29152
	ds_load_b64 v[34:35], v44 offset:29120
	s_wait_dscnt 0x0
	v_fma_f64 v[32:33], v[32:33], v[34:35], 0
	s_and_saveexec_b32 s50, s16
	s_cbranch_execnz .LBB47_1147
; %bb.955:                              ;   in Loop: Header=BB47_3 Depth=1
	s_or_b32 exec_lo, exec_lo, s50
	s_and_saveexec_b32 s50, s17
	s_cbranch_execnz .LBB47_1148
.LBB47_956:                             ;   in Loop: Header=BB47_3 Depth=1
	s_or_b32 exec_lo, exec_lo, s50
	s_and_saveexec_b32 s50, s0
	s_cbranch_execz .LBB47_958
.LBB47_957:                             ;   in Loop: Header=BB47_3 Depth=1
	ds_load_b64 v[34:35], v71 offset:30688
	ds_load_b64 v[36:37], v5 offset:29144
	s_wait_dscnt 0x0
	v_fmac_f64_e32 v[32:33], v[34:35], v[36:37]
.LBB47_958:                             ;   in Loop: Header=BB47_3 Depth=1
	s_or_b32 exec_lo, exec_lo, s50
	s_delay_alu instid0(VALU_DEP_1)
	v_xor_b32_e32 v33, 0x80000000, v33
.LBB47_959:                             ;   in Loop: Header=BB47_3 Depth=1
	s_or_b32 exec_lo, exec_lo, s65
	s_and_saveexec_b32 s50, s97
	s_cbranch_execz .LBB47_961
; %bb.960:                              ;   in Loop: Header=BB47_3 Depth=1
	ds_load_b64 v[34:35], v5 offset:31200
	s_wait_dscnt 0x0
	v_mul_f64_e32 v[32:33], v[32:33], v[34:35]
	ds_store_b64 v47, v[32:33]
.LBB47_961:                             ;   in Loop: Header=BB47_3 Depth=1
	s_or_b32 exec_lo, exec_lo, s50
	s_wait_dscnt 0x0
	s_barrier_signal -1
	s_barrier_wait -1
	s_and_saveexec_b32 s50, s98
	s_cbranch_execz .LBB47_963
; %bb.962:                              ;   in Loop: Header=BB47_3 Depth=1
	ds_load_b64 v[34:35], v45 offset:31200
	ds_load_b64 v[36:37], v47
	s_wait_dscnt 0x0
	v_fmac_f64_e32 v[32:33], v[34:35], v[36:37]
.LBB47_963:                             ;   in Loop: Header=BB47_3 Depth=1
	s_or_b32 exec_lo, exec_lo, s50
	s_barrier_signal -1
	s_barrier_wait -1
	s_and_saveexec_b32 s50, s99
	s_cbranch_execz .LBB47_965
; %bb.964:                              ;   in Loop: Header=BB47_3 Depth=1
	ds_load_b64 v[34:35], v5 offset:31720
	s_wait_dscnt 0x0
	v_mul_f64_e32 v[32:33], v[32:33], v[34:35]
	ds_store_b64 v47, v[32:33]
.LBB47_965:                             ;   in Loop: Header=BB47_3 Depth=1
	s_or_b32 exec_lo, exec_lo, s50
	s_wait_dscnt 0x0
	s_barrier_signal -1
	s_barrier_wait -1
	s_and_saveexec_b32 s50, s100
	s_cbranch_execz .LBB47_967
; %bb.966:                              ;   in Loop: Header=BB47_3 Depth=1
	ds_load_b64 v[34:35], v45 offset:31712
	ds_load_b64 v[36:37], v47
	s_wait_dscnt 0x0
	v_fmac_f64_e32 v[32:33], v[34:35], v[36:37]
.LBB47_967:                             ;   in Loop: Header=BB47_3 Depth=1
	s_or_b32 exec_lo, exec_lo, s50
	s_barrier_signal -1
	s_barrier_wait -1
	;; [unrolled: 23-line block ×3, first 2 shown]
	s_and_saveexec_b32 s50, s102
	s_cbranch_execz .LBB47_973
; %bb.972:                              ;   in Loop: Header=BB47_3 Depth=1
	ds_load_b64 v[34:35], v5 offset:32760
	s_wait_dscnt 0x0
	v_mul_f64_e32 v[32:33], v[32:33], v[34:35]
	ds_store_b64 v47, v[32:33]
.LBB47_973:                             ;   in Loop: Header=BB47_3 Depth=1
	s_or_b32 exec_lo, exec_lo, s50
	s_wait_dscnt 0x0
	s_barrier_signal -1
	s_barrier_wait -1
	s_barrier_signal -1
	s_barrier_wait -1
	s_and_saveexec_b32 s50, s2
; %bb.974:                              ;   in Loop: Header=BB47_3 Depth=1
	s_delay_alu instid0(VALU_DEP_1)
	v_xor_b32_e32 v33, 0x80000000, v33
	ds_store_b64 v48, v[32:33] offset:29152
; %bb.975:                              ;   in Loop: Header=BB47_3 Depth=1
	s_or_b32 exec_lo, exec_lo, s50
	s_wait_dscnt 0x0
	s_barrier_signal -1
	s_barrier_wait -1
	s_barrier_signal -1
	s_barrier_wait -1
	s_and_saveexec_b32 s50, s103
	s_cbranch_execz .LBB47_977
; %bb.976:                              ;   in Loop: Header=BB47_3 Depth=1
	ds_load_b64 v[32:33], v74 offset:29152
	s_wait_dscnt 0x0
	ds_store_b64 v77, v[32:33] offset:31168
	ds_load_b64 v[32:33], v74 offset:29160
	s_wait_dscnt 0x0
	ds_store_b64 v77, v[32:33] offset:31680
	;; [unrolled: 3-line block ×4, first 2 shown]
.LBB47_977:                             ;   in Loop: Header=BB47_3 Depth=1
	s_or_b32 exec_lo, exec_lo, s50
	s_wait_dscnt 0x0
	s_barrier_signal -1
	s_barrier_wait -1
	s_and_saveexec_b32 s50, s14
	s_cbranch_execz .LBB47_979
; %bb.978:                              ;   in Loop: Header=BB47_3 Depth=1
	ds_load_b128 v[32:35], v5 offset:31200
	ds_load_b64 v[36:37], v5 offset:31720
	s_wait_dscnt 0x0
	v_mul_f64_e32 v[32:33], v[32:33], v[36:37]
	s_delay_alu instid0(VALU_DEP_1)
	v_mul_f64_e32 v[32:33], v[34:35], v[32:33]
	v_add_nc_u32_e64 v34, 0x7800, 0
	ds_store_2addr_b64 v34, v[32:33], v[32:33] offset0:61 offset1:124
.LBB47_979:                             ;   in Loop: Header=BB47_3 Depth=1
	s_or_b32 exec_lo, exec_lo, s50
	v_mov_b64_e32 v[32:33], 0
	s_wait_dscnt 0x0
	s_barrier_signal -1
	s_barrier_wait -1
	s_and_saveexec_b32 s50, s0
	s_cbranch_execz .LBB47_983
; %bb.980:                              ;   in Loop: Header=BB47_3 Depth=1
	ds_load_b64 v[32:33], v41 offset:31216
	ds_load_b64 v[34:35], v42 offset:31200
	s_wait_dscnt 0x0
	v_fma_f64 v[32:33], v[32:33], v[34:35], 0
	s_and_saveexec_b32 s51, s15
	s_cbranch_execz .LBB47_982
; %bb.981:                              ;   in Loop: Header=BB47_3 Depth=1
	ds_load_b64 v[34:35], v77 offset:31728
	ds_load_b64 v[36:37], v5 offset:31208
	s_wait_dscnt 0x0
	v_fmac_f64_e32 v[32:33], v[34:35], v[36:37]
.LBB47_982:                             ;   in Loop: Header=BB47_3 Depth=1
	s_or_b32 exec_lo, exec_lo, s51
	s_delay_alu instid0(VALU_DEP_1)
	v_xor_b32_e32 v33, 0x80000000, v33
.LBB47_983:                             ;   in Loop: Header=BB47_3 Depth=1
	s_or_b32 exec_lo, exec_lo, s50
	s_and_saveexec_b32 s50, s94
	s_cbranch_execz .LBB47_985
; %bb.984:                              ;   in Loop: Header=BB47_3 Depth=1
	ds_load_b64 v[34:35], v5 offset:32240
	s_wait_dscnt 0x0
	v_mul_f64_e32 v[32:33], v[32:33], v[34:35]
	ds_store_b64 v3, v[32:33]
.LBB47_985:                             ;   in Loop: Header=BB47_3 Depth=1
	s_or_b32 exec_lo, exec_lo, s50
	s_wait_dscnt 0x0
	s_barrier_signal -1
	s_barrier_wait -1
	s_and_saveexec_b32 s50, s95
	s_cbranch_execz .LBB47_987
; %bb.986:                              ;   in Loop: Header=BB47_3 Depth=1
	ds_load_b64 v[34:35], v5 offset:32248
	ds_load_b64 v[36:37], v3
	s_wait_dscnt 0x0
	v_fmac_f64_e32 v[32:33], v[34:35], v[36:37]
.LBB47_987:                             ;   in Loop: Header=BB47_3 Depth=1
	s_or_b32 exec_lo, exec_lo, s50
	s_barrier_signal -1
	s_barrier_wait -1
	s_and_saveexec_b32 s50, s95
	s_cbranch_execz .LBB47_989
; %bb.988:                              ;   in Loop: Header=BB47_3 Depth=1
	ds_load_b64 v[34:35], v5 offset:32760
	s_wait_dscnt 0x0
	v_mul_f64_e32 v[32:33], v[32:33], v[34:35]
	ds_store_b64 v3, v[32:33]
.LBB47_989:                             ;   in Loop: Header=BB47_3 Depth=1
	s_or_b32 exec_lo, exec_lo, s50
	s_wait_dscnt 0x0
	s_barrier_signal -1
	s_barrier_wait -1
	s_barrier_signal -1
	s_barrier_wait -1
	s_and_saveexec_b32 s50, s0
; %bb.990:                              ;   in Loop: Header=BB47_3 Depth=1
	s_delay_alu instid0(VALU_DEP_1)
	v_xor_b32_e32 v33, 0x80000000, v33
	ds_store_b64 v41, v[32:33] offset:31216
; %bb.991:                              ;   in Loop: Header=BB47_3 Depth=1
	s_or_b32 exec_lo, exec_lo, s50
	s_wait_dscnt 0x0
	s_barrier_signal -1
	s_barrier_wait -1
	s_barrier_signal -1
	s_barrier_wait -1
	s_and_saveexec_b32 s50, s96
	s_cbranch_execz .LBB47_993
; %bb.992:                              ;   in Loop: Header=BB47_3 Depth=1
	ds_load_b64 v[32:33], v78 offset:31216
	s_wait_dscnt 0x0
	ds_store_b64 v77, v[32:33] offset:32224
	ds_load_b64 v[32:33], v78 offset:31224
	s_wait_dscnt 0x0
	ds_store_b64 v77, v[32:33] offset:32736
.LBB47_993:                             ;   in Loop: Header=BB47_3 Depth=1
	s_or_b32 exec_lo, exec_lo, s50
	s_wait_dscnt 0x0
	s_barrier_signal -1
	s_barrier_wait -1
	s_and_saveexec_b32 s50, s14
	s_cbranch_execz .LBB47_995
; %bb.994:                              ;   in Loop: Header=BB47_3 Depth=1
	ds_load_b128 v[32:35], v5 offset:32240
	ds_load_b64 v[36:37], v5 offset:32760
	s_wait_dscnt 0x0
	v_mul_f64_e32 v[32:33], v[32:33], v[36:37]
	s_delay_alu instid0(VALU_DEP_1)
	v_mul_f64_e32 v[32:33], v[34:35], v[32:33]
	v_add_nc_u32_e64 v34, 0x7800, 0
	ds_store_2addr_b64 v34, v[32:33], v[32:33] offset0:191 offset1:254
.LBB47_995:                             ;   in Loop: Header=BB47_3 Depth=1
	s_or_b32 exec_lo, exec_lo, s50
.LBB47_996:                             ;   in Loop: Header=BB47_3 Depth=1
	v_readlane_b32 s52, v98, 4
	v_mov_b64_e32 v[32:33], 0
	v_readlane_b32 s53, v98, 5
	s_mul_u64 s[50:51], s[76:77], s[80:81]
	s_wait_dscnt 0x0
	s_lshl_b64 s[50:51], s[50:51], 3
	s_barrier_signal -1
	s_add_nc_u64 s[84:85], s[52:53], s[50:51]
	s_barrier_wait -1
	s_and_saveexec_b32 s50, s71
	s_cbranch_execz .LBB47_998
; %bb.997:                              ;   in Loop: Header=BB47_3 Depth=1
	v_lshl_add_u64 v[32:33], v[0:1], 3, s[84:85]
	global_load_b64 v[32:33], v[32:33], off
	s_wait_loadcnt 0x0
	v_mul_f64_e64 v[32:33], v[32:33], -s[68:69]
.LBB47_998:                             ;   in Loop: Header=BB47_3 Depth=1
	s_or_b32 exec_lo, exec_lo, s50
	s_delay_alu instid0(SALU_CYCLE_1)
	s_and_not1_b32 vcc_lo, exec_lo, s88
	s_cbranch_vccnz .LBB47_1024
; %bb.999:                              ;   in Loop: Header=BB47_3 Depth=1
	v_mov_b32_e32 v92, -1
	s_lshl_b64 s[50:51], s[80:81], 2
	s_mov_b32 s65, 0
	s_add_nc_u64 s[86:87], s[78:79], s[50:51]
	s_branch .LBB47_1002
.LBB47_1000:                            ;   in Loop: Header=BB47_1002 Depth=2
	s_wait_xcnt 0x0
	ds_load_b64 v[34:35], v79 offset:384
	s_wait_loadcnt_dscnt 0x0
	v_fmac_f64_e32 v[32:33], v[36:37], v[34:35]
.LBB47_1001:                            ;   in Loop: Header=BB47_1002 Depth=2
	s_or_b32 exec_lo, exec_lo, s50
	s_add_co_i32 s65, s65, 1
	s_delay_alu instid0(SALU_CYCLE_1)
	s_cmp_eq_u32 s65, s89
	s_cbranch_scc1 .LBB47_1024
.LBB47_1002:                            ;   Parent Loop BB47_3 Depth=1
                                        ; =>  This Loop Header: Depth=2
                                        ;       Child Loop BB47_1004 Depth 3
	v_cmp_gt_i32_e32 vcc_lo, s65, v92
	s_and_b32 s51, s59, vcc_lo
	s_delay_alu instid0(SALU_CYCLE_1)
	s_and_saveexec_b32 s50, s51
	s_cbranch_execz .LBB47_1005
; %bb.1003:                             ;   in Loop: Header=BB47_1002 Depth=2
	global_load_b32 v92, v5, s[86:87]
	s_wait_loadcnt 0x0
	v_cmp_le_i32_e32 vcc_lo, s65, v92
	s_cbranch_vccnz .LBB47_1005
.LBB47_1004:                            ;   Parent Loop BB47_3 Depth=1
                                        ;     Parent Loop BB47_1002 Depth=2
                                        ; =>    This Inner Loop Header: Depth=3
	global_wb scope:SCOPE_DEV
	s_wait_storecnt 0x0
	global_inv scope:SCOPE_DEV
	global_load_b32 v92, v5, s[86:87]
	s_wait_loadcnt 0x0
	v_cmp_gt_i32_e32 vcc_lo, s65, v92
	s_cbranch_vccnz .LBB47_1004
.LBB47_1005:                            ;   in Loop: Header=BB47_1002 Depth=2
	s_or_b32 exec_lo, exec_lo, s50
	s_sub_co_i32 s50, s90, s65
	global_wb scope:SCOPE_DEV
	s_wait_storecnt 0x0
	global_inv scope:SCOPE_DEV
	s_lshl_b32 s51, s50, 6
	s_wait_loadcnt 0x0
	s_barrier_signal -1
	s_barrier_wait -1
	s_and_saveexec_b32 s52, s60
	s_cbranch_execz .LBB47_1009
; %bb.1006:                             ;   in Loop: Header=BB47_1002 Depth=2
	s_ashr_i32 s53, s51, 31
	v_mov_b64_e32 v[36:37], 0
	v_dual_mov_b32 v35, s53 :: v_dual_bitop2_b32 v34, s51, v4 bitop3:0x54
	s_mov_b32 s53, exec_lo
	s_delay_alu instid0(VALU_DEP_1)
	v_cmpx_gt_i64_e64 s[82:83], v[34:35]
	s_cbranch_execz .LBB47_1008
; %bb.1007:                             ;   in Loop: Header=BB47_1002 Depth=2
	v_mul_u64_e32 v[34:35], s[74:75], v[34:35]
	s_delay_alu instid0(VALU_DEP_1)
	v_lshl_add_u64 v[34:35], v[34:35], 3, s[84:85]
	global_load_b64 v[36:37], v[34:35], off
.LBB47_1008:                            ;   in Loop: Header=BB47_1002 Depth=2
	s_wait_xcnt 0x0
	s_or_b32 exec_lo, exec_lo, s53
	s_wait_loadcnt 0x0
	ds_store_b64 v84, v[36:37]
.LBB47_1009:                            ;   in Loop: Header=BB47_1002 Depth=2
	s_or_b32 exec_lo, exec_lo, s52
	v_add_nc_u32_e32 v36, s51, v40
	s_cmp_lg_u32 s50, s49
	s_wait_dscnt 0x0
	s_cselect_b32 s51, -1, 0
	s_barrier_signal -1
	v_ashrrev_i32_e32 v37, 31, v36
	v_cmp_gt_i32_e32 vcc_lo, s82, v36
	s_barrier_wait -1
	s_delay_alu instid0(VALU_DEP_2) | instskip(SKIP_2) | instid1(SALU_CYCLE_1)
	v_lshl_add_u64 v[34:35], v[36:37], 3, v[30:31]
	v_cndmask_b32_e64 v37, 0, 1, s51
	s_and_b32 s52, vcc_lo, s5
	s_and_saveexec_b32 s50, s52
	s_cbranch_execz .LBB47_1013
; %bb.1010:                             ;   in Loop: Header=BB47_1002 Depth=2
	v_mov_b64_e32 v[38:39], v[22:23]
	s_and_not1_b32 vcc_lo, exec_lo, s51
	s_cbranch_vccnz .LBB47_1012
; %bb.1011:                             ;   in Loop: Header=BB47_1002 Depth=2
	global_load_b64 v[38:39], v[34:35], off
.LBB47_1012:                            ;   in Loop: Header=BB47_1002 Depth=2
	ds_load_b64 v[94:95], v79
	s_wait_loadcnt_dscnt 0x0
	v_fmac_f64_e32 v[32:33], v[38:39], v[94:95]
.LBB47_1013:                            ;   in Loop: Header=BB47_1002 Depth=2
	s_or_b32 exec_lo, exec_lo, s50
	v_add_nc_u32_e32 v38, 16, v36
	s_delay_alu instid0(VALU_DEP_1) | instskip(SKIP_1) | instid1(SALU_CYCLE_1)
	v_cmp_gt_i32_e32 vcc_lo, s82, v38
	s_and_b32 s51, vcc_lo, s5
	s_and_saveexec_b32 s50, s51
	s_cbranch_execz .LBB47_1017
; %bb.1014:                             ;   in Loop: Header=BB47_1002 Depth=2
	v_cmp_ne_u32_e32 vcc_lo, 1, v37
	v_mov_b64_e32 v[38:39], v[24:25]
	s_cbranch_vccnz .LBB47_1016
; %bb.1015:                             ;   in Loop: Header=BB47_1002 Depth=2
	global_load_b64 v[38:39], v[34:35], off offset:128
.LBB47_1016:                            ;   in Loop: Header=BB47_1002 Depth=2
	ds_load_b64 v[94:95], v79 offset:128
	s_wait_loadcnt_dscnt 0x0
	v_fmac_f64_e32 v[32:33], v[38:39], v[94:95]
.LBB47_1017:                            ;   in Loop: Header=BB47_1002 Depth=2
	s_or_b32 exec_lo, exec_lo, s50
	v_add_nc_u32_e32 v38, 32, v36
	s_delay_alu instid0(VALU_DEP_1) | instskip(SKIP_1) | instid1(SALU_CYCLE_1)
	v_cmp_gt_i32_e32 vcc_lo, s82, v38
	s_and_b32 s51, vcc_lo, s5
	s_and_saveexec_b32 s50, s51
	s_cbranch_execz .LBB47_1021
; %bb.1018:                             ;   in Loop: Header=BB47_1002 Depth=2
	v_cmp_ne_u32_e32 vcc_lo, 1, v37
	v_mov_b64_e32 v[38:39], v[26:27]
	s_cbranch_vccnz .LBB47_1020
; %bb.1019:                             ;   in Loop: Header=BB47_1002 Depth=2
	global_load_b64 v[38:39], v[34:35], off offset:256
.LBB47_1020:                            ;   in Loop: Header=BB47_1002 Depth=2
	ds_load_b64 v[94:95], v79 offset:256
	s_wait_loadcnt_dscnt 0x0
	v_fmac_f64_e32 v[32:33], v[38:39], v[94:95]
.LBB47_1021:                            ;   in Loop: Header=BB47_1002 Depth=2
	s_or_b32 exec_lo, exec_lo, s50
	v_add_nc_u32_e32 v36, 48, v36
	s_delay_alu instid0(VALU_DEP_1) | instskip(SKIP_1) | instid1(SALU_CYCLE_1)
	v_cmp_gt_i32_e32 vcc_lo, s82, v36
	s_and_b32 s51, vcc_lo, s5
	s_and_saveexec_b32 s50, s51
	s_cbranch_execz .LBB47_1001
; %bb.1022:                             ;   in Loop: Header=BB47_1002 Depth=2
	v_cmp_ne_u32_e32 vcc_lo, 1, v37
	v_mov_b64_e32 v[36:37], v[28:29]
	s_cbranch_vccnz .LBB47_1000
; %bb.1023:                             ;   in Loop: Header=BB47_1002 Depth=2
	global_load_b64 v[36:37], v[34:35], off offset:384
	s_branch .LBB47_1000
.LBB47_1024:                            ;   in Loop: Header=BB47_3 Depth=1
	ds_store_b64 v85, v[32:33]
	s_wait_dscnt 0x0
	s_barrier_signal -1
	s_barrier_wait -1
	s_and_saveexec_b32 s65, s1
	s_cbranch_execz .LBB47_1026
; %bb.1025:                             ;   in Loop: Header=BB47_3 Depth=1
	ds_load_2addr_stride64_b64 v[34:37], v86 offset0:1 offset1:2
	ds_load_2addr_stride64_b64 v[92:95], v86 offset0:3 offset1:4
	s_wait_dscnt 0x1
	v_add_f64_e32 v[30:31], v[32:33], v[34:35]
	s_delay_alu instid0(VALU_DEP_1) | instskip(SKIP_1) | instid1(VALU_DEP_1)
	v_add_f64_e32 v[30:31], v[30:31], v[36:37]
	s_wait_dscnt 0x0
	v_add_f64_e32 v[30:31], v[30:31], v[92:93]
	s_delay_alu instid0(VALU_DEP_1) | instskip(SKIP_4) | instid1(VALU_DEP_1)
	v_add_f64_e32 v[38:39], v[30:31], v[94:95]
	ds_load_2addr_stride64_b64 v[30:33], v86 offset0:5 offset1:6
	ds_load_2addr_stride64_b64 v[34:37], v86 offset0:7 offset1:8
	s_wait_dscnt 0x1
	v_add_f64_e32 v[30:31], v[38:39], v[30:31]
	v_add_f64_e32 v[30:31], v[30:31], v[32:33]
	s_wait_dscnt 0x0
	s_delay_alu instid0(VALU_DEP_1) | instskip(NEXT) | instid1(VALU_DEP_1)
	v_add_f64_e32 v[30:31], v[30:31], v[34:35]
	v_add_f64_e32 v[38:39], v[30:31], v[36:37]
	ds_load_2addr_stride64_b64 v[30:33], v86 offset0:9 offset1:10
	ds_load_2addr_stride64_b64 v[34:37], v86 offset0:11 offset1:12
	s_wait_dscnt 0x1
	v_add_f64_e32 v[30:31], v[38:39], v[30:31]
	s_delay_alu instid0(VALU_DEP_1) | instskip(SKIP_1) | instid1(VALU_DEP_1)
	v_add_f64_e32 v[30:31], v[30:31], v[32:33]
	s_wait_dscnt 0x0
	v_add_f64_e32 v[30:31], v[30:31], v[34:35]
	s_delay_alu instid0(VALU_DEP_1) | instskip(SKIP_4) | instid1(VALU_DEP_1)
	v_add_f64_e32 v[34:35], v[30:31], v[36:37]
	ds_load_2addr_stride64_b64 v[30:33], v86 offset0:13 offset1:14
	ds_load_b64 v[36:37], v86 offset:7680
	s_wait_dscnt 0x1
	v_add_f64_e32 v[30:31], v[34:35], v[30:31]
	v_add_f64_e32 v[30:31], v[30:31], v[32:33]
	s_wait_dscnt 0x0
	s_delay_alu instid0(VALU_DEP_1) | instskip(NEXT) | instid1(VALU_DEP_1)
	v_add_f64_e32 v[30:31], v[30:31], v[36:37]
	v_xor_b32_e32 v31, 0x80000000, v31
	s_delay_alu instid0(VALU_DEP_2) | instskip(NEXT) | instid1(VALU_DEP_2)
	v_cndmask_b32_e64 v32, v30, 0, s70
	v_cndmask_b32_e64 v33, v31, 0, s70
.LBB47_1026:                            ;   in Loop: Header=BB47_3 Depth=1
	s_or_b32 exec_lo, exec_lo, s65
	s_delay_alu instid0(SALU_CYCLE_1)
	s_and_not1_b32 vcc_lo, exec_lo, s93
	s_cbranch_vccnz .LBB47_1036
; %bb.1027:                             ;   in Loop: Header=BB47_3 Depth=1
	s_and_saveexec_b32 s50, s1
; %bb.1028:                             ;   in Loop: Header=BB47_3 Depth=1
	ds_store_b64 v90, v[32:33]
; %bb.1029:                             ;   in Loop: Header=BB47_3 Depth=1
	s_or_b32 exec_lo, exec_lo, s50
	v_mov_b64_e32 v[30:31], 0
	s_wait_dscnt 0x0
	s_barrier_signal -1
	s_barrier_wait -1
	s_and_saveexec_b32 s50, s6
	s_cbranch_execnz .LBB47_1092
; %bb.1030:                             ;   in Loop: Header=BB47_3 Depth=1
	s_or_b32 exec_lo, exec_lo, s50
	s_and_saveexec_b32 s50, s7
	s_cbranch_execnz .LBB47_1093
.LBB47_1031:                            ;   in Loop: Header=BB47_3 Depth=1
	s_or_b32 exec_lo, exec_lo, s50
	s_and_saveexec_b32 s50, s8
	s_cbranch_execnz .LBB47_1094
.LBB47_1032:                            ;   in Loop: Header=BB47_3 Depth=1
	s_or_b32 exec_lo, exec_lo, s50
	s_and_saveexec_b32 s50, s9
	s_cbranch_execz .LBB47_1034
.LBB47_1033:                            ;   in Loop: Header=BB47_3 Depth=1
	ds_load_b64 v[34:35], v89 offset:24576
	ds_load_b64 v[36:37], v79 offset:384
	s_wait_dscnt 0x0
	v_fmac_f64_e32 v[30:31], v[34:35], v[36:37]
.LBB47_1034:                            ;   in Loop: Header=BB47_3 Depth=1
	s_or_b32 exec_lo, exec_lo, s50
	s_mov_b32 s65, 0
	s_mov_b32 s86, 0
	ds_store_b64 v85, v[30:31]
	s_wait_dscnt 0x0
	s_barrier_signal -1
	s_barrier_wait -1
                                        ; implicit-def: $vgpr34_vgpr35
	s_and_saveexec_b32 s87, s1
	s_cbranch_execz .LBB47_1095
; %bb.1035:                             ;   in Loop: Header=BB47_3 Depth=1
	ds_load_2addr_stride64_b64 v[34:37], v86 offset0:1 offset1:2
	ds_load_2addr_stride64_b64 v[92:95], v86 offset0:3 offset1:4
	s_mov_b32 s86, exec_lo
	s_wait_dscnt 0x1
	v_add_f64_e32 v[30:31], v[30:31], v[34:35]
	s_delay_alu instid0(VALU_DEP_1) | instskip(SKIP_1) | instid1(VALU_DEP_1)
	v_add_f64_e32 v[30:31], v[36:37], v[30:31]
	s_wait_dscnt 0x0
	v_add_f64_e32 v[30:31], v[92:93], v[30:31]
	s_delay_alu instid0(VALU_DEP_1) | instskip(SKIP_4) | instid1(VALU_DEP_1)
	v_add_f64_e32 v[30:31], v[94:95], v[30:31]
	ds_load_2addr_stride64_b64 v[34:37], v86 offset0:5 offset1:6
	ds_load_2addr_stride64_b64 v[92:95], v86 offset0:7 offset1:8
	s_wait_dscnt 0x1
	v_add_f64_e32 v[30:31], v[34:35], v[30:31]
	v_add_f64_e32 v[30:31], v[36:37], v[30:31]
	s_wait_dscnt 0x0
	s_delay_alu instid0(VALU_DEP_1) | instskip(NEXT) | instid1(VALU_DEP_1)
	v_add_f64_e32 v[30:31], v[92:93], v[30:31]
	v_add_f64_e32 v[30:31], v[94:95], v[30:31]
	ds_load_2addr_stride64_b64 v[34:37], v86 offset0:9 offset1:10
	ds_load_2addr_stride64_b64 v[92:95], v86 offset0:11 offset1:12
	s_wait_dscnt 0x1
	v_add_f64_e32 v[30:31], v[34:35], v[30:31]
	s_delay_alu instid0(VALU_DEP_1) | instskip(SKIP_4) | instid1(VALU_DEP_1)
	v_add_f64_e32 v[30:31], v[36:37], v[30:31]
	ds_load_2addr_stride64_b64 v[34:37], v86 offset0:13 offset1:14
	ds_load_b64 v[38:39], v86 offset:7680
	s_wait_dscnt 0x2
	v_add_f64_e32 v[30:31], v[92:93], v[30:31]
	v_add_f64_e32 v[30:31], v[94:95], v[30:31]
	s_wait_dscnt 0x1
	s_delay_alu instid0(VALU_DEP_1) | instskip(NEXT) | instid1(VALU_DEP_1)
	v_add_f64_e32 v[30:31], v[34:35], v[30:31]
	v_add_f64_e32 v[30:31], v[36:37], v[30:31]
	s_wait_dscnt 0x0
	s_delay_alu instid0(VALU_DEP_1) | instskip(SKIP_1) | instid1(SALU_CYCLE_1)
	v_add_f64_e32 v[34:35], v[38:39], v[30:31]
	s_or_b32 exec_lo, exec_lo, s87
	s_and_b32 vcc_lo, exec_lo, s65
	s_cbranch_vccnz .LBB47_1037
	s_branch .LBB47_1096
.LBB47_1036:                            ;   in Loop: Header=BB47_3 Depth=1
	s_mov_b32 s86, 0
                                        ; implicit-def: $vgpr34_vgpr35
	s_cbranch_execz .LBB47_1096
.LBB47_1037:                            ;   in Loop: Header=BB47_3 Depth=1
	v_dual_mov_b32 v30, v91 :: v_dual_mov_b32 v31, v88
	s_mov_b32 s65, 63
	s_branch .LBB47_1039
.LBB47_1038:                            ;   in Loop: Header=BB47_1039 Depth=2
	s_or_b32 exec_lo, exec_lo, s50
	v_add_nc_u32_e32 v31, 0xfffff800, v31
	v_add_nc_u32_e32 v30, 4, v30
	s_add_co_i32 s65, s65, -4
	s_cmp_lg_u32 s87, 0
	s_barrier_signal -1
	s_barrier_wait -1
	s_cbranch_scc0 .LBB47_1055
.LBB47_1039:                            ;   Parent Loop BB47_3 Depth=1
                                        ; =>  This Inner Loop Header: Depth=2
	s_delay_alu instid0(VALU_DEP_1) | instskip(SKIP_2) | instid1(SALU_CYCLE_1)
	v_cmp_eq_u32_e32 vcc_lo, 0, v30
	v_add_nc_u32_e32 v34, v78, v43
	s_and_b32 s51, s1, vcc_lo
	s_and_saveexec_b32 s50, s51
	s_cbranch_execz .LBB47_1041
; %bb.1040:                             ;   in Loop: Header=BB47_1039 Depth=2
	ds_load_b64 v[36:37], v34
	s_wait_dscnt 0x0
	v_mul_f64_e32 v[32:33], v[32:33], v[36:37]
	ds_store_b64 v5, v[32:33] offset:41472
.LBB47_1041:                            ;   in Loop: Header=BB47_1039 Depth=2
	s_or_b32 exec_lo, exec_lo, s50
	v_cmp_gt_u32_e32 vcc_lo, s65, v2
	s_wait_dscnt 0x0
	s_barrier_signal -1
	s_barrier_wait -1
	s_and_b32 s51, s1, vcc_lo
	s_delay_alu instid0(SALU_CYCLE_1)
	s_and_saveexec_b32 s50, s51
	s_cbranch_execz .LBB47_1043
; %bb.1042:                             ;   in Loop: Header=BB47_1039 Depth=2
	ds_load_b64 v[36:37], v31 offset:1536
	ds_load_b64 v[38:39], v5 offset:41472
	s_wait_dscnt 0x0
	v_fmac_f64_e32 v[32:33], v[36:37], v[38:39]
.LBB47_1043:                            ;   in Loop: Header=BB47_1039 Depth=2
	s_or_b32 exec_lo, exec_lo, s50
	s_add_co_i32 s50, s65, -1
	s_delay_alu instid0(SALU_CYCLE_1) | instskip(SKIP_3) | instid1(SALU_CYCLE_1)
	v_cmp_eq_u32_e32 vcc_lo, s50, v2
	s_barrier_signal -1
	s_barrier_wait -1
	s_and_b32 s52, s1, vcc_lo
	s_and_saveexec_b32 s51, s52
	s_cbranch_execz .LBB47_1045
; %bb.1044:                             ;   in Loop: Header=BB47_1039 Depth=2
	ds_load_b64 v[36:37], v34
	s_wait_dscnt 0x0
	v_mul_f64_e32 v[32:33], v[32:33], v[36:37]
	ds_store_b64 v5, v[32:33] offset:41472
.LBB47_1045:                            ;   in Loop: Header=BB47_1039 Depth=2
	s_or_b32 exec_lo, exec_lo, s51
	v_cmp_gt_u32_e32 vcc_lo, s50, v2
	s_wait_dscnt 0x0
	s_barrier_signal -1
	s_barrier_wait -1
	s_and_b32 s51, s1, vcc_lo
	s_delay_alu instid0(SALU_CYCLE_1)
	s_and_saveexec_b32 s50, s51
	s_cbranch_execz .LBB47_1047
; %bb.1046:                             ;   in Loop: Header=BB47_1039 Depth=2
	ds_load_b64 v[36:37], v31 offset:1024
	ds_load_b64 v[38:39], v5 offset:41472
	s_wait_dscnt 0x0
	v_fmac_f64_e32 v[32:33], v[36:37], v[38:39]
.LBB47_1047:                            ;   in Loop: Header=BB47_1039 Depth=2
	s_or_b32 exec_lo, exec_lo, s50
	s_add_co_i32 s50, s65, -2
	s_delay_alu instid0(SALU_CYCLE_1) | instskip(SKIP_3) | instid1(SALU_CYCLE_1)
	v_cmp_eq_u32_e32 vcc_lo, s50, v2
	s_barrier_signal -1
	s_barrier_wait -1
	;; [unrolled: 30-line block ×3, first 2 shown]
	s_and_b32 s51, s1, vcc_lo
	s_and_saveexec_b32 s50, s51
	s_cbranch_execz .LBB47_1053
; %bb.1052:                             ;   in Loop: Header=BB47_1039 Depth=2
	ds_load_b64 v[34:35], v34
	s_wait_dscnt 0x0
	v_mul_f64_e32 v[32:33], v[32:33], v[34:35]
	ds_store_b64 v5, v[32:33] offset:41472
.LBB47_1053:                            ;   in Loop: Header=BB47_1039 Depth=2
	s_or_b32 exec_lo, exec_lo, s50
	v_cmp_gt_u32_e32 vcc_lo, s87, v2
	s_wait_dscnt 0x0
	s_barrier_signal -1
	s_barrier_wait -1
	s_and_b32 s51, s1, vcc_lo
	s_delay_alu instid0(SALU_CYCLE_1)
	s_and_saveexec_b32 s50, s51
	s_cbranch_execz .LBB47_1038
; %bb.1054:                             ;   in Loop: Header=BB47_1039 Depth=2
	ds_load_b64 v[34:35], v31
	ds_load_b64 v[36:37], v5 offset:41472
	s_wait_dscnt 0x0
	v_fmac_f64_e32 v[32:33], v[34:35], v[36:37]
	s_branch .LBB47_1038
.LBB47_1055:                            ;   in Loop: Header=BB47_3 Depth=1
	s_and_b32 vcc_lo, exec_lo, s91
	s_mov_b32 s50, -1
	s_cbranch_vccnz .LBB47_1097
; %bb.1056:                             ;   in Loop: Header=BB47_3 Depth=1
	s_and_not1_b32 vcc_lo, exec_lo, s50
	s_cbranch_vccz .LBB47_1098
.LBB47_1057:                            ;   in Loop: Header=BB47_3 Depth=1
	s_and_saveexec_b32 s50, s86
	s_cbranch_execz .LBB47_1059
.LBB47_1058:                            ;   in Loop: Header=BB47_3 Depth=1
	v_lshl_add_u64 v[30:31], v[10:11], 3, s[84:85]
	global_store_b64 v[30:31], v[32:33], off
.LBB47_1059:                            ;   in Loop: Header=BB47_3 Depth=1
	s_wait_xcnt 0x0
	s_or_b32 exec_lo, exec_lo, s50
	global_wb scope:SCOPE_DEV
	s_wait_storecnt 0x0
	global_inv scope:SCOPE_DEV
	s_wait_loadcnt 0x0
	s_barrier_signal -1
	s_barrier_wait -1
	s_and_saveexec_b32 s50, s59
	s_cbranch_execz .LBB47_2
; %bb.1060:                             ;   in Loop: Header=BB47_3 Depth=1
	s_lshl_b64 s[52:53], s[80:81], 2
	s_delay_alu instid0(SALU_CYCLE_1)
	s_add_nc_u64 s[52:53], s[78:79], s[52:53]
	global_load_b32 v30, v5, s[52:53]
	s_wait_loadcnt 0x0
	v_add_nc_u32_e32 v30, 1, v30
	global_store_b32 v5, v30, s[52:53]
	s_branch .LBB47_2
.LBB47_1061:                            ;   in Loop: Header=BB47_3 Depth=1
	s_mov_b32 s50, exec_lo
	v_readlane_b32 s51, v98, 21
	s_and_b32 s51, s50, s51
	s_delay_alu instid0(SALU_CYCLE_1)
	s_xor_b32 s50, s51, s50
	s_mov_b32 exec_lo, s51
	s_cbranch_execz .LBB47_1065
; %bb.1062:                             ;   in Loop: Header=BB47_3 Depth=1
	s_mov_b32 s51, exec_lo
	v_readlane_b32 s52, v97, 31
	s_and_b32 s52, s51, s52
	s_delay_alu instid0(SALU_CYCLE_1)
	s_mov_b32 exec_lo, s52
; %bb.1063:                             ;   in Loop: Header=BB47_3 Depth=1
	ds_store_b64 v72, v[20:21]
; %bb.1064:                             ;   in Loop: Header=BB47_3 Depth=1
	s_or_b32 exec_lo, exec_lo, s51
.LBB47_1065:                            ;   in Loop: Header=BB47_3 Depth=1
	s_and_not1_saveexec_b32 s50, s50
	s_cbranch_execz .LBB47_1067
; %bb.1066:                             ;   in Loop: Header=BB47_3 Depth=1
	v_lshl_add_u64 v[32:33], v[12:13], 3, s[84:85]
	global_load_b64 v[32:33], v[32:33], off
	s_wait_loadcnt 0x0
	v_div_scale_f64 v[34:35], null, v[32:33], v[32:33], 1.0
	s_delay_alu instid0(VALU_DEP_1) | instskip(SKIP_1) | instid1(TRANS32_DEP_1)
	v_rcp_f64_e32 v[36:37], v[34:35]
	v_nop
	v_fma_f64 v[38:39], -v[34:35], v[36:37], 1.0
	s_delay_alu instid0(VALU_DEP_1) | instskip(NEXT) | instid1(VALU_DEP_1)
	v_fmac_f64_e32 v[36:37], v[36:37], v[38:39]
	v_fma_f64 v[38:39], -v[34:35], v[36:37], 1.0
	s_delay_alu instid0(VALU_DEP_1) | instskip(SKIP_1) | instid1(VALU_DEP_1)
	v_fmac_f64_e32 v[36:37], v[36:37], v[38:39]
	v_div_scale_f64 v[38:39], vcc_lo, 1.0, v[32:33], 1.0
	v_mul_f64_e32 v[92:93], v[38:39], v[36:37]
	s_delay_alu instid0(VALU_DEP_1) | instskip(NEXT) | instid1(VALU_DEP_1)
	v_fma_f64 v[34:35], -v[34:35], v[92:93], v[38:39]
	v_div_fmas_f64 v[34:35], v[34:35], v[36:37], v[92:93]
	s_delay_alu instid0(VALU_DEP_1)
	v_div_fixup_f64 v[32:33], v[34:35], v[32:33], 1.0
	ds_store_b64 v72, v[32:33]
.LBB47_1067:                            ;   in Loop: Header=BB47_3 Depth=1
	s_or_b32 exec_lo, exec_lo, s50
	s_and_not1_saveexec_b32 s50, s65
	s_cbranch_execz .LBB47_16
.LBB47_1068:                            ;   in Loop: Header=BB47_3 Depth=1
	v_lshl_add_u64 v[32:33], v[12:13], 3, s[84:85]
	global_load_b64 v[32:33], v[32:33], off
	s_wait_loadcnt 0x0
	v_xor_b32_e32 v33, 0x80000000, v33
	ds_store_b64 v72, v[32:33]
	s_or_b32 exec_lo, exec_lo, s50
	s_and_saveexec_b32 s50, s7
	s_delay_alu instid0(SALU_CYCLE_1)
	s_xor_b32 s65, exec_lo, s50
	s_cbranch_execz .LBB47_17
.LBB47_1069:                            ;   in Loop: Header=BB47_3 Depth=1
	s_mov_b32 s50, exec_lo
	v_readlane_b32 s51, v98, 23
	s_and_b32 s51, s50, s51
	s_delay_alu instid0(SALU_CYCLE_1)
	s_xor_b32 s50, s51, s50
	s_mov_b32 exec_lo, s51
	s_cbranch_execz .LBB47_1073
; %bb.1070:                             ;   in Loop: Header=BB47_3 Depth=1
	s_mov_b32 s51, exec_lo
	v_readlane_b32 s52, v96, 0
	s_and_b32 s52, s51, s52
	s_delay_alu instid0(SALU_CYCLE_1)
	s_mov_b32 exec_lo, s52
; %bb.1071:                             ;   in Loop: Header=BB47_3 Depth=1
	ds_store_b64 v73, v[20:21]
; %bb.1072:                             ;   in Loop: Header=BB47_3 Depth=1
	s_or_b32 exec_lo, exec_lo, s51
.LBB47_1073:                            ;   in Loop: Header=BB47_3 Depth=1
	s_and_not1_saveexec_b32 s50, s50
	s_cbranch_execz .LBB47_1075
; %bb.1074:                             ;   in Loop: Header=BB47_3 Depth=1
	v_lshl_add_u64 v[32:33], v[14:15], 3, s[84:85]
	global_load_b64 v[32:33], v[32:33], off
	s_wait_loadcnt 0x0
	v_div_scale_f64 v[34:35], null, v[32:33], v[32:33], 1.0
	s_delay_alu instid0(VALU_DEP_1) | instskip(SKIP_1) | instid1(TRANS32_DEP_1)
	v_rcp_f64_e32 v[36:37], v[34:35]
	v_nop
	v_fma_f64 v[38:39], -v[34:35], v[36:37], 1.0
	s_delay_alu instid0(VALU_DEP_1) | instskip(NEXT) | instid1(VALU_DEP_1)
	v_fmac_f64_e32 v[36:37], v[36:37], v[38:39]
	v_fma_f64 v[38:39], -v[34:35], v[36:37], 1.0
	s_delay_alu instid0(VALU_DEP_1) | instskip(SKIP_1) | instid1(VALU_DEP_1)
	v_fmac_f64_e32 v[36:37], v[36:37], v[38:39]
	v_div_scale_f64 v[38:39], vcc_lo, 1.0, v[32:33], 1.0
	v_mul_f64_e32 v[92:93], v[38:39], v[36:37]
	s_delay_alu instid0(VALU_DEP_1) | instskip(NEXT) | instid1(VALU_DEP_1)
	v_fma_f64 v[34:35], -v[34:35], v[92:93], v[38:39]
	v_div_fmas_f64 v[34:35], v[34:35], v[36:37], v[92:93]
	s_delay_alu instid0(VALU_DEP_1)
	v_div_fixup_f64 v[32:33], v[34:35], v[32:33], 1.0
	ds_store_b64 v73, v[32:33]
.LBB47_1075:                            ;   in Loop: Header=BB47_3 Depth=1
	s_or_b32 exec_lo, exec_lo, s50
	s_and_not1_saveexec_b32 s50, s65
	s_cbranch_execz .LBB47_18
.LBB47_1076:                            ;   in Loop: Header=BB47_3 Depth=1
	v_lshl_add_u64 v[32:33], v[14:15], 3, s[84:85]
	global_load_b64 v[32:33], v[32:33], off
	s_wait_loadcnt 0x0
	v_xor_b32_e32 v33, 0x80000000, v33
	ds_store_b64 v73, v[32:33]
	s_or_b32 exec_lo, exec_lo, s50
	s_and_saveexec_b32 s50, s8
	s_delay_alu instid0(SALU_CYCLE_1)
	s_xor_b32 s65, exec_lo, s50
	s_cbranch_execz .LBB47_19
.LBB47_1077:                            ;   in Loop: Header=BB47_3 Depth=1
	s_mov_b32 s50, exec_lo
	v_readlane_b32 s51, v98, 25
	s_and_b32 s51, s50, s51
	s_delay_alu instid0(SALU_CYCLE_1)
	s_xor_b32 s50, s51, s50
	s_mov_b32 exec_lo, s51
	s_cbranch_execz .LBB47_1081
; %bb.1078:                             ;   in Loop: Header=BB47_3 Depth=1
	s_mov_b32 s51, exec_lo
	v_readlane_b32 s52, v96, 1
	s_and_b32 s52, s51, s52
	s_delay_alu instid0(SALU_CYCLE_1)
	s_mov_b32 exec_lo, s52
; %bb.1079:                             ;   in Loop: Header=BB47_3 Depth=1
	ds_store_b64 v75, v[20:21]
; %bb.1080:                             ;   in Loop: Header=BB47_3 Depth=1
	s_or_b32 exec_lo, exec_lo, s51
.LBB47_1081:                            ;   in Loop: Header=BB47_3 Depth=1
	s_and_not1_saveexec_b32 s50, s50
	s_cbranch_execz .LBB47_1083
; %bb.1082:                             ;   in Loop: Header=BB47_3 Depth=1
	v_lshl_add_u64 v[32:33], v[16:17], 3, s[84:85]
	global_load_b64 v[32:33], v[32:33], off
	s_wait_loadcnt 0x0
	v_div_scale_f64 v[34:35], null, v[32:33], v[32:33], 1.0
	s_delay_alu instid0(VALU_DEP_1) | instskip(SKIP_1) | instid1(TRANS32_DEP_1)
	v_rcp_f64_e32 v[36:37], v[34:35]
	v_nop
	v_fma_f64 v[38:39], -v[34:35], v[36:37], 1.0
	s_delay_alu instid0(VALU_DEP_1) | instskip(NEXT) | instid1(VALU_DEP_1)
	v_fmac_f64_e32 v[36:37], v[36:37], v[38:39]
	v_fma_f64 v[38:39], -v[34:35], v[36:37], 1.0
	s_delay_alu instid0(VALU_DEP_1) | instskip(SKIP_1) | instid1(VALU_DEP_1)
	v_fmac_f64_e32 v[36:37], v[36:37], v[38:39]
	v_div_scale_f64 v[38:39], vcc_lo, 1.0, v[32:33], 1.0
	v_mul_f64_e32 v[92:93], v[38:39], v[36:37]
	s_delay_alu instid0(VALU_DEP_1) | instskip(NEXT) | instid1(VALU_DEP_1)
	v_fma_f64 v[34:35], -v[34:35], v[92:93], v[38:39]
	v_div_fmas_f64 v[34:35], v[34:35], v[36:37], v[92:93]
	s_delay_alu instid0(VALU_DEP_1)
	v_div_fixup_f64 v[32:33], v[34:35], v[32:33], 1.0
	ds_store_b64 v75, v[32:33]
.LBB47_1083:                            ;   in Loop: Header=BB47_3 Depth=1
	s_or_b32 exec_lo, exec_lo, s50
	s_and_not1_saveexec_b32 s50, s65
	s_cbranch_execz .LBB47_20
.LBB47_1084:                            ;   in Loop: Header=BB47_3 Depth=1
	v_lshl_add_u64 v[32:33], v[16:17], 3, s[84:85]
	global_load_b64 v[32:33], v[32:33], off
	s_wait_loadcnt 0x0
	v_xor_b32_e32 v33, 0x80000000, v33
	ds_store_b64 v75, v[32:33]
	s_or_b32 exec_lo, exec_lo, s50
	s_and_saveexec_b32 s50, s9
	s_delay_alu instid0(SALU_CYCLE_1)
	s_xor_b32 s65, exec_lo, s50
	s_cbranch_execz .LBB47_21
.LBB47_1085:                            ;   in Loop: Header=BB47_3 Depth=1
	s_mov_b32 s50, exec_lo
	v_readlane_b32 s51, v98, 27
	s_and_b32 s51, s50, s51
	s_delay_alu instid0(SALU_CYCLE_1)
	s_xor_b32 s50, s51, s50
	s_mov_b32 exec_lo, s51
	s_cbranch_execz .LBB47_1089
; %bb.1086:                             ;   in Loop: Header=BB47_3 Depth=1
	s_mov_b32 s51, exec_lo
	v_readlane_b32 s52, v96, 2
	s_and_b32 s52, s51, s52
	s_delay_alu instid0(SALU_CYCLE_1)
	s_mov_b32 exec_lo, s52
; %bb.1087:                             ;   in Loop: Header=BB47_3 Depth=1
	ds_store_b64 v76, v[20:21]
; %bb.1088:                             ;   in Loop: Header=BB47_3 Depth=1
	s_or_b32 exec_lo, exec_lo, s51
.LBB47_1089:                            ;   in Loop: Header=BB47_3 Depth=1
	s_and_not1_saveexec_b32 s50, s50
	s_cbranch_execz .LBB47_1091
; %bb.1090:                             ;   in Loop: Header=BB47_3 Depth=1
	v_lshl_add_u64 v[32:33], v[18:19], 3, s[84:85]
	global_load_b64 v[32:33], v[32:33], off
	s_wait_loadcnt 0x0
	v_div_scale_f64 v[34:35], null, v[32:33], v[32:33], 1.0
	s_delay_alu instid0(VALU_DEP_1) | instskip(SKIP_1) | instid1(TRANS32_DEP_1)
	v_rcp_f64_e32 v[36:37], v[34:35]
	v_nop
	v_fma_f64 v[38:39], -v[34:35], v[36:37], 1.0
	s_delay_alu instid0(VALU_DEP_1) | instskip(NEXT) | instid1(VALU_DEP_1)
	v_fmac_f64_e32 v[36:37], v[36:37], v[38:39]
	v_fma_f64 v[38:39], -v[34:35], v[36:37], 1.0
	s_delay_alu instid0(VALU_DEP_1) | instskip(SKIP_1) | instid1(VALU_DEP_1)
	v_fmac_f64_e32 v[36:37], v[36:37], v[38:39]
	v_div_scale_f64 v[38:39], vcc_lo, 1.0, v[32:33], 1.0
	v_mul_f64_e32 v[92:93], v[38:39], v[36:37]
	s_delay_alu instid0(VALU_DEP_1) | instskip(NEXT) | instid1(VALU_DEP_1)
	v_fma_f64 v[34:35], -v[34:35], v[92:93], v[38:39]
	v_div_fmas_f64 v[34:35], v[34:35], v[36:37], v[92:93]
	s_delay_alu instid0(VALU_DEP_1)
	v_div_fixup_f64 v[32:33], v[34:35], v[32:33], 1.0
	ds_store_b64 v76, v[32:33]
.LBB47_1091:                            ;   in Loop: Header=BB47_3 Depth=1
	s_or_b32 exec_lo, exec_lo, s50
	s_and_not1_saveexec_b32 s50, s65
	s_cbranch_execnz .LBB47_22
	s_branch .LBB47_23
.LBB47_1092:                            ;   in Loop: Header=BB47_3 Depth=1
	ds_load_b64 v[30:31], v89
	ds_load_b64 v[34:35], v79
	s_wait_dscnt 0x0
	v_fma_f64 v[30:31], v[30:31], v[34:35], 0
	s_or_b32 exec_lo, exec_lo, s50
	s_and_saveexec_b32 s50, s7
	s_cbranch_execz .LBB47_1031
.LBB47_1093:                            ;   in Loop: Header=BB47_3 Depth=1
	ds_load_b64 v[34:35], v89 offset:8192
	ds_load_b64 v[36:37], v79 offset:128
	s_wait_dscnt 0x0
	v_fmac_f64_e32 v[30:31], v[34:35], v[36:37]
	s_or_b32 exec_lo, exec_lo, s50
	s_and_saveexec_b32 s50, s8
	s_cbranch_execz .LBB47_1032
.LBB47_1094:                            ;   in Loop: Header=BB47_3 Depth=1
	ds_load_b64 v[34:35], v89 offset:16384
	ds_load_b64 v[36:37], v79 offset:256
	s_wait_dscnt 0x0
	v_fmac_f64_e32 v[30:31], v[34:35], v[36:37]
	s_or_b32 exec_lo, exec_lo, s50
	s_and_saveexec_b32 s50, s9
	s_cbranch_execnz .LBB47_1033
	s_branch .LBB47_1034
.LBB47_1095:                            ;   in Loop: Header=BB47_3 Depth=1
	s_or_b32 exec_lo, exec_lo, s87
	s_delay_alu instid0(SALU_CYCLE_1)
	s_and_b32 vcc_lo, exec_lo, s65
	s_cbranch_vccnz .LBB47_1037
.LBB47_1096:                            ;   in Loop: Header=BB47_3 Depth=1
	s_delay_alu instid0(VALU_DEP_1)
	v_mov_b64_e32 v[32:33], v[34:35]
	s_and_saveexec_b32 s50, s86
	s_cbranch_execnz .LBB47_1058
	s_branch .LBB47_1059
.LBB47_1097:                            ;   in Loop: Header=BB47_3 Depth=1
	s_and_not1_b32 s51, s86, exec_lo
	s_and_b32 s52, s1, exec_lo
	s_delay_alu instid0(SALU_CYCLE_1)
	s_or_b32 s86, s51, s52
	s_cbranch_execnz .LBB47_1057
.LBB47_1098:                            ;   in Loop: Header=BB47_3 Depth=1
	v_readlane_b32 s51, v98, 12
	s_and_not1_b32 s50, s86, exec_lo
	s_and_b32 s51, s51, exec_lo
	s_delay_alu instid0(SALU_CYCLE_1) | instskip(NEXT) | instid1(SALU_CYCLE_1)
	s_or_b32 s86, s50, s51
	s_and_saveexec_b32 s50, s86
	s_cbranch_execnz .LBB47_1058
	s_branch .LBB47_1059
.LBB47_1099:                            ;   in Loop: Header=BB47_3 Depth=1
	ds_load_b64 v[34:35], v49 offset:544
	ds_load_b64 v[36:37], v44 offset:8
	s_wait_dscnt 0x0
	v_fmac_f64_e32 v[32:33], v[34:35], v[36:37]
	s_or_b32 exec_lo, exec_lo, s50
	s_and_saveexec_b32 s50, s17
	s_cbranch_execz .LBB47_88
.LBB47_1100:                            ;   in Loop: Header=BB47_3 Depth=1
	ds_load_b64 v[34:35], v48 offset:1056
	ds_load_b64 v[36:37], v44 offset:16
	s_wait_dscnt 0x0
	v_fmac_f64_e32 v[32:33], v[34:35], v[36:37]
	s_or_b32 exec_lo, exec_lo, s50
	s_and_saveexec_b32 s50, s0
	s_cbranch_execnz .LBB47_89
	s_branch .LBB47_90
.LBB47_1101:                            ;   in Loop: Header=BB47_3 Depth=1
	ds_load_b64 v[34:35], v58 offset:576
	ds_load_b64 v[36:37], v53 offset:8
	s_wait_dscnt 0x0
	v_fmac_f64_e32 v[32:33], v[34:35], v[36:37]
	s_or_b32 exec_lo, exec_lo, s50
	s_and_saveexec_b32 s50, s19
	s_cbranch_execz .LBB47_130
.LBB47_1102:                            ;   in Loop: Header=BB47_3 Depth=1
	ds_load_b64 v[34:35], v58 offset:1088
	ds_load_b64 v[36:37], v53 offset:16
	s_wait_dscnt 0x0
	v_fmac_f64_e32 v[32:33], v[34:35], v[36:37]
	s_or_b32 exec_lo, exec_lo, s50
	s_and_saveexec_b32 s50, s20
	s_cbranch_execz .LBB47_131
.LBB47_1103:                            ;   in Loop: Header=BB47_3 Depth=1
	ds_load_b64 v[34:35], v58 offset:1600
	ds_load_b64 v[36:37], v53 offset:24
	s_wait_dscnt 0x0
	v_fmac_f64_e32 v[32:33], v[34:35], v[36:37]
	s_or_b32 exec_lo, exec_lo, s50
	s_and_saveexec_b32 s50, s21
	s_cbranch_execz .LBB47_132
.LBB47_1104:                            ;   in Loop: Header=BB47_3 Depth=1
	ds_load_b64 v[34:35], v57 offset:2112
	ds_load_b64 v[36:37], v53 offset:32
	s_wait_dscnt 0x0
	v_fmac_f64_e32 v[32:33], v[34:35], v[36:37]
	s_or_b32 exec_lo, exec_lo, s50
	s_and_saveexec_b32 s50, s22
	s_cbranch_execz .LBB47_133
.LBB47_1105:                            ;   in Loop: Header=BB47_3 Depth=1
	ds_load_b64 v[34:35], v58 offset:2624
	ds_load_b64 v[36:37], v53 offset:40
	s_wait_dscnt 0x0
	v_fmac_f64_e32 v[32:33], v[34:35], v[36:37]
	s_or_b32 exec_lo, exec_lo, s50
	s_and_saveexec_b32 s50, s2
	s_cbranch_execz .LBB47_134
.LBB47_1106:                            ;   in Loop: Header=BB47_3 Depth=1
	ds_load_b64 v[34:35], v57 offset:3136
	ds_load_b64 v[36:37], v53 offset:48
	s_wait_dscnt 0x0
	v_fmac_f64_e32 v[32:33], v[34:35], v[36:37]
	s_or_b32 exec_lo, exec_lo, s50
	s_and_saveexec_b32 s50, s17
	s_cbranch_execnz .LBB47_135
	s_branch .LBB47_136
.LBB47_1107:                            ;   in Loop: Header=BB47_3 Depth=1
	ds_load_b64 v[34:35], v49 offset:4704
	ds_load_b64 v[36:37], v44 offset:4168
	s_wait_dscnt 0x0
	v_fmac_f64_e32 v[32:33], v[34:35], v[36:37]
	s_or_b32 exec_lo, exec_lo, s50
	s_and_saveexec_b32 s50, s17
	s_cbranch_execz .LBB47_192
.LBB47_1108:                            ;   in Loop: Header=BB47_3 Depth=1
	ds_load_b64 v[34:35], v48 offset:5216
	ds_load_b64 v[36:37], v44 offset:4176
	s_wait_dscnt 0x0
	v_fmac_f64_e32 v[32:33], v[34:35], v[36:37]
	s_or_b32 exec_lo, exec_lo, s50
	s_and_saveexec_b32 s50, s0
	s_cbranch_execnz .LBB47_193
	s_branch .LBB47_194
.LBB47_1109:                            ;   in Loop: Header=BB47_3 Depth=1
	ds_load_b64 v[34:35], v64 offset:5760
	ds_load_b64 v[36:37], v60 offset:88
	s_wait_dscnt 0x0
	v_fmac_f64_e32 v[32:33], v[34:35], v[36:37]
	s_or_b32 exec_lo, exec_lo, s50
	s_and_saveexec_b32 s50, s3
	s_cbranch_execz .LBB47_254
.LBB47_1110:                            ;   in Loop: Header=BB47_3 Depth=1
	ds_load_b64 v[34:35], v63 offset:6272
	ds_load_b64 v[36:37], v60 offset:96
	s_wait_dscnt 0x0
	v_fmac_f64_e32 v[32:33], v[34:35], v[36:37]
	s_or_b32 exec_lo, exec_lo, s50
	s_and_saveexec_b32 s50, s19
	s_cbranch_execz .LBB47_255
.LBB47_1111:                            ;   in Loop: Header=BB47_3 Depth=1
	ds_load_b64 v[34:35], v64 offset:6784
	ds_load_b64 v[36:37], v60 offset:104
	s_wait_dscnt 0x0
	v_fmac_f64_e32 v[32:33], v[34:35], v[36:37]
	s_or_b32 exec_lo, exec_lo, s50
	s_and_saveexec_b32 s50, s21
	s_cbranch_execz .LBB47_256
.LBB47_1112:                            ;   in Loop: Header=BB47_3 Depth=1
	ds_load_b64 v[34:35], v63 offset:7296
	ds_load_b64 v[36:37], v60 offset:112
	s_wait_dscnt 0x0
	v_fmac_f64_e32 v[32:33], v[34:35], v[36:37]
	s_or_b32 exec_lo, exec_lo, s50
	s_and_saveexec_b32 s50, s2
	s_cbranch_execnz .LBB47_257
	s_branch .LBB47_258
.LBB47_1113:                            ;   in Loop: Header=BB47_3 Depth=1
	ds_load_b64 v[34:35], v49 offset:8864
	ds_load_b64 v[36:37], v44 offset:8328
	s_wait_dscnt 0x0
	v_fmac_f64_e32 v[32:33], v[34:35], v[36:37]
	s_or_b32 exec_lo, exec_lo, s50
	s_and_saveexec_b32 s50, s17
	s_cbranch_execz .LBB47_346
.LBB47_1114:                            ;   in Loop: Header=BB47_3 Depth=1
	ds_load_b64 v[34:35], v48 offset:9376
	ds_load_b64 v[36:37], v44 offset:8336
	s_wait_dscnt 0x0
	v_fmac_f64_e32 v[32:33], v[34:35], v[36:37]
	s_or_b32 exec_lo, exec_lo, s50
	s_and_saveexec_b32 s50, s0
	s_cbranch_execnz .LBB47_347
	s_branch .LBB47_348
.LBB47_1115:                            ;   in Loop: Header=BB47_3 Depth=1
	ds_load_b64 v[34:35], v58 offset:8896
	ds_load_b64 v[36:37], v53 offset:8328
	s_wait_dscnt 0x0
	v_fmac_f64_e32 v[32:33], v[34:35], v[36:37]
	s_or_b32 exec_lo, exec_lo, s50
	s_and_saveexec_b32 s50, s19
	s_cbranch_execz .LBB47_388
.LBB47_1116:                            ;   in Loop: Header=BB47_3 Depth=1
	ds_load_b64 v[34:35], v58 offset:9408
	ds_load_b64 v[36:37], v53 offset:8336
	s_wait_dscnt 0x0
	v_fmac_f64_e32 v[32:33], v[34:35], v[36:37]
	s_or_b32 exec_lo, exec_lo, s50
	s_and_saveexec_b32 s50, s20
	s_cbranch_execz .LBB47_389
.LBB47_1117:                            ;   in Loop: Header=BB47_3 Depth=1
	ds_load_b64 v[34:35], v58 offset:9920
	ds_load_b64 v[36:37], v53 offset:8344
	s_wait_dscnt 0x0
	v_fmac_f64_e32 v[32:33], v[34:35], v[36:37]
	s_or_b32 exec_lo, exec_lo, s50
	s_and_saveexec_b32 s50, s21
	s_cbranch_execz .LBB47_390
.LBB47_1118:                            ;   in Loop: Header=BB47_3 Depth=1
	ds_load_b64 v[34:35], v57 offset:10432
	ds_load_b64 v[36:37], v53 offset:8352
	s_wait_dscnt 0x0
	v_fmac_f64_e32 v[32:33], v[34:35], v[36:37]
	s_or_b32 exec_lo, exec_lo, s50
	s_and_saveexec_b32 s50, s22
	s_cbranch_execz .LBB47_391
.LBB47_1119:                            ;   in Loop: Header=BB47_3 Depth=1
	ds_load_b64 v[34:35], v58 offset:10944
	ds_load_b64 v[36:37], v53 offset:8360
	s_wait_dscnt 0x0
	v_fmac_f64_e32 v[32:33], v[34:35], v[36:37]
	s_or_b32 exec_lo, exec_lo, s50
	s_and_saveexec_b32 s50, s2
	s_cbranch_execz .LBB47_392
.LBB47_1120:                            ;   in Loop: Header=BB47_3 Depth=1
	ds_load_b64 v[34:35], v57 offset:11456
	ds_load_b64 v[36:37], v53 offset:8368
	s_wait_dscnt 0x0
	v_fmac_f64_e32 v[32:33], v[34:35], v[36:37]
	s_or_b32 exec_lo, exec_lo, s50
	s_and_saveexec_b32 s50, s17
	s_cbranch_execnz .LBB47_393
	s_branch .LBB47_394
.LBB47_1121:                            ;   in Loop: Header=BB47_3 Depth=1
	ds_load_b64 v[34:35], v49 offset:13024
	ds_load_b64 v[36:37], v44 offset:12488
	s_wait_dscnt 0x0
	v_fmac_f64_e32 v[32:33], v[34:35], v[36:37]
	s_or_b32 exec_lo, exec_lo, s50
	s_and_saveexec_b32 s50, s17
	s_cbranch_execz .LBB47_450
.LBB47_1122:                            ;   in Loop: Header=BB47_3 Depth=1
	ds_load_b64 v[34:35], v48 offset:13536
	ds_load_b64 v[36:37], v44 offset:12496
	s_wait_dscnt 0x0
	v_fmac_f64_e32 v[32:33], v[34:35], v[36:37]
	s_or_b32 exec_lo, exec_lo, s50
	s_and_saveexec_b32 s50, s0
	s_cbranch_execnz .LBB47_451
	s_branch .LBB47_452
.LBB47_1123:                            ;   in Loop: Header=BB47_3 Depth=1
	ds_load_b64 v[36:37], v83 offset:15104
	ds_load_b64 v[38:39], v34 offset:232
	s_wait_dscnt 0x0
	v_fmac_f64_e32 v[32:33], v[36:37], v[38:39]
	s_or_b32 exec_lo, exec_lo, s50
	s_and_saveexec_b32 s50, s3
	s_cbranch_execz .LBB47_548
.LBB47_1124:                            ;   in Loop: Header=BB47_3 Depth=1
	ds_load_b64 v[36:37], v83 offset:15616
	ds_load_b64 v[34:35], v34 offset:240
	s_wait_dscnt 0x0
	v_fmac_f64_e32 v[32:33], v[36:37], v[34:35]
	s_or_b32 exec_lo, exec_lo, s50
	s_and_saveexec_b32 s50, s21
	s_cbranch_execnz .LBB47_549
	s_branch .LBB47_550
.LBB47_1125:                            ;   in Loop: Header=BB47_3 Depth=1
	ds_load_b64 v[34:35], v49 offset:17184
	ds_load_b64 v[36:37], v44 offset:16648
	s_wait_dscnt 0x0
	v_fmac_f64_e32 v[32:33], v[34:35], v[36:37]
	s_or_b32 exec_lo, exec_lo, s50
	s_and_saveexec_b32 s50, s17
	s_cbranch_execz .LBB47_594
.LBB47_1126:                            ;   in Loop: Header=BB47_3 Depth=1
	ds_load_b64 v[34:35], v48 offset:17696
	ds_load_b64 v[36:37], v44 offset:16656
	s_wait_dscnt 0x0
	v_fmac_f64_e32 v[32:33], v[34:35], v[36:37]
	s_or_b32 exec_lo, exec_lo, s50
	s_and_saveexec_b32 s50, s0
	s_cbranch_execnz .LBB47_595
	s_branch .LBB47_596
.LBB47_1127:                            ;   in Loop: Header=BB47_3 Depth=1
	ds_load_b64 v[34:35], v58 offset:17216
	ds_load_b64 v[36:37], v53 offset:16648
	s_wait_dscnt 0x0
	v_fmac_f64_e32 v[32:33], v[34:35], v[36:37]
	s_or_b32 exec_lo, exec_lo, s50
	s_and_saveexec_b32 s50, s19
	s_cbranch_execz .LBB47_636
.LBB47_1128:                            ;   in Loop: Header=BB47_3 Depth=1
	ds_load_b64 v[34:35], v58 offset:17728
	ds_load_b64 v[36:37], v53 offset:16656
	s_wait_dscnt 0x0
	v_fmac_f64_e32 v[32:33], v[34:35], v[36:37]
	s_or_b32 exec_lo, exec_lo, s50
	s_and_saveexec_b32 s50, s20
	s_cbranch_execz .LBB47_637
.LBB47_1129:                            ;   in Loop: Header=BB47_3 Depth=1
	ds_load_b64 v[34:35], v58 offset:18240
	ds_load_b64 v[36:37], v53 offset:16664
	s_wait_dscnt 0x0
	v_fmac_f64_e32 v[32:33], v[34:35], v[36:37]
	s_or_b32 exec_lo, exec_lo, s50
	s_and_saveexec_b32 s50, s21
	s_cbranch_execz .LBB47_638
.LBB47_1130:                            ;   in Loop: Header=BB47_3 Depth=1
	ds_load_b64 v[34:35], v57 offset:18752
	ds_load_b64 v[36:37], v53 offset:16672
	s_wait_dscnt 0x0
	v_fmac_f64_e32 v[32:33], v[34:35], v[36:37]
	s_or_b32 exec_lo, exec_lo, s50
	s_and_saveexec_b32 s50, s22
	s_cbranch_execz .LBB47_639
.LBB47_1131:                            ;   in Loop: Header=BB47_3 Depth=1
	ds_load_b64 v[34:35], v58 offset:19264
	ds_load_b64 v[36:37], v53 offset:16680
	s_wait_dscnt 0x0
	v_fmac_f64_e32 v[32:33], v[34:35], v[36:37]
	s_or_b32 exec_lo, exec_lo, s50
	s_and_saveexec_b32 s50, s2
	s_cbranch_execz .LBB47_640
.LBB47_1132:                            ;   in Loop: Header=BB47_3 Depth=1
	ds_load_b64 v[34:35], v57 offset:19776
	ds_load_b64 v[36:37], v53 offset:16688
	s_wait_dscnt 0x0
	v_fmac_f64_e32 v[32:33], v[34:35], v[36:37]
	s_or_b32 exec_lo, exec_lo, s50
	s_and_saveexec_b32 s50, s17
	s_cbranch_execnz .LBB47_641
	s_branch .LBB47_642
.LBB47_1133:                            ;   in Loop: Header=BB47_3 Depth=1
	ds_load_b64 v[34:35], v49 offset:21344
	ds_load_b64 v[36:37], v44 offset:20808
	s_wait_dscnt 0x0
	v_fmac_f64_e32 v[32:33], v[34:35], v[36:37]
	s_or_b32 exec_lo, exec_lo, s50
	s_and_saveexec_b32 s50, s17
	s_cbranch_execz .LBB47_698
.LBB47_1134:                            ;   in Loop: Header=BB47_3 Depth=1
	ds_load_b64 v[34:35], v48 offset:21856
	ds_load_b64 v[36:37], v44 offset:20816
	s_wait_dscnt 0x0
	v_fmac_f64_e32 v[32:33], v[34:35], v[36:37]
	s_or_b32 exec_lo, exec_lo, s50
	s_and_saveexec_b32 s50, s0
	s_cbranch_execnz .LBB47_699
	s_branch .LBB47_700
.LBB47_1135:                            ;   in Loop: Header=BB47_3 Depth=1
	ds_load_b64 v[34:35], v64 offset:22400
	ds_load_b64 v[36:37], v60 offset:16728
	s_wait_dscnt 0x0
	v_fmac_f64_e32 v[32:33], v[34:35], v[36:37]
	s_or_b32 exec_lo, exec_lo, s50
	s_and_saveexec_b32 s50, s3
	s_cbranch_execz .LBB47_760
.LBB47_1136:                            ;   in Loop: Header=BB47_3 Depth=1
	ds_load_b64 v[34:35], v63 offset:22912
	ds_load_b64 v[36:37], v60 offset:16736
	s_wait_dscnt 0x0
	v_fmac_f64_e32 v[32:33], v[34:35], v[36:37]
	s_or_b32 exec_lo, exec_lo, s50
	s_and_saveexec_b32 s50, s19
	s_cbranch_execz .LBB47_761
.LBB47_1137:                            ;   in Loop: Header=BB47_3 Depth=1
	ds_load_b64 v[34:35], v64 offset:23424
	ds_load_b64 v[36:37], v60 offset:16744
	s_wait_dscnt 0x0
	v_fmac_f64_e32 v[32:33], v[34:35], v[36:37]
	s_or_b32 exec_lo, exec_lo, s50
	s_and_saveexec_b32 s50, s21
	s_cbranch_execz .LBB47_762
.LBB47_1138:                            ;   in Loop: Header=BB47_3 Depth=1
	ds_load_b64 v[34:35], v63 offset:23936
	ds_load_b64 v[36:37], v60 offset:16752
	s_wait_dscnt 0x0
	v_fmac_f64_e32 v[32:33], v[34:35], v[36:37]
	s_or_b32 exec_lo, exec_lo, s50
	s_and_saveexec_b32 s50, s2
	s_cbranch_execnz .LBB47_763
	s_branch .LBB47_764
.LBB47_1139:                            ;   in Loop: Header=BB47_3 Depth=1
	ds_load_b64 v[34:35], v49 offset:25504
	ds_load_b64 v[36:37], v44 offset:24968
	s_wait_dscnt 0x0
	v_fmac_f64_e32 v[32:33], v[34:35], v[36:37]
	s_or_b32 exec_lo, exec_lo, s50
	s_and_saveexec_b32 s50, s17
	s_cbranch_execz .LBB47_852
.LBB47_1140:                            ;   in Loop: Header=BB47_3 Depth=1
	ds_load_b64 v[34:35], v48 offset:26016
	ds_load_b64 v[36:37], v44 offset:24976
	s_wait_dscnt 0x0
	v_fmac_f64_e32 v[32:33], v[34:35], v[36:37]
	s_or_b32 exec_lo, exec_lo, s50
	s_and_saveexec_b32 s50, s0
	s_cbranch_execnz .LBB47_853
	s_branch .LBB47_854
.LBB47_1141:                            ;   in Loop: Header=BB47_3 Depth=1
	ds_load_b64 v[34:35], v58 offset:25536
	ds_load_b64 v[36:37], v53 offset:24968
	s_wait_dscnt 0x0
	v_fmac_f64_e32 v[32:33], v[34:35], v[36:37]
	s_or_b32 exec_lo, exec_lo, s50
	s_and_saveexec_b32 s50, s19
	s_cbranch_execz .LBB47_894
.LBB47_1142:                            ;   in Loop: Header=BB47_3 Depth=1
	ds_load_b64 v[34:35], v58 offset:26048
	ds_load_b64 v[36:37], v53 offset:24976
	s_wait_dscnt 0x0
	v_fmac_f64_e32 v[32:33], v[34:35], v[36:37]
	s_or_b32 exec_lo, exec_lo, s50
	s_and_saveexec_b32 s50, s20
	s_cbranch_execz .LBB47_895
.LBB47_1143:                            ;   in Loop: Header=BB47_3 Depth=1
	ds_load_b64 v[34:35], v58 offset:26560
	ds_load_b64 v[36:37], v53 offset:24984
	s_wait_dscnt 0x0
	v_fmac_f64_e32 v[32:33], v[34:35], v[36:37]
	s_or_b32 exec_lo, exec_lo, s50
	s_and_saveexec_b32 s50, s21
	s_cbranch_execz .LBB47_896
.LBB47_1144:                            ;   in Loop: Header=BB47_3 Depth=1
	ds_load_b64 v[34:35], v57 offset:27072
	ds_load_b64 v[36:37], v53 offset:24992
	s_wait_dscnt 0x0
	v_fmac_f64_e32 v[32:33], v[34:35], v[36:37]
	s_or_b32 exec_lo, exec_lo, s50
	s_and_saveexec_b32 s50, s22
	s_cbranch_execz .LBB47_897
.LBB47_1145:                            ;   in Loop: Header=BB47_3 Depth=1
	ds_load_b64 v[34:35], v58 offset:27584
	ds_load_b64 v[36:37], v53 offset:25000
	s_wait_dscnt 0x0
	v_fmac_f64_e32 v[32:33], v[34:35], v[36:37]
	s_or_b32 exec_lo, exec_lo, s50
	s_and_saveexec_b32 s50, s2
	s_cbranch_execz .LBB47_898
.LBB47_1146:                            ;   in Loop: Header=BB47_3 Depth=1
	ds_load_b64 v[34:35], v57 offset:28096
	ds_load_b64 v[36:37], v53 offset:25008
	s_wait_dscnt 0x0
	v_fmac_f64_e32 v[32:33], v[34:35], v[36:37]
	s_or_b32 exec_lo, exec_lo, s50
	s_and_saveexec_b32 s50, s17
	s_cbranch_execnz .LBB47_899
	s_branch .LBB47_900
.LBB47_1147:                            ;   in Loop: Header=BB47_3 Depth=1
	ds_load_b64 v[34:35], v49 offset:29664
	ds_load_b64 v[36:37], v44 offset:29128
	s_wait_dscnt 0x0
	v_fmac_f64_e32 v[32:33], v[34:35], v[36:37]
	s_or_b32 exec_lo, exec_lo, s50
	s_and_saveexec_b32 s50, s17
	s_cbranch_execz .LBB47_956
.LBB47_1148:                            ;   in Loop: Header=BB47_3 Depth=1
	ds_load_b64 v[34:35], v48 offset:30176
	ds_load_b64 v[36:37], v44 offset:29136
	s_wait_dscnt 0x0
	v_fmac_f64_e32 v[32:33], v[34:35], v[36:37]
	s_or_b32 exec_lo, exec_lo, s50
	s_and_saveexec_b32 s50, s0
	s_cbranch_execnz .LBB47_957
	s_branch .LBB47_958
.LBB47_1149:
	s_endpgm
	.section	.rodata,"a",@progbits
	.p2align	6, 0x0
	.amdhsa_kernel _ZL19rocblas_trsv_deviceILi64ELi16ELb1ELb1ELb0ELb0EddPKdPdEviT7_lllT6_T8_lllPii
		.amdhsa_group_segment_fixed_size 41480
		.amdhsa_private_segment_fixed_size 0
		.amdhsa_kernarg_size 352
		.amdhsa_user_sgpr_count 2
		.amdhsa_user_sgpr_dispatch_ptr 0
		.amdhsa_user_sgpr_queue_ptr 0
		.amdhsa_user_sgpr_kernarg_segment_ptr 1
		.amdhsa_user_sgpr_dispatch_id 0
		.amdhsa_user_sgpr_kernarg_preload_length 0
		.amdhsa_user_sgpr_kernarg_preload_offset 0
		.amdhsa_user_sgpr_private_segment_size 0
		.amdhsa_wavefront_size32 1
		.amdhsa_uses_dynamic_stack 0
		.amdhsa_enable_private_segment 0
		.amdhsa_system_sgpr_workgroup_id_x 1
		.amdhsa_system_sgpr_workgroup_id_y 0
		.amdhsa_system_sgpr_workgroup_id_z 1
		.amdhsa_system_sgpr_workgroup_info 0
		.amdhsa_system_vgpr_workitem_id 1
		.amdhsa_next_free_vgpr 99
		.amdhsa_next_free_sgpr 105
		.amdhsa_named_barrier_count 0
		.amdhsa_reserve_vcc 1
		.amdhsa_float_round_mode_32 0
		.amdhsa_float_round_mode_16_64 0
		.amdhsa_float_denorm_mode_32 3
		.amdhsa_float_denorm_mode_16_64 3
		.amdhsa_fp16_overflow 0
		.amdhsa_memory_ordered 1
		.amdhsa_forward_progress 1
		.amdhsa_inst_pref_size 255
		.amdhsa_round_robin_scheduling 0
		.amdhsa_exception_fp_ieee_invalid_op 0
		.amdhsa_exception_fp_denorm_src 0
		.amdhsa_exception_fp_ieee_div_zero 0
		.amdhsa_exception_fp_ieee_overflow 0
		.amdhsa_exception_fp_ieee_underflow 0
		.amdhsa_exception_fp_ieee_inexact 0
		.amdhsa_exception_int_div_zero 0
	.end_amdhsa_kernel
	.section	.text._ZL19rocblas_trsv_deviceILi64ELi16ELb1ELb1ELb0ELb0EddPKdPdEviT7_lllT6_T8_lllPii,"axG",@progbits,_ZL19rocblas_trsv_deviceILi64ELi16ELb1ELb1ELb0ELb0EddPKdPdEviT7_lllT6_T8_lllPii,comdat
.Lfunc_end47:
	.size	_ZL19rocblas_trsv_deviceILi64ELi16ELb1ELb1ELb0ELb0EddPKdPdEviT7_lllT6_T8_lllPii, .Lfunc_end47-_ZL19rocblas_trsv_deviceILi64ELi16ELb1ELb1ELb0ELb0EddPKdPdEviT7_lllT6_T8_lllPii
                                        ; -- End function
	.set _ZL19rocblas_trsv_deviceILi64ELi16ELb1ELb1ELb0ELb0EddPKdPdEviT7_lllT6_T8_lllPii.num_vgpr, 99
	.set _ZL19rocblas_trsv_deviceILi64ELi16ELb1ELb1ELb0ELb0EddPKdPdEviT7_lllT6_T8_lllPii.num_agpr, 0
	.set _ZL19rocblas_trsv_deviceILi64ELi16ELb1ELb1ELb0ELb0EddPKdPdEviT7_lllT6_T8_lllPii.numbered_sgpr, 105
	.set _ZL19rocblas_trsv_deviceILi64ELi16ELb1ELb1ELb0ELb0EddPKdPdEviT7_lllT6_T8_lllPii.num_named_barrier, 0
	.set _ZL19rocblas_trsv_deviceILi64ELi16ELb1ELb1ELb0ELb0EddPKdPdEviT7_lllT6_T8_lllPii.private_seg_size, 0
	.set _ZL19rocblas_trsv_deviceILi64ELi16ELb1ELb1ELb0ELb0EddPKdPdEviT7_lllT6_T8_lllPii.uses_vcc, 1
	.set _ZL19rocblas_trsv_deviceILi64ELi16ELb1ELb1ELb0ELb0EddPKdPdEviT7_lllT6_T8_lllPii.uses_flat_scratch, 0
	.set _ZL19rocblas_trsv_deviceILi64ELi16ELb1ELb1ELb0ELb0EddPKdPdEviT7_lllT6_T8_lllPii.has_dyn_sized_stack, 0
	.set _ZL19rocblas_trsv_deviceILi64ELi16ELb1ELb1ELb0ELb0EddPKdPdEviT7_lllT6_T8_lllPii.has_recursion, 0
	.set _ZL19rocblas_trsv_deviceILi64ELi16ELb1ELb1ELb0ELb0EddPKdPdEviT7_lllT6_T8_lllPii.has_indirect_call, 0
	.section	.AMDGPU.csdata,"",@progbits
; Kernel info:
; codeLenInByte = 35580
; TotalNumSgprs: 107
; NumVgprs: 99
; ScratchSize: 0
; MemoryBound: 0
; FloatMode: 240
; IeeeMode: 1
; LDSByteSize: 41480 bytes/workgroup (compile time only)
; SGPRBlocks: 0
; VGPRBlocks: 6
; NumSGPRsForWavesPerEU: 107
; NumVGPRsForWavesPerEU: 99
; NamedBarCnt: 0
; Occupancy: 9
; WaveLimiterHint : 0
; COMPUTE_PGM_RSRC2:SCRATCH_EN: 0
; COMPUTE_PGM_RSRC2:USER_SGPR: 2
; COMPUTE_PGM_RSRC2:TRAP_HANDLER: 0
; COMPUTE_PGM_RSRC2:TGID_X_EN: 1
; COMPUTE_PGM_RSRC2:TGID_Y_EN: 0
; COMPUTE_PGM_RSRC2:TGID_Z_EN: 1
; COMPUTE_PGM_RSRC2:TIDIG_COMP_CNT: 1
	.section	.text._ZL19rocblas_trsv_deviceILi64ELi16ELb1ELb1ELb1ELb0EddPKdPdEviT7_lllT6_T8_lllPii,"axG",@progbits,_ZL19rocblas_trsv_deviceILi64ELi16ELb1ELb1ELb1ELb0EddPKdPdEviT7_lllT6_T8_lllPii,comdat
	.globl	_ZL19rocblas_trsv_deviceILi64ELi16ELb1ELb1ELb1ELb0EddPKdPdEviT7_lllT6_T8_lllPii ; -- Begin function _ZL19rocblas_trsv_deviceILi64ELi16ELb1ELb1ELb1ELb0EddPKdPdEviT7_lllT6_T8_lllPii
	.p2align	8
	.type	_ZL19rocblas_trsv_deviceILi64ELi16ELb1ELb1ELb1ELb0EddPKdPdEviT7_lllT6_T8_lllPii,@function
_ZL19rocblas_trsv_deviceILi64ELi16ELb1ELb1ELb1ELb0EddPKdPdEviT7_lllT6_T8_lllPii: ; @_ZL19rocblas_trsv_deviceILi64ELi16ELb1ELb1ELb1ELb0EddPKdPdEviT7_lllT6_T8_lllPii
; %bb.0:
	s_load_b32 s6, s[0:1], 0x58
	s_bfe_u32 s2, ttmp6, 0x40014
	s_lshr_b32 s3, ttmp7, 16
	s_add_co_i32 s2, s2, 1
	s_bfe_u32 s5, ttmp6, 0x40008
	s_mul_i32 s4, s3, s2
	s_getreg_b32 s2, hwreg(HW_REG_IB_STS2, 6, 4)
	s_add_co_i32 s5, s5, s4
	s_cmp_eq_u32 s2, 0
	s_mov_b32 s81, 0
	s_cselect_b32 s80, s3, s5
                                        ; implicit-def: $vgpr98 : SGPR spill to VGPR lane
	s_wait_kmcnt 0x0
	s_cmp_ge_u32 s80, s6
	v_writelane_b32 v98, s6, 0
	s_cbranch_scc1 .LBB48_1149
; %bb.1:
	s_clause 0x3
	s_load_b512 s[60:75], s[0:1], 0x8
	s_load_b32 s3, s[0:1], 0x6c
	s_load_b32 s90, s[0:1], 0x60
	;; [unrolled: 1-line block ×3, first 2 shown]
	s_bfe_u32 s5, ttmp6, 0x4000c
	s_and_b32 s4, ttmp6, 15
	s_add_co_i32 s5, s5, 1
	s_load_b128 s[76:79], s[0:1], 0x48
	s_mul_i32 s5, ttmp9, s5
	v_and_b32_e32 v2, 0x3ff, v0
	s_add_co_i32 s6, s4, s5
	v_mov_b32_e32 v5, 0
	v_bfe_u32 v40, v0, 10, 10
                                        ; implicit-def: $vgpr97 : SGPR spill to VGPR lane
                                        ; implicit-def: $vgpr96 : SGPR spill to VGPR lane
	s_delay_alu instid0(VALU_DEP_3) | instskip(NEXT) | instid1(VALU_DEP_3)
	v_dual_lshlrev_b32 v1, 6, v2 :: v_dual_bitop2_b32 v65, 31, v0 bitop3:0x40
	v_dual_lshlrev_b32 v43, 3, v2 :: v_dual_mov_b32 v3, v5
	s_delay_alu instid0(VALU_DEP_3)
	v_add_nc_u32_e32 v20, 16, v40
	v_lshl_add_u32 v30, v40, 6, v2
	v_add_nc_u32_e32 v25, 48, v40
	s_wait_kmcnt 0x0
	s_lshl_b64 s[0:1], s[62:63], 3
	s_lshl_b64 s[4:5], s[72:73], 3
	s_cmp_eq_u32 s2, 0
	s_add_nc_u64 s[0:1], s[60:61], s[0:1]
	s_cselect_b32 s89, ttmp9, s6
	s_add_co_i32 s2, s82, -1
	s_ashr_i32 s83, s82, 31
	s_and_b32 s6, s3, 0xffff
	s_ashr_i32 s3, s2, 31
	s_lshr_b32 s7, s83, 26
	s_lshr_b32 s3, s3, 26
	s_add_co_i32 s7, s82, s7
	s_add_co_i32 s90, s90, -1
	s_add_co_i32 s2, s2, s3
	s_and_not1_b32 s7, s7, 63
	s_sub_co_i32 s49, s90, s89
	s_ashr_i32 s2, s2, 6
	s_sub_co_i32 s9, s82, s7
	s_cmp_eq_u32 s2, s49
	v_lshl_add_u32 v14, v20, 6, v2
	s_cselect_b32 s2, -1, 0
	s_cmp_lg_u32 s9, 0
	v_mad_u32_u24 v4, v40, s6, v2
	s_cselect_b32 s3, -1, 0
	v_lshl_add_u32 v27, v25, 6, v2
	s_and_b32 s15, s3, s2
	v_add_nc_u32_e32 v24, 32, v40
	s_xor_b32 s91, s15, -1
	s_cmp_lg_u32 s89, 0
	v_cmp_le_i32_e64 s14, s9, v2
	s_cselect_b32 s2, -1, 0
	s_lshl_b32 s10, s49, 6
	v_writelane_b32 v98, s2, 1
	s_add_nc_u64 s[2:3], s[64:65], 1
	v_dual_add_nc_u32 v10, v40, v1 :: v_dual_add_nc_u32 v21, s10, v40
	s_cmp_lt_i32 s89, 5
	v_writelane_b32 v98, s0, 2
	v_mad_nc_u64_u32 v[18:19], s2, s10, v[2:3]
	s_cselect_b32 vcc_lo, -1, 0
	s_delay_alu instid0(SALU_CYCLE_1)
	v_dual_cndmask_b32 v22, v30, v10, vcc_lo :: v_dual_bitop2_b32 v3, 1, v0 bitop3:0x40
	v_writelane_b32 v98, s1, 3
	s_add_nc_u64 s[0:1], s[70:71], s[4:5]
	v_dual_add_nc_u32 v11, v20, v1 :: v_dual_add_nc_u32 v12, s10, v2
	v_add_nc_u32_e32 v6, 64, v21
	v_writelane_b32 v98, s0, 4
	s_ashr_i32 s11, s10, 31
	s_or_b32 vcc_lo, vcc_lo, s15
	s_delay_alu instid0(VALU_DEP_2)
	v_dual_ashrrev_i32 v13, 31, v12 :: v_dual_ashrrev_i32 v7, 31, v6
	v_cndmask_b32_e32 v23, v14, v11, vcc_lo
	v_writelane_b32 v98, s1, 5
	s_mul_i32 s0, s2, s11
	s_mul_i32 s1, s3, s10
	v_cmp_eq_u32_e64 s2, 1, v3
	v_dual_lshrrev_b32 v10, 10, v0 :: v_dual_lshrrev_b32 v11, 1, v30
	v_add3_u32 v19, s0, s1, v19
	v_lshlrev_b32_e32 v14, 3, v3
	v_cmp_gt_u32_e64 s0, 4, v30
	s_xor_b32 s1, s2, -1
	v_bitop3_b32 v31, v0, v10, 0x3ff bitop3:0xa8
	v_lshl_add_u32 v3, v11, 3, 0x8000
	v_lshl_or_b32 v41, v11, 9, v14
	v_mul_u32_u24_e32 v42, 0x208, v11
	s_and_b32 s94, s1, s0
	v_dual_lshrrev_b32 v10, 2, v30 :: v_dual_bitop2_b32 v11, 3, v0 bitop3:0x40
	v_cmp_eq_u32_e64 s1, 0, v40
	v_cmp_gt_u32_e64 s3, 2, v2
	s_and_b32 s95, s2, s0
	v_cmp_gt_u32_e64 s2, 16, v30
	v_dual_lshlrev_b32 v14, 3, v10 :: v_dual_lshlrev_b32 v45, 3, v11
	s_and_b32 s96, s1, s3
	v_cmp_eq_u32_e64 s3, 0, v11
	v_mul_u32_u24_e32 v44, 0x208, v10
	v_cmp_ne_u32_e64 s4, 0, v11
	v_cmp_lt_u32_e64 s5, 1, v11
	v_cmp_eq_u32_e64 s6, 2, v11
	s_and_b32 s97, s3, s2
	v_cmp_eq_u32_e64 s3, 1, v11
	v_sub_nc_u32_e32 v16, v44, v14
	s_and_b32 s98, s4, s2
	v_cmp_eq_u32_e64 s4, 3, v11
	v_and_b32_e32 v11, 7, v0
	s_and_b32 s99, s3, s2
	v_cmp_gt_u32_e64 s3, 4, v2
	s_and_b32 s100, s5, s2
	s_and_b32 s102, s4, s2
	v_cmp_eq_u32_e64 s4, 0, v11
	v_cmp_ne_u32_e64 s5, 0, v11
	s_and_b32 s103, s1, s3
	v_cmp_gt_u32_e64 s3, 64, v30
	v_lshl_or_b32 v48, v10, 9, v45
	v_dual_add_nc_u32 v49, v16, v45 :: v_dual_lshrrev_b32 v10, 3, v30
	v_dual_lshlrev_b32 v54, 3, v11 :: v_dual_bitop2_b32 v16, -8, v30 bitop3:0x40
	s_and_b32 s104, s4, s3
	s_and_b32 vcc_hi, s5, s3
	v_cmp_lt_u32_e64 s4, 1, v11
	v_cmp_eq_u32_e64 s5, 2, v11
	v_mul_u32_u24_e32 v53, 0x208, v10
	s_and_b32 s101, s6, s2
	v_cmp_eq_u32_e64 s6, 1, v11
	s_and_b32 s37, s4, s3
	v_cmp_lt_u32_e64 s4, 3, v11
	s_and_b32 s38, s5, s3
	v_cmp_eq_u32_e64 s5, 4, v11
	v_sub_nc_u32_e32 v17, v53, v16
	v_add_nc_u32_e32 v56, 0x8000, v16
	s_and_b32 s41, s4, s3
	v_cmp_lt_u32_e64 s4, 4, v11
	s_and_b32 s42, s5, s3
	v_cmp_eq_u32_e64 s5, 6, v11
	v_lshl_or_b32 v57, v10, 9, v54
	s_and_b32 s36, s6, s3
	v_cmp_lt_u32_e64 s6, 2, v11
	s_and_b32 s43, s4, s3
	v_lshrrev_b32_e32 v10, 4, v30
	v_dual_add_nc_u32 v58, v17, v54 :: v_dual_bitop2_b32 v16, 15, v0 bitop3:0x40
	s_and_b32 s46, s5, s3
	v_cmp_eq_u32_e64 s4, 7, v11
	v_cmp_gt_u32_e64 s5, 8, v2
	s_and_b32 s39, s6, s3
	v_cmp_eq_u32_e64 s6, 5, v11
	v_cmp_eq_u32_e64 s7, 3, v11
	s_and_b32 s47, s4, s3
	s_and_b32 s48, s1, s5
	v_cmp_gt_u32_e64 s4, 0x100, v30
	v_cmp_eq_u32_e64 s5, 0, v16
	s_and_b32 s44, s6, s3
	v_cmp_ne_u32_e64 s6, 0, v16
	s_and_b32 s40, s7, s3
	v_cmp_lt_u32_e64 s7, 5, v11
	s_and_b32 s5, s5, s4
	v_dual_lshlrev_b32 v11, 3, v10 :: v_dual_lshlrev_b32 v61, 3, v16
	v_writelane_b32 v98, s5, 6
	v_cmp_eq_u32_e64 s5, 1, v16
	s_and_b32 s6, s6, s4
	s_and_b32 s45, s7, s3
	v_cmp_lt_u32_e64 s7, 1, v16
	v_writelane_b32 v98, s6, 7
	s_and_b32 s5, s5, s4
	v_cmp_eq_u32_e64 s6, 2, v16
	v_mul_u32_u24_e32 v60, 0x208, v10
	v_cmp_lt_u32_e64 s8, 2, v16
	v_writelane_b32 v98, s5, 8
	s_and_b32 s5, s7, s4
	s_and_b32 s6, s6, s4
	v_cmp_eq_u32_e64 s7, 4, v16
	v_sub_nc_u32_e32 v17, v60, v11
	v_writelane_b32 v98, s5, 9
	v_cmp_eq_u32_e64 s5, 3, v16
	s_and_b32 s54, s8, s4
	v_cmp_eq_u32_e64 s8, 5, v16
	s_and_b32 s57, s7, s4
	v_writelane_b32 v98, s6, 10
	v_cmp_lt_u32_e64 s6, 3, v16
	s_and_b32 s55, s5, s4
	v_cmp_lt_u32_e64 s5, 4, v16
	v_cmp_lt_u32_e64 s7, 6, v16
	v_add_nc_u32_e32 v64, v17, v61
	s_and_b32 s56, s6, s4
	v_cmp_lt_u32_e64 s6, 5, v16
	s_and_b32 s58, s5, s4
	v_cmp_eq_u32_e64 s5, 6, v16
	v_add_nc_u32_e32 v17, v24, v1
	v_lshl_add_u32 v26, v24, 6, v2
	s_and_b32 s62, s6, s4
	v_cmp_eq_u32_e64 s6, 7, v16
	s_and_b32 s63, s5, s4
	v_cmp_eq_u32_e64 s5, 8, v16
	v_add_nc_u32_e32 v1, v25, v1
	s_and_b32 s61, s8, s4
	s_and_b32 s13, s6, s4
	v_cmp_lt_u32_e64 s6, 8, v16
	s_and_b32 s25, s5, s4
	v_cmp_lt_u32_e64 s5, 9, v16
	v_cmp_lt_u32_e64 s8, 7, v16
	s_and_b32 s12, s7, s4
	s_and_b32 s27, s6, s4
	v_cmp_lt_u32_e64 s6, 10, v16
	s_and_b32 s31, s5, s4
	v_cmp_eq_u32_e64 s5, 11, v16
	v_cmp_eq_u32_e64 s7, 9, v16
	s_xor_b32 s93, vcc_lo, -1
	v_dual_cndmask_b32 v26, v26, v17 :: v_dual_add_nc_u32 v47, 0x8000, v14
	s_and_b32 s24, s6, s4
	v_cmp_eq_u32_e64 s6, 12, v16
	s_and_b32 s26, s5, s4
	v_cmp_eq_u32_e64 s5, 13, v16
	v_cndmask_b32_e32 v27, v27, v1, vcc_lo
	v_cmp_gt_u32_e32 vcc_lo, 16, v2
	s_and_b32 s23, s8, s4
	v_cmp_eq_u32_e64 s8, 10, v16
	s_and_b32 s29, s7, s4
	v_cmp_lt_u32_e64 s7, 11, v16
	v_add_nc_u32_e32 v62, 0x8000, v11
	v_lshl_or_b32 v63, v10, 9, v61
	s_and_b32 s30, s6, s4
	v_cmp_lt_u32_e64 s6, 13, v16
	v_add_nc_u64_e32 v[10:11], s[10:11], v[4:5]
	s_and_b32 s10, s5, s4
	v_cmp_eq_u32_e64 s5, 15, v16
	s_and_b32 s73, s1, vcc_lo
	v_cmp_gt_u32_e32 vcc_lo, 32, v2
	s_and_b32 s34, s8, s4
	v_cmp_lt_u32_e64 s8, 12, v16
	s_and_b32 s28, s7, s4
	v_cmp_eq_u32_e64 s7, 14, v16
	s_and_b32 s70, s14, s15
	s_and_b32 s11, s6, s4
	;; [unrolled: 1-line block ×3, first 2 shown]
	s_xor_b32 s5, s70, -1
	s_and_b32 s6, s1, vcc_lo
	v_cmp_gt_i32_e32 vcc_lo, s9, v2
	s_and_b32 s33, s8, s4
	s_and_b32 s92, s7, s4
	v_lshrrev_b32_e32 v1, 5, v30
	v_writelane_b32 v98, s6, 11
	s_and_b32 s71, s1, s5
	s_cmp_gt_i32 s89, 0
	v_mul_u64_e32 v[8:9], s[64:65], v[12:13]
	s_cselect_b32 s88, -1, 0
	s_and_b32 s5, s1, vcc_lo
	v_dual_lshlrev_b32 v66, 3, v1 :: v_dual_lshlrev_b32 v67, 9, v1
	v_mul_u64_e32 v[0:1], s[74:75], v[12:13]
	v_add_nc_u32_e32 v13, 0x50, v21
	v_writelane_b32 v98, s5, 12
	v_cmp_gt_i32_e64 s5, s82, v12
	v_cmp_gt_i32_e32 vcc_lo, s82, v6
	v_add_nc_u32_e32 v28, 0x60, v21
	v_add_nc_u32_e32 v21, 0x70, v21
	v_cmp_ne_u32_e64 s16, v2, v20
	v_cmp_ne_u32_e64 s17, v2, v24
	s_and_b32 s6, vcc_lo, s5
	v_cmp_gt_i32_e32 vcc_lo, s82, v13
	v_writelane_b32 v98, s6, 13
	v_cmp_ne_u32_e64 s18, v2, v25
	v_cmp_gt_u32_e64 s35, 0xf0, v30
	v_cmp_gt_u32_e64 s50, 0x3e0, v30
	s_and_b32 s6, vcc_lo, s5
	v_cmp_gt_i32_e32 vcc_lo, s82, v28
	v_writelane_b32 v98, s6, 14
	v_mad_u32_u24 v46, 0x1f8, v2, v43
	v_mul_i32_i24_e32 v14, 0xfffffe08, v2
	v_mul_u32_u24_e32 v15, 0x1f8, v2
	s_and_b32 s6, vcc_lo, s5
	v_cmp_gt_i32_e32 vcc_lo, s82, v21
	v_writelane_b32 v98, s6, 15
	v_mad_i32_i24 v50, 0xfffffe08, v2, v46
	v_mul_lo_u32 v14, v14, 6
	v_mul_u64_e32 v[10:11], s[74:75], v[10:11]
	s_and_b32 s6, vcc_lo, s5
	v_cmp_le_i32_e32 vcc_lo, s9, v40
	v_writelane_b32 v98, s6, 16
	v_cmp_le_u32_e64 s6, v2, v40
	v_mad_u32_u24 v51, 0x1f8, v2, v50
	v_dual_lshlrev_b32 v76, 3, v27 :: v_dual_lshlrev_b32 v21, 3, v40
	s_or_b32 s7, vcc_lo, s14
	v_cmp_le_i32_e32 vcc_lo, s9, v20
	s_or_b32 s7, s7, s6
	v_mad_i32_i24 v52, 0xfffffe08, v2, v51
	v_writelane_b32 v98, s7, 17
	v_cmp_le_u32_e64 s7, v2, v20
	s_or_b32 s8, vcc_lo, s14
	v_cmp_le_i32_e32 vcc_lo, s9, v24
	v_mad_u32_u24 v55, 0x1f8, v2, v52
	v_mad_u32 v14, v15, 7, v14
	s_or_b32 s8, s8, s7
	v_mul_u32_u24_e32 v15, 0x1f0, v2
	v_writelane_b32 v98, s8, 18
	v_cmp_le_u32_e64 s8, v2, v24
	s_or_b32 s15, vcc_lo, s14
	v_cmp_le_i32_e32 vcc_lo, s9, v25
	v_mad_i32_i24 v59, 0xfffffe08, v2, v55
	v_mad_nc_u64_u32 v[12:13], s64, v40, v[18:19]
	s_or_b32 s9, s15, s8
	v_mad_nc_u64_u32 v[16:17], s64, v24, v[18:19]
	v_writelane_b32 v98, s9, 19
	v_cmp_le_u32_e64 s9, v2, v25
	s_or_b32 s15, vcc_lo, s14
	v_mad_u32_u24 v68, 0x1f8, v2, v59
	v_dual_sub_nc_u32 v29, v14, v15 :: v_dual_lshlrev_b32 v72, 3, v22
	s_or_b32 s15, s15, s9
	v_mad_nc_u64_u32 v[14:15], s64, v20, v[18:19]
	v_writelane_b32 v98, s15, 20
	v_cmp_ne_u32_e64 s15, v2, v40
	v_mad_i32_i24 v69, 0xfffffe08, v2, v68
	v_mad_nc_u64_u32 v[18:19], s64, v25, v[18:19]
	v_or_b32_e32 v79, 0xa000, v21
	v_mul_u32_u24_e32 v81, 0x208, v65
	v_writelane_b32 v98, s15, 21
	s_or_b32 s15, s14, s15
	v_mad_u32_u24 v70, 0x1f8, v2, v69
	v_or_b32_e32 v32, v20, v2
	v_dual_add_nc_u32 v90, v79, v43 :: v_dual_bitop2_b32 v33, v24, v2 bitop3:0x54
	v_writelane_b32 v98, s15, 22
	s_or_b32 s15, s14, s16
	v_mad_i32_i24 v71, 0xfffffe08, v2, v70
	v_mad_u32 v13, s65, v40, v13
	v_mad_u32 v15, s65, v20, v15
	v_writelane_b32 v98, s16, 23
	v_mad_u32 v17, s65, v24, v17
	v_mad_u32_u24 v74, 0x1f8, v2, v71
	v_mad_u32 v19, s65, v25, v19
	v_or_b32_e32 v34, v25, v2
	v_writelane_b32 v98, s15, 24
	s_or_b32 s15, s14, s17
	s_or_b32 s14, s14, s18
	v_mad_i32_i24 v77, 0xfffffe08, v2, v74
	v_cmp_lt_u32_e32 vcc_lo, 0x3ff, v30
	v_writelane_b32 v98, s17, 25
	v_dual_lshlrev_b32 v73, 3, v23 :: v_dual_lshlrev_b32 v75, 3, v26
	s_delay_alu instid0(VALU_DEP_4)
	v_mad_u32_u24 v78, 0x1f8, v2, v77
	v_add_nc_u32_e32 v82, 0x8000, v66
	v_writelane_b32 v98, s15, 26
	v_lshl_or_b32 v83, v65, 3, v67
	v_lshl_add_u32 v84, v4, 3, 0xa000
	v_add_nc_u32_e32 v80, v78, v21
	v_lshlrev_b32_e32 v21, 9, v65
	v_writelane_b32 v98, s18, 27
	v_lshl_add_u32 v85, v30, 3, 0x8000
	v_add_nc_u32_e32 v86, 0x8000, v43
	v_add_nc_u32_e32 v88, 0x7800, v29
	v_sub_nc_u32_e32 v21, v81, v21
	v_writelane_b32 v98, s14, 28
	v_lshl_add_u32 v89, v40, 9, v71
	v_subrev_nc_u32_e32 v91, 63, v2
	v_cmp_eq_u32_e64 s14, 0, v31
	v_add_nc_u32_e32 v87, 0x4100, v21
	v_writelane_b32 v98, s35, 29
	v_cmp_gt_u32_e64 s35, 0xe0, v30
	v_mov_b64_e32 v[20:21], 0
	v_cmp_gt_u32_e64 s15, 2, v30
	v_cmp_gt_u32_e64 s16, 12, v30
	;; [unrolled: 1-line block ×3, first 2 shown]
	v_writelane_b32 v98, s35, 30
	v_cmp_gt_u32_e64 s35, 0xd0, v30
	v_cmp_gt_u32_e64 s18, 56, v30
	;; [unrolled: 1-line block ×5, first 2 shown]
	v_writelane_b32 v98, s35, 31
	v_cmp_gt_u32_e64 s35, 0xc0, v30
	v_cmp_gt_u32_e64 s22, 24, v30
	v_cmp_eq_u32_e64 s59, 0, v4
	v_cmp_gt_u32_e64 s60, 64, v4
	s_add_co_i32 s49, s49, 1
	v_writelane_b32 v97, s35, 0
	v_cmp_gt_u32_e64 s35, 0xb0, v30
	s_xor_b32 s64, vcc_lo, -1
                                        ; implicit-def: $vgpr22_vgpr23
                                        ; implicit-def: $vgpr24_vgpr25
                                        ; implicit-def: $vgpr26_vgpr27
                                        ; implicit-def: $vgpr28_vgpr29
	v_writelane_b32 v97, s35, 1
	v_cmp_gt_u32_e64 s35, 0xa0, v30
	s_delay_alu instid0(VALU_DEP_1) | instskip(SKIP_1) | instid1(VALU_DEP_1)
	v_writelane_b32 v97, s35, 2
	v_cmp_gt_u32_e64 s35, 0x90, v30
	v_writelane_b32 v97, s35, 3
	v_cmp_gt_u32_e64 s35, 0x80, v30
	s_delay_alu instid0(VALU_DEP_1) | instskip(SKIP_1) | instid1(VALU_DEP_1)
	v_writelane_b32 v97, s35, 4
	v_cmp_gt_u32_e64 s35, 0x70, v30
	v_writelane_b32 v97, s35, 5
	v_cmp_gt_u32_e64 s35, 0x60, v30
	s_delay_alu instid0(VALU_DEP_1) | instskip(SKIP_1) | instid1(VALU_DEP_1)
	v_writelane_b32 v97, s35, 6
	v_cmp_gt_u32_e64 s35, 0x50, v30
	v_writelane_b32 v97, s35, 7
	v_cmp_gt_u32_e64 s35, 0x400, v30
	v_writelane_b32 v97, s50, 8
	v_cmp_gt_u32_e64 s50, 0x3c0, v30
	s_delay_alu instid0(VALU_DEP_1) | instskip(SKIP_1) | instid1(VALU_DEP_1)
	v_writelane_b32 v97, s50, 9
	v_cmp_gt_u32_e64 s50, 0x3a0, v30
	v_writelane_b32 v97, s50, 10
	v_cmp_gt_u32_e64 s50, 0x380, v30
	s_delay_alu instid0(VALU_DEP_1) | instskip(SKIP_1) | instid1(VALU_DEP_1)
	;; [unrolled: 5-line block ×13, first 2 shown]
	v_writelane_b32 v96, s50, 1
	v_cmp_gt_u32_e64 s50, 64, v34
	v_writelane_b32 v96, s50, 2
	s_branch .LBB48_3
.LBB48_2:                               ;   in Loop: Header=BB48_3 Depth=1
	s_wait_xcnt 0x0
	s_or_b32 exec_lo, exec_lo, s50
	v_readlane_b32 s50, v98, 0
	s_add_co_i32 s80, s80, 0x10000
	global_wb scope:SCOPE_DEV
	s_wait_storecnt 0x0
	global_inv scope:SCOPE_DEV
	s_cmp_lt_u32 s80, s50
	s_cbranch_scc0 .LBB48_1149
.LBB48_3:                               ; =>This Loop Header: Depth=1
                                        ;     Child Loop BB48_553 Depth 2
                                        ;     Child Loop BB48_1002 Depth 2
                                        ;       Child Loop BB48_1004 Depth 3
                                        ;     Child Loop BB48_1039 Depth 2
	v_readlane_b32 s52, v98, 2
	v_readlane_b32 s53, v98, 3
	s_mul_u64 s[50:51], s[66:67], s[80:81]
	s_delay_alu instid0(SALU_CYCLE_1) | instskip(NEXT) | instid1(SALU_CYCLE_1)
	s_lshl_b64 s[50:51], s[50:51], 3
	s_add_nc_u64 s[84:85], s[52:53], s[50:51]
	v_readlane_b32 s50, v98, 1
	v_lshl_add_u64 v[30:31], v[8:9], 3, s[84:85]
	s_and_not1_b32 vcc_lo, exec_lo, s50
	s_cbranch_vccnz .LBB48_13
; %bb.4:                                ;   in Loop: Header=BB48_3 Depth=1
	v_mov_b64_e32 v[24:25], 0
	v_mov_b64_e32 v[22:23], 0
	v_lshl_add_u64 v[32:33], v[6:7], 3, v[30:31]
	s_barrier_signal -1
	s_barrier_wait -1
	s_mov_b32 s50, exec_lo
	v_readlane_b32 s51, v98, 13
	s_and_b32 s51, s50, s51
	s_delay_alu instid0(SALU_CYCLE_1)
	s_mov_b32 exec_lo, s51
	s_cbranch_execz .LBB48_6
; %bb.5:                                ;   in Loop: Header=BB48_3 Depth=1
	global_load_b64 v[22:23], v[32:33], off
.LBB48_6:                               ;   in Loop: Header=BB48_3 Depth=1
	s_wait_xcnt 0x0
	s_or_b32 exec_lo, exec_lo, s50
	s_wait_loadcnt 0x0
	s_barrier_signal -1
	s_barrier_wait -1
	s_mov_b32 s50, exec_lo
	v_readlane_b32 s51, v98, 14
	s_and_b32 s51, s50, s51
	s_delay_alu instid0(SALU_CYCLE_1)
	s_mov_b32 exec_lo, s51
	s_cbranch_execz .LBB48_8
; %bb.7:                                ;   in Loop: Header=BB48_3 Depth=1
	global_load_b64 v[24:25], v[32:33], off offset:128
.LBB48_8:                               ;   in Loop: Header=BB48_3 Depth=1
	s_wait_xcnt 0x0
	s_or_b32 exec_lo, exec_lo, s50
	v_mov_b64_e32 v[28:29], 0
	v_mov_b64_e32 v[26:27], 0
	s_wait_loadcnt 0x0
	s_barrier_signal -1
	s_barrier_wait -1
	s_mov_b32 s50, exec_lo
	v_readlane_b32 s51, v98, 15
	s_and_b32 s51, s50, s51
	s_delay_alu instid0(SALU_CYCLE_1)
	s_mov_b32 exec_lo, s51
	s_cbranch_execz .LBB48_10
; %bb.9:                                ;   in Loop: Header=BB48_3 Depth=1
	global_load_b64 v[26:27], v[32:33], off offset:256
.LBB48_10:                              ;   in Loop: Header=BB48_3 Depth=1
	s_wait_xcnt 0x0
	s_or_b32 exec_lo, exec_lo, s50
	s_wait_loadcnt 0x0
	s_barrier_signal -1
	s_barrier_wait -1
	s_mov_b32 s50, exec_lo
	v_readlane_b32 s51, v98, 16
	s_and_b32 s51, s50, s51
	s_delay_alu instid0(SALU_CYCLE_1)
	s_mov_b32 exec_lo, s51
	s_cbranch_execz .LBB48_12
; %bb.11:                               ;   in Loop: Header=BB48_3 Depth=1
	global_load_b64 v[28:29], v[32:33], off offset:384
.LBB48_12:                              ;   in Loop: Header=BB48_3 Depth=1
	s_wait_xcnt 0x0
	s_or_b32 exec_lo, exec_lo, s50
.LBB48_13:                              ;   in Loop: Header=BB48_3 Depth=1
	s_delay_alu instid0(SALU_CYCLE_1)
	s_and_not1_b32 vcc_lo, exec_lo, s91
	s_mov_b32 s50, -1
	s_cbranch_vccnz .LBB48_24
; %bb.14:                               ;   in Loop: Header=BB48_3 Depth=1
	s_and_saveexec_b32 s50, s6
	s_delay_alu instid0(SALU_CYCLE_1)
	s_xor_b32 s65, exec_lo, s50
	s_cbranch_execnz .LBB48_1061
; %bb.15:                               ;   in Loop: Header=BB48_3 Depth=1
	s_and_not1_saveexec_b32 s50, s65
	s_cbranch_execnz .LBB48_1068
.LBB48_16:                              ;   in Loop: Header=BB48_3 Depth=1
	s_or_b32 exec_lo, exec_lo, s50
	s_and_saveexec_b32 s50, s7
	s_delay_alu instid0(SALU_CYCLE_1)
	s_xor_b32 s65, exec_lo, s50
	s_cbranch_execnz .LBB48_1069
.LBB48_17:                              ;   in Loop: Header=BB48_3 Depth=1
	s_and_not1_saveexec_b32 s50, s65
	s_cbranch_execnz .LBB48_1076
.LBB48_18:                              ;   in Loop: Header=BB48_3 Depth=1
	s_or_b32 exec_lo, exec_lo, s50
	s_and_saveexec_b32 s50, s8
	s_delay_alu instid0(SALU_CYCLE_1)
	s_xor_b32 s65, exec_lo, s50
	s_cbranch_execnz .LBB48_1077
.LBB48_19:                              ;   in Loop: Header=BB48_3 Depth=1
	s_and_not1_saveexec_b32 s50, s65
	s_cbranch_execnz .LBB48_1084
.LBB48_20:                              ;   in Loop: Header=BB48_3 Depth=1
	s_or_b32 exec_lo, exec_lo, s50
	s_and_saveexec_b32 s50, s9
	s_delay_alu instid0(SALU_CYCLE_1)
	s_xor_b32 s65, exec_lo, s50
	s_cbranch_execnz .LBB48_1085
.LBB48_21:                              ;   in Loop: Header=BB48_3 Depth=1
	s_and_not1_saveexec_b32 s50, s65
	s_cbranch_execz .LBB48_23
.LBB48_22:                              ;   in Loop: Header=BB48_3 Depth=1
	v_lshl_add_u64 v[32:33], v[18:19], 3, s[84:85]
	global_load_b64 v[32:33], v[32:33], off
	s_wait_loadcnt 0x0
	v_xor_b32_e32 v33, 0x80000000, v33
	ds_store_b64 v76, v[32:33]
.LBB48_23:                              ;   in Loop: Header=BB48_3 Depth=1
	s_or_b32 exec_lo, exec_lo, s50
	s_mov_b32 s50, 0
.LBB48_24:                              ;   in Loop: Header=BB48_3 Depth=1
	s_delay_alu instid0(SALU_CYCLE_1)
	s_and_b32 vcc_lo, exec_lo, s50
	s_cbranch_vccz .LBB48_66
; %bb.25:                               ;   in Loop: Header=BB48_3 Depth=1
	s_mov_b32 s50, exec_lo
	v_readlane_b32 s51, v98, 17
	s_and_b32 s51, s50, s51
	s_delay_alu instid0(SALU_CYCLE_1)
	s_xor_b32 s65, s51, s50
	s_mov_b32 exec_lo, s51
	s_cbranch_execz .LBB48_33
; %bb.26:                               ;   in Loop: Header=BB48_3 Depth=1
	s_mov_b32 s50, exec_lo
	v_readlane_b32 s51, v98, 22
	s_and_b32 s51, s50, s51
	s_delay_alu instid0(SALU_CYCLE_1)
	s_xor_b32 s50, s51, s50
	s_mov_b32 exec_lo, s51
	s_cbranch_execz .LBB48_30
; %bb.27:                               ;   in Loop: Header=BB48_3 Depth=1
	s_mov_b32 s51, exec_lo
	v_readlane_b32 s52, v97, 31
	s_and_b32 s52, s51, s52
	s_delay_alu instid0(SALU_CYCLE_1)
	s_mov_b32 exec_lo, s52
; %bb.28:                               ;   in Loop: Header=BB48_3 Depth=1
	ds_store_b64 v80, v[20:21]
; %bb.29:                               ;   in Loop: Header=BB48_3 Depth=1
	s_or_b32 exec_lo, exec_lo, s51
.LBB48_30:                              ;   in Loop: Header=BB48_3 Depth=1
	s_and_not1_saveexec_b32 s50, s50
	s_cbranch_execz .LBB48_32
; %bb.31:                               ;   in Loop: Header=BB48_3 Depth=1
	v_lshl_add_u64 v[32:33], v[12:13], 3, s[84:85]
	global_load_b64 v[32:33], v[32:33], off
	s_wait_loadcnt 0x0
	v_div_scale_f64 v[34:35], null, v[32:33], v[32:33], 1.0
	s_delay_alu instid0(VALU_DEP_1) | instskip(SKIP_1) | instid1(TRANS32_DEP_1)
	v_rcp_f64_e32 v[36:37], v[34:35]
	v_nop
	v_fma_f64 v[38:39], -v[34:35], v[36:37], 1.0
	s_delay_alu instid0(VALU_DEP_1) | instskip(NEXT) | instid1(VALU_DEP_1)
	v_fmac_f64_e32 v[36:37], v[36:37], v[38:39]
	v_fma_f64 v[38:39], -v[34:35], v[36:37], 1.0
	s_delay_alu instid0(VALU_DEP_1) | instskip(SKIP_1) | instid1(VALU_DEP_1)
	v_fmac_f64_e32 v[36:37], v[36:37], v[38:39]
	v_div_scale_f64 v[38:39], vcc_lo, 1.0, v[32:33], 1.0
	v_mul_f64_e32 v[92:93], v[38:39], v[36:37]
	s_delay_alu instid0(VALU_DEP_1) | instskip(NEXT) | instid1(VALU_DEP_1)
	v_fma_f64 v[34:35], -v[34:35], v[92:93], v[38:39]
	v_div_fmas_f64 v[34:35], v[34:35], v[36:37], v[92:93]
	s_delay_alu instid0(VALU_DEP_1)
	v_div_fixup_f64 v[32:33], v[34:35], v[32:33], 1.0
	ds_store_b64 v80, v[32:33]
.LBB48_32:                              ;   in Loop: Header=BB48_3 Depth=1
	s_or_b32 exec_lo, exec_lo, s50
.LBB48_33:                              ;   in Loop: Header=BB48_3 Depth=1
	s_and_not1_saveexec_b32 s50, s65
	s_cbranch_execz .LBB48_35
; %bb.34:                               ;   in Loop: Header=BB48_3 Depth=1
	v_lshl_add_u64 v[32:33], v[12:13], 3, s[84:85]
	global_load_b64 v[32:33], v[32:33], off
	s_wait_loadcnt 0x0
	v_xor_b32_e32 v33, 0x80000000, v33
	ds_store_b64 v80, v[32:33]
.LBB48_35:                              ;   in Loop: Header=BB48_3 Depth=1
	s_or_b32 exec_lo, exec_lo, s50
	s_delay_alu instid0(SALU_CYCLE_1) | instskip(SKIP_2) | instid1(SALU_CYCLE_1)
	s_mov_b32 s50, exec_lo
	v_readlane_b32 s51, v98, 18
	s_and_b32 s51, s50, s51
	s_xor_b32 s65, s51, s50
	s_mov_b32 exec_lo, s51
	s_cbranch_execz .LBB48_43
; %bb.36:                               ;   in Loop: Header=BB48_3 Depth=1
	s_mov_b32 s50, exec_lo
	v_readlane_b32 s51, v98, 24
	s_and_b32 s51, s50, s51
	s_delay_alu instid0(SALU_CYCLE_1)
	s_xor_b32 s50, s51, s50
	s_mov_b32 exec_lo, s51
	s_cbranch_execz .LBB48_40
; %bb.37:                               ;   in Loop: Header=BB48_3 Depth=1
	s_mov_b32 s51, exec_lo
	v_readlane_b32 s52, v96, 0
	s_and_b32 s52, s51, s52
	s_delay_alu instid0(SALU_CYCLE_1)
	s_mov_b32 exec_lo, s52
; %bb.38:                               ;   in Loop: Header=BB48_3 Depth=1
	ds_store_b64 v73, v[20:21]
; %bb.39:                               ;   in Loop: Header=BB48_3 Depth=1
	s_or_b32 exec_lo, exec_lo, s51
.LBB48_40:                              ;   in Loop: Header=BB48_3 Depth=1
	s_and_not1_saveexec_b32 s50, s50
	s_cbranch_execz .LBB48_42
; %bb.41:                               ;   in Loop: Header=BB48_3 Depth=1
	v_lshl_add_u64 v[32:33], v[14:15], 3, s[84:85]
	global_load_b64 v[32:33], v[32:33], off
	s_wait_loadcnt 0x0
	v_div_scale_f64 v[34:35], null, v[32:33], v[32:33], 1.0
	s_delay_alu instid0(VALU_DEP_1) | instskip(SKIP_1) | instid1(TRANS32_DEP_1)
	v_rcp_f64_e32 v[36:37], v[34:35]
	v_nop
	v_fma_f64 v[38:39], -v[34:35], v[36:37], 1.0
	s_delay_alu instid0(VALU_DEP_1) | instskip(NEXT) | instid1(VALU_DEP_1)
	v_fmac_f64_e32 v[36:37], v[36:37], v[38:39]
	v_fma_f64 v[38:39], -v[34:35], v[36:37], 1.0
	s_delay_alu instid0(VALU_DEP_1) | instskip(SKIP_1) | instid1(VALU_DEP_1)
	v_fmac_f64_e32 v[36:37], v[36:37], v[38:39]
	v_div_scale_f64 v[38:39], vcc_lo, 1.0, v[32:33], 1.0
	v_mul_f64_e32 v[92:93], v[38:39], v[36:37]
	s_delay_alu instid0(VALU_DEP_1) | instskip(NEXT) | instid1(VALU_DEP_1)
	v_fma_f64 v[34:35], -v[34:35], v[92:93], v[38:39]
	v_div_fmas_f64 v[34:35], v[34:35], v[36:37], v[92:93]
	s_delay_alu instid0(VALU_DEP_1)
	v_div_fixup_f64 v[32:33], v[34:35], v[32:33], 1.0
	ds_store_b64 v73, v[32:33]
.LBB48_42:                              ;   in Loop: Header=BB48_3 Depth=1
	s_or_b32 exec_lo, exec_lo, s50
.LBB48_43:                              ;   in Loop: Header=BB48_3 Depth=1
	s_and_not1_saveexec_b32 s50, s65
	s_cbranch_execz .LBB48_45
; %bb.44:                               ;   in Loop: Header=BB48_3 Depth=1
	v_lshl_add_u64 v[32:33], v[14:15], 3, s[84:85]
	global_load_b64 v[32:33], v[32:33], off
	s_wait_loadcnt 0x0
	v_xor_b32_e32 v33, 0x80000000, v33
	ds_store_b64 v73, v[32:33]
.LBB48_45:                              ;   in Loop: Header=BB48_3 Depth=1
	s_or_b32 exec_lo, exec_lo, s50
	s_delay_alu instid0(SALU_CYCLE_1) | instskip(SKIP_2) | instid1(SALU_CYCLE_1)
	s_mov_b32 s50, exec_lo
	v_readlane_b32 s51, v98, 19
	s_and_b32 s51, s50, s51
	;; [unrolled: 63-line block ×3, first 2 shown]
	s_xor_b32 s65, s51, s50
	s_mov_b32 exec_lo, s51
	s_cbranch_execz .LBB48_63
; %bb.56:                               ;   in Loop: Header=BB48_3 Depth=1
	s_mov_b32 s50, exec_lo
	v_readlane_b32 s51, v98, 28
	s_and_b32 s51, s50, s51
	s_delay_alu instid0(SALU_CYCLE_1)
	s_xor_b32 s50, s51, s50
	s_mov_b32 exec_lo, s51
	s_cbranch_execz .LBB48_60
; %bb.57:                               ;   in Loop: Header=BB48_3 Depth=1
	s_mov_b32 s51, exec_lo
	v_readlane_b32 s52, v96, 2
	s_and_b32 s52, s51, s52
	s_delay_alu instid0(SALU_CYCLE_1)
	s_mov_b32 exec_lo, s52
; %bb.58:                               ;   in Loop: Header=BB48_3 Depth=1
	ds_store_b64 v76, v[20:21]
; %bb.59:                               ;   in Loop: Header=BB48_3 Depth=1
	s_or_b32 exec_lo, exec_lo, s51
.LBB48_60:                              ;   in Loop: Header=BB48_3 Depth=1
	s_and_not1_saveexec_b32 s50, s50
	s_cbranch_execz .LBB48_62
; %bb.61:                               ;   in Loop: Header=BB48_3 Depth=1
	v_lshl_add_u64 v[32:33], v[18:19], 3, s[84:85]
	global_load_b64 v[32:33], v[32:33], off
	s_wait_loadcnt 0x0
	v_div_scale_f64 v[34:35], null, v[32:33], v[32:33], 1.0
	s_delay_alu instid0(VALU_DEP_1) | instskip(SKIP_1) | instid1(TRANS32_DEP_1)
	v_rcp_f64_e32 v[36:37], v[34:35]
	v_nop
	v_fma_f64 v[38:39], -v[34:35], v[36:37], 1.0
	s_delay_alu instid0(VALU_DEP_1) | instskip(NEXT) | instid1(VALU_DEP_1)
	v_fmac_f64_e32 v[36:37], v[36:37], v[38:39]
	v_fma_f64 v[38:39], -v[34:35], v[36:37], 1.0
	s_delay_alu instid0(VALU_DEP_1) | instskip(SKIP_1) | instid1(VALU_DEP_1)
	v_fmac_f64_e32 v[36:37], v[36:37], v[38:39]
	v_div_scale_f64 v[38:39], vcc_lo, 1.0, v[32:33], 1.0
	v_mul_f64_e32 v[92:93], v[38:39], v[36:37]
	s_delay_alu instid0(VALU_DEP_1) | instskip(NEXT) | instid1(VALU_DEP_1)
	v_fma_f64 v[34:35], -v[34:35], v[92:93], v[38:39]
	v_div_fmas_f64 v[34:35], v[34:35], v[36:37], v[92:93]
	s_delay_alu instid0(VALU_DEP_1)
	v_div_fixup_f64 v[32:33], v[34:35], v[32:33], 1.0
	ds_store_b64 v76, v[32:33]
.LBB48_62:                              ;   in Loop: Header=BB48_3 Depth=1
	s_or_b32 exec_lo, exec_lo, s50
.LBB48_63:                              ;   in Loop: Header=BB48_3 Depth=1
	s_and_not1_saveexec_b32 s50, s65
	s_cbranch_execz .LBB48_65
; %bb.64:                               ;   in Loop: Header=BB48_3 Depth=1
	v_lshl_add_u64 v[32:33], v[18:19], 3, s[84:85]
	global_load_b64 v[32:33], v[32:33], off
	s_wait_loadcnt 0x0
	v_xor_b32_e32 v33, 0x80000000, v33
	ds_store_b64 v76, v[32:33]
.LBB48_65:                              ;   in Loop: Header=BB48_3 Depth=1
	s_or_b32 exec_lo, exec_lo, s50
.LBB48_66:                              ;   in Loop: Header=BB48_3 Depth=1
	s_delay_alu instid0(SALU_CYCLE_1)
	s_and_not1_b32 vcc_lo, exec_lo, s93
	s_wait_loadcnt_dscnt 0x0
	s_barrier_signal -1
	s_barrier_wait -1
	s_cbranch_vccnz .LBB48_996
; %bb.67:                               ;   in Loop: Header=BB48_3 Depth=1
	s_and_saveexec_b32 s50, s14
	s_cbranch_execz .LBB48_69
; %bb.68:                               ;   in Loop: Header=BB48_3 Depth=1
	ds_load_b128 v[32:35], v5
	ds_load_b64 v[36:37], v5 offset:520
	s_wait_dscnt 0x0
	v_mul_f64_e32 v[32:33], v[32:33], v[36:37]
	s_delay_alu instid0(VALU_DEP_1)
	v_mul_f64_e32 v[32:33], v[34:35], v[32:33]
	ds_store_2addr_b64 v5, v[32:33], v[32:33] offset0:1 offset1:64
.LBB48_69:                              ;   in Loop: Header=BB48_3 Depth=1
	s_or_b32 exec_lo, exec_lo, s50
	v_mov_b64_e32 v[32:33], 0
	s_wait_dscnt 0x0
	s_barrier_signal -1
	s_barrier_wait -1
	s_and_saveexec_b32 s50, s0
	s_cbranch_execz .LBB48_73
; %bb.70:                               ;   in Loop: Header=BB48_3 Depth=1
	ds_load_b64 v[32:33], v41 offset:16
	ds_load_b64 v[34:35], v42
	s_wait_dscnt 0x0
	v_fma_f64 v[32:33], v[32:33], v[34:35], 0
	s_and_saveexec_b32 s51, s15
	s_cbranch_execz .LBB48_72
; %bb.71:                               ;   in Loop: Header=BB48_3 Depth=1
	ds_load_b64 v[34:35], v43 offset:528
	ds_load_b64 v[36:37], v5 offset:8
	s_wait_dscnt 0x0
	v_fmac_f64_e32 v[32:33], v[34:35], v[36:37]
.LBB48_72:                              ;   in Loop: Header=BB48_3 Depth=1
	s_or_b32 exec_lo, exec_lo, s51
	s_delay_alu instid0(VALU_DEP_1)
	v_xor_b32_e32 v33, 0x80000000, v33
.LBB48_73:                              ;   in Loop: Header=BB48_3 Depth=1
	s_or_b32 exec_lo, exec_lo, s50
	s_and_saveexec_b32 s50, s94
	s_cbranch_execz .LBB48_75
; %bb.74:                               ;   in Loop: Header=BB48_3 Depth=1
	ds_load_b64 v[34:35], v5 offset:1040
	s_wait_dscnt 0x0
	v_mul_f64_e32 v[32:33], v[32:33], v[34:35]
	ds_store_b64 v3, v[32:33]
.LBB48_75:                              ;   in Loop: Header=BB48_3 Depth=1
	s_or_b32 exec_lo, exec_lo, s50
	s_wait_dscnt 0x0
	s_barrier_signal -1
	s_barrier_wait -1
	s_and_saveexec_b32 s50, s95
	s_cbranch_execz .LBB48_77
; %bb.76:                               ;   in Loop: Header=BB48_3 Depth=1
	ds_load_b64 v[34:35], v5 offset:1048
	ds_load_b64 v[36:37], v3
	s_wait_dscnt 0x0
	v_fmac_f64_e32 v[32:33], v[34:35], v[36:37]
.LBB48_77:                              ;   in Loop: Header=BB48_3 Depth=1
	s_or_b32 exec_lo, exec_lo, s50
	s_barrier_signal -1
	s_barrier_wait -1
	s_and_saveexec_b32 s50, s95
	s_cbranch_execz .LBB48_79
; %bb.78:                               ;   in Loop: Header=BB48_3 Depth=1
	ds_load_b64 v[34:35], v5 offset:1560
	s_wait_dscnt 0x0
	v_mul_f64_e32 v[32:33], v[32:33], v[34:35]
	ds_store_b64 v3, v[32:33]
.LBB48_79:                              ;   in Loop: Header=BB48_3 Depth=1
	s_or_b32 exec_lo, exec_lo, s50
	s_wait_dscnt 0x0
	s_barrier_signal -1
	s_barrier_wait -1
	s_barrier_signal -1
	s_barrier_wait -1
	s_and_saveexec_b32 s50, s0
; %bb.80:                               ;   in Loop: Header=BB48_3 Depth=1
	s_delay_alu instid0(VALU_DEP_1)
	v_xor_b32_e32 v33, 0x80000000, v33
	ds_store_b64 v41, v[32:33] offset:16
; %bb.81:                               ;   in Loop: Header=BB48_3 Depth=1
	s_or_b32 exec_lo, exec_lo, s50
	s_wait_dscnt 0x0
	s_barrier_signal -1
	s_barrier_wait -1
	s_barrier_signal -1
	s_barrier_wait -1
	s_and_saveexec_b32 s50, s96
	s_cbranch_execz .LBB48_83
; %bb.82:                               ;   in Loop: Header=BB48_3 Depth=1
	ds_load_b64 v[32:33], v46 offset:16
	s_wait_dscnt 0x0
	ds_store_b64 v43, v[32:33] offset:1024
	ds_load_b64 v[32:33], v46 offset:24
	s_wait_dscnt 0x0
	ds_store_b64 v43, v[32:33] offset:1536
.LBB48_83:                              ;   in Loop: Header=BB48_3 Depth=1
	s_or_b32 exec_lo, exec_lo, s50
	s_wait_dscnt 0x0
	s_barrier_signal -1
	s_barrier_wait -1
	s_and_saveexec_b32 s50, s14
	s_cbranch_execz .LBB48_85
; %bb.84:                               ;   in Loop: Header=BB48_3 Depth=1
	ds_load_b128 v[32:35], v5 offset:1040
	ds_load_b64 v[36:37], v5 offset:1560
	s_wait_dscnt 0x0
	v_mul_f64_e32 v[32:33], v[32:33], v[36:37]
	s_delay_alu instid0(VALU_DEP_1)
	v_mul_f64_e32 v[32:33], v[34:35], v[32:33]
	ds_store_2addr_b64 v5, v[32:33], v[32:33] offset0:131 offset1:194
.LBB48_85:                              ;   in Loop: Header=BB48_3 Depth=1
	s_or_b32 exec_lo, exec_lo, s50
	v_mov_b64_e32 v[32:33], 0
	s_wait_dscnt 0x0
	s_barrier_signal -1
	s_barrier_wait -1
	s_and_saveexec_b32 s65, s2
	s_cbranch_execz .LBB48_91
; %bb.86:                               ;   in Loop: Header=BB48_3 Depth=1
	ds_load_b64 v[32:33], v48 offset:32
	ds_load_b64 v[34:35], v44
	s_wait_dscnt 0x0
	v_fma_f64 v[32:33], v[32:33], v[34:35], 0
	s_and_saveexec_b32 s50, s16
	s_cbranch_execnz .LBB48_1099
; %bb.87:                               ;   in Loop: Header=BB48_3 Depth=1
	s_or_b32 exec_lo, exec_lo, s50
	s_and_saveexec_b32 s50, s17
	s_cbranch_execnz .LBB48_1100
.LBB48_88:                              ;   in Loop: Header=BB48_3 Depth=1
	s_or_b32 exec_lo, exec_lo, s50
	s_and_saveexec_b32 s50, s0
	s_cbranch_execz .LBB48_90
.LBB48_89:                              ;   in Loop: Header=BB48_3 Depth=1
	ds_load_b64 v[34:35], v50 offset:1568
	ds_load_b64 v[36:37], v5 offset:24
	s_wait_dscnt 0x0
	v_fmac_f64_e32 v[32:33], v[34:35], v[36:37]
.LBB48_90:                              ;   in Loop: Header=BB48_3 Depth=1
	s_or_b32 exec_lo, exec_lo, s50
	s_delay_alu instid0(VALU_DEP_1)
	v_xor_b32_e32 v33, 0x80000000, v33
.LBB48_91:                              ;   in Loop: Header=BB48_3 Depth=1
	s_or_b32 exec_lo, exec_lo, s65
	s_and_saveexec_b32 s50, s97
	s_cbranch_execz .LBB48_93
; %bb.92:                               ;   in Loop: Header=BB48_3 Depth=1
	ds_load_b64 v[34:35], v5 offset:2080
	s_wait_dscnt 0x0
	v_mul_f64_e32 v[32:33], v[32:33], v[34:35]
	ds_store_b64 v47, v[32:33]
.LBB48_93:                              ;   in Loop: Header=BB48_3 Depth=1
	s_or_b32 exec_lo, exec_lo, s50
	s_wait_dscnt 0x0
	s_barrier_signal -1
	s_barrier_wait -1
	s_and_saveexec_b32 s50, s98
	s_cbranch_execz .LBB48_95
; %bb.94:                               ;   in Loop: Header=BB48_3 Depth=1
	ds_load_b64 v[34:35], v45 offset:2080
	ds_load_b64 v[36:37], v47
	s_wait_dscnt 0x0
	v_fmac_f64_e32 v[32:33], v[34:35], v[36:37]
.LBB48_95:                              ;   in Loop: Header=BB48_3 Depth=1
	s_or_b32 exec_lo, exec_lo, s50
	s_barrier_signal -1
	s_barrier_wait -1
	s_and_saveexec_b32 s50, s99
	s_cbranch_execz .LBB48_97
; %bb.96:                               ;   in Loop: Header=BB48_3 Depth=1
	ds_load_b64 v[34:35], v5 offset:2600
	s_wait_dscnt 0x0
	v_mul_f64_e32 v[32:33], v[32:33], v[34:35]
	ds_store_b64 v47, v[32:33]
.LBB48_97:                              ;   in Loop: Header=BB48_3 Depth=1
	s_or_b32 exec_lo, exec_lo, s50
	s_wait_dscnt 0x0
	s_barrier_signal -1
	s_barrier_wait -1
	s_and_saveexec_b32 s50, s100
	s_cbranch_execz .LBB48_99
; %bb.98:                               ;   in Loop: Header=BB48_3 Depth=1
	ds_load_b64 v[34:35], v45 offset:2592
	ds_load_b64 v[36:37], v47
	s_wait_dscnt 0x0
	v_fmac_f64_e32 v[32:33], v[34:35], v[36:37]
.LBB48_99:                              ;   in Loop: Header=BB48_3 Depth=1
	s_or_b32 exec_lo, exec_lo, s50
	s_barrier_signal -1
	s_barrier_wait -1
	s_and_saveexec_b32 s50, s101
	s_cbranch_execz .LBB48_101
; %bb.100:                              ;   in Loop: Header=BB48_3 Depth=1
	ds_load_b64 v[34:35], v5 offset:3120
	s_wait_dscnt 0x0
	v_mul_f64_e32 v[32:33], v[32:33], v[34:35]
	ds_store_b64 v47, v[32:33]
.LBB48_101:                             ;   in Loop: Header=BB48_3 Depth=1
	s_or_b32 exec_lo, exec_lo, s50
	s_wait_dscnt 0x0
	s_barrier_signal -1
	s_barrier_wait -1
	s_and_saveexec_b32 s50, s102
	s_cbranch_execz .LBB48_103
; %bb.102:                              ;   in Loop: Header=BB48_3 Depth=1
	ds_load_b64 v[34:35], v5 offset:3128
	ds_load_b64 v[36:37], v47
	s_wait_dscnt 0x0
	v_fmac_f64_e32 v[32:33], v[34:35], v[36:37]
.LBB48_103:                             ;   in Loop: Header=BB48_3 Depth=1
	s_or_b32 exec_lo, exec_lo, s50
	s_barrier_signal -1
	s_barrier_wait -1
	s_and_saveexec_b32 s50, s102
	s_cbranch_execz .LBB48_105
; %bb.104:                              ;   in Loop: Header=BB48_3 Depth=1
	ds_load_b64 v[34:35], v5 offset:3640
	s_wait_dscnt 0x0
	v_mul_f64_e32 v[32:33], v[32:33], v[34:35]
	ds_store_b64 v47, v[32:33]
.LBB48_105:                             ;   in Loop: Header=BB48_3 Depth=1
	s_or_b32 exec_lo, exec_lo, s50
	s_wait_dscnt 0x0
	s_barrier_signal -1
	s_barrier_wait -1
	s_barrier_signal -1
	s_barrier_wait -1
	s_and_saveexec_b32 s50, s2
; %bb.106:                              ;   in Loop: Header=BB48_3 Depth=1
	s_delay_alu instid0(VALU_DEP_1)
	v_xor_b32_e32 v33, 0x80000000, v33
	ds_store_b64 v48, v[32:33] offset:32
; %bb.107:                              ;   in Loop: Header=BB48_3 Depth=1
	s_or_b32 exec_lo, exec_lo, s50
	s_wait_dscnt 0x0
	s_barrier_signal -1
	s_barrier_wait -1
	s_barrier_signal -1
	s_barrier_wait -1
	s_and_saveexec_b32 s50, s103
	s_cbranch_execz .LBB48_109
; %bb.108:                              ;   in Loop: Header=BB48_3 Depth=1
	ds_load_b64 v[32:33], v51 offset:32
	s_wait_dscnt 0x0
	ds_store_b64 v52, v[32:33] offset:2048
	ds_load_b64 v[32:33], v51 offset:40
	s_wait_dscnt 0x0
	ds_store_b64 v52, v[32:33] offset:2560
	;; [unrolled: 3-line block ×4, first 2 shown]
.LBB48_109:                             ;   in Loop: Header=BB48_3 Depth=1
	s_or_b32 exec_lo, exec_lo, s50
	s_wait_dscnt 0x0
	s_barrier_signal -1
	s_barrier_wait -1
	s_and_saveexec_b32 s50, s14
	s_cbranch_execz .LBB48_111
; %bb.110:                              ;   in Loop: Header=BB48_3 Depth=1
	ds_load_b128 v[32:35], v5 offset:2080
	ds_load_b64 v[36:37], v5 offset:2600
	s_wait_dscnt 0x0
	v_mul_f64_e32 v[32:33], v[32:33], v[36:37]
	s_delay_alu instid0(VALU_DEP_1)
	v_mul_f64_e32 v[32:33], v[34:35], v[32:33]
	v_add_nc_u32_e64 v34, 0x800, 0
	ds_store_2addr_b64 v34, v[32:33], v[32:33] offset0:5 offset1:68
.LBB48_111:                             ;   in Loop: Header=BB48_3 Depth=1
	s_or_b32 exec_lo, exec_lo, s50
	v_mov_b64_e32 v[32:33], 0
	s_wait_dscnt 0x0
	s_barrier_signal -1
	s_barrier_wait -1
	s_and_saveexec_b32 s50, s0
	s_cbranch_execz .LBB48_115
; %bb.112:                              ;   in Loop: Header=BB48_3 Depth=1
	ds_load_b64 v[32:33], v41 offset:2096
	ds_load_b64 v[34:35], v42 offset:2080
	s_wait_dscnt 0x0
	v_fma_f64 v[32:33], v[32:33], v[34:35], 0
	s_and_saveexec_b32 s51, s15
	s_cbranch_execz .LBB48_114
; %bb.113:                              ;   in Loop: Header=BB48_3 Depth=1
	ds_load_b64 v[34:35], v52 offset:2608
	ds_load_b64 v[36:37], v5 offset:2088
	s_wait_dscnt 0x0
	v_fmac_f64_e32 v[32:33], v[34:35], v[36:37]
.LBB48_114:                             ;   in Loop: Header=BB48_3 Depth=1
	s_or_b32 exec_lo, exec_lo, s51
	s_delay_alu instid0(VALU_DEP_1)
	v_xor_b32_e32 v33, 0x80000000, v33
.LBB48_115:                             ;   in Loop: Header=BB48_3 Depth=1
	s_or_b32 exec_lo, exec_lo, s50
	s_and_saveexec_b32 s50, s94
	s_cbranch_execz .LBB48_117
; %bb.116:                              ;   in Loop: Header=BB48_3 Depth=1
	ds_load_b64 v[34:35], v5 offset:3120
	s_wait_dscnt 0x0
	v_mul_f64_e32 v[32:33], v[32:33], v[34:35]
	ds_store_b64 v3, v[32:33]
.LBB48_117:                             ;   in Loop: Header=BB48_3 Depth=1
	s_or_b32 exec_lo, exec_lo, s50
	s_wait_dscnt 0x0
	s_barrier_signal -1
	s_barrier_wait -1
	s_and_saveexec_b32 s50, s95
	s_cbranch_execz .LBB48_119
; %bb.118:                              ;   in Loop: Header=BB48_3 Depth=1
	ds_load_b64 v[34:35], v5 offset:3128
	ds_load_b64 v[36:37], v3
	s_wait_dscnt 0x0
	v_fmac_f64_e32 v[32:33], v[34:35], v[36:37]
.LBB48_119:                             ;   in Loop: Header=BB48_3 Depth=1
	s_or_b32 exec_lo, exec_lo, s50
	s_barrier_signal -1
	s_barrier_wait -1
	s_and_saveexec_b32 s50, s95
	s_cbranch_execz .LBB48_121
; %bb.120:                              ;   in Loop: Header=BB48_3 Depth=1
	ds_load_b64 v[34:35], v5 offset:3640
	s_wait_dscnt 0x0
	v_mul_f64_e32 v[32:33], v[32:33], v[34:35]
	ds_store_b64 v3, v[32:33]
.LBB48_121:                             ;   in Loop: Header=BB48_3 Depth=1
	s_or_b32 exec_lo, exec_lo, s50
	s_wait_dscnt 0x0
	s_barrier_signal -1
	s_barrier_wait -1
	s_barrier_signal -1
	s_barrier_wait -1
	s_and_saveexec_b32 s50, s0
; %bb.122:                              ;   in Loop: Header=BB48_3 Depth=1
	s_delay_alu instid0(VALU_DEP_1)
	v_xor_b32_e32 v33, 0x80000000, v33
	ds_store_b64 v41, v[32:33] offset:2096
; %bb.123:                              ;   in Loop: Header=BB48_3 Depth=1
	s_or_b32 exec_lo, exec_lo, s50
	s_wait_dscnt 0x0
	s_barrier_signal -1
	s_barrier_wait -1
	s_barrier_signal -1
	s_barrier_wait -1
	s_and_saveexec_b32 s50, s96
	s_cbranch_execz .LBB48_125
; %bb.124:                              ;   in Loop: Header=BB48_3 Depth=1
	ds_load_b64 v[32:33], v55 offset:2096
	s_wait_dscnt 0x0
	ds_store_b64 v52, v[32:33] offset:3104
	ds_load_b64 v[32:33], v55 offset:2104
	s_wait_dscnt 0x0
	ds_store_b64 v52, v[32:33] offset:3616
.LBB48_125:                             ;   in Loop: Header=BB48_3 Depth=1
	s_or_b32 exec_lo, exec_lo, s50
	s_wait_dscnt 0x0
	s_barrier_signal -1
	s_barrier_wait -1
	s_and_saveexec_b32 s50, s14
	s_cbranch_execz .LBB48_127
; %bb.126:                              ;   in Loop: Header=BB48_3 Depth=1
	ds_load_b128 v[32:35], v5 offset:3120
	ds_load_b64 v[36:37], v5 offset:3640
	s_wait_dscnt 0x0
	v_mul_f64_e32 v[32:33], v[32:33], v[36:37]
	s_delay_alu instid0(VALU_DEP_1)
	v_mul_f64_e32 v[32:33], v[34:35], v[32:33]
	v_add_nc_u32_e64 v34, 0x800, 0
	ds_store_2addr_b64 v34, v[32:33], v[32:33] offset0:135 offset1:198
.LBB48_127:                             ;   in Loop: Header=BB48_3 Depth=1
	s_or_b32 exec_lo, exec_lo, s50
	v_mov_b64_e32 v[32:33], 0
	s_wait_dscnt 0x0
	s_barrier_signal -1
	s_barrier_wait -1
	s_and_saveexec_b32 s65, s3
	s_cbranch_execz .LBB48_137
; %bb.128:                              ;   in Loop: Header=BB48_3 Depth=1
	ds_load_b64 v[32:33], v57 offset:64
	ds_load_b64 v[34:35], v53
	s_wait_dscnt 0x0
	v_fma_f64 v[32:33], v[32:33], v[34:35], 0
	s_and_saveexec_b32 s50, s18
	s_cbranch_execnz .LBB48_1101
; %bb.129:                              ;   in Loop: Header=BB48_3 Depth=1
	s_or_b32 exec_lo, exec_lo, s50
	s_and_saveexec_b32 s50, s19
	s_cbranch_execnz .LBB48_1102
.LBB48_130:                             ;   in Loop: Header=BB48_3 Depth=1
	s_or_b32 exec_lo, exec_lo, s50
	s_and_saveexec_b32 s50, s20
	s_cbranch_execnz .LBB48_1103
.LBB48_131:                             ;   in Loop: Header=BB48_3 Depth=1
	s_or_b32 exec_lo, exec_lo, s50
	s_and_saveexec_b32 s50, s21
	s_cbranch_execnz .LBB48_1104
.LBB48_132:                             ;   in Loop: Header=BB48_3 Depth=1
	s_or_b32 exec_lo, exec_lo, s50
	s_and_saveexec_b32 s50, s22
	s_cbranch_execnz .LBB48_1105
.LBB48_133:                             ;   in Loop: Header=BB48_3 Depth=1
	s_or_b32 exec_lo, exec_lo, s50
	s_and_saveexec_b32 s50, s2
	s_cbranch_execnz .LBB48_1106
.LBB48_134:                             ;   in Loop: Header=BB48_3 Depth=1
	s_or_b32 exec_lo, exec_lo, s50
	s_and_saveexec_b32 s50, s17
	s_cbranch_execz .LBB48_136
.LBB48_135:                             ;   in Loop: Header=BB48_3 Depth=1
	ds_load_b64 v[34:35], v59 offset:3648
	ds_load_b64 v[36:37], v5 offset:56
	s_wait_dscnt 0x0
	v_fmac_f64_e32 v[32:33], v[34:35], v[36:37]
.LBB48_136:                             ;   in Loop: Header=BB48_3 Depth=1
	s_or_b32 exec_lo, exec_lo, s50
	s_delay_alu instid0(VALU_DEP_1)
	v_xor_b32_e32 v33, 0x80000000, v33
.LBB48_137:                             ;   in Loop: Header=BB48_3 Depth=1
	s_or_b32 exec_lo, exec_lo, s65
	s_and_saveexec_b32 s50, s104
	s_cbranch_execz .LBB48_139
; %bb.138:                              ;   in Loop: Header=BB48_3 Depth=1
	ds_load_b64 v[34:35], v5 offset:4160
	s_wait_dscnt 0x0
	v_mul_f64_e32 v[32:33], v[32:33], v[34:35]
	ds_store_b64 v56, v[32:33]
.LBB48_139:                             ;   in Loop: Header=BB48_3 Depth=1
	s_or_b32 exec_lo, exec_lo, s50
	s_wait_dscnt 0x0
	s_barrier_signal -1
	s_barrier_wait -1
	s_and_saveexec_b32 s50, vcc_hi
	s_cbranch_execz .LBB48_141
; %bb.140:                              ;   in Loop: Header=BB48_3 Depth=1
	ds_load_b64 v[34:35], v54 offset:4160
	ds_load_b64 v[36:37], v56
	s_wait_dscnt 0x0
	v_fmac_f64_e32 v[32:33], v[34:35], v[36:37]
.LBB48_141:                             ;   in Loop: Header=BB48_3 Depth=1
	s_or_b32 exec_lo, exec_lo, s50
	s_barrier_signal -1
	s_barrier_wait -1
	s_and_saveexec_b32 s50, s36
	s_cbranch_execz .LBB48_143
; %bb.142:                              ;   in Loop: Header=BB48_3 Depth=1
	ds_load_b64 v[34:35], v5 offset:4680
	s_wait_dscnt 0x0
	v_mul_f64_e32 v[32:33], v[32:33], v[34:35]
	ds_store_b64 v56, v[32:33]
.LBB48_143:                             ;   in Loop: Header=BB48_3 Depth=1
	s_or_b32 exec_lo, exec_lo, s50
	s_wait_dscnt 0x0
	s_barrier_signal -1
	s_barrier_wait -1
	s_and_saveexec_b32 s50, s37
	s_cbranch_execz .LBB48_145
; %bb.144:                              ;   in Loop: Header=BB48_3 Depth=1
	ds_load_b64 v[34:35], v54 offset:4672
	ds_load_b64 v[36:37], v56
	s_wait_dscnt 0x0
	v_fmac_f64_e32 v[32:33], v[34:35], v[36:37]
.LBB48_145:                             ;   in Loop: Header=BB48_3 Depth=1
	s_or_b32 exec_lo, exec_lo, s50
	s_barrier_signal -1
	s_barrier_wait -1
	s_and_saveexec_b32 s50, s38
	s_cbranch_execz .LBB48_147
; %bb.146:                              ;   in Loop: Header=BB48_3 Depth=1
	ds_load_b64 v[34:35], v5 offset:5200
	s_wait_dscnt 0x0
	v_mul_f64_e32 v[32:33], v[32:33], v[34:35]
	ds_store_b64 v56, v[32:33]
.LBB48_147:                             ;   in Loop: Header=BB48_3 Depth=1
	s_or_b32 exec_lo, exec_lo, s50
	s_wait_dscnt 0x0
	s_barrier_signal -1
	s_barrier_wait -1
	s_and_saveexec_b32 s50, s39
	;; [unrolled: 23-line block ×6, first 2 shown]
	s_cbranch_execz .LBB48_165
; %bb.164:                              ;   in Loop: Header=BB48_3 Depth=1
	ds_load_b64 v[34:35], v5 offset:7288
	ds_load_b64 v[36:37], v56
	s_wait_dscnt 0x0
	v_fmac_f64_e32 v[32:33], v[34:35], v[36:37]
.LBB48_165:                             ;   in Loop: Header=BB48_3 Depth=1
	s_or_b32 exec_lo, exec_lo, s50
	s_barrier_signal -1
	s_barrier_wait -1
	s_and_saveexec_b32 s50, s47
	s_cbranch_execz .LBB48_167
; %bb.166:                              ;   in Loop: Header=BB48_3 Depth=1
	ds_load_b64 v[34:35], v5 offset:7800
	s_wait_dscnt 0x0
	v_mul_f64_e32 v[32:33], v[32:33], v[34:35]
	ds_store_b64 v56, v[32:33]
.LBB48_167:                             ;   in Loop: Header=BB48_3 Depth=1
	s_or_b32 exec_lo, exec_lo, s50
	s_wait_dscnt 0x0
	s_barrier_signal -1
	s_barrier_wait -1
	s_barrier_signal -1
	s_barrier_wait -1
	s_and_saveexec_b32 s50, s3
; %bb.168:                              ;   in Loop: Header=BB48_3 Depth=1
	s_delay_alu instid0(VALU_DEP_1)
	v_xor_b32_e32 v33, 0x80000000, v33
	ds_store_b64 v57, v[32:33] offset:64
; %bb.169:                              ;   in Loop: Header=BB48_3 Depth=1
	s_or_b32 exec_lo, exec_lo, s50
	s_wait_dscnt 0x0
	s_barrier_signal -1
	s_barrier_wait -1
	s_barrier_signal -1
	s_barrier_wait -1
	s_and_saveexec_b32 s50, s48
	s_cbranch_execz .LBB48_171
; %bb.170:                              ;   in Loop: Header=BB48_3 Depth=1
	ds_load_b64 v[32:33], v68 offset:64
	s_wait_dscnt 0x0
	ds_store_b64 v69, v[32:33] offset:4096
	ds_load_b64 v[32:33], v68 offset:72
	s_wait_dscnt 0x0
	ds_store_b64 v69, v[32:33] offset:4608
	;; [unrolled: 3-line block ×8, first 2 shown]
.LBB48_171:                             ;   in Loop: Header=BB48_3 Depth=1
	s_or_b32 exec_lo, exec_lo, s50
	s_wait_dscnt 0x0
	s_barrier_signal -1
	s_barrier_wait -1
	s_and_saveexec_b32 s50, s14
	s_cbranch_execz .LBB48_173
; %bb.172:                              ;   in Loop: Header=BB48_3 Depth=1
	ds_load_b128 v[32:35], v5 offset:4160
	ds_load_b64 v[36:37], v5 offset:4680
	s_wait_dscnt 0x0
	v_mul_f64_e32 v[32:33], v[32:33], v[36:37]
	s_delay_alu instid0(VALU_DEP_1)
	v_mul_f64_e32 v[32:33], v[34:35], v[32:33]
	v_add_nc_u32_e64 v34, 0x1000, 0
	ds_store_2addr_b64 v34, v[32:33], v[32:33] offset0:9 offset1:72
.LBB48_173:                             ;   in Loop: Header=BB48_3 Depth=1
	s_or_b32 exec_lo, exec_lo, s50
	v_mov_b64_e32 v[32:33], 0
	s_wait_dscnt 0x0
	s_barrier_signal -1
	s_barrier_wait -1
	s_and_saveexec_b32 s50, s0
	s_cbranch_execz .LBB48_177
; %bb.174:                              ;   in Loop: Header=BB48_3 Depth=1
	ds_load_b64 v[32:33], v41 offset:4176
	ds_load_b64 v[34:35], v42 offset:4160
	s_wait_dscnt 0x0
	v_fma_f64 v[32:33], v[32:33], v[34:35], 0
	s_and_saveexec_b32 s51, s15
	s_cbranch_execz .LBB48_176
; %bb.175:                              ;   in Loop: Header=BB48_3 Depth=1
	ds_load_b64 v[34:35], v69 offset:4688
	ds_load_b64 v[36:37], v5 offset:4168
	s_wait_dscnt 0x0
	v_fmac_f64_e32 v[32:33], v[34:35], v[36:37]
.LBB48_176:                             ;   in Loop: Header=BB48_3 Depth=1
	s_or_b32 exec_lo, exec_lo, s51
	s_delay_alu instid0(VALU_DEP_1)
	v_xor_b32_e32 v33, 0x80000000, v33
.LBB48_177:                             ;   in Loop: Header=BB48_3 Depth=1
	s_or_b32 exec_lo, exec_lo, s50
	s_and_saveexec_b32 s50, s94
	s_cbranch_execz .LBB48_179
; %bb.178:                              ;   in Loop: Header=BB48_3 Depth=1
	ds_load_b64 v[34:35], v5 offset:5200
	s_wait_dscnt 0x0
	v_mul_f64_e32 v[32:33], v[32:33], v[34:35]
	ds_store_b64 v3, v[32:33]
.LBB48_179:                             ;   in Loop: Header=BB48_3 Depth=1
	s_or_b32 exec_lo, exec_lo, s50
	s_wait_dscnt 0x0
	s_barrier_signal -1
	s_barrier_wait -1
	s_and_saveexec_b32 s50, s95
	s_cbranch_execz .LBB48_181
; %bb.180:                              ;   in Loop: Header=BB48_3 Depth=1
	ds_load_b64 v[34:35], v5 offset:5208
	ds_load_b64 v[36:37], v3
	s_wait_dscnt 0x0
	v_fmac_f64_e32 v[32:33], v[34:35], v[36:37]
.LBB48_181:                             ;   in Loop: Header=BB48_3 Depth=1
	s_or_b32 exec_lo, exec_lo, s50
	s_barrier_signal -1
	s_barrier_wait -1
	s_and_saveexec_b32 s50, s95
	s_cbranch_execz .LBB48_183
; %bb.182:                              ;   in Loop: Header=BB48_3 Depth=1
	ds_load_b64 v[34:35], v5 offset:5720
	s_wait_dscnt 0x0
	v_mul_f64_e32 v[32:33], v[32:33], v[34:35]
	ds_store_b64 v3, v[32:33]
.LBB48_183:                             ;   in Loop: Header=BB48_3 Depth=1
	s_or_b32 exec_lo, exec_lo, s50
	s_wait_dscnt 0x0
	s_barrier_signal -1
	s_barrier_wait -1
	s_barrier_signal -1
	s_barrier_wait -1
	s_and_saveexec_b32 s50, s0
; %bb.184:                              ;   in Loop: Header=BB48_3 Depth=1
	s_delay_alu instid0(VALU_DEP_1)
	v_xor_b32_e32 v33, 0x80000000, v33
	ds_store_b64 v41, v[32:33] offset:4176
; %bb.185:                              ;   in Loop: Header=BB48_3 Depth=1
	s_or_b32 exec_lo, exec_lo, s50
	s_wait_dscnt 0x0
	s_barrier_signal -1
	s_barrier_wait -1
	s_barrier_signal -1
	s_barrier_wait -1
	s_and_saveexec_b32 s50, s96
	s_cbranch_execz .LBB48_187
; %bb.186:                              ;   in Loop: Header=BB48_3 Depth=1
	ds_load_b64 v[32:33], v70 offset:4176
	s_wait_dscnt 0x0
	ds_store_b64 v69, v[32:33] offset:5184
	ds_load_b64 v[32:33], v70 offset:4184
	s_wait_dscnt 0x0
	ds_store_b64 v69, v[32:33] offset:5696
.LBB48_187:                             ;   in Loop: Header=BB48_3 Depth=1
	s_or_b32 exec_lo, exec_lo, s50
	s_wait_dscnt 0x0
	s_barrier_signal -1
	s_barrier_wait -1
	s_and_saveexec_b32 s50, s14
	s_cbranch_execz .LBB48_189
; %bb.188:                              ;   in Loop: Header=BB48_3 Depth=1
	ds_load_b128 v[32:35], v5 offset:5200
	ds_load_b64 v[36:37], v5 offset:5720
	s_wait_dscnt 0x0
	v_mul_f64_e32 v[32:33], v[32:33], v[36:37]
	s_delay_alu instid0(VALU_DEP_1)
	v_mul_f64_e32 v[32:33], v[34:35], v[32:33]
	v_add_nc_u32_e64 v34, 0x1000, 0
	ds_store_2addr_b64 v34, v[32:33], v[32:33] offset0:139 offset1:202
.LBB48_189:                             ;   in Loop: Header=BB48_3 Depth=1
	s_or_b32 exec_lo, exec_lo, s50
	v_mov_b64_e32 v[32:33], 0
	s_wait_dscnt 0x0
	s_barrier_signal -1
	s_barrier_wait -1
	s_and_saveexec_b32 s65, s2
	s_cbranch_execz .LBB48_195
; %bb.190:                              ;   in Loop: Header=BB48_3 Depth=1
	ds_load_b64 v[32:33], v48 offset:4192
	ds_load_b64 v[34:35], v44 offset:4160
	s_wait_dscnt 0x0
	v_fma_f64 v[32:33], v[32:33], v[34:35], 0
	s_and_saveexec_b32 s50, s16
	s_cbranch_execnz .LBB48_1107
; %bb.191:                              ;   in Loop: Header=BB48_3 Depth=1
	s_or_b32 exec_lo, exec_lo, s50
	s_and_saveexec_b32 s50, s17
	s_cbranch_execnz .LBB48_1108
.LBB48_192:                             ;   in Loop: Header=BB48_3 Depth=1
	s_or_b32 exec_lo, exec_lo, s50
	s_and_saveexec_b32 s50, s0
	s_cbranch_execz .LBB48_194
.LBB48_193:                             ;   in Loop: Header=BB48_3 Depth=1
	ds_load_b64 v[34:35], v71 offset:5728
	ds_load_b64 v[36:37], v5 offset:4184
	s_wait_dscnt 0x0
	v_fmac_f64_e32 v[32:33], v[34:35], v[36:37]
.LBB48_194:                             ;   in Loop: Header=BB48_3 Depth=1
	s_or_b32 exec_lo, exec_lo, s50
	s_delay_alu instid0(VALU_DEP_1)
	v_xor_b32_e32 v33, 0x80000000, v33
.LBB48_195:                             ;   in Loop: Header=BB48_3 Depth=1
	s_or_b32 exec_lo, exec_lo, s65
	s_and_saveexec_b32 s50, s97
	s_cbranch_execz .LBB48_197
; %bb.196:                              ;   in Loop: Header=BB48_3 Depth=1
	ds_load_b64 v[34:35], v5 offset:6240
	s_wait_dscnt 0x0
	v_mul_f64_e32 v[32:33], v[32:33], v[34:35]
	ds_store_b64 v47, v[32:33]
.LBB48_197:                             ;   in Loop: Header=BB48_3 Depth=1
	s_or_b32 exec_lo, exec_lo, s50
	s_wait_dscnt 0x0
	s_barrier_signal -1
	s_barrier_wait -1
	s_and_saveexec_b32 s50, s98
	s_cbranch_execz .LBB48_199
; %bb.198:                              ;   in Loop: Header=BB48_3 Depth=1
	ds_load_b64 v[34:35], v45 offset:6240
	ds_load_b64 v[36:37], v47
	s_wait_dscnt 0x0
	v_fmac_f64_e32 v[32:33], v[34:35], v[36:37]
.LBB48_199:                             ;   in Loop: Header=BB48_3 Depth=1
	s_or_b32 exec_lo, exec_lo, s50
	s_barrier_signal -1
	s_barrier_wait -1
	s_and_saveexec_b32 s50, s99
	s_cbranch_execz .LBB48_201
; %bb.200:                              ;   in Loop: Header=BB48_3 Depth=1
	ds_load_b64 v[34:35], v5 offset:6760
	s_wait_dscnt 0x0
	v_mul_f64_e32 v[32:33], v[32:33], v[34:35]
	ds_store_b64 v47, v[32:33]
.LBB48_201:                             ;   in Loop: Header=BB48_3 Depth=1
	s_or_b32 exec_lo, exec_lo, s50
	s_wait_dscnt 0x0
	s_barrier_signal -1
	s_barrier_wait -1
	s_and_saveexec_b32 s50, s100
	s_cbranch_execz .LBB48_203
; %bb.202:                              ;   in Loop: Header=BB48_3 Depth=1
	ds_load_b64 v[34:35], v45 offset:6752
	ds_load_b64 v[36:37], v47
	s_wait_dscnt 0x0
	v_fmac_f64_e32 v[32:33], v[34:35], v[36:37]
.LBB48_203:                             ;   in Loop: Header=BB48_3 Depth=1
	s_or_b32 exec_lo, exec_lo, s50
	s_barrier_signal -1
	s_barrier_wait -1
	;; [unrolled: 23-line block ×3, first 2 shown]
	s_and_saveexec_b32 s50, s102
	s_cbranch_execz .LBB48_209
; %bb.208:                              ;   in Loop: Header=BB48_3 Depth=1
	ds_load_b64 v[34:35], v5 offset:7800
	s_wait_dscnt 0x0
	v_mul_f64_e32 v[32:33], v[32:33], v[34:35]
	ds_store_b64 v47, v[32:33]
.LBB48_209:                             ;   in Loop: Header=BB48_3 Depth=1
	s_or_b32 exec_lo, exec_lo, s50
	s_wait_dscnt 0x0
	s_barrier_signal -1
	s_barrier_wait -1
	s_barrier_signal -1
	s_barrier_wait -1
	s_and_saveexec_b32 s50, s2
; %bb.210:                              ;   in Loop: Header=BB48_3 Depth=1
	s_delay_alu instid0(VALU_DEP_1)
	v_xor_b32_e32 v33, 0x80000000, v33
	ds_store_b64 v48, v[32:33] offset:4192
; %bb.211:                              ;   in Loop: Header=BB48_3 Depth=1
	s_or_b32 exec_lo, exec_lo, s50
	s_wait_dscnt 0x0
	s_barrier_signal -1
	s_barrier_wait -1
	s_barrier_signal -1
	s_barrier_wait -1
	s_and_saveexec_b32 s50, s103
	s_cbranch_execz .LBB48_213
; %bb.212:                              ;   in Loop: Header=BB48_3 Depth=1
	ds_load_b64 v[32:33], v74 offset:4192
	s_wait_dscnt 0x0
	ds_store_b64 v77, v[32:33] offset:6208
	ds_load_b64 v[32:33], v74 offset:4200
	s_wait_dscnt 0x0
	ds_store_b64 v77, v[32:33] offset:6720
	;; [unrolled: 3-line block ×4, first 2 shown]
.LBB48_213:                             ;   in Loop: Header=BB48_3 Depth=1
	s_or_b32 exec_lo, exec_lo, s50
	s_wait_dscnt 0x0
	s_barrier_signal -1
	s_barrier_wait -1
	s_and_saveexec_b32 s50, s14
	s_cbranch_execz .LBB48_215
; %bb.214:                              ;   in Loop: Header=BB48_3 Depth=1
	ds_load_b128 v[32:35], v5 offset:6240
	ds_load_b64 v[36:37], v5 offset:6760
	s_wait_dscnt 0x0
	v_mul_f64_e32 v[32:33], v[32:33], v[36:37]
	s_delay_alu instid0(VALU_DEP_1)
	v_mul_f64_e32 v[32:33], v[34:35], v[32:33]
	v_add_nc_u32_e64 v34, 0x1800, 0
	ds_store_2addr_b64 v34, v[32:33], v[32:33] offset0:13 offset1:76
.LBB48_215:                             ;   in Loop: Header=BB48_3 Depth=1
	s_or_b32 exec_lo, exec_lo, s50
	v_mov_b64_e32 v[32:33], 0
	s_wait_dscnt 0x0
	s_barrier_signal -1
	s_barrier_wait -1
	s_and_saveexec_b32 s50, s0
	s_cbranch_execz .LBB48_219
; %bb.216:                              ;   in Loop: Header=BB48_3 Depth=1
	ds_load_b64 v[32:33], v41 offset:6256
	ds_load_b64 v[34:35], v42 offset:6240
	s_wait_dscnt 0x0
	v_fma_f64 v[32:33], v[32:33], v[34:35], 0
	s_and_saveexec_b32 s51, s15
	s_cbranch_execz .LBB48_218
; %bb.217:                              ;   in Loop: Header=BB48_3 Depth=1
	ds_load_b64 v[34:35], v77 offset:6768
	ds_load_b64 v[36:37], v5 offset:6248
	s_wait_dscnt 0x0
	v_fmac_f64_e32 v[32:33], v[34:35], v[36:37]
.LBB48_218:                             ;   in Loop: Header=BB48_3 Depth=1
	s_or_b32 exec_lo, exec_lo, s51
	s_delay_alu instid0(VALU_DEP_1)
	v_xor_b32_e32 v33, 0x80000000, v33
.LBB48_219:                             ;   in Loop: Header=BB48_3 Depth=1
	s_or_b32 exec_lo, exec_lo, s50
	s_and_saveexec_b32 s50, s94
	s_cbranch_execz .LBB48_221
; %bb.220:                              ;   in Loop: Header=BB48_3 Depth=1
	ds_load_b64 v[34:35], v5 offset:7280
	s_wait_dscnt 0x0
	v_mul_f64_e32 v[32:33], v[32:33], v[34:35]
	ds_store_b64 v3, v[32:33]
.LBB48_221:                             ;   in Loop: Header=BB48_3 Depth=1
	s_or_b32 exec_lo, exec_lo, s50
	s_wait_dscnt 0x0
	s_barrier_signal -1
	s_barrier_wait -1
	s_and_saveexec_b32 s50, s95
	s_cbranch_execz .LBB48_223
; %bb.222:                              ;   in Loop: Header=BB48_3 Depth=1
	ds_load_b64 v[34:35], v5 offset:7288
	ds_load_b64 v[36:37], v3
	s_wait_dscnt 0x0
	v_fmac_f64_e32 v[32:33], v[34:35], v[36:37]
.LBB48_223:                             ;   in Loop: Header=BB48_3 Depth=1
	s_or_b32 exec_lo, exec_lo, s50
	s_barrier_signal -1
	s_barrier_wait -1
	s_and_saveexec_b32 s50, s95
	s_cbranch_execz .LBB48_225
; %bb.224:                              ;   in Loop: Header=BB48_3 Depth=1
	ds_load_b64 v[34:35], v5 offset:7800
	s_wait_dscnt 0x0
	v_mul_f64_e32 v[32:33], v[32:33], v[34:35]
	ds_store_b64 v3, v[32:33]
.LBB48_225:                             ;   in Loop: Header=BB48_3 Depth=1
	s_or_b32 exec_lo, exec_lo, s50
	s_wait_dscnt 0x0
	s_barrier_signal -1
	s_barrier_wait -1
	s_barrier_signal -1
	s_barrier_wait -1
	s_and_saveexec_b32 s50, s0
; %bb.226:                              ;   in Loop: Header=BB48_3 Depth=1
	s_delay_alu instid0(VALU_DEP_1)
	v_xor_b32_e32 v33, 0x80000000, v33
	ds_store_b64 v41, v[32:33] offset:6256
; %bb.227:                              ;   in Loop: Header=BB48_3 Depth=1
	s_or_b32 exec_lo, exec_lo, s50
	s_wait_dscnt 0x0
	s_barrier_signal -1
	s_barrier_wait -1
	s_barrier_signal -1
	s_barrier_wait -1
	s_and_saveexec_b32 s50, s96
	s_cbranch_execz .LBB48_229
; %bb.228:                              ;   in Loop: Header=BB48_3 Depth=1
	ds_load_b64 v[32:33], v78 offset:6256
	s_wait_dscnt 0x0
	ds_store_b64 v77, v[32:33] offset:7264
	ds_load_b64 v[32:33], v78 offset:6264
	s_wait_dscnt 0x0
	ds_store_b64 v77, v[32:33] offset:7776
.LBB48_229:                             ;   in Loop: Header=BB48_3 Depth=1
	s_or_b32 exec_lo, exec_lo, s50
	s_wait_dscnt 0x0
	s_barrier_signal -1
	s_barrier_wait -1
	s_and_saveexec_b32 s50, s14
	s_cbranch_execz .LBB48_231
; %bb.230:                              ;   in Loop: Header=BB48_3 Depth=1
	ds_load_b128 v[32:35], v5 offset:7280
	ds_load_b64 v[36:37], v5 offset:7800
	s_wait_dscnt 0x0
	v_mul_f64_e32 v[32:33], v[32:33], v[36:37]
	s_delay_alu instid0(VALU_DEP_1)
	v_mul_f64_e32 v[32:33], v[34:35], v[32:33]
	v_add_nc_u32_e64 v34, 0x1800, 0
	ds_store_2addr_b64 v34, v[32:33], v[32:33] offset0:143 offset1:206
.LBB48_231:                             ;   in Loop: Header=BB48_3 Depth=1
	s_or_b32 exec_lo, exec_lo, s50
	v_mov_b64_e32 v[32:33], 0
	s_wait_dscnt 0x0
	s_barrier_signal -1
	s_barrier_wait -1
	s_and_saveexec_b32 s84, s4
	s_cbranch_execz .LBB48_259
; %bb.232:                              ;   in Loop: Header=BB48_3 Depth=1
	ds_load_b64 v[32:33], v63 offset:128
	ds_load_b64 v[34:35], v60
	s_wait_dscnt 0x0
	v_fma_f64 v[32:33], v[32:33], v[34:35], 0
	s_mov_b32 s50, exec_lo
	v_readlane_b32 s51, v98, 29
	s_and_b32 s51, s50, s51
	s_delay_alu instid0(SALU_CYCLE_1)
	s_mov_b32 exec_lo, s51
	s_cbranch_execz .LBB48_234
; %bb.233:                              ;   in Loop: Header=BB48_3 Depth=1
	ds_load_b64 v[34:35], v64 offset:640
	ds_load_b64 v[36:37], v60 offset:8
	s_wait_dscnt 0x0
	v_fmac_f64_e32 v[32:33], v[34:35], v[36:37]
.LBB48_234:                             ;   in Loop: Header=BB48_3 Depth=1
	s_or_b32 exec_lo, exec_lo, s50
	s_delay_alu instid0(SALU_CYCLE_1) | instskip(SKIP_2) | instid1(SALU_CYCLE_1)
	s_mov_b32 s50, exec_lo
	v_readlane_b32 s51, v98, 30
	s_and_b32 s51, s50, s51
	s_mov_b32 exec_lo, s51
	s_cbranch_execz .LBB48_236
; %bb.235:                              ;   in Loop: Header=BB48_3 Depth=1
	ds_load_b64 v[34:35], v64 offset:1152
	ds_load_b64 v[36:37], v60 offset:16
	s_wait_dscnt 0x0
	v_fmac_f64_e32 v[32:33], v[34:35], v[36:37]
.LBB48_236:                             ;   in Loop: Header=BB48_3 Depth=1
	s_or_b32 exec_lo, exec_lo, s50
	s_delay_alu instid0(SALU_CYCLE_1) | instskip(SKIP_2) | instid1(SALU_CYCLE_1)
	s_mov_b32 s50, exec_lo
	v_readlane_b32 s51, v98, 31
	s_and_b32 s51, s50, s51
	;; [unrolled: 13-line block ×10, first 2 shown]
	s_mov_b32 exec_lo, s51
	s_cbranch_execnz .LBB48_1109
; %bb.253:                              ;   in Loop: Header=BB48_3 Depth=1
	s_or_b32 exec_lo, exec_lo, s50
	s_and_saveexec_b32 s50, s3
	s_cbranch_execnz .LBB48_1110
.LBB48_254:                             ;   in Loop: Header=BB48_3 Depth=1
	s_or_b32 exec_lo, exec_lo, s50
	s_and_saveexec_b32 s50, s19
	s_cbranch_execnz .LBB48_1111
.LBB48_255:                             ;   in Loop: Header=BB48_3 Depth=1
	s_or_b32 exec_lo, exec_lo, s50
	s_and_saveexec_b32 s50, s21
	s_cbranch_execnz .LBB48_1112
.LBB48_256:                             ;   in Loop: Header=BB48_3 Depth=1
	s_or_b32 exec_lo, exec_lo, s50
	s_and_saveexec_b32 s50, s2
	s_cbranch_execz .LBB48_258
.LBB48_257:                             ;   in Loop: Header=BB48_3 Depth=1
	ds_load_b64 v[34:35], v43 offset:7808
	ds_load_b64 v[36:37], v5 offset:120
	s_wait_dscnt 0x0
	v_fmac_f64_e32 v[32:33], v[34:35], v[36:37]
.LBB48_258:                             ;   in Loop: Header=BB48_3 Depth=1
	s_or_b32 exec_lo, exec_lo, s50
	s_delay_alu instid0(VALU_DEP_1)
	v_xor_b32_e32 v33, 0x80000000, v33
.LBB48_259:                             ;   in Loop: Header=BB48_3 Depth=1
	s_or_b32 exec_lo, exec_lo, s84
	s_delay_alu instid0(SALU_CYCLE_1) | instskip(SKIP_2) | instid1(SALU_CYCLE_1)
	s_mov_b32 s50, exec_lo
	v_readlane_b32 s51, v98, 6
	s_and_b32 s51, s50, s51
	s_mov_b32 exec_lo, s51
	s_cbranch_execz .LBB48_261
; %bb.260:                              ;   in Loop: Header=BB48_3 Depth=1
	ds_load_b64 v[34:35], v5 offset:8320
	s_wait_dscnt 0x0
	v_mul_f64_e32 v[32:33], v[32:33], v[34:35]
	ds_store_b64 v62, v[32:33]
.LBB48_261:                             ;   in Loop: Header=BB48_3 Depth=1
	s_or_b32 exec_lo, exec_lo, s50
	s_wait_dscnt 0x0
	s_barrier_signal -1
	s_barrier_wait -1
	s_mov_b32 s50, exec_lo
	v_readlane_b32 s51, v98, 7
	s_and_b32 s51, s50, s51
	s_delay_alu instid0(SALU_CYCLE_1)
	s_mov_b32 exec_lo, s51
	s_cbranch_execz .LBB48_263
; %bb.262:                              ;   in Loop: Header=BB48_3 Depth=1
	ds_load_b64 v[34:35], v61 offset:8320
	ds_load_b64 v[36:37], v62
	s_wait_dscnt 0x0
	v_fmac_f64_e32 v[32:33], v[34:35], v[36:37]
.LBB48_263:                             ;   in Loop: Header=BB48_3 Depth=1
	s_or_b32 exec_lo, exec_lo, s50
	s_barrier_signal -1
	s_barrier_wait -1
	s_mov_b32 s50, exec_lo
	v_readlane_b32 s51, v98, 8
	s_and_b32 s51, s50, s51
	s_delay_alu instid0(SALU_CYCLE_1)
	s_mov_b32 exec_lo, s51
	s_cbranch_execz .LBB48_265
; %bb.264:                              ;   in Loop: Header=BB48_3 Depth=1
	ds_load_b64 v[34:35], v5 offset:8840
	s_wait_dscnt 0x0
	v_mul_f64_e32 v[32:33], v[32:33], v[34:35]
	ds_store_b64 v62, v[32:33]
.LBB48_265:                             ;   in Loop: Header=BB48_3 Depth=1
	s_or_b32 exec_lo, exec_lo, s50
	s_wait_dscnt 0x0
	s_barrier_signal -1
	s_barrier_wait -1
	s_mov_b32 s50, exec_lo
	v_readlane_b32 s51, v98, 9
	s_and_b32 s51, s50, s51
	s_delay_alu instid0(SALU_CYCLE_1)
	s_mov_b32 exec_lo, s51
	s_cbranch_execz .LBB48_267
; %bb.266:                              ;   in Loop: Header=BB48_3 Depth=1
	ds_load_b64 v[34:35], v61 offset:8832
	ds_load_b64 v[36:37], v62
	s_wait_dscnt 0x0
	v_fmac_f64_e32 v[32:33], v[34:35], v[36:37]
.LBB48_267:                             ;   in Loop: Header=BB48_3 Depth=1
	s_or_b32 exec_lo, exec_lo, s50
	s_barrier_signal -1
	s_barrier_wait -1
	s_mov_b32 s50, exec_lo
	v_readlane_b32 s51, v98, 10
	s_and_b32 s51, s50, s51
	s_delay_alu instid0(SALU_CYCLE_1)
	s_mov_b32 exec_lo, s51
	s_cbranch_execz .LBB48_269
; %bb.268:                              ;   in Loop: Header=BB48_3 Depth=1
	ds_load_b64 v[34:35], v5 offset:9360
	s_wait_dscnt 0x0
	v_mul_f64_e32 v[32:33], v[32:33], v[34:35]
	ds_store_b64 v62, v[32:33]
.LBB48_269:                             ;   in Loop: Header=BB48_3 Depth=1
	s_or_b32 exec_lo, exec_lo, s50
	s_wait_dscnt 0x0
	s_barrier_signal -1
	s_barrier_wait -1
	s_and_saveexec_b32 s50, s54
	s_cbranch_execz .LBB48_271
; %bb.270:                              ;   in Loop: Header=BB48_3 Depth=1
	ds_load_b64 v[34:35], v61 offset:9344
	ds_load_b64 v[36:37], v62
	s_wait_dscnt 0x0
	v_fmac_f64_e32 v[32:33], v[34:35], v[36:37]
.LBB48_271:                             ;   in Loop: Header=BB48_3 Depth=1
	s_or_b32 exec_lo, exec_lo, s50
	s_barrier_signal -1
	s_barrier_wait -1
	s_and_saveexec_b32 s50, s55
	s_cbranch_execz .LBB48_273
; %bb.272:                              ;   in Loop: Header=BB48_3 Depth=1
	ds_load_b64 v[34:35], v5 offset:9880
	s_wait_dscnt 0x0
	v_mul_f64_e32 v[32:33], v[32:33], v[34:35]
	ds_store_b64 v62, v[32:33]
.LBB48_273:                             ;   in Loop: Header=BB48_3 Depth=1
	s_or_b32 exec_lo, exec_lo, s50
	s_wait_dscnt 0x0
	s_barrier_signal -1
	s_barrier_wait -1
	s_and_saveexec_b32 s50, s56
	s_cbranch_execz .LBB48_275
; %bb.274:                              ;   in Loop: Header=BB48_3 Depth=1
	ds_load_b64 v[34:35], v61 offset:9856
	ds_load_b64 v[36:37], v62
	s_wait_dscnt 0x0
	v_fmac_f64_e32 v[32:33], v[34:35], v[36:37]
.LBB48_275:                             ;   in Loop: Header=BB48_3 Depth=1
	s_or_b32 exec_lo, exec_lo, s50
	s_barrier_signal -1
	s_barrier_wait -1
	s_and_saveexec_b32 s50, s57
	;; [unrolled: 23-line block ×13, first 2 shown]
	s_cbranch_execz .LBB48_321
; %bb.320:                              ;   in Loop: Header=BB48_3 Depth=1
	ds_load_b64 v[34:35], v5 offset:16120
	s_wait_dscnt 0x0
	v_mul_f64_e32 v[32:33], v[32:33], v[34:35]
	ds_store_b64 v62, v[32:33]
.LBB48_321:                             ;   in Loop: Header=BB48_3 Depth=1
	s_or_b32 exec_lo, exec_lo, s50
	s_wait_dscnt 0x0
	s_barrier_signal -1
	s_barrier_wait -1
	s_barrier_signal -1
	s_barrier_wait -1
	s_and_saveexec_b32 s50, s4
; %bb.322:                              ;   in Loop: Header=BB48_3 Depth=1
	s_delay_alu instid0(VALU_DEP_1)
	v_xor_b32_e32 v33, 0x80000000, v33
	ds_store_b64 v63, v[32:33] offset:128
; %bb.323:                              ;   in Loop: Header=BB48_3 Depth=1
	s_or_b32 exec_lo, exec_lo, s50
	s_wait_dscnt 0x0
	s_barrier_signal -1
	s_barrier_wait -1
	s_barrier_signal -1
	s_barrier_wait -1
	s_and_saveexec_b32 s50, s73
	s_cbranch_execz .LBB48_325
; %bb.324:                              ;   in Loop: Header=BB48_3 Depth=1
	ds_load_b64 v[32:33], v46 offset:128
	s_wait_dscnt 0x0
	ds_store_b64 v50, v[32:33] offset:8192
	ds_load_b64 v[32:33], v46 offset:136
	s_wait_dscnt 0x0
	ds_store_b64 v50, v[32:33] offset:8704
	;; [unrolled: 3-line block ×16, first 2 shown]
.LBB48_325:                             ;   in Loop: Header=BB48_3 Depth=1
	s_or_b32 exec_lo, exec_lo, s50
	s_wait_dscnt 0x0
	s_barrier_signal -1
	s_barrier_wait -1
	s_and_saveexec_b32 s50, s14
	s_cbranch_execz .LBB48_327
; %bb.326:                              ;   in Loop: Header=BB48_3 Depth=1
	ds_load_b128 v[32:35], v5 offset:8320
	ds_load_b64 v[36:37], v5 offset:8840
	s_wait_dscnt 0x0
	v_mul_f64_e32 v[32:33], v[32:33], v[36:37]
	s_delay_alu instid0(VALU_DEP_1)
	v_mul_f64_e32 v[32:33], v[34:35], v[32:33]
	v_add_nc_u32_e64 v34, 0x2000, 0
	ds_store_2addr_b64 v34, v[32:33], v[32:33] offset0:17 offset1:80
.LBB48_327:                             ;   in Loop: Header=BB48_3 Depth=1
	s_or_b32 exec_lo, exec_lo, s50
	v_mov_b64_e32 v[32:33], 0
	s_wait_dscnt 0x0
	s_barrier_signal -1
	s_barrier_wait -1
	s_and_saveexec_b32 s50, s0
	s_cbranch_execz .LBB48_331
; %bb.328:                              ;   in Loop: Header=BB48_3 Depth=1
	ds_load_b64 v[32:33], v41 offset:8336
	ds_load_b64 v[34:35], v42 offset:8320
	s_wait_dscnt 0x0
	v_fma_f64 v[32:33], v[32:33], v[34:35], 0
	s_and_saveexec_b32 s51, s15
	s_cbranch_execz .LBB48_330
; %bb.329:                              ;   in Loop: Header=BB48_3 Depth=1
	ds_load_b64 v[34:35], v43 offset:8848
	ds_load_b64 v[36:37], v5 offset:8328
	s_wait_dscnt 0x0
	v_fmac_f64_e32 v[32:33], v[34:35], v[36:37]
.LBB48_330:                             ;   in Loop: Header=BB48_3 Depth=1
	s_or_b32 exec_lo, exec_lo, s51
	s_delay_alu instid0(VALU_DEP_1)
	v_xor_b32_e32 v33, 0x80000000, v33
.LBB48_331:                             ;   in Loop: Header=BB48_3 Depth=1
	s_or_b32 exec_lo, exec_lo, s50
	s_and_saveexec_b32 s50, s94
	s_cbranch_execz .LBB48_333
; %bb.332:                              ;   in Loop: Header=BB48_3 Depth=1
	ds_load_b64 v[34:35], v5 offset:9360
	s_wait_dscnt 0x0
	v_mul_f64_e32 v[32:33], v[32:33], v[34:35]
	ds_store_b64 v3, v[32:33]
.LBB48_333:                             ;   in Loop: Header=BB48_3 Depth=1
	s_or_b32 exec_lo, exec_lo, s50
	s_wait_dscnt 0x0
	s_barrier_signal -1
	s_barrier_wait -1
	s_and_saveexec_b32 s50, s95
	s_cbranch_execz .LBB48_335
; %bb.334:                              ;   in Loop: Header=BB48_3 Depth=1
	ds_load_b64 v[34:35], v5 offset:9368
	ds_load_b64 v[36:37], v3
	s_wait_dscnt 0x0
	v_fmac_f64_e32 v[32:33], v[34:35], v[36:37]
.LBB48_335:                             ;   in Loop: Header=BB48_3 Depth=1
	s_or_b32 exec_lo, exec_lo, s50
	s_barrier_signal -1
	s_barrier_wait -1
	s_and_saveexec_b32 s50, s95
	s_cbranch_execz .LBB48_337
; %bb.336:                              ;   in Loop: Header=BB48_3 Depth=1
	ds_load_b64 v[34:35], v5 offset:9880
	s_wait_dscnt 0x0
	v_mul_f64_e32 v[32:33], v[32:33], v[34:35]
	ds_store_b64 v3, v[32:33]
.LBB48_337:                             ;   in Loop: Header=BB48_3 Depth=1
	s_or_b32 exec_lo, exec_lo, s50
	s_wait_dscnt 0x0
	s_barrier_signal -1
	s_barrier_wait -1
	s_barrier_signal -1
	s_barrier_wait -1
	s_and_saveexec_b32 s50, s0
; %bb.338:                              ;   in Loop: Header=BB48_3 Depth=1
	s_delay_alu instid0(VALU_DEP_1)
	v_xor_b32_e32 v33, 0x80000000, v33
	ds_store_b64 v41, v[32:33] offset:8336
; %bb.339:                              ;   in Loop: Header=BB48_3 Depth=1
	s_or_b32 exec_lo, exec_lo, s50
	s_wait_dscnt 0x0
	s_barrier_signal -1
	s_barrier_wait -1
	s_barrier_signal -1
	s_barrier_wait -1
	s_and_saveexec_b32 s50, s96
	s_cbranch_execz .LBB48_341
; %bb.340:                              ;   in Loop: Header=BB48_3 Depth=1
	ds_load_b64 v[32:33], v46 offset:8336
	s_wait_dscnt 0x0
	ds_store_b64 v43, v[32:33] offset:9344
	ds_load_b64 v[32:33], v46 offset:8344
	s_wait_dscnt 0x0
	ds_store_b64 v43, v[32:33] offset:9856
.LBB48_341:                             ;   in Loop: Header=BB48_3 Depth=1
	s_or_b32 exec_lo, exec_lo, s50
	s_wait_dscnt 0x0
	s_barrier_signal -1
	s_barrier_wait -1
	s_and_saveexec_b32 s50, s14
	s_cbranch_execz .LBB48_343
; %bb.342:                              ;   in Loop: Header=BB48_3 Depth=1
	ds_load_b128 v[32:35], v5 offset:9360
	ds_load_b64 v[36:37], v5 offset:9880
	s_wait_dscnt 0x0
	v_mul_f64_e32 v[32:33], v[32:33], v[36:37]
	s_delay_alu instid0(VALU_DEP_1)
	v_mul_f64_e32 v[32:33], v[34:35], v[32:33]
	v_add_nc_u32_e64 v34, 0x2000, 0
	ds_store_2addr_b64 v34, v[32:33], v[32:33] offset0:147 offset1:210
.LBB48_343:                             ;   in Loop: Header=BB48_3 Depth=1
	s_or_b32 exec_lo, exec_lo, s50
	v_mov_b64_e32 v[32:33], 0
	s_wait_dscnt 0x0
	s_barrier_signal -1
	s_barrier_wait -1
	s_and_saveexec_b32 s65, s2
	s_cbranch_execz .LBB48_349
; %bb.344:                              ;   in Loop: Header=BB48_3 Depth=1
	ds_load_b64 v[32:33], v48 offset:8352
	ds_load_b64 v[34:35], v44 offset:8320
	s_wait_dscnt 0x0
	v_fma_f64 v[32:33], v[32:33], v[34:35], 0
	s_and_saveexec_b32 s50, s16
	s_cbranch_execnz .LBB48_1113
; %bb.345:                              ;   in Loop: Header=BB48_3 Depth=1
	s_or_b32 exec_lo, exec_lo, s50
	s_and_saveexec_b32 s50, s17
	s_cbranch_execnz .LBB48_1114
.LBB48_346:                             ;   in Loop: Header=BB48_3 Depth=1
	s_or_b32 exec_lo, exec_lo, s50
	s_and_saveexec_b32 s50, s0
	s_cbranch_execz .LBB48_348
.LBB48_347:                             ;   in Loop: Header=BB48_3 Depth=1
	ds_load_b64 v[34:35], v50 offset:9888
	ds_load_b64 v[36:37], v5 offset:8344
	s_wait_dscnt 0x0
	v_fmac_f64_e32 v[32:33], v[34:35], v[36:37]
.LBB48_348:                             ;   in Loop: Header=BB48_3 Depth=1
	s_or_b32 exec_lo, exec_lo, s50
	s_delay_alu instid0(VALU_DEP_1)
	v_xor_b32_e32 v33, 0x80000000, v33
.LBB48_349:                             ;   in Loop: Header=BB48_3 Depth=1
	s_or_b32 exec_lo, exec_lo, s65
	s_and_saveexec_b32 s50, s97
	s_cbranch_execz .LBB48_351
; %bb.350:                              ;   in Loop: Header=BB48_3 Depth=1
	ds_load_b64 v[34:35], v5 offset:10400
	s_wait_dscnt 0x0
	v_mul_f64_e32 v[32:33], v[32:33], v[34:35]
	ds_store_b64 v47, v[32:33]
.LBB48_351:                             ;   in Loop: Header=BB48_3 Depth=1
	s_or_b32 exec_lo, exec_lo, s50
	s_wait_dscnt 0x0
	s_barrier_signal -1
	s_barrier_wait -1
	s_and_saveexec_b32 s50, s98
	s_cbranch_execz .LBB48_353
; %bb.352:                              ;   in Loop: Header=BB48_3 Depth=1
	ds_load_b64 v[34:35], v45 offset:10400
	ds_load_b64 v[36:37], v47
	s_wait_dscnt 0x0
	v_fmac_f64_e32 v[32:33], v[34:35], v[36:37]
.LBB48_353:                             ;   in Loop: Header=BB48_3 Depth=1
	s_or_b32 exec_lo, exec_lo, s50
	s_barrier_signal -1
	s_barrier_wait -1
	s_and_saveexec_b32 s50, s99
	s_cbranch_execz .LBB48_355
; %bb.354:                              ;   in Loop: Header=BB48_3 Depth=1
	ds_load_b64 v[34:35], v5 offset:10920
	s_wait_dscnt 0x0
	v_mul_f64_e32 v[32:33], v[32:33], v[34:35]
	ds_store_b64 v47, v[32:33]
.LBB48_355:                             ;   in Loop: Header=BB48_3 Depth=1
	s_or_b32 exec_lo, exec_lo, s50
	s_wait_dscnt 0x0
	s_barrier_signal -1
	s_barrier_wait -1
	s_and_saveexec_b32 s50, s100
	s_cbranch_execz .LBB48_357
; %bb.356:                              ;   in Loop: Header=BB48_3 Depth=1
	ds_load_b64 v[34:35], v45 offset:10912
	ds_load_b64 v[36:37], v47
	s_wait_dscnt 0x0
	v_fmac_f64_e32 v[32:33], v[34:35], v[36:37]
.LBB48_357:                             ;   in Loop: Header=BB48_3 Depth=1
	s_or_b32 exec_lo, exec_lo, s50
	s_barrier_signal -1
	s_barrier_wait -1
	;; [unrolled: 23-line block ×3, first 2 shown]
	s_and_saveexec_b32 s50, s102
	s_cbranch_execz .LBB48_363
; %bb.362:                              ;   in Loop: Header=BB48_3 Depth=1
	ds_load_b64 v[34:35], v5 offset:11960
	s_wait_dscnt 0x0
	v_mul_f64_e32 v[32:33], v[32:33], v[34:35]
	ds_store_b64 v47, v[32:33]
.LBB48_363:                             ;   in Loop: Header=BB48_3 Depth=1
	s_or_b32 exec_lo, exec_lo, s50
	s_wait_dscnt 0x0
	s_barrier_signal -1
	s_barrier_wait -1
	s_barrier_signal -1
	s_barrier_wait -1
	s_and_saveexec_b32 s50, s2
; %bb.364:                              ;   in Loop: Header=BB48_3 Depth=1
	s_delay_alu instid0(VALU_DEP_1)
	v_xor_b32_e32 v33, 0x80000000, v33
	ds_store_b64 v48, v[32:33] offset:8352
; %bb.365:                              ;   in Loop: Header=BB48_3 Depth=1
	s_or_b32 exec_lo, exec_lo, s50
	s_wait_dscnt 0x0
	s_barrier_signal -1
	s_barrier_wait -1
	s_barrier_signal -1
	s_barrier_wait -1
	s_and_saveexec_b32 s50, s103
	s_cbranch_execz .LBB48_367
; %bb.366:                              ;   in Loop: Header=BB48_3 Depth=1
	ds_load_b64 v[32:33], v51 offset:8352
	s_wait_dscnt 0x0
	ds_store_b64 v52, v[32:33] offset:10368
	ds_load_b64 v[32:33], v51 offset:8360
	s_wait_dscnt 0x0
	ds_store_b64 v52, v[32:33] offset:10880
	;; [unrolled: 3-line block ×4, first 2 shown]
.LBB48_367:                             ;   in Loop: Header=BB48_3 Depth=1
	s_or_b32 exec_lo, exec_lo, s50
	s_wait_dscnt 0x0
	s_barrier_signal -1
	s_barrier_wait -1
	s_and_saveexec_b32 s50, s14
	s_cbranch_execz .LBB48_369
; %bb.368:                              ;   in Loop: Header=BB48_3 Depth=1
	ds_load_b128 v[32:35], v5 offset:10400
	ds_load_b64 v[36:37], v5 offset:10920
	s_wait_dscnt 0x0
	v_mul_f64_e32 v[32:33], v[32:33], v[36:37]
	s_delay_alu instid0(VALU_DEP_1)
	v_mul_f64_e32 v[32:33], v[34:35], v[32:33]
	v_add_nc_u32_e64 v34, 0x2800, 0
	ds_store_2addr_b64 v34, v[32:33], v[32:33] offset0:21 offset1:84
.LBB48_369:                             ;   in Loop: Header=BB48_3 Depth=1
	s_or_b32 exec_lo, exec_lo, s50
	v_mov_b64_e32 v[32:33], 0
	s_wait_dscnt 0x0
	s_barrier_signal -1
	s_barrier_wait -1
	s_and_saveexec_b32 s50, s0
	s_cbranch_execz .LBB48_373
; %bb.370:                              ;   in Loop: Header=BB48_3 Depth=1
	ds_load_b64 v[32:33], v41 offset:10416
	ds_load_b64 v[34:35], v42 offset:10400
	s_wait_dscnt 0x0
	v_fma_f64 v[32:33], v[32:33], v[34:35], 0
	s_and_saveexec_b32 s51, s15
	s_cbranch_execz .LBB48_372
; %bb.371:                              ;   in Loop: Header=BB48_3 Depth=1
	ds_load_b64 v[34:35], v52 offset:10928
	ds_load_b64 v[36:37], v5 offset:10408
	s_wait_dscnt 0x0
	v_fmac_f64_e32 v[32:33], v[34:35], v[36:37]
.LBB48_372:                             ;   in Loop: Header=BB48_3 Depth=1
	s_or_b32 exec_lo, exec_lo, s51
	s_delay_alu instid0(VALU_DEP_1)
	v_xor_b32_e32 v33, 0x80000000, v33
.LBB48_373:                             ;   in Loop: Header=BB48_3 Depth=1
	s_or_b32 exec_lo, exec_lo, s50
	s_and_saveexec_b32 s50, s94
	s_cbranch_execz .LBB48_375
; %bb.374:                              ;   in Loop: Header=BB48_3 Depth=1
	ds_load_b64 v[34:35], v5 offset:11440
	s_wait_dscnt 0x0
	v_mul_f64_e32 v[32:33], v[32:33], v[34:35]
	ds_store_b64 v3, v[32:33]
.LBB48_375:                             ;   in Loop: Header=BB48_3 Depth=1
	s_or_b32 exec_lo, exec_lo, s50
	s_wait_dscnt 0x0
	s_barrier_signal -1
	s_barrier_wait -1
	s_and_saveexec_b32 s50, s95
	s_cbranch_execz .LBB48_377
; %bb.376:                              ;   in Loop: Header=BB48_3 Depth=1
	ds_load_b64 v[34:35], v5 offset:11448
	ds_load_b64 v[36:37], v3
	s_wait_dscnt 0x0
	v_fmac_f64_e32 v[32:33], v[34:35], v[36:37]
.LBB48_377:                             ;   in Loop: Header=BB48_3 Depth=1
	s_or_b32 exec_lo, exec_lo, s50
	s_barrier_signal -1
	s_barrier_wait -1
	s_and_saveexec_b32 s50, s95
	s_cbranch_execz .LBB48_379
; %bb.378:                              ;   in Loop: Header=BB48_3 Depth=1
	ds_load_b64 v[34:35], v5 offset:11960
	s_wait_dscnt 0x0
	v_mul_f64_e32 v[32:33], v[32:33], v[34:35]
	ds_store_b64 v3, v[32:33]
.LBB48_379:                             ;   in Loop: Header=BB48_3 Depth=1
	s_or_b32 exec_lo, exec_lo, s50
	s_wait_dscnt 0x0
	s_barrier_signal -1
	s_barrier_wait -1
	s_barrier_signal -1
	s_barrier_wait -1
	s_and_saveexec_b32 s50, s0
; %bb.380:                              ;   in Loop: Header=BB48_3 Depth=1
	s_delay_alu instid0(VALU_DEP_1)
	v_xor_b32_e32 v33, 0x80000000, v33
	ds_store_b64 v41, v[32:33] offset:10416
; %bb.381:                              ;   in Loop: Header=BB48_3 Depth=1
	s_or_b32 exec_lo, exec_lo, s50
	s_wait_dscnt 0x0
	s_barrier_signal -1
	s_barrier_wait -1
	s_barrier_signal -1
	s_barrier_wait -1
	s_and_saveexec_b32 s50, s96
	s_cbranch_execz .LBB48_383
; %bb.382:                              ;   in Loop: Header=BB48_3 Depth=1
	ds_load_b64 v[32:33], v55 offset:10416
	s_wait_dscnt 0x0
	ds_store_b64 v52, v[32:33] offset:11424
	ds_load_b64 v[32:33], v55 offset:10424
	s_wait_dscnt 0x0
	ds_store_b64 v52, v[32:33] offset:11936
.LBB48_383:                             ;   in Loop: Header=BB48_3 Depth=1
	s_or_b32 exec_lo, exec_lo, s50
	s_wait_dscnt 0x0
	s_barrier_signal -1
	s_barrier_wait -1
	s_and_saveexec_b32 s50, s14
	s_cbranch_execz .LBB48_385
; %bb.384:                              ;   in Loop: Header=BB48_3 Depth=1
	ds_load_b128 v[32:35], v5 offset:11440
	ds_load_b64 v[36:37], v5 offset:11960
	s_wait_dscnt 0x0
	v_mul_f64_e32 v[32:33], v[32:33], v[36:37]
	s_delay_alu instid0(VALU_DEP_1)
	v_mul_f64_e32 v[32:33], v[34:35], v[32:33]
	v_add_nc_u32_e64 v34, 0x2800, 0
	ds_store_2addr_b64 v34, v[32:33], v[32:33] offset0:151 offset1:214
.LBB48_385:                             ;   in Loop: Header=BB48_3 Depth=1
	s_or_b32 exec_lo, exec_lo, s50
	v_mov_b64_e32 v[32:33], 0
	s_wait_dscnt 0x0
	s_barrier_signal -1
	s_barrier_wait -1
	s_and_saveexec_b32 s65, s3
	s_cbranch_execz .LBB48_395
; %bb.386:                              ;   in Loop: Header=BB48_3 Depth=1
	ds_load_b64 v[32:33], v57 offset:8384
	ds_load_b64 v[34:35], v53 offset:8320
	s_wait_dscnt 0x0
	v_fma_f64 v[32:33], v[32:33], v[34:35], 0
	s_and_saveexec_b32 s50, s18
	s_cbranch_execnz .LBB48_1115
; %bb.387:                              ;   in Loop: Header=BB48_3 Depth=1
	s_or_b32 exec_lo, exec_lo, s50
	s_and_saveexec_b32 s50, s19
	s_cbranch_execnz .LBB48_1116
.LBB48_388:                             ;   in Loop: Header=BB48_3 Depth=1
	s_or_b32 exec_lo, exec_lo, s50
	s_and_saveexec_b32 s50, s20
	s_cbranch_execnz .LBB48_1117
.LBB48_389:                             ;   in Loop: Header=BB48_3 Depth=1
	s_or_b32 exec_lo, exec_lo, s50
	s_and_saveexec_b32 s50, s21
	s_cbranch_execnz .LBB48_1118
.LBB48_390:                             ;   in Loop: Header=BB48_3 Depth=1
	s_or_b32 exec_lo, exec_lo, s50
	s_and_saveexec_b32 s50, s22
	s_cbranch_execnz .LBB48_1119
.LBB48_391:                             ;   in Loop: Header=BB48_3 Depth=1
	s_or_b32 exec_lo, exec_lo, s50
	s_and_saveexec_b32 s50, s2
	s_cbranch_execnz .LBB48_1120
.LBB48_392:                             ;   in Loop: Header=BB48_3 Depth=1
	s_or_b32 exec_lo, exec_lo, s50
	s_and_saveexec_b32 s50, s17
	s_cbranch_execz .LBB48_394
.LBB48_393:                             ;   in Loop: Header=BB48_3 Depth=1
	ds_load_b64 v[34:35], v59 offset:11968
	ds_load_b64 v[36:37], v5 offset:8376
	s_wait_dscnt 0x0
	v_fmac_f64_e32 v[32:33], v[34:35], v[36:37]
.LBB48_394:                             ;   in Loop: Header=BB48_3 Depth=1
	s_or_b32 exec_lo, exec_lo, s50
	s_delay_alu instid0(VALU_DEP_1)
	v_xor_b32_e32 v33, 0x80000000, v33
.LBB48_395:                             ;   in Loop: Header=BB48_3 Depth=1
	s_or_b32 exec_lo, exec_lo, s65
	s_and_saveexec_b32 s50, s104
	s_cbranch_execz .LBB48_397
; %bb.396:                              ;   in Loop: Header=BB48_3 Depth=1
	ds_load_b64 v[34:35], v5 offset:12480
	s_wait_dscnt 0x0
	v_mul_f64_e32 v[32:33], v[32:33], v[34:35]
	ds_store_b64 v56, v[32:33]
.LBB48_397:                             ;   in Loop: Header=BB48_3 Depth=1
	s_or_b32 exec_lo, exec_lo, s50
	s_wait_dscnt 0x0
	s_barrier_signal -1
	s_barrier_wait -1
	s_and_saveexec_b32 s50, vcc_hi
	s_cbranch_execz .LBB48_399
; %bb.398:                              ;   in Loop: Header=BB48_3 Depth=1
	ds_load_b64 v[34:35], v54 offset:12480
	ds_load_b64 v[36:37], v56
	s_wait_dscnt 0x0
	v_fmac_f64_e32 v[32:33], v[34:35], v[36:37]
.LBB48_399:                             ;   in Loop: Header=BB48_3 Depth=1
	s_or_b32 exec_lo, exec_lo, s50
	s_barrier_signal -1
	s_barrier_wait -1
	s_and_saveexec_b32 s50, s36
	s_cbranch_execz .LBB48_401
; %bb.400:                              ;   in Loop: Header=BB48_3 Depth=1
	ds_load_b64 v[34:35], v5 offset:13000
	s_wait_dscnt 0x0
	v_mul_f64_e32 v[32:33], v[32:33], v[34:35]
	ds_store_b64 v56, v[32:33]
.LBB48_401:                             ;   in Loop: Header=BB48_3 Depth=1
	s_or_b32 exec_lo, exec_lo, s50
	s_wait_dscnt 0x0
	s_barrier_signal -1
	s_barrier_wait -1
	s_and_saveexec_b32 s50, s37
	s_cbranch_execz .LBB48_403
; %bb.402:                              ;   in Loop: Header=BB48_3 Depth=1
	ds_load_b64 v[34:35], v54 offset:12992
	ds_load_b64 v[36:37], v56
	s_wait_dscnt 0x0
	v_fmac_f64_e32 v[32:33], v[34:35], v[36:37]
.LBB48_403:                             ;   in Loop: Header=BB48_3 Depth=1
	s_or_b32 exec_lo, exec_lo, s50
	s_barrier_signal -1
	s_barrier_wait -1
	s_and_saveexec_b32 s50, s38
	s_cbranch_execz .LBB48_405
; %bb.404:                              ;   in Loop: Header=BB48_3 Depth=1
	ds_load_b64 v[34:35], v5 offset:13520
	s_wait_dscnt 0x0
	v_mul_f64_e32 v[32:33], v[32:33], v[34:35]
	ds_store_b64 v56, v[32:33]
.LBB48_405:                             ;   in Loop: Header=BB48_3 Depth=1
	s_or_b32 exec_lo, exec_lo, s50
	s_wait_dscnt 0x0
	s_barrier_signal -1
	s_barrier_wait -1
	s_and_saveexec_b32 s50, s39
	;; [unrolled: 23-line block ×6, first 2 shown]
	s_cbranch_execz .LBB48_423
; %bb.422:                              ;   in Loop: Header=BB48_3 Depth=1
	ds_load_b64 v[34:35], v5 offset:15608
	ds_load_b64 v[36:37], v56
	s_wait_dscnt 0x0
	v_fmac_f64_e32 v[32:33], v[34:35], v[36:37]
.LBB48_423:                             ;   in Loop: Header=BB48_3 Depth=1
	s_or_b32 exec_lo, exec_lo, s50
	s_barrier_signal -1
	s_barrier_wait -1
	s_and_saveexec_b32 s50, s47
	s_cbranch_execz .LBB48_425
; %bb.424:                              ;   in Loop: Header=BB48_3 Depth=1
	ds_load_b64 v[34:35], v5 offset:16120
	s_wait_dscnt 0x0
	v_mul_f64_e32 v[32:33], v[32:33], v[34:35]
	ds_store_b64 v56, v[32:33]
.LBB48_425:                             ;   in Loop: Header=BB48_3 Depth=1
	s_or_b32 exec_lo, exec_lo, s50
	s_wait_dscnt 0x0
	s_barrier_signal -1
	s_barrier_wait -1
	s_barrier_signal -1
	s_barrier_wait -1
	s_and_saveexec_b32 s50, s3
; %bb.426:                              ;   in Loop: Header=BB48_3 Depth=1
	s_delay_alu instid0(VALU_DEP_1)
	v_xor_b32_e32 v33, 0x80000000, v33
	ds_store_b64 v57, v[32:33] offset:8384
; %bb.427:                              ;   in Loop: Header=BB48_3 Depth=1
	s_or_b32 exec_lo, exec_lo, s50
	s_wait_dscnt 0x0
	s_barrier_signal -1
	s_barrier_wait -1
	s_barrier_signal -1
	s_barrier_wait -1
	s_and_saveexec_b32 s50, s48
	s_cbranch_execz .LBB48_429
; %bb.428:                              ;   in Loop: Header=BB48_3 Depth=1
	ds_load_b64 v[32:33], v68 offset:8384
	s_wait_dscnt 0x0
	ds_store_b64 v69, v[32:33] offset:12416
	ds_load_b64 v[32:33], v68 offset:8392
	s_wait_dscnt 0x0
	ds_store_b64 v69, v[32:33] offset:12928
	;; [unrolled: 3-line block ×8, first 2 shown]
.LBB48_429:                             ;   in Loop: Header=BB48_3 Depth=1
	s_or_b32 exec_lo, exec_lo, s50
	s_wait_dscnt 0x0
	s_barrier_signal -1
	s_barrier_wait -1
	s_and_saveexec_b32 s50, s14
	s_cbranch_execz .LBB48_431
; %bb.430:                              ;   in Loop: Header=BB48_3 Depth=1
	ds_load_b128 v[32:35], v5 offset:12480
	ds_load_b64 v[36:37], v5 offset:13000
	s_wait_dscnt 0x0
	v_mul_f64_e32 v[32:33], v[32:33], v[36:37]
	s_delay_alu instid0(VALU_DEP_1)
	v_mul_f64_e32 v[32:33], v[34:35], v[32:33]
	v_add_nc_u32_e64 v34, 0x3000, 0
	ds_store_2addr_b64 v34, v[32:33], v[32:33] offset0:25 offset1:88
.LBB48_431:                             ;   in Loop: Header=BB48_3 Depth=1
	s_or_b32 exec_lo, exec_lo, s50
	v_mov_b64_e32 v[32:33], 0
	s_wait_dscnt 0x0
	s_barrier_signal -1
	s_barrier_wait -1
	s_and_saveexec_b32 s50, s0
	s_cbranch_execz .LBB48_435
; %bb.432:                              ;   in Loop: Header=BB48_3 Depth=1
	ds_load_b64 v[32:33], v41 offset:12496
	ds_load_b64 v[34:35], v42 offset:12480
	s_wait_dscnt 0x0
	v_fma_f64 v[32:33], v[32:33], v[34:35], 0
	s_and_saveexec_b32 s51, s15
	s_cbranch_execz .LBB48_434
; %bb.433:                              ;   in Loop: Header=BB48_3 Depth=1
	ds_load_b64 v[34:35], v69 offset:13008
	ds_load_b64 v[36:37], v5 offset:12488
	s_wait_dscnt 0x0
	v_fmac_f64_e32 v[32:33], v[34:35], v[36:37]
.LBB48_434:                             ;   in Loop: Header=BB48_3 Depth=1
	s_or_b32 exec_lo, exec_lo, s51
	s_delay_alu instid0(VALU_DEP_1)
	v_xor_b32_e32 v33, 0x80000000, v33
.LBB48_435:                             ;   in Loop: Header=BB48_3 Depth=1
	s_or_b32 exec_lo, exec_lo, s50
	s_and_saveexec_b32 s50, s94
	s_cbranch_execz .LBB48_437
; %bb.436:                              ;   in Loop: Header=BB48_3 Depth=1
	ds_load_b64 v[34:35], v5 offset:13520
	s_wait_dscnt 0x0
	v_mul_f64_e32 v[32:33], v[32:33], v[34:35]
	ds_store_b64 v3, v[32:33]
.LBB48_437:                             ;   in Loop: Header=BB48_3 Depth=1
	s_or_b32 exec_lo, exec_lo, s50
	s_wait_dscnt 0x0
	s_barrier_signal -1
	s_barrier_wait -1
	s_and_saveexec_b32 s50, s95
	s_cbranch_execz .LBB48_439
; %bb.438:                              ;   in Loop: Header=BB48_3 Depth=1
	ds_load_b64 v[34:35], v5 offset:13528
	ds_load_b64 v[36:37], v3
	s_wait_dscnt 0x0
	v_fmac_f64_e32 v[32:33], v[34:35], v[36:37]
.LBB48_439:                             ;   in Loop: Header=BB48_3 Depth=1
	s_or_b32 exec_lo, exec_lo, s50
	s_barrier_signal -1
	s_barrier_wait -1
	s_and_saveexec_b32 s50, s95
	s_cbranch_execz .LBB48_441
; %bb.440:                              ;   in Loop: Header=BB48_3 Depth=1
	ds_load_b64 v[34:35], v5 offset:14040
	s_wait_dscnt 0x0
	v_mul_f64_e32 v[32:33], v[32:33], v[34:35]
	ds_store_b64 v3, v[32:33]
.LBB48_441:                             ;   in Loop: Header=BB48_3 Depth=1
	s_or_b32 exec_lo, exec_lo, s50
	s_wait_dscnt 0x0
	s_barrier_signal -1
	s_barrier_wait -1
	s_barrier_signal -1
	s_barrier_wait -1
	s_and_saveexec_b32 s50, s0
; %bb.442:                              ;   in Loop: Header=BB48_3 Depth=1
	s_delay_alu instid0(VALU_DEP_1)
	v_xor_b32_e32 v33, 0x80000000, v33
	ds_store_b64 v41, v[32:33] offset:12496
; %bb.443:                              ;   in Loop: Header=BB48_3 Depth=1
	s_or_b32 exec_lo, exec_lo, s50
	s_wait_dscnt 0x0
	s_barrier_signal -1
	s_barrier_wait -1
	s_barrier_signal -1
	s_barrier_wait -1
	s_and_saveexec_b32 s50, s96
	s_cbranch_execz .LBB48_445
; %bb.444:                              ;   in Loop: Header=BB48_3 Depth=1
	ds_load_b64 v[32:33], v70 offset:12496
	s_wait_dscnt 0x0
	ds_store_b64 v69, v[32:33] offset:13504
	ds_load_b64 v[32:33], v70 offset:12504
	s_wait_dscnt 0x0
	ds_store_b64 v69, v[32:33] offset:14016
.LBB48_445:                             ;   in Loop: Header=BB48_3 Depth=1
	s_or_b32 exec_lo, exec_lo, s50
	s_wait_dscnt 0x0
	s_barrier_signal -1
	s_barrier_wait -1
	s_and_saveexec_b32 s50, s14
	s_cbranch_execz .LBB48_447
; %bb.446:                              ;   in Loop: Header=BB48_3 Depth=1
	ds_load_b128 v[32:35], v5 offset:13520
	ds_load_b64 v[36:37], v5 offset:14040
	s_wait_dscnt 0x0
	v_mul_f64_e32 v[32:33], v[32:33], v[36:37]
	s_delay_alu instid0(VALU_DEP_1)
	v_mul_f64_e32 v[32:33], v[34:35], v[32:33]
	v_add_nc_u32_e64 v34, 0x3000, 0
	ds_store_2addr_b64 v34, v[32:33], v[32:33] offset0:155 offset1:218
.LBB48_447:                             ;   in Loop: Header=BB48_3 Depth=1
	s_or_b32 exec_lo, exec_lo, s50
	v_mov_b64_e32 v[32:33], 0
	s_wait_dscnt 0x0
	s_barrier_signal -1
	s_barrier_wait -1
	s_and_saveexec_b32 s65, s2
	s_cbranch_execz .LBB48_453
; %bb.448:                              ;   in Loop: Header=BB48_3 Depth=1
	ds_load_b64 v[32:33], v48 offset:12512
	ds_load_b64 v[34:35], v44 offset:12480
	s_wait_dscnt 0x0
	v_fma_f64 v[32:33], v[32:33], v[34:35], 0
	s_and_saveexec_b32 s50, s16
	s_cbranch_execnz .LBB48_1121
; %bb.449:                              ;   in Loop: Header=BB48_3 Depth=1
	s_or_b32 exec_lo, exec_lo, s50
	s_and_saveexec_b32 s50, s17
	s_cbranch_execnz .LBB48_1122
.LBB48_450:                             ;   in Loop: Header=BB48_3 Depth=1
	s_or_b32 exec_lo, exec_lo, s50
	s_and_saveexec_b32 s50, s0
	s_cbranch_execz .LBB48_452
.LBB48_451:                             ;   in Loop: Header=BB48_3 Depth=1
	ds_load_b64 v[34:35], v71 offset:14048
	ds_load_b64 v[36:37], v5 offset:12504
	s_wait_dscnt 0x0
	v_fmac_f64_e32 v[32:33], v[34:35], v[36:37]
.LBB48_452:                             ;   in Loop: Header=BB48_3 Depth=1
	s_or_b32 exec_lo, exec_lo, s50
	s_delay_alu instid0(VALU_DEP_1)
	v_xor_b32_e32 v33, 0x80000000, v33
.LBB48_453:                             ;   in Loop: Header=BB48_3 Depth=1
	s_or_b32 exec_lo, exec_lo, s65
	s_and_saveexec_b32 s50, s97
	s_cbranch_execz .LBB48_455
; %bb.454:                              ;   in Loop: Header=BB48_3 Depth=1
	ds_load_b64 v[34:35], v5 offset:14560
	s_wait_dscnt 0x0
	v_mul_f64_e32 v[32:33], v[32:33], v[34:35]
	ds_store_b64 v47, v[32:33]
.LBB48_455:                             ;   in Loop: Header=BB48_3 Depth=1
	s_or_b32 exec_lo, exec_lo, s50
	s_wait_dscnt 0x0
	s_barrier_signal -1
	s_barrier_wait -1
	s_and_saveexec_b32 s50, s98
	s_cbranch_execz .LBB48_457
; %bb.456:                              ;   in Loop: Header=BB48_3 Depth=1
	ds_load_b64 v[34:35], v45 offset:14560
	ds_load_b64 v[36:37], v47
	s_wait_dscnt 0x0
	v_fmac_f64_e32 v[32:33], v[34:35], v[36:37]
.LBB48_457:                             ;   in Loop: Header=BB48_3 Depth=1
	s_or_b32 exec_lo, exec_lo, s50
	s_barrier_signal -1
	s_barrier_wait -1
	s_and_saveexec_b32 s50, s99
	s_cbranch_execz .LBB48_459
; %bb.458:                              ;   in Loop: Header=BB48_3 Depth=1
	ds_load_b64 v[34:35], v5 offset:15080
	s_wait_dscnt 0x0
	v_mul_f64_e32 v[32:33], v[32:33], v[34:35]
	ds_store_b64 v47, v[32:33]
.LBB48_459:                             ;   in Loop: Header=BB48_3 Depth=1
	s_or_b32 exec_lo, exec_lo, s50
	s_wait_dscnt 0x0
	s_barrier_signal -1
	s_barrier_wait -1
	s_and_saveexec_b32 s50, s100
	s_cbranch_execz .LBB48_461
; %bb.460:                              ;   in Loop: Header=BB48_3 Depth=1
	ds_load_b64 v[34:35], v45 offset:15072
	ds_load_b64 v[36:37], v47
	s_wait_dscnt 0x0
	v_fmac_f64_e32 v[32:33], v[34:35], v[36:37]
.LBB48_461:                             ;   in Loop: Header=BB48_3 Depth=1
	s_or_b32 exec_lo, exec_lo, s50
	s_barrier_signal -1
	s_barrier_wait -1
	;; [unrolled: 23-line block ×3, first 2 shown]
	s_and_saveexec_b32 s50, s102
	s_cbranch_execz .LBB48_467
; %bb.466:                              ;   in Loop: Header=BB48_3 Depth=1
	ds_load_b64 v[34:35], v5 offset:16120
	s_wait_dscnt 0x0
	v_mul_f64_e32 v[32:33], v[32:33], v[34:35]
	ds_store_b64 v47, v[32:33]
.LBB48_467:                             ;   in Loop: Header=BB48_3 Depth=1
	s_or_b32 exec_lo, exec_lo, s50
	s_wait_dscnt 0x0
	s_barrier_signal -1
	s_barrier_wait -1
	s_barrier_signal -1
	s_barrier_wait -1
	s_and_saveexec_b32 s50, s2
; %bb.468:                              ;   in Loop: Header=BB48_3 Depth=1
	s_delay_alu instid0(VALU_DEP_1)
	v_xor_b32_e32 v33, 0x80000000, v33
	ds_store_b64 v48, v[32:33] offset:12512
; %bb.469:                              ;   in Loop: Header=BB48_3 Depth=1
	s_or_b32 exec_lo, exec_lo, s50
	s_wait_dscnt 0x0
	s_barrier_signal -1
	s_barrier_wait -1
	s_barrier_signal -1
	s_barrier_wait -1
	s_and_saveexec_b32 s50, s103
	s_cbranch_execz .LBB48_471
; %bb.470:                              ;   in Loop: Header=BB48_3 Depth=1
	ds_load_b64 v[32:33], v74 offset:12512
	s_wait_dscnt 0x0
	ds_store_b64 v77, v[32:33] offset:14528
	ds_load_b64 v[32:33], v74 offset:12520
	s_wait_dscnt 0x0
	ds_store_b64 v77, v[32:33] offset:15040
	;; [unrolled: 3-line block ×4, first 2 shown]
.LBB48_471:                             ;   in Loop: Header=BB48_3 Depth=1
	s_or_b32 exec_lo, exec_lo, s50
	s_wait_dscnt 0x0
	s_barrier_signal -1
	s_barrier_wait -1
	s_and_saveexec_b32 s50, s14
	s_cbranch_execz .LBB48_473
; %bb.472:                              ;   in Loop: Header=BB48_3 Depth=1
	ds_load_b128 v[32:35], v5 offset:14560
	ds_load_b64 v[36:37], v5 offset:15080
	s_wait_dscnt 0x0
	v_mul_f64_e32 v[32:33], v[32:33], v[36:37]
	s_delay_alu instid0(VALU_DEP_1)
	v_mul_f64_e32 v[32:33], v[34:35], v[32:33]
	v_add_nc_u32_e64 v34, 0x3800, 0
	ds_store_2addr_b64 v34, v[32:33], v[32:33] offset0:29 offset1:92
.LBB48_473:                             ;   in Loop: Header=BB48_3 Depth=1
	s_or_b32 exec_lo, exec_lo, s50
	v_mov_b64_e32 v[32:33], 0
	s_wait_dscnt 0x0
	s_barrier_signal -1
	s_barrier_wait -1
	s_and_saveexec_b32 s50, s0
	s_cbranch_execz .LBB48_477
; %bb.474:                              ;   in Loop: Header=BB48_3 Depth=1
	ds_load_b64 v[32:33], v41 offset:14576
	ds_load_b64 v[34:35], v42 offset:14560
	s_wait_dscnt 0x0
	v_fma_f64 v[32:33], v[32:33], v[34:35], 0
	s_and_saveexec_b32 s51, s15
	s_cbranch_execz .LBB48_476
; %bb.475:                              ;   in Loop: Header=BB48_3 Depth=1
	ds_load_b64 v[34:35], v77 offset:15088
	ds_load_b64 v[36:37], v5 offset:14568
	s_wait_dscnt 0x0
	v_fmac_f64_e32 v[32:33], v[34:35], v[36:37]
.LBB48_476:                             ;   in Loop: Header=BB48_3 Depth=1
	s_or_b32 exec_lo, exec_lo, s51
	s_delay_alu instid0(VALU_DEP_1)
	v_xor_b32_e32 v33, 0x80000000, v33
.LBB48_477:                             ;   in Loop: Header=BB48_3 Depth=1
	s_or_b32 exec_lo, exec_lo, s50
	s_and_saveexec_b32 s50, s94
	s_cbranch_execz .LBB48_479
; %bb.478:                              ;   in Loop: Header=BB48_3 Depth=1
	ds_load_b64 v[34:35], v5 offset:15600
	s_wait_dscnt 0x0
	v_mul_f64_e32 v[32:33], v[32:33], v[34:35]
	ds_store_b64 v3, v[32:33]
.LBB48_479:                             ;   in Loop: Header=BB48_3 Depth=1
	s_or_b32 exec_lo, exec_lo, s50
	s_wait_dscnt 0x0
	s_barrier_signal -1
	s_barrier_wait -1
	s_and_saveexec_b32 s50, s95
	s_cbranch_execz .LBB48_481
; %bb.480:                              ;   in Loop: Header=BB48_3 Depth=1
	ds_load_b64 v[34:35], v5 offset:15608
	ds_load_b64 v[36:37], v3
	s_wait_dscnt 0x0
	v_fmac_f64_e32 v[32:33], v[34:35], v[36:37]
.LBB48_481:                             ;   in Loop: Header=BB48_3 Depth=1
	s_or_b32 exec_lo, exec_lo, s50
	s_barrier_signal -1
	s_barrier_wait -1
	s_and_saveexec_b32 s50, s95
	s_cbranch_execz .LBB48_483
; %bb.482:                              ;   in Loop: Header=BB48_3 Depth=1
	ds_load_b64 v[34:35], v5 offset:16120
	s_wait_dscnt 0x0
	v_mul_f64_e32 v[32:33], v[32:33], v[34:35]
	ds_store_b64 v3, v[32:33]
.LBB48_483:                             ;   in Loop: Header=BB48_3 Depth=1
	s_or_b32 exec_lo, exec_lo, s50
	s_wait_dscnt 0x0
	s_barrier_signal -1
	s_barrier_wait -1
	s_barrier_signal -1
	s_barrier_wait -1
	s_and_saveexec_b32 s50, s0
; %bb.484:                              ;   in Loop: Header=BB48_3 Depth=1
	s_delay_alu instid0(VALU_DEP_1)
	v_xor_b32_e32 v33, 0x80000000, v33
	ds_store_b64 v41, v[32:33] offset:14576
; %bb.485:                              ;   in Loop: Header=BB48_3 Depth=1
	s_or_b32 exec_lo, exec_lo, s50
	s_wait_dscnt 0x0
	s_barrier_signal -1
	s_barrier_wait -1
	s_barrier_signal -1
	s_barrier_wait -1
	s_and_saveexec_b32 s50, s96
	s_cbranch_execz .LBB48_487
; %bb.486:                              ;   in Loop: Header=BB48_3 Depth=1
	ds_load_b64 v[32:33], v78 offset:14576
	s_wait_dscnt 0x0
	ds_store_b64 v77, v[32:33] offset:15584
	ds_load_b64 v[32:33], v78 offset:14584
	s_wait_dscnt 0x0
	ds_store_b64 v77, v[32:33] offset:16096
.LBB48_487:                             ;   in Loop: Header=BB48_3 Depth=1
	s_or_b32 exec_lo, exec_lo, s50
	s_wait_dscnt 0x0
	s_barrier_signal -1
	s_barrier_wait -1
	s_and_saveexec_b32 s50, s14
	s_cbranch_execz .LBB48_489
; %bb.488:                              ;   in Loop: Header=BB48_3 Depth=1
	ds_load_b128 v[32:35], v5 offset:15600
	ds_load_b64 v[36:37], v5 offset:16120
	s_wait_dscnt 0x0
	v_mul_f64_e32 v[32:33], v[32:33], v[36:37]
	s_delay_alu instid0(VALU_DEP_1)
	v_mul_f64_e32 v[32:33], v[34:35], v[32:33]
	v_add_nc_u32_e64 v34, 0x3800, 0
	ds_store_2addr_b64 v34, v[32:33], v[32:33] offset0:159 offset1:222
.LBB48_489:                             ;   in Loop: Header=BB48_3 Depth=1
	s_or_b32 exec_lo, exec_lo, s50
	v_mov_b64_e32 v[32:33], 0
	s_wait_dscnt 0x0
	s_barrier_signal -1
	s_barrier_wait -1
	s_and_saveexec_b32 s84, s35
	s_cbranch_execz .LBB48_551
; %bb.490:                              ;   in Loop: Header=BB48_3 Depth=1
	v_add_nc_u32_e32 v34, v67, v66
	ds_load_b64 v[32:33], v83 offset:256
	ds_load_b64 v[36:37], v34
	s_wait_dscnt 0x0
	v_fma_f64 v[32:33], v[32:33], v[36:37], 0
	s_mov_b32 s50, exec_lo
	v_readlane_b32 s51, v97, 8
	s_and_b32 s51, s50, s51
	s_delay_alu instid0(SALU_CYCLE_1)
	s_mov_b32 exec_lo, s51
	s_cbranch_execz .LBB48_492
; %bb.491:                              ;   in Loop: Header=BB48_3 Depth=1
	ds_load_b64 v[36:37], v83 offset:768
	ds_load_b64 v[38:39], v34 offset:8
	s_wait_dscnt 0x0
	v_fmac_f64_e32 v[32:33], v[36:37], v[38:39]
.LBB48_492:                             ;   in Loop: Header=BB48_3 Depth=1
	s_or_b32 exec_lo, exec_lo, s50
	s_delay_alu instid0(SALU_CYCLE_1) | instskip(SKIP_2) | instid1(SALU_CYCLE_1)
	s_mov_b32 s50, exec_lo
	v_readlane_b32 s51, v97, 9
	s_and_b32 s51, s50, s51
	s_mov_b32 exec_lo, s51
	s_cbranch_execz .LBB48_494
; %bb.493:                              ;   in Loop: Header=BB48_3 Depth=1
	ds_load_b64 v[36:37], v83 offset:1280
	ds_load_b64 v[38:39], v34 offset:16
	s_wait_dscnt 0x0
	v_fmac_f64_e32 v[32:33], v[36:37], v[38:39]
.LBB48_494:                             ;   in Loop: Header=BB48_3 Depth=1
	s_or_b32 exec_lo, exec_lo, s50
	s_delay_alu instid0(SALU_CYCLE_1) | instskip(SKIP_2) | instid1(SALU_CYCLE_1)
	s_mov_b32 s50, exec_lo
	v_readlane_b32 s51, v97, 10
	s_and_b32 s51, s50, s51
	;; [unrolled: 13-line block ×22, first 2 shown]
	s_mov_b32 exec_lo, s51
	s_cbranch_execz .LBB48_536
; %bb.535:                              ;   in Loop: Header=BB48_3 Depth=1
	ds_load_b64 v[36:37], v83 offset:12032
	ds_load_b64 v[38:39], v34 offset:184
	s_wait_dscnt 0x0
	v_fmac_f64_e32 v[32:33], v[36:37], v[38:39]
.LBB48_536:                             ;   in Loop: Header=BB48_3 Depth=1
	s_or_b32 exec_lo, exec_lo, s50
	s_and_saveexec_b32 s50, s4
	s_cbranch_execz .LBB48_538
; %bb.537:                              ;   in Loop: Header=BB48_3 Depth=1
	ds_load_b64 v[36:37], v83 offset:12544
	ds_load_b64 v[38:39], v34 offset:192
	s_wait_dscnt 0x0
	v_fmac_f64_e32 v[32:33], v[36:37], v[38:39]
.LBB48_538:                             ;   in Loop: Header=BB48_3 Depth=1
	s_or_b32 exec_lo, exec_lo, s50
	s_delay_alu instid0(SALU_CYCLE_1) | instskip(SKIP_2) | instid1(SALU_CYCLE_1)
	s_mov_b32 s50, exec_lo
	v_readlane_b32 s51, v98, 30
	s_and_b32 s51, s50, s51
	s_mov_b32 exec_lo, s51
	s_cbranch_execz .LBB48_540
; %bb.539:                              ;   in Loop: Header=BB48_3 Depth=1
	ds_load_b64 v[36:37], v83 offset:13056
	ds_load_b64 v[38:39], v34 offset:200
	s_wait_dscnt 0x0
	v_fmac_f64_e32 v[32:33], v[36:37], v[38:39]
.LBB48_540:                             ;   in Loop: Header=BB48_3 Depth=1
	s_or_b32 exec_lo, exec_lo, s50
	s_delay_alu instid0(SALU_CYCLE_1) | instskip(SKIP_2) | instid1(SALU_CYCLE_1)
	s_mov_b32 s50, exec_lo
	v_readlane_b32 s51, v97, 0
	s_and_b32 s51, s50, s51
	s_mov_b32 exec_lo, s51
	;; [unrolled: 13-line block ×5, first 2 shown]
	s_cbranch_execnz .LBB48_1123
; %bb.547:                              ;   in Loop: Header=BB48_3 Depth=1
	s_or_b32 exec_lo, exec_lo, s50
	s_and_saveexec_b32 s50, s3
	s_cbranch_execnz .LBB48_1124
.LBB48_548:                             ;   in Loop: Header=BB48_3 Depth=1
	s_or_b32 exec_lo, exec_lo, s50
	s_and_saveexec_b32 s50, s21
	s_cbranch_execz .LBB48_550
.LBB48_549:                             ;   in Loop: Header=BB48_3 Depth=1
	ds_load_b64 v[34:35], v43 offset:16128
	ds_load_b64 v[36:37], v5 offset:248
	s_wait_dscnt 0x0
	v_fmac_f64_e32 v[32:33], v[34:35], v[36:37]
.LBB48_550:                             ;   in Loop: Header=BB48_3 Depth=1
	s_or_b32 exec_lo, exec_lo, s50
	s_delay_alu instid0(VALU_DEP_1)
	v_xor_b32_e32 v33, 0x80000000, v33
.LBB48_551:                             ;   in Loop: Header=BB48_3 Depth=1
	s_or_b32 exec_lo, exec_lo, s84
	v_dual_mov_b32 v34, v65 :: v_dual_mov_b32 v35, v87
	s_mov_b32 s65, 0
	s_branch .LBB48_553
.LBB48_552:                             ;   in Loop: Header=BB48_553 Depth=2
	s_or_b32 exec_lo, exec_lo, s50
	v_add_nc_u32_e32 v35, 0x800, v35
	v_add_nc_u32_e32 v34, -4, v34
	s_add_co_i32 s65, s65, 4
	s_delay_alu instid0(SALU_CYCLE_1)
	s_cmp_eq_u32 s65, 32
	s_barrier_signal -1
	s_barrier_wait -1
	s_cbranch_scc1 .LBB48_569
.LBB48_553:                             ;   Parent Loop BB48_3 Depth=1
                                        ; =>  This Inner Loop Header: Depth=2
	s_delay_alu instid0(VALU_DEP_1) | instskip(SKIP_1) | instid1(SALU_CYCLE_1)
	v_cmp_eq_u32_e32 vcc_lo, 0, v34
	s_and_b32 s51, s64, vcc_lo
	s_and_saveexec_b32 s50, s51
	s_cbranch_execz .LBB48_555
; %bb.554:                              ;   in Loop: Header=BB48_553 Depth=2
	ds_load_b64 v[36:37], v81 offset:16640
	s_wait_dscnt 0x0
	v_mul_f64_e32 v[32:33], v[32:33], v[36:37]
	ds_store_b64 v82, v[32:33]
.LBB48_555:                             ;   in Loop: Header=BB48_553 Depth=2
	s_or_b32 exec_lo, exec_lo, s50
	v_cmp_lt_u32_e32 vcc_lo, s65, v65
	s_wait_dscnt 0x0
	s_barrier_signal -1
	s_barrier_wait -1
	s_and_b32 s51, s64, vcc_lo
	s_delay_alu instid0(SALU_CYCLE_1)
	s_and_saveexec_b32 s50, s51
	s_cbranch_execz .LBB48_557
; %bb.556:                              ;   in Loop: Header=BB48_553 Depth=2
	ds_load_b64 v[36:37], v35
	ds_load_b64 v[38:39], v82
	s_wait_dscnt 0x0
	v_fmac_f64_e32 v[32:33], v[36:37], v[38:39]
.LBB48_557:                             ;   in Loop: Header=BB48_553 Depth=2
	s_or_b32 exec_lo, exec_lo, s50
	s_or_b32 s50, s65, 1
	s_delay_alu instid0(SALU_CYCLE_1) | instskip(SKIP_3) | instid1(SALU_CYCLE_1)
	v_cmp_eq_u32_e32 vcc_lo, s50, v65
	s_barrier_signal -1
	s_barrier_wait -1
	s_and_b32 s52, s64, vcc_lo
	s_and_saveexec_b32 s51, s52
	s_cbranch_execz .LBB48_559
; %bb.558:                              ;   in Loop: Header=BB48_553 Depth=2
	ds_load_b64 v[36:37], v81 offset:16640
	s_wait_dscnt 0x0
	v_mul_f64_e32 v[32:33], v[32:33], v[36:37]
	ds_store_b64 v82, v[32:33]
.LBB48_559:                             ;   in Loop: Header=BB48_553 Depth=2
	s_or_b32 exec_lo, exec_lo, s51
	v_cmp_lt_u32_e32 vcc_lo, s50, v65
	s_wait_dscnt 0x0
	s_barrier_signal -1
	s_barrier_wait -1
	s_and_b32 s51, s64, vcc_lo
	s_delay_alu instid0(SALU_CYCLE_1)
	s_and_saveexec_b32 s50, s51
	s_cbranch_execz .LBB48_561
; %bb.560:                              ;   in Loop: Header=BB48_553 Depth=2
	ds_load_b64 v[36:37], v35 offset:512
	ds_load_b64 v[38:39], v82
	s_wait_dscnt 0x0
	v_fmac_f64_e32 v[32:33], v[36:37], v[38:39]
.LBB48_561:                             ;   in Loop: Header=BB48_553 Depth=2
	s_or_b32 exec_lo, exec_lo, s50
	s_or_b32 s50, s65, 2
	s_delay_alu instid0(SALU_CYCLE_1) | instskip(SKIP_3) | instid1(SALU_CYCLE_1)
	v_cmp_eq_u32_e32 vcc_lo, s50, v65
	s_barrier_signal -1
	s_barrier_wait -1
	s_and_b32 s52, s64, vcc_lo
	s_and_saveexec_b32 s51, s52
	s_cbranch_execz .LBB48_563
; %bb.562:                              ;   in Loop: Header=BB48_553 Depth=2
	ds_load_b64 v[36:37], v81 offset:16640
	s_wait_dscnt 0x0
	v_mul_f64_e32 v[32:33], v[32:33], v[36:37]
	ds_store_b64 v82, v[32:33]
.LBB48_563:                             ;   in Loop: Header=BB48_553 Depth=2
	s_or_b32 exec_lo, exec_lo, s51
	v_cmp_lt_u32_e32 vcc_lo, s50, v65
	s_wait_dscnt 0x0
	s_barrier_signal -1
	s_barrier_wait -1
	s_and_b32 s51, s64, vcc_lo
	s_delay_alu instid0(SALU_CYCLE_1)
	s_and_saveexec_b32 s50, s51
	s_cbranch_execz .LBB48_565
; %bb.564:                              ;   in Loop: Header=BB48_553 Depth=2
	ds_load_b64 v[36:37], v35 offset:1024
	ds_load_b64 v[38:39], v82
	s_wait_dscnt 0x0
	v_fmac_f64_e32 v[32:33], v[36:37], v[38:39]
.LBB48_565:                             ;   in Loop: Header=BB48_553 Depth=2
	s_or_b32 exec_lo, exec_lo, s50
	s_or_b32 s50, s65, 3
	s_delay_alu instid0(SALU_CYCLE_1) | instskip(SKIP_3) | instid1(SALU_CYCLE_1)
	v_cmp_eq_u32_e32 vcc_lo, s50, v65
	s_barrier_signal -1
	s_barrier_wait -1
	s_and_b32 s52, s64, vcc_lo
	s_and_saveexec_b32 s51, s52
	s_cbranch_execz .LBB48_567
; %bb.566:                              ;   in Loop: Header=BB48_553 Depth=2
	ds_load_b64 v[36:37], v81 offset:16640
	s_wait_dscnt 0x0
	v_mul_f64_e32 v[32:33], v[32:33], v[36:37]
	ds_store_b64 v82, v[32:33]
.LBB48_567:                             ;   in Loop: Header=BB48_553 Depth=2
	s_or_b32 exec_lo, exec_lo, s51
	v_cmp_lt_u32_e32 vcc_lo, s50, v65
	s_wait_dscnt 0x0
	s_barrier_signal -1
	s_barrier_wait -1
	s_and_b32 s51, s64, vcc_lo
	s_delay_alu instid0(SALU_CYCLE_1)
	s_and_saveexec_b32 s50, s51
	s_cbranch_execz .LBB48_552
; %bb.568:                              ;   in Loop: Header=BB48_553 Depth=2
	ds_load_b64 v[36:37], v35 offset:1536
	ds_load_b64 v[38:39], v82
	s_wait_dscnt 0x0
	v_fmac_f64_e32 v[32:33], v[36:37], v[38:39]
	s_branch .LBB48_552
.LBB48_569:                             ;   in Loop: Header=BB48_3 Depth=1
	s_and_saveexec_b32 s50, s35
; %bb.570:                              ;   in Loop: Header=BB48_3 Depth=1
	s_delay_alu instid0(VALU_DEP_3)
	v_xor_b32_e32 v33, 0x80000000, v33
	ds_store_b64 v83, v[32:33] offset:256
; %bb.571:                              ;   in Loop: Header=BB48_3 Depth=1
	s_or_b32 exec_lo, exec_lo, s50
	s_wait_dscnt 0x0
	s_barrier_signal -1
	s_barrier_wait -1
	s_barrier_signal -1
	s_barrier_wait -1
	s_mov_b32 s65, exec_lo
	v_readlane_b32 s50, v98, 11
	s_and_b32 s50, s65, s50
	s_delay_alu instid0(SALU_CYCLE_1)
	s_mov_b32 exec_lo, s50
	s_cbranch_execz .LBB48_573
; %bb.572:                              ;   in Loop: Header=BB48_3 Depth=1
	ds_load_b64 v[32:33], v46 offset:256
	s_wait_dscnt 0x0
	ds_store_b64 v50, v[32:33] offset:16384
	ds_load_b64 v[32:33], v46 offset:264
	s_wait_dscnt 0x0
	ds_store_b64 v50, v[32:33] offset:16896
	;; [unrolled: 3-line block ×32, first 2 shown]
.LBB48_573:                             ;   in Loop: Header=BB48_3 Depth=1
	s_or_b32 exec_lo, exec_lo, s65
	s_wait_dscnt 0x0
	s_barrier_signal -1
	s_barrier_wait -1
	s_and_saveexec_b32 s50, s14
	s_cbranch_execz .LBB48_575
; %bb.574:                              ;   in Loop: Header=BB48_3 Depth=1
	ds_load_b128 v[32:35], v5 offset:16640
	ds_load_b64 v[36:37], v5 offset:17160
	s_wait_dscnt 0x0
	v_mul_f64_e32 v[32:33], v[32:33], v[36:37]
	s_delay_alu instid0(VALU_DEP_1)
	v_mul_f64_e32 v[32:33], v[34:35], v[32:33]
	v_add_nc_u32_e64 v34, 0x4000, 0
	ds_store_2addr_b64 v34, v[32:33], v[32:33] offset0:33 offset1:96
.LBB48_575:                             ;   in Loop: Header=BB48_3 Depth=1
	s_or_b32 exec_lo, exec_lo, s50
	v_mov_b64_e32 v[32:33], 0
	s_wait_dscnt 0x0
	s_barrier_signal -1
	s_barrier_wait -1
	s_and_saveexec_b32 s50, s0
	s_cbranch_execz .LBB48_579
; %bb.576:                              ;   in Loop: Header=BB48_3 Depth=1
	ds_load_b64 v[32:33], v41 offset:16656
	ds_load_b64 v[34:35], v42 offset:16640
	s_wait_dscnt 0x0
	v_fma_f64 v[32:33], v[32:33], v[34:35], 0
	s_and_saveexec_b32 s51, s15
	s_cbranch_execz .LBB48_578
; %bb.577:                              ;   in Loop: Header=BB48_3 Depth=1
	ds_load_b64 v[34:35], v43 offset:17168
	ds_load_b64 v[36:37], v5 offset:16648
	s_wait_dscnt 0x0
	v_fmac_f64_e32 v[32:33], v[34:35], v[36:37]
.LBB48_578:                             ;   in Loop: Header=BB48_3 Depth=1
	s_or_b32 exec_lo, exec_lo, s51
	s_delay_alu instid0(VALU_DEP_1)
	v_xor_b32_e32 v33, 0x80000000, v33
.LBB48_579:                             ;   in Loop: Header=BB48_3 Depth=1
	s_or_b32 exec_lo, exec_lo, s50
	s_and_saveexec_b32 s50, s94
	s_cbranch_execz .LBB48_581
; %bb.580:                              ;   in Loop: Header=BB48_3 Depth=1
	ds_load_b64 v[34:35], v5 offset:17680
	s_wait_dscnt 0x0
	v_mul_f64_e32 v[32:33], v[32:33], v[34:35]
	ds_store_b64 v3, v[32:33]
.LBB48_581:                             ;   in Loop: Header=BB48_3 Depth=1
	s_or_b32 exec_lo, exec_lo, s50
	s_wait_dscnt 0x0
	s_barrier_signal -1
	s_barrier_wait -1
	s_and_saveexec_b32 s50, s95
	s_cbranch_execz .LBB48_583
; %bb.582:                              ;   in Loop: Header=BB48_3 Depth=1
	ds_load_b64 v[34:35], v5 offset:17688
	ds_load_b64 v[36:37], v3
	s_wait_dscnt 0x0
	v_fmac_f64_e32 v[32:33], v[34:35], v[36:37]
.LBB48_583:                             ;   in Loop: Header=BB48_3 Depth=1
	s_or_b32 exec_lo, exec_lo, s50
	s_barrier_signal -1
	s_barrier_wait -1
	s_and_saveexec_b32 s50, s95
	s_cbranch_execz .LBB48_585
; %bb.584:                              ;   in Loop: Header=BB48_3 Depth=1
	ds_load_b64 v[34:35], v5 offset:18200
	s_wait_dscnt 0x0
	v_mul_f64_e32 v[32:33], v[32:33], v[34:35]
	ds_store_b64 v3, v[32:33]
.LBB48_585:                             ;   in Loop: Header=BB48_3 Depth=1
	s_or_b32 exec_lo, exec_lo, s50
	s_wait_dscnt 0x0
	s_barrier_signal -1
	s_barrier_wait -1
	s_barrier_signal -1
	s_barrier_wait -1
	s_and_saveexec_b32 s50, s0
; %bb.586:                              ;   in Loop: Header=BB48_3 Depth=1
	s_delay_alu instid0(VALU_DEP_1)
	v_xor_b32_e32 v33, 0x80000000, v33
	ds_store_b64 v41, v[32:33] offset:16656
; %bb.587:                              ;   in Loop: Header=BB48_3 Depth=1
	s_or_b32 exec_lo, exec_lo, s50
	s_wait_dscnt 0x0
	s_barrier_signal -1
	s_barrier_wait -1
	s_barrier_signal -1
	s_barrier_wait -1
	s_and_saveexec_b32 s50, s96
	s_cbranch_execz .LBB48_589
; %bb.588:                              ;   in Loop: Header=BB48_3 Depth=1
	ds_load_b64 v[32:33], v46 offset:16656
	s_wait_dscnt 0x0
	ds_store_b64 v43, v[32:33] offset:17664
	ds_load_b64 v[32:33], v46 offset:16664
	s_wait_dscnt 0x0
	ds_store_b64 v43, v[32:33] offset:18176
.LBB48_589:                             ;   in Loop: Header=BB48_3 Depth=1
	s_or_b32 exec_lo, exec_lo, s50
	s_wait_dscnt 0x0
	s_barrier_signal -1
	s_barrier_wait -1
	s_and_saveexec_b32 s50, s14
	s_cbranch_execz .LBB48_591
; %bb.590:                              ;   in Loop: Header=BB48_3 Depth=1
	ds_load_b128 v[32:35], v5 offset:17680
	ds_load_b64 v[36:37], v5 offset:18200
	s_wait_dscnt 0x0
	v_mul_f64_e32 v[32:33], v[32:33], v[36:37]
	s_delay_alu instid0(VALU_DEP_1)
	v_mul_f64_e32 v[32:33], v[34:35], v[32:33]
	v_add_nc_u32_e64 v34, 0x4000, 0
	ds_store_2addr_b64 v34, v[32:33], v[32:33] offset0:163 offset1:226
.LBB48_591:                             ;   in Loop: Header=BB48_3 Depth=1
	s_or_b32 exec_lo, exec_lo, s50
	v_mov_b64_e32 v[32:33], 0
	s_wait_dscnt 0x0
	s_barrier_signal -1
	s_barrier_wait -1
	s_and_saveexec_b32 s65, s2
	s_cbranch_execz .LBB48_597
; %bb.592:                              ;   in Loop: Header=BB48_3 Depth=1
	ds_load_b64 v[32:33], v48 offset:16672
	ds_load_b64 v[34:35], v44 offset:16640
	s_wait_dscnt 0x0
	v_fma_f64 v[32:33], v[32:33], v[34:35], 0
	s_and_saveexec_b32 s50, s16
	s_cbranch_execnz .LBB48_1125
; %bb.593:                              ;   in Loop: Header=BB48_3 Depth=1
	s_or_b32 exec_lo, exec_lo, s50
	s_and_saveexec_b32 s50, s17
	s_cbranch_execnz .LBB48_1126
.LBB48_594:                             ;   in Loop: Header=BB48_3 Depth=1
	s_or_b32 exec_lo, exec_lo, s50
	s_and_saveexec_b32 s50, s0
	s_cbranch_execz .LBB48_596
.LBB48_595:                             ;   in Loop: Header=BB48_3 Depth=1
	ds_load_b64 v[34:35], v50 offset:18208
	ds_load_b64 v[36:37], v5 offset:16664
	s_wait_dscnt 0x0
	v_fmac_f64_e32 v[32:33], v[34:35], v[36:37]
.LBB48_596:                             ;   in Loop: Header=BB48_3 Depth=1
	s_or_b32 exec_lo, exec_lo, s50
	s_delay_alu instid0(VALU_DEP_1)
	v_xor_b32_e32 v33, 0x80000000, v33
.LBB48_597:                             ;   in Loop: Header=BB48_3 Depth=1
	s_or_b32 exec_lo, exec_lo, s65
	s_and_saveexec_b32 s50, s97
	s_cbranch_execz .LBB48_599
; %bb.598:                              ;   in Loop: Header=BB48_3 Depth=1
	ds_load_b64 v[34:35], v5 offset:18720
	s_wait_dscnt 0x0
	v_mul_f64_e32 v[32:33], v[32:33], v[34:35]
	ds_store_b64 v47, v[32:33]
.LBB48_599:                             ;   in Loop: Header=BB48_3 Depth=1
	s_or_b32 exec_lo, exec_lo, s50
	s_wait_dscnt 0x0
	s_barrier_signal -1
	s_barrier_wait -1
	s_and_saveexec_b32 s50, s98
	s_cbranch_execz .LBB48_601
; %bb.600:                              ;   in Loop: Header=BB48_3 Depth=1
	ds_load_b64 v[34:35], v45 offset:18720
	ds_load_b64 v[36:37], v47
	s_wait_dscnt 0x0
	v_fmac_f64_e32 v[32:33], v[34:35], v[36:37]
.LBB48_601:                             ;   in Loop: Header=BB48_3 Depth=1
	s_or_b32 exec_lo, exec_lo, s50
	s_barrier_signal -1
	s_barrier_wait -1
	s_and_saveexec_b32 s50, s99
	s_cbranch_execz .LBB48_603
; %bb.602:                              ;   in Loop: Header=BB48_3 Depth=1
	ds_load_b64 v[34:35], v5 offset:19240
	s_wait_dscnt 0x0
	v_mul_f64_e32 v[32:33], v[32:33], v[34:35]
	ds_store_b64 v47, v[32:33]
.LBB48_603:                             ;   in Loop: Header=BB48_3 Depth=1
	s_or_b32 exec_lo, exec_lo, s50
	s_wait_dscnt 0x0
	s_barrier_signal -1
	s_barrier_wait -1
	s_and_saveexec_b32 s50, s100
	s_cbranch_execz .LBB48_605
; %bb.604:                              ;   in Loop: Header=BB48_3 Depth=1
	ds_load_b64 v[34:35], v45 offset:19232
	ds_load_b64 v[36:37], v47
	s_wait_dscnt 0x0
	v_fmac_f64_e32 v[32:33], v[34:35], v[36:37]
.LBB48_605:                             ;   in Loop: Header=BB48_3 Depth=1
	s_or_b32 exec_lo, exec_lo, s50
	s_barrier_signal -1
	s_barrier_wait -1
	;; [unrolled: 23-line block ×3, first 2 shown]
	s_and_saveexec_b32 s50, s102
	s_cbranch_execz .LBB48_611
; %bb.610:                              ;   in Loop: Header=BB48_3 Depth=1
	ds_load_b64 v[34:35], v5 offset:20280
	s_wait_dscnt 0x0
	v_mul_f64_e32 v[32:33], v[32:33], v[34:35]
	ds_store_b64 v47, v[32:33]
.LBB48_611:                             ;   in Loop: Header=BB48_3 Depth=1
	s_or_b32 exec_lo, exec_lo, s50
	s_wait_dscnt 0x0
	s_barrier_signal -1
	s_barrier_wait -1
	s_barrier_signal -1
	s_barrier_wait -1
	s_and_saveexec_b32 s50, s2
; %bb.612:                              ;   in Loop: Header=BB48_3 Depth=1
	s_delay_alu instid0(VALU_DEP_1)
	v_xor_b32_e32 v33, 0x80000000, v33
	ds_store_b64 v48, v[32:33] offset:16672
; %bb.613:                              ;   in Loop: Header=BB48_3 Depth=1
	s_or_b32 exec_lo, exec_lo, s50
	s_wait_dscnt 0x0
	s_barrier_signal -1
	s_barrier_wait -1
	s_barrier_signal -1
	s_barrier_wait -1
	s_and_saveexec_b32 s50, s103
	s_cbranch_execz .LBB48_615
; %bb.614:                              ;   in Loop: Header=BB48_3 Depth=1
	ds_load_b64 v[32:33], v51 offset:16672
	s_wait_dscnt 0x0
	ds_store_b64 v52, v[32:33] offset:18688
	ds_load_b64 v[32:33], v51 offset:16680
	s_wait_dscnt 0x0
	ds_store_b64 v52, v[32:33] offset:19200
	;; [unrolled: 3-line block ×4, first 2 shown]
.LBB48_615:                             ;   in Loop: Header=BB48_3 Depth=1
	s_or_b32 exec_lo, exec_lo, s50
	s_wait_dscnt 0x0
	s_barrier_signal -1
	s_barrier_wait -1
	s_and_saveexec_b32 s50, s14
	s_cbranch_execz .LBB48_617
; %bb.616:                              ;   in Loop: Header=BB48_3 Depth=1
	ds_load_b128 v[32:35], v5 offset:18720
	ds_load_b64 v[36:37], v5 offset:19240
	s_wait_dscnt 0x0
	v_mul_f64_e32 v[32:33], v[32:33], v[36:37]
	s_delay_alu instid0(VALU_DEP_1)
	v_mul_f64_e32 v[32:33], v[34:35], v[32:33]
	v_add_nc_u32_e64 v34, 0x4800, 0
	ds_store_2addr_b64 v34, v[32:33], v[32:33] offset0:37 offset1:100
.LBB48_617:                             ;   in Loop: Header=BB48_3 Depth=1
	s_or_b32 exec_lo, exec_lo, s50
	v_mov_b64_e32 v[32:33], 0
	s_wait_dscnt 0x0
	s_barrier_signal -1
	s_barrier_wait -1
	s_and_saveexec_b32 s50, s0
	s_cbranch_execz .LBB48_621
; %bb.618:                              ;   in Loop: Header=BB48_3 Depth=1
	ds_load_b64 v[32:33], v41 offset:18736
	ds_load_b64 v[34:35], v42 offset:18720
	s_wait_dscnt 0x0
	v_fma_f64 v[32:33], v[32:33], v[34:35], 0
	s_and_saveexec_b32 s51, s15
	s_cbranch_execz .LBB48_620
; %bb.619:                              ;   in Loop: Header=BB48_3 Depth=1
	ds_load_b64 v[34:35], v52 offset:19248
	ds_load_b64 v[36:37], v5 offset:18728
	s_wait_dscnt 0x0
	v_fmac_f64_e32 v[32:33], v[34:35], v[36:37]
.LBB48_620:                             ;   in Loop: Header=BB48_3 Depth=1
	s_or_b32 exec_lo, exec_lo, s51
	s_delay_alu instid0(VALU_DEP_1)
	v_xor_b32_e32 v33, 0x80000000, v33
.LBB48_621:                             ;   in Loop: Header=BB48_3 Depth=1
	s_or_b32 exec_lo, exec_lo, s50
	s_and_saveexec_b32 s50, s94
	s_cbranch_execz .LBB48_623
; %bb.622:                              ;   in Loop: Header=BB48_3 Depth=1
	ds_load_b64 v[34:35], v5 offset:19760
	s_wait_dscnt 0x0
	v_mul_f64_e32 v[32:33], v[32:33], v[34:35]
	ds_store_b64 v3, v[32:33]
.LBB48_623:                             ;   in Loop: Header=BB48_3 Depth=1
	s_or_b32 exec_lo, exec_lo, s50
	s_wait_dscnt 0x0
	s_barrier_signal -1
	s_barrier_wait -1
	s_and_saveexec_b32 s50, s95
	s_cbranch_execz .LBB48_625
; %bb.624:                              ;   in Loop: Header=BB48_3 Depth=1
	ds_load_b64 v[34:35], v5 offset:19768
	ds_load_b64 v[36:37], v3
	s_wait_dscnt 0x0
	v_fmac_f64_e32 v[32:33], v[34:35], v[36:37]
.LBB48_625:                             ;   in Loop: Header=BB48_3 Depth=1
	s_or_b32 exec_lo, exec_lo, s50
	s_barrier_signal -1
	s_barrier_wait -1
	s_and_saveexec_b32 s50, s95
	s_cbranch_execz .LBB48_627
; %bb.626:                              ;   in Loop: Header=BB48_3 Depth=1
	ds_load_b64 v[34:35], v5 offset:20280
	s_wait_dscnt 0x0
	v_mul_f64_e32 v[32:33], v[32:33], v[34:35]
	ds_store_b64 v3, v[32:33]
.LBB48_627:                             ;   in Loop: Header=BB48_3 Depth=1
	s_or_b32 exec_lo, exec_lo, s50
	s_wait_dscnt 0x0
	s_barrier_signal -1
	s_barrier_wait -1
	s_barrier_signal -1
	s_barrier_wait -1
	s_and_saveexec_b32 s50, s0
; %bb.628:                              ;   in Loop: Header=BB48_3 Depth=1
	s_delay_alu instid0(VALU_DEP_1)
	v_xor_b32_e32 v33, 0x80000000, v33
	ds_store_b64 v41, v[32:33] offset:18736
; %bb.629:                              ;   in Loop: Header=BB48_3 Depth=1
	s_or_b32 exec_lo, exec_lo, s50
	s_wait_dscnt 0x0
	s_barrier_signal -1
	s_barrier_wait -1
	s_barrier_signal -1
	s_barrier_wait -1
	s_and_saveexec_b32 s50, s96
	s_cbranch_execz .LBB48_631
; %bb.630:                              ;   in Loop: Header=BB48_3 Depth=1
	ds_load_b64 v[32:33], v55 offset:18736
	s_wait_dscnt 0x0
	ds_store_b64 v52, v[32:33] offset:19744
	ds_load_b64 v[32:33], v55 offset:18744
	s_wait_dscnt 0x0
	ds_store_b64 v52, v[32:33] offset:20256
.LBB48_631:                             ;   in Loop: Header=BB48_3 Depth=1
	s_or_b32 exec_lo, exec_lo, s50
	s_wait_dscnt 0x0
	s_barrier_signal -1
	s_barrier_wait -1
	s_and_saveexec_b32 s50, s14
	s_cbranch_execz .LBB48_633
; %bb.632:                              ;   in Loop: Header=BB48_3 Depth=1
	ds_load_b128 v[32:35], v5 offset:19760
	ds_load_b64 v[36:37], v5 offset:20280
	s_wait_dscnt 0x0
	v_mul_f64_e32 v[32:33], v[32:33], v[36:37]
	s_delay_alu instid0(VALU_DEP_1)
	v_mul_f64_e32 v[32:33], v[34:35], v[32:33]
	v_add_nc_u32_e64 v34, 0x4800, 0
	ds_store_2addr_b64 v34, v[32:33], v[32:33] offset0:167 offset1:230
.LBB48_633:                             ;   in Loop: Header=BB48_3 Depth=1
	s_or_b32 exec_lo, exec_lo, s50
	v_mov_b64_e32 v[32:33], 0
	s_wait_dscnt 0x0
	s_barrier_signal -1
	s_barrier_wait -1
	s_and_saveexec_b32 s65, s3
	s_cbranch_execz .LBB48_643
; %bb.634:                              ;   in Loop: Header=BB48_3 Depth=1
	ds_load_b64 v[32:33], v57 offset:16704
	ds_load_b64 v[34:35], v53 offset:16640
	s_wait_dscnt 0x0
	v_fma_f64 v[32:33], v[32:33], v[34:35], 0
	s_and_saveexec_b32 s50, s18
	s_cbranch_execnz .LBB48_1127
; %bb.635:                              ;   in Loop: Header=BB48_3 Depth=1
	s_or_b32 exec_lo, exec_lo, s50
	s_and_saveexec_b32 s50, s19
	s_cbranch_execnz .LBB48_1128
.LBB48_636:                             ;   in Loop: Header=BB48_3 Depth=1
	s_or_b32 exec_lo, exec_lo, s50
	s_and_saveexec_b32 s50, s20
	s_cbranch_execnz .LBB48_1129
.LBB48_637:                             ;   in Loop: Header=BB48_3 Depth=1
	s_or_b32 exec_lo, exec_lo, s50
	s_and_saveexec_b32 s50, s21
	s_cbranch_execnz .LBB48_1130
.LBB48_638:                             ;   in Loop: Header=BB48_3 Depth=1
	s_or_b32 exec_lo, exec_lo, s50
	s_and_saveexec_b32 s50, s22
	s_cbranch_execnz .LBB48_1131
.LBB48_639:                             ;   in Loop: Header=BB48_3 Depth=1
	s_or_b32 exec_lo, exec_lo, s50
	s_and_saveexec_b32 s50, s2
	s_cbranch_execnz .LBB48_1132
.LBB48_640:                             ;   in Loop: Header=BB48_3 Depth=1
	s_or_b32 exec_lo, exec_lo, s50
	s_and_saveexec_b32 s50, s17
	s_cbranch_execz .LBB48_642
.LBB48_641:                             ;   in Loop: Header=BB48_3 Depth=1
	ds_load_b64 v[34:35], v59 offset:20288
	ds_load_b64 v[36:37], v5 offset:16696
	s_wait_dscnt 0x0
	v_fmac_f64_e32 v[32:33], v[34:35], v[36:37]
.LBB48_642:                             ;   in Loop: Header=BB48_3 Depth=1
	s_or_b32 exec_lo, exec_lo, s50
	s_delay_alu instid0(VALU_DEP_1)
	v_xor_b32_e32 v33, 0x80000000, v33
.LBB48_643:                             ;   in Loop: Header=BB48_3 Depth=1
	s_or_b32 exec_lo, exec_lo, s65
	s_and_saveexec_b32 s50, s104
	s_cbranch_execz .LBB48_645
; %bb.644:                              ;   in Loop: Header=BB48_3 Depth=1
	ds_load_b64 v[34:35], v5 offset:20800
	s_wait_dscnt 0x0
	v_mul_f64_e32 v[32:33], v[32:33], v[34:35]
	ds_store_b64 v56, v[32:33]
.LBB48_645:                             ;   in Loop: Header=BB48_3 Depth=1
	s_or_b32 exec_lo, exec_lo, s50
	s_wait_dscnt 0x0
	s_barrier_signal -1
	s_barrier_wait -1
	s_and_saveexec_b32 s50, vcc_hi
	s_cbranch_execz .LBB48_647
; %bb.646:                              ;   in Loop: Header=BB48_3 Depth=1
	ds_load_b64 v[34:35], v54 offset:20800
	ds_load_b64 v[36:37], v56
	s_wait_dscnt 0x0
	v_fmac_f64_e32 v[32:33], v[34:35], v[36:37]
.LBB48_647:                             ;   in Loop: Header=BB48_3 Depth=1
	s_or_b32 exec_lo, exec_lo, s50
	s_barrier_signal -1
	s_barrier_wait -1
	s_and_saveexec_b32 s50, s36
	s_cbranch_execz .LBB48_649
; %bb.648:                              ;   in Loop: Header=BB48_3 Depth=1
	ds_load_b64 v[34:35], v5 offset:21320
	s_wait_dscnt 0x0
	v_mul_f64_e32 v[32:33], v[32:33], v[34:35]
	ds_store_b64 v56, v[32:33]
.LBB48_649:                             ;   in Loop: Header=BB48_3 Depth=1
	s_or_b32 exec_lo, exec_lo, s50
	s_wait_dscnt 0x0
	s_barrier_signal -1
	s_barrier_wait -1
	s_and_saveexec_b32 s50, s37
	s_cbranch_execz .LBB48_651
; %bb.650:                              ;   in Loop: Header=BB48_3 Depth=1
	ds_load_b64 v[34:35], v54 offset:21312
	ds_load_b64 v[36:37], v56
	s_wait_dscnt 0x0
	v_fmac_f64_e32 v[32:33], v[34:35], v[36:37]
.LBB48_651:                             ;   in Loop: Header=BB48_3 Depth=1
	s_or_b32 exec_lo, exec_lo, s50
	s_barrier_signal -1
	s_barrier_wait -1
	s_and_saveexec_b32 s50, s38
	s_cbranch_execz .LBB48_653
; %bb.652:                              ;   in Loop: Header=BB48_3 Depth=1
	ds_load_b64 v[34:35], v5 offset:21840
	s_wait_dscnt 0x0
	v_mul_f64_e32 v[32:33], v[32:33], v[34:35]
	ds_store_b64 v56, v[32:33]
.LBB48_653:                             ;   in Loop: Header=BB48_3 Depth=1
	s_or_b32 exec_lo, exec_lo, s50
	s_wait_dscnt 0x0
	s_barrier_signal -1
	s_barrier_wait -1
	s_and_saveexec_b32 s50, s39
	;; [unrolled: 23-line block ×6, first 2 shown]
	s_cbranch_execz .LBB48_671
; %bb.670:                              ;   in Loop: Header=BB48_3 Depth=1
	ds_load_b64 v[34:35], v5 offset:23928
	ds_load_b64 v[36:37], v56
	s_wait_dscnt 0x0
	v_fmac_f64_e32 v[32:33], v[34:35], v[36:37]
.LBB48_671:                             ;   in Loop: Header=BB48_3 Depth=1
	s_or_b32 exec_lo, exec_lo, s50
	s_barrier_signal -1
	s_barrier_wait -1
	s_and_saveexec_b32 s50, s47
	s_cbranch_execz .LBB48_673
; %bb.672:                              ;   in Loop: Header=BB48_3 Depth=1
	ds_load_b64 v[34:35], v5 offset:24440
	s_wait_dscnt 0x0
	v_mul_f64_e32 v[32:33], v[32:33], v[34:35]
	ds_store_b64 v56, v[32:33]
.LBB48_673:                             ;   in Loop: Header=BB48_3 Depth=1
	s_or_b32 exec_lo, exec_lo, s50
	s_wait_dscnt 0x0
	s_barrier_signal -1
	s_barrier_wait -1
	s_barrier_signal -1
	s_barrier_wait -1
	s_and_saveexec_b32 s50, s3
; %bb.674:                              ;   in Loop: Header=BB48_3 Depth=1
	s_delay_alu instid0(VALU_DEP_1)
	v_xor_b32_e32 v33, 0x80000000, v33
	ds_store_b64 v57, v[32:33] offset:16704
; %bb.675:                              ;   in Loop: Header=BB48_3 Depth=1
	s_or_b32 exec_lo, exec_lo, s50
	s_wait_dscnt 0x0
	s_barrier_signal -1
	s_barrier_wait -1
	s_barrier_signal -1
	s_barrier_wait -1
	s_and_saveexec_b32 s50, s48
	s_cbranch_execz .LBB48_677
; %bb.676:                              ;   in Loop: Header=BB48_3 Depth=1
	ds_load_b64 v[32:33], v68 offset:16704
	s_wait_dscnt 0x0
	ds_store_b64 v69, v[32:33] offset:20736
	ds_load_b64 v[32:33], v68 offset:16712
	s_wait_dscnt 0x0
	ds_store_b64 v69, v[32:33] offset:21248
	;; [unrolled: 3-line block ×8, first 2 shown]
.LBB48_677:                             ;   in Loop: Header=BB48_3 Depth=1
	s_or_b32 exec_lo, exec_lo, s50
	s_wait_dscnt 0x0
	s_barrier_signal -1
	s_barrier_wait -1
	s_and_saveexec_b32 s50, s14
	s_cbranch_execz .LBB48_679
; %bb.678:                              ;   in Loop: Header=BB48_3 Depth=1
	ds_load_b128 v[32:35], v5 offset:20800
	ds_load_b64 v[36:37], v5 offset:21320
	s_wait_dscnt 0x0
	v_mul_f64_e32 v[32:33], v[32:33], v[36:37]
	s_delay_alu instid0(VALU_DEP_1)
	v_mul_f64_e32 v[32:33], v[34:35], v[32:33]
	v_add_nc_u32_e64 v34, 0x5000, 0
	ds_store_2addr_b64 v34, v[32:33], v[32:33] offset0:41 offset1:104
.LBB48_679:                             ;   in Loop: Header=BB48_3 Depth=1
	s_or_b32 exec_lo, exec_lo, s50
	v_mov_b64_e32 v[32:33], 0
	s_wait_dscnt 0x0
	s_barrier_signal -1
	s_barrier_wait -1
	s_and_saveexec_b32 s50, s0
	s_cbranch_execz .LBB48_683
; %bb.680:                              ;   in Loop: Header=BB48_3 Depth=1
	ds_load_b64 v[32:33], v41 offset:20816
	ds_load_b64 v[34:35], v42 offset:20800
	s_wait_dscnt 0x0
	v_fma_f64 v[32:33], v[32:33], v[34:35], 0
	s_and_saveexec_b32 s51, s15
	s_cbranch_execz .LBB48_682
; %bb.681:                              ;   in Loop: Header=BB48_3 Depth=1
	ds_load_b64 v[34:35], v69 offset:21328
	ds_load_b64 v[36:37], v5 offset:20808
	s_wait_dscnt 0x0
	v_fmac_f64_e32 v[32:33], v[34:35], v[36:37]
.LBB48_682:                             ;   in Loop: Header=BB48_3 Depth=1
	s_or_b32 exec_lo, exec_lo, s51
	s_delay_alu instid0(VALU_DEP_1)
	v_xor_b32_e32 v33, 0x80000000, v33
.LBB48_683:                             ;   in Loop: Header=BB48_3 Depth=1
	s_or_b32 exec_lo, exec_lo, s50
	s_and_saveexec_b32 s50, s94
	s_cbranch_execz .LBB48_685
; %bb.684:                              ;   in Loop: Header=BB48_3 Depth=1
	ds_load_b64 v[34:35], v5 offset:21840
	s_wait_dscnt 0x0
	v_mul_f64_e32 v[32:33], v[32:33], v[34:35]
	ds_store_b64 v3, v[32:33]
.LBB48_685:                             ;   in Loop: Header=BB48_3 Depth=1
	s_or_b32 exec_lo, exec_lo, s50
	s_wait_dscnt 0x0
	s_barrier_signal -1
	s_barrier_wait -1
	s_and_saveexec_b32 s50, s95
	s_cbranch_execz .LBB48_687
; %bb.686:                              ;   in Loop: Header=BB48_3 Depth=1
	ds_load_b64 v[34:35], v5 offset:21848
	ds_load_b64 v[36:37], v3
	s_wait_dscnt 0x0
	v_fmac_f64_e32 v[32:33], v[34:35], v[36:37]
.LBB48_687:                             ;   in Loop: Header=BB48_3 Depth=1
	s_or_b32 exec_lo, exec_lo, s50
	s_barrier_signal -1
	s_barrier_wait -1
	s_and_saveexec_b32 s50, s95
	s_cbranch_execz .LBB48_689
; %bb.688:                              ;   in Loop: Header=BB48_3 Depth=1
	ds_load_b64 v[34:35], v5 offset:22360
	s_wait_dscnt 0x0
	v_mul_f64_e32 v[32:33], v[32:33], v[34:35]
	ds_store_b64 v3, v[32:33]
.LBB48_689:                             ;   in Loop: Header=BB48_3 Depth=1
	s_or_b32 exec_lo, exec_lo, s50
	s_wait_dscnt 0x0
	s_barrier_signal -1
	s_barrier_wait -1
	s_barrier_signal -1
	s_barrier_wait -1
	s_and_saveexec_b32 s50, s0
; %bb.690:                              ;   in Loop: Header=BB48_3 Depth=1
	s_delay_alu instid0(VALU_DEP_1)
	v_xor_b32_e32 v33, 0x80000000, v33
	ds_store_b64 v41, v[32:33] offset:20816
; %bb.691:                              ;   in Loop: Header=BB48_3 Depth=1
	s_or_b32 exec_lo, exec_lo, s50
	s_wait_dscnt 0x0
	s_barrier_signal -1
	s_barrier_wait -1
	s_barrier_signal -1
	s_barrier_wait -1
	s_and_saveexec_b32 s50, s96
	s_cbranch_execz .LBB48_693
; %bb.692:                              ;   in Loop: Header=BB48_3 Depth=1
	ds_load_b64 v[32:33], v70 offset:20816
	s_wait_dscnt 0x0
	ds_store_b64 v69, v[32:33] offset:21824
	ds_load_b64 v[32:33], v70 offset:20824
	s_wait_dscnt 0x0
	ds_store_b64 v69, v[32:33] offset:22336
.LBB48_693:                             ;   in Loop: Header=BB48_3 Depth=1
	s_or_b32 exec_lo, exec_lo, s50
	s_wait_dscnt 0x0
	s_barrier_signal -1
	s_barrier_wait -1
	s_and_saveexec_b32 s50, s14
	s_cbranch_execz .LBB48_695
; %bb.694:                              ;   in Loop: Header=BB48_3 Depth=1
	ds_load_b128 v[32:35], v5 offset:21840
	ds_load_b64 v[36:37], v5 offset:22360
	s_wait_dscnt 0x0
	v_mul_f64_e32 v[32:33], v[32:33], v[36:37]
	s_delay_alu instid0(VALU_DEP_1)
	v_mul_f64_e32 v[32:33], v[34:35], v[32:33]
	v_add_nc_u32_e64 v34, 0x5000, 0
	ds_store_2addr_b64 v34, v[32:33], v[32:33] offset0:171 offset1:234
.LBB48_695:                             ;   in Loop: Header=BB48_3 Depth=1
	s_or_b32 exec_lo, exec_lo, s50
	v_mov_b64_e32 v[32:33], 0
	s_wait_dscnt 0x0
	s_barrier_signal -1
	s_barrier_wait -1
	s_and_saveexec_b32 s65, s2
	s_cbranch_execz .LBB48_701
; %bb.696:                              ;   in Loop: Header=BB48_3 Depth=1
	ds_load_b64 v[32:33], v48 offset:20832
	ds_load_b64 v[34:35], v44 offset:20800
	s_wait_dscnt 0x0
	v_fma_f64 v[32:33], v[32:33], v[34:35], 0
	s_and_saveexec_b32 s50, s16
	s_cbranch_execnz .LBB48_1133
; %bb.697:                              ;   in Loop: Header=BB48_3 Depth=1
	s_or_b32 exec_lo, exec_lo, s50
	s_and_saveexec_b32 s50, s17
	s_cbranch_execnz .LBB48_1134
.LBB48_698:                             ;   in Loop: Header=BB48_3 Depth=1
	s_or_b32 exec_lo, exec_lo, s50
	s_and_saveexec_b32 s50, s0
	s_cbranch_execz .LBB48_700
.LBB48_699:                             ;   in Loop: Header=BB48_3 Depth=1
	ds_load_b64 v[34:35], v71 offset:22368
	ds_load_b64 v[36:37], v5 offset:20824
	s_wait_dscnt 0x0
	v_fmac_f64_e32 v[32:33], v[34:35], v[36:37]
.LBB48_700:                             ;   in Loop: Header=BB48_3 Depth=1
	s_or_b32 exec_lo, exec_lo, s50
	s_delay_alu instid0(VALU_DEP_1)
	v_xor_b32_e32 v33, 0x80000000, v33
.LBB48_701:                             ;   in Loop: Header=BB48_3 Depth=1
	s_or_b32 exec_lo, exec_lo, s65
	s_and_saveexec_b32 s50, s97
	s_cbranch_execz .LBB48_703
; %bb.702:                              ;   in Loop: Header=BB48_3 Depth=1
	ds_load_b64 v[34:35], v5 offset:22880
	s_wait_dscnt 0x0
	v_mul_f64_e32 v[32:33], v[32:33], v[34:35]
	ds_store_b64 v47, v[32:33]
.LBB48_703:                             ;   in Loop: Header=BB48_3 Depth=1
	s_or_b32 exec_lo, exec_lo, s50
	s_wait_dscnt 0x0
	s_barrier_signal -1
	s_barrier_wait -1
	s_and_saveexec_b32 s50, s98
	s_cbranch_execz .LBB48_705
; %bb.704:                              ;   in Loop: Header=BB48_3 Depth=1
	ds_load_b64 v[34:35], v45 offset:22880
	ds_load_b64 v[36:37], v47
	s_wait_dscnt 0x0
	v_fmac_f64_e32 v[32:33], v[34:35], v[36:37]
.LBB48_705:                             ;   in Loop: Header=BB48_3 Depth=1
	s_or_b32 exec_lo, exec_lo, s50
	s_barrier_signal -1
	s_barrier_wait -1
	s_and_saveexec_b32 s50, s99
	s_cbranch_execz .LBB48_707
; %bb.706:                              ;   in Loop: Header=BB48_3 Depth=1
	ds_load_b64 v[34:35], v5 offset:23400
	s_wait_dscnt 0x0
	v_mul_f64_e32 v[32:33], v[32:33], v[34:35]
	ds_store_b64 v47, v[32:33]
.LBB48_707:                             ;   in Loop: Header=BB48_3 Depth=1
	s_or_b32 exec_lo, exec_lo, s50
	s_wait_dscnt 0x0
	s_barrier_signal -1
	s_barrier_wait -1
	s_and_saveexec_b32 s50, s100
	s_cbranch_execz .LBB48_709
; %bb.708:                              ;   in Loop: Header=BB48_3 Depth=1
	ds_load_b64 v[34:35], v45 offset:23392
	ds_load_b64 v[36:37], v47
	s_wait_dscnt 0x0
	v_fmac_f64_e32 v[32:33], v[34:35], v[36:37]
.LBB48_709:                             ;   in Loop: Header=BB48_3 Depth=1
	s_or_b32 exec_lo, exec_lo, s50
	s_barrier_signal -1
	s_barrier_wait -1
	;; [unrolled: 23-line block ×3, first 2 shown]
	s_and_saveexec_b32 s50, s102
	s_cbranch_execz .LBB48_715
; %bb.714:                              ;   in Loop: Header=BB48_3 Depth=1
	ds_load_b64 v[34:35], v5 offset:24440
	s_wait_dscnt 0x0
	v_mul_f64_e32 v[32:33], v[32:33], v[34:35]
	ds_store_b64 v47, v[32:33]
.LBB48_715:                             ;   in Loop: Header=BB48_3 Depth=1
	s_or_b32 exec_lo, exec_lo, s50
	s_wait_dscnt 0x0
	s_barrier_signal -1
	s_barrier_wait -1
	s_barrier_signal -1
	s_barrier_wait -1
	s_and_saveexec_b32 s50, s2
; %bb.716:                              ;   in Loop: Header=BB48_3 Depth=1
	s_delay_alu instid0(VALU_DEP_1)
	v_xor_b32_e32 v33, 0x80000000, v33
	ds_store_b64 v48, v[32:33] offset:20832
; %bb.717:                              ;   in Loop: Header=BB48_3 Depth=1
	s_or_b32 exec_lo, exec_lo, s50
	s_wait_dscnt 0x0
	s_barrier_signal -1
	s_barrier_wait -1
	s_barrier_signal -1
	s_barrier_wait -1
	s_and_saveexec_b32 s50, s103
	s_cbranch_execz .LBB48_719
; %bb.718:                              ;   in Loop: Header=BB48_3 Depth=1
	ds_load_b64 v[32:33], v74 offset:20832
	s_wait_dscnt 0x0
	ds_store_b64 v77, v[32:33] offset:22848
	ds_load_b64 v[32:33], v74 offset:20840
	s_wait_dscnt 0x0
	ds_store_b64 v77, v[32:33] offset:23360
	;; [unrolled: 3-line block ×4, first 2 shown]
.LBB48_719:                             ;   in Loop: Header=BB48_3 Depth=1
	s_or_b32 exec_lo, exec_lo, s50
	s_wait_dscnt 0x0
	s_barrier_signal -1
	s_barrier_wait -1
	s_and_saveexec_b32 s50, s14
	s_cbranch_execz .LBB48_721
; %bb.720:                              ;   in Loop: Header=BB48_3 Depth=1
	ds_load_b128 v[32:35], v5 offset:22880
	ds_load_b64 v[36:37], v5 offset:23400
	s_wait_dscnt 0x0
	v_mul_f64_e32 v[32:33], v[32:33], v[36:37]
	s_delay_alu instid0(VALU_DEP_1)
	v_mul_f64_e32 v[32:33], v[34:35], v[32:33]
	v_add_nc_u32_e64 v34, 0x5800, 0
	ds_store_2addr_b64 v34, v[32:33], v[32:33] offset0:45 offset1:108
.LBB48_721:                             ;   in Loop: Header=BB48_3 Depth=1
	s_or_b32 exec_lo, exec_lo, s50
	v_mov_b64_e32 v[32:33], 0
	s_wait_dscnt 0x0
	s_barrier_signal -1
	s_barrier_wait -1
	s_and_saveexec_b32 s50, s0
	s_cbranch_execz .LBB48_725
; %bb.722:                              ;   in Loop: Header=BB48_3 Depth=1
	ds_load_b64 v[32:33], v41 offset:22896
	ds_load_b64 v[34:35], v42 offset:22880
	s_wait_dscnt 0x0
	v_fma_f64 v[32:33], v[32:33], v[34:35], 0
	s_and_saveexec_b32 s51, s15
	s_cbranch_execz .LBB48_724
; %bb.723:                              ;   in Loop: Header=BB48_3 Depth=1
	ds_load_b64 v[34:35], v77 offset:23408
	ds_load_b64 v[36:37], v5 offset:22888
	s_wait_dscnt 0x0
	v_fmac_f64_e32 v[32:33], v[34:35], v[36:37]
.LBB48_724:                             ;   in Loop: Header=BB48_3 Depth=1
	s_or_b32 exec_lo, exec_lo, s51
	s_delay_alu instid0(VALU_DEP_1)
	v_xor_b32_e32 v33, 0x80000000, v33
.LBB48_725:                             ;   in Loop: Header=BB48_3 Depth=1
	s_or_b32 exec_lo, exec_lo, s50
	s_and_saveexec_b32 s50, s94
	s_cbranch_execz .LBB48_727
; %bb.726:                              ;   in Loop: Header=BB48_3 Depth=1
	ds_load_b64 v[34:35], v5 offset:23920
	s_wait_dscnt 0x0
	v_mul_f64_e32 v[32:33], v[32:33], v[34:35]
	ds_store_b64 v3, v[32:33]
.LBB48_727:                             ;   in Loop: Header=BB48_3 Depth=1
	s_or_b32 exec_lo, exec_lo, s50
	s_wait_dscnt 0x0
	s_barrier_signal -1
	s_barrier_wait -1
	s_and_saveexec_b32 s50, s95
	s_cbranch_execz .LBB48_729
; %bb.728:                              ;   in Loop: Header=BB48_3 Depth=1
	ds_load_b64 v[34:35], v5 offset:23928
	ds_load_b64 v[36:37], v3
	s_wait_dscnt 0x0
	v_fmac_f64_e32 v[32:33], v[34:35], v[36:37]
.LBB48_729:                             ;   in Loop: Header=BB48_3 Depth=1
	s_or_b32 exec_lo, exec_lo, s50
	s_barrier_signal -1
	s_barrier_wait -1
	s_and_saveexec_b32 s50, s95
	s_cbranch_execz .LBB48_731
; %bb.730:                              ;   in Loop: Header=BB48_3 Depth=1
	ds_load_b64 v[34:35], v5 offset:24440
	s_wait_dscnt 0x0
	v_mul_f64_e32 v[32:33], v[32:33], v[34:35]
	ds_store_b64 v3, v[32:33]
.LBB48_731:                             ;   in Loop: Header=BB48_3 Depth=1
	s_or_b32 exec_lo, exec_lo, s50
	s_wait_dscnt 0x0
	s_barrier_signal -1
	s_barrier_wait -1
	s_barrier_signal -1
	s_barrier_wait -1
	s_and_saveexec_b32 s50, s0
; %bb.732:                              ;   in Loop: Header=BB48_3 Depth=1
	s_delay_alu instid0(VALU_DEP_1)
	v_xor_b32_e32 v33, 0x80000000, v33
	ds_store_b64 v41, v[32:33] offset:22896
; %bb.733:                              ;   in Loop: Header=BB48_3 Depth=1
	s_or_b32 exec_lo, exec_lo, s50
	s_wait_dscnt 0x0
	s_barrier_signal -1
	s_barrier_wait -1
	s_barrier_signal -1
	s_barrier_wait -1
	s_and_saveexec_b32 s50, s96
	s_cbranch_execz .LBB48_735
; %bb.734:                              ;   in Loop: Header=BB48_3 Depth=1
	ds_load_b64 v[32:33], v78 offset:22896
	s_wait_dscnt 0x0
	ds_store_b64 v77, v[32:33] offset:23904
	ds_load_b64 v[32:33], v78 offset:22904
	s_wait_dscnt 0x0
	ds_store_b64 v77, v[32:33] offset:24416
.LBB48_735:                             ;   in Loop: Header=BB48_3 Depth=1
	s_or_b32 exec_lo, exec_lo, s50
	s_wait_dscnt 0x0
	s_barrier_signal -1
	s_barrier_wait -1
	s_and_saveexec_b32 s50, s14
	s_cbranch_execz .LBB48_737
; %bb.736:                              ;   in Loop: Header=BB48_3 Depth=1
	ds_load_b128 v[32:35], v5 offset:23920
	ds_load_b64 v[36:37], v5 offset:24440
	s_wait_dscnt 0x0
	v_mul_f64_e32 v[32:33], v[32:33], v[36:37]
	s_delay_alu instid0(VALU_DEP_1)
	v_mul_f64_e32 v[32:33], v[34:35], v[32:33]
	v_add_nc_u32_e64 v34, 0x5800, 0
	ds_store_2addr_b64 v34, v[32:33], v[32:33] offset0:175 offset1:238
.LBB48_737:                             ;   in Loop: Header=BB48_3 Depth=1
	s_or_b32 exec_lo, exec_lo, s50
	v_mov_b64_e32 v[32:33], 0
	s_wait_dscnt 0x0
	s_barrier_signal -1
	s_barrier_wait -1
	s_and_saveexec_b32 s84, s4
	s_cbranch_execz .LBB48_765
; %bb.738:                              ;   in Loop: Header=BB48_3 Depth=1
	ds_load_b64 v[32:33], v63 offset:16768
	ds_load_b64 v[34:35], v60 offset:16640
	s_wait_dscnt 0x0
	v_fma_f64 v[32:33], v[32:33], v[34:35], 0
	s_mov_b32 s50, exec_lo
	v_readlane_b32 s51, v98, 29
	s_and_b32 s51, s50, s51
	s_delay_alu instid0(SALU_CYCLE_1)
	s_mov_b32 exec_lo, s51
	s_cbranch_execz .LBB48_740
; %bb.739:                              ;   in Loop: Header=BB48_3 Depth=1
	ds_load_b64 v[34:35], v64 offset:17280
	ds_load_b64 v[36:37], v60 offset:16648
	s_wait_dscnt 0x0
	v_fmac_f64_e32 v[32:33], v[34:35], v[36:37]
.LBB48_740:                             ;   in Loop: Header=BB48_3 Depth=1
	s_or_b32 exec_lo, exec_lo, s50
	s_delay_alu instid0(SALU_CYCLE_1) | instskip(SKIP_2) | instid1(SALU_CYCLE_1)
	s_mov_b32 s50, exec_lo
	v_readlane_b32 s51, v98, 30
	s_and_b32 s51, s50, s51
	s_mov_b32 exec_lo, s51
	s_cbranch_execz .LBB48_742
; %bb.741:                              ;   in Loop: Header=BB48_3 Depth=1
	ds_load_b64 v[34:35], v64 offset:17792
	ds_load_b64 v[36:37], v60 offset:16656
	s_wait_dscnt 0x0
	v_fmac_f64_e32 v[32:33], v[34:35], v[36:37]
.LBB48_742:                             ;   in Loop: Header=BB48_3 Depth=1
	s_or_b32 exec_lo, exec_lo, s50
	s_delay_alu instid0(SALU_CYCLE_1) | instskip(SKIP_2) | instid1(SALU_CYCLE_1)
	s_mov_b32 s50, exec_lo
	v_readlane_b32 s51, v98, 31
	s_and_b32 s51, s50, s51
	;; [unrolled: 13-line block ×10, first 2 shown]
	s_mov_b32 exec_lo, s51
	s_cbranch_execnz .LBB48_1135
; %bb.759:                              ;   in Loop: Header=BB48_3 Depth=1
	s_or_b32 exec_lo, exec_lo, s50
	s_and_saveexec_b32 s50, s3
	s_cbranch_execnz .LBB48_1136
.LBB48_760:                             ;   in Loop: Header=BB48_3 Depth=1
	s_or_b32 exec_lo, exec_lo, s50
	s_and_saveexec_b32 s50, s19
	s_cbranch_execnz .LBB48_1137
.LBB48_761:                             ;   in Loop: Header=BB48_3 Depth=1
	s_or_b32 exec_lo, exec_lo, s50
	s_and_saveexec_b32 s50, s21
	s_cbranch_execnz .LBB48_1138
.LBB48_762:                             ;   in Loop: Header=BB48_3 Depth=1
	s_or_b32 exec_lo, exec_lo, s50
	s_and_saveexec_b32 s50, s2
	s_cbranch_execz .LBB48_764
.LBB48_763:                             ;   in Loop: Header=BB48_3 Depth=1
	ds_load_b64 v[34:35], v43 offset:24448
	ds_load_b64 v[36:37], v5 offset:16760
	s_wait_dscnt 0x0
	v_fmac_f64_e32 v[32:33], v[34:35], v[36:37]
.LBB48_764:                             ;   in Loop: Header=BB48_3 Depth=1
	s_or_b32 exec_lo, exec_lo, s50
	s_delay_alu instid0(VALU_DEP_1)
	v_xor_b32_e32 v33, 0x80000000, v33
.LBB48_765:                             ;   in Loop: Header=BB48_3 Depth=1
	s_or_b32 exec_lo, exec_lo, s84
	s_delay_alu instid0(SALU_CYCLE_1) | instskip(SKIP_2) | instid1(SALU_CYCLE_1)
	s_mov_b32 s50, exec_lo
	v_readlane_b32 s51, v98, 6
	s_and_b32 s51, s50, s51
	s_mov_b32 exec_lo, s51
	s_cbranch_execz .LBB48_767
; %bb.766:                              ;   in Loop: Header=BB48_3 Depth=1
	ds_load_b64 v[34:35], v5 offset:24960
	s_wait_dscnt 0x0
	v_mul_f64_e32 v[32:33], v[32:33], v[34:35]
	ds_store_b64 v62, v[32:33]
.LBB48_767:                             ;   in Loop: Header=BB48_3 Depth=1
	s_or_b32 exec_lo, exec_lo, s50
	s_wait_dscnt 0x0
	s_barrier_signal -1
	s_barrier_wait -1
	s_mov_b32 s50, exec_lo
	v_readlane_b32 s51, v98, 7
	s_and_b32 s51, s50, s51
	s_delay_alu instid0(SALU_CYCLE_1)
	s_mov_b32 exec_lo, s51
	s_cbranch_execz .LBB48_769
; %bb.768:                              ;   in Loop: Header=BB48_3 Depth=1
	ds_load_b64 v[34:35], v61 offset:24960
	ds_load_b64 v[36:37], v62
	s_wait_dscnt 0x0
	v_fmac_f64_e32 v[32:33], v[34:35], v[36:37]
.LBB48_769:                             ;   in Loop: Header=BB48_3 Depth=1
	s_or_b32 exec_lo, exec_lo, s50
	s_barrier_signal -1
	s_barrier_wait -1
	s_mov_b32 s50, exec_lo
	v_readlane_b32 s51, v98, 8
	s_and_b32 s51, s50, s51
	s_delay_alu instid0(SALU_CYCLE_1)
	s_mov_b32 exec_lo, s51
	s_cbranch_execz .LBB48_771
; %bb.770:                              ;   in Loop: Header=BB48_3 Depth=1
	ds_load_b64 v[34:35], v5 offset:25480
	s_wait_dscnt 0x0
	v_mul_f64_e32 v[32:33], v[32:33], v[34:35]
	ds_store_b64 v62, v[32:33]
.LBB48_771:                             ;   in Loop: Header=BB48_3 Depth=1
	s_or_b32 exec_lo, exec_lo, s50
	s_wait_dscnt 0x0
	s_barrier_signal -1
	s_barrier_wait -1
	s_mov_b32 s50, exec_lo
	v_readlane_b32 s51, v98, 9
	s_and_b32 s51, s50, s51
	s_delay_alu instid0(SALU_CYCLE_1)
	s_mov_b32 exec_lo, s51
	s_cbranch_execz .LBB48_773
; %bb.772:                              ;   in Loop: Header=BB48_3 Depth=1
	ds_load_b64 v[34:35], v61 offset:25472
	ds_load_b64 v[36:37], v62
	s_wait_dscnt 0x0
	v_fmac_f64_e32 v[32:33], v[34:35], v[36:37]
.LBB48_773:                             ;   in Loop: Header=BB48_3 Depth=1
	s_or_b32 exec_lo, exec_lo, s50
	s_barrier_signal -1
	s_barrier_wait -1
	s_mov_b32 s50, exec_lo
	v_readlane_b32 s51, v98, 10
	s_and_b32 s51, s50, s51
	s_delay_alu instid0(SALU_CYCLE_1)
	s_mov_b32 exec_lo, s51
	s_cbranch_execz .LBB48_775
; %bb.774:                              ;   in Loop: Header=BB48_3 Depth=1
	ds_load_b64 v[34:35], v5 offset:26000
	s_wait_dscnt 0x0
	v_mul_f64_e32 v[32:33], v[32:33], v[34:35]
	ds_store_b64 v62, v[32:33]
.LBB48_775:                             ;   in Loop: Header=BB48_3 Depth=1
	s_or_b32 exec_lo, exec_lo, s50
	s_wait_dscnt 0x0
	s_barrier_signal -1
	s_barrier_wait -1
	s_and_saveexec_b32 s50, s54
	s_cbranch_execz .LBB48_777
; %bb.776:                              ;   in Loop: Header=BB48_3 Depth=1
	ds_load_b64 v[34:35], v61 offset:25984
	ds_load_b64 v[36:37], v62
	s_wait_dscnt 0x0
	v_fmac_f64_e32 v[32:33], v[34:35], v[36:37]
.LBB48_777:                             ;   in Loop: Header=BB48_3 Depth=1
	s_or_b32 exec_lo, exec_lo, s50
	s_barrier_signal -1
	s_barrier_wait -1
	s_and_saveexec_b32 s50, s55
	s_cbranch_execz .LBB48_779
; %bb.778:                              ;   in Loop: Header=BB48_3 Depth=1
	ds_load_b64 v[34:35], v5 offset:26520
	s_wait_dscnt 0x0
	v_mul_f64_e32 v[32:33], v[32:33], v[34:35]
	ds_store_b64 v62, v[32:33]
.LBB48_779:                             ;   in Loop: Header=BB48_3 Depth=1
	s_or_b32 exec_lo, exec_lo, s50
	s_wait_dscnt 0x0
	s_barrier_signal -1
	s_barrier_wait -1
	s_and_saveexec_b32 s50, s56
	s_cbranch_execz .LBB48_781
; %bb.780:                              ;   in Loop: Header=BB48_3 Depth=1
	ds_load_b64 v[34:35], v61 offset:26496
	ds_load_b64 v[36:37], v62
	s_wait_dscnt 0x0
	v_fmac_f64_e32 v[32:33], v[34:35], v[36:37]
.LBB48_781:                             ;   in Loop: Header=BB48_3 Depth=1
	s_or_b32 exec_lo, exec_lo, s50
	s_barrier_signal -1
	s_barrier_wait -1
	s_and_saveexec_b32 s50, s57
	;; [unrolled: 23-line block ×13, first 2 shown]
	s_cbranch_execz .LBB48_827
; %bb.826:                              ;   in Loop: Header=BB48_3 Depth=1
	ds_load_b64 v[34:35], v5 offset:32760
	s_wait_dscnt 0x0
	v_mul_f64_e32 v[32:33], v[32:33], v[34:35]
	ds_store_b64 v62, v[32:33]
.LBB48_827:                             ;   in Loop: Header=BB48_3 Depth=1
	s_or_b32 exec_lo, exec_lo, s50
	s_wait_dscnt 0x0
	s_barrier_signal -1
	s_barrier_wait -1
	s_barrier_signal -1
	s_barrier_wait -1
	s_and_saveexec_b32 s50, s4
; %bb.828:                              ;   in Loop: Header=BB48_3 Depth=1
	s_delay_alu instid0(VALU_DEP_1)
	v_xor_b32_e32 v33, 0x80000000, v33
	ds_store_b64 v63, v[32:33] offset:16768
; %bb.829:                              ;   in Loop: Header=BB48_3 Depth=1
	s_or_b32 exec_lo, exec_lo, s50
	s_wait_dscnt 0x0
	s_barrier_signal -1
	s_barrier_wait -1
	s_barrier_signal -1
	s_barrier_wait -1
	s_and_saveexec_b32 s50, s73
	s_cbranch_execz .LBB48_831
; %bb.830:                              ;   in Loop: Header=BB48_3 Depth=1
	ds_load_b64 v[32:33], v46 offset:16768
	s_wait_dscnt 0x0
	ds_store_b64 v50, v[32:33] offset:24832
	ds_load_b64 v[32:33], v46 offset:16776
	s_wait_dscnt 0x0
	ds_store_b64 v50, v[32:33] offset:25344
	;; [unrolled: 3-line block ×16, first 2 shown]
.LBB48_831:                             ;   in Loop: Header=BB48_3 Depth=1
	s_or_b32 exec_lo, exec_lo, s50
	s_wait_dscnt 0x0
	s_barrier_signal -1
	s_barrier_wait -1
	s_and_saveexec_b32 s50, s14
	s_cbranch_execz .LBB48_833
; %bb.832:                              ;   in Loop: Header=BB48_3 Depth=1
	ds_load_b128 v[32:35], v5 offset:24960
	ds_load_b64 v[36:37], v5 offset:25480
	s_wait_dscnt 0x0
	v_mul_f64_e32 v[32:33], v[32:33], v[36:37]
	s_delay_alu instid0(VALU_DEP_1)
	v_mul_f64_e32 v[32:33], v[34:35], v[32:33]
	v_add_nc_u32_e64 v34, 0x6000, 0
	ds_store_2addr_b64 v34, v[32:33], v[32:33] offset0:49 offset1:112
.LBB48_833:                             ;   in Loop: Header=BB48_3 Depth=1
	s_or_b32 exec_lo, exec_lo, s50
	v_mov_b64_e32 v[32:33], 0
	s_wait_dscnt 0x0
	s_barrier_signal -1
	s_barrier_wait -1
	s_and_saveexec_b32 s50, s0
	s_cbranch_execz .LBB48_837
; %bb.834:                              ;   in Loop: Header=BB48_3 Depth=1
	ds_load_b64 v[32:33], v41 offset:24976
	ds_load_b64 v[34:35], v42 offset:24960
	s_wait_dscnt 0x0
	v_fma_f64 v[32:33], v[32:33], v[34:35], 0
	s_and_saveexec_b32 s51, s15
	s_cbranch_execz .LBB48_836
; %bb.835:                              ;   in Loop: Header=BB48_3 Depth=1
	ds_load_b64 v[34:35], v43 offset:25488
	ds_load_b64 v[36:37], v5 offset:24968
	s_wait_dscnt 0x0
	v_fmac_f64_e32 v[32:33], v[34:35], v[36:37]
.LBB48_836:                             ;   in Loop: Header=BB48_3 Depth=1
	s_or_b32 exec_lo, exec_lo, s51
	s_delay_alu instid0(VALU_DEP_1)
	v_xor_b32_e32 v33, 0x80000000, v33
.LBB48_837:                             ;   in Loop: Header=BB48_3 Depth=1
	s_or_b32 exec_lo, exec_lo, s50
	s_and_saveexec_b32 s50, s94
	s_cbranch_execz .LBB48_839
; %bb.838:                              ;   in Loop: Header=BB48_3 Depth=1
	ds_load_b64 v[34:35], v5 offset:26000
	s_wait_dscnt 0x0
	v_mul_f64_e32 v[32:33], v[32:33], v[34:35]
	ds_store_b64 v3, v[32:33]
.LBB48_839:                             ;   in Loop: Header=BB48_3 Depth=1
	s_or_b32 exec_lo, exec_lo, s50
	s_wait_dscnt 0x0
	s_barrier_signal -1
	s_barrier_wait -1
	s_and_saveexec_b32 s50, s95
	s_cbranch_execz .LBB48_841
; %bb.840:                              ;   in Loop: Header=BB48_3 Depth=1
	ds_load_b64 v[34:35], v5 offset:26008
	ds_load_b64 v[36:37], v3
	s_wait_dscnt 0x0
	v_fmac_f64_e32 v[32:33], v[34:35], v[36:37]
.LBB48_841:                             ;   in Loop: Header=BB48_3 Depth=1
	s_or_b32 exec_lo, exec_lo, s50
	s_barrier_signal -1
	s_barrier_wait -1
	s_and_saveexec_b32 s50, s95
	s_cbranch_execz .LBB48_843
; %bb.842:                              ;   in Loop: Header=BB48_3 Depth=1
	ds_load_b64 v[34:35], v5 offset:26520
	s_wait_dscnt 0x0
	v_mul_f64_e32 v[32:33], v[32:33], v[34:35]
	ds_store_b64 v3, v[32:33]
.LBB48_843:                             ;   in Loop: Header=BB48_3 Depth=1
	s_or_b32 exec_lo, exec_lo, s50
	s_wait_dscnt 0x0
	s_barrier_signal -1
	s_barrier_wait -1
	s_barrier_signal -1
	s_barrier_wait -1
	s_and_saveexec_b32 s50, s0
; %bb.844:                              ;   in Loop: Header=BB48_3 Depth=1
	s_delay_alu instid0(VALU_DEP_1)
	v_xor_b32_e32 v33, 0x80000000, v33
	ds_store_b64 v41, v[32:33] offset:24976
; %bb.845:                              ;   in Loop: Header=BB48_3 Depth=1
	s_or_b32 exec_lo, exec_lo, s50
	s_wait_dscnt 0x0
	s_barrier_signal -1
	s_barrier_wait -1
	s_barrier_signal -1
	s_barrier_wait -1
	s_and_saveexec_b32 s50, s96
	s_cbranch_execz .LBB48_847
; %bb.846:                              ;   in Loop: Header=BB48_3 Depth=1
	ds_load_b64 v[32:33], v46 offset:24976
	s_wait_dscnt 0x0
	ds_store_b64 v43, v[32:33] offset:25984
	ds_load_b64 v[32:33], v46 offset:24984
	s_wait_dscnt 0x0
	ds_store_b64 v43, v[32:33] offset:26496
.LBB48_847:                             ;   in Loop: Header=BB48_3 Depth=1
	s_or_b32 exec_lo, exec_lo, s50
	s_wait_dscnt 0x0
	s_barrier_signal -1
	s_barrier_wait -1
	s_and_saveexec_b32 s50, s14
	s_cbranch_execz .LBB48_849
; %bb.848:                              ;   in Loop: Header=BB48_3 Depth=1
	ds_load_b128 v[32:35], v5 offset:26000
	ds_load_b64 v[36:37], v5 offset:26520
	s_wait_dscnt 0x0
	v_mul_f64_e32 v[32:33], v[32:33], v[36:37]
	s_delay_alu instid0(VALU_DEP_1)
	v_mul_f64_e32 v[32:33], v[34:35], v[32:33]
	v_add_nc_u32_e64 v34, 0x6000, 0
	ds_store_2addr_b64 v34, v[32:33], v[32:33] offset0:179 offset1:242
.LBB48_849:                             ;   in Loop: Header=BB48_3 Depth=1
	s_or_b32 exec_lo, exec_lo, s50
	v_mov_b64_e32 v[32:33], 0
	s_wait_dscnt 0x0
	s_barrier_signal -1
	s_barrier_wait -1
	s_and_saveexec_b32 s65, s2
	s_cbranch_execz .LBB48_855
; %bb.850:                              ;   in Loop: Header=BB48_3 Depth=1
	ds_load_b64 v[32:33], v48 offset:24992
	ds_load_b64 v[34:35], v44 offset:24960
	s_wait_dscnt 0x0
	v_fma_f64 v[32:33], v[32:33], v[34:35], 0
	s_and_saveexec_b32 s50, s16
	s_cbranch_execnz .LBB48_1139
; %bb.851:                              ;   in Loop: Header=BB48_3 Depth=1
	s_or_b32 exec_lo, exec_lo, s50
	s_and_saveexec_b32 s50, s17
	s_cbranch_execnz .LBB48_1140
.LBB48_852:                             ;   in Loop: Header=BB48_3 Depth=1
	s_or_b32 exec_lo, exec_lo, s50
	s_and_saveexec_b32 s50, s0
	s_cbranch_execz .LBB48_854
.LBB48_853:                             ;   in Loop: Header=BB48_3 Depth=1
	ds_load_b64 v[34:35], v50 offset:26528
	ds_load_b64 v[36:37], v5 offset:24984
	s_wait_dscnt 0x0
	v_fmac_f64_e32 v[32:33], v[34:35], v[36:37]
.LBB48_854:                             ;   in Loop: Header=BB48_3 Depth=1
	s_or_b32 exec_lo, exec_lo, s50
	s_delay_alu instid0(VALU_DEP_1)
	v_xor_b32_e32 v33, 0x80000000, v33
.LBB48_855:                             ;   in Loop: Header=BB48_3 Depth=1
	s_or_b32 exec_lo, exec_lo, s65
	s_and_saveexec_b32 s50, s97
	s_cbranch_execz .LBB48_857
; %bb.856:                              ;   in Loop: Header=BB48_3 Depth=1
	ds_load_b64 v[34:35], v5 offset:27040
	s_wait_dscnt 0x0
	v_mul_f64_e32 v[32:33], v[32:33], v[34:35]
	ds_store_b64 v47, v[32:33]
.LBB48_857:                             ;   in Loop: Header=BB48_3 Depth=1
	s_or_b32 exec_lo, exec_lo, s50
	s_wait_dscnt 0x0
	s_barrier_signal -1
	s_barrier_wait -1
	s_and_saveexec_b32 s50, s98
	s_cbranch_execz .LBB48_859
; %bb.858:                              ;   in Loop: Header=BB48_3 Depth=1
	ds_load_b64 v[34:35], v45 offset:27040
	ds_load_b64 v[36:37], v47
	s_wait_dscnt 0x0
	v_fmac_f64_e32 v[32:33], v[34:35], v[36:37]
.LBB48_859:                             ;   in Loop: Header=BB48_3 Depth=1
	s_or_b32 exec_lo, exec_lo, s50
	s_barrier_signal -1
	s_barrier_wait -1
	s_and_saveexec_b32 s50, s99
	s_cbranch_execz .LBB48_861
; %bb.860:                              ;   in Loop: Header=BB48_3 Depth=1
	ds_load_b64 v[34:35], v5 offset:27560
	s_wait_dscnt 0x0
	v_mul_f64_e32 v[32:33], v[32:33], v[34:35]
	ds_store_b64 v47, v[32:33]
.LBB48_861:                             ;   in Loop: Header=BB48_3 Depth=1
	s_or_b32 exec_lo, exec_lo, s50
	s_wait_dscnt 0x0
	s_barrier_signal -1
	s_barrier_wait -1
	s_and_saveexec_b32 s50, s100
	s_cbranch_execz .LBB48_863
; %bb.862:                              ;   in Loop: Header=BB48_3 Depth=1
	ds_load_b64 v[34:35], v45 offset:27552
	ds_load_b64 v[36:37], v47
	s_wait_dscnt 0x0
	v_fmac_f64_e32 v[32:33], v[34:35], v[36:37]
.LBB48_863:                             ;   in Loop: Header=BB48_3 Depth=1
	s_or_b32 exec_lo, exec_lo, s50
	s_barrier_signal -1
	s_barrier_wait -1
	;; [unrolled: 23-line block ×3, first 2 shown]
	s_and_saveexec_b32 s50, s102
	s_cbranch_execz .LBB48_869
; %bb.868:                              ;   in Loop: Header=BB48_3 Depth=1
	ds_load_b64 v[34:35], v5 offset:28600
	s_wait_dscnt 0x0
	v_mul_f64_e32 v[32:33], v[32:33], v[34:35]
	ds_store_b64 v47, v[32:33]
.LBB48_869:                             ;   in Loop: Header=BB48_3 Depth=1
	s_or_b32 exec_lo, exec_lo, s50
	s_wait_dscnt 0x0
	s_barrier_signal -1
	s_barrier_wait -1
	s_barrier_signal -1
	s_barrier_wait -1
	s_and_saveexec_b32 s50, s2
; %bb.870:                              ;   in Loop: Header=BB48_3 Depth=1
	s_delay_alu instid0(VALU_DEP_1)
	v_xor_b32_e32 v33, 0x80000000, v33
	ds_store_b64 v48, v[32:33] offset:24992
; %bb.871:                              ;   in Loop: Header=BB48_3 Depth=1
	s_or_b32 exec_lo, exec_lo, s50
	s_wait_dscnt 0x0
	s_barrier_signal -1
	s_barrier_wait -1
	s_barrier_signal -1
	s_barrier_wait -1
	s_and_saveexec_b32 s50, s103
	s_cbranch_execz .LBB48_873
; %bb.872:                              ;   in Loop: Header=BB48_3 Depth=1
	ds_load_b64 v[32:33], v51 offset:24992
	s_wait_dscnt 0x0
	ds_store_b64 v52, v[32:33] offset:27008
	ds_load_b64 v[32:33], v51 offset:25000
	s_wait_dscnt 0x0
	ds_store_b64 v52, v[32:33] offset:27520
	;; [unrolled: 3-line block ×4, first 2 shown]
.LBB48_873:                             ;   in Loop: Header=BB48_3 Depth=1
	s_or_b32 exec_lo, exec_lo, s50
	s_wait_dscnt 0x0
	s_barrier_signal -1
	s_barrier_wait -1
	s_and_saveexec_b32 s50, s14
	s_cbranch_execz .LBB48_875
; %bb.874:                              ;   in Loop: Header=BB48_3 Depth=1
	ds_load_b128 v[32:35], v5 offset:27040
	ds_load_b64 v[36:37], v5 offset:27560
	s_wait_dscnt 0x0
	v_mul_f64_e32 v[32:33], v[32:33], v[36:37]
	s_delay_alu instid0(VALU_DEP_1)
	v_mul_f64_e32 v[32:33], v[34:35], v[32:33]
	v_add_nc_u32_e64 v34, 0x6800, 0
	ds_store_2addr_b64 v34, v[32:33], v[32:33] offset0:53 offset1:116
.LBB48_875:                             ;   in Loop: Header=BB48_3 Depth=1
	s_or_b32 exec_lo, exec_lo, s50
	v_mov_b64_e32 v[32:33], 0
	s_wait_dscnt 0x0
	s_barrier_signal -1
	s_barrier_wait -1
	s_and_saveexec_b32 s50, s0
	s_cbranch_execz .LBB48_879
; %bb.876:                              ;   in Loop: Header=BB48_3 Depth=1
	ds_load_b64 v[32:33], v41 offset:27056
	ds_load_b64 v[34:35], v42 offset:27040
	s_wait_dscnt 0x0
	v_fma_f64 v[32:33], v[32:33], v[34:35], 0
	s_and_saveexec_b32 s51, s15
	s_cbranch_execz .LBB48_878
; %bb.877:                              ;   in Loop: Header=BB48_3 Depth=1
	ds_load_b64 v[34:35], v52 offset:27568
	ds_load_b64 v[36:37], v5 offset:27048
	s_wait_dscnt 0x0
	v_fmac_f64_e32 v[32:33], v[34:35], v[36:37]
.LBB48_878:                             ;   in Loop: Header=BB48_3 Depth=1
	s_or_b32 exec_lo, exec_lo, s51
	s_delay_alu instid0(VALU_DEP_1)
	v_xor_b32_e32 v33, 0x80000000, v33
.LBB48_879:                             ;   in Loop: Header=BB48_3 Depth=1
	s_or_b32 exec_lo, exec_lo, s50
	s_and_saveexec_b32 s50, s94
	s_cbranch_execz .LBB48_881
; %bb.880:                              ;   in Loop: Header=BB48_3 Depth=1
	ds_load_b64 v[34:35], v5 offset:28080
	s_wait_dscnt 0x0
	v_mul_f64_e32 v[32:33], v[32:33], v[34:35]
	ds_store_b64 v3, v[32:33]
.LBB48_881:                             ;   in Loop: Header=BB48_3 Depth=1
	s_or_b32 exec_lo, exec_lo, s50
	s_wait_dscnt 0x0
	s_barrier_signal -1
	s_barrier_wait -1
	s_and_saveexec_b32 s50, s95
	s_cbranch_execz .LBB48_883
; %bb.882:                              ;   in Loop: Header=BB48_3 Depth=1
	ds_load_b64 v[34:35], v5 offset:28088
	ds_load_b64 v[36:37], v3
	s_wait_dscnt 0x0
	v_fmac_f64_e32 v[32:33], v[34:35], v[36:37]
.LBB48_883:                             ;   in Loop: Header=BB48_3 Depth=1
	s_or_b32 exec_lo, exec_lo, s50
	s_barrier_signal -1
	s_barrier_wait -1
	s_and_saveexec_b32 s50, s95
	s_cbranch_execz .LBB48_885
; %bb.884:                              ;   in Loop: Header=BB48_3 Depth=1
	ds_load_b64 v[34:35], v5 offset:28600
	s_wait_dscnt 0x0
	v_mul_f64_e32 v[32:33], v[32:33], v[34:35]
	ds_store_b64 v3, v[32:33]
.LBB48_885:                             ;   in Loop: Header=BB48_3 Depth=1
	s_or_b32 exec_lo, exec_lo, s50
	s_wait_dscnt 0x0
	s_barrier_signal -1
	s_barrier_wait -1
	s_barrier_signal -1
	s_barrier_wait -1
	s_and_saveexec_b32 s50, s0
; %bb.886:                              ;   in Loop: Header=BB48_3 Depth=1
	s_delay_alu instid0(VALU_DEP_1)
	v_xor_b32_e32 v33, 0x80000000, v33
	ds_store_b64 v41, v[32:33] offset:27056
; %bb.887:                              ;   in Loop: Header=BB48_3 Depth=1
	s_or_b32 exec_lo, exec_lo, s50
	s_wait_dscnt 0x0
	s_barrier_signal -1
	s_barrier_wait -1
	s_barrier_signal -1
	s_barrier_wait -1
	s_and_saveexec_b32 s50, s96
	s_cbranch_execz .LBB48_889
; %bb.888:                              ;   in Loop: Header=BB48_3 Depth=1
	ds_load_b64 v[32:33], v55 offset:27056
	s_wait_dscnt 0x0
	ds_store_b64 v52, v[32:33] offset:28064
	ds_load_b64 v[32:33], v55 offset:27064
	s_wait_dscnt 0x0
	ds_store_b64 v52, v[32:33] offset:28576
.LBB48_889:                             ;   in Loop: Header=BB48_3 Depth=1
	s_or_b32 exec_lo, exec_lo, s50
	s_wait_dscnt 0x0
	s_barrier_signal -1
	s_barrier_wait -1
	s_and_saveexec_b32 s50, s14
	s_cbranch_execz .LBB48_891
; %bb.890:                              ;   in Loop: Header=BB48_3 Depth=1
	ds_load_b128 v[32:35], v5 offset:28080
	ds_load_b64 v[36:37], v5 offset:28600
	s_wait_dscnt 0x0
	v_mul_f64_e32 v[32:33], v[32:33], v[36:37]
	s_delay_alu instid0(VALU_DEP_1)
	v_mul_f64_e32 v[32:33], v[34:35], v[32:33]
	v_add_nc_u32_e64 v34, 0x6800, 0
	ds_store_2addr_b64 v34, v[32:33], v[32:33] offset0:183 offset1:246
.LBB48_891:                             ;   in Loop: Header=BB48_3 Depth=1
	s_or_b32 exec_lo, exec_lo, s50
	v_mov_b64_e32 v[32:33], 0
	s_wait_dscnt 0x0
	s_barrier_signal -1
	s_barrier_wait -1
	s_and_saveexec_b32 s65, s3
	s_cbranch_execz .LBB48_901
; %bb.892:                              ;   in Loop: Header=BB48_3 Depth=1
	ds_load_b64 v[32:33], v57 offset:25024
	ds_load_b64 v[34:35], v53 offset:24960
	s_wait_dscnt 0x0
	v_fma_f64 v[32:33], v[32:33], v[34:35], 0
	s_and_saveexec_b32 s50, s18
	s_cbranch_execnz .LBB48_1141
; %bb.893:                              ;   in Loop: Header=BB48_3 Depth=1
	s_or_b32 exec_lo, exec_lo, s50
	s_and_saveexec_b32 s50, s19
	s_cbranch_execnz .LBB48_1142
.LBB48_894:                             ;   in Loop: Header=BB48_3 Depth=1
	s_or_b32 exec_lo, exec_lo, s50
	s_and_saveexec_b32 s50, s20
	s_cbranch_execnz .LBB48_1143
.LBB48_895:                             ;   in Loop: Header=BB48_3 Depth=1
	s_or_b32 exec_lo, exec_lo, s50
	s_and_saveexec_b32 s50, s21
	s_cbranch_execnz .LBB48_1144
.LBB48_896:                             ;   in Loop: Header=BB48_3 Depth=1
	s_or_b32 exec_lo, exec_lo, s50
	s_and_saveexec_b32 s50, s22
	s_cbranch_execnz .LBB48_1145
.LBB48_897:                             ;   in Loop: Header=BB48_3 Depth=1
	s_or_b32 exec_lo, exec_lo, s50
	s_and_saveexec_b32 s50, s2
	s_cbranch_execnz .LBB48_1146
.LBB48_898:                             ;   in Loop: Header=BB48_3 Depth=1
	s_or_b32 exec_lo, exec_lo, s50
	s_and_saveexec_b32 s50, s17
	s_cbranch_execz .LBB48_900
.LBB48_899:                             ;   in Loop: Header=BB48_3 Depth=1
	ds_load_b64 v[34:35], v59 offset:28608
	ds_load_b64 v[36:37], v5 offset:25016
	s_wait_dscnt 0x0
	v_fmac_f64_e32 v[32:33], v[34:35], v[36:37]
.LBB48_900:                             ;   in Loop: Header=BB48_3 Depth=1
	s_or_b32 exec_lo, exec_lo, s50
	s_delay_alu instid0(VALU_DEP_1)
	v_xor_b32_e32 v33, 0x80000000, v33
.LBB48_901:                             ;   in Loop: Header=BB48_3 Depth=1
	s_or_b32 exec_lo, exec_lo, s65
	s_and_saveexec_b32 s50, s104
	s_cbranch_execz .LBB48_903
; %bb.902:                              ;   in Loop: Header=BB48_3 Depth=1
	ds_load_b64 v[34:35], v5 offset:29120
	s_wait_dscnt 0x0
	v_mul_f64_e32 v[32:33], v[32:33], v[34:35]
	ds_store_b64 v56, v[32:33]
.LBB48_903:                             ;   in Loop: Header=BB48_3 Depth=1
	s_or_b32 exec_lo, exec_lo, s50
	s_wait_dscnt 0x0
	s_barrier_signal -1
	s_barrier_wait -1
	s_and_saveexec_b32 s50, vcc_hi
	s_cbranch_execz .LBB48_905
; %bb.904:                              ;   in Loop: Header=BB48_3 Depth=1
	ds_load_b64 v[34:35], v54 offset:29120
	ds_load_b64 v[36:37], v56
	s_wait_dscnt 0x0
	v_fmac_f64_e32 v[32:33], v[34:35], v[36:37]
.LBB48_905:                             ;   in Loop: Header=BB48_3 Depth=1
	s_or_b32 exec_lo, exec_lo, s50
	s_barrier_signal -1
	s_barrier_wait -1
	s_and_saveexec_b32 s50, s36
	s_cbranch_execz .LBB48_907
; %bb.906:                              ;   in Loop: Header=BB48_3 Depth=1
	ds_load_b64 v[34:35], v5 offset:29640
	s_wait_dscnt 0x0
	v_mul_f64_e32 v[32:33], v[32:33], v[34:35]
	ds_store_b64 v56, v[32:33]
.LBB48_907:                             ;   in Loop: Header=BB48_3 Depth=1
	s_or_b32 exec_lo, exec_lo, s50
	s_wait_dscnt 0x0
	s_barrier_signal -1
	s_barrier_wait -1
	s_and_saveexec_b32 s50, s37
	s_cbranch_execz .LBB48_909
; %bb.908:                              ;   in Loop: Header=BB48_3 Depth=1
	ds_load_b64 v[34:35], v54 offset:29632
	ds_load_b64 v[36:37], v56
	s_wait_dscnt 0x0
	v_fmac_f64_e32 v[32:33], v[34:35], v[36:37]
.LBB48_909:                             ;   in Loop: Header=BB48_3 Depth=1
	s_or_b32 exec_lo, exec_lo, s50
	s_barrier_signal -1
	s_barrier_wait -1
	s_and_saveexec_b32 s50, s38
	s_cbranch_execz .LBB48_911
; %bb.910:                              ;   in Loop: Header=BB48_3 Depth=1
	ds_load_b64 v[34:35], v5 offset:30160
	s_wait_dscnt 0x0
	v_mul_f64_e32 v[32:33], v[32:33], v[34:35]
	ds_store_b64 v56, v[32:33]
.LBB48_911:                             ;   in Loop: Header=BB48_3 Depth=1
	s_or_b32 exec_lo, exec_lo, s50
	s_wait_dscnt 0x0
	s_barrier_signal -1
	s_barrier_wait -1
	s_and_saveexec_b32 s50, s39
	;; [unrolled: 23-line block ×6, first 2 shown]
	s_cbranch_execz .LBB48_929
; %bb.928:                              ;   in Loop: Header=BB48_3 Depth=1
	ds_load_b64 v[34:35], v5 offset:32248
	ds_load_b64 v[36:37], v56
	s_wait_dscnt 0x0
	v_fmac_f64_e32 v[32:33], v[34:35], v[36:37]
.LBB48_929:                             ;   in Loop: Header=BB48_3 Depth=1
	s_or_b32 exec_lo, exec_lo, s50
	s_barrier_signal -1
	s_barrier_wait -1
	s_and_saveexec_b32 s50, s47
	s_cbranch_execz .LBB48_931
; %bb.930:                              ;   in Loop: Header=BB48_3 Depth=1
	ds_load_b64 v[34:35], v5 offset:32760
	s_wait_dscnt 0x0
	v_mul_f64_e32 v[32:33], v[32:33], v[34:35]
	ds_store_b64 v56, v[32:33]
.LBB48_931:                             ;   in Loop: Header=BB48_3 Depth=1
	s_or_b32 exec_lo, exec_lo, s50
	s_wait_dscnt 0x0
	s_barrier_signal -1
	s_barrier_wait -1
	s_barrier_signal -1
	s_barrier_wait -1
	s_and_saveexec_b32 s50, s3
; %bb.932:                              ;   in Loop: Header=BB48_3 Depth=1
	s_delay_alu instid0(VALU_DEP_1)
	v_xor_b32_e32 v33, 0x80000000, v33
	ds_store_b64 v57, v[32:33] offset:25024
; %bb.933:                              ;   in Loop: Header=BB48_3 Depth=1
	s_or_b32 exec_lo, exec_lo, s50
	s_wait_dscnt 0x0
	s_barrier_signal -1
	s_barrier_wait -1
	s_barrier_signal -1
	s_barrier_wait -1
	s_and_saveexec_b32 s50, s48
	s_cbranch_execz .LBB48_935
; %bb.934:                              ;   in Loop: Header=BB48_3 Depth=1
	ds_load_b64 v[32:33], v68 offset:25024
	s_wait_dscnt 0x0
	ds_store_b64 v69, v[32:33] offset:29056
	ds_load_b64 v[32:33], v68 offset:25032
	s_wait_dscnt 0x0
	ds_store_b64 v69, v[32:33] offset:29568
	;; [unrolled: 3-line block ×8, first 2 shown]
.LBB48_935:                             ;   in Loop: Header=BB48_3 Depth=1
	s_or_b32 exec_lo, exec_lo, s50
	s_wait_dscnt 0x0
	s_barrier_signal -1
	s_barrier_wait -1
	s_and_saveexec_b32 s50, s14
	s_cbranch_execz .LBB48_937
; %bb.936:                              ;   in Loop: Header=BB48_3 Depth=1
	ds_load_b128 v[32:35], v5 offset:29120
	ds_load_b64 v[36:37], v5 offset:29640
	s_wait_dscnt 0x0
	v_mul_f64_e32 v[32:33], v[32:33], v[36:37]
	s_delay_alu instid0(VALU_DEP_1)
	v_mul_f64_e32 v[32:33], v[34:35], v[32:33]
	v_add_nc_u32_e64 v34, 0x7000, 0
	ds_store_2addr_b64 v34, v[32:33], v[32:33] offset0:57 offset1:120
.LBB48_937:                             ;   in Loop: Header=BB48_3 Depth=1
	s_or_b32 exec_lo, exec_lo, s50
	v_mov_b64_e32 v[32:33], 0
	s_wait_dscnt 0x0
	s_barrier_signal -1
	s_barrier_wait -1
	s_and_saveexec_b32 s50, s0
	s_cbranch_execz .LBB48_941
; %bb.938:                              ;   in Loop: Header=BB48_3 Depth=1
	ds_load_b64 v[32:33], v41 offset:29136
	ds_load_b64 v[34:35], v42 offset:29120
	s_wait_dscnt 0x0
	v_fma_f64 v[32:33], v[32:33], v[34:35], 0
	s_and_saveexec_b32 s51, s15
	s_cbranch_execz .LBB48_940
; %bb.939:                              ;   in Loop: Header=BB48_3 Depth=1
	ds_load_b64 v[34:35], v69 offset:29648
	ds_load_b64 v[36:37], v5 offset:29128
	s_wait_dscnt 0x0
	v_fmac_f64_e32 v[32:33], v[34:35], v[36:37]
.LBB48_940:                             ;   in Loop: Header=BB48_3 Depth=1
	s_or_b32 exec_lo, exec_lo, s51
	s_delay_alu instid0(VALU_DEP_1)
	v_xor_b32_e32 v33, 0x80000000, v33
.LBB48_941:                             ;   in Loop: Header=BB48_3 Depth=1
	s_or_b32 exec_lo, exec_lo, s50
	s_and_saveexec_b32 s50, s94
	s_cbranch_execz .LBB48_943
; %bb.942:                              ;   in Loop: Header=BB48_3 Depth=1
	ds_load_b64 v[34:35], v5 offset:30160
	s_wait_dscnt 0x0
	v_mul_f64_e32 v[32:33], v[32:33], v[34:35]
	ds_store_b64 v3, v[32:33]
.LBB48_943:                             ;   in Loop: Header=BB48_3 Depth=1
	s_or_b32 exec_lo, exec_lo, s50
	s_wait_dscnt 0x0
	s_barrier_signal -1
	s_barrier_wait -1
	s_and_saveexec_b32 s50, s95
	s_cbranch_execz .LBB48_945
; %bb.944:                              ;   in Loop: Header=BB48_3 Depth=1
	ds_load_b64 v[34:35], v5 offset:30168
	ds_load_b64 v[36:37], v3
	s_wait_dscnt 0x0
	v_fmac_f64_e32 v[32:33], v[34:35], v[36:37]
.LBB48_945:                             ;   in Loop: Header=BB48_3 Depth=1
	s_or_b32 exec_lo, exec_lo, s50
	s_barrier_signal -1
	s_barrier_wait -1
	s_and_saveexec_b32 s50, s95
	s_cbranch_execz .LBB48_947
; %bb.946:                              ;   in Loop: Header=BB48_3 Depth=1
	ds_load_b64 v[34:35], v5 offset:30680
	s_wait_dscnt 0x0
	v_mul_f64_e32 v[32:33], v[32:33], v[34:35]
	ds_store_b64 v3, v[32:33]
.LBB48_947:                             ;   in Loop: Header=BB48_3 Depth=1
	s_or_b32 exec_lo, exec_lo, s50
	s_wait_dscnt 0x0
	s_barrier_signal -1
	s_barrier_wait -1
	s_barrier_signal -1
	s_barrier_wait -1
	s_and_saveexec_b32 s50, s0
; %bb.948:                              ;   in Loop: Header=BB48_3 Depth=1
	s_delay_alu instid0(VALU_DEP_1)
	v_xor_b32_e32 v33, 0x80000000, v33
	ds_store_b64 v41, v[32:33] offset:29136
; %bb.949:                              ;   in Loop: Header=BB48_3 Depth=1
	s_or_b32 exec_lo, exec_lo, s50
	s_wait_dscnt 0x0
	s_barrier_signal -1
	s_barrier_wait -1
	s_barrier_signal -1
	s_barrier_wait -1
	s_and_saveexec_b32 s50, s96
	s_cbranch_execz .LBB48_951
; %bb.950:                              ;   in Loop: Header=BB48_3 Depth=1
	ds_load_b64 v[32:33], v70 offset:29136
	s_wait_dscnt 0x0
	ds_store_b64 v69, v[32:33] offset:30144
	ds_load_b64 v[32:33], v70 offset:29144
	s_wait_dscnt 0x0
	ds_store_b64 v69, v[32:33] offset:30656
.LBB48_951:                             ;   in Loop: Header=BB48_3 Depth=1
	s_or_b32 exec_lo, exec_lo, s50
	s_wait_dscnt 0x0
	s_barrier_signal -1
	s_barrier_wait -1
	s_and_saveexec_b32 s50, s14
	s_cbranch_execz .LBB48_953
; %bb.952:                              ;   in Loop: Header=BB48_3 Depth=1
	ds_load_b128 v[32:35], v5 offset:30160
	ds_load_b64 v[36:37], v5 offset:30680
	s_wait_dscnt 0x0
	v_mul_f64_e32 v[32:33], v[32:33], v[36:37]
	s_delay_alu instid0(VALU_DEP_1)
	v_mul_f64_e32 v[32:33], v[34:35], v[32:33]
	v_add_nc_u32_e64 v34, 0x7000, 0
	ds_store_2addr_b64 v34, v[32:33], v[32:33] offset0:187 offset1:250
.LBB48_953:                             ;   in Loop: Header=BB48_3 Depth=1
	s_or_b32 exec_lo, exec_lo, s50
	v_mov_b64_e32 v[32:33], 0
	s_wait_dscnt 0x0
	s_barrier_signal -1
	s_barrier_wait -1
	s_and_saveexec_b32 s65, s2
	s_cbranch_execz .LBB48_959
; %bb.954:                              ;   in Loop: Header=BB48_3 Depth=1
	ds_load_b64 v[32:33], v48 offset:29152
	ds_load_b64 v[34:35], v44 offset:29120
	s_wait_dscnt 0x0
	v_fma_f64 v[32:33], v[32:33], v[34:35], 0
	s_and_saveexec_b32 s50, s16
	s_cbranch_execnz .LBB48_1147
; %bb.955:                              ;   in Loop: Header=BB48_3 Depth=1
	s_or_b32 exec_lo, exec_lo, s50
	s_and_saveexec_b32 s50, s17
	s_cbranch_execnz .LBB48_1148
.LBB48_956:                             ;   in Loop: Header=BB48_3 Depth=1
	s_or_b32 exec_lo, exec_lo, s50
	s_and_saveexec_b32 s50, s0
	s_cbranch_execz .LBB48_958
.LBB48_957:                             ;   in Loop: Header=BB48_3 Depth=1
	ds_load_b64 v[34:35], v71 offset:30688
	ds_load_b64 v[36:37], v5 offset:29144
	s_wait_dscnt 0x0
	v_fmac_f64_e32 v[32:33], v[34:35], v[36:37]
.LBB48_958:                             ;   in Loop: Header=BB48_3 Depth=1
	s_or_b32 exec_lo, exec_lo, s50
	s_delay_alu instid0(VALU_DEP_1)
	v_xor_b32_e32 v33, 0x80000000, v33
.LBB48_959:                             ;   in Loop: Header=BB48_3 Depth=1
	s_or_b32 exec_lo, exec_lo, s65
	s_and_saveexec_b32 s50, s97
	s_cbranch_execz .LBB48_961
; %bb.960:                              ;   in Loop: Header=BB48_3 Depth=1
	ds_load_b64 v[34:35], v5 offset:31200
	s_wait_dscnt 0x0
	v_mul_f64_e32 v[32:33], v[32:33], v[34:35]
	ds_store_b64 v47, v[32:33]
.LBB48_961:                             ;   in Loop: Header=BB48_3 Depth=1
	s_or_b32 exec_lo, exec_lo, s50
	s_wait_dscnt 0x0
	s_barrier_signal -1
	s_barrier_wait -1
	s_and_saveexec_b32 s50, s98
	s_cbranch_execz .LBB48_963
; %bb.962:                              ;   in Loop: Header=BB48_3 Depth=1
	ds_load_b64 v[34:35], v45 offset:31200
	ds_load_b64 v[36:37], v47
	s_wait_dscnt 0x0
	v_fmac_f64_e32 v[32:33], v[34:35], v[36:37]
.LBB48_963:                             ;   in Loop: Header=BB48_3 Depth=1
	s_or_b32 exec_lo, exec_lo, s50
	s_barrier_signal -1
	s_barrier_wait -1
	s_and_saveexec_b32 s50, s99
	s_cbranch_execz .LBB48_965
; %bb.964:                              ;   in Loop: Header=BB48_3 Depth=1
	ds_load_b64 v[34:35], v5 offset:31720
	s_wait_dscnt 0x0
	v_mul_f64_e32 v[32:33], v[32:33], v[34:35]
	ds_store_b64 v47, v[32:33]
.LBB48_965:                             ;   in Loop: Header=BB48_3 Depth=1
	s_or_b32 exec_lo, exec_lo, s50
	s_wait_dscnt 0x0
	s_barrier_signal -1
	s_barrier_wait -1
	s_and_saveexec_b32 s50, s100
	s_cbranch_execz .LBB48_967
; %bb.966:                              ;   in Loop: Header=BB48_3 Depth=1
	ds_load_b64 v[34:35], v45 offset:31712
	ds_load_b64 v[36:37], v47
	s_wait_dscnt 0x0
	v_fmac_f64_e32 v[32:33], v[34:35], v[36:37]
.LBB48_967:                             ;   in Loop: Header=BB48_3 Depth=1
	s_or_b32 exec_lo, exec_lo, s50
	s_barrier_signal -1
	s_barrier_wait -1
	;; [unrolled: 23-line block ×3, first 2 shown]
	s_and_saveexec_b32 s50, s102
	s_cbranch_execz .LBB48_973
; %bb.972:                              ;   in Loop: Header=BB48_3 Depth=1
	ds_load_b64 v[34:35], v5 offset:32760
	s_wait_dscnt 0x0
	v_mul_f64_e32 v[32:33], v[32:33], v[34:35]
	ds_store_b64 v47, v[32:33]
.LBB48_973:                             ;   in Loop: Header=BB48_3 Depth=1
	s_or_b32 exec_lo, exec_lo, s50
	s_wait_dscnt 0x0
	s_barrier_signal -1
	s_barrier_wait -1
	s_barrier_signal -1
	s_barrier_wait -1
	s_and_saveexec_b32 s50, s2
; %bb.974:                              ;   in Loop: Header=BB48_3 Depth=1
	s_delay_alu instid0(VALU_DEP_1)
	v_xor_b32_e32 v33, 0x80000000, v33
	ds_store_b64 v48, v[32:33] offset:29152
; %bb.975:                              ;   in Loop: Header=BB48_3 Depth=1
	s_or_b32 exec_lo, exec_lo, s50
	s_wait_dscnt 0x0
	s_barrier_signal -1
	s_barrier_wait -1
	s_barrier_signal -1
	s_barrier_wait -1
	s_and_saveexec_b32 s50, s103
	s_cbranch_execz .LBB48_977
; %bb.976:                              ;   in Loop: Header=BB48_3 Depth=1
	ds_load_b64 v[32:33], v74 offset:29152
	s_wait_dscnt 0x0
	ds_store_b64 v77, v[32:33] offset:31168
	ds_load_b64 v[32:33], v74 offset:29160
	s_wait_dscnt 0x0
	ds_store_b64 v77, v[32:33] offset:31680
	;; [unrolled: 3-line block ×4, first 2 shown]
.LBB48_977:                             ;   in Loop: Header=BB48_3 Depth=1
	s_or_b32 exec_lo, exec_lo, s50
	s_wait_dscnt 0x0
	s_barrier_signal -1
	s_barrier_wait -1
	s_and_saveexec_b32 s50, s14
	s_cbranch_execz .LBB48_979
; %bb.978:                              ;   in Loop: Header=BB48_3 Depth=1
	ds_load_b128 v[32:35], v5 offset:31200
	ds_load_b64 v[36:37], v5 offset:31720
	s_wait_dscnt 0x0
	v_mul_f64_e32 v[32:33], v[32:33], v[36:37]
	s_delay_alu instid0(VALU_DEP_1)
	v_mul_f64_e32 v[32:33], v[34:35], v[32:33]
	v_add_nc_u32_e64 v34, 0x7800, 0
	ds_store_2addr_b64 v34, v[32:33], v[32:33] offset0:61 offset1:124
.LBB48_979:                             ;   in Loop: Header=BB48_3 Depth=1
	s_or_b32 exec_lo, exec_lo, s50
	v_mov_b64_e32 v[32:33], 0
	s_wait_dscnt 0x0
	s_barrier_signal -1
	s_barrier_wait -1
	s_and_saveexec_b32 s50, s0
	s_cbranch_execz .LBB48_983
; %bb.980:                              ;   in Loop: Header=BB48_3 Depth=1
	ds_load_b64 v[32:33], v41 offset:31216
	ds_load_b64 v[34:35], v42 offset:31200
	s_wait_dscnt 0x0
	v_fma_f64 v[32:33], v[32:33], v[34:35], 0
	s_and_saveexec_b32 s51, s15
	s_cbranch_execz .LBB48_982
; %bb.981:                              ;   in Loop: Header=BB48_3 Depth=1
	ds_load_b64 v[34:35], v77 offset:31728
	ds_load_b64 v[36:37], v5 offset:31208
	s_wait_dscnt 0x0
	v_fmac_f64_e32 v[32:33], v[34:35], v[36:37]
.LBB48_982:                             ;   in Loop: Header=BB48_3 Depth=1
	s_or_b32 exec_lo, exec_lo, s51
	s_delay_alu instid0(VALU_DEP_1)
	v_xor_b32_e32 v33, 0x80000000, v33
.LBB48_983:                             ;   in Loop: Header=BB48_3 Depth=1
	s_or_b32 exec_lo, exec_lo, s50
	s_and_saveexec_b32 s50, s94
	s_cbranch_execz .LBB48_985
; %bb.984:                              ;   in Loop: Header=BB48_3 Depth=1
	ds_load_b64 v[34:35], v5 offset:32240
	s_wait_dscnt 0x0
	v_mul_f64_e32 v[32:33], v[32:33], v[34:35]
	ds_store_b64 v3, v[32:33]
.LBB48_985:                             ;   in Loop: Header=BB48_3 Depth=1
	s_or_b32 exec_lo, exec_lo, s50
	s_wait_dscnt 0x0
	s_barrier_signal -1
	s_barrier_wait -1
	s_and_saveexec_b32 s50, s95
	s_cbranch_execz .LBB48_987
; %bb.986:                              ;   in Loop: Header=BB48_3 Depth=1
	ds_load_b64 v[34:35], v5 offset:32248
	ds_load_b64 v[36:37], v3
	s_wait_dscnt 0x0
	v_fmac_f64_e32 v[32:33], v[34:35], v[36:37]
.LBB48_987:                             ;   in Loop: Header=BB48_3 Depth=1
	s_or_b32 exec_lo, exec_lo, s50
	s_barrier_signal -1
	s_barrier_wait -1
	s_and_saveexec_b32 s50, s95
	s_cbranch_execz .LBB48_989
; %bb.988:                              ;   in Loop: Header=BB48_3 Depth=1
	ds_load_b64 v[34:35], v5 offset:32760
	s_wait_dscnt 0x0
	v_mul_f64_e32 v[32:33], v[32:33], v[34:35]
	ds_store_b64 v3, v[32:33]
.LBB48_989:                             ;   in Loop: Header=BB48_3 Depth=1
	s_or_b32 exec_lo, exec_lo, s50
	s_wait_dscnt 0x0
	s_barrier_signal -1
	s_barrier_wait -1
	s_barrier_signal -1
	s_barrier_wait -1
	s_and_saveexec_b32 s50, s0
; %bb.990:                              ;   in Loop: Header=BB48_3 Depth=1
	s_delay_alu instid0(VALU_DEP_1)
	v_xor_b32_e32 v33, 0x80000000, v33
	ds_store_b64 v41, v[32:33] offset:31216
; %bb.991:                              ;   in Loop: Header=BB48_3 Depth=1
	s_or_b32 exec_lo, exec_lo, s50
	s_wait_dscnt 0x0
	s_barrier_signal -1
	s_barrier_wait -1
	s_barrier_signal -1
	s_barrier_wait -1
	s_and_saveexec_b32 s50, s96
	s_cbranch_execz .LBB48_993
; %bb.992:                              ;   in Loop: Header=BB48_3 Depth=1
	ds_load_b64 v[32:33], v78 offset:31216
	s_wait_dscnt 0x0
	ds_store_b64 v77, v[32:33] offset:32224
	ds_load_b64 v[32:33], v78 offset:31224
	s_wait_dscnt 0x0
	ds_store_b64 v77, v[32:33] offset:32736
.LBB48_993:                             ;   in Loop: Header=BB48_3 Depth=1
	s_or_b32 exec_lo, exec_lo, s50
	s_wait_dscnt 0x0
	s_barrier_signal -1
	s_barrier_wait -1
	s_and_saveexec_b32 s50, s14
	s_cbranch_execz .LBB48_995
; %bb.994:                              ;   in Loop: Header=BB48_3 Depth=1
	ds_load_b128 v[32:35], v5 offset:32240
	ds_load_b64 v[36:37], v5 offset:32760
	s_wait_dscnt 0x0
	v_mul_f64_e32 v[32:33], v[32:33], v[36:37]
	s_delay_alu instid0(VALU_DEP_1)
	v_mul_f64_e32 v[32:33], v[34:35], v[32:33]
	v_add_nc_u32_e64 v34, 0x7800, 0
	ds_store_2addr_b64 v34, v[32:33], v[32:33] offset0:191 offset1:254
.LBB48_995:                             ;   in Loop: Header=BB48_3 Depth=1
	s_or_b32 exec_lo, exec_lo, s50
.LBB48_996:                             ;   in Loop: Header=BB48_3 Depth=1
	v_readlane_b32 s52, v98, 4
	v_mov_b64_e32 v[32:33], 0
	v_readlane_b32 s53, v98, 5
	s_mul_u64 s[50:51], s[76:77], s[80:81]
	s_wait_dscnt 0x0
	s_lshl_b64 s[50:51], s[50:51], 3
	s_barrier_signal -1
	s_add_nc_u64 s[84:85], s[52:53], s[50:51]
	s_barrier_wait -1
	s_and_saveexec_b32 s50, s71
	s_cbranch_execz .LBB48_998
; %bb.997:                              ;   in Loop: Header=BB48_3 Depth=1
	v_lshl_add_u64 v[32:33], v[0:1], 3, s[84:85]
	global_load_b64 v[32:33], v[32:33], off
	s_wait_loadcnt 0x0
	v_mul_f64_e64 v[32:33], v[32:33], -s[68:69]
.LBB48_998:                             ;   in Loop: Header=BB48_3 Depth=1
	s_or_b32 exec_lo, exec_lo, s50
	s_delay_alu instid0(SALU_CYCLE_1)
	s_and_not1_b32 vcc_lo, exec_lo, s88
	s_cbranch_vccnz .LBB48_1024
; %bb.999:                              ;   in Loop: Header=BB48_3 Depth=1
	v_mov_b32_e32 v92, -1
	s_lshl_b64 s[50:51], s[80:81], 2
	s_mov_b32 s65, 0
	s_add_nc_u64 s[86:87], s[78:79], s[50:51]
	s_branch .LBB48_1002
.LBB48_1000:                            ;   in Loop: Header=BB48_1002 Depth=2
	s_wait_xcnt 0x0
	ds_load_b64 v[34:35], v79 offset:384
	s_wait_loadcnt_dscnt 0x0
	v_fmac_f64_e32 v[32:33], v[36:37], v[34:35]
.LBB48_1001:                            ;   in Loop: Header=BB48_1002 Depth=2
	s_or_b32 exec_lo, exec_lo, s50
	s_add_co_i32 s65, s65, 1
	s_delay_alu instid0(SALU_CYCLE_1)
	s_cmp_eq_u32 s65, s89
	s_cbranch_scc1 .LBB48_1024
.LBB48_1002:                            ;   Parent Loop BB48_3 Depth=1
                                        ; =>  This Loop Header: Depth=2
                                        ;       Child Loop BB48_1004 Depth 3
	v_cmp_gt_i32_e32 vcc_lo, s65, v92
	s_and_b32 s51, s59, vcc_lo
	s_delay_alu instid0(SALU_CYCLE_1)
	s_and_saveexec_b32 s50, s51
	s_cbranch_execz .LBB48_1005
; %bb.1003:                             ;   in Loop: Header=BB48_1002 Depth=2
	global_load_b32 v92, v5, s[86:87]
	s_wait_loadcnt 0x0
	v_cmp_le_i32_e32 vcc_lo, s65, v92
	s_cbranch_vccnz .LBB48_1005
.LBB48_1004:                            ;   Parent Loop BB48_3 Depth=1
                                        ;     Parent Loop BB48_1002 Depth=2
                                        ; =>    This Inner Loop Header: Depth=3
	global_wb scope:SCOPE_DEV
	s_wait_storecnt 0x0
	global_inv scope:SCOPE_DEV
	global_load_b32 v92, v5, s[86:87]
	s_wait_loadcnt 0x0
	v_cmp_gt_i32_e32 vcc_lo, s65, v92
	s_cbranch_vccnz .LBB48_1004
.LBB48_1005:                            ;   in Loop: Header=BB48_1002 Depth=2
	s_or_b32 exec_lo, exec_lo, s50
	s_sub_co_i32 s50, s90, s65
	global_wb scope:SCOPE_DEV
	s_wait_storecnt 0x0
	global_inv scope:SCOPE_DEV
	s_lshl_b32 s51, s50, 6
	s_wait_loadcnt 0x0
	s_barrier_signal -1
	s_barrier_wait -1
	s_and_saveexec_b32 s52, s60
	s_cbranch_execz .LBB48_1009
; %bb.1006:                             ;   in Loop: Header=BB48_1002 Depth=2
	s_ashr_i32 s53, s51, 31
	v_mov_b64_e32 v[36:37], 0
	v_dual_mov_b32 v35, s53 :: v_dual_bitop2_b32 v34, s51, v4 bitop3:0x54
	s_mov_b32 s53, exec_lo
	s_delay_alu instid0(VALU_DEP_1)
	v_cmpx_gt_i64_e64 s[82:83], v[34:35]
	s_cbranch_execz .LBB48_1008
; %bb.1007:                             ;   in Loop: Header=BB48_1002 Depth=2
	v_mul_u64_e32 v[34:35], s[74:75], v[34:35]
	s_delay_alu instid0(VALU_DEP_1)
	v_lshl_add_u64 v[34:35], v[34:35], 3, s[84:85]
	global_load_b64 v[36:37], v[34:35], off
.LBB48_1008:                            ;   in Loop: Header=BB48_1002 Depth=2
	s_wait_xcnt 0x0
	s_or_b32 exec_lo, exec_lo, s53
	s_wait_loadcnt 0x0
	ds_store_b64 v84, v[36:37]
.LBB48_1009:                            ;   in Loop: Header=BB48_1002 Depth=2
	s_or_b32 exec_lo, exec_lo, s52
	v_add_nc_u32_e32 v36, s51, v40
	s_cmp_lg_u32 s50, s49
	s_wait_dscnt 0x0
	s_cselect_b32 s51, -1, 0
	s_barrier_signal -1
	v_ashrrev_i32_e32 v37, 31, v36
	v_cmp_gt_i32_e32 vcc_lo, s82, v36
	s_barrier_wait -1
	s_delay_alu instid0(VALU_DEP_2) | instskip(SKIP_2) | instid1(SALU_CYCLE_1)
	v_lshl_add_u64 v[34:35], v[36:37], 3, v[30:31]
	v_cndmask_b32_e64 v37, 0, 1, s51
	s_and_b32 s52, vcc_lo, s5
	s_and_saveexec_b32 s50, s52
	s_cbranch_execz .LBB48_1013
; %bb.1010:                             ;   in Loop: Header=BB48_1002 Depth=2
	v_mov_b64_e32 v[38:39], v[22:23]
	s_and_not1_b32 vcc_lo, exec_lo, s51
	s_cbranch_vccnz .LBB48_1012
; %bb.1011:                             ;   in Loop: Header=BB48_1002 Depth=2
	global_load_b64 v[38:39], v[34:35], off
.LBB48_1012:                            ;   in Loop: Header=BB48_1002 Depth=2
	ds_load_b64 v[94:95], v79
	s_wait_loadcnt_dscnt 0x0
	v_fmac_f64_e32 v[32:33], v[38:39], v[94:95]
.LBB48_1013:                            ;   in Loop: Header=BB48_1002 Depth=2
	s_or_b32 exec_lo, exec_lo, s50
	v_add_nc_u32_e32 v38, 16, v36
	s_delay_alu instid0(VALU_DEP_1) | instskip(SKIP_1) | instid1(SALU_CYCLE_1)
	v_cmp_gt_i32_e32 vcc_lo, s82, v38
	s_and_b32 s51, vcc_lo, s5
	s_and_saveexec_b32 s50, s51
	s_cbranch_execz .LBB48_1017
; %bb.1014:                             ;   in Loop: Header=BB48_1002 Depth=2
	v_cmp_ne_u32_e32 vcc_lo, 1, v37
	v_mov_b64_e32 v[38:39], v[24:25]
	s_cbranch_vccnz .LBB48_1016
; %bb.1015:                             ;   in Loop: Header=BB48_1002 Depth=2
	global_load_b64 v[38:39], v[34:35], off offset:128
.LBB48_1016:                            ;   in Loop: Header=BB48_1002 Depth=2
	ds_load_b64 v[94:95], v79 offset:128
	s_wait_loadcnt_dscnt 0x0
	v_fmac_f64_e32 v[32:33], v[38:39], v[94:95]
.LBB48_1017:                            ;   in Loop: Header=BB48_1002 Depth=2
	s_or_b32 exec_lo, exec_lo, s50
	v_add_nc_u32_e32 v38, 32, v36
	s_delay_alu instid0(VALU_DEP_1) | instskip(SKIP_1) | instid1(SALU_CYCLE_1)
	v_cmp_gt_i32_e32 vcc_lo, s82, v38
	s_and_b32 s51, vcc_lo, s5
	s_and_saveexec_b32 s50, s51
	s_cbranch_execz .LBB48_1021
; %bb.1018:                             ;   in Loop: Header=BB48_1002 Depth=2
	v_cmp_ne_u32_e32 vcc_lo, 1, v37
	v_mov_b64_e32 v[38:39], v[26:27]
	s_cbranch_vccnz .LBB48_1020
; %bb.1019:                             ;   in Loop: Header=BB48_1002 Depth=2
	global_load_b64 v[38:39], v[34:35], off offset:256
.LBB48_1020:                            ;   in Loop: Header=BB48_1002 Depth=2
	ds_load_b64 v[94:95], v79 offset:256
	s_wait_loadcnt_dscnt 0x0
	v_fmac_f64_e32 v[32:33], v[38:39], v[94:95]
.LBB48_1021:                            ;   in Loop: Header=BB48_1002 Depth=2
	s_or_b32 exec_lo, exec_lo, s50
	v_add_nc_u32_e32 v36, 48, v36
	s_delay_alu instid0(VALU_DEP_1) | instskip(SKIP_1) | instid1(SALU_CYCLE_1)
	v_cmp_gt_i32_e32 vcc_lo, s82, v36
	s_and_b32 s51, vcc_lo, s5
	s_and_saveexec_b32 s50, s51
	s_cbranch_execz .LBB48_1001
; %bb.1022:                             ;   in Loop: Header=BB48_1002 Depth=2
	v_cmp_ne_u32_e32 vcc_lo, 1, v37
	v_mov_b64_e32 v[36:37], v[28:29]
	s_cbranch_vccnz .LBB48_1000
; %bb.1023:                             ;   in Loop: Header=BB48_1002 Depth=2
	global_load_b64 v[36:37], v[34:35], off offset:384
	s_branch .LBB48_1000
.LBB48_1024:                            ;   in Loop: Header=BB48_3 Depth=1
	ds_store_b64 v85, v[32:33]
	s_wait_dscnt 0x0
	s_barrier_signal -1
	s_barrier_wait -1
	s_and_saveexec_b32 s65, s1
	s_cbranch_execz .LBB48_1026
; %bb.1025:                             ;   in Loop: Header=BB48_3 Depth=1
	ds_load_2addr_stride64_b64 v[34:37], v86 offset0:1 offset1:2
	ds_load_2addr_stride64_b64 v[92:95], v86 offset0:3 offset1:4
	s_wait_dscnt 0x1
	v_add_f64_e32 v[30:31], v[32:33], v[34:35]
	s_delay_alu instid0(VALU_DEP_1) | instskip(SKIP_1) | instid1(VALU_DEP_1)
	v_add_f64_e32 v[30:31], v[30:31], v[36:37]
	s_wait_dscnt 0x0
	v_add_f64_e32 v[30:31], v[30:31], v[92:93]
	s_delay_alu instid0(VALU_DEP_1) | instskip(SKIP_4) | instid1(VALU_DEP_1)
	v_add_f64_e32 v[38:39], v[30:31], v[94:95]
	ds_load_2addr_stride64_b64 v[30:33], v86 offset0:5 offset1:6
	ds_load_2addr_stride64_b64 v[34:37], v86 offset0:7 offset1:8
	s_wait_dscnt 0x1
	v_add_f64_e32 v[30:31], v[38:39], v[30:31]
	v_add_f64_e32 v[30:31], v[30:31], v[32:33]
	s_wait_dscnt 0x0
	s_delay_alu instid0(VALU_DEP_1) | instskip(NEXT) | instid1(VALU_DEP_1)
	v_add_f64_e32 v[30:31], v[30:31], v[34:35]
	v_add_f64_e32 v[38:39], v[30:31], v[36:37]
	ds_load_2addr_stride64_b64 v[30:33], v86 offset0:9 offset1:10
	ds_load_2addr_stride64_b64 v[34:37], v86 offset0:11 offset1:12
	s_wait_dscnt 0x1
	v_add_f64_e32 v[30:31], v[38:39], v[30:31]
	s_delay_alu instid0(VALU_DEP_1) | instskip(SKIP_1) | instid1(VALU_DEP_1)
	v_add_f64_e32 v[30:31], v[30:31], v[32:33]
	s_wait_dscnt 0x0
	v_add_f64_e32 v[30:31], v[30:31], v[34:35]
	s_delay_alu instid0(VALU_DEP_1) | instskip(SKIP_4) | instid1(VALU_DEP_1)
	v_add_f64_e32 v[34:35], v[30:31], v[36:37]
	ds_load_2addr_stride64_b64 v[30:33], v86 offset0:13 offset1:14
	ds_load_b64 v[36:37], v86 offset:7680
	s_wait_dscnt 0x1
	v_add_f64_e32 v[30:31], v[34:35], v[30:31]
	v_add_f64_e32 v[30:31], v[30:31], v[32:33]
	s_wait_dscnt 0x0
	s_delay_alu instid0(VALU_DEP_1) | instskip(NEXT) | instid1(VALU_DEP_1)
	v_add_f64_e32 v[30:31], v[30:31], v[36:37]
	v_xor_b32_e32 v31, 0x80000000, v31
	s_delay_alu instid0(VALU_DEP_2) | instskip(NEXT) | instid1(VALU_DEP_2)
	v_cndmask_b32_e64 v32, v30, 0, s70
	v_cndmask_b32_e64 v33, v31, 0, s70
.LBB48_1026:                            ;   in Loop: Header=BB48_3 Depth=1
	s_or_b32 exec_lo, exec_lo, s65
	s_delay_alu instid0(SALU_CYCLE_1)
	s_and_not1_b32 vcc_lo, exec_lo, s93
	s_cbranch_vccnz .LBB48_1036
; %bb.1027:                             ;   in Loop: Header=BB48_3 Depth=1
	s_and_saveexec_b32 s50, s1
; %bb.1028:                             ;   in Loop: Header=BB48_3 Depth=1
	ds_store_b64 v90, v[32:33]
; %bb.1029:                             ;   in Loop: Header=BB48_3 Depth=1
	s_or_b32 exec_lo, exec_lo, s50
	v_mov_b64_e32 v[30:31], 0
	s_wait_dscnt 0x0
	s_barrier_signal -1
	s_barrier_wait -1
	s_and_saveexec_b32 s50, s6
	s_cbranch_execnz .LBB48_1092
; %bb.1030:                             ;   in Loop: Header=BB48_3 Depth=1
	s_or_b32 exec_lo, exec_lo, s50
	s_and_saveexec_b32 s50, s7
	s_cbranch_execnz .LBB48_1093
.LBB48_1031:                            ;   in Loop: Header=BB48_3 Depth=1
	s_or_b32 exec_lo, exec_lo, s50
	s_and_saveexec_b32 s50, s8
	s_cbranch_execnz .LBB48_1094
.LBB48_1032:                            ;   in Loop: Header=BB48_3 Depth=1
	s_or_b32 exec_lo, exec_lo, s50
	s_and_saveexec_b32 s50, s9
	s_cbranch_execz .LBB48_1034
.LBB48_1033:                            ;   in Loop: Header=BB48_3 Depth=1
	ds_load_b64 v[34:35], v89 offset:24576
	ds_load_b64 v[36:37], v79 offset:384
	s_wait_dscnt 0x0
	v_fmac_f64_e32 v[30:31], v[34:35], v[36:37]
.LBB48_1034:                            ;   in Loop: Header=BB48_3 Depth=1
	s_or_b32 exec_lo, exec_lo, s50
	s_mov_b32 s65, 0
	s_mov_b32 s86, 0
	ds_store_b64 v85, v[30:31]
	s_wait_dscnt 0x0
	s_barrier_signal -1
	s_barrier_wait -1
                                        ; implicit-def: $vgpr34_vgpr35
	s_and_saveexec_b32 s87, s1
	s_cbranch_execz .LBB48_1095
; %bb.1035:                             ;   in Loop: Header=BB48_3 Depth=1
	ds_load_2addr_stride64_b64 v[34:37], v86 offset0:1 offset1:2
	ds_load_2addr_stride64_b64 v[92:95], v86 offset0:3 offset1:4
	s_mov_b32 s86, exec_lo
	s_wait_dscnt 0x1
	v_add_f64_e32 v[30:31], v[30:31], v[34:35]
	s_delay_alu instid0(VALU_DEP_1) | instskip(SKIP_1) | instid1(VALU_DEP_1)
	v_add_f64_e32 v[30:31], v[36:37], v[30:31]
	s_wait_dscnt 0x0
	v_add_f64_e32 v[30:31], v[92:93], v[30:31]
	s_delay_alu instid0(VALU_DEP_1) | instskip(SKIP_4) | instid1(VALU_DEP_1)
	v_add_f64_e32 v[30:31], v[94:95], v[30:31]
	ds_load_2addr_stride64_b64 v[34:37], v86 offset0:5 offset1:6
	ds_load_2addr_stride64_b64 v[92:95], v86 offset0:7 offset1:8
	s_wait_dscnt 0x1
	v_add_f64_e32 v[30:31], v[34:35], v[30:31]
	v_add_f64_e32 v[30:31], v[36:37], v[30:31]
	s_wait_dscnt 0x0
	s_delay_alu instid0(VALU_DEP_1) | instskip(NEXT) | instid1(VALU_DEP_1)
	v_add_f64_e32 v[30:31], v[92:93], v[30:31]
	v_add_f64_e32 v[30:31], v[94:95], v[30:31]
	ds_load_2addr_stride64_b64 v[34:37], v86 offset0:9 offset1:10
	ds_load_2addr_stride64_b64 v[92:95], v86 offset0:11 offset1:12
	s_wait_dscnt 0x1
	v_add_f64_e32 v[30:31], v[34:35], v[30:31]
	s_delay_alu instid0(VALU_DEP_1) | instskip(SKIP_4) | instid1(VALU_DEP_1)
	v_add_f64_e32 v[30:31], v[36:37], v[30:31]
	ds_load_2addr_stride64_b64 v[34:37], v86 offset0:13 offset1:14
	ds_load_b64 v[38:39], v86 offset:7680
	s_wait_dscnt 0x2
	v_add_f64_e32 v[30:31], v[92:93], v[30:31]
	v_add_f64_e32 v[30:31], v[94:95], v[30:31]
	s_wait_dscnt 0x1
	s_delay_alu instid0(VALU_DEP_1) | instskip(NEXT) | instid1(VALU_DEP_1)
	v_add_f64_e32 v[30:31], v[34:35], v[30:31]
	v_add_f64_e32 v[30:31], v[36:37], v[30:31]
	s_wait_dscnt 0x0
	s_delay_alu instid0(VALU_DEP_1) | instskip(SKIP_1) | instid1(SALU_CYCLE_1)
	v_add_f64_e32 v[34:35], v[38:39], v[30:31]
	s_or_b32 exec_lo, exec_lo, s87
	s_and_b32 vcc_lo, exec_lo, s65
	s_cbranch_vccnz .LBB48_1037
	s_branch .LBB48_1096
.LBB48_1036:                            ;   in Loop: Header=BB48_3 Depth=1
	s_mov_b32 s86, 0
                                        ; implicit-def: $vgpr34_vgpr35
	s_cbranch_execz .LBB48_1096
.LBB48_1037:                            ;   in Loop: Header=BB48_3 Depth=1
	v_dual_mov_b32 v30, v91 :: v_dual_mov_b32 v31, v88
	s_mov_b32 s65, 63
	s_branch .LBB48_1039
.LBB48_1038:                            ;   in Loop: Header=BB48_1039 Depth=2
	s_or_b32 exec_lo, exec_lo, s50
	v_add_nc_u32_e32 v31, 0xfffff800, v31
	v_add_nc_u32_e32 v30, 4, v30
	s_add_co_i32 s65, s65, -4
	s_cmp_lg_u32 s87, 0
	s_barrier_signal -1
	s_barrier_wait -1
	s_cbranch_scc0 .LBB48_1055
.LBB48_1039:                            ;   Parent Loop BB48_3 Depth=1
                                        ; =>  This Inner Loop Header: Depth=2
	s_delay_alu instid0(VALU_DEP_1) | instskip(SKIP_2) | instid1(SALU_CYCLE_1)
	v_cmp_eq_u32_e32 vcc_lo, 0, v30
	v_add_nc_u32_e32 v34, v78, v43
	s_and_b32 s51, s1, vcc_lo
	s_and_saveexec_b32 s50, s51
	s_cbranch_execz .LBB48_1041
; %bb.1040:                             ;   in Loop: Header=BB48_1039 Depth=2
	ds_load_b64 v[36:37], v34
	s_wait_dscnt 0x0
	v_mul_f64_e32 v[32:33], v[32:33], v[36:37]
	ds_store_b64 v5, v[32:33] offset:41472
.LBB48_1041:                            ;   in Loop: Header=BB48_1039 Depth=2
	s_or_b32 exec_lo, exec_lo, s50
	v_cmp_gt_u32_e32 vcc_lo, s65, v2
	s_wait_dscnt 0x0
	s_barrier_signal -1
	s_barrier_wait -1
	s_and_b32 s51, s1, vcc_lo
	s_delay_alu instid0(SALU_CYCLE_1)
	s_and_saveexec_b32 s50, s51
	s_cbranch_execz .LBB48_1043
; %bb.1042:                             ;   in Loop: Header=BB48_1039 Depth=2
	ds_load_b64 v[36:37], v31 offset:1536
	ds_load_b64 v[38:39], v5 offset:41472
	s_wait_dscnt 0x0
	v_fmac_f64_e32 v[32:33], v[36:37], v[38:39]
.LBB48_1043:                            ;   in Loop: Header=BB48_1039 Depth=2
	s_or_b32 exec_lo, exec_lo, s50
	s_add_co_i32 s50, s65, -1
	s_delay_alu instid0(SALU_CYCLE_1) | instskip(SKIP_3) | instid1(SALU_CYCLE_1)
	v_cmp_eq_u32_e32 vcc_lo, s50, v2
	s_barrier_signal -1
	s_barrier_wait -1
	s_and_b32 s52, s1, vcc_lo
	s_and_saveexec_b32 s51, s52
	s_cbranch_execz .LBB48_1045
; %bb.1044:                             ;   in Loop: Header=BB48_1039 Depth=2
	ds_load_b64 v[36:37], v34
	s_wait_dscnt 0x0
	v_mul_f64_e32 v[32:33], v[32:33], v[36:37]
	ds_store_b64 v5, v[32:33] offset:41472
.LBB48_1045:                            ;   in Loop: Header=BB48_1039 Depth=2
	s_or_b32 exec_lo, exec_lo, s51
	v_cmp_gt_u32_e32 vcc_lo, s50, v2
	s_wait_dscnt 0x0
	s_barrier_signal -1
	s_barrier_wait -1
	s_and_b32 s51, s1, vcc_lo
	s_delay_alu instid0(SALU_CYCLE_1)
	s_and_saveexec_b32 s50, s51
	s_cbranch_execz .LBB48_1047
; %bb.1046:                             ;   in Loop: Header=BB48_1039 Depth=2
	ds_load_b64 v[36:37], v31 offset:1024
	ds_load_b64 v[38:39], v5 offset:41472
	s_wait_dscnt 0x0
	v_fmac_f64_e32 v[32:33], v[36:37], v[38:39]
.LBB48_1047:                            ;   in Loop: Header=BB48_1039 Depth=2
	s_or_b32 exec_lo, exec_lo, s50
	s_add_co_i32 s50, s65, -2
	s_delay_alu instid0(SALU_CYCLE_1) | instskip(SKIP_3) | instid1(SALU_CYCLE_1)
	v_cmp_eq_u32_e32 vcc_lo, s50, v2
	s_barrier_signal -1
	s_barrier_wait -1
	;; [unrolled: 30-line block ×3, first 2 shown]
	s_and_b32 s51, s1, vcc_lo
	s_and_saveexec_b32 s50, s51
	s_cbranch_execz .LBB48_1053
; %bb.1052:                             ;   in Loop: Header=BB48_1039 Depth=2
	ds_load_b64 v[34:35], v34
	s_wait_dscnt 0x0
	v_mul_f64_e32 v[32:33], v[32:33], v[34:35]
	ds_store_b64 v5, v[32:33] offset:41472
.LBB48_1053:                            ;   in Loop: Header=BB48_1039 Depth=2
	s_or_b32 exec_lo, exec_lo, s50
	v_cmp_gt_u32_e32 vcc_lo, s87, v2
	s_wait_dscnt 0x0
	s_barrier_signal -1
	s_barrier_wait -1
	s_and_b32 s51, s1, vcc_lo
	s_delay_alu instid0(SALU_CYCLE_1)
	s_and_saveexec_b32 s50, s51
	s_cbranch_execz .LBB48_1038
; %bb.1054:                             ;   in Loop: Header=BB48_1039 Depth=2
	ds_load_b64 v[34:35], v31
	ds_load_b64 v[36:37], v5 offset:41472
	s_wait_dscnt 0x0
	v_fmac_f64_e32 v[32:33], v[34:35], v[36:37]
	s_branch .LBB48_1038
.LBB48_1055:                            ;   in Loop: Header=BB48_3 Depth=1
	s_and_b32 vcc_lo, exec_lo, s91
	s_mov_b32 s50, -1
	s_cbranch_vccnz .LBB48_1097
; %bb.1056:                             ;   in Loop: Header=BB48_3 Depth=1
	s_and_not1_b32 vcc_lo, exec_lo, s50
	s_cbranch_vccz .LBB48_1098
.LBB48_1057:                            ;   in Loop: Header=BB48_3 Depth=1
	s_and_saveexec_b32 s50, s86
	s_cbranch_execz .LBB48_1059
.LBB48_1058:                            ;   in Loop: Header=BB48_3 Depth=1
	v_lshl_add_u64 v[30:31], v[10:11], 3, s[84:85]
	global_store_b64 v[30:31], v[32:33], off
.LBB48_1059:                            ;   in Loop: Header=BB48_3 Depth=1
	s_wait_xcnt 0x0
	s_or_b32 exec_lo, exec_lo, s50
	global_wb scope:SCOPE_DEV
	s_wait_storecnt 0x0
	global_inv scope:SCOPE_DEV
	s_wait_loadcnt 0x0
	s_barrier_signal -1
	s_barrier_wait -1
	s_and_saveexec_b32 s50, s59
	s_cbranch_execz .LBB48_2
; %bb.1060:                             ;   in Loop: Header=BB48_3 Depth=1
	s_lshl_b64 s[52:53], s[80:81], 2
	s_delay_alu instid0(SALU_CYCLE_1)
	s_add_nc_u64 s[52:53], s[78:79], s[52:53]
	global_load_b32 v30, v5, s[52:53]
	s_wait_loadcnt 0x0
	v_add_nc_u32_e32 v30, 1, v30
	global_store_b32 v5, v30, s[52:53]
	s_branch .LBB48_2
.LBB48_1061:                            ;   in Loop: Header=BB48_3 Depth=1
	s_mov_b32 s50, exec_lo
	v_readlane_b32 s51, v98, 21
	s_and_b32 s51, s50, s51
	s_delay_alu instid0(SALU_CYCLE_1)
	s_xor_b32 s50, s51, s50
	s_mov_b32 exec_lo, s51
	s_cbranch_execz .LBB48_1065
; %bb.1062:                             ;   in Loop: Header=BB48_3 Depth=1
	s_mov_b32 s51, exec_lo
	v_readlane_b32 s52, v97, 31
	s_and_b32 s52, s51, s52
	s_delay_alu instid0(SALU_CYCLE_1)
	s_mov_b32 exec_lo, s52
; %bb.1063:                             ;   in Loop: Header=BB48_3 Depth=1
	ds_store_b64 v72, v[20:21]
; %bb.1064:                             ;   in Loop: Header=BB48_3 Depth=1
	s_or_b32 exec_lo, exec_lo, s51
.LBB48_1065:                            ;   in Loop: Header=BB48_3 Depth=1
	s_and_not1_saveexec_b32 s50, s50
	s_cbranch_execz .LBB48_1067
; %bb.1066:                             ;   in Loop: Header=BB48_3 Depth=1
	v_lshl_add_u64 v[32:33], v[12:13], 3, s[84:85]
	global_load_b64 v[32:33], v[32:33], off
	s_wait_loadcnt 0x0
	v_div_scale_f64 v[34:35], null, v[32:33], v[32:33], 1.0
	s_delay_alu instid0(VALU_DEP_1) | instskip(SKIP_1) | instid1(TRANS32_DEP_1)
	v_rcp_f64_e32 v[36:37], v[34:35]
	v_nop
	v_fma_f64 v[38:39], -v[34:35], v[36:37], 1.0
	s_delay_alu instid0(VALU_DEP_1) | instskip(NEXT) | instid1(VALU_DEP_1)
	v_fmac_f64_e32 v[36:37], v[36:37], v[38:39]
	v_fma_f64 v[38:39], -v[34:35], v[36:37], 1.0
	s_delay_alu instid0(VALU_DEP_1) | instskip(SKIP_1) | instid1(VALU_DEP_1)
	v_fmac_f64_e32 v[36:37], v[36:37], v[38:39]
	v_div_scale_f64 v[38:39], vcc_lo, 1.0, v[32:33], 1.0
	v_mul_f64_e32 v[92:93], v[38:39], v[36:37]
	s_delay_alu instid0(VALU_DEP_1) | instskip(NEXT) | instid1(VALU_DEP_1)
	v_fma_f64 v[34:35], -v[34:35], v[92:93], v[38:39]
	v_div_fmas_f64 v[34:35], v[34:35], v[36:37], v[92:93]
	s_delay_alu instid0(VALU_DEP_1)
	v_div_fixup_f64 v[32:33], v[34:35], v[32:33], 1.0
	ds_store_b64 v72, v[32:33]
.LBB48_1067:                            ;   in Loop: Header=BB48_3 Depth=1
	s_or_b32 exec_lo, exec_lo, s50
	s_and_not1_saveexec_b32 s50, s65
	s_cbranch_execz .LBB48_16
.LBB48_1068:                            ;   in Loop: Header=BB48_3 Depth=1
	v_lshl_add_u64 v[32:33], v[12:13], 3, s[84:85]
	global_load_b64 v[32:33], v[32:33], off
	s_wait_loadcnt 0x0
	v_xor_b32_e32 v33, 0x80000000, v33
	ds_store_b64 v72, v[32:33]
	s_or_b32 exec_lo, exec_lo, s50
	s_and_saveexec_b32 s50, s7
	s_delay_alu instid0(SALU_CYCLE_1)
	s_xor_b32 s65, exec_lo, s50
	s_cbranch_execz .LBB48_17
.LBB48_1069:                            ;   in Loop: Header=BB48_3 Depth=1
	s_mov_b32 s50, exec_lo
	v_readlane_b32 s51, v98, 23
	s_and_b32 s51, s50, s51
	s_delay_alu instid0(SALU_CYCLE_1)
	s_xor_b32 s50, s51, s50
	s_mov_b32 exec_lo, s51
	s_cbranch_execz .LBB48_1073
; %bb.1070:                             ;   in Loop: Header=BB48_3 Depth=1
	s_mov_b32 s51, exec_lo
	v_readlane_b32 s52, v96, 0
	s_and_b32 s52, s51, s52
	s_delay_alu instid0(SALU_CYCLE_1)
	s_mov_b32 exec_lo, s52
; %bb.1071:                             ;   in Loop: Header=BB48_3 Depth=1
	ds_store_b64 v73, v[20:21]
; %bb.1072:                             ;   in Loop: Header=BB48_3 Depth=1
	s_or_b32 exec_lo, exec_lo, s51
.LBB48_1073:                            ;   in Loop: Header=BB48_3 Depth=1
	s_and_not1_saveexec_b32 s50, s50
	s_cbranch_execz .LBB48_1075
; %bb.1074:                             ;   in Loop: Header=BB48_3 Depth=1
	v_lshl_add_u64 v[32:33], v[14:15], 3, s[84:85]
	global_load_b64 v[32:33], v[32:33], off
	s_wait_loadcnt 0x0
	v_div_scale_f64 v[34:35], null, v[32:33], v[32:33], 1.0
	s_delay_alu instid0(VALU_DEP_1) | instskip(SKIP_1) | instid1(TRANS32_DEP_1)
	v_rcp_f64_e32 v[36:37], v[34:35]
	v_nop
	v_fma_f64 v[38:39], -v[34:35], v[36:37], 1.0
	s_delay_alu instid0(VALU_DEP_1) | instskip(NEXT) | instid1(VALU_DEP_1)
	v_fmac_f64_e32 v[36:37], v[36:37], v[38:39]
	v_fma_f64 v[38:39], -v[34:35], v[36:37], 1.0
	s_delay_alu instid0(VALU_DEP_1) | instskip(SKIP_1) | instid1(VALU_DEP_1)
	v_fmac_f64_e32 v[36:37], v[36:37], v[38:39]
	v_div_scale_f64 v[38:39], vcc_lo, 1.0, v[32:33], 1.0
	v_mul_f64_e32 v[92:93], v[38:39], v[36:37]
	s_delay_alu instid0(VALU_DEP_1) | instskip(NEXT) | instid1(VALU_DEP_1)
	v_fma_f64 v[34:35], -v[34:35], v[92:93], v[38:39]
	v_div_fmas_f64 v[34:35], v[34:35], v[36:37], v[92:93]
	s_delay_alu instid0(VALU_DEP_1)
	v_div_fixup_f64 v[32:33], v[34:35], v[32:33], 1.0
	ds_store_b64 v73, v[32:33]
.LBB48_1075:                            ;   in Loop: Header=BB48_3 Depth=1
	s_or_b32 exec_lo, exec_lo, s50
	s_and_not1_saveexec_b32 s50, s65
	s_cbranch_execz .LBB48_18
.LBB48_1076:                            ;   in Loop: Header=BB48_3 Depth=1
	v_lshl_add_u64 v[32:33], v[14:15], 3, s[84:85]
	global_load_b64 v[32:33], v[32:33], off
	s_wait_loadcnt 0x0
	v_xor_b32_e32 v33, 0x80000000, v33
	ds_store_b64 v73, v[32:33]
	s_or_b32 exec_lo, exec_lo, s50
	s_and_saveexec_b32 s50, s8
	s_delay_alu instid0(SALU_CYCLE_1)
	s_xor_b32 s65, exec_lo, s50
	s_cbranch_execz .LBB48_19
.LBB48_1077:                            ;   in Loop: Header=BB48_3 Depth=1
	s_mov_b32 s50, exec_lo
	v_readlane_b32 s51, v98, 25
	s_and_b32 s51, s50, s51
	s_delay_alu instid0(SALU_CYCLE_1)
	s_xor_b32 s50, s51, s50
	s_mov_b32 exec_lo, s51
	s_cbranch_execz .LBB48_1081
; %bb.1078:                             ;   in Loop: Header=BB48_3 Depth=1
	s_mov_b32 s51, exec_lo
	v_readlane_b32 s52, v96, 1
	s_and_b32 s52, s51, s52
	s_delay_alu instid0(SALU_CYCLE_1)
	s_mov_b32 exec_lo, s52
; %bb.1079:                             ;   in Loop: Header=BB48_3 Depth=1
	ds_store_b64 v75, v[20:21]
; %bb.1080:                             ;   in Loop: Header=BB48_3 Depth=1
	s_or_b32 exec_lo, exec_lo, s51
.LBB48_1081:                            ;   in Loop: Header=BB48_3 Depth=1
	s_and_not1_saveexec_b32 s50, s50
	s_cbranch_execz .LBB48_1083
; %bb.1082:                             ;   in Loop: Header=BB48_3 Depth=1
	v_lshl_add_u64 v[32:33], v[16:17], 3, s[84:85]
	global_load_b64 v[32:33], v[32:33], off
	s_wait_loadcnt 0x0
	v_div_scale_f64 v[34:35], null, v[32:33], v[32:33], 1.0
	s_delay_alu instid0(VALU_DEP_1) | instskip(SKIP_1) | instid1(TRANS32_DEP_1)
	v_rcp_f64_e32 v[36:37], v[34:35]
	v_nop
	v_fma_f64 v[38:39], -v[34:35], v[36:37], 1.0
	s_delay_alu instid0(VALU_DEP_1) | instskip(NEXT) | instid1(VALU_DEP_1)
	v_fmac_f64_e32 v[36:37], v[36:37], v[38:39]
	v_fma_f64 v[38:39], -v[34:35], v[36:37], 1.0
	s_delay_alu instid0(VALU_DEP_1) | instskip(SKIP_1) | instid1(VALU_DEP_1)
	v_fmac_f64_e32 v[36:37], v[36:37], v[38:39]
	v_div_scale_f64 v[38:39], vcc_lo, 1.0, v[32:33], 1.0
	v_mul_f64_e32 v[92:93], v[38:39], v[36:37]
	s_delay_alu instid0(VALU_DEP_1) | instskip(NEXT) | instid1(VALU_DEP_1)
	v_fma_f64 v[34:35], -v[34:35], v[92:93], v[38:39]
	v_div_fmas_f64 v[34:35], v[34:35], v[36:37], v[92:93]
	s_delay_alu instid0(VALU_DEP_1)
	v_div_fixup_f64 v[32:33], v[34:35], v[32:33], 1.0
	ds_store_b64 v75, v[32:33]
.LBB48_1083:                            ;   in Loop: Header=BB48_3 Depth=1
	s_or_b32 exec_lo, exec_lo, s50
	s_and_not1_saveexec_b32 s50, s65
	s_cbranch_execz .LBB48_20
.LBB48_1084:                            ;   in Loop: Header=BB48_3 Depth=1
	v_lshl_add_u64 v[32:33], v[16:17], 3, s[84:85]
	global_load_b64 v[32:33], v[32:33], off
	s_wait_loadcnt 0x0
	v_xor_b32_e32 v33, 0x80000000, v33
	ds_store_b64 v75, v[32:33]
	s_or_b32 exec_lo, exec_lo, s50
	s_and_saveexec_b32 s50, s9
	s_delay_alu instid0(SALU_CYCLE_1)
	s_xor_b32 s65, exec_lo, s50
	s_cbranch_execz .LBB48_21
.LBB48_1085:                            ;   in Loop: Header=BB48_3 Depth=1
	s_mov_b32 s50, exec_lo
	v_readlane_b32 s51, v98, 27
	s_and_b32 s51, s50, s51
	s_delay_alu instid0(SALU_CYCLE_1)
	s_xor_b32 s50, s51, s50
	s_mov_b32 exec_lo, s51
	s_cbranch_execz .LBB48_1089
; %bb.1086:                             ;   in Loop: Header=BB48_3 Depth=1
	s_mov_b32 s51, exec_lo
	v_readlane_b32 s52, v96, 2
	s_and_b32 s52, s51, s52
	s_delay_alu instid0(SALU_CYCLE_1)
	s_mov_b32 exec_lo, s52
; %bb.1087:                             ;   in Loop: Header=BB48_3 Depth=1
	ds_store_b64 v76, v[20:21]
; %bb.1088:                             ;   in Loop: Header=BB48_3 Depth=1
	s_or_b32 exec_lo, exec_lo, s51
.LBB48_1089:                            ;   in Loop: Header=BB48_3 Depth=1
	s_and_not1_saveexec_b32 s50, s50
	s_cbranch_execz .LBB48_1091
; %bb.1090:                             ;   in Loop: Header=BB48_3 Depth=1
	v_lshl_add_u64 v[32:33], v[18:19], 3, s[84:85]
	global_load_b64 v[32:33], v[32:33], off
	s_wait_loadcnt 0x0
	v_div_scale_f64 v[34:35], null, v[32:33], v[32:33], 1.0
	s_delay_alu instid0(VALU_DEP_1) | instskip(SKIP_1) | instid1(TRANS32_DEP_1)
	v_rcp_f64_e32 v[36:37], v[34:35]
	v_nop
	v_fma_f64 v[38:39], -v[34:35], v[36:37], 1.0
	s_delay_alu instid0(VALU_DEP_1) | instskip(NEXT) | instid1(VALU_DEP_1)
	v_fmac_f64_e32 v[36:37], v[36:37], v[38:39]
	v_fma_f64 v[38:39], -v[34:35], v[36:37], 1.0
	s_delay_alu instid0(VALU_DEP_1) | instskip(SKIP_1) | instid1(VALU_DEP_1)
	v_fmac_f64_e32 v[36:37], v[36:37], v[38:39]
	v_div_scale_f64 v[38:39], vcc_lo, 1.0, v[32:33], 1.0
	v_mul_f64_e32 v[92:93], v[38:39], v[36:37]
	s_delay_alu instid0(VALU_DEP_1) | instskip(NEXT) | instid1(VALU_DEP_1)
	v_fma_f64 v[34:35], -v[34:35], v[92:93], v[38:39]
	v_div_fmas_f64 v[34:35], v[34:35], v[36:37], v[92:93]
	s_delay_alu instid0(VALU_DEP_1)
	v_div_fixup_f64 v[32:33], v[34:35], v[32:33], 1.0
	ds_store_b64 v76, v[32:33]
.LBB48_1091:                            ;   in Loop: Header=BB48_3 Depth=1
	s_or_b32 exec_lo, exec_lo, s50
	s_and_not1_saveexec_b32 s50, s65
	s_cbranch_execnz .LBB48_22
	s_branch .LBB48_23
.LBB48_1092:                            ;   in Loop: Header=BB48_3 Depth=1
	ds_load_b64 v[30:31], v89
	ds_load_b64 v[34:35], v79
	s_wait_dscnt 0x0
	v_fma_f64 v[30:31], v[30:31], v[34:35], 0
	s_or_b32 exec_lo, exec_lo, s50
	s_and_saveexec_b32 s50, s7
	s_cbranch_execz .LBB48_1031
.LBB48_1093:                            ;   in Loop: Header=BB48_3 Depth=1
	ds_load_b64 v[34:35], v89 offset:8192
	ds_load_b64 v[36:37], v79 offset:128
	s_wait_dscnt 0x0
	v_fmac_f64_e32 v[30:31], v[34:35], v[36:37]
	s_or_b32 exec_lo, exec_lo, s50
	s_and_saveexec_b32 s50, s8
	s_cbranch_execz .LBB48_1032
.LBB48_1094:                            ;   in Loop: Header=BB48_3 Depth=1
	ds_load_b64 v[34:35], v89 offset:16384
	ds_load_b64 v[36:37], v79 offset:256
	s_wait_dscnt 0x0
	v_fmac_f64_e32 v[30:31], v[34:35], v[36:37]
	s_or_b32 exec_lo, exec_lo, s50
	s_and_saveexec_b32 s50, s9
	s_cbranch_execnz .LBB48_1033
	s_branch .LBB48_1034
.LBB48_1095:                            ;   in Loop: Header=BB48_3 Depth=1
	s_or_b32 exec_lo, exec_lo, s87
	s_delay_alu instid0(SALU_CYCLE_1)
	s_and_b32 vcc_lo, exec_lo, s65
	s_cbranch_vccnz .LBB48_1037
.LBB48_1096:                            ;   in Loop: Header=BB48_3 Depth=1
	s_delay_alu instid0(VALU_DEP_1)
	v_mov_b64_e32 v[32:33], v[34:35]
	s_and_saveexec_b32 s50, s86
	s_cbranch_execnz .LBB48_1058
	s_branch .LBB48_1059
.LBB48_1097:                            ;   in Loop: Header=BB48_3 Depth=1
	s_and_not1_b32 s51, s86, exec_lo
	s_and_b32 s52, s1, exec_lo
	s_delay_alu instid0(SALU_CYCLE_1)
	s_or_b32 s86, s51, s52
	s_cbranch_execnz .LBB48_1057
.LBB48_1098:                            ;   in Loop: Header=BB48_3 Depth=1
	v_readlane_b32 s51, v98, 12
	s_and_not1_b32 s50, s86, exec_lo
	s_and_b32 s51, s51, exec_lo
	s_delay_alu instid0(SALU_CYCLE_1) | instskip(NEXT) | instid1(SALU_CYCLE_1)
	s_or_b32 s86, s50, s51
	s_and_saveexec_b32 s50, s86
	s_cbranch_execnz .LBB48_1058
	s_branch .LBB48_1059
.LBB48_1099:                            ;   in Loop: Header=BB48_3 Depth=1
	ds_load_b64 v[34:35], v49 offset:544
	ds_load_b64 v[36:37], v44 offset:8
	s_wait_dscnt 0x0
	v_fmac_f64_e32 v[32:33], v[34:35], v[36:37]
	s_or_b32 exec_lo, exec_lo, s50
	s_and_saveexec_b32 s50, s17
	s_cbranch_execz .LBB48_88
.LBB48_1100:                            ;   in Loop: Header=BB48_3 Depth=1
	ds_load_b64 v[34:35], v48 offset:1056
	ds_load_b64 v[36:37], v44 offset:16
	s_wait_dscnt 0x0
	v_fmac_f64_e32 v[32:33], v[34:35], v[36:37]
	s_or_b32 exec_lo, exec_lo, s50
	s_and_saveexec_b32 s50, s0
	s_cbranch_execnz .LBB48_89
	s_branch .LBB48_90
.LBB48_1101:                            ;   in Loop: Header=BB48_3 Depth=1
	ds_load_b64 v[34:35], v58 offset:576
	ds_load_b64 v[36:37], v53 offset:8
	s_wait_dscnt 0x0
	v_fmac_f64_e32 v[32:33], v[34:35], v[36:37]
	s_or_b32 exec_lo, exec_lo, s50
	s_and_saveexec_b32 s50, s19
	s_cbranch_execz .LBB48_130
.LBB48_1102:                            ;   in Loop: Header=BB48_3 Depth=1
	ds_load_b64 v[34:35], v58 offset:1088
	ds_load_b64 v[36:37], v53 offset:16
	s_wait_dscnt 0x0
	v_fmac_f64_e32 v[32:33], v[34:35], v[36:37]
	s_or_b32 exec_lo, exec_lo, s50
	s_and_saveexec_b32 s50, s20
	s_cbranch_execz .LBB48_131
.LBB48_1103:                            ;   in Loop: Header=BB48_3 Depth=1
	ds_load_b64 v[34:35], v58 offset:1600
	ds_load_b64 v[36:37], v53 offset:24
	s_wait_dscnt 0x0
	v_fmac_f64_e32 v[32:33], v[34:35], v[36:37]
	s_or_b32 exec_lo, exec_lo, s50
	s_and_saveexec_b32 s50, s21
	s_cbranch_execz .LBB48_132
.LBB48_1104:                            ;   in Loop: Header=BB48_3 Depth=1
	ds_load_b64 v[34:35], v57 offset:2112
	ds_load_b64 v[36:37], v53 offset:32
	s_wait_dscnt 0x0
	v_fmac_f64_e32 v[32:33], v[34:35], v[36:37]
	s_or_b32 exec_lo, exec_lo, s50
	s_and_saveexec_b32 s50, s22
	s_cbranch_execz .LBB48_133
.LBB48_1105:                            ;   in Loop: Header=BB48_3 Depth=1
	ds_load_b64 v[34:35], v58 offset:2624
	ds_load_b64 v[36:37], v53 offset:40
	s_wait_dscnt 0x0
	v_fmac_f64_e32 v[32:33], v[34:35], v[36:37]
	s_or_b32 exec_lo, exec_lo, s50
	s_and_saveexec_b32 s50, s2
	s_cbranch_execz .LBB48_134
.LBB48_1106:                            ;   in Loop: Header=BB48_3 Depth=1
	ds_load_b64 v[34:35], v57 offset:3136
	ds_load_b64 v[36:37], v53 offset:48
	s_wait_dscnt 0x0
	v_fmac_f64_e32 v[32:33], v[34:35], v[36:37]
	s_or_b32 exec_lo, exec_lo, s50
	s_and_saveexec_b32 s50, s17
	s_cbranch_execnz .LBB48_135
	s_branch .LBB48_136
.LBB48_1107:                            ;   in Loop: Header=BB48_3 Depth=1
	ds_load_b64 v[34:35], v49 offset:4704
	ds_load_b64 v[36:37], v44 offset:4168
	s_wait_dscnt 0x0
	v_fmac_f64_e32 v[32:33], v[34:35], v[36:37]
	s_or_b32 exec_lo, exec_lo, s50
	s_and_saveexec_b32 s50, s17
	s_cbranch_execz .LBB48_192
.LBB48_1108:                            ;   in Loop: Header=BB48_3 Depth=1
	ds_load_b64 v[34:35], v48 offset:5216
	ds_load_b64 v[36:37], v44 offset:4176
	s_wait_dscnt 0x0
	v_fmac_f64_e32 v[32:33], v[34:35], v[36:37]
	s_or_b32 exec_lo, exec_lo, s50
	s_and_saveexec_b32 s50, s0
	s_cbranch_execnz .LBB48_193
	s_branch .LBB48_194
.LBB48_1109:                            ;   in Loop: Header=BB48_3 Depth=1
	ds_load_b64 v[34:35], v64 offset:5760
	ds_load_b64 v[36:37], v60 offset:88
	s_wait_dscnt 0x0
	v_fmac_f64_e32 v[32:33], v[34:35], v[36:37]
	s_or_b32 exec_lo, exec_lo, s50
	s_and_saveexec_b32 s50, s3
	s_cbranch_execz .LBB48_254
.LBB48_1110:                            ;   in Loop: Header=BB48_3 Depth=1
	ds_load_b64 v[34:35], v63 offset:6272
	ds_load_b64 v[36:37], v60 offset:96
	s_wait_dscnt 0x0
	v_fmac_f64_e32 v[32:33], v[34:35], v[36:37]
	s_or_b32 exec_lo, exec_lo, s50
	s_and_saveexec_b32 s50, s19
	s_cbranch_execz .LBB48_255
.LBB48_1111:                            ;   in Loop: Header=BB48_3 Depth=1
	ds_load_b64 v[34:35], v64 offset:6784
	ds_load_b64 v[36:37], v60 offset:104
	s_wait_dscnt 0x0
	v_fmac_f64_e32 v[32:33], v[34:35], v[36:37]
	s_or_b32 exec_lo, exec_lo, s50
	s_and_saveexec_b32 s50, s21
	s_cbranch_execz .LBB48_256
.LBB48_1112:                            ;   in Loop: Header=BB48_3 Depth=1
	ds_load_b64 v[34:35], v63 offset:7296
	ds_load_b64 v[36:37], v60 offset:112
	s_wait_dscnt 0x0
	v_fmac_f64_e32 v[32:33], v[34:35], v[36:37]
	s_or_b32 exec_lo, exec_lo, s50
	s_and_saveexec_b32 s50, s2
	s_cbranch_execnz .LBB48_257
	s_branch .LBB48_258
.LBB48_1113:                            ;   in Loop: Header=BB48_3 Depth=1
	ds_load_b64 v[34:35], v49 offset:8864
	ds_load_b64 v[36:37], v44 offset:8328
	s_wait_dscnt 0x0
	v_fmac_f64_e32 v[32:33], v[34:35], v[36:37]
	s_or_b32 exec_lo, exec_lo, s50
	s_and_saveexec_b32 s50, s17
	s_cbranch_execz .LBB48_346
.LBB48_1114:                            ;   in Loop: Header=BB48_3 Depth=1
	ds_load_b64 v[34:35], v48 offset:9376
	ds_load_b64 v[36:37], v44 offset:8336
	s_wait_dscnt 0x0
	v_fmac_f64_e32 v[32:33], v[34:35], v[36:37]
	s_or_b32 exec_lo, exec_lo, s50
	s_and_saveexec_b32 s50, s0
	s_cbranch_execnz .LBB48_347
	s_branch .LBB48_348
.LBB48_1115:                            ;   in Loop: Header=BB48_3 Depth=1
	ds_load_b64 v[34:35], v58 offset:8896
	ds_load_b64 v[36:37], v53 offset:8328
	s_wait_dscnt 0x0
	v_fmac_f64_e32 v[32:33], v[34:35], v[36:37]
	s_or_b32 exec_lo, exec_lo, s50
	s_and_saveexec_b32 s50, s19
	s_cbranch_execz .LBB48_388
.LBB48_1116:                            ;   in Loop: Header=BB48_3 Depth=1
	ds_load_b64 v[34:35], v58 offset:9408
	ds_load_b64 v[36:37], v53 offset:8336
	s_wait_dscnt 0x0
	v_fmac_f64_e32 v[32:33], v[34:35], v[36:37]
	s_or_b32 exec_lo, exec_lo, s50
	s_and_saveexec_b32 s50, s20
	s_cbranch_execz .LBB48_389
.LBB48_1117:                            ;   in Loop: Header=BB48_3 Depth=1
	ds_load_b64 v[34:35], v58 offset:9920
	ds_load_b64 v[36:37], v53 offset:8344
	s_wait_dscnt 0x0
	v_fmac_f64_e32 v[32:33], v[34:35], v[36:37]
	s_or_b32 exec_lo, exec_lo, s50
	s_and_saveexec_b32 s50, s21
	s_cbranch_execz .LBB48_390
.LBB48_1118:                            ;   in Loop: Header=BB48_3 Depth=1
	ds_load_b64 v[34:35], v57 offset:10432
	ds_load_b64 v[36:37], v53 offset:8352
	s_wait_dscnt 0x0
	v_fmac_f64_e32 v[32:33], v[34:35], v[36:37]
	s_or_b32 exec_lo, exec_lo, s50
	s_and_saveexec_b32 s50, s22
	s_cbranch_execz .LBB48_391
.LBB48_1119:                            ;   in Loop: Header=BB48_3 Depth=1
	ds_load_b64 v[34:35], v58 offset:10944
	ds_load_b64 v[36:37], v53 offset:8360
	s_wait_dscnt 0x0
	v_fmac_f64_e32 v[32:33], v[34:35], v[36:37]
	s_or_b32 exec_lo, exec_lo, s50
	s_and_saveexec_b32 s50, s2
	s_cbranch_execz .LBB48_392
.LBB48_1120:                            ;   in Loop: Header=BB48_3 Depth=1
	ds_load_b64 v[34:35], v57 offset:11456
	ds_load_b64 v[36:37], v53 offset:8368
	s_wait_dscnt 0x0
	v_fmac_f64_e32 v[32:33], v[34:35], v[36:37]
	s_or_b32 exec_lo, exec_lo, s50
	s_and_saveexec_b32 s50, s17
	s_cbranch_execnz .LBB48_393
	s_branch .LBB48_394
.LBB48_1121:                            ;   in Loop: Header=BB48_3 Depth=1
	ds_load_b64 v[34:35], v49 offset:13024
	ds_load_b64 v[36:37], v44 offset:12488
	s_wait_dscnt 0x0
	v_fmac_f64_e32 v[32:33], v[34:35], v[36:37]
	s_or_b32 exec_lo, exec_lo, s50
	s_and_saveexec_b32 s50, s17
	s_cbranch_execz .LBB48_450
.LBB48_1122:                            ;   in Loop: Header=BB48_3 Depth=1
	ds_load_b64 v[34:35], v48 offset:13536
	ds_load_b64 v[36:37], v44 offset:12496
	s_wait_dscnt 0x0
	v_fmac_f64_e32 v[32:33], v[34:35], v[36:37]
	s_or_b32 exec_lo, exec_lo, s50
	s_and_saveexec_b32 s50, s0
	s_cbranch_execnz .LBB48_451
	s_branch .LBB48_452
.LBB48_1123:                            ;   in Loop: Header=BB48_3 Depth=1
	ds_load_b64 v[36:37], v83 offset:15104
	ds_load_b64 v[38:39], v34 offset:232
	s_wait_dscnt 0x0
	v_fmac_f64_e32 v[32:33], v[36:37], v[38:39]
	s_or_b32 exec_lo, exec_lo, s50
	s_and_saveexec_b32 s50, s3
	s_cbranch_execz .LBB48_548
.LBB48_1124:                            ;   in Loop: Header=BB48_3 Depth=1
	ds_load_b64 v[36:37], v83 offset:15616
	ds_load_b64 v[34:35], v34 offset:240
	s_wait_dscnt 0x0
	v_fmac_f64_e32 v[32:33], v[36:37], v[34:35]
	s_or_b32 exec_lo, exec_lo, s50
	s_and_saveexec_b32 s50, s21
	s_cbranch_execnz .LBB48_549
	s_branch .LBB48_550
.LBB48_1125:                            ;   in Loop: Header=BB48_3 Depth=1
	ds_load_b64 v[34:35], v49 offset:17184
	ds_load_b64 v[36:37], v44 offset:16648
	s_wait_dscnt 0x0
	v_fmac_f64_e32 v[32:33], v[34:35], v[36:37]
	s_or_b32 exec_lo, exec_lo, s50
	s_and_saveexec_b32 s50, s17
	s_cbranch_execz .LBB48_594
.LBB48_1126:                            ;   in Loop: Header=BB48_3 Depth=1
	ds_load_b64 v[34:35], v48 offset:17696
	ds_load_b64 v[36:37], v44 offset:16656
	s_wait_dscnt 0x0
	v_fmac_f64_e32 v[32:33], v[34:35], v[36:37]
	s_or_b32 exec_lo, exec_lo, s50
	s_and_saveexec_b32 s50, s0
	s_cbranch_execnz .LBB48_595
	s_branch .LBB48_596
.LBB48_1127:                            ;   in Loop: Header=BB48_3 Depth=1
	ds_load_b64 v[34:35], v58 offset:17216
	ds_load_b64 v[36:37], v53 offset:16648
	s_wait_dscnt 0x0
	v_fmac_f64_e32 v[32:33], v[34:35], v[36:37]
	s_or_b32 exec_lo, exec_lo, s50
	s_and_saveexec_b32 s50, s19
	s_cbranch_execz .LBB48_636
.LBB48_1128:                            ;   in Loop: Header=BB48_3 Depth=1
	ds_load_b64 v[34:35], v58 offset:17728
	ds_load_b64 v[36:37], v53 offset:16656
	s_wait_dscnt 0x0
	v_fmac_f64_e32 v[32:33], v[34:35], v[36:37]
	s_or_b32 exec_lo, exec_lo, s50
	s_and_saveexec_b32 s50, s20
	s_cbranch_execz .LBB48_637
.LBB48_1129:                            ;   in Loop: Header=BB48_3 Depth=1
	ds_load_b64 v[34:35], v58 offset:18240
	ds_load_b64 v[36:37], v53 offset:16664
	s_wait_dscnt 0x0
	v_fmac_f64_e32 v[32:33], v[34:35], v[36:37]
	s_or_b32 exec_lo, exec_lo, s50
	s_and_saveexec_b32 s50, s21
	s_cbranch_execz .LBB48_638
.LBB48_1130:                            ;   in Loop: Header=BB48_3 Depth=1
	ds_load_b64 v[34:35], v57 offset:18752
	ds_load_b64 v[36:37], v53 offset:16672
	s_wait_dscnt 0x0
	v_fmac_f64_e32 v[32:33], v[34:35], v[36:37]
	s_or_b32 exec_lo, exec_lo, s50
	s_and_saveexec_b32 s50, s22
	s_cbranch_execz .LBB48_639
.LBB48_1131:                            ;   in Loop: Header=BB48_3 Depth=1
	ds_load_b64 v[34:35], v58 offset:19264
	ds_load_b64 v[36:37], v53 offset:16680
	s_wait_dscnt 0x0
	v_fmac_f64_e32 v[32:33], v[34:35], v[36:37]
	s_or_b32 exec_lo, exec_lo, s50
	s_and_saveexec_b32 s50, s2
	s_cbranch_execz .LBB48_640
.LBB48_1132:                            ;   in Loop: Header=BB48_3 Depth=1
	ds_load_b64 v[34:35], v57 offset:19776
	ds_load_b64 v[36:37], v53 offset:16688
	s_wait_dscnt 0x0
	v_fmac_f64_e32 v[32:33], v[34:35], v[36:37]
	s_or_b32 exec_lo, exec_lo, s50
	s_and_saveexec_b32 s50, s17
	s_cbranch_execnz .LBB48_641
	s_branch .LBB48_642
.LBB48_1133:                            ;   in Loop: Header=BB48_3 Depth=1
	ds_load_b64 v[34:35], v49 offset:21344
	ds_load_b64 v[36:37], v44 offset:20808
	s_wait_dscnt 0x0
	v_fmac_f64_e32 v[32:33], v[34:35], v[36:37]
	s_or_b32 exec_lo, exec_lo, s50
	s_and_saveexec_b32 s50, s17
	s_cbranch_execz .LBB48_698
.LBB48_1134:                            ;   in Loop: Header=BB48_3 Depth=1
	ds_load_b64 v[34:35], v48 offset:21856
	ds_load_b64 v[36:37], v44 offset:20816
	s_wait_dscnt 0x0
	v_fmac_f64_e32 v[32:33], v[34:35], v[36:37]
	s_or_b32 exec_lo, exec_lo, s50
	s_and_saveexec_b32 s50, s0
	s_cbranch_execnz .LBB48_699
	s_branch .LBB48_700
.LBB48_1135:                            ;   in Loop: Header=BB48_3 Depth=1
	ds_load_b64 v[34:35], v64 offset:22400
	ds_load_b64 v[36:37], v60 offset:16728
	s_wait_dscnt 0x0
	v_fmac_f64_e32 v[32:33], v[34:35], v[36:37]
	s_or_b32 exec_lo, exec_lo, s50
	s_and_saveexec_b32 s50, s3
	s_cbranch_execz .LBB48_760
.LBB48_1136:                            ;   in Loop: Header=BB48_3 Depth=1
	ds_load_b64 v[34:35], v63 offset:22912
	ds_load_b64 v[36:37], v60 offset:16736
	s_wait_dscnt 0x0
	v_fmac_f64_e32 v[32:33], v[34:35], v[36:37]
	s_or_b32 exec_lo, exec_lo, s50
	s_and_saveexec_b32 s50, s19
	s_cbranch_execz .LBB48_761
.LBB48_1137:                            ;   in Loop: Header=BB48_3 Depth=1
	ds_load_b64 v[34:35], v64 offset:23424
	ds_load_b64 v[36:37], v60 offset:16744
	s_wait_dscnt 0x0
	v_fmac_f64_e32 v[32:33], v[34:35], v[36:37]
	s_or_b32 exec_lo, exec_lo, s50
	s_and_saveexec_b32 s50, s21
	s_cbranch_execz .LBB48_762
.LBB48_1138:                            ;   in Loop: Header=BB48_3 Depth=1
	ds_load_b64 v[34:35], v63 offset:23936
	ds_load_b64 v[36:37], v60 offset:16752
	s_wait_dscnt 0x0
	v_fmac_f64_e32 v[32:33], v[34:35], v[36:37]
	s_or_b32 exec_lo, exec_lo, s50
	s_and_saveexec_b32 s50, s2
	s_cbranch_execnz .LBB48_763
	s_branch .LBB48_764
.LBB48_1139:                            ;   in Loop: Header=BB48_3 Depth=1
	ds_load_b64 v[34:35], v49 offset:25504
	ds_load_b64 v[36:37], v44 offset:24968
	s_wait_dscnt 0x0
	v_fmac_f64_e32 v[32:33], v[34:35], v[36:37]
	s_or_b32 exec_lo, exec_lo, s50
	s_and_saveexec_b32 s50, s17
	s_cbranch_execz .LBB48_852
.LBB48_1140:                            ;   in Loop: Header=BB48_3 Depth=1
	ds_load_b64 v[34:35], v48 offset:26016
	ds_load_b64 v[36:37], v44 offset:24976
	s_wait_dscnt 0x0
	v_fmac_f64_e32 v[32:33], v[34:35], v[36:37]
	s_or_b32 exec_lo, exec_lo, s50
	s_and_saveexec_b32 s50, s0
	s_cbranch_execnz .LBB48_853
	s_branch .LBB48_854
.LBB48_1141:                            ;   in Loop: Header=BB48_3 Depth=1
	ds_load_b64 v[34:35], v58 offset:25536
	ds_load_b64 v[36:37], v53 offset:24968
	s_wait_dscnt 0x0
	v_fmac_f64_e32 v[32:33], v[34:35], v[36:37]
	s_or_b32 exec_lo, exec_lo, s50
	s_and_saveexec_b32 s50, s19
	s_cbranch_execz .LBB48_894
.LBB48_1142:                            ;   in Loop: Header=BB48_3 Depth=1
	ds_load_b64 v[34:35], v58 offset:26048
	ds_load_b64 v[36:37], v53 offset:24976
	s_wait_dscnt 0x0
	v_fmac_f64_e32 v[32:33], v[34:35], v[36:37]
	s_or_b32 exec_lo, exec_lo, s50
	s_and_saveexec_b32 s50, s20
	s_cbranch_execz .LBB48_895
.LBB48_1143:                            ;   in Loop: Header=BB48_3 Depth=1
	ds_load_b64 v[34:35], v58 offset:26560
	ds_load_b64 v[36:37], v53 offset:24984
	s_wait_dscnt 0x0
	v_fmac_f64_e32 v[32:33], v[34:35], v[36:37]
	s_or_b32 exec_lo, exec_lo, s50
	s_and_saveexec_b32 s50, s21
	s_cbranch_execz .LBB48_896
.LBB48_1144:                            ;   in Loop: Header=BB48_3 Depth=1
	ds_load_b64 v[34:35], v57 offset:27072
	ds_load_b64 v[36:37], v53 offset:24992
	s_wait_dscnt 0x0
	v_fmac_f64_e32 v[32:33], v[34:35], v[36:37]
	s_or_b32 exec_lo, exec_lo, s50
	s_and_saveexec_b32 s50, s22
	s_cbranch_execz .LBB48_897
.LBB48_1145:                            ;   in Loop: Header=BB48_3 Depth=1
	ds_load_b64 v[34:35], v58 offset:27584
	ds_load_b64 v[36:37], v53 offset:25000
	s_wait_dscnt 0x0
	v_fmac_f64_e32 v[32:33], v[34:35], v[36:37]
	s_or_b32 exec_lo, exec_lo, s50
	s_and_saveexec_b32 s50, s2
	s_cbranch_execz .LBB48_898
.LBB48_1146:                            ;   in Loop: Header=BB48_3 Depth=1
	ds_load_b64 v[34:35], v57 offset:28096
	ds_load_b64 v[36:37], v53 offset:25008
	s_wait_dscnt 0x0
	v_fmac_f64_e32 v[32:33], v[34:35], v[36:37]
	s_or_b32 exec_lo, exec_lo, s50
	s_and_saveexec_b32 s50, s17
	s_cbranch_execnz .LBB48_899
	s_branch .LBB48_900
.LBB48_1147:                            ;   in Loop: Header=BB48_3 Depth=1
	ds_load_b64 v[34:35], v49 offset:29664
	ds_load_b64 v[36:37], v44 offset:29128
	s_wait_dscnt 0x0
	v_fmac_f64_e32 v[32:33], v[34:35], v[36:37]
	s_or_b32 exec_lo, exec_lo, s50
	s_and_saveexec_b32 s50, s17
	s_cbranch_execz .LBB48_956
.LBB48_1148:                            ;   in Loop: Header=BB48_3 Depth=1
	ds_load_b64 v[34:35], v48 offset:30176
	ds_load_b64 v[36:37], v44 offset:29136
	s_wait_dscnt 0x0
	v_fmac_f64_e32 v[32:33], v[34:35], v[36:37]
	s_or_b32 exec_lo, exec_lo, s50
	s_and_saveexec_b32 s50, s0
	s_cbranch_execnz .LBB48_957
	s_branch .LBB48_958
.LBB48_1149:
	s_endpgm
	.section	.rodata,"a",@progbits
	.p2align	6, 0x0
	.amdhsa_kernel _ZL19rocblas_trsv_deviceILi64ELi16ELb1ELb1ELb1ELb0EddPKdPdEviT7_lllT6_T8_lllPii
		.amdhsa_group_segment_fixed_size 41480
		.amdhsa_private_segment_fixed_size 0
		.amdhsa_kernarg_size 352
		.amdhsa_user_sgpr_count 2
		.amdhsa_user_sgpr_dispatch_ptr 0
		.amdhsa_user_sgpr_queue_ptr 0
		.amdhsa_user_sgpr_kernarg_segment_ptr 1
		.amdhsa_user_sgpr_dispatch_id 0
		.amdhsa_user_sgpr_kernarg_preload_length 0
		.amdhsa_user_sgpr_kernarg_preload_offset 0
		.amdhsa_user_sgpr_private_segment_size 0
		.amdhsa_wavefront_size32 1
		.amdhsa_uses_dynamic_stack 0
		.amdhsa_enable_private_segment 0
		.amdhsa_system_sgpr_workgroup_id_x 1
		.amdhsa_system_sgpr_workgroup_id_y 0
		.amdhsa_system_sgpr_workgroup_id_z 1
		.amdhsa_system_sgpr_workgroup_info 0
		.amdhsa_system_vgpr_workitem_id 1
		.amdhsa_next_free_vgpr 99
		.amdhsa_next_free_sgpr 105
		.amdhsa_named_barrier_count 0
		.amdhsa_reserve_vcc 1
		.amdhsa_float_round_mode_32 0
		.amdhsa_float_round_mode_16_64 0
		.amdhsa_float_denorm_mode_32 3
		.amdhsa_float_denorm_mode_16_64 3
		.amdhsa_fp16_overflow 0
		.amdhsa_memory_ordered 1
		.amdhsa_forward_progress 1
		.amdhsa_inst_pref_size 255
		.amdhsa_round_robin_scheduling 0
		.amdhsa_exception_fp_ieee_invalid_op 0
		.amdhsa_exception_fp_denorm_src 0
		.amdhsa_exception_fp_ieee_div_zero 0
		.amdhsa_exception_fp_ieee_overflow 0
		.amdhsa_exception_fp_ieee_underflow 0
		.amdhsa_exception_fp_ieee_inexact 0
		.amdhsa_exception_int_div_zero 0
	.end_amdhsa_kernel
	.section	.text._ZL19rocblas_trsv_deviceILi64ELi16ELb1ELb1ELb1ELb0EddPKdPdEviT7_lllT6_T8_lllPii,"axG",@progbits,_ZL19rocblas_trsv_deviceILi64ELi16ELb1ELb1ELb1ELb0EddPKdPdEviT7_lllT6_T8_lllPii,comdat
.Lfunc_end48:
	.size	_ZL19rocblas_trsv_deviceILi64ELi16ELb1ELb1ELb1ELb0EddPKdPdEviT7_lllT6_T8_lllPii, .Lfunc_end48-_ZL19rocblas_trsv_deviceILi64ELi16ELb1ELb1ELb1ELb0EddPKdPdEviT7_lllT6_T8_lllPii
                                        ; -- End function
	.set _ZL19rocblas_trsv_deviceILi64ELi16ELb1ELb1ELb1ELb0EddPKdPdEviT7_lllT6_T8_lllPii.num_vgpr, 99
	.set _ZL19rocblas_trsv_deviceILi64ELi16ELb1ELb1ELb1ELb0EddPKdPdEviT7_lllT6_T8_lllPii.num_agpr, 0
	.set _ZL19rocblas_trsv_deviceILi64ELi16ELb1ELb1ELb1ELb0EddPKdPdEviT7_lllT6_T8_lllPii.numbered_sgpr, 105
	.set _ZL19rocblas_trsv_deviceILi64ELi16ELb1ELb1ELb1ELb0EddPKdPdEviT7_lllT6_T8_lllPii.num_named_barrier, 0
	.set _ZL19rocblas_trsv_deviceILi64ELi16ELb1ELb1ELb1ELb0EddPKdPdEviT7_lllT6_T8_lllPii.private_seg_size, 0
	.set _ZL19rocblas_trsv_deviceILi64ELi16ELb1ELb1ELb1ELb0EddPKdPdEviT7_lllT6_T8_lllPii.uses_vcc, 1
	.set _ZL19rocblas_trsv_deviceILi64ELi16ELb1ELb1ELb1ELb0EddPKdPdEviT7_lllT6_T8_lllPii.uses_flat_scratch, 0
	.set _ZL19rocblas_trsv_deviceILi64ELi16ELb1ELb1ELb1ELb0EddPKdPdEviT7_lllT6_T8_lllPii.has_dyn_sized_stack, 0
	.set _ZL19rocblas_trsv_deviceILi64ELi16ELb1ELb1ELb1ELb0EddPKdPdEviT7_lllT6_T8_lllPii.has_recursion, 0
	.set _ZL19rocblas_trsv_deviceILi64ELi16ELb1ELb1ELb1ELb0EddPKdPdEviT7_lllT6_T8_lllPii.has_indirect_call, 0
	.section	.AMDGPU.csdata,"",@progbits
; Kernel info:
; codeLenInByte = 35580
; TotalNumSgprs: 107
; NumVgprs: 99
; ScratchSize: 0
; MemoryBound: 0
; FloatMode: 240
; IeeeMode: 1
; LDSByteSize: 41480 bytes/workgroup (compile time only)
; SGPRBlocks: 0
; VGPRBlocks: 6
; NumSGPRsForWavesPerEU: 107
; NumVGPRsForWavesPerEU: 99
; NamedBarCnt: 0
; Occupancy: 9
; WaveLimiterHint : 0
; COMPUTE_PGM_RSRC2:SCRATCH_EN: 0
; COMPUTE_PGM_RSRC2:USER_SGPR: 2
; COMPUTE_PGM_RSRC2:TRAP_HANDLER: 0
; COMPUTE_PGM_RSRC2:TGID_X_EN: 1
; COMPUTE_PGM_RSRC2:TGID_Y_EN: 0
; COMPUTE_PGM_RSRC2:TGID_Z_EN: 1
; COMPUTE_PGM_RSRC2:TIDIG_COMP_CNT: 1
	.section	.text._ZL19rocblas_trsv_deviceILi64ELi16ELb0ELb0ELb0ELb1E19rocblas_complex_numIfEPKS1_S3_PS1_EviT7_lllT6_T8_lllPii,"axG",@progbits,_ZL19rocblas_trsv_deviceILi64ELi16ELb0ELb0ELb0ELb1E19rocblas_complex_numIfEPKS1_S3_PS1_EviT7_lllT6_T8_lllPii,comdat
	.globl	_ZL19rocblas_trsv_deviceILi64ELi16ELb0ELb0ELb0ELb1E19rocblas_complex_numIfEPKS1_S3_PS1_EviT7_lllT6_T8_lllPii ; -- Begin function _ZL19rocblas_trsv_deviceILi64ELi16ELb0ELb0ELb0ELb1E19rocblas_complex_numIfEPKS1_S3_PS1_EviT7_lllT6_T8_lllPii
	.p2align	8
	.type	_ZL19rocblas_trsv_deviceILi64ELi16ELb0ELb0ELb0ELb1E19rocblas_complex_numIfEPKS1_S3_PS1_EviT7_lllT6_T8_lllPii,@function
_ZL19rocblas_trsv_deviceILi64ELi16ELb0ELb0ELb0ELb1E19rocblas_complex_numIfEPKS1_S3_PS1_EviT7_lllT6_T8_lllPii: ; @_ZL19rocblas_trsv_deviceILi64ELi16ELb0ELb0ELb0ELb1E19rocblas_complex_numIfEPKS1_S3_PS1_EviT7_lllT6_T8_lllPii
; %bb.0:
	s_load_b32 s100, s[0:1], 0x58
	s_bfe_u32 s2, ttmp6, 0x40014
	s_lshr_b32 s3, ttmp7, 16
	s_add_co_i32 s2, s2, 1
	s_bfe_u32 s5, ttmp6, 0x40008
	s_mul_i32 s4, s3, s2
	s_getreg_b32 s2, hwreg(HW_REG_IB_STS2, 6, 4)
	s_add_co_i32 s5, s5, s4
	s_cmp_eq_u32 s2, 0
	s_mov_b32 s85, 0
	s_cselect_b32 s84, s3, s5
	s_wait_kmcnt 0x0
	s_cmp_ge_u32 s84, s100
	s_cbranch_scc1 .LBB49_1050
; %bb.1:
	s_clause 0x3
	s_load_b512 s[64:79], s[0:1], 0x8
	s_load_b32 s3, s[0:1], 0x6c
	s_load_b32 s102, s[0:1], 0x60
	;; [unrolled: 1-line block ×3, first 2 shown]
	s_bfe_u32 s5, ttmp6, 0x4000c
	s_and_b32 s4, ttmp6, 15
	s_add_co_i32 s5, s5, 1
                                        ; implicit-def: $vgpr88 : SGPR spill to VGPR lane
	v_bfe_u32 v2, v0, 10, 10
	s_mul_i32 s5, ttmp9, s5
	v_and_b32_e32 v4, 0x3ff, v0
	s_add_co_i32 s8, s4, s5
	v_dual_mov_b32 v7, 0 :: v_dual_lshrrev_b32 v5, 10, v0
	v_and_b32_e32 v1, 1, v0
	s_delay_alu instid0(VALU_DEP_3) | instskip(SKIP_3) | instid1(VALU_DEP_4)
	v_lshl_add_u32 v42, v2, 6, v4
	v_dual_lshlrev_b32 v46, 3, v4 :: v_dual_add_nc_u32 v38, 32, v2
	v_add_nc_u32_e32 v36, 48, v2
	v_bitop3_b32 v43, v0, v5, 0x3ff bitop3:0xa8
	v_lshrrev_b32_e32 v3, 1, v42
	s_wait_kmcnt 0x0
	s_lshl_b64 s[6:7], s[66:67], 3
	s_lshl_b64 s[4:5], s[76:77], 3
	s_cmp_eq_u32 s2, 0
	s_add_nc_u64 s[6:7], s[64:65], s[6:7]
	s_cselect_b32 s101, ttmp9, s8
	s_add_co_i32 s2, s86, -1
	s_ashr_i32 s87, s86, 31
	s_and_b32 s8, s3, 0xffff
	s_ashr_i32 s3, s2, 31
	s_lshr_b32 s9, s87, 26
	s_lshr_b32 s3, s3, 26
	s_add_co_i32 s9, s86, s9
	s_add_co_i32 s102, s102, -1
	s_add_co_i32 s2, s2, s3
	s_and_not1_b32 s9, s9, 63
	s_sub_co_i32 s36, s102, s101
	s_ashr_i32 s2, s2, 6
	s_sub_co_i32 s16, s86, s9
	s_cmp_eq_u32 s2, s36
	s_add_nc_u64 s[4:5], s[74:75], s[4:5]
	s_cselect_b32 s2, -1, 0
	s_cmp_lg_u32 s16, 0
	v_lshl_add_u32 v5, v3, 3, 0x8000
	s_cselect_b32 s3, -1, 0
	v_mad_u32_u24 v6, v2, s8, v4
	s_and_b32 s11, s3, s2
	s_add_nc_u64 s[2:3], s[68:69], 1
	s_xor_b32 s103, s11, -1
	s_cmp_lg_u32 s101, 0
	v_cmp_gt_i32_e32 vcc_lo, s16, v4
	s_cselect_b32 s9, -1, 0
	s_lshl_b32 s12, s36, 6
	v_writelane_b32 v88, s9, 0
	v_dual_add_nc_u32 v14, s12, v2 :: v_dual_add_nc_u32 v8, s12, v4
	s_ashr_i32 s13, s12, 31
	v_lshlrev_b32_e32 v3, 9, v3
	v_writelane_b32 v88, s6, 1
	s_delay_alu instid0(VALU_DEP_3) | instskip(SKIP_3) | instid1(VALU_DEP_2)
	v_dual_add_nc_u32 v12, 64, v14 :: v_dual_ashrrev_i32 v9, 31, v8
	s_cmp_gt_i32 s101, 4
	s_mul_u64 s[14:15], s[2:3], s[12:13]
	v_writelane_b32 v88, s7, 2
	v_ashrrev_i32_e32 v13, 31, v12
	s_cselect_b32 s3, -1, 0
	v_dual_lshlrev_b32 v44, 3, v1 :: v_dual_sub_nc_u32 v45, 0, v3
	v_writelane_b32 v88, s4, 3
	s_and_b32 vcc_hi, s3, s103
	v_mul_u64_e32 v[10:11], s[68:69], v[12:13]
	v_cmp_gt_u32_e64 s3, 4, v42
	v_dual_sub_nc_u32 v47, v44, v3 :: v_dual_bitop2_b32 v13, 3, v0 bitop3:0x40
	v_writelane_b32 v88, s5, 4
	v_cmp_eq_u32_e64 s4, 1, v1
	v_cmp_eq_u32_e64 s5, 0, v1
	v_lshrrev_b32_e32 v1, 2, v42
	v_cmp_ne_u32_e64 s6, 3, v13
	v_cmp_eq_u32_e64 s7, 2, v13
	s_and_b32 s45, s4, s3
	s_and_b32 s46, s5, s3
	v_lshlrev_b32_e32 v3, 9, v1
	v_cmp_gt_u32_e64 s4, 16, v42
	v_cmp_eq_u32_e64 s5, 3, v13
	v_lshlrev_b32_e32 v49, 3, v13
	v_cmp_eq_u32_e64 s8, 1, v13
	v_lshl_add_u32 v48, v1, 3, 0x8000
	s_and_b32 s48, s6, s4
	s_and_b32 s47, s5, s4
	v_cmp_gt_u32_e64 s5, 2, v13
	v_cmp_eq_u32_e64 s6, 0, v13
	v_dual_lshlrev_b32 v13, 6, v42 :: v_dual_sub_nc_u32 v50, 0, v3
	v_dual_sub_nc_u32 v51, v49, v3 :: v_dual_bitop2_b32 v15, 7, v0 bitop3:0x40
	s_and_b32 s49, s7, s4
	s_and_b32 s50, s5, s4
	;; [unrolled: 1-line block ×3, first 2 shown]
	v_cmp_gt_u32_e64 s5, 64, v42
	v_cmp_eq_u32_e64 s6, 7, v15
	v_cmp_ne_u32_e64 s7, 7, v15
	s_and_b32 s51, s8, s4
	v_and_b32_e32 v1, 0x1fff8, v42
	v_cmp_eq_u32_e64 s8, 6, v15
	s_and_b32 s53, s6, s5
	s_and_b32 s54, s7, s5
	v_cmp_eq_u32_e64 s6, 5, v15
	v_cmp_gt_u32_e64 s7, 5, v15
	v_add_nc_u32_e32 v52, 0x8000, v1
	v_and_b32_e32 v1, 0xfffffe00, v13
	v_cmp_gt_u32_e64 s9, 6, v15
	s_and_b32 s57, s6, s5
	v_cmp_gt_u32_e64 s6, 4, v15
	s_and_b32 s58, s7, s5
	;; [unrolled: 2-line block ×3, first 2 shown]
	v_cmp_eq_u32_e64 s8, 4, v15
	s_and_b32 s60, s6, s5
	v_cmp_eq_u32_e64 s6, 2, v15
	s_and_b32 s62, s7, s5
	v_cmp_eq_u32_e64 s7, 1, v15
	v_dual_lshrrev_b32 v3, 4, v42 :: v_dual_bitop2_b32 v13, 15, v0 bitop3:0x40
	s_and_b32 s56, s9, s5
	v_cmp_eq_u32_e64 s9, 3, v15
	s_and_b32 s59, s8, s5
	v_cmp_gt_u32_e64 s8, 2, v15
	s_and_b32 s63, s6, s5
	s_and_b32 s65, s7, s5
	v_cmp_gt_u32_e64 s6, 0x100, v42
	v_cmp_eq_u32_e64 s7, 15, v13
	s_and_b32 s61, s9, s5
	v_cmp_eq_u32_e64 s9, 0, v15
	s_and_b32 s64, s8, s5
	v_cmp_ne_u32_e64 s8, 15, v13
	s_and_b32 s7, s7, s6
	v_cmp_gt_u32_e64 s10, 14, v13
	v_writelane_b32 v88, s7, 5
	s_and_b32 s66, s9, s5
	v_cmp_eq_u32_e64 s9, 14, v13
	s_and_b32 s8, s8, s6
	v_cmp_eq_u32_e64 s7, 13, v13
	v_writelane_b32 v88, s8, 6
	v_dual_lshlrev_b32 v53, 3, v15 :: v_dual_sub_nc_u32 v54, 0, v1
	s_and_b32 s8, s9, s6
	s_and_b32 s7, s7, s6
	v_writelane_b32 v88, s8, 7
	s_and_b32 s8, s10, s6
	v_cmp_gt_u32_e64 s9, 12, v13
	v_cmp_eq_u32_e64 s10, 11, v13
	v_dual_sub_nc_u32 v55, v53, v1 :: v_dual_lshlrev_b32 v1, 9, v3
	v_writelane_b32 v88, s8, 8
	v_cmp_gt_u32_e64 s8, 13, v13
	v_lshl_add_u32 v56, v3, 3, 0x8000
	v_dual_lshlrev_b32 v57, 3, v13 :: v_dual_lshrrev_b32 v3, 5, v42
	v_writelane_b32 v88, s7, 9
	v_cmp_eq_u32_e64 s7, 12, v13
	s_and_b32 s8, s8, s6
	v_dual_sub_nc_u32 v58, 0, v1 :: v_dual_bitop2_b32 v59, 31, v0 bitop3:0x40
	v_writelane_b32 v88, s8, 10
	s_and_b32 s7, s7, s6
	v_cmp_gt_u32_e64 s8, 11, v13
	v_dual_sub_nc_u32 v60, v57, v1 :: v_dual_lshlrev_b32 v0, 9, v3
	v_writelane_b32 v88, s7, 11
	s_and_b32 s7, s9, s6
	s_and_b32 s38, s8, s6
	v_cmp_gt_u32_e64 s8, 10, v13
	v_cmp_eq_u32_e64 s9, 9, v13
	v_writelane_b32 v88, s7, 12
	s_and_b32 s7, s10, s6
	v_cmp_gt_u32_e64 s10, 9, v13
	s_and_b32 s41, s8, s6
	v_cmp_gt_u32_e64 s8, 8, v13
	v_writelane_b32 v88, s7, 13
	v_cmp_eq_u32_e64 s7, 10, v13
	s_and_b32 s42, s9, s6
	v_cmp_gt_u32_e64 s9, 7, v13
	s_and_b32 s40, s8, s6
	v_cmp_gt_u32_e64 s8, 6, v13
	s_and_b32 s39, s7, s6
	v_cmp_eq_u32_e64 s7, 8, v13
	s_and_b32 s43, s10, s6
	v_cmp_eq_u32_e64 s10, 6, v13
	s_and_b32 s28, s8, s6
	v_cmp_gt_u32_e64 s8, 5, v13
	s_and_b32 s44, s7, s6
	v_cmp_eq_u32_e64 s7, 7, v13
	s_and_b32 s24, s9, s6
	v_cmp_eq_u32_e64 s9, 4, v13
	s_and_b32 s104, s8, s6
	v_cmp_gt_u32_e64 s8, 3, v13
	s_and_b32 s22, s7, s6
	v_cmp_eq_u32_e64 s7, 5, v13
	v_dual_lshlrev_b32 v62, 3, v59 :: v_dual_sub_nc_u32 v63, 0, v0
	s_and_b32 s75, s8, s6
	v_cmp_eq_u32_e64 s8, 0, v13
	s_and_b32 s30, s7, s6
	v_cmp_eq_u32_e64 s7, 3, v13
	s_and_b32 s26, s10, s6
	v_cmp_gt_u32_e64 s10, 4, v13
	s_and_b32 s25, s8, s6
	v_cmp_le_i32_e64 s8, s16, v4
	s_and_b32 s74, s7, s6
	v_cmp_eq_u32_e64 s7, 2, v13
	s_and_b32 s76, s9, s6
	v_cmp_gt_u32_e64 s9, 2, v13
	v_dual_sub_nc_u32 v64, v62, v0 :: v_dual_add_nc_u32 v40, 16, v2
	s_and_b32 s77, s10, s6
	v_cmp_eq_u32_e64 s10, 1, v13
	s_and_b32 s67, s7, s6
	v_cmp_eq_u32_e64 s7, 0, v2
	s_and_b32 s27, s8, s11
	s_and_b32 s21, s9, s6
	s_xor_b32 s9, s27, -1
	v_add_nc_u64_e32 v[16:17], s[12:13], v[6:7]
	v_cmp_le_i32_e64 s11, s16, v40
	v_cmp_le_i32_e64 s13, s16, v36
	s_and_b32 s23, s10, s6
	s_and_b32 s29, s7, s9
	s_cmp_gt_i32 s101, 0
	v_cmp_gt_i32_e64 s2, s86, v8
	v_lshl_add_u32 v61, v3, 3, 0x8000
	s_cselect_b32 s31, -1, 0
	v_cmp_gt_i32_e64 s9, s86, v12
	v_dual_mov_b32 v28, 0 :: v_dual_add_nc_u32 v3, 0x50, v14
	v_cmp_le_i32_e64 s10, s16, v2
	v_cmp_le_i32_e64 s12, s16, v38
	s_or_b32 s16, s11, s8
	s_or_b32 s11, s13, s8
	s_and_b32 s13, s7, vcc_lo
	v_dual_mov_b32 v39, v7 :: v_dual_add_nc_u32 v12, 0x60, v14
	v_writelane_b32 v88, s13, 14
	s_or_b32 s17, s10, s8
	s_or_b32 s12, s12, s8
	v_cmp_gt_i32_e64 s8, s86, v3
	s_and_b32 s9, s2, s9
	v_cmp_gt_i32_e64 s10, s86, v12
	v_writelane_b32 v88, s9, 15
                                        ; implicit-def: $vgpr87 : SGPR spill to VGPR lane
	v_add_max_i32_e64 v78, 0x70, v14, v8
	s_and_b32 s8, s2, s8
	v_lshl_add_u32 v66, v2, 3, 0xa000
	v_dual_mov_b32 v41, v7 :: v_dual_add_nc_u32 v68, 0x8000, v46
	v_writelane_b32 v88, s8, 16
	s_and_b32 s8, s2, s10
	s_delay_alu instid0(VALU_DEP_3)
	v_dual_add_nc_u32 v70, v66, v46 :: v_dual_bitop2_b32 v79, v40, v4 bitop3:0x54
	v_mbcnt_lo_u32_b32 v20, -1, 0
	v_writelane_b32 v88, s8, 17
	v_cmp_le_u32_e64 s8, v2, v4
	v_mul_u64_e32 v[12:13], s[78:79], v[16:17]
	v_mul_u64_e32 v[16:17], s[68:69], v[40:41]
	v_dual_mov_b32 v37, v7 :: v_dual_bitop2_b32 v41, v38, v4 bitop3:0x54
	s_delay_alu instid0(VALU_DEP_4)
	v_writelane_b32 v88, s8, 18
	s_or_b32 s8, s17, s8
	v_lshlrev_b32_e32 v29, 20, v20
	v_mul_u64_e32 v[18:19], s[68:69], v[38:39]
	v_or_b32_e32 v39, v36, v4
	v_writelane_b32 v88, s8, 19
	v_cmp_le_u32_e64 s8, v40, v4
	v_add_nc_u64_e32 v[22:23], src_flat_scratch_base_lo, v[28:29]
	v_dual_mov_b32 v28, 8 :: v_dual_mov_b32 v3, v7
	v_mul_u64_e32 v[0:1], s[78:79], v[8:9]
	s_delay_alu instid0(VALU_DEP_4) | instskip(SKIP_1) | instid1(VALU_DEP_3)
	v_writelane_b32 v88, s8, 20
	s_or_b32 s8, s16, s8
	v_add_nc_u64_e32 v[24:25], src_flat_scratch_base_lo, v[28:29]
	v_mov_b32_e32 v28, 16
	v_mul_u64_e32 v[14:15], s[68:69], v[2:3]
	v_writelane_b32 v88, s8, 21
	v_cmp_le_u32_e64 s8, v38, v4
	v_mul_u64_e32 v[20:21], s[68:69], v[36:37]
                                        ; implicit-def: $vgpr86 : SGPR spill to VGPR lane
	s_load_b128 s[80:83], s[0:1], 0x48
	v_add_nc_u64_e32 v[26:27], src_flat_scratch_base_lo, v[28:29]
	v_dual_mov_b32 v28, 24 :: v_dual_add_nc_u32 v75, 0x7800, v46
	v_writelane_b32 v88, s8, 22
	s_or_b32 s8, s12, s8
	v_mov_b64_e32 v[32:33], 0
	s_delay_alu instid0(VALU_DEP_3)
	v_add_nc_u64_e32 v[28:29], src_flat_scratch_base_lo, v[28:29]
	v_mov_b64_e32 v[34:35], 0x3f800000
	v_writelane_b32 v88, s8, 23
	v_cmp_le_u32_e64 s8, v36, v4
	v_cmp_lt_u32_e32 vcc_lo, 0x3ff, v42
	v_lshl_add_u32 v65, v6, 3, 0xa000
	v_lshl_add_u32 v67, v42, 3, 0x8000
	;; [unrolled: 1-line block ×3, first 2 shown]
	v_writelane_b32 v88, s8, 24
	s_or_b32 s8, s11, s8
	v_lshl_add_u32 v3, v40, 9, v46
	v_lshl_add_u32 v71, v38, 9, v46
	;; [unrolled: 1-line block ×3, first 2 shown]
	v_writelane_b32 v88, s8, 25
	v_cmp_gt_u32_e64 s8, 0xf0, v42
	v_or_b32_e32 v73, 0x3800, v62
	v_subrev_nc_u32_e32 v74, 31, v59
	v_subrev_nc_u32_e32 v76, 63, v4
	s_lshl_b64 s[88:89], s[14:15], 3
	v_writelane_b32 v88, s8, 26
	v_cmp_gt_u32_e64 s8, 0xe0, v42
	v_dual_mov_b32 v31, v7 :: v_dual_lshlrev_b32 v30, 3, v4
	v_add_nc_u32_e64 v77, 0x7800, 0
	v_cmp_eq_u32_e64 s12, 0, v43
	s_delay_alu instid0(VALU_DEP_4)
	v_writelane_b32 v88, s8, 27
	v_cmp_gt_u32_e64 s8, 0xd0, v42
	v_cmp_gt_u32_e64 s13, 2, v42
	;; [unrolled: 1-line block ×5, first 2 shown]
	v_writelane_b32 v88, s8, 28
	v_cmp_gt_u32_e64 s8, 0xc0, v42
	v_cmp_gt_u32_e64 s17, 48, v42
	;; [unrolled: 1-line block ×5, first 2 shown]
	v_writelane_b32 v88, s8, 29
	v_cmp_gt_u32_e64 s8, 0xb0, v42
	v_cmp_gt_u32_e64 s33, 0x400, v42
	v_cmp_eq_u32_e64 s34, 0, v6
	v_cmp_gt_u32_e64 s35, 64, v6
	s_add_co_i32 s36, s36, 1
	v_writelane_b32 v88, s8, 30
	v_cmp_gt_u32_e64 s8, 0xa0, v42
	s_xor_b32 s10, vcc_lo, -1
	s_lshl_b64 s[90:91], s[68:69], 7
	s_lshl_b64 s[92:93], s[68:69], 8
	s_mul_u64 s[94:95], s[68:69], 0x180
	v_writelane_b32 v88, s8, 31
	v_cmp_gt_u32_e64 s8, 0x90, v42
	s_delay_alu instid0(VALU_DEP_1) | instskip(SKIP_1) | instid1(VALU_DEP_1)
	v_writelane_b32 v87, s8, 0
	v_cmp_gt_u32_e64 s8, 0x80, v42
	v_writelane_b32 v87, s8, 1
	v_cmp_gt_u32_e64 s8, 0x70, v42
	s_delay_alu instid0(VALU_DEP_1) | instskip(SKIP_1) | instid1(VALU_DEP_1)
	v_writelane_b32 v87, s8, 2
	v_cmp_gt_u32_e64 s8, 0x60, v42
	v_writelane_b32 v87, s8, 3
	v_cmp_gt_u32_e64 s8, 0x50, v42
	s_delay_alu instid0(VALU_DEP_1) | instskip(SKIP_1) | instid1(VALU_DEP_1)
	v_writelane_b32 v87, s8, 4
	v_cmp_le_u32_e64 s8, v4, v2
	v_writelane_b32 v87, s8, 5
	v_cmp_le_u32_e64 s8, v4, v40
	s_delay_alu instid0(VALU_DEP_1) | instskip(SKIP_1) | instid1(VALU_DEP_1)
	v_writelane_b32 v87, s8, 6
	v_cmp_le_u32_e64 s8, v4, v38
	v_writelane_b32 v87, s8, 7
	v_cmp_le_u32_e64 s8, v4, v36
	s_delay_alu instid0(VALU_DEP_1) | instskip(SKIP_1) | instid1(VALU_DEP_1)
	v_writelane_b32 v87, s8, 8
	v_cmp_le_i32_e64 s8, s86, v78
	v_writelane_b32 v87, s8, 9
	v_cmp_gt_u32_e64 s8, 64, v43
	s_delay_alu instid0(VALU_DEP_1) | instskip(SKIP_1) | instid1(VALU_DEP_1)
	v_writelane_b32 v87, s8, 10
	v_cmp_gt_u32_e64 s8, 64, v79
	v_writelane_b32 v87, s8, 11
	v_cmp_gt_u32_e64 s8, 64, v41
	s_delay_alu instid0(VALU_DEP_1) | instskip(SKIP_1) | instid1(VALU_DEP_1)
	v_writelane_b32 v87, s8, 12
	v_cmp_gt_u32_e64 s8, 64, v39
	;; [unrolled: 5-line block ×13, first 2 shown]
	v_writelane_b32 v86, s8, 3
	v_cmp_gt_u32_e64 s8, 0x120, v42
	s_delay_alu instid0(VALU_DEP_1)
	v_writelane_b32 v86, s8, 4
	s_branch .LBB49_3
.LBB49_2:                               ;   in Loop: Header=BB49_3 Depth=1
	s_wait_xcnt 0x0
	s_or_b32 exec_lo, exec_lo, s0
	s_add_co_i32 s84, s84, 0x10000
	global_wb scope:SCOPE_DEV
	s_wait_storecnt 0x0
	global_inv scope:SCOPE_DEV
	s_cmp_lt_u32 s84, s100
	s_cbranch_scc0 .LBB49_1050
.LBB49_3:                               ; =>This Loop Header: Depth=1
                                        ;     Child Loop BB49_524 Depth 2
                                        ;     Child Loop BB49_940 Depth 2
                                        ;       Child Loop BB49_942 Depth 3
                                        ;     Child Loop BB49_974 Depth 2
	global_load_b64 v[36:37], v7, s[72:73]
	v_readlane_b32 s8, v88, 0
	s_mul_u64 s[0:1], s[70:71], s[84:85]
	s_delay_alu instid0(SALU_CYCLE_1)
	s_lshl_b64 s[0:1], s[0:1], 3
	s_and_not1_b32 vcc_lo, exec_lo, s8
	v_readlane_b32 s8, v88, 1
	v_readlane_b32 s9, v88, 2
	s_add_nc_u64 s[0:1], s[8:9], s[0:1]
	s_cbranch_vccnz .LBB49_15
; %bb.4:                                ;   in Loop: Header=BB49_3 Depth=1
	v_lshl_add_u64 v[38:39], v[10:11], 3, s[0:1]
	v_dual_mov_b32 v40, 0 :: v_dual_mov_b32 v42, 0
	v_mov_b32_e32 v43, 0
	v_readlane_b32 s9, v88, 15
	s_delay_alu instid0(VALU_DEP_4)
	v_lshl_add_u64 v[38:39], v[8:9], 3, v[38:39]
	s_wait_loadcnt 0x0
	s_barrier_signal -1
	s_barrier_wait -1
	s_wait_xcnt 0x0
	s_and_saveexec_b32 s8, s9
	s_cbranch_execz .LBB49_6
; %bb.5:                                ;   in Loop: Header=BB49_3 Depth=1
	global_load_b64 v[42:43], v[38:39], off
.LBB49_6:                               ;   in Loop: Header=BB49_3 Depth=1
	s_wait_xcnt 0x0
	s_or_b32 exec_lo, exec_lo, s8
	v_mov_b32_e32 v41, 0
	v_readlane_b32 s9, v88, 16
	s_wait_loadcnt 0x0
	scratch_store_b64 off, v[42:43], off
	s_wait_storecnt 0x0
	s_barrier_signal -1
	s_barrier_wait -1
	s_wait_xcnt 0x0
	s_and_saveexec_b32 s8, s9
	s_cbranch_execz .LBB49_8
; %bb.7:                                ;   in Loop: Header=BB49_3 Depth=1
	v_add_nc_u64_e32 v[40:41], s[90:91], v[38:39]
	global_load_b64 v[40:41], v[40:41], off
.LBB49_8:                               ;   in Loop: Header=BB49_3 Depth=1
	s_wait_xcnt 0x0
	s_or_b32 exec_lo, exec_lo, s8
	s_wait_loadcnt 0x0
	scratch_store_b64 off, v[40:41], off offset:8
	s_wait_xcnt 0x0
	v_dual_mov_b32 v40, 0 :: v_dual_mov_b32 v41, 0
	v_readlane_b32 s9, v88, 17
	s_wait_storecnt 0x0
	s_barrier_signal -1
	s_barrier_wait -1
	s_and_saveexec_b32 s8, s9
	s_cbranch_execz .LBB49_10
; %bb.9:                                ;   in Loop: Header=BB49_3 Depth=1
	v_add_nc_u64_e32 v[40:41], s[92:93], v[38:39]
	global_load_b64 v[40:41], v[40:41], off
.LBB49_10:                              ;   in Loop: Header=BB49_3 Depth=1
	s_wait_xcnt 0x0
	s_or_b32 exec_lo, exec_lo, s8
	v_readlane_b32 s9, v87, 9
	s_wait_loadcnt 0x0
	scratch_store_b64 off, v[40:41], off offset:16
	s_wait_storecnt 0x0
	s_barrier_signal -1
	s_barrier_wait -1
	s_wait_xcnt 0x0
	s_and_saveexec_b32 s8, s9
	s_delay_alu instid0(SALU_CYCLE_1)
	s_xor_b32 s8, exec_lo, s8
	s_cbranch_execz .LBB49_12
; %bb.11:                               ;   in Loop: Header=BB49_3 Depth=1
	scratch_store_b64 off, v[32:33], off offset:24
                                        ; implicit-def: $vgpr38_vgpr39
.LBB49_12:                              ;   in Loop: Header=BB49_3 Depth=1
	s_wait_xcnt 0x0
	s_and_not1_saveexec_b32 s8, s8
	s_cbranch_execz .LBB49_14
; %bb.13:                               ;   in Loop: Header=BB49_3 Depth=1
	v_add_nc_u64_e32 v[38:39], s[94:95], v[38:39]
	global_load_b64 v[38:39], v[38:39], off
	s_wait_loadcnt 0x0
	scratch_store_b64 off, v[38:39], off offset:24
.LBB49_14:                              ;   in Loop: Header=BB49_3 Depth=1
	s_wait_xcnt 0x0
	s_or_b32 exec_lo, exec_lo, s8
.LBB49_15:                              ;   in Loop: Header=BB49_3 Depth=1
	s_add_nc_u64 s[96:97], s[0:1], s[88:89]
	s_and_not1_b32 vcc_lo, exec_lo, s103
	v_add_nc_u64_e32 v[38:39], s[96:97], v[30:31]
	s_mov_b32 s8, -1
	s_cbranch_vccnz .LBB49_41
; %bb.16:                               ;   in Loop: Header=BB49_3 Depth=1
	v_readlane_b32 s9, v88, 18
	s_wait_xcnt 0x0
	s_and_saveexec_b32 s8, s9
	s_delay_alu instid0(SALU_CYCLE_1)
	s_xor_b32 s8, exec_lo, s8
	s_cbranch_execz .LBB49_20
; %bb.17:                               ;   in Loop: Header=BB49_3 Depth=1
	v_readlane_b32 s9, v87, 10
	s_and_saveexec_b32 s11, s9
; %bb.18:                               ;   in Loop: Header=BB49_3 Depth=1
	ds_store_b64 v69, v[32:33]
; %bb.19:                               ;   in Loop: Header=BB49_3 Depth=1
	s_or_b32 exec_lo, exec_lo, s11
.LBB49_20:                              ;   in Loop: Header=BB49_3 Depth=1
	s_and_not1_saveexec_b32 s8, s8
	s_cbranch_execz .LBB49_22
; %bb.21:                               ;   in Loop: Header=BB49_3 Depth=1
	v_lshl_add_u64 v[40:41], v[14:15], 3, v[38:39]
	global_load_b64 v[40:41], v[40:41], off
	s_wait_loadcnt 0x0
	v_pk_add_f32 v[40:41], v[40:41], 0 neg_lo:[1,1] neg_hi:[1,1]
	ds_store_b64 v69, v[40:41]
.LBB49_22:                              ;   in Loop: Header=BB49_3 Depth=1
	s_or_b32 exec_lo, exec_lo, s8
	v_readlane_b32 s9, v88, 20
	s_and_saveexec_b32 s8, s9
	s_delay_alu instid0(SALU_CYCLE_1)
	s_xor_b32 s8, exec_lo, s8
	s_cbranch_execz .LBB49_26
; %bb.23:                               ;   in Loop: Header=BB49_3 Depth=1
	v_readlane_b32 s9, v87, 11
	s_and_saveexec_b32 s11, s9
; %bb.24:                               ;   in Loop: Header=BB49_3 Depth=1
	ds_store_b64 v3, v[32:33]
; %bb.25:                               ;   in Loop: Header=BB49_3 Depth=1
	s_or_b32 exec_lo, exec_lo, s11
.LBB49_26:                              ;   in Loop: Header=BB49_3 Depth=1
	s_and_not1_saveexec_b32 s8, s8
	s_cbranch_execz .LBB49_28
; %bb.27:                               ;   in Loop: Header=BB49_3 Depth=1
	v_lshl_add_u64 v[40:41], v[16:17], 3, v[38:39]
	global_load_b64 v[40:41], v[40:41], off
	s_wait_loadcnt 0x0
	v_pk_add_f32 v[40:41], v[40:41], 0 neg_lo:[1,1] neg_hi:[1,1]
	ds_store_b64 v3, v[40:41]
.LBB49_28:                              ;   in Loop: Header=BB49_3 Depth=1
	s_or_b32 exec_lo, exec_lo, s8
	v_readlane_b32 s9, v88, 22
	;; [unrolled: 23-line block ×3, first 2 shown]
	s_and_saveexec_b32 s8, s9
	s_delay_alu instid0(SALU_CYCLE_1)
	s_xor_b32 s8, exec_lo, s8
	s_cbranch_execz .LBB49_38
; %bb.35:                               ;   in Loop: Header=BB49_3 Depth=1
	v_readlane_b32 s9, v87, 13
	s_and_saveexec_b32 s11, s9
; %bb.36:                               ;   in Loop: Header=BB49_3 Depth=1
	ds_store_b64 v72, v[32:33]
; %bb.37:                               ;   in Loop: Header=BB49_3 Depth=1
	s_or_b32 exec_lo, exec_lo, s11
.LBB49_38:                              ;   in Loop: Header=BB49_3 Depth=1
	s_and_not1_saveexec_b32 s8, s8
	s_cbranch_execz .LBB49_40
; %bb.39:                               ;   in Loop: Header=BB49_3 Depth=1
	v_lshl_add_u64 v[40:41], v[20:21], 3, v[38:39]
	global_load_b64 v[40:41], v[40:41], off
	s_wait_loadcnt 0x0
	v_pk_add_f32 v[40:41], v[40:41], 0 neg_lo:[1,1] neg_hi:[1,1]
	ds_store_b64 v72, v[40:41]
.LBB49_40:                              ;   in Loop: Header=BB49_3 Depth=1
	s_or_b32 exec_lo, exec_lo, s8
	s_mov_b32 s8, 0
.LBB49_41:                              ;   in Loop: Header=BB49_3 Depth=1
	s_delay_alu instid0(SALU_CYCLE_1)
	s_and_b32 vcc_lo, exec_lo, s8
	s_cbranch_vccz .LBB49_67
; %bb.42:                               ;   in Loop: Header=BB49_3 Depth=1
	v_readlane_b32 s9, v88, 19
	s_wait_xcnt 0x0
	s_and_saveexec_b32 s8, s9
	s_delay_alu instid0(SALU_CYCLE_1)
	s_xor_b32 s8, exec_lo, s8
	s_cbranch_execz .LBB49_46
; %bb.43:                               ;   in Loop: Header=BB49_3 Depth=1
	v_readlane_b32 s9, v87, 10
	s_and_saveexec_b32 s11, s9
; %bb.44:                               ;   in Loop: Header=BB49_3 Depth=1
	ds_store_b64 v69, v[32:33]
; %bb.45:                               ;   in Loop: Header=BB49_3 Depth=1
	s_or_b32 exec_lo, exec_lo, s11
.LBB49_46:                              ;   in Loop: Header=BB49_3 Depth=1
	s_and_not1_saveexec_b32 s8, s8
	s_cbranch_execz .LBB49_48
; %bb.47:                               ;   in Loop: Header=BB49_3 Depth=1
	v_lshl_add_u64 v[40:41], v[14:15], 3, v[38:39]
	global_load_b64 v[40:41], v[40:41], off
	s_wait_loadcnt 0x0
	v_pk_add_f32 v[40:41], v[40:41], 0 neg_lo:[1,1] neg_hi:[1,1]
	ds_store_b64 v69, v[40:41]
.LBB49_48:                              ;   in Loop: Header=BB49_3 Depth=1
	s_or_b32 exec_lo, exec_lo, s8
	v_readlane_b32 s9, v88, 21
	s_and_saveexec_b32 s8, s9
	s_delay_alu instid0(SALU_CYCLE_1)
	s_xor_b32 s8, exec_lo, s8
	s_cbranch_execz .LBB49_52
; %bb.49:                               ;   in Loop: Header=BB49_3 Depth=1
	v_readlane_b32 s9, v87, 11
	s_and_saveexec_b32 s11, s9
; %bb.50:                               ;   in Loop: Header=BB49_3 Depth=1
	ds_store_b64 v3, v[32:33]
; %bb.51:                               ;   in Loop: Header=BB49_3 Depth=1
	s_or_b32 exec_lo, exec_lo, s11
.LBB49_52:                              ;   in Loop: Header=BB49_3 Depth=1
	s_and_not1_saveexec_b32 s8, s8
	s_cbranch_execz .LBB49_54
; %bb.53:                               ;   in Loop: Header=BB49_3 Depth=1
	v_lshl_add_u64 v[40:41], v[16:17], 3, v[38:39]
	global_load_b64 v[40:41], v[40:41], off
	s_wait_loadcnt 0x0
	v_pk_add_f32 v[40:41], v[40:41], 0 neg_lo:[1,1] neg_hi:[1,1]
	ds_store_b64 v3, v[40:41]
.LBB49_54:                              ;   in Loop: Header=BB49_3 Depth=1
	s_or_b32 exec_lo, exec_lo, s8
	v_readlane_b32 s9, v88, 23
	;; [unrolled: 23-line block ×3, first 2 shown]
	s_and_saveexec_b32 s8, s9
	s_delay_alu instid0(SALU_CYCLE_1)
	s_xor_b32 s8, exec_lo, s8
	s_cbranch_execz .LBB49_64
; %bb.61:                               ;   in Loop: Header=BB49_3 Depth=1
	v_readlane_b32 s9, v87, 13
	s_and_saveexec_b32 s11, s9
; %bb.62:                               ;   in Loop: Header=BB49_3 Depth=1
	ds_store_b64 v72, v[32:33]
; %bb.63:                               ;   in Loop: Header=BB49_3 Depth=1
	s_or_b32 exec_lo, exec_lo, s11
                                        ; implicit-def: $vgpr38_vgpr39
.LBB49_64:                              ;   in Loop: Header=BB49_3 Depth=1
	s_and_not1_saveexec_b32 s8, s8
	s_cbranch_execz .LBB49_66
; %bb.65:                               ;   in Loop: Header=BB49_3 Depth=1
	v_lshl_add_u64 v[38:39], v[20:21], 3, v[38:39]
	global_load_b64 v[38:39], v[38:39], off
	s_wait_loadcnt 0x0
	v_pk_add_f32 v[38:39], v[38:39], 0 neg_lo:[1,1] neg_hi:[1,1]
	ds_store_b64 v72, v[38:39]
.LBB49_66:                              ;   in Loop: Header=BB49_3 Depth=1
	s_or_b32 exec_lo, exec_lo, s8
.LBB49_67:                              ;   in Loop: Header=BB49_3 Depth=1
	s_delay_alu instid0(SALU_CYCLE_1)
	s_and_not1_b32 vcc_lo, exec_lo, vcc_hi
	s_wait_storecnt 0x0
	s_wait_loadcnt_dscnt 0x0
	s_barrier_signal -1
	s_barrier_wait -1
	s_cbranch_vccnz .LBB49_935
; %bb.68:                               ;   in Loop: Header=BB49_3 Depth=1
	s_and_saveexec_b32 s8, s12
; %bb.69:                               ;   in Loop: Header=BB49_3 Depth=1
	ds_store_2addr_b64 v77, v[34:35], v[34:35] offset0:190 offset1:255
; %bb.70:                               ;   in Loop: Header=BB49_3 Depth=1
	s_or_b32 exec_lo, exec_lo, s8
	v_dual_mov_b32 v38, 0 :: v_dual_mov_b32 v39, 0
	s_wait_dscnt 0x0
	s_barrier_signal -1
	s_barrier_wait -1
	global_wb scope:SCOPE_DEV
	s_wait_storecnt 0x0
	global_inv scope:SCOPE_DEV
	s_and_saveexec_b32 s11, s3
	s_cbranch_execz .LBB49_74
; %bb.71:                               ;   in Loop: Header=BB49_3 Depth=1
	ds_load_b64 v[38:39], v44 offset:32224
	ds_load_b64 v[40:41], v45 offset:32752
	s_wait_dscnt 0x0
	v_pk_mul_f32 v[42:43], v[40:41], v[38:39] op_sel:[1,1] op_sel_hi:[0,1]
	s_delay_alu instid0(VALU_DEP_1) | instskip(SKIP_1) | instid1(VALU_DEP_2)
	v_pk_fma_f32 v[78:79], v[40:41], v[38:39], v[42:43] op_sel_hi:[1,0,1]
	v_pk_fma_f32 v[38:39], v[40:41], v[38:39], v[42:43] neg_lo:[0,0,1] neg_hi:[0,0,1]
	v_mov_b32_e32 v39, v79
	s_delay_alu instid0(VALU_DEP_1)
	v_pk_add_f32 v[38:39], v[38:39], 0 op_sel_hi:[1,0]
	s_and_saveexec_b32 s8, s13
	s_cbranch_execz .LBB49_73
; %bb.72:                               ;   in Loop: Header=BB49_3 Depth=1
	ds_load_b64 v[40:41], v46 offset:32736
	ds_load_b64 v[42:43], v7 offset:32760
	s_wait_dscnt 0x0
	v_pk_mul_f32 v[78:79], v[42:43], v[40:41] op_sel:[1,1] op_sel_hi:[0,1]
	s_delay_alu instid0(VALU_DEP_1) | instskip(SKIP_1) | instid1(VALU_DEP_2)
	v_pk_fma_f32 v[80:81], v[42:43], v[40:41], v[78:79] op_sel_hi:[1,0,1]
	v_pk_fma_f32 v[40:41], v[42:43], v[40:41], v[78:79] neg_lo:[0,0,1] neg_hi:[0,0,1]
	v_mov_b32_e32 v41, v81
	s_delay_alu instid0(VALU_DEP_1)
	v_pk_add_f32 v[38:39], v[38:39], v[40:41]
.LBB49_73:                              ;   in Loop: Header=BB49_3 Depth=1
	s_or_b32 exec_lo, exec_lo, s8
.LBB49_74:                              ;   in Loop: Header=BB49_3 Depth=1
	s_delay_alu instid0(SALU_CYCLE_1)
	s_or_b32 exec_lo, exec_lo, s11
	s_and_saveexec_b32 s8, s45
; %bb.75:                               ;   in Loop: Header=BB49_3 Depth=1
	s_delay_alu instid0(VALU_DEP_1)
	v_pk_add_f32 v[40:41], v[38:39], 0 neg_lo:[1,1] neg_hi:[1,1]
	ds_store_b64 v5, v[40:41]
; %bb.76:                               ;   in Loop: Header=BB49_3 Depth=1
	s_or_b32 exec_lo, exec_lo, s8
	s_wait_loadcnt_dscnt 0x0
	s_barrier_signal -1
	s_barrier_wait -1
	s_and_saveexec_b32 s8, s46
	s_cbranch_execz .LBB49_78
; %bb.77:                               ;   in Loop: Header=BB49_3 Depth=1
	ds_load_b64 v[40:41], v7 offset:31712
	ds_load_b64 v[42:43], v5
	s_wait_dscnt 0x0
	v_pk_mul_f32 v[78:79], v[42:43], v[40:41] op_sel_hi:[1,0]
	s_delay_alu instid0(VALU_DEP_1) | instskip(SKIP_1) | instid1(VALU_DEP_2)
	v_pk_fma_f32 v[80:81], v[42:43], v[40:41], v[78:79] op_sel:[1,1,0] op_sel_hi:[0,1,1]
	v_pk_fma_f32 v[40:41], v[42:43], v[40:41], v[78:79] op_sel:[1,1,0] op_sel_hi:[0,1,1] neg_lo:[0,0,1] neg_hi:[0,0,1]
	v_pk_add_f32 v[42:43], v[38:39], v[80:81] neg_lo:[0,1] neg_hi:[0,1]
	s_delay_alu instid0(VALU_DEP_2) | instskip(NEXT) | instid1(VALU_DEP_2)
	v_pk_add_f32 v[38:39], v[38:39], v[40:41]
	v_mov_b32_e32 v39, v43
.LBB49_78:                              ;   in Loop: Header=BB49_3 Depth=1
	s_or_b32 exec_lo, exec_lo, s8
	s_barrier_signal -1
	s_barrier_wait -1
	s_and_saveexec_b32 s8, s46
; %bb.79:                               ;   in Loop: Header=BB49_3 Depth=1
	v_pk_add_f32 v[40:41], v[38:39], 0 neg_lo:[1,1] neg_hi:[1,1]
	ds_store_b64 v5, v[40:41]
; %bb.80:                               ;   in Loop: Header=BB49_3 Depth=1
	s_or_b32 exec_lo, exec_lo, s8
	s_wait_dscnt 0x0
	s_barrier_signal -1
	s_barrier_wait -1
	s_barrier_signal -1
	s_barrier_wait -1
	s_and_saveexec_b32 s8, s3
; %bb.81:                               ;   in Loop: Header=BB49_3 Depth=1
	ds_store_b64 v47, v[38:39] offset:32736
; %bb.82:                               ;   in Loop: Header=BB49_3 Depth=1
	s_or_b32 exec_lo, exec_lo, s8
	s_wait_dscnt 0x0
	s_barrier_signal -1
	s_barrier_wait -1
	s_barrier_signal -1
	s_barrier_wait -1
	s_and_saveexec_b32 s8, s12
; %bb.83:                               ;   in Loop: Header=BB49_3 Depth=1
	ds_store_2addr_b64 v77, v[34:35], v[34:35] offset0:60 offset1:125
; %bb.84:                               ;   in Loop: Header=BB49_3 Depth=1
	s_or_b32 exec_lo, exec_lo, s8
	v_mov_b64_e32 v[38:39], 0
	s_wait_dscnt 0x0
	s_barrier_signal -1
	s_barrier_wait -1
	global_wb scope:SCOPE_DEV
	s_wait_storecnt 0x0
	global_inv scope:SCOPE_DEV
	s_and_saveexec_b32 s96, s4
	s_cbranch_execz .LBB49_90
; %bb.85:                               ;   in Loop: Header=BB49_3 Depth=1
	ds_load_b64 v[38:39], v49 offset:31168
	ds_load_b64 v[40:41], v50 offset:32736
	s_wait_dscnt 0x0
	v_dual_mul_f32 v42, v41, v39 :: v_dual_mul_f32 v39, v40, v39
	s_delay_alu instid0(VALU_DEP_1) | instskip(NEXT) | instid1(VALU_DEP_1)
	v_dual_fma_f32 v40, v40, v38, -v42 :: v_dual_fmac_f32 v39, v41, v38
	v_dual_add_f32 v38, 0, v40 :: v_dual_add_f32 v39, 0, v39
	s_and_saveexec_b32 s8, s14
	s_cbranch_execnz .LBB49_1000
; %bb.86:                               ;   in Loop: Header=BB49_3 Depth=1
	s_or_b32 exec_lo, exec_lo, s8
	s_and_saveexec_b32 s8, s15
	s_cbranch_execnz .LBB49_1001
.LBB49_87:                              ;   in Loop: Header=BB49_3 Depth=1
	s_or_b32 exec_lo, exec_lo, s8
	s_and_saveexec_b32 s8, s3
	s_cbranch_execz .LBB49_89
.LBB49_88:                              ;   in Loop: Header=BB49_3 Depth=1
	ds_load_b64 v[40:41], v46 offset:32704
	ds_load_b64 v[42:43], v7 offset:32760
	s_wait_dscnt 0x0
	v_pk_mul_f32 v[78:79], v[42:43], v[40:41] op_sel:[1,1] op_sel_hi:[0,1]
	s_delay_alu instid0(VALU_DEP_1) | instskip(SKIP_1) | instid1(VALU_DEP_2)
	v_pk_fma_f32 v[80:81], v[42:43], v[40:41], v[78:79] op_sel_hi:[1,0,1]
	v_pk_fma_f32 v[40:41], v[42:43], v[40:41], v[78:79] neg_lo:[0,0,1] neg_hi:[0,0,1]
	v_mov_b32_e32 v41, v81
	s_delay_alu instid0(VALU_DEP_1)
	v_pk_add_f32 v[38:39], v[38:39], v[40:41]
.LBB49_89:                              ;   in Loop: Header=BB49_3 Depth=1
	s_or_b32 exec_lo, exec_lo, s8
.LBB49_90:                              ;   in Loop: Header=BB49_3 Depth=1
	s_delay_alu instid0(SALU_CYCLE_1)
	s_or_b32 exec_lo, exec_lo, s96
	s_and_saveexec_b32 s8, s47
; %bb.91:                               ;   in Loop: Header=BB49_3 Depth=1
	s_delay_alu instid0(VALU_DEP_1)
	v_pk_add_f32 v[40:41], v[38:39], 0 neg_lo:[1,1] neg_hi:[1,1]
	ds_store_b64 v48, v[40:41]
; %bb.92:                               ;   in Loop: Header=BB49_3 Depth=1
	s_or_b32 exec_lo, exec_lo, s8
	s_wait_loadcnt_dscnt 0x0
	s_barrier_signal -1
	s_barrier_wait -1
	s_and_saveexec_b32 s8, s48
	s_cbranch_execz .LBB49_94
; %bb.93:                               ;   in Loop: Header=BB49_3 Depth=1
	ds_load_b64 v[40:41], v49 offset:30656
	ds_load_b64 v[42:43], v48
	s_wait_dscnt 0x0
	v_pk_mul_f32 v[78:79], v[42:43], v[40:41] op_sel:[1,1] op_sel_hi:[0,1]
	s_delay_alu instid0(VALU_DEP_1) | instskip(SKIP_1) | instid1(VALU_DEP_2)
	v_pk_fma_f32 v[80:81], v[42:43], v[40:41], v[78:79] op_sel_hi:[1,0,1]
	v_pk_fma_f32 v[40:41], v[42:43], v[40:41], v[78:79] neg_lo:[0,0,1] neg_hi:[0,0,1]
	v_mov_b32_e32 v41, v81
	s_delay_alu instid0(VALU_DEP_1)
	v_pk_add_f32 v[38:39], v[38:39], v[40:41] neg_lo:[0,1] neg_hi:[0,1]
.LBB49_94:                              ;   in Loop: Header=BB49_3 Depth=1
	s_or_b32 exec_lo, exec_lo, s8
	s_barrier_signal -1
	s_barrier_wait -1
	s_and_saveexec_b32 s8, s49
; %bb.95:                               ;   in Loop: Header=BB49_3 Depth=1
	v_pk_add_f32 v[40:41], v[38:39], 0 neg_lo:[1,1] neg_hi:[1,1]
	ds_store_b64 v48, v[40:41]
; %bb.96:                               ;   in Loop: Header=BB49_3 Depth=1
	s_or_b32 exec_lo, exec_lo, s8
	s_wait_dscnt 0x0
	s_barrier_signal -1
	s_barrier_wait -1
	s_and_saveexec_b32 s8, s50
	s_cbranch_execz .LBB49_98
; %bb.97:                               ;   in Loop: Header=BB49_3 Depth=1
	ds_load_b64 v[40:41], v49 offset:30144
	ds_load_b64 v[42:43], v48
	s_wait_dscnt 0x0
	v_pk_mul_f32 v[78:79], v[42:43], v[40:41] op_sel:[1,1] op_sel_hi:[0,1]
	s_delay_alu instid0(VALU_DEP_1) | instskip(SKIP_1) | instid1(VALU_DEP_2)
	v_pk_fma_f32 v[80:81], v[42:43], v[40:41], v[78:79] op_sel_hi:[1,0,1]
	v_pk_fma_f32 v[40:41], v[42:43], v[40:41], v[78:79] neg_lo:[0,0,1] neg_hi:[0,0,1]
	v_mov_b32_e32 v41, v81
	s_delay_alu instid0(VALU_DEP_1)
	v_pk_add_f32 v[38:39], v[38:39], v[40:41] neg_lo:[0,1] neg_hi:[0,1]
.LBB49_98:                              ;   in Loop: Header=BB49_3 Depth=1
	s_or_b32 exec_lo, exec_lo, s8
	s_barrier_signal -1
	s_barrier_wait -1
	s_and_saveexec_b32 s8, s51
; %bb.99:                               ;   in Loop: Header=BB49_3 Depth=1
	v_pk_add_f32 v[40:41], v[38:39], 0 neg_lo:[1,1] neg_hi:[1,1]
	ds_store_b64 v48, v[40:41]
; %bb.100:                              ;   in Loop: Header=BB49_3 Depth=1
	s_or_b32 exec_lo, exec_lo, s8
	s_wait_dscnt 0x0
	s_barrier_signal -1
	s_barrier_wait -1
	s_and_saveexec_b32 s8, s52
	s_cbranch_execz .LBB49_102
; %bb.101:                              ;   in Loop: Header=BB49_3 Depth=1
	ds_load_b64 v[40:41], v7 offset:29632
	ds_load_b64 v[42:43], v48
	s_wait_dscnt 0x0
	v_pk_mul_f32 v[78:79], v[42:43], v[40:41] op_sel:[1,1] op_sel_hi:[0,1]
	s_delay_alu instid0(VALU_DEP_1) | instskip(SKIP_1) | instid1(VALU_DEP_2)
	v_pk_fma_f32 v[80:81], v[42:43], v[40:41], v[78:79] op_sel_hi:[1,0,1]
	v_pk_fma_f32 v[40:41], v[42:43], v[40:41], v[78:79] neg_lo:[0,0,1] neg_hi:[0,0,1]
	v_mov_b32_e32 v41, v81
	s_delay_alu instid0(VALU_DEP_1)
	v_pk_add_f32 v[38:39], v[38:39], v[40:41] neg_lo:[0,1] neg_hi:[0,1]
.LBB49_102:                             ;   in Loop: Header=BB49_3 Depth=1
	s_or_b32 exec_lo, exec_lo, s8
	s_barrier_signal -1
	s_barrier_wait -1
	s_and_saveexec_b32 s8, s52
; %bb.103:                              ;   in Loop: Header=BB49_3 Depth=1
	v_pk_add_f32 v[40:41], v[38:39], 0 neg_lo:[1,1] neg_hi:[1,1]
	ds_store_b64 v48, v[40:41]
; %bb.104:                              ;   in Loop: Header=BB49_3 Depth=1
	s_or_b32 exec_lo, exec_lo, s8
	s_wait_dscnt 0x0
	s_barrier_signal -1
	s_barrier_wait -1
	s_barrier_signal -1
	s_barrier_wait -1
	s_and_saveexec_b32 s8, s4
; %bb.105:                              ;   in Loop: Header=BB49_3 Depth=1
	ds_store_b64 v51, v[38:39] offset:32704
; %bb.106:                              ;   in Loop: Header=BB49_3 Depth=1
	s_or_b32 exec_lo, exec_lo, s8
	s_wait_dscnt 0x0
	s_barrier_signal -1
	s_barrier_wait -1
	s_barrier_signal -1
	s_barrier_wait -1
	s_and_saveexec_b32 s8, s12
; %bb.107:                              ;   in Loop: Header=BB49_3 Depth=1
	v_add_nc_u32_e64 v38, 0x7000, 0
	ds_store_2addr_b64 v38, v[34:35], v[34:35] offset0:186 offset1:251
; %bb.108:                              ;   in Loop: Header=BB49_3 Depth=1
	s_or_b32 exec_lo, exec_lo, s8
	v_dual_mov_b32 v38, 0 :: v_dual_mov_b32 v39, 0
	s_wait_dscnt 0x0
	s_barrier_signal -1
	s_barrier_wait -1
	global_wb scope:SCOPE_DEV
	s_wait_storecnt 0x0
	global_inv scope:SCOPE_DEV
	s_and_saveexec_b32 s11, s3
	s_cbranch_execz .LBB49_112
; %bb.109:                              ;   in Loop: Header=BB49_3 Depth=1
	ds_load_b64 v[38:39], v44 offset:30144
	ds_load_b64 v[40:41], v45 offset:30672
	s_wait_dscnt 0x0
	v_pk_mul_f32 v[42:43], v[40:41], v[38:39] op_sel:[1,1] op_sel_hi:[0,1]
	s_delay_alu instid0(VALU_DEP_1) | instskip(SKIP_1) | instid1(VALU_DEP_2)
	v_pk_fma_f32 v[78:79], v[40:41], v[38:39], v[42:43] op_sel_hi:[1,0,1]
	v_pk_fma_f32 v[38:39], v[40:41], v[38:39], v[42:43] neg_lo:[0,0,1] neg_hi:[0,0,1]
	v_mov_b32_e32 v39, v79
	s_delay_alu instid0(VALU_DEP_1)
	v_pk_add_f32 v[38:39], v[38:39], 0 op_sel_hi:[1,0]
	s_and_saveexec_b32 s8, s13
	s_cbranch_execz .LBB49_111
; %bb.110:                              ;   in Loop: Header=BB49_3 Depth=1
	ds_load_b64 v[40:41], v46 offset:30656
	ds_load_b64 v[42:43], v7 offset:30680
	s_wait_dscnt 0x0
	v_pk_mul_f32 v[78:79], v[42:43], v[40:41] op_sel:[1,1] op_sel_hi:[0,1]
	s_delay_alu instid0(VALU_DEP_1) | instskip(SKIP_1) | instid1(VALU_DEP_2)
	v_pk_fma_f32 v[80:81], v[42:43], v[40:41], v[78:79] op_sel_hi:[1,0,1]
	v_pk_fma_f32 v[40:41], v[42:43], v[40:41], v[78:79] neg_lo:[0,0,1] neg_hi:[0,0,1]
	v_mov_b32_e32 v41, v81
	s_delay_alu instid0(VALU_DEP_1)
	v_pk_add_f32 v[38:39], v[38:39], v[40:41]
.LBB49_111:                             ;   in Loop: Header=BB49_3 Depth=1
	s_or_b32 exec_lo, exec_lo, s8
.LBB49_112:                             ;   in Loop: Header=BB49_3 Depth=1
	s_delay_alu instid0(SALU_CYCLE_1)
	s_or_b32 exec_lo, exec_lo, s11
	s_and_saveexec_b32 s8, s45
; %bb.113:                              ;   in Loop: Header=BB49_3 Depth=1
	s_delay_alu instid0(VALU_DEP_1)
	v_pk_add_f32 v[40:41], v[38:39], 0 neg_lo:[1,1] neg_hi:[1,1]
	ds_store_b64 v5, v[40:41]
; %bb.114:                              ;   in Loop: Header=BB49_3 Depth=1
	s_or_b32 exec_lo, exec_lo, s8
	s_wait_loadcnt_dscnt 0x0
	s_barrier_signal -1
	s_barrier_wait -1
	s_and_saveexec_b32 s8, s46
	s_cbranch_execz .LBB49_116
; %bb.115:                              ;   in Loop: Header=BB49_3 Depth=1
	ds_load_b64 v[40:41], v7 offset:29632
	ds_load_b64 v[42:43], v5
	s_wait_dscnt 0x0
	v_pk_mul_f32 v[78:79], v[42:43], v[40:41] op_sel_hi:[1,0]
	s_delay_alu instid0(VALU_DEP_1) | instskip(SKIP_1) | instid1(VALU_DEP_2)
	v_pk_fma_f32 v[80:81], v[42:43], v[40:41], v[78:79] op_sel:[1,1,0] op_sel_hi:[0,1,1]
	v_pk_fma_f32 v[40:41], v[42:43], v[40:41], v[78:79] op_sel:[1,1,0] op_sel_hi:[0,1,1] neg_lo:[0,0,1] neg_hi:[0,0,1]
	v_pk_add_f32 v[42:43], v[38:39], v[80:81] neg_lo:[0,1] neg_hi:[0,1]
	s_delay_alu instid0(VALU_DEP_2) | instskip(NEXT) | instid1(VALU_DEP_2)
	v_pk_add_f32 v[38:39], v[38:39], v[40:41]
	v_mov_b32_e32 v39, v43
.LBB49_116:                             ;   in Loop: Header=BB49_3 Depth=1
	s_or_b32 exec_lo, exec_lo, s8
	s_barrier_signal -1
	s_barrier_wait -1
	s_and_saveexec_b32 s8, s46
; %bb.117:                              ;   in Loop: Header=BB49_3 Depth=1
	v_pk_add_f32 v[40:41], v[38:39], 0 neg_lo:[1,1] neg_hi:[1,1]
	ds_store_b64 v5, v[40:41]
; %bb.118:                              ;   in Loop: Header=BB49_3 Depth=1
	s_or_b32 exec_lo, exec_lo, s8
	s_wait_dscnt 0x0
	s_barrier_signal -1
	s_barrier_wait -1
	s_barrier_signal -1
	s_barrier_wait -1
	s_and_saveexec_b32 s8, s3
; %bb.119:                              ;   in Loop: Header=BB49_3 Depth=1
	ds_store_b64 v47, v[38:39] offset:30656
; %bb.120:                              ;   in Loop: Header=BB49_3 Depth=1
	s_or_b32 exec_lo, exec_lo, s8
	s_wait_dscnt 0x0
	s_barrier_signal -1
	s_barrier_wait -1
	s_barrier_signal -1
	s_barrier_wait -1
	s_and_saveexec_b32 s8, s12
; %bb.121:                              ;   in Loop: Header=BB49_3 Depth=1
	v_add_nc_u32_e64 v38, 0x7000, 0
	ds_store_2addr_b64 v38, v[34:35], v[34:35] offset0:56 offset1:121
; %bb.122:                              ;   in Loop: Header=BB49_3 Depth=1
	s_or_b32 exec_lo, exec_lo, s8
	v_mov_b64_e32 v[38:39], 0
	s_wait_dscnt 0x0
	s_barrier_signal -1
	s_barrier_wait -1
	global_wb scope:SCOPE_DEV
	s_wait_storecnt 0x0
	global_inv scope:SCOPE_DEV
	s_and_saveexec_b32 s96, s5
	s_cbranch_execz .LBB49_132
; %bb.123:                              ;   in Loop: Header=BB49_3 Depth=1
	ds_load_b64 v[38:39], v53 offset:29056
	ds_load_b64 v[40:41], v54 offset:32704
	s_wait_dscnt 0x0
	v_dual_mul_f32 v42, v41, v39 :: v_dual_mul_f32 v39, v40, v39
	s_delay_alu instid0(VALU_DEP_1) | instskip(NEXT) | instid1(VALU_DEP_1)
	v_dual_fma_f32 v40, v40, v38, -v42 :: v_dual_fmac_f32 v39, v41, v38
	v_dual_add_f32 v38, 0, v40 :: v_dual_add_f32 v39, 0, v39
	s_and_saveexec_b32 s8, s16
	s_cbranch_execnz .LBB49_1002
; %bb.124:                              ;   in Loop: Header=BB49_3 Depth=1
	s_or_b32 exec_lo, exec_lo, s8
	s_and_saveexec_b32 s8, s17
	s_cbranch_execnz .LBB49_1003
.LBB49_125:                             ;   in Loop: Header=BB49_3 Depth=1
	s_or_b32 exec_lo, exec_lo, s8
	s_and_saveexec_b32 s8, s18
	s_cbranch_execnz .LBB49_1004
.LBB49_126:                             ;   in Loop: Header=BB49_3 Depth=1
	s_or_b32 exec_lo, exec_lo, s8
	s_and_saveexec_b32 s8, s19
	s_cbranch_execnz .LBB49_1005
.LBB49_127:                             ;   in Loop: Header=BB49_3 Depth=1
	s_or_b32 exec_lo, exec_lo, s8
	s_and_saveexec_b32 s8, s20
	s_cbranch_execnz .LBB49_1006
.LBB49_128:                             ;   in Loop: Header=BB49_3 Depth=1
	s_or_b32 exec_lo, exec_lo, s8
	s_and_saveexec_b32 s8, s4
	s_cbranch_execnz .LBB49_1007
.LBB49_129:                             ;   in Loop: Header=BB49_3 Depth=1
	s_or_b32 exec_lo, exec_lo, s8
	s_and_saveexec_b32 s8, s15
	s_cbranch_execz .LBB49_131
.LBB49_130:                             ;   in Loop: Header=BB49_3 Depth=1
	ds_load_b64 v[40:41], v46 offset:32640
	ds_load_b64 v[42:43], v7 offset:32760
	s_wait_dscnt 0x0
	v_pk_mul_f32 v[78:79], v[42:43], v[40:41] op_sel:[1,1] op_sel_hi:[0,1]
	s_delay_alu instid0(VALU_DEP_1) | instskip(SKIP_1) | instid1(VALU_DEP_2)
	v_pk_fma_f32 v[80:81], v[42:43], v[40:41], v[78:79] op_sel_hi:[1,0,1]
	v_pk_fma_f32 v[40:41], v[42:43], v[40:41], v[78:79] neg_lo:[0,0,1] neg_hi:[0,0,1]
	v_mov_b32_e32 v41, v81
	s_delay_alu instid0(VALU_DEP_1)
	v_pk_add_f32 v[38:39], v[38:39], v[40:41]
.LBB49_131:                             ;   in Loop: Header=BB49_3 Depth=1
	s_or_b32 exec_lo, exec_lo, s8
.LBB49_132:                             ;   in Loop: Header=BB49_3 Depth=1
	s_delay_alu instid0(SALU_CYCLE_1)
	s_or_b32 exec_lo, exec_lo, s96
	s_and_saveexec_b32 s8, s53
; %bb.133:                              ;   in Loop: Header=BB49_3 Depth=1
	s_delay_alu instid0(VALU_DEP_1)
	v_pk_add_f32 v[40:41], v[38:39], 0 neg_lo:[1,1] neg_hi:[1,1]
	ds_store_b64 v52, v[40:41]
; %bb.134:                              ;   in Loop: Header=BB49_3 Depth=1
	s_or_b32 exec_lo, exec_lo, s8
	s_wait_loadcnt_dscnt 0x0
	s_barrier_signal -1
	s_barrier_wait -1
	s_and_saveexec_b32 s8, s54
	s_cbranch_execz .LBB49_136
; %bb.135:                              ;   in Loop: Header=BB49_3 Depth=1
	ds_load_b64 v[40:41], v53 offset:28544
	ds_load_b64 v[42:43], v52
	s_wait_dscnt 0x0
	v_pk_mul_f32 v[78:79], v[42:43], v[40:41] op_sel:[1,1] op_sel_hi:[0,1]
	s_delay_alu instid0(VALU_DEP_1) | instskip(SKIP_1) | instid1(VALU_DEP_2)
	v_pk_fma_f32 v[80:81], v[42:43], v[40:41], v[78:79] op_sel_hi:[1,0,1]
	v_pk_fma_f32 v[40:41], v[42:43], v[40:41], v[78:79] neg_lo:[0,0,1] neg_hi:[0,0,1]
	v_mov_b32_e32 v41, v81
	s_delay_alu instid0(VALU_DEP_1)
	v_pk_add_f32 v[38:39], v[38:39], v[40:41] neg_lo:[0,1] neg_hi:[0,1]
.LBB49_136:                             ;   in Loop: Header=BB49_3 Depth=1
	s_or_b32 exec_lo, exec_lo, s8
	s_barrier_signal -1
	s_barrier_wait -1
	s_and_saveexec_b32 s8, s55
; %bb.137:                              ;   in Loop: Header=BB49_3 Depth=1
	v_pk_add_f32 v[40:41], v[38:39], 0 neg_lo:[1,1] neg_hi:[1,1]
	ds_store_b64 v52, v[40:41]
; %bb.138:                              ;   in Loop: Header=BB49_3 Depth=1
	s_or_b32 exec_lo, exec_lo, s8
	s_wait_dscnt 0x0
	s_barrier_signal -1
	s_barrier_wait -1
	s_and_saveexec_b32 s8, s56
	s_cbranch_execz .LBB49_140
; %bb.139:                              ;   in Loop: Header=BB49_3 Depth=1
	ds_load_b64 v[40:41], v53 offset:28032
	ds_load_b64 v[42:43], v52
	s_wait_dscnt 0x0
	v_dual_mul_f32 v78, v43, v41 :: v_dual_mul_f32 v41, v42, v41
	s_delay_alu instid0(VALU_DEP_1) | instskip(NEXT) | instid1(VALU_DEP_1)
	v_dual_fma_f32 v42, v42, v40, -v78 :: v_dual_fmac_f32 v41, v43, v40
	v_dual_sub_f32 v38, v38, v42 :: v_dual_sub_f32 v39, v39, v41
.LBB49_140:                             ;   in Loop: Header=BB49_3 Depth=1
	s_or_b32 exec_lo, exec_lo, s8
	s_barrier_signal -1
	s_barrier_wait -1
	s_and_saveexec_b32 s8, s57
; %bb.141:                              ;   in Loop: Header=BB49_3 Depth=1
	v_pk_add_f32 v[40:41], v[38:39], 0 neg_lo:[1,1] neg_hi:[1,1]
	ds_store_b64 v52, v[40:41]
; %bb.142:                              ;   in Loop: Header=BB49_3 Depth=1
	s_or_b32 exec_lo, exec_lo, s8
	s_wait_dscnt 0x0
	s_barrier_signal -1
	s_barrier_wait -1
	s_and_saveexec_b32 s8, s58
	s_cbranch_execz .LBB49_144
; %bb.143:                              ;   in Loop: Header=BB49_3 Depth=1
	ds_load_b64 v[40:41], v53 offset:27520
	ds_load_b64 v[42:43], v52
	s_wait_dscnt 0x0
	v_dual_mul_f32 v78, v43, v41 :: v_dual_mul_f32 v79, v42, v41
	s_delay_alu instid0(VALU_DEP_1) | instskip(NEXT) | instid1(VALU_DEP_1)
	v_dual_fma_f32 v78, v42, v40, -v78 :: v_dual_fmac_f32 v79, v43, v40
	v_pk_add_f32 v[38:39], v[38:39], v[78:79] neg_lo:[0,1] neg_hi:[0,1]
.LBB49_144:                             ;   in Loop: Header=BB49_3 Depth=1
	s_or_b32 exec_lo, exec_lo, s8
	s_barrier_signal -1
	s_barrier_wait -1
	s_and_saveexec_b32 s8, s59
; %bb.145:                              ;   in Loop: Header=BB49_3 Depth=1
	v_pk_add_f32 v[40:41], v[38:39], 0 neg_lo:[1,1] neg_hi:[1,1]
	ds_store_b64 v52, v[40:41]
; %bb.146:                              ;   in Loop: Header=BB49_3 Depth=1
	s_or_b32 exec_lo, exec_lo, s8
	s_wait_dscnt 0x0
	s_barrier_signal -1
	s_barrier_wait -1
	s_and_saveexec_b32 s8, s60
	s_cbranch_execz .LBB49_148
; %bb.147:                              ;   in Loop: Header=BB49_3 Depth=1
	ds_load_b64 v[40:41], v53 offset:27008
	ds_load_b64 v[42:43], v52
	s_wait_dscnt 0x0
	v_pk_mul_f32 v[78:79], v[42:43], v[40:41] op_sel:[1,1] op_sel_hi:[0,1]
	s_delay_alu instid0(VALU_DEP_1) | instskip(SKIP_1) | instid1(VALU_DEP_2)
	v_pk_fma_f32 v[80:81], v[42:43], v[40:41], v[78:79] op_sel_hi:[1,0,1]
	v_pk_fma_f32 v[40:41], v[42:43], v[40:41], v[78:79] neg_lo:[0,0,1] neg_hi:[0,0,1]
	v_mov_b32_e32 v41, v81
	s_delay_alu instid0(VALU_DEP_1)
	v_pk_add_f32 v[38:39], v[38:39], v[40:41] neg_lo:[0,1] neg_hi:[0,1]
.LBB49_148:                             ;   in Loop: Header=BB49_3 Depth=1
	s_or_b32 exec_lo, exec_lo, s8
	s_barrier_signal -1
	s_barrier_wait -1
	s_and_saveexec_b32 s8, s61
; %bb.149:                              ;   in Loop: Header=BB49_3 Depth=1
	v_pk_add_f32 v[40:41], v[38:39], 0 neg_lo:[1,1] neg_hi:[1,1]
	ds_store_b64 v52, v[40:41]
; %bb.150:                              ;   in Loop: Header=BB49_3 Depth=1
	s_or_b32 exec_lo, exec_lo, s8
	s_wait_dscnt 0x0
	s_barrier_signal -1
	s_barrier_wait -1
	s_and_saveexec_b32 s8, s62
	s_cbranch_execz .LBB49_152
; %bb.151:                              ;   in Loop: Header=BB49_3 Depth=1
	ds_load_b64 v[40:41], v53 offset:26496
	ds_load_b64 v[42:43], v52
	s_wait_dscnt 0x0
	v_pk_mul_f32 v[78:79], v[42:43], v[40:41] op_sel:[1,1] op_sel_hi:[0,1]
	s_delay_alu instid0(VALU_DEP_1) | instskip(SKIP_1) | instid1(VALU_DEP_2)
	v_pk_fma_f32 v[80:81], v[42:43], v[40:41], v[78:79] op_sel_hi:[1,0,1]
	v_pk_fma_f32 v[40:41], v[42:43], v[40:41], v[78:79] neg_lo:[0,0,1] neg_hi:[0,0,1]
	v_mov_b32_e32 v41, v81
	s_delay_alu instid0(VALU_DEP_1)
	v_pk_add_f32 v[38:39], v[38:39], v[40:41] neg_lo:[0,1] neg_hi:[0,1]
.LBB49_152:                             ;   in Loop: Header=BB49_3 Depth=1
	;; [unrolled: 26-line block ×4, first 2 shown]
	s_or_b32 exec_lo, exec_lo, s8
	s_barrier_signal -1
	s_barrier_wait -1
	s_and_saveexec_b32 s8, s66
; %bb.161:                              ;   in Loop: Header=BB49_3 Depth=1
	v_pk_add_f32 v[40:41], v[38:39], 0 neg_lo:[1,1] neg_hi:[1,1]
	ds_store_b64 v52, v[40:41]
; %bb.162:                              ;   in Loop: Header=BB49_3 Depth=1
	s_or_b32 exec_lo, exec_lo, s8
	s_wait_dscnt 0x0
	s_barrier_signal -1
	s_barrier_wait -1
	s_barrier_signal -1
	s_barrier_wait -1
	s_and_saveexec_b32 s8, s5
; %bb.163:                              ;   in Loop: Header=BB49_3 Depth=1
	ds_store_b64 v55, v[38:39] offset:32640
; %bb.164:                              ;   in Loop: Header=BB49_3 Depth=1
	s_or_b32 exec_lo, exec_lo, s8
	s_wait_dscnt 0x0
	s_barrier_signal -1
	s_barrier_wait -1
	s_barrier_signal -1
	s_barrier_wait -1
	s_and_saveexec_b32 s8, s12
; %bb.165:                              ;   in Loop: Header=BB49_3 Depth=1
	v_add_nc_u32_e64 v38, 0x6800, 0
	ds_store_2addr_b64 v38, v[34:35], v[34:35] offset0:182 offset1:247
; %bb.166:                              ;   in Loop: Header=BB49_3 Depth=1
	s_or_b32 exec_lo, exec_lo, s8
	v_dual_mov_b32 v38, 0 :: v_dual_mov_b32 v39, 0
	s_wait_dscnt 0x0
	s_barrier_signal -1
	s_barrier_wait -1
	global_wb scope:SCOPE_DEV
	s_wait_storecnt 0x0
	global_inv scope:SCOPE_DEV
	s_and_saveexec_b32 s11, s3
	s_cbranch_execz .LBB49_170
; %bb.167:                              ;   in Loop: Header=BB49_3 Depth=1
	ds_load_b64 v[38:39], v44 offset:28064
	ds_load_b64 v[40:41], v45 offset:28592
	s_wait_dscnt 0x0
	v_pk_mul_f32 v[42:43], v[40:41], v[38:39] op_sel:[1,1] op_sel_hi:[0,1]
	s_delay_alu instid0(VALU_DEP_1) | instskip(SKIP_1) | instid1(VALU_DEP_2)
	v_pk_fma_f32 v[78:79], v[40:41], v[38:39], v[42:43] op_sel_hi:[1,0,1]
	v_pk_fma_f32 v[38:39], v[40:41], v[38:39], v[42:43] neg_lo:[0,0,1] neg_hi:[0,0,1]
	v_mov_b32_e32 v39, v79
	s_delay_alu instid0(VALU_DEP_1)
	v_pk_add_f32 v[38:39], v[38:39], 0 op_sel_hi:[1,0]
	s_and_saveexec_b32 s8, s13
	s_cbranch_execz .LBB49_169
; %bb.168:                              ;   in Loop: Header=BB49_3 Depth=1
	ds_load_b64 v[40:41], v46 offset:28576
	ds_load_b64 v[42:43], v7 offset:28600
	s_wait_dscnt 0x0
	v_pk_mul_f32 v[78:79], v[42:43], v[40:41] op_sel:[1,1] op_sel_hi:[0,1]
	s_delay_alu instid0(VALU_DEP_1) | instskip(SKIP_1) | instid1(VALU_DEP_2)
	v_pk_fma_f32 v[80:81], v[42:43], v[40:41], v[78:79] op_sel_hi:[1,0,1]
	v_pk_fma_f32 v[40:41], v[42:43], v[40:41], v[78:79] neg_lo:[0,0,1] neg_hi:[0,0,1]
	v_mov_b32_e32 v41, v81
	s_delay_alu instid0(VALU_DEP_1)
	v_pk_add_f32 v[38:39], v[38:39], v[40:41]
.LBB49_169:                             ;   in Loop: Header=BB49_3 Depth=1
	s_or_b32 exec_lo, exec_lo, s8
.LBB49_170:                             ;   in Loop: Header=BB49_3 Depth=1
	s_delay_alu instid0(SALU_CYCLE_1)
	s_or_b32 exec_lo, exec_lo, s11
	s_and_saveexec_b32 s8, s45
; %bb.171:                              ;   in Loop: Header=BB49_3 Depth=1
	s_delay_alu instid0(VALU_DEP_1)
	v_pk_add_f32 v[40:41], v[38:39], 0 neg_lo:[1,1] neg_hi:[1,1]
	ds_store_b64 v5, v[40:41]
; %bb.172:                              ;   in Loop: Header=BB49_3 Depth=1
	s_or_b32 exec_lo, exec_lo, s8
	s_wait_loadcnt_dscnt 0x0
	s_barrier_signal -1
	s_barrier_wait -1
	s_and_saveexec_b32 s8, s46
	s_cbranch_execz .LBB49_174
; %bb.173:                              ;   in Loop: Header=BB49_3 Depth=1
	ds_load_b64 v[40:41], v7 offset:27552
	ds_load_b64 v[42:43], v5
	s_wait_dscnt 0x0
	v_pk_mul_f32 v[78:79], v[42:43], v[40:41] op_sel_hi:[1,0]
	s_delay_alu instid0(VALU_DEP_1) | instskip(SKIP_1) | instid1(VALU_DEP_2)
	v_pk_fma_f32 v[80:81], v[42:43], v[40:41], v[78:79] op_sel:[1,1,0] op_sel_hi:[0,1,1]
	v_pk_fma_f32 v[40:41], v[42:43], v[40:41], v[78:79] op_sel:[1,1,0] op_sel_hi:[0,1,1] neg_lo:[0,0,1] neg_hi:[0,0,1]
	v_pk_add_f32 v[42:43], v[38:39], v[80:81] neg_lo:[0,1] neg_hi:[0,1]
	s_delay_alu instid0(VALU_DEP_2) | instskip(NEXT) | instid1(VALU_DEP_2)
	v_pk_add_f32 v[38:39], v[38:39], v[40:41]
	v_mov_b32_e32 v39, v43
.LBB49_174:                             ;   in Loop: Header=BB49_3 Depth=1
	s_or_b32 exec_lo, exec_lo, s8
	s_barrier_signal -1
	s_barrier_wait -1
	s_and_saveexec_b32 s8, s46
; %bb.175:                              ;   in Loop: Header=BB49_3 Depth=1
	v_pk_add_f32 v[40:41], v[38:39], 0 neg_lo:[1,1] neg_hi:[1,1]
	ds_store_b64 v5, v[40:41]
; %bb.176:                              ;   in Loop: Header=BB49_3 Depth=1
	s_or_b32 exec_lo, exec_lo, s8
	s_wait_dscnt 0x0
	s_barrier_signal -1
	s_barrier_wait -1
	s_barrier_signal -1
	s_barrier_wait -1
	s_and_saveexec_b32 s8, s3
; %bb.177:                              ;   in Loop: Header=BB49_3 Depth=1
	ds_store_b64 v47, v[38:39] offset:28576
; %bb.178:                              ;   in Loop: Header=BB49_3 Depth=1
	s_or_b32 exec_lo, exec_lo, s8
	s_wait_dscnt 0x0
	s_barrier_signal -1
	s_barrier_wait -1
	s_barrier_signal -1
	s_barrier_wait -1
	s_and_saveexec_b32 s8, s12
; %bb.179:                              ;   in Loop: Header=BB49_3 Depth=1
	v_add_nc_u32_e64 v38, 0x6800, 0
	ds_store_2addr_b64 v38, v[34:35], v[34:35] offset0:52 offset1:117
; %bb.180:                              ;   in Loop: Header=BB49_3 Depth=1
	s_or_b32 exec_lo, exec_lo, s8
	v_mov_b64_e32 v[38:39], 0
	s_wait_dscnt 0x0
	s_barrier_signal -1
	s_barrier_wait -1
	global_wb scope:SCOPE_DEV
	s_wait_storecnt 0x0
	global_inv scope:SCOPE_DEV
	s_and_saveexec_b32 s96, s4
	s_cbranch_execz .LBB49_186
; %bb.181:                              ;   in Loop: Header=BB49_3 Depth=1
	ds_load_b64 v[38:39], v49 offset:27008
	ds_load_b64 v[40:41], v50 offset:28576
	s_wait_dscnt 0x0
	v_dual_mul_f32 v42, v41, v39 :: v_dual_mul_f32 v39, v40, v39
	s_delay_alu instid0(VALU_DEP_1) | instskip(NEXT) | instid1(VALU_DEP_1)
	v_dual_fma_f32 v40, v40, v38, -v42 :: v_dual_fmac_f32 v39, v41, v38
	v_dual_add_f32 v38, 0, v40 :: v_dual_add_f32 v39, 0, v39
	s_and_saveexec_b32 s8, s14
	s_cbranch_execnz .LBB49_1008
; %bb.182:                              ;   in Loop: Header=BB49_3 Depth=1
	s_or_b32 exec_lo, exec_lo, s8
	s_and_saveexec_b32 s8, s15
	s_cbranch_execnz .LBB49_1009
.LBB49_183:                             ;   in Loop: Header=BB49_3 Depth=1
	s_or_b32 exec_lo, exec_lo, s8
	s_and_saveexec_b32 s8, s3
	s_cbranch_execz .LBB49_185
.LBB49_184:                             ;   in Loop: Header=BB49_3 Depth=1
	ds_load_b64 v[40:41], v46 offset:28544
	ds_load_b64 v[42:43], v7 offset:28600
	s_wait_dscnt 0x0
	v_pk_mul_f32 v[78:79], v[42:43], v[40:41] op_sel:[1,1] op_sel_hi:[0,1]
	s_delay_alu instid0(VALU_DEP_1) | instskip(SKIP_1) | instid1(VALU_DEP_2)
	v_pk_fma_f32 v[80:81], v[42:43], v[40:41], v[78:79] op_sel_hi:[1,0,1]
	v_pk_fma_f32 v[40:41], v[42:43], v[40:41], v[78:79] neg_lo:[0,0,1] neg_hi:[0,0,1]
	v_mov_b32_e32 v41, v81
	s_delay_alu instid0(VALU_DEP_1)
	v_pk_add_f32 v[38:39], v[38:39], v[40:41]
.LBB49_185:                             ;   in Loop: Header=BB49_3 Depth=1
	s_or_b32 exec_lo, exec_lo, s8
.LBB49_186:                             ;   in Loop: Header=BB49_3 Depth=1
	s_delay_alu instid0(SALU_CYCLE_1)
	s_or_b32 exec_lo, exec_lo, s96
	s_and_saveexec_b32 s8, s47
; %bb.187:                              ;   in Loop: Header=BB49_3 Depth=1
	s_delay_alu instid0(VALU_DEP_1)
	v_pk_add_f32 v[40:41], v[38:39], 0 neg_lo:[1,1] neg_hi:[1,1]
	ds_store_b64 v48, v[40:41]
; %bb.188:                              ;   in Loop: Header=BB49_3 Depth=1
	s_or_b32 exec_lo, exec_lo, s8
	s_wait_loadcnt_dscnt 0x0
	s_barrier_signal -1
	s_barrier_wait -1
	s_and_saveexec_b32 s8, s48
	s_cbranch_execz .LBB49_190
; %bb.189:                              ;   in Loop: Header=BB49_3 Depth=1
	ds_load_b64 v[40:41], v49 offset:26496
	ds_load_b64 v[42:43], v48
	s_wait_dscnt 0x0
	v_pk_mul_f32 v[78:79], v[42:43], v[40:41] op_sel:[1,1] op_sel_hi:[0,1]
	s_delay_alu instid0(VALU_DEP_1) | instskip(SKIP_1) | instid1(VALU_DEP_2)
	v_pk_fma_f32 v[80:81], v[42:43], v[40:41], v[78:79] op_sel_hi:[1,0,1]
	v_pk_fma_f32 v[40:41], v[42:43], v[40:41], v[78:79] neg_lo:[0,0,1] neg_hi:[0,0,1]
	v_mov_b32_e32 v41, v81
	s_delay_alu instid0(VALU_DEP_1)
	v_pk_add_f32 v[38:39], v[38:39], v[40:41] neg_lo:[0,1] neg_hi:[0,1]
.LBB49_190:                             ;   in Loop: Header=BB49_3 Depth=1
	s_or_b32 exec_lo, exec_lo, s8
	s_barrier_signal -1
	s_barrier_wait -1
	s_and_saveexec_b32 s8, s49
; %bb.191:                              ;   in Loop: Header=BB49_3 Depth=1
	v_pk_add_f32 v[40:41], v[38:39], 0 neg_lo:[1,1] neg_hi:[1,1]
	ds_store_b64 v48, v[40:41]
; %bb.192:                              ;   in Loop: Header=BB49_3 Depth=1
	s_or_b32 exec_lo, exec_lo, s8
	s_wait_dscnt 0x0
	s_barrier_signal -1
	s_barrier_wait -1
	s_and_saveexec_b32 s8, s50
	s_cbranch_execz .LBB49_194
; %bb.193:                              ;   in Loop: Header=BB49_3 Depth=1
	ds_load_b64 v[40:41], v49 offset:25984
	ds_load_b64 v[42:43], v48
	s_wait_dscnt 0x0
	v_pk_mul_f32 v[78:79], v[42:43], v[40:41] op_sel:[1,1] op_sel_hi:[0,1]
	s_delay_alu instid0(VALU_DEP_1) | instskip(SKIP_1) | instid1(VALU_DEP_2)
	v_pk_fma_f32 v[80:81], v[42:43], v[40:41], v[78:79] op_sel_hi:[1,0,1]
	v_pk_fma_f32 v[40:41], v[42:43], v[40:41], v[78:79] neg_lo:[0,0,1] neg_hi:[0,0,1]
	v_mov_b32_e32 v41, v81
	s_delay_alu instid0(VALU_DEP_1)
	v_pk_add_f32 v[38:39], v[38:39], v[40:41] neg_lo:[0,1] neg_hi:[0,1]
.LBB49_194:                             ;   in Loop: Header=BB49_3 Depth=1
	s_or_b32 exec_lo, exec_lo, s8
	s_barrier_signal -1
	s_barrier_wait -1
	s_and_saveexec_b32 s8, s51
; %bb.195:                              ;   in Loop: Header=BB49_3 Depth=1
	v_pk_add_f32 v[40:41], v[38:39], 0 neg_lo:[1,1] neg_hi:[1,1]
	ds_store_b64 v48, v[40:41]
; %bb.196:                              ;   in Loop: Header=BB49_3 Depth=1
	s_or_b32 exec_lo, exec_lo, s8
	s_wait_dscnt 0x0
	;; [unrolled: 26-line block ×3, first 2 shown]
	s_barrier_signal -1
	s_barrier_wait -1
	s_barrier_signal -1
	s_barrier_wait -1
	s_and_saveexec_b32 s8, s4
; %bb.201:                              ;   in Loop: Header=BB49_3 Depth=1
	ds_store_b64 v51, v[38:39] offset:28544
; %bb.202:                              ;   in Loop: Header=BB49_3 Depth=1
	s_or_b32 exec_lo, exec_lo, s8
	s_wait_dscnt 0x0
	s_barrier_signal -1
	s_barrier_wait -1
	s_barrier_signal -1
	s_barrier_wait -1
	s_and_saveexec_b32 s8, s12
; %bb.203:                              ;   in Loop: Header=BB49_3 Depth=1
	v_add_nc_u32_e64 v38, 0x6000, 0
	ds_store_2addr_b64 v38, v[34:35], v[34:35] offset0:178 offset1:243
; %bb.204:                              ;   in Loop: Header=BB49_3 Depth=1
	s_or_b32 exec_lo, exec_lo, s8
	v_dual_mov_b32 v38, 0 :: v_dual_mov_b32 v39, 0
	s_wait_dscnt 0x0
	s_barrier_signal -1
	s_barrier_wait -1
	global_wb scope:SCOPE_DEV
	s_wait_storecnt 0x0
	global_inv scope:SCOPE_DEV
	s_and_saveexec_b32 s11, s3
	s_cbranch_execz .LBB49_208
; %bb.205:                              ;   in Loop: Header=BB49_3 Depth=1
	ds_load_b64 v[38:39], v44 offset:25984
	ds_load_b64 v[40:41], v45 offset:26512
	s_wait_dscnt 0x0
	v_pk_mul_f32 v[42:43], v[40:41], v[38:39] op_sel:[1,1] op_sel_hi:[0,1]
	s_delay_alu instid0(VALU_DEP_1) | instskip(SKIP_1) | instid1(VALU_DEP_2)
	v_pk_fma_f32 v[78:79], v[40:41], v[38:39], v[42:43] op_sel_hi:[1,0,1]
	v_pk_fma_f32 v[38:39], v[40:41], v[38:39], v[42:43] neg_lo:[0,0,1] neg_hi:[0,0,1]
	v_mov_b32_e32 v39, v79
	s_delay_alu instid0(VALU_DEP_1)
	v_pk_add_f32 v[38:39], v[38:39], 0 op_sel_hi:[1,0]
	s_and_saveexec_b32 s8, s13
	s_cbranch_execz .LBB49_207
; %bb.206:                              ;   in Loop: Header=BB49_3 Depth=1
	ds_load_b64 v[40:41], v46 offset:26496
	ds_load_b64 v[42:43], v7 offset:26520
	s_wait_dscnt 0x0
	v_pk_mul_f32 v[78:79], v[42:43], v[40:41] op_sel:[1,1] op_sel_hi:[0,1]
	s_delay_alu instid0(VALU_DEP_1) | instskip(SKIP_1) | instid1(VALU_DEP_2)
	v_pk_fma_f32 v[80:81], v[42:43], v[40:41], v[78:79] op_sel_hi:[1,0,1]
	v_pk_fma_f32 v[40:41], v[42:43], v[40:41], v[78:79] neg_lo:[0,0,1] neg_hi:[0,0,1]
	v_mov_b32_e32 v41, v81
	s_delay_alu instid0(VALU_DEP_1)
	v_pk_add_f32 v[38:39], v[38:39], v[40:41]
.LBB49_207:                             ;   in Loop: Header=BB49_3 Depth=1
	s_or_b32 exec_lo, exec_lo, s8
.LBB49_208:                             ;   in Loop: Header=BB49_3 Depth=1
	s_delay_alu instid0(SALU_CYCLE_1)
	s_or_b32 exec_lo, exec_lo, s11
	s_and_saveexec_b32 s8, s45
; %bb.209:                              ;   in Loop: Header=BB49_3 Depth=1
	s_delay_alu instid0(VALU_DEP_1)
	v_pk_add_f32 v[40:41], v[38:39], 0 neg_lo:[1,1] neg_hi:[1,1]
	ds_store_b64 v5, v[40:41]
; %bb.210:                              ;   in Loop: Header=BB49_3 Depth=1
	s_or_b32 exec_lo, exec_lo, s8
	s_wait_loadcnt_dscnt 0x0
	s_barrier_signal -1
	s_barrier_wait -1
	s_and_saveexec_b32 s8, s46
	s_cbranch_execz .LBB49_212
; %bb.211:                              ;   in Loop: Header=BB49_3 Depth=1
	ds_load_b64 v[40:41], v7 offset:25472
	ds_load_b64 v[42:43], v5
	s_wait_dscnt 0x0
	v_pk_mul_f32 v[78:79], v[42:43], v[40:41] op_sel_hi:[1,0]
	s_delay_alu instid0(VALU_DEP_1) | instskip(SKIP_1) | instid1(VALU_DEP_2)
	v_pk_fma_f32 v[80:81], v[42:43], v[40:41], v[78:79] op_sel:[1,1,0] op_sel_hi:[0,1,1]
	v_pk_fma_f32 v[40:41], v[42:43], v[40:41], v[78:79] op_sel:[1,1,0] op_sel_hi:[0,1,1] neg_lo:[0,0,1] neg_hi:[0,0,1]
	v_pk_add_f32 v[42:43], v[38:39], v[80:81] neg_lo:[0,1] neg_hi:[0,1]
	s_delay_alu instid0(VALU_DEP_2) | instskip(NEXT) | instid1(VALU_DEP_2)
	v_pk_add_f32 v[38:39], v[38:39], v[40:41]
	v_mov_b32_e32 v39, v43
.LBB49_212:                             ;   in Loop: Header=BB49_3 Depth=1
	s_or_b32 exec_lo, exec_lo, s8
	s_barrier_signal -1
	s_barrier_wait -1
	s_and_saveexec_b32 s8, s46
; %bb.213:                              ;   in Loop: Header=BB49_3 Depth=1
	v_pk_add_f32 v[40:41], v[38:39], 0 neg_lo:[1,1] neg_hi:[1,1]
	ds_store_b64 v5, v[40:41]
; %bb.214:                              ;   in Loop: Header=BB49_3 Depth=1
	s_or_b32 exec_lo, exec_lo, s8
	s_wait_dscnt 0x0
	s_barrier_signal -1
	s_barrier_wait -1
	s_barrier_signal -1
	s_barrier_wait -1
	s_and_saveexec_b32 s8, s3
; %bb.215:                              ;   in Loop: Header=BB49_3 Depth=1
	ds_store_b64 v47, v[38:39] offset:26496
; %bb.216:                              ;   in Loop: Header=BB49_3 Depth=1
	s_or_b32 exec_lo, exec_lo, s8
	s_wait_dscnt 0x0
	s_barrier_signal -1
	s_barrier_wait -1
	s_barrier_signal -1
	s_barrier_wait -1
	s_and_saveexec_b32 s8, s12
; %bb.217:                              ;   in Loop: Header=BB49_3 Depth=1
	v_add_nc_u32_e64 v38, 0x6000, 0
	ds_store_2addr_b64 v38, v[34:35], v[34:35] offset0:48 offset1:113
; %bb.218:                              ;   in Loop: Header=BB49_3 Depth=1
	s_or_b32 exec_lo, exec_lo, s8
	v_mov_b64_e32 v[38:39], 0
	s_wait_dscnt 0x0
	s_barrier_signal -1
	s_barrier_wait -1
	global_wb scope:SCOPE_DEV
	s_wait_storecnt 0x0
	global_inv scope:SCOPE_DEV
	s_and_saveexec_b32 s96, s6
	s_cbranch_execz .LBB49_246
; %bb.219:                              ;   in Loop: Header=BB49_3 Depth=1
	ds_load_b64 v[38:39], v57 offset:24832
	ds_load_b64 v[40:41], v58 offset:32640
	v_readlane_b32 s9, v88, 26
	s_wait_dscnt 0x0
	v_dual_mul_f32 v42, v41, v39 :: v_dual_mul_f32 v39, v40, v39
	s_delay_alu instid0(VALU_DEP_1) | instskip(NEXT) | instid1(VALU_DEP_1)
	v_dual_fma_f32 v40, v40, v38, -v42 :: v_dual_fmac_f32 v39, v41, v38
	v_dual_add_f32 v38, 0, v40 :: v_dual_add_f32 v39, 0, v39
	s_and_saveexec_b32 s8, s9
	s_cbranch_execz .LBB49_221
; %bb.220:                              ;   in Loop: Header=BB49_3 Depth=1
	ds_load_b64 v[40:41], v57 offset:25344
	ds_load_b64 v[42:43], v58 offset:32648
	s_wait_dscnt 0x0
	v_dual_mul_f32 v78, v43, v41 :: v_dual_mul_f32 v41, v42, v41
	s_delay_alu instid0(VALU_DEP_1) | instskip(NEXT) | instid1(VALU_DEP_1)
	v_dual_fma_f32 v42, v42, v40, -v78 :: v_dual_fmac_f32 v41, v43, v40
	v_dual_add_f32 v38, v38, v42 :: v_dual_add_f32 v39, v39, v41
.LBB49_221:                             ;   in Loop: Header=BB49_3 Depth=1
	s_or_b32 exec_lo, exec_lo, s8
	v_readlane_b32 s9, v88, 27
	s_and_saveexec_b32 s8, s9
	s_cbranch_execz .LBB49_223
; %bb.222:                              ;   in Loop: Header=BB49_3 Depth=1
	ds_load_b64 v[40:41], v57 offset:25856
	ds_load_b64 v[42:43], v58 offset:32656
	s_wait_dscnt 0x0
	v_dual_mul_f32 v78, v43, v41 :: v_dual_mul_f32 v41, v42, v41
	s_delay_alu instid0(VALU_DEP_1) | instskip(NEXT) | instid1(VALU_DEP_1)
	v_dual_fma_f32 v42, v42, v40, -v78 :: v_dual_fmac_f32 v41, v43, v40
	v_dual_add_f32 v38, v38, v42 :: v_dual_add_f32 v39, v39, v41
.LBB49_223:                             ;   in Loop: Header=BB49_3 Depth=1
	s_or_b32 exec_lo, exec_lo, s8
	v_readlane_b32 s9, v88, 28
	;; [unrolled: 13-line block ×10, first 2 shown]
	s_and_saveexec_b32 s8, s9
	s_cbranch_execnz .LBB49_1010
; %bb.240:                              ;   in Loop: Header=BB49_3 Depth=1
	s_or_b32 exec_lo, exec_lo, s8
	s_and_saveexec_b32 s8, s5
	s_cbranch_execnz .LBB49_1011
.LBB49_241:                             ;   in Loop: Header=BB49_3 Depth=1
	s_or_b32 exec_lo, exec_lo, s8
	s_and_saveexec_b32 s8, s17
	s_cbranch_execnz .LBB49_1012
.LBB49_242:                             ;   in Loop: Header=BB49_3 Depth=1
	s_or_b32 exec_lo, exec_lo, s8
	s_and_saveexec_b32 s8, s19
	s_cbranch_execnz .LBB49_1013
.LBB49_243:                             ;   in Loop: Header=BB49_3 Depth=1
	s_or_b32 exec_lo, exec_lo, s8
	s_and_saveexec_b32 s8, s4
	s_cbranch_execz .LBB49_245
.LBB49_244:                             ;   in Loop: Header=BB49_3 Depth=1
	ds_load_b64 v[40:41], v46 offset:32512
	ds_load_b64 v[42:43], v7 offset:32760
	s_wait_dscnt 0x0
	v_pk_mul_f32 v[78:79], v[42:43], v[40:41] op_sel:[1,1] op_sel_hi:[0,1]
	s_delay_alu instid0(VALU_DEP_1) | instskip(SKIP_1) | instid1(VALU_DEP_2)
	v_pk_fma_f32 v[80:81], v[42:43], v[40:41], v[78:79] op_sel_hi:[1,0,1]
	v_pk_fma_f32 v[40:41], v[42:43], v[40:41], v[78:79] neg_lo:[0,0,1] neg_hi:[0,0,1]
	v_mov_b32_e32 v41, v81
	s_delay_alu instid0(VALU_DEP_1)
	v_pk_add_f32 v[38:39], v[38:39], v[40:41]
.LBB49_245:                             ;   in Loop: Header=BB49_3 Depth=1
	s_or_b32 exec_lo, exec_lo, s8
.LBB49_246:                             ;   in Loop: Header=BB49_3 Depth=1
	s_delay_alu instid0(SALU_CYCLE_1)
	s_or_b32 exec_lo, exec_lo, s96
	v_readlane_b32 s9, v88, 5
	s_and_saveexec_b32 s8, s9
; %bb.247:                              ;   in Loop: Header=BB49_3 Depth=1
	v_pk_add_f32 v[40:41], v[38:39], 0 neg_lo:[1,1] neg_hi:[1,1]
	ds_store_b64 v56, v[40:41]
; %bb.248:                              ;   in Loop: Header=BB49_3 Depth=1
	s_or_b32 exec_lo, exec_lo, s8
	v_readlane_b32 s9, v88, 6
	s_wait_loadcnt_dscnt 0x0
	s_barrier_signal -1
	s_barrier_wait -1
	s_and_saveexec_b32 s8, s9
	s_cbranch_execz .LBB49_250
; %bb.249:                              ;   in Loop: Header=BB49_3 Depth=1
	ds_load_b64 v[40:41], v57 offset:24320
	ds_load_b64 v[42:43], v56
	s_wait_dscnt 0x0
	v_pk_mul_f32 v[78:79], v[42:43], v[40:41] op_sel:[1,1] op_sel_hi:[0,1]
	s_delay_alu instid0(VALU_DEP_1) | instskip(SKIP_1) | instid1(VALU_DEP_2)
	v_pk_fma_f32 v[80:81], v[42:43], v[40:41], v[78:79] op_sel_hi:[1,0,1]
	v_pk_fma_f32 v[40:41], v[42:43], v[40:41], v[78:79] neg_lo:[0,0,1] neg_hi:[0,0,1]
	v_mov_b32_e32 v41, v81
	s_delay_alu instid0(VALU_DEP_1)
	v_pk_add_f32 v[38:39], v[38:39], v[40:41] neg_lo:[0,1] neg_hi:[0,1]
.LBB49_250:                             ;   in Loop: Header=BB49_3 Depth=1
	s_or_b32 exec_lo, exec_lo, s8
	v_readlane_b32 s9, v88, 7
	s_barrier_signal -1
	s_barrier_wait -1
	s_and_saveexec_b32 s8, s9
; %bb.251:                              ;   in Loop: Header=BB49_3 Depth=1
	v_pk_add_f32 v[40:41], v[38:39], 0 neg_lo:[1,1] neg_hi:[1,1]
	ds_store_b64 v56, v[40:41]
; %bb.252:                              ;   in Loop: Header=BB49_3 Depth=1
	s_or_b32 exec_lo, exec_lo, s8
	v_readlane_b32 s9, v88, 8
	s_wait_dscnt 0x0
	s_barrier_signal -1
	s_barrier_wait -1
	s_and_saveexec_b32 s8, s9
	s_cbranch_execz .LBB49_254
; %bb.253:                              ;   in Loop: Header=BB49_3 Depth=1
	ds_load_b64 v[40:41], v57 offset:23808
	ds_load_b64 v[42:43], v56
	s_wait_dscnt 0x0
	v_pk_mul_f32 v[78:79], v[42:43], v[40:41] op_sel:[1,1] op_sel_hi:[0,1]
	s_delay_alu instid0(VALU_DEP_1) | instskip(SKIP_1) | instid1(VALU_DEP_2)
	v_pk_fma_f32 v[80:81], v[42:43], v[40:41], v[78:79] op_sel_hi:[1,0,1]
	v_pk_fma_f32 v[40:41], v[42:43], v[40:41], v[78:79] neg_lo:[0,0,1] neg_hi:[0,0,1]
	v_mov_b32_e32 v41, v81
	s_delay_alu instid0(VALU_DEP_1)
	v_pk_add_f32 v[38:39], v[38:39], v[40:41] neg_lo:[0,1] neg_hi:[0,1]
.LBB49_254:                             ;   in Loop: Header=BB49_3 Depth=1
	s_or_b32 exec_lo, exec_lo, s8
	v_readlane_b32 s9, v88, 9
	s_barrier_signal -1
	s_barrier_wait -1
	s_and_saveexec_b32 s8, s9
; %bb.255:                              ;   in Loop: Header=BB49_3 Depth=1
	v_pk_add_f32 v[40:41], v[38:39], 0 neg_lo:[1,1] neg_hi:[1,1]
	ds_store_b64 v56, v[40:41]
; %bb.256:                              ;   in Loop: Header=BB49_3 Depth=1
	s_or_b32 exec_lo, exec_lo, s8
	v_readlane_b32 s9, v88, 10
	s_wait_dscnt 0x0
	s_barrier_signal -1
	s_barrier_wait -1
	s_and_saveexec_b32 s8, s9
	s_cbranch_execz .LBB49_258
; %bb.257:                              ;   in Loop: Header=BB49_3 Depth=1
	ds_load_b64 v[40:41], v57 offset:23296
	ds_load_b64 v[42:43], v56
	s_wait_dscnt 0x0
	v_pk_mul_f32 v[78:79], v[42:43], v[40:41] op_sel:[1,1] op_sel_hi:[0,1]
	s_delay_alu instid0(VALU_DEP_1) | instskip(SKIP_1) | instid1(VALU_DEP_2)
	v_pk_fma_f32 v[80:81], v[42:43], v[40:41], v[78:79] op_sel_hi:[1,0,1]
	v_pk_fma_f32 v[40:41], v[42:43], v[40:41], v[78:79] neg_lo:[0,0,1] neg_hi:[0,0,1]
	v_mov_b32_e32 v41, v81
	s_delay_alu instid0(VALU_DEP_1)
	v_pk_add_f32 v[38:39], v[38:39], v[40:41] neg_lo:[0,1] neg_hi:[0,1]
.LBB49_258:                             ;   in Loop: Header=BB49_3 Depth=1
	s_or_b32 exec_lo, exec_lo, s8
	v_readlane_b32 s9, v88, 11
	s_barrier_signal -1
	s_barrier_wait -1
	s_and_saveexec_b32 s8, s9
; %bb.259:                              ;   in Loop: Header=BB49_3 Depth=1
	v_pk_add_f32 v[40:41], v[38:39], 0 neg_lo:[1,1] neg_hi:[1,1]
	ds_store_b64 v56, v[40:41]
; %bb.260:                              ;   in Loop: Header=BB49_3 Depth=1
	s_or_b32 exec_lo, exec_lo, s8
	v_readlane_b32 s9, v88, 12
	s_wait_dscnt 0x0
	s_barrier_signal -1
	s_barrier_wait -1
	s_and_saveexec_b32 s8, s9
	s_cbranch_execz .LBB49_262
; %bb.261:                              ;   in Loop: Header=BB49_3 Depth=1
	ds_load_b64 v[40:41], v57 offset:22784
	ds_load_b64 v[42:43], v56
	s_wait_dscnt 0x0
	v_dual_mul_f32 v78, v43, v41 :: v_dual_mul_f32 v41, v42, v41
	s_delay_alu instid0(VALU_DEP_1) | instskip(NEXT) | instid1(VALU_DEP_1)
	v_dual_fma_f32 v42, v42, v40, -v78 :: v_dual_fmac_f32 v41, v43, v40
	v_dual_sub_f32 v38, v38, v42 :: v_dual_sub_f32 v39, v39, v41
.LBB49_262:                             ;   in Loop: Header=BB49_3 Depth=1
	s_or_b32 exec_lo, exec_lo, s8
	v_readlane_b32 s9, v88, 13
	s_barrier_signal -1
	s_barrier_wait -1
	s_and_saveexec_b32 s8, s9
; %bb.263:                              ;   in Loop: Header=BB49_3 Depth=1
	v_pk_add_f32 v[40:41], v[38:39], 0 neg_lo:[1,1] neg_hi:[1,1]
	ds_store_b64 v56, v[40:41]
; %bb.264:                              ;   in Loop: Header=BB49_3 Depth=1
	s_or_b32 exec_lo, exec_lo, s8
	s_wait_dscnt 0x0
	s_barrier_signal -1
	s_barrier_wait -1
	s_and_saveexec_b32 s8, s38
	s_cbranch_execz .LBB49_266
; %bb.265:                              ;   in Loop: Header=BB49_3 Depth=1
	ds_load_b64 v[40:41], v57 offset:22272
	ds_load_b64 v[42:43], v56
	s_wait_dscnt 0x0
	v_dual_mul_f32 v78, v43, v41 :: v_dual_mul_f32 v79, v42, v41
	s_delay_alu instid0(VALU_DEP_1) | instskip(NEXT) | instid1(VALU_DEP_1)
	v_dual_fma_f32 v78, v42, v40, -v78 :: v_dual_fmac_f32 v79, v43, v40
	v_pk_add_f32 v[38:39], v[38:39], v[78:79] neg_lo:[0,1] neg_hi:[0,1]
.LBB49_266:                             ;   in Loop: Header=BB49_3 Depth=1
	s_or_b32 exec_lo, exec_lo, s8
	s_barrier_signal -1
	s_barrier_wait -1
	s_and_saveexec_b32 s8, s39
; %bb.267:                              ;   in Loop: Header=BB49_3 Depth=1
	v_pk_add_f32 v[40:41], v[38:39], 0 neg_lo:[1,1] neg_hi:[1,1]
	ds_store_b64 v56, v[40:41]
; %bb.268:                              ;   in Loop: Header=BB49_3 Depth=1
	s_or_b32 exec_lo, exec_lo, s8
	s_wait_dscnt 0x0
	s_barrier_signal -1
	s_barrier_wait -1
	s_and_saveexec_b32 s8, s41
	s_cbranch_execz .LBB49_270
; %bb.269:                              ;   in Loop: Header=BB49_3 Depth=1
	ds_load_b64 v[40:41], v57 offset:21760
	ds_load_b64 v[42:43], v56
	s_wait_dscnt 0x0
	v_pk_mul_f32 v[78:79], v[42:43], v[40:41] op_sel:[1,1] op_sel_hi:[0,1]
	s_delay_alu instid0(VALU_DEP_1) | instskip(SKIP_1) | instid1(VALU_DEP_2)
	v_pk_fma_f32 v[80:81], v[42:43], v[40:41], v[78:79] op_sel_hi:[1,0,1]
	v_pk_fma_f32 v[40:41], v[42:43], v[40:41], v[78:79] neg_lo:[0,0,1] neg_hi:[0,0,1]
	v_mov_b32_e32 v41, v81
	s_delay_alu instid0(VALU_DEP_1)
	v_pk_add_f32 v[38:39], v[38:39], v[40:41] neg_lo:[0,1] neg_hi:[0,1]
.LBB49_270:                             ;   in Loop: Header=BB49_3 Depth=1
	s_or_b32 exec_lo, exec_lo, s8
	s_barrier_signal -1
	s_barrier_wait -1
	s_and_saveexec_b32 s8, s42
; %bb.271:                              ;   in Loop: Header=BB49_3 Depth=1
	v_pk_add_f32 v[40:41], v[38:39], 0 neg_lo:[1,1] neg_hi:[1,1]
	ds_store_b64 v56, v[40:41]
; %bb.272:                              ;   in Loop: Header=BB49_3 Depth=1
	s_or_b32 exec_lo, exec_lo, s8
	s_wait_dscnt 0x0
	s_barrier_signal -1
	s_barrier_wait -1
	s_and_saveexec_b32 s8, s43
	s_cbranch_execz .LBB49_274
; %bb.273:                              ;   in Loop: Header=BB49_3 Depth=1
	ds_load_b64 v[40:41], v57 offset:21248
	ds_load_b64 v[42:43], v56
	s_wait_dscnt 0x0
	v_pk_mul_f32 v[78:79], v[42:43], v[40:41] op_sel:[1,1] op_sel_hi:[0,1]
	s_delay_alu instid0(VALU_DEP_1) | instskip(SKIP_1) | instid1(VALU_DEP_2)
	v_pk_fma_f32 v[80:81], v[42:43], v[40:41], v[78:79] op_sel_hi:[1,0,1]
	v_pk_fma_f32 v[40:41], v[42:43], v[40:41], v[78:79] neg_lo:[0,0,1] neg_hi:[0,0,1]
	v_mov_b32_e32 v41, v81
	s_delay_alu instid0(VALU_DEP_1)
	v_pk_add_f32 v[38:39], v[38:39], v[40:41] neg_lo:[0,1] neg_hi:[0,1]
.LBB49_274:                             ;   in Loop: Header=BB49_3 Depth=1
	;; [unrolled: 26-line block ×4, first 2 shown]
	s_or_b32 exec_lo, exec_lo, s8
	s_barrier_signal -1
	s_barrier_wait -1
	s_and_saveexec_b32 s8, s26
; %bb.283:                              ;   in Loop: Header=BB49_3 Depth=1
	v_pk_add_f32 v[40:41], v[38:39], 0 neg_lo:[1,1] neg_hi:[1,1]
	ds_store_b64 v56, v[40:41]
; %bb.284:                              ;   in Loop: Header=BB49_3 Depth=1
	s_or_b32 exec_lo, exec_lo, s8
	s_wait_dscnt 0x0
	s_barrier_signal -1
	s_barrier_wait -1
	s_and_saveexec_b32 s8, s28
	s_cbranch_execz .LBB49_286
; %bb.285:                              ;   in Loop: Header=BB49_3 Depth=1
	ds_load_b64 v[40:41], v57 offset:19712
	ds_load_b64 v[42:43], v56
	s_wait_dscnt 0x0
	v_dual_mul_f32 v78, v43, v41 :: v_dual_mul_f32 v41, v42, v41
	s_delay_alu instid0(VALU_DEP_1) | instskip(NEXT) | instid1(VALU_DEP_1)
	v_dual_fma_f32 v42, v42, v40, -v78 :: v_dual_fmac_f32 v41, v43, v40
	v_dual_sub_f32 v38, v38, v42 :: v_dual_sub_f32 v39, v39, v41
.LBB49_286:                             ;   in Loop: Header=BB49_3 Depth=1
	s_or_b32 exec_lo, exec_lo, s8
	s_barrier_signal -1
	s_barrier_wait -1
	s_and_saveexec_b32 s8, s30
; %bb.287:                              ;   in Loop: Header=BB49_3 Depth=1
	v_pk_add_f32 v[40:41], v[38:39], 0 neg_lo:[1,1] neg_hi:[1,1]
	ds_store_b64 v56, v[40:41]
; %bb.288:                              ;   in Loop: Header=BB49_3 Depth=1
	s_or_b32 exec_lo, exec_lo, s8
	s_wait_dscnt 0x0
	s_barrier_signal -1
	s_barrier_wait -1
	s_and_saveexec_b32 s8, s104
	s_cbranch_execz .LBB49_290
; %bb.289:                              ;   in Loop: Header=BB49_3 Depth=1
	ds_load_b64 v[40:41], v57 offset:19200
	ds_load_b64 v[42:43], v56
	s_wait_dscnt 0x0
	v_dual_mul_f32 v78, v43, v41 :: v_dual_mul_f32 v79, v42, v41
	s_delay_alu instid0(VALU_DEP_1) | instskip(NEXT) | instid1(VALU_DEP_1)
	v_dual_fma_f32 v78, v42, v40, -v78 :: v_dual_fmac_f32 v79, v43, v40
	v_pk_add_f32 v[38:39], v[38:39], v[78:79] neg_lo:[0,1] neg_hi:[0,1]
.LBB49_290:                             ;   in Loop: Header=BB49_3 Depth=1
	s_or_b32 exec_lo, exec_lo, s8
	s_barrier_signal -1
	s_barrier_wait -1
	s_and_saveexec_b32 s8, s76
; %bb.291:                              ;   in Loop: Header=BB49_3 Depth=1
	v_pk_add_f32 v[40:41], v[38:39], 0 neg_lo:[1,1] neg_hi:[1,1]
	ds_store_b64 v56, v[40:41]
; %bb.292:                              ;   in Loop: Header=BB49_3 Depth=1
	s_or_b32 exec_lo, exec_lo, s8
	s_wait_dscnt 0x0
	s_barrier_signal -1
	s_barrier_wait -1
	s_and_saveexec_b32 s8, s77
	s_cbranch_execz .LBB49_294
; %bb.293:                              ;   in Loop: Header=BB49_3 Depth=1
	ds_load_b64 v[40:41], v57 offset:18688
	ds_load_b64 v[42:43], v56
	s_wait_dscnt 0x0
	v_pk_mul_f32 v[78:79], v[42:43], v[40:41] op_sel:[1,1] op_sel_hi:[0,1]
	s_delay_alu instid0(VALU_DEP_1) | instskip(SKIP_1) | instid1(VALU_DEP_2)
	v_pk_fma_f32 v[80:81], v[42:43], v[40:41], v[78:79] op_sel_hi:[1,0,1]
	v_pk_fma_f32 v[40:41], v[42:43], v[40:41], v[78:79] neg_lo:[0,0,1] neg_hi:[0,0,1]
	v_mov_b32_e32 v41, v81
	s_delay_alu instid0(VALU_DEP_1)
	v_pk_add_f32 v[38:39], v[38:39], v[40:41] neg_lo:[0,1] neg_hi:[0,1]
.LBB49_294:                             ;   in Loop: Header=BB49_3 Depth=1
	s_or_b32 exec_lo, exec_lo, s8
	s_barrier_signal -1
	s_barrier_wait -1
	s_and_saveexec_b32 s8, s74
; %bb.295:                              ;   in Loop: Header=BB49_3 Depth=1
	v_pk_add_f32 v[40:41], v[38:39], 0 neg_lo:[1,1] neg_hi:[1,1]
	ds_store_b64 v56, v[40:41]
; %bb.296:                              ;   in Loop: Header=BB49_3 Depth=1
	s_or_b32 exec_lo, exec_lo, s8
	s_wait_dscnt 0x0
	s_barrier_signal -1
	s_barrier_wait -1
	s_and_saveexec_b32 s8, s75
	s_cbranch_execz .LBB49_298
; %bb.297:                              ;   in Loop: Header=BB49_3 Depth=1
	ds_load_b64 v[40:41], v57 offset:18176
	ds_load_b64 v[42:43], v56
	s_wait_dscnt 0x0
	v_pk_mul_f32 v[78:79], v[42:43], v[40:41] op_sel:[1,1] op_sel_hi:[0,1]
	s_delay_alu instid0(VALU_DEP_1) | instskip(SKIP_1) | instid1(VALU_DEP_2)
	v_pk_fma_f32 v[80:81], v[42:43], v[40:41], v[78:79] op_sel_hi:[1,0,1]
	v_pk_fma_f32 v[40:41], v[42:43], v[40:41], v[78:79] neg_lo:[0,0,1] neg_hi:[0,0,1]
	v_mov_b32_e32 v41, v81
	s_delay_alu instid0(VALU_DEP_1)
	v_pk_add_f32 v[38:39], v[38:39], v[40:41] neg_lo:[0,1] neg_hi:[0,1]
.LBB49_298:                             ;   in Loop: Header=BB49_3 Depth=1
	;; [unrolled: 26-line block ×4, first 2 shown]
	s_or_b32 exec_lo, exec_lo, s8
	s_barrier_signal -1
	s_barrier_wait -1
	s_and_saveexec_b32 s8, s25
; %bb.307:                              ;   in Loop: Header=BB49_3 Depth=1
	v_pk_add_f32 v[40:41], v[38:39], 0 neg_lo:[1,1] neg_hi:[1,1]
	ds_store_b64 v56, v[40:41]
; %bb.308:                              ;   in Loop: Header=BB49_3 Depth=1
	s_or_b32 exec_lo, exec_lo, s8
	s_wait_dscnt 0x0
	s_barrier_signal -1
	s_barrier_wait -1
	s_barrier_signal -1
	s_barrier_wait -1
	s_and_saveexec_b32 s8, s6
; %bb.309:                              ;   in Loop: Header=BB49_3 Depth=1
	ds_store_b64 v60, v[38:39] offset:32512
; %bb.310:                              ;   in Loop: Header=BB49_3 Depth=1
	s_or_b32 exec_lo, exec_lo, s8
	s_wait_dscnt 0x0
	s_barrier_signal -1
	s_barrier_wait -1
	s_barrier_signal -1
	s_barrier_wait -1
	s_and_saveexec_b32 s8, s12
; %bb.311:                              ;   in Loop: Header=BB49_3 Depth=1
	v_add_nc_u32_e64 v38, 0x5800, 0
	ds_store_2addr_b64 v38, v[34:35], v[34:35] offset0:174 offset1:239
; %bb.312:                              ;   in Loop: Header=BB49_3 Depth=1
	s_or_b32 exec_lo, exec_lo, s8
	v_dual_mov_b32 v38, 0 :: v_dual_mov_b32 v39, 0
	s_wait_dscnt 0x0
	s_barrier_signal -1
	s_barrier_wait -1
	global_wb scope:SCOPE_DEV
	s_wait_storecnt 0x0
	global_inv scope:SCOPE_DEV
	s_and_saveexec_b32 s11, s3
	s_cbranch_execz .LBB49_316
; %bb.313:                              ;   in Loop: Header=BB49_3 Depth=1
	ds_load_b64 v[38:39], v44 offset:23904
	ds_load_b64 v[40:41], v45 offset:24432
	s_wait_dscnt 0x0
	v_pk_mul_f32 v[42:43], v[40:41], v[38:39] op_sel:[1,1] op_sel_hi:[0,1]
	s_delay_alu instid0(VALU_DEP_1) | instskip(SKIP_1) | instid1(VALU_DEP_2)
	v_pk_fma_f32 v[78:79], v[40:41], v[38:39], v[42:43] op_sel_hi:[1,0,1]
	v_pk_fma_f32 v[38:39], v[40:41], v[38:39], v[42:43] neg_lo:[0,0,1] neg_hi:[0,0,1]
	v_mov_b32_e32 v39, v79
	s_delay_alu instid0(VALU_DEP_1)
	v_pk_add_f32 v[38:39], v[38:39], 0 op_sel_hi:[1,0]
	s_and_saveexec_b32 s8, s13
	s_cbranch_execz .LBB49_315
; %bb.314:                              ;   in Loop: Header=BB49_3 Depth=1
	ds_load_b64 v[40:41], v46 offset:24416
	ds_load_b64 v[42:43], v7 offset:24440
	s_wait_dscnt 0x0
	v_pk_mul_f32 v[78:79], v[42:43], v[40:41] op_sel:[1,1] op_sel_hi:[0,1]
	s_delay_alu instid0(VALU_DEP_1) | instskip(SKIP_1) | instid1(VALU_DEP_2)
	v_pk_fma_f32 v[80:81], v[42:43], v[40:41], v[78:79] op_sel_hi:[1,0,1]
	v_pk_fma_f32 v[40:41], v[42:43], v[40:41], v[78:79] neg_lo:[0,0,1] neg_hi:[0,0,1]
	v_mov_b32_e32 v41, v81
	s_delay_alu instid0(VALU_DEP_1)
	v_pk_add_f32 v[38:39], v[38:39], v[40:41]
.LBB49_315:                             ;   in Loop: Header=BB49_3 Depth=1
	s_or_b32 exec_lo, exec_lo, s8
.LBB49_316:                             ;   in Loop: Header=BB49_3 Depth=1
	s_delay_alu instid0(SALU_CYCLE_1)
	s_or_b32 exec_lo, exec_lo, s11
	s_and_saveexec_b32 s8, s45
; %bb.317:                              ;   in Loop: Header=BB49_3 Depth=1
	s_delay_alu instid0(VALU_DEP_1)
	v_pk_add_f32 v[40:41], v[38:39], 0 neg_lo:[1,1] neg_hi:[1,1]
	ds_store_b64 v5, v[40:41]
; %bb.318:                              ;   in Loop: Header=BB49_3 Depth=1
	s_or_b32 exec_lo, exec_lo, s8
	s_wait_loadcnt_dscnt 0x0
	s_barrier_signal -1
	s_barrier_wait -1
	s_and_saveexec_b32 s8, s46
	s_cbranch_execz .LBB49_320
; %bb.319:                              ;   in Loop: Header=BB49_3 Depth=1
	ds_load_b64 v[40:41], v7 offset:23392
	ds_load_b64 v[42:43], v5
	s_wait_dscnt 0x0
	v_pk_mul_f32 v[78:79], v[42:43], v[40:41] op_sel_hi:[1,0]
	s_delay_alu instid0(VALU_DEP_1) | instskip(SKIP_1) | instid1(VALU_DEP_2)
	v_pk_fma_f32 v[80:81], v[42:43], v[40:41], v[78:79] op_sel:[1,1,0] op_sel_hi:[0,1,1]
	v_pk_fma_f32 v[40:41], v[42:43], v[40:41], v[78:79] op_sel:[1,1,0] op_sel_hi:[0,1,1] neg_lo:[0,0,1] neg_hi:[0,0,1]
	v_pk_add_f32 v[42:43], v[38:39], v[80:81] neg_lo:[0,1] neg_hi:[0,1]
	s_delay_alu instid0(VALU_DEP_2) | instskip(NEXT) | instid1(VALU_DEP_2)
	v_pk_add_f32 v[38:39], v[38:39], v[40:41]
	v_mov_b32_e32 v39, v43
.LBB49_320:                             ;   in Loop: Header=BB49_3 Depth=1
	s_or_b32 exec_lo, exec_lo, s8
	s_barrier_signal -1
	s_barrier_wait -1
	s_and_saveexec_b32 s8, s46
; %bb.321:                              ;   in Loop: Header=BB49_3 Depth=1
	v_pk_add_f32 v[40:41], v[38:39], 0 neg_lo:[1,1] neg_hi:[1,1]
	ds_store_b64 v5, v[40:41]
; %bb.322:                              ;   in Loop: Header=BB49_3 Depth=1
	s_or_b32 exec_lo, exec_lo, s8
	s_wait_dscnt 0x0
	s_barrier_signal -1
	s_barrier_wait -1
	s_barrier_signal -1
	s_barrier_wait -1
	s_and_saveexec_b32 s8, s3
; %bb.323:                              ;   in Loop: Header=BB49_3 Depth=1
	ds_store_b64 v47, v[38:39] offset:24416
; %bb.324:                              ;   in Loop: Header=BB49_3 Depth=1
	s_or_b32 exec_lo, exec_lo, s8
	s_wait_dscnt 0x0
	s_barrier_signal -1
	s_barrier_wait -1
	s_barrier_signal -1
	s_barrier_wait -1
	s_and_saveexec_b32 s8, s12
; %bb.325:                              ;   in Loop: Header=BB49_3 Depth=1
	v_add_nc_u32_e64 v38, 0x5800, 0
	ds_store_2addr_b64 v38, v[34:35], v[34:35] offset0:44 offset1:109
; %bb.326:                              ;   in Loop: Header=BB49_3 Depth=1
	s_or_b32 exec_lo, exec_lo, s8
	v_mov_b64_e32 v[38:39], 0
	s_wait_dscnt 0x0
	s_barrier_signal -1
	s_barrier_wait -1
	global_wb scope:SCOPE_DEV
	s_wait_storecnt 0x0
	global_inv scope:SCOPE_DEV
	s_and_saveexec_b32 s96, s4
	s_cbranch_execz .LBB49_332
; %bb.327:                              ;   in Loop: Header=BB49_3 Depth=1
	ds_load_b64 v[38:39], v49 offset:22848
	ds_load_b64 v[40:41], v50 offset:24416
	s_wait_dscnt 0x0
	v_dual_mul_f32 v42, v41, v39 :: v_dual_mul_f32 v39, v40, v39
	s_delay_alu instid0(VALU_DEP_1) | instskip(NEXT) | instid1(VALU_DEP_1)
	v_dual_fma_f32 v40, v40, v38, -v42 :: v_dual_fmac_f32 v39, v41, v38
	v_dual_add_f32 v38, 0, v40 :: v_dual_add_f32 v39, 0, v39
	s_and_saveexec_b32 s8, s14
	s_cbranch_execnz .LBB49_1014
; %bb.328:                              ;   in Loop: Header=BB49_3 Depth=1
	s_or_b32 exec_lo, exec_lo, s8
	s_and_saveexec_b32 s8, s15
	s_cbranch_execnz .LBB49_1015
.LBB49_329:                             ;   in Loop: Header=BB49_3 Depth=1
	s_or_b32 exec_lo, exec_lo, s8
	s_and_saveexec_b32 s8, s3
	s_cbranch_execz .LBB49_331
.LBB49_330:                             ;   in Loop: Header=BB49_3 Depth=1
	ds_load_b64 v[40:41], v46 offset:24384
	ds_load_b64 v[42:43], v7 offset:24440
	s_wait_dscnt 0x0
	v_pk_mul_f32 v[78:79], v[42:43], v[40:41] op_sel:[1,1] op_sel_hi:[0,1]
	s_delay_alu instid0(VALU_DEP_1) | instskip(SKIP_1) | instid1(VALU_DEP_2)
	v_pk_fma_f32 v[80:81], v[42:43], v[40:41], v[78:79] op_sel_hi:[1,0,1]
	v_pk_fma_f32 v[40:41], v[42:43], v[40:41], v[78:79] neg_lo:[0,0,1] neg_hi:[0,0,1]
	v_mov_b32_e32 v41, v81
	s_delay_alu instid0(VALU_DEP_1)
	v_pk_add_f32 v[38:39], v[38:39], v[40:41]
.LBB49_331:                             ;   in Loop: Header=BB49_3 Depth=1
	s_or_b32 exec_lo, exec_lo, s8
.LBB49_332:                             ;   in Loop: Header=BB49_3 Depth=1
	s_delay_alu instid0(SALU_CYCLE_1)
	s_or_b32 exec_lo, exec_lo, s96
	s_and_saveexec_b32 s8, s47
; %bb.333:                              ;   in Loop: Header=BB49_3 Depth=1
	s_delay_alu instid0(VALU_DEP_1)
	v_pk_add_f32 v[40:41], v[38:39], 0 neg_lo:[1,1] neg_hi:[1,1]
	ds_store_b64 v48, v[40:41]
; %bb.334:                              ;   in Loop: Header=BB49_3 Depth=1
	s_or_b32 exec_lo, exec_lo, s8
	s_wait_loadcnt_dscnt 0x0
	s_barrier_signal -1
	s_barrier_wait -1
	s_and_saveexec_b32 s8, s48
	s_cbranch_execz .LBB49_336
; %bb.335:                              ;   in Loop: Header=BB49_3 Depth=1
	ds_load_b64 v[40:41], v49 offset:22336
	ds_load_b64 v[42:43], v48
	s_wait_dscnt 0x0
	v_pk_mul_f32 v[78:79], v[42:43], v[40:41] op_sel:[1,1] op_sel_hi:[0,1]
	s_delay_alu instid0(VALU_DEP_1) | instskip(SKIP_1) | instid1(VALU_DEP_2)
	v_pk_fma_f32 v[80:81], v[42:43], v[40:41], v[78:79] op_sel_hi:[1,0,1]
	v_pk_fma_f32 v[40:41], v[42:43], v[40:41], v[78:79] neg_lo:[0,0,1] neg_hi:[0,0,1]
	v_mov_b32_e32 v41, v81
	s_delay_alu instid0(VALU_DEP_1)
	v_pk_add_f32 v[38:39], v[38:39], v[40:41] neg_lo:[0,1] neg_hi:[0,1]
.LBB49_336:                             ;   in Loop: Header=BB49_3 Depth=1
	s_or_b32 exec_lo, exec_lo, s8
	s_barrier_signal -1
	s_barrier_wait -1
	s_and_saveexec_b32 s8, s49
; %bb.337:                              ;   in Loop: Header=BB49_3 Depth=1
	v_pk_add_f32 v[40:41], v[38:39], 0 neg_lo:[1,1] neg_hi:[1,1]
	ds_store_b64 v48, v[40:41]
; %bb.338:                              ;   in Loop: Header=BB49_3 Depth=1
	s_or_b32 exec_lo, exec_lo, s8
	s_wait_dscnt 0x0
	s_barrier_signal -1
	s_barrier_wait -1
	s_and_saveexec_b32 s8, s50
	s_cbranch_execz .LBB49_340
; %bb.339:                              ;   in Loop: Header=BB49_3 Depth=1
	ds_load_b64 v[40:41], v49 offset:21824
	ds_load_b64 v[42:43], v48
	s_wait_dscnt 0x0
	v_pk_mul_f32 v[78:79], v[42:43], v[40:41] op_sel:[1,1] op_sel_hi:[0,1]
	s_delay_alu instid0(VALU_DEP_1) | instskip(SKIP_1) | instid1(VALU_DEP_2)
	v_pk_fma_f32 v[80:81], v[42:43], v[40:41], v[78:79] op_sel_hi:[1,0,1]
	v_pk_fma_f32 v[40:41], v[42:43], v[40:41], v[78:79] neg_lo:[0,0,1] neg_hi:[0,0,1]
	v_mov_b32_e32 v41, v81
	s_delay_alu instid0(VALU_DEP_1)
	v_pk_add_f32 v[38:39], v[38:39], v[40:41] neg_lo:[0,1] neg_hi:[0,1]
.LBB49_340:                             ;   in Loop: Header=BB49_3 Depth=1
	s_or_b32 exec_lo, exec_lo, s8
	s_barrier_signal -1
	s_barrier_wait -1
	s_and_saveexec_b32 s8, s51
; %bb.341:                              ;   in Loop: Header=BB49_3 Depth=1
	v_pk_add_f32 v[40:41], v[38:39], 0 neg_lo:[1,1] neg_hi:[1,1]
	ds_store_b64 v48, v[40:41]
; %bb.342:                              ;   in Loop: Header=BB49_3 Depth=1
	s_or_b32 exec_lo, exec_lo, s8
	s_wait_dscnt 0x0
	;; [unrolled: 26-line block ×3, first 2 shown]
	s_barrier_signal -1
	s_barrier_wait -1
	s_barrier_signal -1
	s_barrier_wait -1
	s_and_saveexec_b32 s8, s4
; %bb.347:                              ;   in Loop: Header=BB49_3 Depth=1
	ds_store_b64 v51, v[38:39] offset:24384
; %bb.348:                              ;   in Loop: Header=BB49_3 Depth=1
	s_or_b32 exec_lo, exec_lo, s8
	s_wait_dscnt 0x0
	s_barrier_signal -1
	s_barrier_wait -1
	s_barrier_signal -1
	s_barrier_wait -1
	s_and_saveexec_b32 s8, s12
; %bb.349:                              ;   in Loop: Header=BB49_3 Depth=1
	v_add_nc_u32_e64 v38, 0x5000, 0
	ds_store_2addr_b64 v38, v[34:35], v[34:35] offset0:170 offset1:235
; %bb.350:                              ;   in Loop: Header=BB49_3 Depth=1
	s_or_b32 exec_lo, exec_lo, s8
	v_dual_mov_b32 v38, 0 :: v_dual_mov_b32 v39, 0
	s_wait_dscnt 0x0
	s_barrier_signal -1
	s_barrier_wait -1
	global_wb scope:SCOPE_DEV
	s_wait_storecnt 0x0
	global_inv scope:SCOPE_DEV
	s_and_saveexec_b32 s11, s3
	s_cbranch_execz .LBB49_354
; %bb.351:                              ;   in Loop: Header=BB49_3 Depth=1
	ds_load_b64 v[38:39], v44 offset:21824
	ds_load_b64 v[40:41], v45 offset:22352
	s_wait_dscnt 0x0
	v_pk_mul_f32 v[42:43], v[40:41], v[38:39] op_sel:[1,1] op_sel_hi:[0,1]
	s_delay_alu instid0(VALU_DEP_1) | instskip(SKIP_1) | instid1(VALU_DEP_2)
	v_pk_fma_f32 v[78:79], v[40:41], v[38:39], v[42:43] op_sel_hi:[1,0,1]
	v_pk_fma_f32 v[38:39], v[40:41], v[38:39], v[42:43] neg_lo:[0,0,1] neg_hi:[0,0,1]
	v_mov_b32_e32 v39, v79
	s_delay_alu instid0(VALU_DEP_1)
	v_pk_add_f32 v[38:39], v[38:39], 0 op_sel_hi:[1,0]
	s_and_saveexec_b32 s8, s13
	s_cbranch_execz .LBB49_353
; %bb.352:                              ;   in Loop: Header=BB49_3 Depth=1
	ds_load_b64 v[40:41], v46 offset:22336
	ds_load_b64 v[42:43], v7 offset:22360
	s_wait_dscnt 0x0
	v_pk_mul_f32 v[78:79], v[42:43], v[40:41] op_sel:[1,1] op_sel_hi:[0,1]
	s_delay_alu instid0(VALU_DEP_1) | instskip(SKIP_1) | instid1(VALU_DEP_2)
	v_pk_fma_f32 v[80:81], v[42:43], v[40:41], v[78:79] op_sel_hi:[1,0,1]
	v_pk_fma_f32 v[40:41], v[42:43], v[40:41], v[78:79] neg_lo:[0,0,1] neg_hi:[0,0,1]
	v_mov_b32_e32 v41, v81
	s_delay_alu instid0(VALU_DEP_1)
	v_pk_add_f32 v[38:39], v[38:39], v[40:41]
.LBB49_353:                             ;   in Loop: Header=BB49_3 Depth=1
	s_or_b32 exec_lo, exec_lo, s8
.LBB49_354:                             ;   in Loop: Header=BB49_3 Depth=1
	s_delay_alu instid0(SALU_CYCLE_1)
	s_or_b32 exec_lo, exec_lo, s11
	s_and_saveexec_b32 s8, s45
; %bb.355:                              ;   in Loop: Header=BB49_3 Depth=1
	s_delay_alu instid0(VALU_DEP_1)
	v_pk_add_f32 v[40:41], v[38:39], 0 neg_lo:[1,1] neg_hi:[1,1]
	ds_store_b64 v5, v[40:41]
; %bb.356:                              ;   in Loop: Header=BB49_3 Depth=1
	s_or_b32 exec_lo, exec_lo, s8
	s_wait_loadcnt_dscnt 0x0
	s_barrier_signal -1
	s_barrier_wait -1
	s_and_saveexec_b32 s8, s46
	s_cbranch_execz .LBB49_358
; %bb.357:                              ;   in Loop: Header=BB49_3 Depth=1
	ds_load_b64 v[40:41], v7 offset:21312
	ds_load_b64 v[42:43], v5
	s_wait_dscnt 0x0
	v_pk_mul_f32 v[78:79], v[42:43], v[40:41] op_sel_hi:[1,0]
	s_delay_alu instid0(VALU_DEP_1) | instskip(SKIP_1) | instid1(VALU_DEP_2)
	v_pk_fma_f32 v[80:81], v[42:43], v[40:41], v[78:79] op_sel:[1,1,0] op_sel_hi:[0,1,1]
	v_pk_fma_f32 v[40:41], v[42:43], v[40:41], v[78:79] op_sel:[1,1,0] op_sel_hi:[0,1,1] neg_lo:[0,0,1] neg_hi:[0,0,1]
	v_pk_add_f32 v[42:43], v[38:39], v[80:81] neg_lo:[0,1] neg_hi:[0,1]
	s_delay_alu instid0(VALU_DEP_2) | instskip(NEXT) | instid1(VALU_DEP_2)
	v_pk_add_f32 v[38:39], v[38:39], v[40:41]
	v_mov_b32_e32 v39, v43
.LBB49_358:                             ;   in Loop: Header=BB49_3 Depth=1
	s_or_b32 exec_lo, exec_lo, s8
	s_barrier_signal -1
	s_barrier_wait -1
	s_and_saveexec_b32 s8, s46
; %bb.359:                              ;   in Loop: Header=BB49_3 Depth=1
	v_pk_add_f32 v[40:41], v[38:39], 0 neg_lo:[1,1] neg_hi:[1,1]
	ds_store_b64 v5, v[40:41]
; %bb.360:                              ;   in Loop: Header=BB49_3 Depth=1
	s_or_b32 exec_lo, exec_lo, s8
	s_wait_dscnt 0x0
	s_barrier_signal -1
	s_barrier_wait -1
	s_barrier_signal -1
	s_barrier_wait -1
	s_and_saveexec_b32 s8, s3
; %bb.361:                              ;   in Loop: Header=BB49_3 Depth=1
	ds_store_b64 v47, v[38:39] offset:22336
; %bb.362:                              ;   in Loop: Header=BB49_3 Depth=1
	s_or_b32 exec_lo, exec_lo, s8
	s_wait_dscnt 0x0
	s_barrier_signal -1
	s_barrier_wait -1
	s_barrier_signal -1
	s_barrier_wait -1
	s_and_saveexec_b32 s8, s12
; %bb.363:                              ;   in Loop: Header=BB49_3 Depth=1
	v_add_nc_u32_e64 v38, 0x5000, 0
	ds_store_2addr_b64 v38, v[34:35], v[34:35] offset0:40 offset1:105
; %bb.364:                              ;   in Loop: Header=BB49_3 Depth=1
	s_or_b32 exec_lo, exec_lo, s8
	v_mov_b64_e32 v[38:39], 0
	s_wait_dscnt 0x0
	s_barrier_signal -1
	s_barrier_wait -1
	global_wb scope:SCOPE_DEV
	s_wait_storecnt 0x0
	global_inv scope:SCOPE_DEV
	s_and_saveexec_b32 s96, s5
	s_cbranch_execz .LBB49_374
; %bb.365:                              ;   in Loop: Header=BB49_3 Depth=1
	ds_load_b64 v[38:39], v53 offset:20736
	ds_load_b64 v[40:41], v54 offset:24384
	s_wait_dscnt 0x0
	v_dual_mul_f32 v42, v41, v39 :: v_dual_mul_f32 v39, v40, v39
	s_delay_alu instid0(VALU_DEP_1) | instskip(NEXT) | instid1(VALU_DEP_1)
	v_dual_fma_f32 v40, v40, v38, -v42 :: v_dual_fmac_f32 v39, v41, v38
	v_dual_add_f32 v38, 0, v40 :: v_dual_add_f32 v39, 0, v39
	s_and_saveexec_b32 s8, s16
	s_cbranch_execnz .LBB49_1016
; %bb.366:                              ;   in Loop: Header=BB49_3 Depth=1
	s_or_b32 exec_lo, exec_lo, s8
	s_and_saveexec_b32 s8, s17
	s_cbranch_execnz .LBB49_1017
.LBB49_367:                             ;   in Loop: Header=BB49_3 Depth=1
	s_or_b32 exec_lo, exec_lo, s8
	s_and_saveexec_b32 s8, s18
	s_cbranch_execnz .LBB49_1018
.LBB49_368:                             ;   in Loop: Header=BB49_3 Depth=1
	s_or_b32 exec_lo, exec_lo, s8
	s_and_saveexec_b32 s8, s19
	s_cbranch_execnz .LBB49_1019
.LBB49_369:                             ;   in Loop: Header=BB49_3 Depth=1
	s_or_b32 exec_lo, exec_lo, s8
	s_and_saveexec_b32 s8, s20
	s_cbranch_execnz .LBB49_1020
.LBB49_370:                             ;   in Loop: Header=BB49_3 Depth=1
	s_or_b32 exec_lo, exec_lo, s8
	s_and_saveexec_b32 s8, s4
	s_cbranch_execnz .LBB49_1021
.LBB49_371:                             ;   in Loop: Header=BB49_3 Depth=1
	s_or_b32 exec_lo, exec_lo, s8
	s_and_saveexec_b32 s8, s15
	s_cbranch_execz .LBB49_373
.LBB49_372:                             ;   in Loop: Header=BB49_3 Depth=1
	ds_load_b64 v[40:41], v46 offset:24320
	ds_load_b64 v[42:43], v7 offset:24440
	s_wait_dscnt 0x0
	v_pk_mul_f32 v[78:79], v[42:43], v[40:41] op_sel:[1,1] op_sel_hi:[0,1]
	s_delay_alu instid0(VALU_DEP_1) | instskip(SKIP_1) | instid1(VALU_DEP_2)
	v_pk_fma_f32 v[80:81], v[42:43], v[40:41], v[78:79] op_sel_hi:[1,0,1]
	v_pk_fma_f32 v[40:41], v[42:43], v[40:41], v[78:79] neg_lo:[0,0,1] neg_hi:[0,0,1]
	v_mov_b32_e32 v41, v81
	s_delay_alu instid0(VALU_DEP_1)
	v_pk_add_f32 v[38:39], v[38:39], v[40:41]
.LBB49_373:                             ;   in Loop: Header=BB49_3 Depth=1
	s_or_b32 exec_lo, exec_lo, s8
.LBB49_374:                             ;   in Loop: Header=BB49_3 Depth=1
	s_delay_alu instid0(SALU_CYCLE_1)
	s_or_b32 exec_lo, exec_lo, s96
	s_and_saveexec_b32 s8, s53
; %bb.375:                              ;   in Loop: Header=BB49_3 Depth=1
	s_delay_alu instid0(VALU_DEP_1)
	v_pk_add_f32 v[40:41], v[38:39], 0 neg_lo:[1,1] neg_hi:[1,1]
	ds_store_b64 v52, v[40:41]
; %bb.376:                              ;   in Loop: Header=BB49_3 Depth=1
	s_or_b32 exec_lo, exec_lo, s8
	s_wait_loadcnt_dscnt 0x0
	s_barrier_signal -1
	s_barrier_wait -1
	s_and_saveexec_b32 s8, s54
	s_cbranch_execz .LBB49_378
; %bb.377:                              ;   in Loop: Header=BB49_3 Depth=1
	ds_load_b64 v[40:41], v53 offset:20224
	ds_load_b64 v[42:43], v52
	s_wait_dscnt 0x0
	v_pk_mul_f32 v[78:79], v[42:43], v[40:41] op_sel:[1,1] op_sel_hi:[0,1]
	s_delay_alu instid0(VALU_DEP_1) | instskip(SKIP_1) | instid1(VALU_DEP_2)
	v_pk_fma_f32 v[80:81], v[42:43], v[40:41], v[78:79] op_sel_hi:[1,0,1]
	v_pk_fma_f32 v[40:41], v[42:43], v[40:41], v[78:79] neg_lo:[0,0,1] neg_hi:[0,0,1]
	v_mov_b32_e32 v41, v81
	s_delay_alu instid0(VALU_DEP_1)
	v_pk_add_f32 v[38:39], v[38:39], v[40:41] neg_lo:[0,1] neg_hi:[0,1]
.LBB49_378:                             ;   in Loop: Header=BB49_3 Depth=1
	s_or_b32 exec_lo, exec_lo, s8
	s_barrier_signal -1
	s_barrier_wait -1
	s_and_saveexec_b32 s8, s55
; %bb.379:                              ;   in Loop: Header=BB49_3 Depth=1
	v_pk_add_f32 v[40:41], v[38:39], 0 neg_lo:[1,1] neg_hi:[1,1]
	ds_store_b64 v52, v[40:41]
; %bb.380:                              ;   in Loop: Header=BB49_3 Depth=1
	s_or_b32 exec_lo, exec_lo, s8
	s_wait_dscnt 0x0
	s_barrier_signal -1
	s_barrier_wait -1
	s_and_saveexec_b32 s8, s56
	s_cbranch_execz .LBB49_382
; %bb.381:                              ;   in Loop: Header=BB49_3 Depth=1
	ds_load_b64 v[40:41], v53 offset:19712
	ds_load_b64 v[42:43], v52
	s_wait_dscnt 0x0
	v_dual_mul_f32 v78, v43, v41 :: v_dual_mul_f32 v41, v42, v41
	s_delay_alu instid0(VALU_DEP_1) | instskip(NEXT) | instid1(VALU_DEP_1)
	v_dual_fma_f32 v42, v42, v40, -v78 :: v_dual_fmac_f32 v41, v43, v40
	v_dual_sub_f32 v38, v38, v42 :: v_dual_sub_f32 v39, v39, v41
.LBB49_382:                             ;   in Loop: Header=BB49_3 Depth=1
	s_or_b32 exec_lo, exec_lo, s8
	s_barrier_signal -1
	s_barrier_wait -1
	s_and_saveexec_b32 s8, s57
; %bb.383:                              ;   in Loop: Header=BB49_3 Depth=1
	v_pk_add_f32 v[40:41], v[38:39], 0 neg_lo:[1,1] neg_hi:[1,1]
	ds_store_b64 v52, v[40:41]
; %bb.384:                              ;   in Loop: Header=BB49_3 Depth=1
	s_or_b32 exec_lo, exec_lo, s8
	s_wait_dscnt 0x0
	s_barrier_signal -1
	s_barrier_wait -1
	s_and_saveexec_b32 s8, s58
	s_cbranch_execz .LBB49_386
; %bb.385:                              ;   in Loop: Header=BB49_3 Depth=1
	ds_load_b64 v[40:41], v53 offset:19200
	ds_load_b64 v[42:43], v52
	s_wait_dscnt 0x0
	v_dual_mul_f32 v78, v43, v41 :: v_dual_mul_f32 v79, v42, v41
	s_delay_alu instid0(VALU_DEP_1) | instskip(NEXT) | instid1(VALU_DEP_1)
	v_dual_fma_f32 v78, v42, v40, -v78 :: v_dual_fmac_f32 v79, v43, v40
	v_pk_add_f32 v[38:39], v[38:39], v[78:79] neg_lo:[0,1] neg_hi:[0,1]
.LBB49_386:                             ;   in Loop: Header=BB49_3 Depth=1
	s_or_b32 exec_lo, exec_lo, s8
	s_barrier_signal -1
	s_barrier_wait -1
	s_and_saveexec_b32 s8, s59
; %bb.387:                              ;   in Loop: Header=BB49_3 Depth=1
	v_pk_add_f32 v[40:41], v[38:39], 0 neg_lo:[1,1] neg_hi:[1,1]
	ds_store_b64 v52, v[40:41]
; %bb.388:                              ;   in Loop: Header=BB49_3 Depth=1
	s_or_b32 exec_lo, exec_lo, s8
	s_wait_dscnt 0x0
	s_barrier_signal -1
	s_barrier_wait -1
	s_and_saveexec_b32 s8, s60
	s_cbranch_execz .LBB49_390
; %bb.389:                              ;   in Loop: Header=BB49_3 Depth=1
	ds_load_b64 v[40:41], v53 offset:18688
	ds_load_b64 v[42:43], v52
	s_wait_dscnt 0x0
	v_pk_mul_f32 v[78:79], v[42:43], v[40:41] op_sel:[1,1] op_sel_hi:[0,1]
	s_delay_alu instid0(VALU_DEP_1) | instskip(SKIP_1) | instid1(VALU_DEP_2)
	v_pk_fma_f32 v[80:81], v[42:43], v[40:41], v[78:79] op_sel_hi:[1,0,1]
	v_pk_fma_f32 v[40:41], v[42:43], v[40:41], v[78:79] neg_lo:[0,0,1] neg_hi:[0,0,1]
	v_mov_b32_e32 v41, v81
	s_delay_alu instid0(VALU_DEP_1)
	v_pk_add_f32 v[38:39], v[38:39], v[40:41] neg_lo:[0,1] neg_hi:[0,1]
.LBB49_390:                             ;   in Loop: Header=BB49_3 Depth=1
	s_or_b32 exec_lo, exec_lo, s8
	s_barrier_signal -1
	s_barrier_wait -1
	s_and_saveexec_b32 s8, s61
; %bb.391:                              ;   in Loop: Header=BB49_3 Depth=1
	v_pk_add_f32 v[40:41], v[38:39], 0 neg_lo:[1,1] neg_hi:[1,1]
	ds_store_b64 v52, v[40:41]
; %bb.392:                              ;   in Loop: Header=BB49_3 Depth=1
	s_or_b32 exec_lo, exec_lo, s8
	s_wait_dscnt 0x0
	s_barrier_signal -1
	s_barrier_wait -1
	s_and_saveexec_b32 s8, s62
	s_cbranch_execz .LBB49_394
; %bb.393:                              ;   in Loop: Header=BB49_3 Depth=1
	ds_load_b64 v[40:41], v53 offset:18176
	ds_load_b64 v[42:43], v52
	s_wait_dscnt 0x0
	v_pk_mul_f32 v[78:79], v[42:43], v[40:41] op_sel:[1,1] op_sel_hi:[0,1]
	s_delay_alu instid0(VALU_DEP_1) | instskip(SKIP_1) | instid1(VALU_DEP_2)
	v_pk_fma_f32 v[80:81], v[42:43], v[40:41], v[78:79] op_sel_hi:[1,0,1]
	v_pk_fma_f32 v[40:41], v[42:43], v[40:41], v[78:79] neg_lo:[0,0,1] neg_hi:[0,0,1]
	v_mov_b32_e32 v41, v81
	s_delay_alu instid0(VALU_DEP_1)
	v_pk_add_f32 v[38:39], v[38:39], v[40:41] neg_lo:[0,1] neg_hi:[0,1]
.LBB49_394:                             ;   in Loop: Header=BB49_3 Depth=1
	;; [unrolled: 26-line block ×4, first 2 shown]
	s_or_b32 exec_lo, exec_lo, s8
	s_barrier_signal -1
	s_barrier_wait -1
	s_and_saveexec_b32 s8, s66
; %bb.403:                              ;   in Loop: Header=BB49_3 Depth=1
	v_pk_add_f32 v[40:41], v[38:39], 0 neg_lo:[1,1] neg_hi:[1,1]
	ds_store_b64 v52, v[40:41]
; %bb.404:                              ;   in Loop: Header=BB49_3 Depth=1
	s_or_b32 exec_lo, exec_lo, s8
	s_wait_dscnt 0x0
	s_barrier_signal -1
	s_barrier_wait -1
	s_barrier_signal -1
	s_barrier_wait -1
	s_and_saveexec_b32 s8, s5
; %bb.405:                              ;   in Loop: Header=BB49_3 Depth=1
	ds_store_b64 v55, v[38:39] offset:24320
; %bb.406:                              ;   in Loop: Header=BB49_3 Depth=1
	s_or_b32 exec_lo, exec_lo, s8
	s_wait_dscnt 0x0
	s_barrier_signal -1
	s_barrier_wait -1
	s_barrier_signal -1
	s_barrier_wait -1
	s_and_saveexec_b32 s8, s12
; %bb.407:                              ;   in Loop: Header=BB49_3 Depth=1
	v_add_nc_u32_e64 v38, 0x4800, 0
	ds_store_2addr_b64 v38, v[34:35], v[34:35] offset0:166 offset1:231
; %bb.408:                              ;   in Loop: Header=BB49_3 Depth=1
	s_or_b32 exec_lo, exec_lo, s8
	v_dual_mov_b32 v38, 0 :: v_dual_mov_b32 v39, 0
	s_wait_dscnt 0x0
	s_barrier_signal -1
	s_barrier_wait -1
	global_wb scope:SCOPE_DEV
	s_wait_storecnt 0x0
	global_inv scope:SCOPE_DEV
	s_and_saveexec_b32 s11, s3
	s_cbranch_execz .LBB49_412
; %bb.409:                              ;   in Loop: Header=BB49_3 Depth=1
	ds_load_b64 v[38:39], v44 offset:19744
	ds_load_b64 v[40:41], v45 offset:20272
	s_wait_dscnt 0x0
	v_pk_mul_f32 v[42:43], v[40:41], v[38:39] op_sel:[1,1] op_sel_hi:[0,1]
	s_delay_alu instid0(VALU_DEP_1) | instskip(SKIP_1) | instid1(VALU_DEP_2)
	v_pk_fma_f32 v[78:79], v[40:41], v[38:39], v[42:43] op_sel_hi:[1,0,1]
	v_pk_fma_f32 v[38:39], v[40:41], v[38:39], v[42:43] neg_lo:[0,0,1] neg_hi:[0,0,1]
	v_mov_b32_e32 v39, v79
	s_delay_alu instid0(VALU_DEP_1)
	v_pk_add_f32 v[38:39], v[38:39], 0 op_sel_hi:[1,0]
	s_and_saveexec_b32 s8, s13
	s_cbranch_execz .LBB49_411
; %bb.410:                              ;   in Loop: Header=BB49_3 Depth=1
	ds_load_b64 v[40:41], v46 offset:20256
	ds_load_b64 v[42:43], v7 offset:20280
	s_wait_dscnt 0x0
	v_pk_mul_f32 v[78:79], v[42:43], v[40:41] op_sel:[1,1] op_sel_hi:[0,1]
	s_delay_alu instid0(VALU_DEP_1) | instskip(SKIP_1) | instid1(VALU_DEP_2)
	v_pk_fma_f32 v[80:81], v[42:43], v[40:41], v[78:79] op_sel_hi:[1,0,1]
	v_pk_fma_f32 v[40:41], v[42:43], v[40:41], v[78:79] neg_lo:[0,0,1] neg_hi:[0,0,1]
	v_mov_b32_e32 v41, v81
	s_delay_alu instid0(VALU_DEP_1)
	v_pk_add_f32 v[38:39], v[38:39], v[40:41]
.LBB49_411:                             ;   in Loop: Header=BB49_3 Depth=1
	s_or_b32 exec_lo, exec_lo, s8
.LBB49_412:                             ;   in Loop: Header=BB49_3 Depth=1
	s_delay_alu instid0(SALU_CYCLE_1)
	s_or_b32 exec_lo, exec_lo, s11
	s_and_saveexec_b32 s8, s45
; %bb.413:                              ;   in Loop: Header=BB49_3 Depth=1
	s_delay_alu instid0(VALU_DEP_1)
	v_pk_add_f32 v[40:41], v[38:39], 0 neg_lo:[1,1] neg_hi:[1,1]
	ds_store_b64 v5, v[40:41]
; %bb.414:                              ;   in Loop: Header=BB49_3 Depth=1
	s_or_b32 exec_lo, exec_lo, s8
	s_wait_loadcnt_dscnt 0x0
	s_barrier_signal -1
	s_barrier_wait -1
	s_and_saveexec_b32 s8, s46
	s_cbranch_execz .LBB49_416
; %bb.415:                              ;   in Loop: Header=BB49_3 Depth=1
	ds_load_b64 v[40:41], v7 offset:19232
	ds_load_b64 v[42:43], v5
	s_wait_dscnt 0x0
	v_pk_mul_f32 v[78:79], v[42:43], v[40:41] op_sel_hi:[1,0]
	s_delay_alu instid0(VALU_DEP_1) | instskip(SKIP_1) | instid1(VALU_DEP_2)
	v_pk_fma_f32 v[80:81], v[42:43], v[40:41], v[78:79] op_sel:[1,1,0] op_sel_hi:[0,1,1]
	v_pk_fma_f32 v[40:41], v[42:43], v[40:41], v[78:79] op_sel:[1,1,0] op_sel_hi:[0,1,1] neg_lo:[0,0,1] neg_hi:[0,0,1]
	v_pk_add_f32 v[42:43], v[38:39], v[80:81] neg_lo:[0,1] neg_hi:[0,1]
	s_delay_alu instid0(VALU_DEP_2) | instskip(NEXT) | instid1(VALU_DEP_2)
	v_pk_add_f32 v[38:39], v[38:39], v[40:41]
	v_mov_b32_e32 v39, v43
.LBB49_416:                             ;   in Loop: Header=BB49_3 Depth=1
	s_or_b32 exec_lo, exec_lo, s8
	s_barrier_signal -1
	s_barrier_wait -1
	s_and_saveexec_b32 s8, s46
; %bb.417:                              ;   in Loop: Header=BB49_3 Depth=1
	v_pk_add_f32 v[40:41], v[38:39], 0 neg_lo:[1,1] neg_hi:[1,1]
	ds_store_b64 v5, v[40:41]
; %bb.418:                              ;   in Loop: Header=BB49_3 Depth=1
	s_or_b32 exec_lo, exec_lo, s8
	s_wait_dscnt 0x0
	s_barrier_signal -1
	s_barrier_wait -1
	s_barrier_signal -1
	s_barrier_wait -1
	s_and_saveexec_b32 s8, s3
; %bb.419:                              ;   in Loop: Header=BB49_3 Depth=1
	ds_store_b64 v47, v[38:39] offset:20256
; %bb.420:                              ;   in Loop: Header=BB49_3 Depth=1
	s_or_b32 exec_lo, exec_lo, s8
	s_wait_dscnt 0x0
	s_barrier_signal -1
	s_barrier_wait -1
	s_barrier_signal -1
	s_barrier_wait -1
	s_and_saveexec_b32 s8, s12
; %bb.421:                              ;   in Loop: Header=BB49_3 Depth=1
	v_add_nc_u32_e64 v38, 0x4800, 0
	ds_store_2addr_b64 v38, v[34:35], v[34:35] offset0:36 offset1:101
; %bb.422:                              ;   in Loop: Header=BB49_3 Depth=1
	s_or_b32 exec_lo, exec_lo, s8
	v_mov_b64_e32 v[38:39], 0
	s_wait_dscnt 0x0
	s_barrier_signal -1
	s_barrier_wait -1
	global_wb scope:SCOPE_DEV
	s_wait_storecnt 0x0
	global_inv scope:SCOPE_DEV
	s_and_saveexec_b32 s96, s4
	s_cbranch_execz .LBB49_428
; %bb.423:                              ;   in Loop: Header=BB49_3 Depth=1
	ds_load_b64 v[38:39], v49 offset:18688
	ds_load_b64 v[40:41], v50 offset:20256
	s_wait_dscnt 0x0
	v_dual_mul_f32 v42, v41, v39 :: v_dual_mul_f32 v39, v40, v39
	s_delay_alu instid0(VALU_DEP_1) | instskip(NEXT) | instid1(VALU_DEP_1)
	v_dual_fma_f32 v40, v40, v38, -v42 :: v_dual_fmac_f32 v39, v41, v38
	v_dual_add_f32 v38, 0, v40 :: v_dual_add_f32 v39, 0, v39
	s_and_saveexec_b32 s8, s14
	s_cbranch_execnz .LBB49_1022
; %bb.424:                              ;   in Loop: Header=BB49_3 Depth=1
	s_or_b32 exec_lo, exec_lo, s8
	s_and_saveexec_b32 s8, s15
	s_cbranch_execnz .LBB49_1023
.LBB49_425:                             ;   in Loop: Header=BB49_3 Depth=1
	s_or_b32 exec_lo, exec_lo, s8
	s_and_saveexec_b32 s8, s3
	s_cbranch_execz .LBB49_427
.LBB49_426:                             ;   in Loop: Header=BB49_3 Depth=1
	ds_load_b64 v[40:41], v46 offset:20224
	ds_load_b64 v[42:43], v7 offset:20280
	s_wait_dscnt 0x0
	v_pk_mul_f32 v[78:79], v[42:43], v[40:41] op_sel:[1,1] op_sel_hi:[0,1]
	s_delay_alu instid0(VALU_DEP_1) | instskip(SKIP_1) | instid1(VALU_DEP_2)
	v_pk_fma_f32 v[80:81], v[42:43], v[40:41], v[78:79] op_sel_hi:[1,0,1]
	v_pk_fma_f32 v[40:41], v[42:43], v[40:41], v[78:79] neg_lo:[0,0,1] neg_hi:[0,0,1]
	v_mov_b32_e32 v41, v81
	s_delay_alu instid0(VALU_DEP_1)
	v_pk_add_f32 v[38:39], v[38:39], v[40:41]
.LBB49_427:                             ;   in Loop: Header=BB49_3 Depth=1
	s_or_b32 exec_lo, exec_lo, s8
.LBB49_428:                             ;   in Loop: Header=BB49_3 Depth=1
	s_delay_alu instid0(SALU_CYCLE_1)
	s_or_b32 exec_lo, exec_lo, s96
	s_and_saveexec_b32 s8, s47
; %bb.429:                              ;   in Loop: Header=BB49_3 Depth=1
	s_delay_alu instid0(VALU_DEP_1)
	v_pk_add_f32 v[40:41], v[38:39], 0 neg_lo:[1,1] neg_hi:[1,1]
	ds_store_b64 v48, v[40:41]
; %bb.430:                              ;   in Loop: Header=BB49_3 Depth=1
	s_or_b32 exec_lo, exec_lo, s8
	s_wait_loadcnt_dscnt 0x0
	s_barrier_signal -1
	s_barrier_wait -1
	s_and_saveexec_b32 s8, s48
	s_cbranch_execz .LBB49_432
; %bb.431:                              ;   in Loop: Header=BB49_3 Depth=1
	ds_load_b64 v[40:41], v49 offset:18176
	ds_load_b64 v[42:43], v48
	s_wait_dscnt 0x0
	v_pk_mul_f32 v[78:79], v[42:43], v[40:41] op_sel:[1,1] op_sel_hi:[0,1]
	s_delay_alu instid0(VALU_DEP_1) | instskip(SKIP_1) | instid1(VALU_DEP_2)
	v_pk_fma_f32 v[80:81], v[42:43], v[40:41], v[78:79] op_sel_hi:[1,0,1]
	v_pk_fma_f32 v[40:41], v[42:43], v[40:41], v[78:79] neg_lo:[0,0,1] neg_hi:[0,0,1]
	v_mov_b32_e32 v41, v81
	s_delay_alu instid0(VALU_DEP_1)
	v_pk_add_f32 v[38:39], v[38:39], v[40:41] neg_lo:[0,1] neg_hi:[0,1]
.LBB49_432:                             ;   in Loop: Header=BB49_3 Depth=1
	s_or_b32 exec_lo, exec_lo, s8
	s_barrier_signal -1
	s_barrier_wait -1
	s_and_saveexec_b32 s8, s49
; %bb.433:                              ;   in Loop: Header=BB49_3 Depth=1
	v_pk_add_f32 v[40:41], v[38:39], 0 neg_lo:[1,1] neg_hi:[1,1]
	ds_store_b64 v48, v[40:41]
; %bb.434:                              ;   in Loop: Header=BB49_3 Depth=1
	s_or_b32 exec_lo, exec_lo, s8
	s_wait_dscnt 0x0
	s_barrier_signal -1
	s_barrier_wait -1
	s_and_saveexec_b32 s8, s50
	s_cbranch_execz .LBB49_436
; %bb.435:                              ;   in Loop: Header=BB49_3 Depth=1
	ds_load_b64 v[40:41], v49 offset:17664
	ds_load_b64 v[42:43], v48
	s_wait_dscnt 0x0
	v_pk_mul_f32 v[78:79], v[42:43], v[40:41] op_sel:[1,1] op_sel_hi:[0,1]
	s_delay_alu instid0(VALU_DEP_1) | instskip(SKIP_1) | instid1(VALU_DEP_2)
	v_pk_fma_f32 v[80:81], v[42:43], v[40:41], v[78:79] op_sel_hi:[1,0,1]
	v_pk_fma_f32 v[40:41], v[42:43], v[40:41], v[78:79] neg_lo:[0,0,1] neg_hi:[0,0,1]
	v_mov_b32_e32 v41, v81
	s_delay_alu instid0(VALU_DEP_1)
	v_pk_add_f32 v[38:39], v[38:39], v[40:41] neg_lo:[0,1] neg_hi:[0,1]
.LBB49_436:                             ;   in Loop: Header=BB49_3 Depth=1
	s_or_b32 exec_lo, exec_lo, s8
	s_barrier_signal -1
	s_barrier_wait -1
	s_and_saveexec_b32 s8, s51
; %bb.437:                              ;   in Loop: Header=BB49_3 Depth=1
	v_pk_add_f32 v[40:41], v[38:39], 0 neg_lo:[1,1] neg_hi:[1,1]
	ds_store_b64 v48, v[40:41]
; %bb.438:                              ;   in Loop: Header=BB49_3 Depth=1
	s_or_b32 exec_lo, exec_lo, s8
	s_wait_dscnt 0x0
	;; [unrolled: 26-line block ×3, first 2 shown]
	s_barrier_signal -1
	s_barrier_wait -1
	s_barrier_signal -1
	s_barrier_wait -1
	s_and_saveexec_b32 s8, s4
; %bb.443:                              ;   in Loop: Header=BB49_3 Depth=1
	ds_store_b64 v51, v[38:39] offset:20224
; %bb.444:                              ;   in Loop: Header=BB49_3 Depth=1
	s_or_b32 exec_lo, exec_lo, s8
	s_wait_dscnt 0x0
	s_barrier_signal -1
	s_barrier_wait -1
	s_barrier_signal -1
	s_barrier_wait -1
	s_and_saveexec_b32 s8, s12
; %bb.445:                              ;   in Loop: Header=BB49_3 Depth=1
	v_add_nc_u32_e64 v38, 0x4000, 0
	ds_store_2addr_b64 v38, v[34:35], v[34:35] offset0:162 offset1:227
; %bb.446:                              ;   in Loop: Header=BB49_3 Depth=1
	s_or_b32 exec_lo, exec_lo, s8
	v_dual_mov_b32 v38, 0 :: v_dual_mov_b32 v39, 0
	s_wait_dscnt 0x0
	s_barrier_signal -1
	s_barrier_wait -1
	global_wb scope:SCOPE_DEV
	s_wait_storecnt 0x0
	global_inv scope:SCOPE_DEV
	s_and_saveexec_b32 s11, s3
	s_cbranch_execz .LBB49_450
; %bb.447:                              ;   in Loop: Header=BB49_3 Depth=1
	ds_load_b64 v[38:39], v44 offset:17664
	ds_load_b64 v[40:41], v45 offset:18192
	s_wait_dscnt 0x0
	v_pk_mul_f32 v[42:43], v[40:41], v[38:39] op_sel:[1,1] op_sel_hi:[0,1]
	s_delay_alu instid0(VALU_DEP_1) | instskip(SKIP_1) | instid1(VALU_DEP_2)
	v_pk_fma_f32 v[78:79], v[40:41], v[38:39], v[42:43] op_sel_hi:[1,0,1]
	v_pk_fma_f32 v[38:39], v[40:41], v[38:39], v[42:43] neg_lo:[0,0,1] neg_hi:[0,0,1]
	v_mov_b32_e32 v39, v79
	s_delay_alu instid0(VALU_DEP_1)
	v_pk_add_f32 v[38:39], v[38:39], 0 op_sel_hi:[1,0]
	s_and_saveexec_b32 s8, s13
	s_cbranch_execz .LBB49_449
; %bb.448:                              ;   in Loop: Header=BB49_3 Depth=1
	ds_load_b64 v[40:41], v46 offset:18176
	ds_load_b64 v[42:43], v7 offset:18200
	s_wait_dscnt 0x0
	v_pk_mul_f32 v[78:79], v[42:43], v[40:41] op_sel:[1,1] op_sel_hi:[0,1]
	s_delay_alu instid0(VALU_DEP_1) | instskip(SKIP_1) | instid1(VALU_DEP_2)
	v_pk_fma_f32 v[80:81], v[42:43], v[40:41], v[78:79] op_sel_hi:[1,0,1]
	v_pk_fma_f32 v[40:41], v[42:43], v[40:41], v[78:79] neg_lo:[0,0,1] neg_hi:[0,0,1]
	v_mov_b32_e32 v41, v81
	s_delay_alu instid0(VALU_DEP_1)
	v_pk_add_f32 v[38:39], v[38:39], v[40:41]
.LBB49_449:                             ;   in Loop: Header=BB49_3 Depth=1
	s_or_b32 exec_lo, exec_lo, s8
.LBB49_450:                             ;   in Loop: Header=BB49_3 Depth=1
	s_delay_alu instid0(SALU_CYCLE_1)
	s_or_b32 exec_lo, exec_lo, s11
	s_and_saveexec_b32 s8, s45
; %bb.451:                              ;   in Loop: Header=BB49_3 Depth=1
	s_delay_alu instid0(VALU_DEP_1)
	v_pk_add_f32 v[40:41], v[38:39], 0 neg_lo:[1,1] neg_hi:[1,1]
	ds_store_b64 v5, v[40:41]
; %bb.452:                              ;   in Loop: Header=BB49_3 Depth=1
	s_or_b32 exec_lo, exec_lo, s8
	s_wait_loadcnt_dscnt 0x0
	s_barrier_signal -1
	s_barrier_wait -1
	s_and_saveexec_b32 s8, s46
	s_cbranch_execz .LBB49_454
; %bb.453:                              ;   in Loop: Header=BB49_3 Depth=1
	ds_load_b64 v[40:41], v7 offset:17152
	ds_load_b64 v[42:43], v5
	s_wait_dscnt 0x0
	v_pk_mul_f32 v[78:79], v[42:43], v[40:41] op_sel_hi:[1,0]
	s_delay_alu instid0(VALU_DEP_1) | instskip(SKIP_1) | instid1(VALU_DEP_2)
	v_pk_fma_f32 v[80:81], v[42:43], v[40:41], v[78:79] op_sel:[1,1,0] op_sel_hi:[0,1,1]
	v_pk_fma_f32 v[40:41], v[42:43], v[40:41], v[78:79] op_sel:[1,1,0] op_sel_hi:[0,1,1] neg_lo:[0,0,1] neg_hi:[0,0,1]
	v_pk_add_f32 v[42:43], v[38:39], v[80:81] neg_lo:[0,1] neg_hi:[0,1]
	s_delay_alu instid0(VALU_DEP_2) | instskip(NEXT) | instid1(VALU_DEP_2)
	v_pk_add_f32 v[38:39], v[38:39], v[40:41]
	v_mov_b32_e32 v39, v43
.LBB49_454:                             ;   in Loop: Header=BB49_3 Depth=1
	s_or_b32 exec_lo, exec_lo, s8
	s_barrier_signal -1
	s_barrier_wait -1
	s_and_saveexec_b32 s8, s46
; %bb.455:                              ;   in Loop: Header=BB49_3 Depth=1
	v_pk_add_f32 v[40:41], v[38:39], 0 neg_lo:[1,1] neg_hi:[1,1]
	ds_store_b64 v5, v[40:41]
; %bb.456:                              ;   in Loop: Header=BB49_3 Depth=1
	s_or_b32 exec_lo, exec_lo, s8
	s_wait_dscnt 0x0
	s_barrier_signal -1
	s_barrier_wait -1
	s_barrier_signal -1
	s_barrier_wait -1
	s_and_saveexec_b32 s8, s3
; %bb.457:                              ;   in Loop: Header=BB49_3 Depth=1
	ds_store_b64 v47, v[38:39] offset:18176
; %bb.458:                              ;   in Loop: Header=BB49_3 Depth=1
	s_or_b32 exec_lo, exec_lo, s8
	s_wait_dscnt 0x0
	s_barrier_signal -1
	s_barrier_wait -1
	s_barrier_signal -1
	s_barrier_wait -1
	s_and_saveexec_b32 s8, s12
; %bb.459:                              ;   in Loop: Header=BB49_3 Depth=1
	v_add_nc_u32_e64 v38, 0x4000, 0
	ds_store_2addr_b64 v38, v[34:35], v[34:35] offset0:32 offset1:97
; %bb.460:                              ;   in Loop: Header=BB49_3 Depth=1
	s_or_b32 exec_lo, exec_lo, s8
	v_mov_b64_e32 v[38:39], 0
	s_wait_dscnt 0x0
	s_barrier_signal -1
	s_barrier_wait -1
	global_wb scope:SCOPE_DEV
	s_wait_storecnt 0x0
	global_inv scope:SCOPE_DEV
	s_and_saveexec_b32 s96, s33
	s_cbranch_execz .LBB49_522
; %bb.461:                              ;   in Loop: Header=BB49_3 Depth=1
	ds_load_b64 v[38:39], v62 offset:16384
	ds_load_b64 v[40:41], v63 offset:32512
	v_readlane_b32 s9, v87, 14
	s_wait_dscnt 0x0
	v_dual_mul_f32 v42, v41, v39 :: v_dual_mul_f32 v39, v40, v39
	s_delay_alu instid0(VALU_DEP_1) | instskip(NEXT) | instid1(VALU_DEP_1)
	v_dual_fma_f32 v40, v40, v38, -v42 :: v_dual_fmac_f32 v39, v41, v38
	v_dual_add_f32 v38, 0, v40 :: v_dual_add_f32 v39, 0, v39
	s_and_saveexec_b32 s8, s9
	s_cbranch_execz .LBB49_463
; %bb.462:                              ;   in Loop: Header=BB49_3 Depth=1
	ds_load_b64 v[40:41], v62 offset:16896
	ds_load_b64 v[42:43], v63 offset:32520
	s_wait_dscnt 0x0
	v_dual_mul_f32 v78, v43, v41 :: v_dual_mul_f32 v41, v42, v41
	s_delay_alu instid0(VALU_DEP_1) | instskip(NEXT) | instid1(VALU_DEP_1)
	v_dual_fma_f32 v42, v42, v40, -v78 :: v_dual_fmac_f32 v41, v43, v40
	v_dual_add_f32 v38, v38, v42 :: v_dual_add_f32 v39, v39, v41
.LBB49_463:                             ;   in Loop: Header=BB49_3 Depth=1
	s_or_b32 exec_lo, exec_lo, s8
	v_readlane_b32 s9, v87, 15
	s_and_saveexec_b32 s8, s9
	s_cbranch_execz .LBB49_465
; %bb.464:                              ;   in Loop: Header=BB49_3 Depth=1
	ds_load_b64 v[40:41], v62 offset:17408
	ds_load_b64 v[42:43], v63 offset:32528
	s_wait_dscnt 0x0
	v_dual_mul_f32 v78, v43, v41 :: v_dual_mul_f32 v41, v42, v41
	s_delay_alu instid0(VALU_DEP_1) | instskip(NEXT) | instid1(VALU_DEP_1)
	v_dual_fma_f32 v42, v42, v40, -v78 :: v_dual_fmac_f32 v41, v43, v40
	v_dual_add_f32 v38, v38, v42 :: v_dual_add_f32 v39, v39, v41
.LBB49_465:                             ;   in Loop: Header=BB49_3 Depth=1
	s_or_b32 exec_lo, exec_lo, s8
	v_readlane_b32 s9, v87, 16
	;; [unrolled: 13-line block ×22, first 2 shown]
	s_and_saveexec_b32 s8, s9
	s_cbranch_execz .LBB49_507
; %bb.506:                              ;   in Loop: Header=BB49_3 Depth=1
	ds_load_b64 v[40:41], v62 offset:28160
	ds_load_b64 v[42:43], v63 offset:32696
	s_wait_dscnt 0x0
	v_dual_mul_f32 v78, v43, v41 :: v_dual_mul_f32 v41, v42, v41
	s_delay_alu instid0(VALU_DEP_1) | instskip(NEXT) | instid1(VALU_DEP_1)
	v_dual_fma_f32 v42, v42, v40, -v78 :: v_dual_fmac_f32 v41, v43, v40
	v_dual_add_f32 v38, v38, v42 :: v_dual_add_f32 v39, v39, v41
.LBB49_507:                             ;   in Loop: Header=BB49_3 Depth=1
	s_or_b32 exec_lo, exec_lo, s8
	s_and_saveexec_b32 s8, s6
	s_cbranch_execz .LBB49_509
; %bb.508:                              ;   in Loop: Header=BB49_3 Depth=1
	ds_load_b64 v[40:41], v62 offset:28672
	ds_load_b64 v[42:43], v63 offset:32704
	s_wait_dscnt 0x0
	v_dual_mul_f32 v78, v43, v41 :: v_dual_mul_f32 v41, v42, v41
	s_delay_alu instid0(VALU_DEP_1) | instskip(NEXT) | instid1(VALU_DEP_1)
	v_dual_fma_f32 v42, v42, v40, -v78 :: v_dual_fmac_f32 v41, v43, v40
	v_dual_add_f32 v38, v38, v42 :: v_dual_add_f32 v39, v39, v41
.LBB49_509:                             ;   in Loop: Header=BB49_3 Depth=1
	s_or_b32 exec_lo, exec_lo, s8
	v_readlane_b32 s9, v88, 27
	s_and_saveexec_b32 s8, s9
	s_cbranch_execz .LBB49_511
; %bb.510:                              ;   in Loop: Header=BB49_3 Depth=1
	ds_load_b64 v[40:41], v62 offset:29184
	ds_load_b64 v[42:43], v63 offset:32712
	s_wait_dscnt 0x0
	v_dual_mul_f32 v78, v43, v41 :: v_dual_mul_f32 v41, v42, v41
	s_delay_alu instid0(VALU_DEP_1) | instskip(NEXT) | instid1(VALU_DEP_1)
	v_dual_fma_f32 v42, v42, v40, -v78 :: v_dual_fmac_f32 v41, v43, v40
	v_dual_add_f32 v38, v38, v42 :: v_dual_add_f32 v39, v39, v41
.LBB49_511:                             ;   in Loop: Header=BB49_3 Depth=1
	s_or_b32 exec_lo, exec_lo, s8
	v_readlane_b32 s9, v88, 29
	;; [unrolled: 13-line block ×4, first 2 shown]
	s_and_saveexec_b32 s8, s9
	s_cbranch_execz .LBB49_517
; %bb.516:                              ;   in Loop: Header=BB49_3 Depth=1
	ds_load_b64 v[40:41], v62 offset:30720
	ds_load_b64 v[42:43], v63 offset:32736
	s_wait_dscnt 0x0
	v_dual_mul_f32 v78, v43, v41 :: v_dual_mul_f32 v79, v42, v41
	s_delay_alu instid0(VALU_DEP_1) | instskip(NEXT) | instid1(VALU_DEP_1)
	v_dual_fma_f32 v78, v42, v40, -v78 :: v_dual_fmac_f32 v79, v43, v40
	v_pk_add_f32 v[38:39], v[38:39], v[78:79]
.LBB49_517:                             ;   in Loop: Header=BB49_3 Depth=1
	s_or_b32 exec_lo, exec_lo, s8
	v_readlane_b32 s9, v87, 3
	s_and_saveexec_b32 s8, s9
	s_cbranch_execnz .LBB49_1024
; %bb.518:                              ;   in Loop: Header=BB49_3 Depth=1
	s_or_b32 exec_lo, exec_lo, s8
	s_and_saveexec_b32 s8, s5
	s_cbranch_execnz .LBB49_1025
.LBB49_519:                             ;   in Loop: Header=BB49_3 Depth=1
	s_or_b32 exec_lo, exec_lo, s8
	s_and_saveexec_b32 s8, s19
	s_delay_alu instid0(SALU_CYCLE_1)
	s_xor_b32 s8, exec_lo, s8
	s_cbranch_execz .LBB49_521
.LBB49_520:                             ;   in Loop: Header=BB49_3 Depth=1
	ds_load_b64 v[40:41], v62 offset:32256
	ds_load_b64 v[42:43], v63 offset:32760
	s_wait_dscnt 0x0
	v_pk_mul_f32 v[78:79], v[42:43], v[40:41] op_sel:[1,1] op_sel_hi:[0,1]
	s_delay_alu instid0(VALU_DEP_1) | instskip(SKIP_1) | instid1(VALU_DEP_2)
	v_pk_fma_f32 v[80:81], v[42:43], v[40:41], v[78:79] op_sel_hi:[1,0,1]
	v_pk_fma_f32 v[40:41], v[42:43], v[40:41], v[78:79] neg_lo:[0,0,1] neg_hi:[0,0,1]
	v_mov_b32_e32 v41, v81
	s_delay_alu instid0(VALU_DEP_1)
	v_pk_add_f32 v[38:39], v[38:39], v[40:41]
.LBB49_521:                             ;   in Loop: Header=BB49_3 Depth=1
	s_or_b32 exec_lo, exec_lo, s8
.LBB49_522:                             ;   in Loop: Header=BB49_3 Depth=1
	s_delay_alu instid0(SALU_CYCLE_1)
	s_or_b32 exec_lo, exec_lo, s96
	v_dual_mov_b32 v40, v74 :: v_dual_mov_b32 v41, v73
	s_mov_b32 s96, 31
	s_branch .LBB49_524
.LBB49_523:                             ;   in Loop: Header=BB49_524 Depth=2
	s_or_b32 exec_lo, exec_lo, s8
	v_add_nc_u32_e32 v41, 0xfffff800, v41
	v_add_nc_u32_e32 v40, 4, v40
	s_add_co_i32 s96, s96, -4
	s_cmp_eq_u32 s11, 0
	s_barrier_signal -1
	s_barrier_wait -1
	s_cbranch_scc1 .LBB49_540
.LBB49_524:                             ;   Parent Loop BB49_3 Depth=1
                                        ; =>  This Inner Loop Header: Depth=2
	s_delay_alu instid0(VALU_DEP_1) | instskip(SKIP_1) | instid1(SALU_CYCLE_1)
	v_cmp_eq_u32_e32 vcc_lo, 0, v40
	s_and_b32 s11, s10, vcc_lo
	s_and_saveexec_b32 s8, s11
; %bb.525:                              ;   in Loop: Header=BB49_524 Depth=2
	v_pk_add_f32 v[42:43], v[38:39], 0 neg_lo:[1,1] neg_hi:[1,1]
	ds_store_b64 v61, v[42:43]
; %bb.526:                              ;   in Loop: Header=BB49_524 Depth=2
	s_or_b32 exec_lo, exec_lo, s8
	v_cmp_gt_u32_e32 vcc_lo, s96, v59
	s_wait_loadcnt_dscnt 0x0
	s_barrier_signal -1
	s_barrier_wait -1
	s_and_b32 s11, s10, vcc_lo
	s_delay_alu instid0(SALU_CYCLE_1)
	s_and_saveexec_b32 s8, s11
	s_cbranch_execz .LBB49_528
; %bb.527:                              ;   in Loop: Header=BB49_524 Depth=2
	ds_load_b64 v[42:43], v41 offset:1536
	ds_load_b64 v[78:79], v61
	s_wait_dscnt 0x0
	v_pk_mul_f32 v[80:81], v[78:79], v[42:43] op_sel:[1,1] op_sel_hi:[0,1]
	s_delay_alu instid0(VALU_DEP_1) | instskip(SKIP_1) | instid1(VALU_DEP_2)
	v_pk_fma_f32 v[82:83], v[78:79], v[42:43], v[80:81] op_sel_hi:[1,0,1]
	v_pk_fma_f32 v[42:43], v[78:79], v[42:43], v[80:81] neg_lo:[0,0,1] neg_hi:[0,0,1]
	v_mov_b32_e32 v43, v83
	s_delay_alu instid0(VALU_DEP_1)
	v_pk_add_f32 v[38:39], v[38:39], v[42:43] neg_lo:[0,1] neg_hi:[0,1]
.LBB49_528:                             ;   in Loop: Header=BB49_524 Depth=2
	s_or_b32 exec_lo, exec_lo, s8
	s_add_co_i32 s8, s96, -1
	s_delay_alu instid0(SALU_CYCLE_1) | instskip(SKIP_3) | instid1(SALU_CYCLE_1)
	v_cmp_eq_u32_e32 vcc_lo, s8, v59
	s_barrier_signal -1
	s_barrier_wait -1
	s_and_b32 s97, s10, vcc_lo
	s_and_saveexec_b32 s11, s97
; %bb.529:                              ;   in Loop: Header=BB49_524 Depth=2
	v_pk_add_f32 v[42:43], v[38:39], 0 neg_lo:[1,1] neg_hi:[1,1]
	ds_store_b64 v61, v[42:43]
; %bb.530:                              ;   in Loop: Header=BB49_524 Depth=2
	s_or_b32 exec_lo, exec_lo, s11
	v_cmp_gt_u32_e32 vcc_lo, s8, v59
	s_wait_dscnt 0x0
	s_barrier_signal -1
	s_barrier_wait -1
	s_and_b32 s11, s10, vcc_lo
	s_delay_alu instid0(SALU_CYCLE_1)
	s_and_saveexec_b32 s8, s11
	s_cbranch_execz .LBB49_532
; %bb.531:                              ;   in Loop: Header=BB49_524 Depth=2
	ds_load_b64 v[42:43], v41 offset:1024
	ds_load_b64 v[78:79], v61
	s_wait_dscnt 0x0
	v_pk_mul_f32 v[80:81], v[78:79], v[42:43] op_sel:[1,1] op_sel_hi:[0,1]
	s_delay_alu instid0(VALU_DEP_1) | instskip(SKIP_1) | instid1(VALU_DEP_2)
	v_pk_fma_f32 v[82:83], v[78:79], v[42:43], v[80:81] op_sel_hi:[1,0,1]
	v_pk_fma_f32 v[42:43], v[78:79], v[42:43], v[80:81] neg_lo:[0,0,1] neg_hi:[0,0,1]
	v_mov_b32_e32 v43, v83
	s_delay_alu instid0(VALU_DEP_1)
	v_pk_add_f32 v[38:39], v[38:39], v[42:43] neg_lo:[0,1] neg_hi:[0,1]
.LBB49_532:                             ;   in Loop: Header=BB49_524 Depth=2
	s_or_b32 exec_lo, exec_lo, s8
	s_add_co_i32 s8, s96, -2
	s_delay_alu instid0(SALU_CYCLE_1) | instskip(SKIP_3) | instid1(SALU_CYCLE_1)
	v_cmp_eq_u32_e32 vcc_lo, s8, v59
	s_barrier_signal -1
	s_barrier_wait -1
	s_and_b32 s97, s10, vcc_lo
	s_and_saveexec_b32 s11, s97
; %bb.533:                              ;   in Loop: Header=BB49_524 Depth=2
	v_pk_add_f32 v[42:43], v[38:39], 0 neg_lo:[1,1] neg_hi:[1,1]
	ds_store_b64 v61, v[42:43]
; %bb.534:                              ;   in Loop: Header=BB49_524 Depth=2
	s_or_b32 exec_lo, exec_lo, s11
	v_cmp_gt_u32_e32 vcc_lo, s8, v59
	s_wait_dscnt 0x0
	;; [unrolled: 33-line block ×3, first 2 shown]
	s_barrier_signal -1
	s_barrier_wait -1
	s_and_b32 s97, s10, vcc_lo
	s_delay_alu instid0(SALU_CYCLE_1)
	s_and_saveexec_b32 s8, s97
	s_cbranch_execz .LBB49_523
; %bb.539:                              ;   in Loop: Header=BB49_524 Depth=2
	ds_load_b64 v[42:43], v41
	ds_load_b64 v[78:79], v61
	s_wait_dscnt 0x0
	v_pk_mul_f32 v[80:81], v[78:79], v[42:43] op_sel:[1,1] op_sel_hi:[0,1]
	s_delay_alu instid0(VALU_DEP_1) | instskip(SKIP_1) | instid1(VALU_DEP_2)
	v_pk_fma_f32 v[82:83], v[78:79], v[42:43], v[80:81] op_sel_hi:[1,0,1]
	v_pk_fma_f32 v[42:43], v[78:79], v[42:43], v[80:81] neg_lo:[0,0,1] neg_hi:[0,0,1]
	v_mov_b32_e32 v43, v83
	s_delay_alu instid0(VALU_DEP_1)
	v_pk_add_f32 v[38:39], v[38:39], v[42:43] neg_lo:[0,1] neg_hi:[0,1]
	s_branch .LBB49_523
.LBB49_540:                             ;   in Loop: Header=BB49_3 Depth=1
	s_and_saveexec_b32 s8, s33
; %bb.541:                              ;   in Loop: Header=BB49_3 Depth=1
	ds_store_b64 v64, v[38:39] offset:32256
; %bb.542:                              ;   in Loop: Header=BB49_3 Depth=1
	s_or_b32 exec_lo, exec_lo, s8
	s_wait_dscnt 0x0
	s_barrier_signal -1
	s_barrier_wait -1
	s_barrier_signal -1
	s_barrier_wait -1
	s_and_saveexec_b32 s8, s12
; %bb.543:                              ;   in Loop: Header=BB49_3 Depth=1
	v_add_nc_u32_e64 v38, 0x3800, 0
	ds_store_2addr_b64 v38, v[34:35], v[34:35] offset0:158 offset1:223
; %bb.544:                              ;   in Loop: Header=BB49_3 Depth=1
	s_or_b32 exec_lo, exec_lo, s8
	v_dual_mov_b32 v38, 0 :: v_dual_mov_b32 v39, 0
	s_wait_dscnt 0x0
	s_barrier_signal -1
	s_barrier_wait -1
	global_wb scope:SCOPE_DEV
	s_wait_storecnt 0x0
	global_inv scope:SCOPE_DEV
	s_and_saveexec_b32 s11, s3
	s_cbranch_execz .LBB49_548
; %bb.545:                              ;   in Loop: Header=BB49_3 Depth=1
	ds_load_b64 v[38:39], v44 offset:15584
	ds_load_b64 v[40:41], v45 offset:16112
	s_wait_dscnt 0x0
	v_pk_mul_f32 v[42:43], v[40:41], v[38:39] op_sel:[1,1] op_sel_hi:[0,1]
	s_delay_alu instid0(VALU_DEP_1) | instskip(SKIP_1) | instid1(VALU_DEP_2)
	v_pk_fma_f32 v[78:79], v[40:41], v[38:39], v[42:43] op_sel_hi:[1,0,1]
	v_pk_fma_f32 v[38:39], v[40:41], v[38:39], v[42:43] neg_lo:[0,0,1] neg_hi:[0,0,1]
	v_mov_b32_e32 v39, v79
	s_delay_alu instid0(VALU_DEP_1)
	v_pk_add_f32 v[38:39], v[38:39], 0 op_sel_hi:[1,0]
	s_and_saveexec_b32 s8, s13
	s_cbranch_execz .LBB49_547
; %bb.546:                              ;   in Loop: Header=BB49_3 Depth=1
	ds_load_b64 v[40:41], v46 offset:16096
	ds_load_b64 v[42:43], v7 offset:16120
	s_wait_dscnt 0x0
	v_pk_mul_f32 v[78:79], v[42:43], v[40:41] op_sel:[1,1] op_sel_hi:[0,1]
	s_delay_alu instid0(VALU_DEP_1) | instskip(SKIP_1) | instid1(VALU_DEP_2)
	v_pk_fma_f32 v[80:81], v[42:43], v[40:41], v[78:79] op_sel_hi:[1,0,1]
	v_pk_fma_f32 v[40:41], v[42:43], v[40:41], v[78:79] neg_lo:[0,0,1] neg_hi:[0,0,1]
	v_mov_b32_e32 v41, v81
	s_delay_alu instid0(VALU_DEP_1)
	v_pk_add_f32 v[38:39], v[38:39], v[40:41]
.LBB49_547:                             ;   in Loop: Header=BB49_3 Depth=1
	s_or_b32 exec_lo, exec_lo, s8
.LBB49_548:                             ;   in Loop: Header=BB49_3 Depth=1
	s_delay_alu instid0(SALU_CYCLE_1)
	s_or_b32 exec_lo, exec_lo, s11
	s_and_saveexec_b32 s8, s45
; %bb.549:                              ;   in Loop: Header=BB49_3 Depth=1
	s_delay_alu instid0(VALU_DEP_1)
	v_pk_add_f32 v[40:41], v[38:39], 0 neg_lo:[1,1] neg_hi:[1,1]
	ds_store_b64 v5, v[40:41]
; %bb.550:                              ;   in Loop: Header=BB49_3 Depth=1
	s_or_b32 exec_lo, exec_lo, s8
	s_wait_loadcnt_dscnt 0x0
	s_barrier_signal -1
	s_barrier_wait -1
	s_and_saveexec_b32 s8, s46
	s_cbranch_execz .LBB49_552
; %bb.551:                              ;   in Loop: Header=BB49_3 Depth=1
	ds_load_b64 v[40:41], v7 offset:15072
	ds_load_b64 v[42:43], v5
	s_wait_dscnt 0x0
	v_pk_mul_f32 v[78:79], v[42:43], v[40:41] op_sel_hi:[1,0]
	s_delay_alu instid0(VALU_DEP_1) | instskip(SKIP_1) | instid1(VALU_DEP_2)
	v_pk_fma_f32 v[80:81], v[42:43], v[40:41], v[78:79] op_sel:[1,1,0] op_sel_hi:[0,1,1]
	v_pk_fma_f32 v[40:41], v[42:43], v[40:41], v[78:79] op_sel:[1,1,0] op_sel_hi:[0,1,1] neg_lo:[0,0,1] neg_hi:[0,0,1]
	v_pk_add_f32 v[42:43], v[38:39], v[80:81] neg_lo:[0,1] neg_hi:[0,1]
	s_delay_alu instid0(VALU_DEP_2) | instskip(NEXT) | instid1(VALU_DEP_2)
	v_pk_add_f32 v[38:39], v[38:39], v[40:41]
	v_mov_b32_e32 v39, v43
.LBB49_552:                             ;   in Loop: Header=BB49_3 Depth=1
	s_or_b32 exec_lo, exec_lo, s8
	s_barrier_signal -1
	s_barrier_wait -1
	s_and_saveexec_b32 s8, s46
; %bb.553:                              ;   in Loop: Header=BB49_3 Depth=1
	v_pk_add_f32 v[40:41], v[38:39], 0 neg_lo:[1,1] neg_hi:[1,1]
	ds_store_b64 v5, v[40:41]
; %bb.554:                              ;   in Loop: Header=BB49_3 Depth=1
	s_or_b32 exec_lo, exec_lo, s8
	s_wait_dscnt 0x0
	s_barrier_signal -1
	s_barrier_wait -1
	s_barrier_signal -1
	s_barrier_wait -1
	s_and_saveexec_b32 s8, s3
; %bb.555:                              ;   in Loop: Header=BB49_3 Depth=1
	ds_store_b64 v47, v[38:39] offset:16096
; %bb.556:                              ;   in Loop: Header=BB49_3 Depth=1
	s_or_b32 exec_lo, exec_lo, s8
	s_wait_dscnt 0x0
	s_barrier_signal -1
	s_barrier_wait -1
	s_barrier_signal -1
	s_barrier_wait -1
	s_and_saveexec_b32 s8, s12
; %bb.557:                              ;   in Loop: Header=BB49_3 Depth=1
	v_add_nc_u32_e64 v38, 0x3800, 0
	ds_store_2addr_b64 v38, v[34:35], v[34:35] offset0:28 offset1:93
; %bb.558:                              ;   in Loop: Header=BB49_3 Depth=1
	s_or_b32 exec_lo, exec_lo, s8
	v_mov_b64_e32 v[38:39], 0
	s_wait_dscnt 0x0
	s_barrier_signal -1
	s_barrier_wait -1
	global_wb scope:SCOPE_DEV
	s_wait_storecnt 0x0
	global_inv scope:SCOPE_DEV
	s_and_saveexec_b32 s96, s4
	s_cbranch_execz .LBB49_564
; %bb.559:                              ;   in Loop: Header=BB49_3 Depth=1
	ds_load_b64 v[38:39], v49 offset:14528
	ds_load_b64 v[40:41], v50 offset:16096
	s_wait_dscnt 0x0
	v_dual_mul_f32 v42, v41, v39 :: v_dual_mul_f32 v39, v40, v39
	s_delay_alu instid0(VALU_DEP_1) | instskip(NEXT) | instid1(VALU_DEP_1)
	v_dual_fma_f32 v40, v40, v38, -v42 :: v_dual_fmac_f32 v39, v41, v38
	v_dual_add_f32 v38, 0, v40 :: v_dual_add_f32 v39, 0, v39
	s_and_saveexec_b32 s8, s14
	s_cbranch_execnz .LBB49_1026
; %bb.560:                              ;   in Loop: Header=BB49_3 Depth=1
	s_or_b32 exec_lo, exec_lo, s8
	s_and_saveexec_b32 s8, s15
	s_cbranch_execnz .LBB49_1027
.LBB49_561:                             ;   in Loop: Header=BB49_3 Depth=1
	s_or_b32 exec_lo, exec_lo, s8
	s_and_saveexec_b32 s8, s3
	s_cbranch_execz .LBB49_563
.LBB49_562:                             ;   in Loop: Header=BB49_3 Depth=1
	ds_load_b64 v[40:41], v46 offset:16064
	ds_load_b64 v[42:43], v7 offset:16120
	s_wait_dscnt 0x0
	v_pk_mul_f32 v[78:79], v[42:43], v[40:41] op_sel:[1,1] op_sel_hi:[0,1]
	s_delay_alu instid0(VALU_DEP_1) | instskip(SKIP_1) | instid1(VALU_DEP_2)
	v_pk_fma_f32 v[80:81], v[42:43], v[40:41], v[78:79] op_sel_hi:[1,0,1]
	v_pk_fma_f32 v[40:41], v[42:43], v[40:41], v[78:79] neg_lo:[0,0,1] neg_hi:[0,0,1]
	v_mov_b32_e32 v41, v81
	s_delay_alu instid0(VALU_DEP_1)
	v_pk_add_f32 v[38:39], v[38:39], v[40:41]
.LBB49_563:                             ;   in Loop: Header=BB49_3 Depth=1
	s_or_b32 exec_lo, exec_lo, s8
.LBB49_564:                             ;   in Loop: Header=BB49_3 Depth=1
	s_delay_alu instid0(SALU_CYCLE_1)
	s_or_b32 exec_lo, exec_lo, s96
	s_and_saveexec_b32 s8, s47
; %bb.565:                              ;   in Loop: Header=BB49_3 Depth=1
	s_delay_alu instid0(VALU_DEP_1)
	v_pk_add_f32 v[40:41], v[38:39], 0 neg_lo:[1,1] neg_hi:[1,1]
	ds_store_b64 v48, v[40:41]
; %bb.566:                              ;   in Loop: Header=BB49_3 Depth=1
	s_or_b32 exec_lo, exec_lo, s8
	s_wait_loadcnt_dscnt 0x0
	s_barrier_signal -1
	s_barrier_wait -1
	s_and_saveexec_b32 s8, s48
	s_cbranch_execz .LBB49_568
; %bb.567:                              ;   in Loop: Header=BB49_3 Depth=1
	ds_load_b64 v[40:41], v49 offset:14016
	ds_load_b64 v[42:43], v48
	s_wait_dscnt 0x0
	v_pk_mul_f32 v[78:79], v[42:43], v[40:41] op_sel:[1,1] op_sel_hi:[0,1]
	s_delay_alu instid0(VALU_DEP_1) | instskip(SKIP_1) | instid1(VALU_DEP_2)
	v_pk_fma_f32 v[80:81], v[42:43], v[40:41], v[78:79] op_sel_hi:[1,0,1]
	v_pk_fma_f32 v[40:41], v[42:43], v[40:41], v[78:79] neg_lo:[0,0,1] neg_hi:[0,0,1]
	v_mov_b32_e32 v41, v81
	s_delay_alu instid0(VALU_DEP_1)
	v_pk_add_f32 v[38:39], v[38:39], v[40:41] neg_lo:[0,1] neg_hi:[0,1]
.LBB49_568:                             ;   in Loop: Header=BB49_3 Depth=1
	s_or_b32 exec_lo, exec_lo, s8
	s_barrier_signal -1
	s_barrier_wait -1
	s_and_saveexec_b32 s8, s49
; %bb.569:                              ;   in Loop: Header=BB49_3 Depth=1
	v_pk_add_f32 v[40:41], v[38:39], 0 neg_lo:[1,1] neg_hi:[1,1]
	ds_store_b64 v48, v[40:41]
; %bb.570:                              ;   in Loop: Header=BB49_3 Depth=1
	s_or_b32 exec_lo, exec_lo, s8
	s_wait_dscnt 0x0
	s_barrier_signal -1
	s_barrier_wait -1
	s_and_saveexec_b32 s8, s50
	s_cbranch_execz .LBB49_572
; %bb.571:                              ;   in Loop: Header=BB49_3 Depth=1
	ds_load_b64 v[40:41], v49 offset:13504
	ds_load_b64 v[42:43], v48
	s_wait_dscnt 0x0
	v_pk_mul_f32 v[78:79], v[42:43], v[40:41] op_sel:[1,1] op_sel_hi:[0,1]
	s_delay_alu instid0(VALU_DEP_1) | instskip(SKIP_1) | instid1(VALU_DEP_2)
	v_pk_fma_f32 v[80:81], v[42:43], v[40:41], v[78:79] op_sel_hi:[1,0,1]
	v_pk_fma_f32 v[40:41], v[42:43], v[40:41], v[78:79] neg_lo:[0,0,1] neg_hi:[0,0,1]
	v_mov_b32_e32 v41, v81
	s_delay_alu instid0(VALU_DEP_1)
	v_pk_add_f32 v[38:39], v[38:39], v[40:41] neg_lo:[0,1] neg_hi:[0,1]
.LBB49_572:                             ;   in Loop: Header=BB49_3 Depth=1
	s_or_b32 exec_lo, exec_lo, s8
	s_barrier_signal -1
	s_barrier_wait -1
	s_and_saveexec_b32 s8, s51
; %bb.573:                              ;   in Loop: Header=BB49_3 Depth=1
	v_pk_add_f32 v[40:41], v[38:39], 0 neg_lo:[1,1] neg_hi:[1,1]
	ds_store_b64 v48, v[40:41]
; %bb.574:                              ;   in Loop: Header=BB49_3 Depth=1
	s_or_b32 exec_lo, exec_lo, s8
	s_wait_dscnt 0x0
	s_barrier_signal -1
	s_barrier_wait -1
	s_and_saveexec_b32 s8, s52
	s_cbranch_execz .LBB49_576
; %bb.575:                              ;   in Loop: Header=BB49_3 Depth=1
	ds_load_b64 v[40:41], v7 offset:12992
	ds_load_b64 v[42:43], v48
	s_wait_dscnt 0x0
	v_pk_mul_f32 v[78:79], v[42:43], v[40:41] op_sel:[1,1] op_sel_hi:[0,1]
	s_delay_alu instid0(VALU_DEP_1) | instskip(SKIP_1) | instid1(VALU_DEP_2)
	v_pk_fma_f32 v[80:81], v[42:43], v[40:41], v[78:79] op_sel_hi:[1,0,1]
	v_pk_fma_f32 v[40:41], v[42:43], v[40:41], v[78:79] neg_lo:[0,0,1] neg_hi:[0,0,1]
	v_mov_b32_e32 v41, v81
	s_delay_alu instid0(VALU_DEP_1)
	v_pk_add_f32 v[38:39], v[38:39], v[40:41] neg_lo:[0,1] neg_hi:[0,1]
.LBB49_576:                             ;   in Loop: Header=BB49_3 Depth=1
	s_or_b32 exec_lo, exec_lo, s8
	s_barrier_signal -1
	s_barrier_wait -1
	s_and_saveexec_b32 s8, s52
; %bb.577:                              ;   in Loop: Header=BB49_3 Depth=1
	v_pk_add_f32 v[40:41], v[38:39], 0 neg_lo:[1,1] neg_hi:[1,1]
	ds_store_b64 v48, v[40:41]
; %bb.578:                              ;   in Loop: Header=BB49_3 Depth=1
	s_or_b32 exec_lo, exec_lo, s8
	s_wait_dscnt 0x0
	s_barrier_signal -1
	s_barrier_wait -1
	s_barrier_signal -1
	s_barrier_wait -1
	s_and_saveexec_b32 s8, s4
; %bb.579:                              ;   in Loop: Header=BB49_3 Depth=1
	ds_store_b64 v51, v[38:39] offset:16064
; %bb.580:                              ;   in Loop: Header=BB49_3 Depth=1
	s_or_b32 exec_lo, exec_lo, s8
	s_wait_dscnt 0x0
	s_barrier_signal -1
	s_barrier_wait -1
	s_barrier_signal -1
	s_barrier_wait -1
	s_and_saveexec_b32 s8, s12
; %bb.581:                              ;   in Loop: Header=BB49_3 Depth=1
	v_add_nc_u32_e64 v38, 0x3000, 0
	ds_store_2addr_b64 v38, v[34:35], v[34:35] offset0:154 offset1:219
; %bb.582:                              ;   in Loop: Header=BB49_3 Depth=1
	s_or_b32 exec_lo, exec_lo, s8
	v_dual_mov_b32 v38, 0 :: v_dual_mov_b32 v39, 0
	s_wait_dscnt 0x0
	s_barrier_signal -1
	s_barrier_wait -1
	global_wb scope:SCOPE_DEV
	s_wait_storecnt 0x0
	global_inv scope:SCOPE_DEV
	s_and_saveexec_b32 s11, s3
	s_cbranch_execz .LBB49_586
; %bb.583:                              ;   in Loop: Header=BB49_3 Depth=1
	ds_load_b64 v[38:39], v44 offset:13504
	ds_load_b64 v[40:41], v45 offset:14032
	s_wait_dscnt 0x0
	v_pk_mul_f32 v[42:43], v[40:41], v[38:39] op_sel:[1,1] op_sel_hi:[0,1]
	s_delay_alu instid0(VALU_DEP_1) | instskip(SKIP_1) | instid1(VALU_DEP_2)
	v_pk_fma_f32 v[78:79], v[40:41], v[38:39], v[42:43] op_sel_hi:[1,0,1]
	v_pk_fma_f32 v[38:39], v[40:41], v[38:39], v[42:43] neg_lo:[0,0,1] neg_hi:[0,0,1]
	v_mov_b32_e32 v39, v79
	s_delay_alu instid0(VALU_DEP_1)
	v_pk_add_f32 v[38:39], v[38:39], 0 op_sel_hi:[1,0]
	s_and_saveexec_b32 s8, s13
	s_cbranch_execz .LBB49_585
; %bb.584:                              ;   in Loop: Header=BB49_3 Depth=1
	ds_load_b64 v[40:41], v46 offset:14016
	ds_load_b64 v[42:43], v7 offset:14040
	s_wait_dscnt 0x0
	v_pk_mul_f32 v[78:79], v[42:43], v[40:41] op_sel:[1,1] op_sel_hi:[0,1]
	s_delay_alu instid0(VALU_DEP_1) | instskip(SKIP_1) | instid1(VALU_DEP_2)
	v_pk_fma_f32 v[80:81], v[42:43], v[40:41], v[78:79] op_sel_hi:[1,0,1]
	v_pk_fma_f32 v[40:41], v[42:43], v[40:41], v[78:79] neg_lo:[0,0,1] neg_hi:[0,0,1]
	v_mov_b32_e32 v41, v81
	s_delay_alu instid0(VALU_DEP_1)
	v_pk_add_f32 v[38:39], v[38:39], v[40:41]
.LBB49_585:                             ;   in Loop: Header=BB49_3 Depth=1
	s_or_b32 exec_lo, exec_lo, s8
.LBB49_586:                             ;   in Loop: Header=BB49_3 Depth=1
	s_delay_alu instid0(SALU_CYCLE_1)
	s_or_b32 exec_lo, exec_lo, s11
	s_and_saveexec_b32 s8, s45
; %bb.587:                              ;   in Loop: Header=BB49_3 Depth=1
	s_delay_alu instid0(VALU_DEP_1)
	v_pk_add_f32 v[40:41], v[38:39], 0 neg_lo:[1,1] neg_hi:[1,1]
	ds_store_b64 v5, v[40:41]
; %bb.588:                              ;   in Loop: Header=BB49_3 Depth=1
	s_or_b32 exec_lo, exec_lo, s8
	s_wait_loadcnt_dscnt 0x0
	s_barrier_signal -1
	s_barrier_wait -1
	s_and_saveexec_b32 s8, s46
	s_cbranch_execz .LBB49_590
; %bb.589:                              ;   in Loop: Header=BB49_3 Depth=1
	ds_load_b64 v[40:41], v7 offset:12992
	ds_load_b64 v[42:43], v5
	s_wait_dscnt 0x0
	v_pk_mul_f32 v[78:79], v[42:43], v[40:41] op_sel_hi:[1,0]
	s_delay_alu instid0(VALU_DEP_1) | instskip(SKIP_1) | instid1(VALU_DEP_2)
	v_pk_fma_f32 v[80:81], v[42:43], v[40:41], v[78:79] op_sel:[1,1,0] op_sel_hi:[0,1,1]
	v_pk_fma_f32 v[40:41], v[42:43], v[40:41], v[78:79] op_sel:[1,1,0] op_sel_hi:[0,1,1] neg_lo:[0,0,1] neg_hi:[0,0,1]
	v_pk_add_f32 v[42:43], v[38:39], v[80:81] neg_lo:[0,1] neg_hi:[0,1]
	s_delay_alu instid0(VALU_DEP_2) | instskip(NEXT) | instid1(VALU_DEP_2)
	v_pk_add_f32 v[38:39], v[38:39], v[40:41]
	v_mov_b32_e32 v39, v43
.LBB49_590:                             ;   in Loop: Header=BB49_3 Depth=1
	s_or_b32 exec_lo, exec_lo, s8
	s_barrier_signal -1
	s_barrier_wait -1
	s_and_saveexec_b32 s8, s46
; %bb.591:                              ;   in Loop: Header=BB49_3 Depth=1
	v_pk_add_f32 v[40:41], v[38:39], 0 neg_lo:[1,1] neg_hi:[1,1]
	ds_store_b64 v5, v[40:41]
; %bb.592:                              ;   in Loop: Header=BB49_3 Depth=1
	s_or_b32 exec_lo, exec_lo, s8
	s_wait_dscnt 0x0
	s_barrier_signal -1
	s_barrier_wait -1
	s_barrier_signal -1
	s_barrier_wait -1
	s_and_saveexec_b32 s8, s3
; %bb.593:                              ;   in Loop: Header=BB49_3 Depth=1
	ds_store_b64 v47, v[38:39] offset:14016
; %bb.594:                              ;   in Loop: Header=BB49_3 Depth=1
	s_or_b32 exec_lo, exec_lo, s8
	s_wait_dscnt 0x0
	s_barrier_signal -1
	s_barrier_wait -1
	s_barrier_signal -1
	s_barrier_wait -1
	s_and_saveexec_b32 s8, s12
; %bb.595:                              ;   in Loop: Header=BB49_3 Depth=1
	v_add_nc_u32_e64 v38, 0x3000, 0
	ds_store_2addr_b64 v38, v[34:35], v[34:35] offset0:24 offset1:89
; %bb.596:                              ;   in Loop: Header=BB49_3 Depth=1
	s_or_b32 exec_lo, exec_lo, s8
	v_mov_b64_e32 v[38:39], 0
	s_wait_dscnt 0x0
	s_barrier_signal -1
	s_barrier_wait -1
	global_wb scope:SCOPE_DEV
	s_wait_storecnt 0x0
	global_inv scope:SCOPE_DEV
	s_and_saveexec_b32 s96, s5
	s_cbranch_execz .LBB49_606
; %bb.597:                              ;   in Loop: Header=BB49_3 Depth=1
	ds_load_b64 v[38:39], v53 offset:12416
	ds_load_b64 v[40:41], v54 offset:16064
	s_wait_dscnt 0x0
	v_dual_mul_f32 v42, v41, v39 :: v_dual_mul_f32 v39, v40, v39
	s_delay_alu instid0(VALU_DEP_1) | instskip(NEXT) | instid1(VALU_DEP_1)
	v_dual_fma_f32 v40, v40, v38, -v42 :: v_dual_fmac_f32 v39, v41, v38
	v_dual_add_f32 v38, 0, v40 :: v_dual_add_f32 v39, 0, v39
	s_and_saveexec_b32 s8, s16
	s_cbranch_execnz .LBB49_1028
; %bb.598:                              ;   in Loop: Header=BB49_3 Depth=1
	s_or_b32 exec_lo, exec_lo, s8
	s_and_saveexec_b32 s8, s17
	s_cbranch_execnz .LBB49_1029
.LBB49_599:                             ;   in Loop: Header=BB49_3 Depth=1
	s_or_b32 exec_lo, exec_lo, s8
	s_and_saveexec_b32 s8, s18
	s_cbranch_execnz .LBB49_1030
.LBB49_600:                             ;   in Loop: Header=BB49_3 Depth=1
	s_or_b32 exec_lo, exec_lo, s8
	s_and_saveexec_b32 s8, s19
	s_cbranch_execnz .LBB49_1031
.LBB49_601:                             ;   in Loop: Header=BB49_3 Depth=1
	s_or_b32 exec_lo, exec_lo, s8
	s_and_saveexec_b32 s8, s20
	s_cbranch_execnz .LBB49_1032
.LBB49_602:                             ;   in Loop: Header=BB49_3 Depth=1
	s_or_b32 exec_lo, exec_lo, s8
	s_and_saveexec_b32 s8, s4
	s_cbranch_execnz .LBB49_1033
.LBB49_603:                             ;   in Loop: Header=BB49_3 Depth=1
	s_or_b32 exec_lo, exec_lo, s8
	s_and_saveexec_b32 s8, s15
	s_cbranch_execz .LBB49_605
.LBB49_604:                             ;   in Loop: Header=BB49_3 Depth=1
	ds_load_b64 v[40:41], v46 offset:16000
	ds_load_b64 v[42:43], v7 offset:16120
	s_wait_dscnt 0x0
	v_pk_mul_f32 v[78:79], v[42:43], v[40:41] op_sel:[1,1] op_sel_hi:[0,1]
	s_delay_alu instid0(VALU_DEP_1) | instskip(SKIP_1) | instid1(VALU_DEP_2)
	v_pk_fma_f32 v[80:81], v[42:43], v[40:41], v[78:79] op_sel_hi:[1,0,1]
	v_pk_fma_f32 v[40:41], v[42:43], v[40:41], v[78:79] neg_lo:[0,0,1] neg_hi:[0,0,1]
	v_mov_b32_e32 v41, v81
	s_delay_alu instid0(VALU_DEP_1)
	v_pk_add_f32 v[38:39], v[38:39], v[40:41]
.LBB49_605:                             ;   in Loop: Header=BB49_3 Depth=1
	s_or_b32 exec_lo, exec_lo, s8
.LBB49_606:                             ;   in Loop: Header=BB49_3 Depth=1
	s_delay_alu instid0(SALU_CYCLE_1)
	s_or_b32 exec_lo, exec_lo, s96
	s_and_saveexec_b32 s8, s53
; %bb.607:                              ;   in Loop: Header=BB49_3 Depth=1
	s_delay_alu instid0(VALU_DEP_1)
	v_pk_add_f32 v[40:41], v[38:39], 0 neg_lo:[1,1] neg_hi:[1,1]
	ds_store_b64 v52, v[40:41]
; %bb.608:                              ;   in Loop: Header=BB49_3 Depth=1
	s_or_b32 exec_lo, exec_lo, s8
	s_wait_loadcnt_dscnt 0x0
	s_barrier_signal -1
	s_barrier_wait -1
	s_and_saveexec_b32 s8, s54
	s_cbranch_execz .LBB49_610
; %bb.609:                              ;   in Loop: Header=BB49_3 Depth=1
	ds_load_b64 v[40:41], v53 offset:11904
	ds_load_b64 v[42:43], v52
	s_wait_dscnt 0x0
	v_pk_mul_f32 v[78:79], v[42:43], v[40:41] op_sel:[1,1] op_sel_hi:[0,1]
	s_delay_alu instid0(VALU_DEP_1) | instskip(SKIP_1) | instid1(VALU_DEP_2)
	v_pk_fma_f32 v[80:81], v[42:43], v[40:41], v[78:79] op_sel_hi:[1,0,1]
	v_pk_fma_f32 v[40:41], v[42:43], v[40:41], v[78:79] neg_lo:[0,0,1] neg_hi:[0,0,1]
	v_mov_b32_e32 v41, v81
	s_delay_alu instid0(VALU_DEP_1)
	v_pk_add_f32 v[38:39], v[38:39], v[40:41] neg_lo:[0,1] neg_hi:[0,1]
.LBB49_610:                             ;   in Loop: Header=BB49_3 Depth=1
	s_or_b32 exec_lo, exec_lo, s8
	s_barrier_signal -1
	s_barrier_wait -1
	s_and_saveexec_b32 s8, s55
; %bb.611:                              ;   in Loop: Header=BB49_3 Depth=1
	v_pk_add_f32 v[40:41], v[38:39], 0 neg_lo:[1,1] neg_hi:[1,1]
	ds_store_b64 v52, v[40:41]
; %bb.612:                              ;   in Loop: Header=BB49_3 Depth=1
	s_or_b32 exec_lo, exec_lo, s8
	s_wait_dscnt 0x0
	s_barrier_signal -1
	s_barrier_wait -1
	s_and_saveexec_b32 s8, s56
	s_cbranch_execz .LBB49_614
; %bb.613:                              ;   in Loop: Header=BB49_3 Depth=1
	ds_load_b64 v[40:41], v53 offset:11392
	ds_load_b64 v[42:43], v52
	s_wait_dscnt 0x0
	v_dual_mul_f32 v78, v43, v41 :: v_dual_mul_f32 v41, v42, v41
	s_delay_alu instid0(VALU_DEP_1) | instskip(NEXT) | instid1(VALU_DEP_1)
	v_dual_fma_f32 v42, v42, v40, -v78 :: v_dual_fmac_f32 v41, v43, v40
	v_dual_sub_f32 v38, v38, v42 :: v_dual_sub_f32 v39, v39, v41
.LBB49_614:                             ;   in Loop: Header=BB49_3 Depth=1
	s_or_b32 exec_lo, exec_lo, s8
	s_barrier_signal -1
	s_barrier_wait -1
	s_and_saveexec_b32 s8, s57
; %bb.615:                              ;   in Loop: Header=BB49_3 Depth=1
	v_pk_add_f32 v[40:41], v[38:39], 0 neg_lo:[1,1] neg_hi:[1,1]
	ds_store_b64 v52, v[40:41]
; %bb.616:                              ;   in Loop: Header=BB49_3 Depth=1
	s_or_b32 exec_lo, exec_lo, s8
	s_wait_dscnt 0x0
	s_barrier_signal -1
	s_barrier_wait -1
	s_and_saveexec_b32 s8, s58
	s_cbranch_execz .LBB49_618
; %bb.617:                              ;   in Loop: Header=BB49_3 Depth=1
	ds_load_b64 v[40:41], v53 offset:10880
	ds_load_b64 v[42:43], v52
	s_wait_dscnt 0x0
	v_dual_mul_f32 v78, v43, v41 :: v_dual_mul_f32 v79, v42, v41
	s_delay_alu instid0(VALU_DEP_1) | instskip(NEXT) | instid1(VALU_DEP_1)
	v_dual_fma_f32 v78, v42, v40, -v78 :: v_dual_fmac_f32 v79, v43, v40
	v_pk_add_f32 v[38:39], v[38:39], v[78:79] neg_lo:[0,1] neg_hi:[0,1]
.LBB49_618:                             ;   in Loop: Header=BB49_3 Depth=1
	s_or_b32 exec_lo, exec_lo, s8
	s_barrier_signal -1
	s_barrier_wait -1
	s_and_saveexec_b32 s8, s59
; %bb.619:                              ;   in Loop: Header=BB49_3 Depth=1
	v_pk_add_f32 v[40:41], v[38:39], 0 neg_lo:[1,1] neg_hi:[1,1]
	ds_store_b64 v52, v[40:41]
; %bb.620:                              ;   in Loop: Header=BB49_3 Depth=1
	s_or_b32 exec_lo, exec_lo, s8
	s_wait_dscnt 0x0
	s_barrier_signal -1
	s_barrier_wait -1
	s_and_saveexec_b32 s8, s60
	s_cbranch_execz .LBB49_622
; %bb.621:                              ;   in Loop: Header=BB49_3 Depth=1
	ds_load_b64 v[40:41], v53 offset:10368
	ds_load_b64 v[42:43], v52
	s_wait_dscnt 0x0
	v_pk_mul_f32 v[78:79], v[42:43], v[40:41] op_sel:[1,1] op_sel_hi:[0,1]
	s_delay_alu instid0(VALU_DEP_1) | instskip(SKIP_1) | instid1(VALU_DEP_2)
	v_pk_fma_f32 v[80:81], v[42:43], v[40:41], v[78:79] op_sel_hi:[1,0,1]
	v_pk_fma_f32 v[40:41], v[42:43], v[40:41], v[78:79] neg_lo:[0,0,1] neg_hi:[0,0,1]
	v_mov_b32_e32 v41, v81
	s_delay_alu instid0(VALU_DEP_1)
	v_pk_add_f32 v[38:39], v[38:39], v[40:41] neg_lo:[0,1] neg_hi:[0,1]
.LBB49_622:                             ;   in Loop: Header=BB49_3 Depth=1
	s_or_b32 exec_lo, exec_lo, s8
	s_barrier_signal -1
	s_barrier_wait -1
	s_and_saveexec_b32 s8, s61
; %bb.623:                              ;   in Loop: Header=BB49_3 Depth=1
	v_pk_add_f32 v[40:41], v[38:39], 0 neg_lo:[1,1] neg_hi:[1,1]
	ds_store_b64 v52, v[40:41]
; %bb.624:                              ;   in Loop: Header=BB49_3 Depth=1
	s_or_b32 exec_lo, exec_lo, s8
	s_wait_dscnt 0x0
	s_barrier_signal -1
	s_barrier_wait -1
	s_and_saveexec_b32 s8, s62
	s_cbranch_execz .LBB49_626
; %bb.625:                              ;   in Loop: Header=BB49_3 Depth=1
	ds_load_b64 v[40:41], v53 offset:9856
	ds_load_b64 v[42:43], v52
	s_wait_dscnt 0x0
	v_pk_mul_f32 v[78:79], v[42:43], v[40:41] op_sel:[1,1] op_sel_hi:[0,1]
	s_delay_alu instid0(VALU_DEP_1) | instskip(SKIP_1) | instid1(VALU_DEP_2)
	v_pk_fma_f32 v[80:81], v[42:43], v[40:41], v[78:79] op_sel_hi:[1,0,1]
	v_pk_fma_f32 v[40:41], v[42:43], v[40:41], v[78:79] neg_lo:[0,0,1] neg_hi:[0,0,1]
	v_mov_b32_e32 v41, v81
	s_delay_alu instid0(VALU_DEP_1)
	v_pk_add_f32 v[38:39], v[38:39], v[40:41] neg_lo:[0,1] neg_hi:[0,1]
.LBB49_626:                             ;   in Loop: Header=BB49_3 Depth=1
	;; [unrolled: 26-line block ×4, first 2 shown]
	s_or_b32 exec_lo, exec_lo, s8
	s_barrier_signal -1
	s_barrier_wait -1
	s_and_saveexec_b32 s8, s66
; %bb.635:                              ;   in Loop: Header=BB49_3 Depth=1
	v_pk_add_f32 v[40:41], v[38:39], 0 neg_lo:[1,1] neg_hi:[1,1]
	ds_store_b64 v52, v[40:41]
; %bb.636:                              ;   in Loop: Header=BB49_3 Depth=1
	s_or_b32 exec_lo, exec_lo, s8
	s_wait_dscnt 0x0
	s_barrier_signal -1
	s_barrier_wait -1
	s_barrier_signal -1
	s_barrier_wait -1
	s_and_saveexec_b32 s8, s5
; %bb.637:                              ;   in Loop: Header=BB49_3 Depth=1
	ds_store_b64 v55, v[38:39] offset:16000
; %bb.638:                              ;   in Loop: Header=BB49_3 Depth=1
	s_or_b32 exec_lo, exec_lo, s8
	s_wait_dscnt 0x0
	s_barrier_signal -1
	s_barrier_wait -1
	s_barrier_signal -1
	s_barrier_wait -1
	s_and_saveexec_b32 s8, s12
; %bb.639:                              ;   in Loop: Header=BB49_3 Depth=1
	v_add_nc_u32_e64 v38, 0x2800, 0
	ds_store_2addr_b64 v38, v[34:35], v[34:35] offset0:150 offset1:215
; %bb.640:                              ;   in Loop: Header=BB49_3 Depth=1
	s_or_b32 exec_lo, exec_lo, s8
	v_dual_mov_b32 v38, 0 :: v_dual_mov_b32 v39, 0
	s_wait_dscnt 0x0
	s_barrier_signal -1
	s_barrier_wait -1
	global_wb scope:SCOPE_DEV
	s_wait_storecnt 0x0
	global_inv scope:SCOPE_DEV
	s_and_saveexec_b32 s11, s3
	s_cbranch_execz .LBB49_644
; %bb.641:                              ;   in Loop: Header=BB49_3 Depth=1
	ds_load_b64 v[38:39], v44 offset:11424
	ds_load_b64 v[40:41], v45 offset:11952
	s_wait_dscnt 0x0
	v_pk_mul_f32 v[42:43], v[40:41], v[38:39] op_sel:[1,1] op_sel_hi:[0,1]
	s_delay_alu instid0(VALU_DEP_1) | instskip(SKIP_1) | instid1(VALU_DEP_2)
	v_pk_fma_f32 v[78:79], v[40:41], v[38:39], v[42:43] op_sel_hi:[1,0,1]
	v_pk_fma_f32 v[38:39], v[40:41], v[38:39], v[42:43] neg_lo:[0,0,1] neg_hi:[0,0,1]
	v_mov_b32_e32 v39, v79
	s_delay_alu instid0(VALU_DEP_1)
	v_pk_add_f32 v[38:39], v[38:39], 0 op_sel_hi:[1,0]
	s_and_saveexec_b32 s8, s13
	s_cbranch_execz .LBB49_643
; %bb.642:                              ;   in Loop: Header=BB49_3 Depth=1
	ds_load_b64 v[40:41], v46 offset:11936
	ds_load_b64 v[42:43], v7 offset:11960
	s_wait_dscnt 0x0
	v_pk_mul_f32 v[78:79], v[42:43], v[40:41] op_sel:[1,1] op_sel_hi:[0,1]
	s_delay_alu instid0(VALU_DEP_1) | instskip(SKIP_1) | instid1(VALU_DEP_2)
	v_pk_fma_f32 v[80:81], v[42:43], v[40:41], v[78:79] op_sel_hi:[1,0,1]
	v_pk_fma_f32 v[40:41], v[42:43], v[40:41], v[78:79] neg_lo:[0,0,1] neg_hi:[0,0,1]
	v_mov_b32_e32 v41, v81
	s_delay_alu instid0(VALU_DEP_1)
	v_pk_add_f32 v[38:39], v[38:39], v[40:41]
.LBB49_643:                             ;   in Loop: Header=BB49_3 Depth=1
	s_or_b32 exec_lo, exec_lo, s8
.LBB49_644:                             ;   in Loop: Header=BB49_3 Depth=1
	s_delay_alu instid0(SALU_CYCLE_1)
	s_or_b32 exec_lo, exec_lo, s11
	s_and_saveexec_b32 s8, s45
; %bb.645:                              ;   in Loop: Header=BB49_3 Depth=1
	s_delay_alu instid0(VALU_DEP_1)
	v_pk_add_f32 v[40:41], v[38:39], 0 neg_lo:[1,1] neg_hi:[1,1]
	ds_store_b64 v5, v[40:41]
; %bb.646:                              ;   in Loop: Header=BB49_3 Depth=1
	s_or_b32 exec_lo, exec_lo, s8
	s_wait_loadcnt_dscnt 0x0
	s_barrier_signal -1
	s_barrier_wait -1
	s_and_saveexec_b32 s8, s46
	s_cbranch_execz .LBB49_648
; %bb.647:                              ;   in Loop: Header=BB49_3 Depth=1
	ds_load_b64 v[40:41], v7 offset:10912
	ds_load_b64 v[42:43], v5
	s_wait_dscnt 0x0
	v_pk_mul_f32 v[78:79], v[42:43], v[40:41] op_sel_hi:[1,0]
	s_delay_alu instid0(VALU_DEP_1) | instskip(SKIP_1) | instid1(VALU_DEP_2)
	v_pk_fma_f32 v[80:81], v[42:43], v[40:41], v[78:79] op_sel:[1,1,0] op_sel_hi:[0,1,1]
	v_pk_fma_f32 v[40:41], v[42:43], v[40:41], v[78:79] op_sel:[1,1,0] op_sel_hi:[0,1,1] neg_lo:[0,0,1] neg_hi:[0,0,1]
	v_pk_add_f32 v[42:43], v[38:39], v[80:81] neg_lo:[0,1] neg_hi:[0,1]
	s_delay_alu instid0(VALU_DEP_2) | instskip(NEXT) | instid1(VALU_DEP_2)
	v_pk_add_f32 v[38:39], v[38:39], v[40:41]
	v_mov_b32_e32 v39, v43
.LBB49_648:                             ;   in Loop: Header=BB49_3 Depth=1
	s_or_b32 exec_lo, exec_lo, s8
	s_barrier_signal -1
	s_barrier_wait -1
	s_and_saveexec_b32 s8, s46
; %bb.649:                              ;   in Loop: Header=BB49_3 Depth=1
	v_pk_add_f32 v[40:41], v[38:39], 0 neg_lo:[1,1] neg_hi:[1,1]
	ds_store_b64 v5, v[40:41]
; %bb.650:                              ;   in Loop: Header=BB49_3 Depth=1
	s_or_b32 exec_lo, exec_lo, s8
	s_wait_dscnt 0x0
	s_barrier_signal -1
	s_barrier_wait -1
	s_barrier_signal -1
	s_barrier_wait -1
	s_and_saveexec_b32 s8, s3
; %bb.651:                              ;   in Loop: Header=BB49_3 Depth=1
	ds_store_b64 v47, v[38:39] offset:11936
; %bb.652:                              ;   in Loop: Header=BB49_3 Depth=1
	s_or_b32 exec_lo, exec_lo, s8
	s_wait_dscnt 0x0
	s_barrier_signal -1
	s_barrier_wait -1
	s_barrier_signal -1
	s_barrier_wait -1
	s_and_saveexec_b32 s8, s12
; %bb.653:                              ;   in Loop: Header=BB49_3 Depth=1
	v_add_nc_u32_e64 v38, 0x2800, 0
	ds_store_2addr_b64 v38, v[34:35], v[34:35] offset0:20 offset1:85
; %bb.654:                              ;   in Loop: Header=BB49_3 Depth=1
	s_or_b32 exec_lo, exec_lo, s8
	v_mov_b64_e32 v[38:39], 0
	s_wait_dscnt 0x0
	s_barrier_signal -1
	s_barrier_wait -1
	global_wb scope:SCOPE_DEV
	s_wait_storecnt 0x0
	global_inv scope:SCOPE_DEV
	s_and_saveexec_b32 s96, s4
	s_cbranch_execz .LBB49_660
; %bb.655:                              ;   in Loop: Header=BB49_3 Depth=1
	ds_load_b64 v[38:39], v49 offset:10368
	ds_load_b64 v[40:41], v50 offset:11936
	s_wait_dscnt 0x0
	v_dual_mul_f32 v42, v41, v39 :: v_dual_mul_f32 v39, v40, v39
	s_delay_alu instid0(VALU_DEP_1) | instskip(NEXT) | instid1(VALU_DEP_1)
	v_dual_fma_f32 v40, v40, v38, -v42 :: v_dual_fmac_f32 v39, v41, v38
	v_dual_add_f32 v38, 0, v40 :: v_dual_add_f32 v39, 0, v39
	s_and_saveexec_b32 s8, s14
	s_cbranch_execnz .LBB49_1034
; %bb.656:                              ;   in Loop: Header=BB49_3 Depth=1
	s_or_b32 exec_lo, exec_lo, s8
	s_and_saveexec_b32 s8, s15
	s_cbranch_execnz .LBB49_1035
.LBB49_657:                             ;   in Loop: Header=BB49_3 Depth=1
	s_or_b32 exec_lo, exec_lo, s8
	s_and_saveexec_b32 s8, s3
	s_cbranch_execz .LBB49_659
.LBB49_658:                             ;   in Loop: Header=BB49_3 Depth=1
	ds_load_b64 v[40:41], v46 offset:11904
	ds_load_b64 v[42:43], v7 offset:11960
	s_wait_dscnt 0x0
	v_pk_mul_f32 v[78:79], v[42:43], v[40:41] op_sel:[1,1] op_sel_hi:[0,1]
	s_delay_alu instid0(VALU_DEP_1) | instskip(SKIP_1) | instid1(VALU_DEP_2)
	v_pk_fma_f32 v[80:81], v[42:43], v[40:41], v[78:79] op_sel_hi:[1,0,1]
	v_pk_fma_f32 v[40:41], v[42:43], v[40:41], v[78:79] neg_lo:[0,0,1] neg_hi:[0,0,1]
	v_mov_b32_e32 v41, v81
	s_delay_alu instid0(VALU_DEP_1)
	v_pk_add_f32 v[38:39], v[38:39], v[40:41]
.LBB49_659:                             ;   in Loop: Header=BB49_3 Depth=1
	s_or_b32 exec_lo, exec_lo, s8
.LBB49_660:                             ;   in Loop: Header=BB49_3 Depth=1
	s_delay_alu instid0(SALU_CYCLE_1)
	s_or_b32 exec_lo, exec_lo, s96
	s_and_saveexec_b32 s8, s47
; %bb.661:                              ;   in Loop: Header=BB49_3 Depth=1
	s_delay_alu instid0(VALU_DEP_1)
	v_pk_add_f32 v[40:41], v[38:39], 0 neg_lo:[1,1] neg_hi:[1,1]
	ds_store_b64 v48, v[40:41]
; %bb.662:                              ;   in Loop: Header=BB49_3 Depth=1
	s_or_b32 exec_lo, exec_lo, s8
	s_wait_loadcnt_dscnt 0x0
	s_barrier_signal -1
	s_barrier_wait -1
	s_and_saveexec_b32 s8, s48
	s_cbranch_execz .LBB49_664
; %bb.663:                              ;   in Loop: Header=BB49_3 Depth=1
	ds_load_b64 v[40:41], v49 offset:9856
	ds_load_b64 v[42:43], v48
	s_wait_dscnt 0x0
	v_pk_mul_f32 v[78:79], v[42:43], v[40:41] op_sel:[1,1] op_sel_hi:[0,1]
	s_delay_alu instid0(VALU_DEP_1) | instskip(SKIP_1) | instid1(VALU_DEP_2)
	v_pk_fma_f32 v[80:81], v[42:43], v[40:41], v[78:79] op_sel_hi:[1,0,1]
	v_pk_fma_f32 v[40:41], v[42:43], v[40:41], v[78:79] neg_lo:[0,0,1] neg_hi:[0,0,1]
	v_mov_b32_e32 v41, v81
	s_delay_alu instid0(VALU_DEP_1)
	v_pk_add_f32 v[38:39], v[38:39], v[40:41] neg_lo:[0,1] neg_hi:[0,1]
.LBB49_664:                             ;   in Loop: Header=BB49_3 Depth=1
	s_or_b32 exec_lo, exec_lo, s8
	s_barrier_signal -1
	s_barrier_wait -1
	s_and_saveexec_b32 s8, s49
; %bb.665:                              ;   in Loop: Header=BB49_3 Depth=1
	v_pk_add_f32 v[40:41], v[38:39], 0 neg_lo:[1,1] neg_hi:[1,1]
	ds_store_b64 v48, v[40:41]
; %bb.666:                              ;   in Loop: Header=BB49_3 Depth=1
	s_or_b32 exec_lo, exec_lo, s8
	s_wait_dscnt 0x0
	s_barrier_signal -1
	s_barrier_wait -1
	s_and_saveexec_b32 s8, s50
	s_cbranch_execz .LBB49_668
; %bb.667:                              ;   in Loop: Header=BB49_3 Depth=1
	ds_load_b64 v[40:41], v49 offset:9344
	ds_load_b64 v[42:43], v48
	s_wait_dscnt 0x0
	v_pk_mul_f32 v[78:79], v[42:43], v[40:41] op_sel:[1,1] op_sel_hi:[0,1]
	s_delay_alu instid0(VALU_DEP_1) | instskip(SKIP_1) | instid1(VALU_DEP_2)
	v_pk_fma_f32 v[80:81], v[42:43], v[40:41], v[78:79] op_sel_hi:[1,0,1]
	v_pk_fma_f32 v[40:41], v[42:43], v[40:41], v[78:79] neg_lo:[0,0,1] neg_hi:[0,0,1]
	v_mov_b32_e32 v41, v81
	s_delay_alu instid0(VALU_DEP_1)
	v_pk_add_f32 v[38:39], v[38:39], v[40:41] neg_lo:[0,1] neg_hi:[0,1]
.LBB49_668:                             ;   in Loop: Header=BB49_3 Depth=1
	s_or_b32 exec_lo, exec_lo, s8
	s_barrier_signal -1
	s_barrier_wait -1
	s_and_saveexec_b32 s8, s51
; %bb.669:                              ;   in Loop: Header=BB49_3 Depth=1
	v_pk_add_f32 v[40:41], v[38:39], 0 neg_lo:[1,1] neg_hi:[1,1]
	ds_store_b64 v48, v[40:41]
; %bb.670:                              ;   in Loop: Header=BB49_3 Depth=1
	s_or_b32 exec_lo, exec_lo, s8
	s_wait_dscnt 0x0
	;; [unrolled: 26-line block ×3, first 2 shown]
	s_barrier_signal -1
	s_barrier_wait -1
	s_barrier_signal -1
	s_barrier_wait -1
	s_and_saveexec_b32 s8, s4
; %bb.675:                              ;   in Loop: Header=BB49_3 Depth=1
	ds_store_b64 v51, v[38:39] offset:11904
; %bb.676:                              ;   in Loop: Header=BB49_3 Depth=1
	s_or_b32 exec_lo, exec_lo, s8
	s_wait_dscnt 0x0
	s_barrier_signal -1
	s_barrier_wait -1
	s_barrier_signal -1
	s_barrier_wait -1
	s_and_saveexec_b32 s8, s12
; %bb.677:                              ;   in Loop: Header=BB49_3 Depth=1
	v_add_nc_u32_e64 v38, 0x2000, 0
	ds_store_2addr_b64 v38, v[34:35], v[34:35] offset0:146 offset1:211
; %bb.678:                              ;   in Loop: Header=BB49_3 Depth=1
	s_or_b32 exec_lo, exec_lo, s8
	v_dual_mov_b32 v38, 0 :: v_dual_mov_b32 v39, 0
	s_wait_dscnt 0x0
	s_barrier_signal -1
	s_barrier_wait -1
	global_wb scope:SCOPE_DEV
	s_wait_storecnt 0x0
	global_inv scope:SCOPE_DEV
	s_and_saveexec_b32 s11, s3
	s_cbranch_execz .LBB49_682
; %bb.679:                              ;   in Loop: Header=BB49_3 Depth=1
	ds_load_b64 v[38:39], v44 offset:9344
	ds_load_b64 v[40:41], v45 offset:9872
	s_wait_dscnt 0x0
	v_pk_mul_f32 v[42:43], v[40:41], v[38:39] op_sel:[1,1] op_sel_hi:[0,1]
	s_delay_alu instid0(VALU_DEP_1) | instskip(SKIP_1) | instid1(VALU_DEP_2)
	v_pk_fma_f32 v[78:79], v[40:41], v[38:39], v[42:43] op_sel_hi:[1,0,1]
	v_pk_fma_f32 v[38:39], v[40:41], v[38:39], v[42:43] neg_lo:[0,0,1] neg_hi:[0,0,1]
	v_mov_b32_e32 v39, v79
	s_delay_alu instid0(VALU_DEP_1)
	v_pk_add_f32 v[38:39], v[38:39], 0 op_sel_hi:[1,0]
	s_and_saveexec_b32 s8, s13
	s_cbranch_execz .LBB49_681
; %bb.680:                              ;   in Loop: Header=BB49_3 Depth=1
	ds_load_b64 v[40:41], v46 offset:9856
	ds_load_b64 v[42:43], v7 offset:9880
	s_wait_dscnt 0x0
	v_pk_mul_f32 v[78:79], v[42:43], v[40:41] op_sel:[1,1] op_sel_hi:[0,1]
	s_delay_alu instid0(VALU_DEP_1) | instskip(SKIP_1) | instid1(VALU_DEP_2)
	v_pk_fma_f32 v[80:81], v[42:43], v[40:41], v[78:79] op_sel_hi:[1,0,1]
	v_pk_fma_f32 v[40:41], v[42:43], v[40:41], v[78:79] neg_lo:[0,0,1] neg_hi:[0,0,1]
	v_mov_b32_e32 v41, v81
	s_delay_alu instid0(VALU_DEP_1)
	v_pk_add_f32 v[38:39], v[38:39], v[40:41]
.LBB49_681:                             ;   in Loop: Header=BB49_3 Depth=1
	s_or_b32 exec_lo, exec_lo, s8
.LBB49_682:                             ;   in Loop: Header=BB49_3 Depth=1
	s_delay_alu instid0(SALU_CYCLE_1)
	s_or_b32 exec_lo, exec_lo, s11
	s_and_saveexec_b32 s8, s45
; %bb.683:                              ;   in Loop: Header=BB49_3 Depth=1
	s_delay_alu instid0(VALU_DEP_1)
	v_pk_add_f32 v[40:41], v[38:39], 0 neg_lo:[1,1] neg_hi:[1,1]
	ds_store_b64 v5, v[40:41]
; %bb.684:                              ;   in Loop: Header=BB49_3 Depth=1
	s_or_b32 exec_lo, exec_lo, s8
	s_wait_loadcnt_dscnt 0x0
	s_barrier_signal -1
	s_barrier_wait -1
	s_and_saveexec_b32 s8, s46
	s_cbranch_execz .LBB49_686
; %bb.685:                              ;   in Loop: Header=BB49_3 Depth=1
	ds_load_b64 v[40:41], v7 offset:8832
	ds_load_b64 v[42:43], v5
	s_wait_dscnt 0x0
	v_pk_mul_f32 v[78:79], v[42:43], v[40:41] op_sel_hi:[1,0]
	s_delay_alu instid0(VALU_DEP_1) | instskip(SKIP_1) | instid1(VALU_DEP_2)
	v_pk_fma_f32 v[80:81], v[42:43], v[40:41], v[78:79] op_sel:[1,1,0] op_sel_hi:[0,1,1]
	v_pk_fma_f32 v[40:41], v[42:43], v[40:41], v[78:79] op_sel:[1,1,0] op_sel_hi:[0,1,1] neg_lo:[0,0,1] neg_hi:[0,0,1]
	v_pk_add_f32 v[42:43], v[38:39], v[80:81] neg_lo:[0,1] neg_hi:[0,1]
	s_delay_alu instid0(VALU_DEP_2) | instskip(NEXT) | instid1(VALU_DEP_2)
	v_pk_add_f32 v[38:39], v[38:39], v[40:41]
	v_mov_b32_e32 v39, v43
.LBB49_686:                             ;   in Loop: Header=BB49_3 Depth=1
	s_or_b32 exec_lo, exec_lo, s8
	s_barrier_signal -1
	s_barrier_wait -1
	s_and_saveexec_b32 s8, s46
; %bb.687:                              ;   in Loop: Header=BB49_3 Depth=1
	v_pk_add_f32 v[40:41], v[38:39], 0 neg_lo:[1,1] neg_hi:[1,1]
	ds_store_b64 v5, v[40:41]
; %bb.688:                              ;   in Loop: Header=BB49_3 Depth=1
	s_or_b32 exec_lo, exec_lo, s8
	s_wait_dscnt 0x0
	s_barrier_signal -1
	s_barrier_wait -1
	s_barrier_signal -1
	s_barrier_wait -1
	s_and_saveexec_b32 s8, s3
; %bb.689:                              ;   in Loop: Header=BB49_3 Depth=1
	ds_store_b64 v47, v[38:39] offset:9856
; %bb.690:                              ;   in Loop: Header=BB49_3 Depth=1
	s_or_b32 exec_lo, exec_lo, s8
	s_wait_dscnt 0x0
	s_barrier_signal -1
	s_barrier_wait -1
	s_barrier_signal -1
	s_barrier_wait -1
	s_and_saveexec_b32 s8, s12
; %bb.691:                              ;   in Loop: Header=BB49_3 Depth=1
	v_add_nc_u32_e64 v38, 0x2000, 0
	ds_store_2addr_b64 v38, v[34:35], v[34:35] offset0:16 offset1:81
; %bb.692:                              ;   in Loop: Header=BB49_3 Depth=1
	s_or_b32 exec_lo, exec_lo, s8
	v_mov_b64_e32 v[38:39], 0
	s_wait_dscnt 0x0
	s_barrier_signal -1
	s_barrier_wait -1
	global_wb scope:SCOPE_DEV
	s_wait_storecnt 0x0
	global_inv scope:SCOPE_DEV
	s_and_saveexec_b32 s96, s6
	s_cbranch_execz .LBB49_720
; %bb.693:                              ;   in Loop: Header=BB49_3 Depth=1
	ds_load_b64 v[38:39], v57 offset:8192
	ds_load_b64 v[40:41], v58 offset:16000
	v_readlane_b32 s9, v88, 26
	s_wait_dscnt 0x0
	v_dual_mul_f32 v42, v41, v39 :: v_dual_mul_f32 v39, v40, v39
	s_delay_alu instid0(VALU_DEP_1) | instskip(NEXT) | instid1(VALU_DEP_1)
	v_dual_fma_f32 v40, v40, v38, -v42 :: v_dual_fmac_f32 v39, v41, v38
	v_dual_add_f32 v38, 0, v40 :: v_dual_add_f32 v39, 0, v39
	s_and_saveexec_b32 s8, s9
	s_cbranch_execz .LBB49_695
; %bb.694:                              ;   in Loop: Header=BB49_3 Depth=1
	ds_load_b64 v[40:41], v57 offset:8704
	ds_load_b64 v[42:43], v58 offset:16008
	s_wait_dscnt 0x0
	v_dual_mul_f32 v78, v43, v41 :: v_dual_mul_f32 v41, v42, v41
	s_delay_alu instid0(VALU_DEP_1) | instskip(NEXT) | instid1(VALU_DEP_1)
	v_dual_fma_f32 v42, v42, v40, -v78 :: v_dual_fmac_f32 v41, v43, v40
	v_dual_add_f32 v38, v38, v42 :: v_dual_add_f32 v39, v39, v41
.LBB49_695:                             ;   in Loop: Header=BB49_3 Depth=1
	s_or_b32 exec_lo, exec_lo, s8
	v_readlane_b32 s9, v88, 27
	s_and_saveexec_b32 s8, s9
	s_cbranch_execz .LBB49_697
; %bb.696:                              ;   in Loop: Header=BB49_3 Depth=1
	ds_load_b64 v[40:41], v57 offset:9216
	ds_load_b64 v[42:43], v58 offset:16016
	s_wait_dscnt 0x0
	v_dual_mul_f32 v78, v43, v41 :: v_dual_mul_f32 v41, v42, v41
	s_delay_alu instid0(VALU_DEP_1) | instskip(NEXT) | instid1(VALU_DEP_1)
	v_dual_fma_f32 v42, v42, v40, -v78 :: v_dual_fmac_f32 v41, v43, v40
	v_dual_add_f32 v38, v38, v42 :: v_dual_add_f32 v39, v39, v41
.LBB49_697:                             ;   in Loop: Header=BB49_3 Depth=1
	s_or_b32 exec_lo, exec_lo, s8
	v_readlane_b32 s9, v88, 28
	;; [unrolled: 13-line block ×10, first 2 shown]
	s_and_saveexec_b32 s8, s9
	s_cbranch_execnz .LBB49_1036
; %bb.714:                              ;   in Loop: Header=BB49_3 Depth=1
	s_or_b32 exec_lo, exec_lo, s8
	s_and_saveexec_b32 s8, s5
	s_cbranch_execnz .LBB49_1037
.LBB49_715:                             ;   in Loop: Header=BB49_3 Depth=1
	s_or_b32 exec_lo, exec_lo, s8
	s_and_saveexec_b32 s8, s17
	s_cbranch_execnz .LBB49_1038
.LBB49_716:                             ;   in Loop: Header=BB49_3 Depth=1
	s_or_b32 exec_lo, exec_lo, s8
	s_and_saveexec_b32 s8, s19
	s_cbranch_execnz .LBB49_1039
.LBB49_717:                             ;   in Loop: Header=BB49_3 Depth=1
	s_or_b32 exec_lo, exec_lo, s8
	s_and_saveexec_b32 s8, s4
	s_cbranch_execz .LBB49_719
.LBB49_718:                             ;   in Loop: Header=BB49_3 Depth=1
	ds_load_b64 v[40:41], v46 offset:15872
	ds_load_b64 v[42:43], v7 offset:16120
	s_wait_dscnt 0x0
	v_pk_mul_f32 v[78:79], v[42:43], v[40:41] op_sel:[1,1] op_sel_hi:[0,1]
	s_delay_alu instid0(VALU_DEP_1) | instskip(SKIP_1) | instid1(VALU_DEP_2)
	v_pk_fma_f32 v[80:81], v[42:43], v[40:41], v[78:79] op_sel_hi:[1,0,1]
	v_pk_fma_f32 v[40:41], v[42:43], v[40:41], v[78:79] neg_lo:[0,0,1] neg_hi:[0,0,1]
	v_mov_b32_e32 v41, v81
	s_delay_alu instid0(VALU_DEP_1)
	v_pk_add_f32 v[38:39], v[38:39], v[40:41]
.LBB49_719:                             ;   in Loop: Header=BB49_3 Depth=1
	s_or_b32 exec_lo, exec_lo, s8
.LBB49_720:                             ;   in Loop: Header=BB49_3 Depth=1
	s_delay_alu instid0(SALU_CYCLE_1)
	s_or_b32 exec_lo, exec_lo, s96
	v_readlane_b32 s9, v88, 5
	s_and_saveexec_b32 s8, s9
; %bb.721:                              ;   in Loop: Header=BB49_3 Depth=1
	v_pk_add_f32 v[40:41], v[38:39], 0 neg_lo:[1,1] neg_hi:[1,1]
	ds_store_b64 v56, v[40:41]
; %bb.722:                              ;   in Loop: Header=BB49_3 Depth=1
	s_or_b32 exec_lo, exec_lo, s8
	v_readlane_b32 s9, v88, 6
	s_wait_loadcnt_dscnt 0x0
	s_barrier_signal -1
	s_barrier_wait -1
	s_and_saveexec_b32 s8, s9
	s_cbranch_execz .LBB49_724
; %bb.723:                              ;   in Loop: Header=BB49_3 Depth=1
	ds_load_b64 v[40:41], v57 offset:7680
	ds_load_b64 v[42:43], v56
	s_wait_dscnt 0x0
	v_pk_mul_f32 v[78:79], v[42:43], v[40:41] op_sel:[1,1] op_sel_hi:[0,1]
	s_delay_alu instid0(VALU_DEP_1) | instskip(SKIP_1) | instid1(VALU_DEP_2)
	v_pk_fma_f32 v[80:81], v[42:43], v[40:41], v[78:79] op_sel_hi:[1,0,1]
	v_pk_fma_f32 v[40:41], v[42:43], v[40:41], v[78:79] neg_lo:[0,0,1] neg_hi:[0,0,1]
	v_mov_b32_e32 v41, v81
	s_delay_alu instid0(VALU_DEP_1)
	v_pk_add_f32 v[38:39], v[38:39], v[40:41] neg_lo:[0,1] neg_hi:[0,1]
.LBB49_724:                             ;   in Loop: Header=BB49_3 Depth=1
	s_or_b32 exec_lo, exec_lo, s8
	v_readlane_b32 s9, v88, 7
	s_barrier_signal -1
	s_barrier_wait -1
	s_and_saveexec_b32 s8, s9
; %bb.725:                              ;   in Loop: Header=BB49_3 Depth=1
	v_pk_add_f32 v[40:41], v[38:39], 0 neg_lo:[1,1] neg_hi:[1,1]
	ds_store_b64 v56, v[40:41]
; %bb.726:                              ;   in Loop: Header=BB49_3 Depth=1
	s_or_b32 exec_lo, exec_lo, s8
	v_readlane_b32 s9, v88, 8
	s_wait_dscnt 0x0
	s_barrier_signal -1
	s_barrier_wait -1
	s_and_saveexec_b32 s8, s9
	s_cbranch_execz .LBB49_728
; %bb.727:                              ;   in Loop: Header=BB49_3 Depth=1
	ds_load_b64 v[40:41], v57 offset:7168
	ds_load_b64 v[42:43], v56
	s_wait_dscnt 0x0
	v_pk_mul_f32 v[78:79], v[42:43], v[40:41] op_sel:[1,1] op_sel_hi:[0,1]
	s_delay_alu instid0(VALU_DEP_1) | instskip(SKIP_1) | instid1(VALU_DEP_2)
	v_pk_fma_f32 v[80:81], v[42:43], v[40:41], v[78:79] op_sel_hi:[1,0,1]
	v_pk_fma_f32 v[40:41], v[42:43], v[40:41], v[78:79] neg_lo:[0,0,1] neg_hi:[0,0,1]
	v_mov_b32_e32 v41, v81
	s_delay_alu instid0(VALU_DEP_1)
	v_pk_add_f32 v[38:39], v[38:39], v[40:41] neg_lo:[0,1] neg_hi:[0,1]
.LBB49_728:                             ;   in Loop: Header=BB49_3 Depth=1
	s_or_b32 exec_lo, exec_lo, s8
	v_readlane_b32 s9, v88, 9
	s_barrier_signal -1
	s_barrier_wait -1
	s_and_saveexec_b32 s8, s9
; %bb.729:                              ;   in Loop: Header=BB49_3 Depth=1
	v_pk_add_f32 v[40:41], v[38:39], 0 neg_lo:[1,1] neg_hi:[1,1]
	ds_store_b64 v56, v[40:41]
; %bb.730:                              ;   in Loop: Header=BB49_3 Depth=1
	s_or_b32 exec_lo, exec_lo, s8
	v_readlane_b32 s9, v88, 10
	s_wait_dscnt 0x0
	;; [unrolled: 28-line block ×3, first 2 shown]
	s_barrier_signal -1
	s_barrier_wait -1
	s_and_saveexec_b32 s8, s9
	s_cbranch_execz .LBB49_736
; %bb.735:                              ;   in Loop: Header=BB49_3 Depth=1
	ds_load_b64 v[40:41], v57 offset:6144
	ds_load_b64 v[42:43], v56
	s_wait_dscnt 0x0
	v_dual_mul_f32 v78, v43, v41 :: v_dual_mul_f32 v41, v42, v41
	s_delay_alu instid0(VALU_DEP_1) | instskip(NEXT) | instid1(VALU_DEP_1)
	v_dual_fma_f32 v42, v42, v40, -v78 :: v_dual_fmac_f32 v41, v43, v40
	v_dual_sub_f32 v38, v38, v42 :: v_dual_sub_f32 v39, v39, v41
.LBB49_736:                             ;   in Loop: Header=BB49_3 Depth=1
	s_or_b32 exec_lo, exec_lo, s8
	v_readlane_b32 s9, v88, 13
	s_barrier_signal -1
	s_barrier_wait -1
	s_and_saveexec_b32 s8, s9
; %bb.737:                              ;   in Loop: Header=BB49_3 Depth=1
	v_pk_add_f32 v[40:41], v[38:39], 0 neg_lo:[1,1] neg_hi:[1,1]
	ds_store_b64 v56, v[40:41]
; %bb.738:                              ;   in Loop: Header=BB49_3 Depth=1
	s_or_b32 exec_lo, exec_lo, s8
	s_wait_dscnt 0x0
	s_barrier_signal -1
	s_barrier_wait -1
	s_and_saveexec_b32 s8, s38
	s_cbranch_execz .LBB49_740
; %bb.739:                              ;   in Loop: Header=BB49_3 Depth=1
	ds_load_b64 v[40:41], v57 offset:5632
	ds_load_b64 v[42:43], v56
	s_wait_dscnt 0x0
	v_dual_mul_f32 v78, v43, v41 :: v_dual_mul_f32 v79, v42, v41
	s_delay_alu instid0(VALU_DEP_1) | instskip(NEXT) | instid1(VALU_DEP_1)
	v_dual_fma_f32 v78, v42, v40, -v78 :: v_dual_fmac_f32 v79, v43, v40
	v_pk_add_f32 v[38:39], v[38:39], v[78:79] neg_lo:[0,1] neg_hi:[0,1]
.LBB49_740:                             ;   in Loop: Header=BB49_3 Depth=1
	s_or_b32 exec_lo, exec_lo, s8
	s_barrier_signal -1
	s_barrier_wait -1
	s_and_saveexec_b32 s8, s39
; %bb.741:                              ;   in Loop: Header=BB49_3 Depth=1
	v_pk_add_f32 v[40:41], v[38:39], 0 neg_lo:[1,1] neg_hi:[1,1]
	ds_store_b64 v56, v[40:41]
; %bb.742:                              ;   in Loop: Header=BB49_3 Depth=1
	s_or_b32 exec_lo, exec_lo, s8
	s_wait_dscnt 0x0
	s_barrier_signal -1
	s_barrier_wait -1
	s_and_saveexec_b32 s8, s41
	s_cbranch_execz .LBB49_744
; %bb.743:                              ;   in Loop: Header=BB49_3 Depth=1
	ds_load_b64 v[40:41], v57 offset:5120
	ds_load_b64 v[42:43], v56
	s_wait_dscnt 0x0
	v_pk_mul_f32 v[78:79], v[42:43], v[40:41] op_sel:[1,1] op_sel_hi:[0,1]
	s_delay_alu instid0(VALU_DEP_1) | instskip(SKIP_1) | instid1(VALU_DEP_2)
	v_pk_fma_f32 v[80:81], v[42:43], v[40:41], v[78:79] op_sel_hi:[1,0,1]
	v_pk_fma_f32 v[40:41], v[42:43], v[40:41], v[78:79] neg_lo:[0,0,1] neg_hi:[0,0,1]
	v_mov_b32_e32 v41, v81
	s_delay_alu instid0(VALU_DEP_1)
	v_pk_add_f32 v[38:39], v[38:39], v[40:41] neg_lo:[0,1] neg_hi:[0,1]
.LBB49_744:                             ;   in Loop: Header=BB49_3 Depth=1
	s_or_b32 exec_lo, exec_lo, s8
	s_barrier_signal -1
	s_barrier_wait -1
	s_and_saveexec_b32 s8, s42
; %bb.745:                              ;   in Loop: Header=BB49_3 Depth=1
	v_pk_add_f32 v[40:41], v[38:39], 0 neg_lo:[1,1] neg_hi:[1,1]
	ds_store_b64 v56, v[40:41]
; %bb.746:                              ;   in Loop: Header=BB49_3 Depth=1
	s_or_b32 exec_lo, exec_lo, s8
	s_wait_dscnt 0x0
	s_barrier_signal -1
	s_barrier_wait -1
	s_and_saveexec_b32 s8, s43
	s_cbranch_execz .LBB49_748
; %bb.747:                              ;   in Loop: Header=BB49_3 Depth=1
	ds_load_b64 v[40:41], v57 offset:4608
	ds_load_b64 v[42:43], v56
	s_wait_dscnt 0x0
	v_pk_mul_f32 v[78:79], v[42:43], v[40:41] op_sel:[1,1] op_sel_hi:[0,1]
	s_delay_alu instid0(VALU_DEP_1) | instskip(SKIP_1) | instid1(VALU_DEP_2)
	v_pk_fma_f32 v[80:81], v[42:43], v[40:41], v[78:79] op_sel_hi:[1,0,1]
	v_pk_fma_f32 v[40:41], v[42:43], v[40:41], v[78:79] neg_lo:[0,0,1] neg_hi:[0,0,1]
	v_mov_b32_e32 v41, v81
	s_delay_alu instid0(VALU_DEP_1)
	v_pk_add_f32 v[38:39], v[38:39], v[40:41] neg_lo:[0,1] neg_hi:[0,1]
.LBB49_748:                             ;   in Loop: Header=BB49_3 Depth=1
	;; [unrolled: 26-line block ×4, first 2 shown]
	s_or_b32 exec_lo, exec_lo, s8
	s_barrier_signal -1
	s_barrier_wait -1
	s_and_saveexec_b32 s8, s26
; %bb.757:                              ;   in Loop: Header=BB49_3 Depth=1
	v_pk_add_f32 v[40:41], v[38:39], 0 neg_lo:[1,1] neg_hi:[1,1]
	ds_store_b64 v56, v[40:41]
; %bb.758:                              ;   in Loop: Header=BB49_3 Depth=1
	s_or_b32 exec_lo, exec_lo, s8
	s_wait_dscnt 0x0
	s_barrier_signal -1
	s_barrier_wait -1
	s_and_saveexec_b32 s8, s28
	s_cbranch_execz .LBB49_760
; %bb.759:                              ;   in Loop: Header=BB49_3 Depth=1
	ds_load_b64 v[40:41], v57 offset:3072
	ds_load_b64 v[42:43], v56
	s_wait_dscnt 0x0
	v_dual_mul_f32 v78, v43, v41 :: v_dual_mul_f32 v41, v42, v41
	s_delay_alu instid0(VALU_DEP_1) | instskip(NEXT) | instid1(VALU_DEP_1)
	v_dual_fma_f32 v42, v42, v40, -v78 :: v_dual_fmac_f32 v41, v43, v40
	v_dual_sub_f32 v38, v38, v42 :: v_dual_sub_f32 v39, v39, v41
.LBB49_760:                             ;   in Loop: Header=BB49_3 Depth=1
	s_or_b32 exec_lo, exec_lo, s8
	s_barrier_signal -1
	s_barrier_wait -1
	s_and_saveexec_b32 s8, s30
; %bb.761:                              ;   in Loop: Header=BB49_3 Depth=1
	v_pk_add_f32 v[40:41], v[38:39], 0 neg_lo:[1,1] neg_hi:[1,1]
	ds_store_b64 v56, v[40:41]
; %bb.762:                              ;   in Loop: Header=BB49_3 Depth=1
	s_or_b32 exec_lo, exec_lo, s8
	s_wait_dscnt 0x0
	s_barrier_signal -1
	s_barrier_wait -1
	s_and_saveexec_b32 s8, s104
	s_cbranch_execz .LBB49_764
; %bb.763:                              ;   in Loop: Header=BB49_3 Depth=1
	ds_load_b64 v[40:41], v57 offset:2560
	ds_load_b64 v[42:43], v56
	s_wait_dscnt 0x0
	v_dual_mul_f32 v78, v43, v41 :: v_dual_mul_f32 v79, v42, v41
	s_delay_alu instid0(VALU_DEP_1) | instskip(NEXT) | instid1(VALU_DEP_1)
	v_dual_fma_f32 v78, v42, v40, -v78 :: v_dual_fmac_f32 v79, v43, v40
	v_pk_add_f32 v[38:39], v[38:39], v[78:79] neg_lo:[0,1] neg_hi:[0,1]
.LBB49_764:                             ;   in Loop: Header=BB49_3 Depth=1
	s_or_b32 exec_lo, exec_lo, s8
	s_barrier_signal -1
	s_barrier_wait -1
	s_and_saveexec_b32 s8, s76
; %bb.765:                              ;   in Loop: Header=BB49_3 Depth=1
	v_pk_add_f32 v[40:41], v[38:39], 0 neg_lo:[1,1] neg_hi:[1,1]
	ds_store_b64 v56, v[40:41]
; %bb.766:                              ;   in Loop: Header=BB49_3 Depth=1
	s_or_b32 exec_lo, exec_lo, s8
	s_wait_dscnt 0x0
	s_barrier_signal -1
	s_barrier_wait -1
	s_and_saveexec_b32 s8, s77
	s_cbranch_execz .LBB49_768
; %bb.767:                              ;   in Loop: Header=BB49_3 Depth=1
	ds_load_b64 v[40:41], v57 offset:2048
	ds_load_b64 v[42:43], v56
	s_wait_dscnt 0x0
	v_pk_mul_f32 v[78:79], v[42:43], v[40:41] op_sel:[1,1] op_sel_hi:[0,1]
	s_delay_alu instid0(VALU_DEP_1) | instskip(SKIP_1) | instid1(VALU_DEP_2)
	v_pk_fma_f32 v[80:81], v[42:43], v[40:41], v[78:79] op_sel_hi:[1,0,1]
	v_pk_fma_f32 v[40:41], v[42:43], v[40:41], v[78:79] neg_lo:[0,0,1] neg_hi:[0,0,1]
	v_mov_b32_e32 v41, v81
	s_delay_alu instid0(VALU_DEP_1)
	v_pk_add_f32 v[38:39], v[38:39], v[40:41] neg_lo:[0,1] neg_hi:[0,1]
.LBB49_768:                             ;   in Loop: Header=BB49_3 Depth=1
	s_or_b32 exec_lo, exec_lo, s8
	s_barrier_signal -1
	s_barrier_wait -1
	s_and_saveexec_b32 s8, s74
; %bb.769:                              ;   in Loop: Header=BB49_3 Depth=1
	v_pk_add_f32 v[40:41], v[38:39], 0 neg_lo:[1,1] neg_hi:[1,1]
	ds_store_b64 v56, v[40:41]
; %bb.770:                              ;   in Loop: Header=BB49_3 Depth=1
	s_or_b32 exec_lo, exec_lo, s8
	s_wait_dscnt 0x0
	s_barrier_signal -1
	s_barrier_wait -1
	s_and_saveexec_b32 s8, s75
	s_cbranch_execz .LBB49_772
; %bb.771:                              ;   in Loop: Header=BB49_3 Depth=1
	ds_load_b64 v[40:41], v57 offset:1536
	ds_load_b64 v[42:43], v56
	s_wait_dscnt 0x0
	v_pk_mul_f32 v[78:79], v[42:43], v[40:41] op_sel:[1,1] op_sel_hi:[0,1]
	s_delay_alu instid0(VALU_DEP_1) | instskip(SKIP_1) | instid1(VALU_DEP_2)
	v_pk_fma_f32 v[80:81], v[42:43], v[40:41], v[78:79] op_sel_hi:[1,0,1]
	v_pk_fma_f32 v[40:41], v[42:43], v[40:41], v[78:79] neg_lo:[0,0,1] neg_hi:[0,0,1]
	v_mov_b32_e32 v41, v81
	s_delay_alu instid0(VALU_DEP_1)
	v_pk_add_f32 v[38:39], v[38:39], v[40:41] neg_lo:[0,1] neg_hi:[0,1]
.LBB49_772:                             ;   in Loop: Header=BB49_3 Depth=1
	;; [unrolled: 26-line block ×4, first 2 shown]
	s_or_b32 exec_lo, exec_lo, s8
	s_barrier_signal -1
	s_barrier_wait -1
	s_and_saveexec_b32 s8, s25
; %bb.781:                              ;   in Loop: Header=BB49_3 Depth=1
	v_pk_add_f32 v[40:41], v[38:39], 0 neg_lo:[1,1] neg_hi:[1,1]
	ds_store_b64 v56, v[40:41]
; %bb.782:                              ;   in Loop: Header=BB49_3 Depth=1
	s_or_b32 exec_lo, exec_lo, s8
	s_wait_dscnt 0x0
	s_barrier_signal -1
	s_barrier_wait -1
	s_barrier_signal -1
	s_barrier_wait -1
	s_and_saveexec_b32 s8, s6
; %bb.783:                              ;   in Loop: Header=BB49_3 Depth=1
	ds_store_b64 v60, v[38:39] offset:15872
; %bb.784:                              ;   in Loop: Header=BB49_3 Depth=1
	s_or_b32 exec_lo, exec_lo, s8
	s_wait_dscnt 0x0
	s_barrier_signal -1
	s_barrier_wait -1
	s_barrier_signal -1
	s_barrier_wait -1
	s_and_saveexec_b32 s8, s12
; %bb.785:                              ;   in Loop: Header=BB49_3 Depth=1
	v_add_nc_u32_e64 v38, 0x1800, 0
	ds_store_2addr_b64 v38, v[34:35], v[34:35] offset0:142 offset1:207
; %bb.786:                              ;   in Loop: Header=BB49_3 Depth=1
	s_or_b32 exec_lo, exec_lo, s8
	v_dual_mov_b32 v38, 0 :: v_dual_mov_b32 v39, 0
	s_wait_dscnt 0x0
	s_barrier_signal -1
	s_barrier_wait -1
	global_wb scope:SCOPE_DEV
	s_wait_storecnt 0x0
	global_inv scope:SCOPE_DEV
	s_and_saveexec_b32 s11, s3
	s_cbranch_execz .LBB49_790
; %bb.787:                              ;   in Loop: Header=BB49_3 Depth=1
	ds_load_b64 v[38:39], v44 offset:7264
	ds_load_b64 v[40:41], v45 offset:7792
	s_wait_dscnt 0x0
	v_pk_mul_f32 v[42:43], v[40:41], v[38:39] op_sel:[1,1] op_sel_hi:[0,1]
	s_delay_alu instid0(VALU_DEP_1) | instskip(SKIP_1) | instid1(VALU_DEP_2)
	v_pk_fma_f32 v[78:79], v[40:41], v[38:39], v[42:43] op_sel_hi:[1,0,1]
	v_pk_fma_f32 v[38:39], v[40:41], v[38:39], v[42:43] neg_lo:[0,0,1] neg_hi:[0,0,1]
	v_mov_b32_e32 v39, v79
	s_delay_alu instid0(VALU_DEP_1)
	v_pk_add_f32 v[38:39], v[38:39], 0 op_sel_hi:[1,0]
	s_and_saveexec_b32 s8, s13
	s_cbranch_execz .LBB49_789
; %bb.788:                              ;   in Loop: Header=BB49_3 Depth=1
	ds_load_b64 v[40:41], v46 offset:7776
	ds_load_b64 v[42:43], v7 offset:7800
	s_wait_dscnt 0x0
	v_pk_mul_f32 v[78:79], v[42:43], v[40:41] op_sel:[1,1] op_sel_hi:[0,1]
	s_delay_alu instid0(VALU_DEP_1) | instskip(SKIP_1) | instid1(VALU_DEP_2)
	v_pk_fma_f32 v[80:81], v[42:43], v[40:41], v[78:79] op_sel_hi:[1,0,1]
	v_pk_fma_f32 v[40:41], v[42:43], v[40:41], v[78:79] neg_lo:[0,0,1] neg_hi:[0,0,1]
	v_mov_b32_e32 v41, v81
	s_delay_alu instid0(VALU_DEP_1)
	v_pk_add_f32 v[38:39], v[38:39], v[40:41]
.LBB49_789:                             ;   in Loop: Header=BB49_3 Depth=1
	s_or_b32 exec_lo, exec_lo, s8
.LBB49_790:                             ;   in Loop: Header=BB49_3 Depth=1
	s_delay_alu instid0(SALU_CYCLE_1)
	s_or_b32 exec_lo, exec_lo, s11
	s_and_saveexec_b32 s8, s45
; %bb.791:                              ;   in Loop: Header=BB49_3 Depth=1
	s_delay_alu instid0(VALU_DEP_1)
	v_pk_add_f32 v[40:41], v[38:39], 0 neg_lo:[1,1] neg_hi:[1,1]
	ds_store_b64 v5, v[40:41]
; %bb.792:                              ;   in Loop: Header=BB49_3 Depth=1
	s_or_b32 exec_lo, exec_lo, s8
	s_wait_loadcnt_dscnt 0x0
	s_barrier_signal -1
	s_barrier_wait -1
	s_and_saveexec_b32 s8, s46
	s_cbranch_execz .LBB49_794
; %bb.793:                              ;   in Loop: Header=BB49_3 Depth=1
	ds_load_b64 v[40:41], v7 offset:6752
	ds_load_b64 v[42:43], v5
	s_wait_dscnt 0x0
	v_pk_mul_f32 v[78:79], v[42:43], v[40:41] op_sel_hi:[1,0]
	s_delay_alu instid0(VALU_DEP_1) | instskip(SKIP_1) | instid1(VALU_DEP_2)
	v_pk_fma_f32 v[80:81], v[42:43], v[40:41], v[78:79] op_sel:[1,1,0] op_sel_hi:[0,1,1]
	v_pk_fma_f32 v[40:41], v[42:43], v[40:41], v[78:79] op_sel:[1,1,0] op_sel_hi:[0,1,1] neg_lo:[0,0,1] neg_hi:[0,0,1]
	v_pk_add_f32 v[42:43], v[38:39], v[80:81] neg_lo:[0,1] neg_hi:[0,1]
	s_delay_alu instid0(VALU_DEP_2) | instskip(NEXT) | instid1(VALU_DEP_2)
	v_pk_add_f32 v[38:39], v[38:39], v[40:41]
	v_mov_b32_e32 v39, v43
.LBB49_794:                             ;   in Loop: Header=BB49_3 Depth=1
	s_or_b32 exec_lo, exec_lo, s8
	s_barrier_signal -1
	s_barrier_wait -1
	s_and_saveexec_b32 s8, s46
; %bb.795:                              ;   in Loop: Header=BB49_3 Depth=1
	v_pk_add_f32 v[40:41], v[38:39], 0 neg_lo:[1,1] neg_hi:[1,1]
	ds_store_b64 v5, v[40:41]
; %bb.796:                              ;   in Loop: Header=BB49_3 Depth=1
	s_or_b32 exec_lo, exec_lo, s8
	s_wait_dscnt 0x0
	s_barrier_signal -1
	s_barrier_wait -1
	s_barrier_signal -1
	s_barrier_wait -1
	s_and_saveexec_b32 s8, s3
; %bb.797:                              ;   in Loop: Header=BB49_3 Depth=1
	ds_store_b64 v47, v[38:39] offset:7776
; %bb.798:                              ;   in Loop: Header=BB49_3 Depth=1
	s_or_b32 exec_lo, exec_lo, s8
	s_wait_dscnt 0x0
	s_barrier_signal -1
	s_barrier_wait -1
	s_barrier_signal -1
	s_barrier_wait -1
	s_and_saveexec_b32 s8, s12
; %bb.799:                              ;   in Loop: Header=BB49_3 Depth=1
	v_add_nc_u32_e64 v38, 0x1800, 0
	ds_store_2addr_b64 v38, v[34:35], v[34:35] offset0:12 offset1:77
; %bb.800:                              ;   in Loop: Header=BB49_3 Depth=1
	s_or_b32 exec_lo, exec_lo, s8
	v_mov_b64_e32 v[38:39], 0
	s_wait_dscnt 0x0
	s_barrier_signal -1
	s_barrier_wait -1
	global_wb scope:SCOPE_DEV
	s_wait_storecnt 0x0
	global_inv scope:SCOPE_DEV
	s_and_saveexec_b32 s96, s4
	s_cbranch_execz .LBB49_806
; %bb.801:                              ;   in Loop: Header=BB49_3 Depth=1
	ds_load_b64 v[38:39], v49 offset:6208
	ds_load_b64 v[40:41], v50 offset:7776
	s_wait_dscnt 0x0
	v_dual_mul_f32 v42, v41, v39 :: v_dual_mul_f32 v39, v40, v39
	s_delay_alu instid0(VALU_DEP_1) | instskip(NEXT) | instid1(VALU_DEP_1)
	v_dual_fma_f32 v40, v40, v38, -v42 :: v_dual_fmac_f32 v39, v41, v38
	v_dual_add_f32 v38, 0, v40 :: v_dual_add_f32 v39, 0, v39
	s_and_saveexec_b32 s8, s14
	s_cbranch_execnz .LBB49_1040
; %bb.802:                              ;   in Loop: Header=BB49_3 Depth=1
	s_or_b32 exec_lo, exec_lo, s8
	s_and_saveexec_b32 s8, s15
	s_cbranch_execnz .LBB49_1041
.LBB49_803:                             ;   in Loop: Header=BB49_3 Depth=1
	s_or_b32 exec_lo, exec_lo, s8
	s_and_saveexec_b32 s8, s3
	s_cbranch_execz .LBB49_805
.LBB49_804:                             ;   in Loop: Header=BB49_3 Depth=1
	ds_load_b64 v[40:41], v46 offset:7744
	ds_load_b64 v[42:43], v7 offset:7800
	s_wait_dscnt 0x0
	v_pk_mul_f32 v[78:79], v[42:43], v[40:41] op_sel:[1,1] op_sel_hi:[0,1]
	s_delay_alu instid0(VALU_DEP_1) | instskip(SKIP_1) | instid1(VALU_DEP_2)
	v_pk_fma_f32 v[80:81], v[42:43], v[40:41], v[78:79] op_sel_hi:[1,0,1]
	v_pk_fma_f32 v[40:41], v[42:43], v[40:41], v[78:79] neg_lo:[0,0,1] neg_hi:[0,0,1]
	v_mov_b32_e32 v41, v81
	s_delay_alu instid0(VALU_DEP_1)
	v_pk_add_f32 v[38:39], v[38:39], v[40:41]
.LBB49_805:                             ;   in Loop: Header=BB49_3 Depth=1
	s_or_b32 exec_lo, exec_lo, s8
.LBB49_806:                             ;   in Loop: Header=BB49_3 Depth=1
	s_delay_alu instid0(SALU_CYCLE_1)
	s_or_b32 exec_lo, exec_lo, s96
	s_and_saveexec_b32 s8, s47
; %bb.807:                              ;   in Loop: Header=BB49_3 Depth=1
	s_delay_alu instid0(VALU_DEP_1)
	v_pk_add_f32 v[40:41], v[38:39], 0 neg_lo:[1,1] neg_hi:[1,1]
	ds_store_b64 v48, v[40:41]
; %bb.808:                              ;   in Loop: Header=BB49_3 Depth=1
	s_or_b32 exec_lo, exec_lo, s8
	s_wait_loadcnt_dscnt 0x0
	s_barrier_signal -1
	s_barrier_wait -1
	s_and_saveexec_b32 s8, s48
	s_cbranch_execz .LBB49_810
; %bb.809:                              ;   in Loop: Header=BB49_3 Depth=1
	ds_load_b64 v[40:41], v49 offset:5696
	ds_load_b64 v[42:43], v48
	s_wait_dscnt 0x0
	v_pk_mul_f32 v[78:79], v[42:43], v[40:41] op_sel:[1,1] op_sel_hi:[0,1]
	s_delay_alu instid0(VALU_DEP_1) | instskip(SKIP_1) | instid1(VALU_DEP_2)
	v_pk_fma_f32 v[80:81], v[42:43], v[40:41], v[78:79] op_sel_hi:[1,0,1]
	v_pk_fma_f32 v[40:41], v[42:43], v[40:41], v[78:79] neg_lo:[0,0,1] neg_hi:[0,0,1]
	v_mov_b32_e32 v41, v81
	s_delay_alu instid0(VALU_DEP_1)
	v_pk_add_f32 v[38:39], v[38:39], v[40:41] neg_lo:[0,1] neg_hi:[0,1]
.LBB49_810:                             ;   in Loop: Header=BB49_3 Depth=1
	s_or_b32 exec_lo, exec_lo, s8
	s_barrier_signal -1
	s_barrier_wait -1
	s_and_saveexec_b32 s8, s49
; %bb.811:                              ;   in Loop: Header=BB49_3 Depth=1
	v_pk_add_f32 v[40:41], v[38:39], 0 neg_lo:[1,1] neg_hi:[1,1]
	ds_store_b64 v48, v[40:41]
; %bb.812:                              ;   in Loop: Header=BB49_3 Depth=1
	s_or_b32 exec_lo, exec_lo, s8
	s_wait_dscnt 0x0
	s_barrier_signal -1
	s_barrier_wait -1
	s_and_saveexec_b32 s8, s50
	s_cbranch_execz .LBB49_814
; %bb.813:                              ;   in Loop: Header=BB49_3 Depth=1
	ds_load_b64 v[40:41], v49 offset:5184
	ds_load_b64 v[42:43], v48
	s_wait_dscnt 0x0
	v_pk_mul_f32 v[78:79], v[42:43], v[40:41] op_sel:[1,1] op_sel_hi:[0,1]
	s_delay_alu instid0(VALU_DEP_1) | instskip(SKIP_1) | instid1(VALU_DEP_2)
	v_pk_fma_f32 v[80:81], v[42:43], v[40:41], v[78:79] op_sel_hi:[1,0,1]
	v_pk_fma_f32 v[40:41], v[42:43], v[40:41], v[78:79] neg_lo:[0,0,1] neg_hi:[0,0,1]
	v_mov_b32_e32 v41, v81
	s_delay_alu instid0(VALU_DEP_1)
	v_pk_add_f32 v[38:39], v[38:39], v[40:41] neg_lo:[0,1] neg_hi:[0,1]
.LBB49_814:                             ;   in Loop: Header=BB49_3 Depth=1
	s_or_b32 exec_lo, exec_lo, s8
	s_barrier_signal -1
	s_barrier_wait -1
	s_and_saveexec_b32 s8, s51
; %bb.815:                              ;   in Loop: Header=BB49_3 Depth=1
	v_pk_add_f32 v[40:41], v[38:39], 0 neg_lo:[1,1] neg_hi:[1,1]
	ds_store_b64 v48, v[40:41]
; %bb.816:                              ;   in Loop: Header=BB49_3 Depth=1
	s_or_b32 exec_lo, exec_lo, s8
	s_wait_dscnt 0x0
	;; [unrolled: 26-line block ×3, first 2 shown]
	s_barrier_signal -1
	s_barrier_wait -1
	s_barrier_signal -1
	s_barrier_wait -1
	s_and_saveexec_b32 s8, s4
; %bb.821:                              ;   in Loop: Header=BB49_3 Depth=1
	ds_store_b64 v51, v[38:39] offset:7744
; %bb.822:                              ;   in Loop: Header=BB49_3 Depth=1
	s_or_b32 exec_lo, exec_lo, s8
	s_wait_dscnt 0x0
	s_barrier_signal -1
	s_barrier_wait -1
	s_barrier_signal -1
	s_barrier_wait -1
	s_and_saveexec_b32 s8, s12
; %bb.823:                              ;   in Loop: Header=BB49_3 Depth=1
	v_add_nc_u32_e64 v38, 0x1000, 0
	ds_store_2addr_b64 v38, v[34:35], v[34:35] offset0:138 offset1:203
; %bb.824:                              ;   in Loop: Header=BB49_3 Depth=1
	s_or_b32 exec_lo, exec_lo, s8
	v_dual_mov_b32 v38, 0 :: v_dual_mov_b32 v39, 0
	s_wait_dscnt 0x0
	s_barrier_signal -1
	s_barrier_wait -1
	global_wb scope:SCOPE_DEV
	s_wait_storecnt 0x0
	global_inv scope:SCOPE_DEV
	s_and_saveexec_b32 s11, s3
	s_cbranch_execz .LBB49_828
; %bb.825:                              ;   in Loop: Header=BB49_3 Depth=1
	ds_load_b64 v[38:39], v44 offset:5184
	ds_load_b64 v[40:41], v45 offset:5712
	s_wait_dscnt 0x0
	v_pk_mul_f32 v[42:43], v[40:41], v[38:39] op_sel:[1,1] op_sel_hi:[0,1]
	s_delay_alu instid0(VALU_DEP_1) | instskip(SKIP_1) | instid1(VALU_DEP_2)
	v_pk_fma_f32 v[78:79], v[40:41], v[38:39], v[42:43] op_sel_hi:[1,0,1]
	v_pk_fma_f32 v[38:39], v[40:41], v[38:39], v[42:43] neg_lo:[0,0,1] neg_hi:[0,0,1]
	v_mov_b32_e32 v39, v79
	s_delay_alu instid0(VALU_DEP_1)
	v_pk_add_f32 v[38:39], v[38:39], 0 op_sel_hi:[1,0]
	s_and_saveexec_b32 s8, s13
	s_cbranch_execz .LBB49_827
; %bb.826:                              ;   in Loop: Header=BB49_3 Depth=1
	ds_load_b64 v[40:41], v46 offset:5696
	ds_load_b64 v[42:43], v7 offset:5720
	s_wait_dscnt 0x0
	v_pk_mul_f32 v[78:79], v[42:43], v[40:41] op_sel:[1,1] op_sel_hi:[0,1]
	s_delay_alu instid0(VALU_DEP_1) | instskip(SKIP_1) | instid1(VALU_DEP_2)
	v_pk_fma_f32 v[80:81], v[42:43], v[40:41], v[78:79] op_sel_hi:[1,0,1]
	v_pk_fma_f32 v[40:41], v[42:43], v[40:41], v[78:79] neg_lo:[0,0,1] neg_hi:[0,0,1]
	v_mov_b32_e32 v41, v81
	s_delay_alu instid0(VALU_DEP_1)
	v_pk_add_f32 v[38:39], v[38:39], v[40:41]
.LBB49_827:                             ;   in Loop: Header=BB49_3 Depth=1
	s_or_b32 exec_lo, exec_lo, s8
.LBB49_828:                             ;   in Loop: Header=BB49_3 Depth=1
	s_delay_alu instid0(SALU_CYCLE_1)
	s_or_b32 exec_lo, exec_lo, s11
	s_and_saveexec_b32 s8, s45
; %bb.829:                              ;   in Loop: Header=BB49_3 Depth=1
	s_delay_alu instid0(VALU_DEP_1)
	v_pk_add_f32 v[40:41], v[38:39], 0 neg_lo:[1,1] neg_hi:[1,1]
	ds_store_b64 v5, v[40:41]
; %bb.830:                              ;   in Loop: Header=BB49_3 Depth=1
	s_or_b32 exec_lo, exec_lo, s8
	s_wait_loadcnt_dscnt 0x0
	s_barrier_signal -1
	s_barrier_wait -1
	s_and_saveexec_b32 s8, s46
	s_cbranch_execz .LBB49_832
; %bb.831:                              ;   in Loop: Header=BB49_3 Depth=1
	ds_load_b64 v[40:41], v7 offset:4672
	ds_load_b64 v[42:43], v5
	s_wait_dscnt 0x0
	v_pk_mul_f32 v[78:79], v[42:43], v[40:41] op_sel_hi:[1,0]
	s_delay_alu instid0(VALU_DEP_1) | instskip(SKIP_1) | instid1(VALU_DEP_2)
	v_pk_fma_f32 v[80:81], v[42:43], v[40:41], v[78:79] op_sel:[1,1,0] op_sel_hi:[0,1,1]
	v_pk_fma_f32 v[40:41], v[42:43], v[40:41], v[78:79] op_sel:[1,1,0] op_sel_hi:[0,1,1] neg_lo:[0,0,1] neg_hi:[0,0,1]
	v_pk_add_f32 v[42:43], v[38:39], v[80:81] neg_lo:[0,1] neg_hi:[0,1]
	s_delay_alu instid0(VALU_DEP_2) | instskip(NEXT) | instid1(VALU_DEP_2)
	v_pk_add_f32 v[38:39], v[38:39], v[40:41]
	v_mov_b32_e32 v39, v43
.LBB49_832:                             ;   in Loop: Header=BB49_3 Depth=1
	s_or_b32 exec_lo, exec_lo, s8
	s_barrier_signal -1
	s_barrier_wait -1
	s_and_saveexec_b32 s8, s46
; %bb.833:                              ;   in Loop: Header=BB49_3 Depth=1
	v_pk_add_f32 v[40:41], v[38:39], 0 neg_lo:[1,1] neg_hi:[1,1]
	ds_store_b64 v5, v[40:41]
; %bb.834:                              ;   in Loop: Header=BB49_3 Depth=1
	s_or_b32 exec_lo, exec_lo, s8
	s_wait_dscnt 0x0
	s_barrier_signal -1
	s_barrier_wait -1
	s_barrier_signal -1
	s_barrier_wait -1
	s_and_saveexec_b32 s8, s3
; %bb.835:                              ;   in Loop: Header=BB49_3 Depth=1
	ds_store_b64 v47, v[38:39] offset:5696
; %bb.836:                              ;   in Loop: Header=BB49_3 Depth=1
	s_or_b32 exec_lo, exec_lo, s8
	s_wait_dscnt 0x0
	s_barrier_signal -1
	s_barrier_wait -1
	s_barrier_signal -1
	s_barrier_wait -1
	s_and_saveexec_b32 s8, s12
; %bb.837:                              ;   in Loop: Header=BB49_3 Depth=1
	v_add_nc_u32_e64 v38, 0x1000, 0
	ds_store_2addr_b64 v38, v[34:35], v[34:35] offset0:8 offset1:73
; %bb.838:                              ;   in Loop: Header=BB49_3 Depth=1
	s_or_b32 exec_lo, exec_lo, s8
	v_mov_b64_e32 v[38:39], 0
	s_wait_dscnt 0x0
	s_barrier_signal -1
	s_barrier_wait -1
	global_wb scope:SCOPE_DEV
	s_wait_storecnt 0x0
	global_inv scope:SCOPE_DEV
	s_and_saveexec_b32 s96, s5
	s_cbranch_execz .LBB49_848
; %bb.839:                              ;   in Loop: Header=BB49_3 Depth=1
	ds_load_b64 v[38:39], v53 offset:4096
	ds_load_b64 v[40:41], v54 offset:7744
	s_wait_dscnt 0x0
	v_dual_mul_f32 v42, v41, v39 :: v_dual_mul_f32 v39, v40, v39
	s_delay_alu instid0(VALU_DEP_1) | instskip(NEXT) | instid1(VALU_DEP_1)
	v_dual_fma_f32 v40, v40, v38, -v42 :: v_dual_fmac_f32 v39, v41, v38
	v_dual_add_f32 v38, 0, v40 :: v_dual_add_f32 v39, 0, v39
	s_and_saveexec_b32 s8, s16
	s_cbranch_execnz .LBB49_1042
; %bb.840:                              ;   in Loop: Header=BB49_3 Depth=1
	s_or_b32 exec_lo, exec_lo, s8
	s_and_saveexec_b32 s8, s17
	s_cbranch_execnz .LBB49_1043
.LBB49_841:                             ;   in Loop: Header=BB49_3 Depth=1
	s_or_b32 exec_lo, exec_lo, s8
	s_and_saveexec_b32 s8, s18
	s_cbranch_execnz .LBB49_1044
.LBB49_842:                             ;   in Loop: Header=BB49_3 Depth=1
	s_or_b32 exec_lo, exec_lo, s8
	s_and_saveexec_b32 s8, s19
	s_cbranch_execnz .LBB49_1045
.LBB49_843:                             ;   in Loop: Header=BB49_3 Depth=1
	s_or_b32 exec_lo, exec_lo, s8
	s_and_saveexec_b32 s8, s20
	s_cbranch_execnz .LBB49_1046
.LBB49_844:                             ;   in Loop: Header=BB49_3 Depth=1
	s_or_b32 exec_lo, exec_lo, s8
	s_and_saveexec_b32 s8, s4
	s_cbranch_execnz .LBB49_1047
.LBB49_845:                             ;   in Loop: Header=BB49_3 Depth=1
	s_or_b32 exec_lo, exec_lo, s8
	s_and_saveexec_b32 s8, s15
	s_cbranch_execz .LBB49_847
.LBB49_846:                             ;   in Loop: Header=BB49_3 Depth=1
	ds_load_b64 v[40:41], v46 offset:7680
	ds_load_b64 v[42:43], v7 offset:7800
	s_wait_dscnt 0x0
	v_pk_mul_f32 v[78:79], v[42:43], v[40:41] op_sel:[1,1] op_sel_hi:[0,1]
	s_delay_alu instid0(VALU_DEP_1) | instskip(SKIP_1) | instid1(VALU_DEP_2)
	v_pk_fma_f32 v[80:81], v[42:43], v[40:41], v[78:79] op_sel_hi:[1,0,1]
	v_pk_fma_f32 v[40:41], v[42:43], v[40:41], v[78:79] neg_lo:[0,0,1] neg_hi:[0,0,1]
	v_mov_b32_e32 v41, v81
	s_delay_alu instid0(VALU_DEP_1)
	v_pk_add_f32 v[38:39], v[38:39], v[40:41]
.LBB49_847:                             ;   in Loop: Header=BB49_3 Depth=1
	s_or_b32 exec_lo, exec_lo, s8
.LBB49_848:                             ;   in Loop: Header=BB49_3 Depth=1
	s_delay_alu instid0(SALU_CYCLE_1)
	s_or_b32 exec_lo, exec_lo, s96
	s_and_saveexec_b32 s8, s53
; %bb.849:                              ;   in Loop: Header=BB49_3 Depth=1
	s_delay_alu instid0(VALU_DEP_1)
	v_pk_add_f32 v[40:41], v[38:39], 0 neg_lo:[1,1] neg_hi:[1,1]
	ds_store_b64 v52, v[40:41]
; %bb.850:                              ;   in Loop: Header=BB49_3 Depth=1
	s_or_b32 exec_lo, exec_lo, s8
	s_wait_loadcnt_dscnt 0x0
	s_barrier_signal -1
	s_barrier_wait -1
	s_and_saveexec_b32 s8, s54
	s_cbranch_execz .LBB49_852
; %bb.851:                              ;   in Loop: Header=BB49_3 Depth=1
	ds_load_b64 v[40:41], v53 offset:3584
	ds_load_b64 v[42:43], v52
	s_wait_dscnt 0x0
	v_pk_mul_f32 v[78:79], v[42:43], v[40:41] op_sel:[1,1] op_sel_hi:[0,1]
	s_delay_alu instid0(VALU_DEP_1) | instskip(SKIP_1) | instid1(VALU_DEP_2)
	v_pk_fma_f32 v[80:81], v[42:43], v[40:41], v[78:79] op_sel_hi:[1,0,1]
	v_pk_fma_f32 v[40:41], v[42:43], v[40:41], v[78:79] neg_lo:[0,0,1] neg_hi:[0,0,1]
	v_mov_b32_e32 v41, v81
	s_delay_alu instid0(VALU_DEP_1)
	v_pk_add_f32 v[38:39], v[38:39], v[40:41] neg_lo:[0,1] neg_hi:[0,1]
.LBB49_852:                             ;   in Loop: Header=BB49_3 Depth=1
	s_or_b32 exec_lo, exec_lo, s8
	s_barrier_signal -1
	s_barrier_wait -1
	s_and_saveexec_b32 s8, s55
; %bb.853:                              ;   in Loop: Header=BB49_3 Depth=1
	v_pk_add_f32 v[40:41], v[38:39], 0 neg_lo:[1,1] neg_hi:[1,1]
	ds_store_b64 v52, v[40:41]
; %bb.854:                              ;   in Loop: Header=BB49_3 Depth=1
	s_or_b32 exec_lo, exec_lo, s8
	s_wait_dscnt 0x0
	s_barrier_signal -1
	s_barrier_wait -1
	s_and_saveexec_b32 s8, s56
	s_cbranch_execz .LBB49_856
; %bb.855:                              ;   in Loop: Header=BB49_3 Depth=1
	ds_load_b64 v[40:41], v53 offset:3072
	ds_load_b64 v[42:43], v52
	s_wait_dscnt 0x0
	v_dual_mul_f32 v78, v43, v41 :: v_dual_mul_f32 v41, v42, v41
	s_delay_alu instid0(VALU_DEP_1) | instskip(NEXT) | instid1(VALU_DEP_1)
	v_dual_fma_f32 v42, v42, v40, -v78 :: v_dual_fmac_f32 v41, v43, v40
	v_dual_sub_f32 v38, v38, v42 :: v_dual_sub_f32 v39, v39, v41
.LBB49_856:                             ;   in Loop: Header=BB49_3 Depth=1
	s_or_b32 exec_lo, exec_lo, s8
	s_barrier_signal -1
	s_barrier_wait -1
	s_and_saveexec_b32 s8, s57
; %bb.857:                              ;   in Loop: Header=BB49_3 Depth=1
	v_pk_add_f32 v[40:41], v[38:39], 0 neg_lo:[1,1] neg_hi:[1,1]
	ds_store_b64 v52, v[40:41]
; %bb.858:                              ;   in Loop: Header=BB49_3 Depth=1
	s_or_b32 exec_lo, exec_lo, s8
	s_wait_dscnt 0x0
	s_barrier_signal -1
	s_barrier_wait -1
	s_and_saveexec_b32 s8, s58
	s_cbranch_execz .LBB49_860
; %bb.859:                              ;   in Loop: Header=BB49_3 Depth=1
	ds_load_b64 v[40:41], v53 offset:2560
	ds_load_b64 v[42:43], v52
	s_wait_dscnt 0x0
	v_dual_mul_f32 v78, v43, v41 :: v_dual_mul_f32 v79, v42, v41
	s_delay_alu instid0(VALU_DEP_1) | instskip(NEXT) | instid1(VALU_DEP_1)
	v_dual_fma_f32 v78, v42, v40, -v78 :: v_dual_fmac_f32 v79, v43, v40
	v_pk_add_f32 v[38:39], v[38:39], v[78:79] neg_lo:[0,1] neg_hi:[0,1]
.LBB49_860:                             ;   in Loop: Header=BB49_3 Depth=1
	s_or_b32 exec_lo, exec_lo, s8
	s_barrier_signal -1
	s_barrier_wait -1
	s_and_saveexec_b32 s8, s59
; %bb.861:                              ;   in Loop: Header=BB49_3 Depth=1
	v_pk_add_f32 v[40:41], v[38:39], 0 neg_lo:[1,1] neg_hi:[1,1]
	ds_store_b64 v52, v[40:41]
; %bb.862:                              ;   in Loop: Header=BB49_3 Depth=1
	s_or_b32 exec_lo, exec_lo, s8
	s_wait_dscnt 0x0
	s_barrier_signal -1
	s_barrier_wait -1
	s_and_saveexec_b32 s8, s60
	s_cbranch_execz .LBB49_864
; %bb.863:                              ;   in Loop: Header=BB49_3 Depth=1
	ds_load_b64 v[40:41], v53 offset:2048
	ds_load_b64 v[42:43], v52
	s_wait_dscnt 0x0
	v_pk_mul_f32 v[78:79], v[42:43], v[40:41] op_sel:[1,1] op_sel_hi:[0,1]
	s_delay_alu instid0(VALU_DEP_1) | instskip(SKIP_1) | instid1(VALU_DEP_2)
	v_pk_fma_f32 v[80:81], v[42:43], v[40:41], v[78:79] op_sel_hi:[1,0,1]
	v_pk_fma_f32 v[40:41], v[42:43], v[40:41], v[78:79] neg_lo:[0,0,1] neg_hi:[0,0,1]
	v_mov_b32_e32 v41, v81
	s_delay_alu instid0(VALU_DEP_1)
	v_pk_add_f32 v[38:39], v[38:39], v[40:41] neg_lo:[0,1] neg_hi:[0,1]
.LBB49_864:                             ;   in Loop: Header=BB49_3 Depth=1
	s_or_b32 exec_lo, exec_lo, s8
	s_barrier_signal -1
	s_barrier_wait -1
	s_and_saveexec_b32 s8, s61
; %bb.865:                              ;   in Loop: Header=BB49_3 Depth=1
	v_pk_add_f32 v[40:41], v[38:39], 0 neg_lo:[1,1] neg_hi:[1,1]
	ds_store_b64 v52, v[40:41]
; %bb.866:                              ;   in Loop: Header=BB49_3 Depth=1
	s_or_b32 exec_lo, exec_lo, s8
	s_wait_dscnt 0x0
	s_barrier_signal -1
	s_barrier_wait -1
	s_and_saveexec_b32 s8, s62
	s_cbranch_execz .LBB49_868
; %bb.867:                              ;   in Loop: Header=BB49_3 Depth=1
	ds_load_b64 v[40:41], v53 offset:1536
	ds_load_b64 v[42:43], v52
	s_wait_dscnt 0x0
	v_pk_mul_f32 v[78:79], v[42:43], v[40:41] op_sel:[1,1] op_sel_hi:[0,1]
	s_delay_alu instid0(VALU_DEP_1) | instskip(SKIP_1) | instid1(VALU_DEP_2)
	v_pk_fma_f32 v[80:81], v[42:43], v[40:41], v[78:79] op_sel_hi:[1,0,1]
	v_pk_fma_f32 v[40:41], v[42:43], v[40:41], v[78:79] neg_lo:[0,0,1] neg_hi:[0,0,1]
	v_mov_b32_e32 v41, v81
	s_delay_alu instid0(VALU_DEP_1)
	v_pk_add_f32 v[38:39], v[38:39], v[40:41] neg_lo:[0,1] neg_hi:[0,1]
.LBB49_868:                             ;   in Loop: Header=BB49_3 Depth=1
	;; [unrolled: 26-line block ×4, first 2 shown]
	s_or_b32 exec_lo, exec_lo, s8
	s_barrier_signal -1
	s_barrier_wait -1
	s_and_saveexec_b32 s8, s66
; %bb.877:                              ;   in Loop: Header=BB49_3 Depth=1
	v_pk_add_f32 v[40:41], v[38:39], 0 neg_lo:[1,1] neg_hi:[1,1]
	ds_store_b64 v52, v[40:41]
; %bb.878:                              ;   in Loop: Header=BB49_3 Depth=1
	s_or_b32 exec_lo, exec_lo, s8
	s_wait_dscnt 0x0
	s_barrier_signal -1
	s_barrier_wait -1
	s_barrier_signal -1
	s_barrier_wait -1
	s_and_saveexec_b32 s8, s5
; %bb.879:                              ;   in Loop: Header=BB49_3 Depth=1
	ds_store_b64 v55, v[38:39] offset:7680
; %bb.880:                              ;   in Loop: Header=BB49_3 Depth=1
	s_or_b32 exec_lo, exec_lo, s8
	s_wait_dscnt 0x0
	s_barrier_signal -1
	s_barrier_wait -1
	s_barrier_signal -1
	s_barrier_wait -1
	s_and_saveexec_b32 s8, s12
; %bb.881:                              ;   in Loop: Header=BB49_3 Depth=1
	v_add_nc_u32_e64 v38, 0x800, 0
	ds_store_2addr_b64 v38, v[34:35], v[34:35] offset0:134 offset1:199
; %bb.882:                              ;   in Loop: Header=BB49_3 Depth=1
	s_or_b32 exec_lo, exec_lo, s8
	v_dual_mov_b32 v38, 0 :: v_dual_mov_b32 v39, 0
	s_wait_dscnt 0x0
	s_barrier_signal -1
	s_barrier_wait -1
	global_wb scope:SCOPE_DEV
	s_wait_storecnt 0x0
	global_inv scope:SCOPE_DEV
	s_and_saveexec_b32 s11, s3
	s_cbranch_execz .LBB49_886
; %bb.883:                              ;   in Loop: Header=BB49_3 Depth=1
	ds_load_b64 v[38:39], v44 offset:3104
	ds_load_b64 v[40:41], v45 offset:3632
	s_wait_dscnt 0x0
	v_pk_mul_f32 v[42:43], v[40:41], v[38:39] op_sel:[1,1] op_sel_hi:[0,1]
	s_delay_alu instid0(VALU_DEP_1) | instskip(SKIP_1) | instid1(VALU_DEP_2)
	v_pk_fma_f32 v[78:79], v[40:41], v[38:39], v[42:43] op_sel_hi:[1,0,1]
	v_pk_fma_f32 v[38:39], v[40:41], v[38:39], v[42:43] neg_lo:[0,0,1] neg_hi:[0,0,1]
	v_mov_b32_e32 v39, v79
	s_delay_alu instid0(VALU_DEP_1)
	v_pk_add_f32 v[38:39], v[38:39], 0 op_sel_hi:[1,0]
	s_and_saveexec_b32 s8, s13
	s_cbranch_execz .LBB49_885
; %bb.884:                              ;   in Loop: Header=BB49_3 Depth=1
	ds_load_b64 v[40:41], v46 offset:3616
	ds_load_b64 v[42:43], v7 offset:3640
	s_wait_dscnt 0x0
	v_pk_mul_f32 v[78:79], v[42:43], v[40:41] op_sel:[1,1] op_sel_hi:[0,1]
	s_delay_alu instid0(VALU_DEP_1) | instskip(SKIP_1) | instid1(VALU_DEP_2)
	v_pk_fma_f32 v[80:81], v[42:43], v[40:41], v[78:79] op_sel_hi:[1,0,1]
	v_pk_fma_f32 v[40:41], v[42:43], v[40:41], v[78:79] neg_lo:[0,0,1] neg_hi:[0,0,1]
	v_mov_b32_e32 v41, v81
	s_delay_alu instid0(VALU_DEP_1)
	v_pk_add_f32 v[38:39], v[38:39], v[40:41]
.LBB49_885:                             ;   in Loop: Header=BB49_3 Depth=1
	s_or_b32 exec_lo, exec_lo, s8
.LBB49_886:                             ;   in Loop: Header=BB49_3 Depth=1
	s_delay_alu instid0(SALU_CYCLE_1)
	s_or_b32 exec_lo, exec_lo, s11
	s_and_saveexec_b32 s8, s45
; %bb.887:                              ;   in Loop: Header=BB49_3 Depth=1
	s_delay_alu instid0(VALU_DEP_1)
	v_pk_add_f32 v[40:41], v[38:39], 0 neg_lo:[1,1] neg_hi:[1,1]
	ds_store_b64 v5, v[40:41]
; %bb.888:                              ;   in Loop: Header=BB49_3 Depth=1
	s_or_b32 exec_lo, exec_lo, s8
	s_wait_loadcnt_dscnt 0x0
	s_barrier_signal -1
	s_barrier_wait -1
	s_and_saveexec_b32 s8, s46
	s_cbranch_execz .LBB49_890
; %bb.889:                              ;   in Loop: Header=BB49_3 Depth=1
	ds_load_b64 v[40:41], v7 offset:2592
	ds_load_b64 v[42:43], v5
	s_wait_dscnt 0x0
	v_pk_mul_f32 v[78:79], v[42:43], v[40:41] op_sel_hi:[1,0]
	s_delay_alu instid0(VALU_DEP_1) | instskip(SKIP_1) | instid1(VALU_DEP_2)
	v_pk_fma_f32 v[80:81], v[42:43], v[40:41], v[78:79] op_sel:[1,1,0] op_sel_hi:[0,1,1]
	v_pk_fma_f32 v[40:41], v[42:43], v[40:41], v[78:79] op_sel:[1,1,0] op_sel_hi:[0,1,1] neg_lo:[0,0,1] neg_hi:[0,0,1]
	v_pk_add_f32 v[42:43], v[38:39], v[80:81] neg_lo:[0,1] neg_hi:[0,1]
	s_delay_alu instid0(VALU_DEP_2) | instskip(NEXT) | instid1(VALU_DEP_2)
	v_pk_add_f32 v[38:39], v[38:39], v[40:41]
	v_mov_b32_e32 v39, v43
.LBB49_890:                             ;   in Loop: Header=BB49_3 Depth=1
	s_or_b32 exec_lo, exec_lo, s8
	s_barrier_signal -1
	s_barrier_wait -1
	s_and_saveexec_b32 s8, s46
; %bb.891:                              ;   in Loop: Header=BB49_3 Depth=1
	v_pk_add_f32 v[40:41], v[38:39], 0 neg_lo:[1,1] neg_hi:[1,1]
	ds_store_b64 v5, v[40:41]
; %bb.892:                              ;   in Loop: Header=BB49_3 Depth=1
	s_or_b32 exec_lo, exec_lo, s8
	s_wait_dscnt 0x0
	s_barrier_signal -1
	s_barrier_wait -1
	s_barrier_signal -1
	s_barrier_wait -1
	s_and_saveexec_b32 s8, s3
; %bb.893:                              ;   in Loop: Header=BB49_3 Depth=1
	ds_store_b64 v47, v[38:39] offset:3616
; %bb.894:                              ;   in Loop: Header=BB49_3 Depth=1
	s_or_b32 exec_lo, exec_lo, s8
	s_wait_dscnt 0x0
	s_barrier_signal -1
	s_barrier_wait -1
	s_barrier_signal -1
	s_barrier_wait -1
	s_and_saveexec_b32 s8, s12
; %bb.895:                              ;   in Loop: Header=BB49_3 Depth=1
	v_add_nc_u32_e64 v38, 0x800, 0
	ds_store_2addr_b64 v38, v[34:35], v[34:35] offset0:4 offset1:69
; %bb.896:                              ;   in Loop: Header=BB49_3 Depth=1
	s_or_b32 exec_lo, exec_lo, s8
	v_mov_b64_e32 v[38:39], 0
	s_wait_dscnt 0x0
	s_barrier_signal -1
	s_barrier_wait -1
	global_wb scope:SCOPE_DEV
	s_wait_storecnt 0x0
	global_inv scope:SCOPE_DEV
	s_and_saveexec_b32 s96, s4
	s_cbranch_execz .LBB49_902
; %bb.897:                              ;   in Loop: Header=BB49_3 Depth=1
	ds_load_b64 v[38:39], v49 offset:2048
	ds_load_b64 v[40:41], v50 offset:3616
	s_wait_dscnt 0x0
	v_dual_mul_f32 v42, v41, v39 :: v_dual_mul_f32 v39, v40, v39
	s_delay_alu instid0(VALU_DEP_1) | instskip(NEXT) | instid1(VALU_DEP_1)
	v_dual_fma_f32 v40, v40, v38, -v42 :: v_dual_fmac_f32 v39, v41, v38
	v_dual_add_f32 v38, 0, v40 :: v_dual_add_f32 v39, 0, v39
	s_and_saveexec_b32 s8, s14
	s_cbranch_execnz .LBB49_1048
; %bb.898:                              ;   in Loop: Header=BB49_3 Depth=1
	s_or_b32 exec_lo, exec_lo, s8
	s_and_saveexec_b32 s8, s15
	s_cbranch_execnz .LBB49_1049
.LBB49_899:                             ;   in Loop: Header=BB49_3 Depth=1
	s_or_b32 exec_lo, exec_lo, s8
	s_and_saveexec_b32 s8, s3
	s_cbranch_execz .LBB49_901
.LBB49_900:                             ;   in Loop: Header=BB49_3 Depth=1
	ds_load_b64 v[40:41], v46 offset:3584
	ds_load_b64 v[42:43], v7 offset:3640
	s_wait_dscnt 0x0
	v_pk_mul_f32 v[78:79], v[42:43], v[40:41] op_sel:[1,1] op_sel_hi:[0,1]
	s_delay_alu instid0(VALU_DEP_1) | instskip(SKIP_1) | instid1(VALU_DEP_2)
	v_pk_fma_f32 v[80:81], v[42:43], v[40:41], v[78:79] op_sel_hi:[1,0,1]
	v_pk_fma_f32 v[40:41], v[42:43], v[40:41], v[78:79] neg_lo:[0,0,1] neg_hi:[0,0,1]
	v_mov_b32_e32 v41, v81
	s_delay_alu instid0(VALU_DEP_1)
	v_pk_add_f32 v[38:39], v[38:39], v[40:41]
.LBB49_901:                             ;   in Loop: Header=BB49_3 Depth=1
	s_or_b32 exec_lo, exec_lo, s8
.LBB49_902:                             ;   in Loop: Header=BB49_3 Depth=1
	s_delay_alu instid0(SALU_CYCLE_1)
	s_or_b32 exec_lo, exec_lo, s96
	s_and_saveexec_b32 s8, s47
; %bb.903:                              ;   in Loop: Header=BB49_3 Depth=1
	s_delay_alu instid0(VALU_DEP_1)
	v_pk_add_f32 v[40:41], v[38:39], 0 neg_lo:[1,1] neg_hi:[1,1]
	ds_store_b64 v48, v[40:41]
; %bb.904:                              ;   in Loop: Header=BB49_3 Depth=1
	s_or_b32 exec_lo, exec_lo, s8
	s_wait_loadcnt_dscnt 0x0
	s_barrier_signal -1
	s_barrier_wait -1
	s_and_saveexec_b32 s8, s48
	s_cbranch_execz .LBB49_906
; %bb.905:                              ;   in Loop: Header=BB49_3 Depth=1
	ds_load_b64 v[40:41], v49 offset:1536
	ds_load_b64 v[42:43], v48
	s_wait_dscnt 0x0
	v_pk_mul_f32 v[78:79], v[42:43], v[40:41] op_sel:[1,1] op_sel_hi:[0,1]
	s_delay_alu instid0(VALU_DEP_1) | instskip(SKIP_1) | instid1(VALU_DEP_2)
	v_pk_fma_f32 v[80:81], v[42:43], v[40:41], v[78:79] op_sel_hi:[1,0,1]
	v_pk_fma_f32 v[40:41], v[42:43], v[40:41], v[78:79] neg_lo:[0,0,1] neg_hi:[0,0,1]
	v_mov_b32_e32 v41, v81
	s_delay_alu instid0(VALU_DEP_1)
	v_pk_add_f32 v[38:39], v[38:39], v[40:41] neg_lo:[0,1] neg_hi:[0,1]
.LBB49_906:                             ;   in Loop: Header=BB49_3 Depth=1
	s_or_b32 exec_lo, exec_lo, s8
	s_barrier_signal -1
	s_barrier_wait -1
	s_and_saveexec_b32 s8, s49
; %bb.907:                              ;   in Loop: Header=BB49_3 Depth=1
	v_pk_add_f32 v[40:41], v[38:39], 0 neg_lo:[1,1] neg_hi:[1,1]
	ds_store_b64 v48, v[40:41]
; %bb.908:                              ;   in Loop: Header=BB49_3 Depth=1
	s_or_b32 exec_lo, exec_lo, s8
	s_wait_dscnt 0x0
	s_barrier_signal -1
	s_barrier_wait -1
	s_and_saveexec_b32 s8, s50
	s_cbranch_execz .LBB49_910
; %bb.909:                              ;   in Loop: Header=BB49_3 Depth=1
	ds_load_b64 v[40:41], v49 offset:1024
	ds_load_b64 v[42:43], v48
	s_wait_dscnt 0x0
	v_pk_mul_f32 v[78:79], v[42:43], v[40:41] op_sel:[1,1] op_sel_hi:[0,1]
	s_delay_alu instid0(VALU_DEP_1) | instskip(SKIP_1) | instid1(VALU_DEP_2)
	v_pk_fma_f32 v[80:81], v[42:43], v[40:41], v[78:79] op_sel_hi:[1,0,1]
	v_pk_fma_f32 v[40:41], v[42:43], v[40:41], v[78:79] neg_lo:[0,0,1] neg_hi:[0,0,1]
	v_mov_b32_e32 v41, v81
	s_delay_alu instid0(VALU_DEP_1)
	v_pk_add_f32 v[38:39], v[38:39], v[40:41] neg_lo:[0,1] neg_hi:[0,1]
.LBB49_910:                             ;   in Loop: Header=BB49_3 Depth=1
	s_or_b32 exec_lo, exec_lo, s8
	s_barrier_signal -1
	s_barrier_wait -1
	s_and_saveexec_b32 s8, s51
; %bb.911:                              ;   in Loop: Header=BB49_3 Depth=1
	v_pk_add_f32 v[40:41], v[38:39], 0 neg_lo:[1,1] neg_hi:[1,1]
	ds_store_b64 v48, v[40:41]
; %bb.912:                              ;   in Loop: Header=BB49_3 Depth=1
	s_or_b32 exec_lo, exec_lo, s8
	s_wait_dscnt 0x0
	;; [unrolled: 26-line block ×3, first 2 shown]
	s_barrier_signal -1
	s_barrier_wait -1
	s_barrier_signal -1
	s_barrier_wait -1
	s_and_saveexec_b32 s8, s4
; %bb.917:                              ;   in Loop: Header=BB49_3 Depth=1
	ds_store_b64 v51, v[38:39] offset:3584
; %bb.918:                              ;   in Loop: Header=BB49_3 Depth=1
	s_or_b32 exec_lo, exec_lo, s8
	s_wait_dscnt 0x0
	s_barrier_signal -1
	s_barrier_wait -1
	s_barrier_signal -1
	s_barrier_wait -1
	s_and_saveexec_b32 s8, s12
; %bb.919:                              ;   in Loop: Header=BB49_3 Depth=1
	ds_store_2addr_b64 v7, v[34:35], v[34:35] offset0:130 offset1:195
; %bb.920:                              ;   in Loop: Header=BB49_3 Depth=1
	s_or_b32 exec_lo, exec_lo, s8
	v_dual_mov_b32 v38, 0 :: v_dual_mov_b32 v39, 0
	s_wait_dscnt 0x0
	s_barrier_signal -1
	s_barrier_wait -1
	global_wb scope:SCOPE_DEV
	s_wait_storecnt 0x0
	global_inv scope:SCOPE_DEV
	s_and_saveexec_b32 s11, s3
	s_cbranch_execz .LBB49_924
; %bb.921:                              ;   in Loop: Header=BB49_3 Depth=1
	ds_load_b64 v[38:39], v44 offset:1024
	ds_load_b64 v[40:41], v45 offset:1552
	s_wait_dscnt 0x0
	v_pk_mul_f32 v[42:43], v[40:41], v[38:39] op_sel:[1,1] op_sel_hi:[0,1]
	s_delay_alu instid0(VALU_DEP_1) | instskip(SKIP_1) | instid1(VALU_DEP_2)
	v_pk_fma_f32 v[78:79], v[40:41], v[38:39], v[42:43] op_sel_hi:[1,0,1]
	v_pk_fma_f32 v[38:39], v[40:41], v[38:39], v[42:43] neg_lo:[0,0,1] neg_hi:[0,0,1]
	v_mov_b32_e32 v39, v79
	s_delay_alu instid0(VALU_DEP_1)
	v_pk_add_f32 v[38:39], v[38:39], 0 op_sel_hi:[1,0]
	s_and_saveexec_b32 s8, s13
	s_cbranch_execz .LBB49_923
; %bb.922:                              ;   in Loop: Header=BB49_3 Depth=1
	ds_load_b64 v[40:41], v46 offset:1536
	ds_load_b64 v[42:43], v7 offset:1560
	s_wait_dscnt 0x0
	v_pk_mul_f32 v[78:79], v[42:43], v[40:41] op_sel:[1,1] op_sel_hi:[0,1]
	s_delay_alu instid0(VALU_DEP_1) | instskip(SKIP_1) | instid1(VALU_DEP_2)
	v_pk_fma_f32 v[80:81], v[42:43], v[40:41], v[78:79] op_sel_hi:[1,0,1]
	v_pk_fma_f32 v[40:41], v[42:43], v[40:41], v[78:79] neg_lo:[0,0,1] neg_hi:[0,0,1]
	v_mov_b32_e32 v41, v81
	s_delay_alu instid0(VALU_DEP_1)
	v_pk_add_f32 v[38:39], v[38:39], v[40:41]
.LBB49_923:                             ;   in Loop: Header=BB49_3 Depth=1
	s_or_b32 exec_lo, exec_lo, s8
.LBB49_924:                             ;   in Loop: Header=BB49_3 Depth=1
	s_delay_alu instid0(SALU_CYCLE_1)
	s_or_b32 exec_lo, exec_lo, s11
	s_and_saveexec_b32 s8, s45
; %bb.925:                              ;   in Loop: Header=BB49_3 Depth=1
	s_delay_alu instid0(VALU_DEP_1)
	v_pk_add_f32 v[40:41], v[38:39], 0 neg_lo:[1,1] neg_hi:[1,1]
	ds_store_b64 v5, v[40:41]
; %bb.926:                              ;   in Loop: Header=BB49_3 Depth=1
	s_or_b32 exec_lo, exec_lo, s8
	s_wait_loadcnt_dscnt 0x0
	s_barrier_signal -1
	s_barrier_wait -1
	s_and_saveexec_b32 s8, s46
	s_cbranch_execz .LBB49_928
; %bb.927:                              ;   in Loop: Header=BB49_3 Depth=1
	ds_load_b64 v[40:41], v7 offset:512
	ds_load_b64 v[42:43], v5
	s_wait_dscnt 0x0
	v_pk_mul_f32 v[78:79], v[42:43], v[40:41] op_sel_hi:[1,0]
	s_delay_alu instid0(VALU_DEP_1) | instskip(SKIP_1) | instid1(VALU_DEP_2)
	v_pk_fma_f32 v[80:81], v[42:43], v[40:41], v[78:79] op_sel:[1,1,0] op_sel_hi:[0,1,1]
	v_pk_fma_f32 v[40:41], v[42:43], v[40:41], v[78:79] op_sel:[1,1,0] op_sel_hi:[0,1,1] neg_lo:[0,0,1] neg_hi:[0,0,1]
	v_pk_add_f32 v[42:43], v[38:39], v[80:81] neg_lo:[0,1] neg_hi:[0,1]
	s_delay_alu instid0(VALU_DEP_2) | instskip(NEXT) | instid1(VALU_DEP_2)
	v_pk_add_f32 v[38:39], v[38:39], v[40:41]
	v_mov_b32_e32 v39, v43
.LBB49_928:                             ;   in Loop: Header=BB49_3 Depth=1
	s_or_b32 exec_lo, exec_lo, s8
	s_barrier_signal -1
	s_barrier_wait -1
	s_and_saveexec_b32 s8, s46
; %bb.929:                              ;   in Loop: Header=BB49_3 Depth=1
	v_pk_add_f32 v[40:41], v[38:39], 0 neg_lo:[1,1] neg_hi:[1,1]
	ds_store_b64 v5, v[40:41]
; %bb.930:                              ;   in Loop: Header=BB49_3 Depth=1
	s_or_b32 exec_lo, exec_lo, s8
	s_wait_dscnt 0x0
	s_barrier_signal -1
	s_barrier_wait -1
	s_barrier_signal -1
	s_barrier_wait -1
	s_and_saveexec_b32 s8, s3
; %bb.931:                              ;   in Loop: Header=BB49_3 Depth=1
	ds_store_b64 v47, v[38:39] offset:1536
; %bb.932:                              ;   in Loop: Header=BB49_3 Depth=1
	s_or_b32 exec_lo, exec_lo, s8
	s_wait_dscnt 0x0
	s_barrier_signal -1
	s_barrier_wait -1
	s_barrier_signal -1
	s_barrier_wait -1
	s_and_saveexec_b32 s8, s12
; %bb.933:                              ;   in Loop: Header=BB49_3 Depth=1
	ds_store_2addr_b64 v7, v[34:35], v[34:35] offset1:65
; %bb.934:                              ;   in Loop: Header=BB49_3 Depth=1
	s_or_b32 exec_lo, exec_lo, s8
.LBB49_935:                             ;   in Loop: Header=BB49_3 Depth=1
	v_readlane_b32 s8, v88, 3
	v_mov_b64_e32 v[38:39], 0
	v_readlane_b32 s9, v88, 4
	s_wait_kmcnt 0x0
	s_mul_u64 s[96:97], s[80:81], s[84:85]
	s_wait_dscnt 0x0
	s_lshl_b64 s[96:97], s[96:97], 3
	s_barrier_signal -1
	s_add_nc_u64 s[96:97], s[8:9], s[96:97]
	s_barrier_wait -1
	s_and_saveexec_b32 s8, s29
	s_cbranch_execz .LBB49_937
; %bb.936:                              ;   in Loop: Header=BB49_3 Depth=1
	v_lshl_add_u64 v[38:39], v[0:1], 3, s[96:97]
	global_load_b64 v[38:39], v[38:39], off
	s_wait_loadcnt 0x0
	v_pk_mul_f32 v[40:41], v[36:37], v[38:39] op_sel:[1,0] neg_lo:[1,0]
	s_delay_alu instid0(VALU_DEP_1)
	v_pk_fma_f32 v[38:39], v[36:37], v[38:39], v[40:41] op_sel:[0,0,1] op_sel_hi:[0,1,0] neg_lo:[1,0,0] neg_hi:[1,0,0]
.LBB49_937:                             ;   in Loop: Header=BB49_3 Depth=1
	s_or_b32 exec_lo, exec_lo, s8
	s_delay_alu instid0(SALU_CYCLE_1)
	s_and_not1_b32 vcc_lo, exec_lo, s31
	s_cbranch_vccnz .LBB49_956
; %bb.938:                              ;   in Loop: Header=BB49_3 Depth=1
	v_lshl_add_u64 v[36:37], v[8:9], 3, s[0:1]
	v_mov_b32_e32 v78, -1
	s_lshl_b64 s[98:99], s[84:85], 2
	s_mov_b32 s1, 0
	s_add_nc_u64 s[98:99], s[82:83], s[98:99]
	s_branch .LBB49_940
.LBB49_939:                             ;   in Loop: Header=BB49_940 Depth=2
	s_or_b32 exec_lo, exec_lo, s0
	s_add_co_i32 s1, s1, 1
	s_delay_alu instid0(SALU_CYCLE_1)
	s_cmp_eq_u32 s1, s101
	s_cbranch_scc1 .LBB49_956
.LBB49_940:                             ;   Parent Loop BB49_3 Depth=1
                                        ; =>  This Loop Header: Depth=2
                                        ;       Child Loop BB49_942 Depth 3
	v_cmp_gt_i32_e32 vcc_lo, s1, v78
	s_and_b32 s8, s34, vcc_lo
	s_delay_alu instid0(SALU_CYCLE_1)
	s_and_saveexec_b32 s0, s8
	s_cbranch_execz .LBB49_943
; %bb.941:                              ;   in Loop: Header=BB49_940 Depth=2
	global_load_b32 v78, v7, s[98:99]
	s_wait_loadcnt 0x0
	v_cmp_le_i32_e32 vcc_lo, s1, v78
	s_cbranch_vccnz .LBB49_943
.LBB49_942:                             ;   Parent Loop BB49_3 Depth=1
                                        ;     Parent Loop BB49_940 Depth=2
                                        ; =>    This Inner Loop Header: Depth=3
	global_wb scope:SCOPE_DEV
	s_wait_storecnt 0x0
	global_inv scope:SCOPE_DEV
	global_load_b32 v78, v7, s[98:99]
	s_wait_loadcnt 0x0
	v_cmp_gt_i32_e32 vcc_lo, s1, v78
	s_cbranch_vccnz .LBB49_942
.LBB49_943:                             ;   in Loop: Header=BB49_940 Depth=2
	s_or_b32 exec_lo, exec_lo, s0
	s_sub_co_i32 s11, s102, s1
	global_wb scope:SCOPE_DEV
	s_wait_storecnt 0x0
	global_inv scope:SCOPE_DEV
	s_lshl_b32 s0, s11, 6
	s_wait_loadcnt 0x0
	s_barrier_signal -1
	s_barrier_wait -1
	s_and_saveexec_b32 s8, s35
	s_cbranch_execz .LBB49_948
; %bb.944:                              ;   in Loop: Header=BB49_940 Depth=2
	s_ashr_i32 vcc_lo, s0, 31
	s_delay_alu instid0(SALU_CYCLE_1) | instskip(NEXT) | instid1(VALU_DEP_1)
	v_dual_mov_b32 v41, vcc_lo :: v_dual_bitop2_b32 v40, s0, v6 bitop3:0x54
	v_cmp_le_i64_e32 vcc_lo, s[86:87], v[40:41]
	s_and_saveexec_b32 s9, vcc_lo
	s_delay_alu instid0(SALU_CYCLE_1)
	s_xor_b32 vcc_lo, exec_lo, s9
; %bb.945:                              ;   in Loop: Header=BB49_940 Depth=2
	ds_store_b64 v65, v[32:33]
                                        ; implicit-def: $vgpr40_vgpr41
; %bb.946:                              ;   in Loop: Header=BB49_940 Depth=2
	s_and_not1_saveexec_b32 s9, vcc_lo
	s_cbranch_execz .LBB49_948
; %bb.947:                              ;   in Loop: Header=BB49_940 Depth=2
	v_mul_u64_e32 v[40:41], s[78:79], v[40:41]
	s_delay_alu instid0(VALU_DEP_1)
	v_lshl_add_u64 v[40:41], v[40:41], 3, s[96:97]
	global_load_b64 v[40:41], v[40:41], off
	s_wait_loadcnt 0x0
	ds_store_b64 v65, v[40:41]
.LBB49_948:                             ;   in Loop: Header=BB49_940 Depth=2
	s_or_b32 exec_lo, exec_lo, s8
	v_add_nc_u32_e32 v40, s0, v2
	s_cmp_eq_u32 s11, s36
	s_wait_dscnt 0x0
	s_cselect_b32 vcc_lo, -1, 0
	s_barrier_signal -1
	v_ashrrev_i32_e32 v41, 31, v40
	v_cmp_gt_i32_e64 s0, s86, v40
	s_barrier_wait -1
	s_delay_alu instid0(VALU_DEP_2) | instskip(SKIP_1) | instid1(VALU_DEP_1)
	v_mul_u64_e32 v[42:43], s[68:69], v[40:41]
	s_and_b32 s8, s2, s0
	v_lshl_add_u64 v[42:43], v[42:43], 3, v[36:37]
	s_and_saveexec_b32 s0, s8
	s_cbranch_execz .LBB49_950
; %bb.949:                              ;   in Loop: Header=BB49_940 Depth=2
	s_delay_alu instid0(VALU_DEP_1) | instskip(SKIP_4) | instid1(VALU_DEP_1)
	v_dual_cndmask_b32 v81, v43, v23 :: v_dual_cndmask_b32 v80, v42, v22
	ds_load_b64 v[82:83], v66
	flat_load_b64 v[80:81], v[80:81]
	s_wait_loadcnt_dscnt 0x0
	v_dual_mul_f32 v41, v83, v81 :: v_dual_mul_f32 v79, v82, v81
	v_dual_fma_f32 v41, v82, v80, -v41 :: v_dual_fmac_f32 v79, v83, v80
	s_delay_alu instid0(VALU_DEP_1)
	v_dual_add_f32 v38, v38, v41 :: v_dual_add_f32 v39, v39, v79
.LBB49_950:                             ;   in Loop: Header=BB49_940 Depth=2
	s_or_b32 exec_lo, exec_lo, s0
	v_add_nc_u32_e32 v41, 16, v40
	s_delay_alu instid0(VALU_DEP_1) | instskip(SKIP_1) | instid1(SALU_CYCLE_1)
	v_cmp_gt_i32_e64 s0, s86, v41
	s_and_b32 s8, s2, s0
	s_and_saveexec_b32 s0, s8
	s_cbranch_execz .LBB49_952
; %bb.951:                              ;   in Loop: Header=BB49_940 Depth=2
	v_add_nc_u64_e32 v[80:81], s[90:91], v[42:43]
	ds_load_b64 v[82:83], v66 offset:128
	v_dual_cndmask_b32 v81, v81, v25 :: v_dual_cndmask_b32 v80, v80, v24
	flat_load_b64 v[80:81], v[80:81]
	s_wait_loadcnt_dscnt 0x0
	v_dual_mul_f32 v41, v83, v81 :: v_dual_mul_f32 v79, v82, v81
	s_delay_alu instid0(VALU_DEP_1) | instskip(NEXT) | instid1(VALU_DEP_1)
	v_dual_fma_f32 v41, v82, v80, -v41 :: v_dual_fmac_f32 v79, v83, v80
	v_dual_add_f32 v38, v38, v41 :: v_dual_add_f32 v39, v39, v79
.LBB49_952:                             ;   in Loop: Header=BB49_940 Depth=2
	s_or_b32 exec_lo, exec_lo, s0
	v_add_nc_u32_e32 v41, 32, v40
	s_delay_alu instid0(VALU_DEP_1) | instskip(SKIP_1) | instid1(SALU_CYCLE_1)
	v_cmp_gt_i32_e64 s0, s86, v41
	s_and_b32 s8, s2, s0
	s_and_saveexec_b32 s0, s8
	s_cbranch_execz .LBB49_954
; %bb.953:                              ;   in Loop: Header=BB49_940 Depth=2
	v_add_nc_u64_e32 v[80:81], s[92:93], v[42:43]
	ds_load_b64 v[82:83], v66 offset:256
	v_dual_cndmask_b32 v81, v81, v27 :: v_dual_cndmask_b32 v80, v80, v26
	flat_load_b64 v[80:81], v[80:81]
	s_wait_loadcnt_dscnt 0x0
	v_dual_mul_f32 v41, v83, v81 :: v_dual_mul_f32 v85, v82, v81
	s_delay_alu instid0(VALU_DEP_1) | instskip(NEXT) | instid1(VALU_DEP_2)
	v_fma_f32 v84, v82, v80, -v41
	v_fmac_f32_e32 v85, v83, v80
	s_delay_alu instid0(VALU_DEP_1)
	v_pk_add_f32 v[38:39], v[38:39], v[84:85]
.LBB49_954:                             ;   in Loop: Header=BB49_940 Depth=2
	s_or_b32 exec_lo, exec_lo, s0
	v_add_nc_u32_e32 v40, 48, v40
	s_delay_alu instid0(VALU_DEP_1) | instskip(SKIP_1) | instid1(SALU_CYCLE_1)
	v_cmp_gt_i32_e64 s0, s86, v40
	s_and_b32 s8, s2, s0
	s_and_saveexec_b32 s0, s8
	s_cbranch_execz .LBB49_939
; %bb.955:                              ;   in Loop: Header=BB49_940 Depth=2
	v_add_nc_u64_e32 v[40:41], s[94:95], v[42:43]
	ds_load_b64 v[42:43], v66 offset:384
	v_dual_cndmask_b32 v41, v41, v29 :: v_dual_cndmask_b32 v40, v40, v28
	flat_load_b64 v[40:41], v[40:41]
	s_wait_loadcnt_dscnt 0x0
	v_pk_mul_f32 v[80:81], v[42:43], v[40:41] op_sel:[1,1] op_sel_hi:[0,1]
	s_delay_alu instid0(VALU_DEP_1) | instskip(SKIP_1) | instid1(VALU_DEP_2)
	v_pk_fma_f32 v[82:83], v[42:43], v[40:41], v[80:81] op_sel_hi:[1,0,1]
	v_pk_fma_f32 v[40:41], v[42:43], v[40:41], v[80:81] neg_lo:[0,0,1] neg_hi:[0,0,1]
	v_mov_b32_e32 v41, v83
	s_delay_alu instid0(VALU_DEP_1)
	v_pk_add_f32 v[38:39], v[38:39], v[40:41]
	s_branch .LBB49_939
.LBB49_956:                             ;   in Loop: Header=BB49_3 Depth=1
	ds_store_b64 v67, v[38:39]
	s_wait_dscnt 0x0
	s_barrier_signal -1
	s_barrier_wait -1
	s_and_saveexec_b32 s0, s7
	s_cbranch_execz .LBB49_958
; %bb.957:                              ;   in Loop: Header=BB49_3 Depth=1
	ds_load_2addr_stride64_b64 v[40:43], v68 offset0:1 offset1:2
	ds_load_2addr_stride64_b64 v[78:81], v68 offset0:3 offset1:4
	;; [unrolled: 1-line block ×3, first 2 shown]
	s_wait_dscnt 0x2
	v_pk_add_f32 v[36:37], v[38:39], v[40:41]
	s_delay_alu instid0(VALU_DEP_1) | instskip(SKIP_3) | instid1(VALU_DEP_1)
	v_pk_add_f32 v[40:41], v[36:37], v[42:43]
	ds_load_2addr_stride64_b64 v[36:39], v68 offset0:7 offset1:8
	s_wait_dscnt 0x2
	v_pk_add_f32 v[40:41], v[40:41], v[78:79]
	v_pk_add_f32 v[78:79], v[40:41], v[80:81]
	ds_load_2addr_stride64_b64 v[40:43], v68 offset0:9 offset1:10
	s_wait_dscnt 0x2
	v_pk_add_f32 v[78:79], v[78:79], v[82:83]
	s_delay_alu instid0(VALU_DEP_1) | instskip(SKIP_3) | instid1(VALU_DEP_1)
	v_pk_add_f32 v[82:83], v[78:79], v[84:85]
	ds_load_2addr_stride64_b64 v[78:81], v68 offset0:11 offset1:12
	s_wait_dscnt 0x2
	v_pk_add_f32 v[36:37], v[82:83], v[36:37]
	v_pk_add_f32 v[82:83], v[36:37], v[38:39]
	ds_load_2addr_stride64_b64 v[36:39], v68 offset0:13 offset1:14
	s_wait_dscnt 0x2
	v_pk_add_f32 v[40:41], v[82:83], v[40:41]
	s_delay_alu instid0(VALU_DEP_1) | instskip(SKIP_3) | instid1(VALU_DEP_1)
	v_pk_add_f32 v[40:41], v[40:41], v[42:43]
	ds_load_b64 v[42:43], v68 offset:7680
	s_wait_dscnt 0x2
	v_pk_add_f32 v[40:41], v[40:41], v[78:79]
	v_pk_add_f32 v[40:41], v[40:41], v[80:81]
	s_wait_dscnt 0x1
	s_delay_alu instid0(VALU_DEP_1) | instskip(NEXT) | instid1(VALU_DEP_1)
	v_pk_add_f32 v[36:37], v[40:41], v[36:37]
	v_pk_add_f32 v[36:37], v[36:37], v[38:39]
	s_wait_dscnt 0x0
	s_delay_alu instid0(VALU_DEP_1) | instskip(NEXT) | instid1(VALU_DEP_1)
	v_pk_add_f32 v[36:37], v[36:37], v[42:43]
	v_cndmask_b32_e64 v39, -v37, 0, s27
	s_delay_alu instid0(VALU_DEP_2)
	v_cndmask_b32_e64 v38, -v36, 0, s27
.LBB49_958:                             ;   in Loop: Header=BB49_3 Depth=1
	s_or_b32 exec_lo, exec_lo, s0
	s_delay_alu instid0(SALU_CYCLE_1)
	s_and_not1_b32 vcc_lo, exec_lo, vcc_hi
	s_cbranch_vccnz .LBB49_971
; %bb.959:                              ;   in Loop: Header=BB49_3 Depth=1
	s_and_saveexec_b32 s0, s7
; %bb.960:                              ;   in Loop: Header=BB49_3 Depth=1
	ds_store_b64 v70, v[38:39]
; %bb.961:                              ;   in Loop: Header=BB49_3 Depth=1
	s_or_b32 exec_lo, exec_lo, s0
	v_mov_b64_e32 v[36:37], 0
	s_wait_dscnt 0x0
	s_barrier_signal -1
	s_barrier_wait -1
	s_mov_b32 s0, exec_lo
	v_readlane_b32 s1, v87, 5
	s_and_b32 s1, s0, s1
	s_delay_alu instid0(SALU_CYCLE_1)
	s_mov_b32 exec_lo, s1
	s_cbranch_execz .LBB49_963
; %bb.962:                              ;   in Loop: Header=BB49_3 Depth=1
	ds_load_b64 v[36:37], v69
	ds_load_b64 v[40:41], v66
	s_wait_dscnt 0x0
	v_dual_mul_f32 v42, v41, v37 :: v_dual_mul_f32 v37, v40, v37
	s_delay_alu instid0(VALU_DEP_1) | instskip(NEXT) | instid1(VALU_DEP_1)
	v_dual_fma_f32 v40, v40, v36, -v42 :: v_dual_fmac_f32 v37, v41, v36
	v_dual_add_f32 v36, 0, v40 :: v_dual_add_f32 v37, 0, v37
.LBB49_963:                             ;   in Loop: Header=BB49_3 Depth=1
	s_or_b32 exec_lo, exec_lo, s0
	s_delay_alu instid0(SALU_CYCLE_1) | instskip(SKIP_2) | instid1(SALU_CYCLE_1)
	s_mov_b32 s0, exec_lo
	v_readlane_b32 s1, v87, 6
	s_and_b32 s1, s0, s1
	s_mov_b32 exec_lo, s1
	s_cbranch_execz .LBB49_965
; %bb.964:                              ;   in Loop: Header=BB49_3 Depth=1
	ds_load_b64 v[40:41], v69 offset:8192
	ds_load_b64 v[42:43], v66 offset:128
	s_wait_dscnt 0x0
	v_dual_mul_f32 v78, v43, v41 :: v_dual_mul_f32 v79, v42, v41
	s_delay_alu instid0(VALU_DEP_1) | instskip(NEXT) | instid1(VALU_DEP_1)
	v_dual_fma_f32 v78, v42, v40, -v78 :: v_dual_fmac_f32 v79, v43, v40
	v_pk_add_f32 v[36:37], v[36:37], v[78:79]
.LBB49_965:                             ;   in Loop: Header=BB49_3 Depth=1
	s_or_b32 exec_lo, exec_lo, s0
	s_delay_alu instid0(SALU_CYCLE_1) | instskip(SKIP_2) | instid1(SALU_CYCLE_1)
	s_mov_b32 s0, exec_lo
	v_readlane_b32 s1, v87, 7
	s_and_b32 s1, s0, s1
	s_mov_b32 exec_lo, s1
	s_cbranch_execz .LBB49_967
; %bb.966:                              ;   in Loop: Header=BB49_3 Depth=1
	ds_load_b64 v[40:41], v69 offset:16384
	ds_load_b64 v[42:43], v66 offset:256
	s_wait_dscnt 0x0
	v_pk_mul_f32 v[78:79], v[42:43], v[40:41] op_sel:[1,1] op_sel_hi:[0,1]
	s_delay_alu instid0(VALU_DEP_1) | instskip(SKIP_1) | instid1(VALU_DEP_2)
	v_pk_fma_f32 v[80:81], v[42:43], v[40:41], v[78:79] op_sel_hi:[1,0,1]
	v_pk_fma_f32 v[40:41], v[42:43], v[40:41], v[78:79] neg_lo:[0,0,1] neg_hi:[0,0,1]
	v_mov_b32_e32 v41, v81
	s_delay_alu instid0(VALU_DEP_1)
	v_pk_add_f32 v[36:37], v[36:37], v[40:41]
.LBB49_967:                             ;   in Loop: Header=BB49_3 Depth=1
	s_or_b32 exec_lo, exec_lo, s0
	s_delay_alu instid0(SALU_CYCLE_1) | instskip(SKIP_2) | instid1(SALU_CYCLE_1)
	s_mov_b32 s0, exec_lo
	v_readlane_b32 s1, v87, 8
	s_and_b32 s1, s0, s1
	s_mov_b32 exec_lo, s1
	s_cbranch_execz .LBB49_969
; %bb.968:                              ;   in Loop: Header=BB49_3 Depth=1
	ds_load_b64 v[40:41], v69 offset:24576
	ds_load_b64 v[42:43], v66 offset:384
	s_wait_dscnt 0x0
	v_pk_mul_f32 v[78:79], v[42:43], v[40:41] op_sel:[1,1] op_sel_hi:[0,1]
	s_delay_alu instid0(VALU_DEP_1) | instskip(SKIP_1) | instid1(VALU_DEP_2)
	v_pk_fma_f32 v[80:81], v[42:43], v[40:41], v[78:79] op_sel_hi:[1,0,1]
	v_pk_fma_f32 v[40:41], v[42:43], v[40:41], v[78:79] neg_lo:[0,0,1] neg_hi:[0,0,1]
	v_mov_b32_e32 v41, v81
	s_delay_alu instid0(VALU_DEP_1)
	v_pk_add_f32 v[36:37], v[36:37], v[40:41]
.LBB49_969:                             ;   in Loop: Header=BB49_3 Depth=1
	s_or_b32 exec_lo, exec_lo, s0
	s_mov_b32 s1, 0
	s_mov_b32 s0, 0
	ds_store_b64 v67, v[36:37]
	s_wait_dscnt 0x0
	s_barrier_signal -1
	s_barrier_wait -1
                                        ; implicit-def: $vgpr40_vgpr41
	s_and_saveexec_b32 s11, s7
	s_cbranch_execz .LBB49_996
; %bb.970:                              ;   in Loop: Header=BB49_3 Depth=1
	ds_load_2addr_stride64_b64 v[40:43], v68 offset0:1 offset1:2
	ds_load_2addr_stride64_b64 v[78:81], v68 offset0:3 offset1:4
	;; [unrolled: 1-line block ×3, first 2 shown]
	s_mov_b32 s0, exec_lo
	s_wait_dscnt 0x2
	v_pk_add_f32 v[36:37], v[36:37], v[40:41]
	s_delay_alu instid0(VALU_DEP_1) | instskip(SKIP_3) | instid1(VALU_DEP_1)
	v_pk_add_f32 v[36:37], v[36:37], v[42:43]
	ds_load_2addr_stride64_b64 v[40:43], v68 offset0:7 offset1:8
	s_wait_dscnt 0x2
	v_pk_add_f32 v[36:37], v[36:37], v[78:79]
	v_pk_add_f32 v[36:37], v[36:37], v[80:81]
	ds_load_2addr_stride64_b64 v[78:81], v68 offset0:9 offset1:10
	s_wait_dscnt 0x2
	v_pk_add_f32 v[36:37], v[36:37], v[82:83]
	s_delay_alu instid0(VALU_DEP_1) | instskip(SKIP_3) | instid1(VALU_DEP_1)
	v_pk_add_f32 v[36:37], v[36:37], v[84:85]
	ds_load_2addr_stride64_b64 v[82:85], v68 offset0:11 offset1:12
	s_wait_dscnt 0x2
	v_pk_add_f32 v[36:37], v[36:37], v[40:41]
	v_pk_add_f32 v[36:37], v[36:37], v[42:43]
	ds_load_2addr_stride64_b64 v[40:43], v68 offset0:13 offset1:14
	s_wait_dscnt 0x2
	v_pk_add_f32 v[36:37], v[36:37], v[78:79]
	ds_load_b64 v[78:79], v68 offset:7680
	v_pk_add_f32 v[36:37], v[36:37], v[80:81]
	s_wait_dscnt 0x2
	s_delay_alu instid0(VALU_DEP_1) | instskip(NEXT) | instid1(VALU_DEP_1)
	v_pk_add_f32 v[36:37], v[36:37], v[82:83]
	v_pk_add_f32 v[36:37], v[36:37], v[84:85]
	s_wait_dscnt 0x1
	s_delay_alu instid0(VALU_DEP_1) | instskip(NEXT) | instid1(VALU_DEP_1)
	v_pk_add_f32 v[36:37], v[36:37], v[40:41]
	v_pk_add_f32 v[36:37], v[36:37], v[42:43]
	s_wait_dscnt 0x0
	s_delay_alu instid0(VALU_DEP_1) | instskip(SKIP_1) | instid1(SALU_CYCLE_1)
	v_pk_add_f32 v[40:41], v[36:37], v[78:79]
	s_or_b32 exec_lo, exec_lo, s11
	s_and_b32 vcc_lo, exec_lo, s1
	s_cbranch_vccnz .LBB49_972
	s_branch .LBB49_997
.LBB49_971:                             ;   in Loop: Header=BB49_3 Depth=1
	s_mov_b32 s0, 0
                                        ; implicit-def: $vgpr40_vgpr41
	s_cbranch_execz .LBB49_997
.LBB49_972:                             ;   in Loop: Header=BB49_3 Depth=1
	v_dual_mov_b32 v36, v76 :: v_dual_mov_b32 v37, v75
	s_mov_b32 s1, 63
	s_branch .LBB49_974
.LBB49_973:                             ;   in Loop: Header=BB49_974 Depth=2
	s_or_b32 exec_lo, exec_lo, s8
	v_add_nc_u32_e32 v37, 0xfffff800, v37
	v_add_nc_u32_e32 v36, 4, v36
	s_add_co_i32 s1, s1, -4
	s_cmp_lg_u32 s11, 0
	s_barrier_signal -1
	s_barrier_wait -1
	s_cbranch_scc0 .LBB49_990
.LBB49_974:                             ;   Parent Loop BB49_3 Depth=1
                                        ; =>  This Inner Loop Header: Depth=2
	s_delay_alu instid0(VALU_DEP_1) | instskip(SKIP_1) | instid1(SALU_CYCLE_1)
	v_cmp_eq_u32_e32 vcc_lo, 0, v36
	s_and_b32 s9, s7, vcc_lo
	s_and_saveexec_b32 s8, s9
; %bb.975:                              ;   in Loop: Header=BB49_974 Depth=2
	ds_store_b64 v7, v[38:39] offset:41472
; %bb.976:                              ;   in Loop: Header=BB49_974 Depth=2
	s_or_b32 exec_lo, exec_lo, s8
	v_cmp_gt_u32_e32 vcc_lo, s1, v4
	s_wait_dscnt 0x0
	s_barrier_signal -1
	s_barrier_wait -1
	s_and_b32 s9, s7, vcc_lo
	s_delay_alu instid0(SALU_CYCLE_1)
	s_and_saveexec_b32 s8, s9
	s_cbranch_execz .LBB49_978
; %bb.977:                              ;   in Loop: Header=BB49_974 Depth=2
	ds_load_b64 v[40:41], v37 offset:1536
	ds_load_b64 v[42:43], v7 offset:41472
	s_wait_dscnt 0x0
	v_pk_mul_f32 v[78:79], v[42:43], v[40:41] op_sel:[1,1] op_sel_hi:[0,1]
	s_delay_alu instid0(VALU_DEP_1) | instskip(SKIP_1) | instid1(VALU_DEP_2)
	v_pk_fma_f32 v[80:81], v[42:43], v[40:41], v[78:79] op_sel_hi:[1,0,1]
	v_pk_fma_f32 v[40:41], v[42:43], v[40:41], v[78:79] neg_lo:[0,0,1] neg_hi:[0,0,1]
	v_mov_b32_e32 v41, v81
	s_delay_alu instid0(VALU_DEP_1)
	v_pk_add_f32 v[38:39], v[38:39], v[40:41]
.LBB49_978:                             ;   in Loop: Header=BB49_974 Depth=2
	s_or_b32 exec_lo, exec_lo, s8
	s_add_co_i32 s8, s1, -1
	s_delay_alu instid0(SALU_CYCLE_1) | instskip(SKIP_3) | instid1(SALU_CYCLE_1)
	v_cmp_eq_u32_e32 vcc_lo, s8, v4
	s_barrier_signal -1
	s_barrier_wait -1
	s_and_b32 s9, s7, vcc_lo
	s_and_saveexec_b32 s11, s9
; %bb.979:                              ;   in Loop: Header=BB49_974 Depth=2
	ds_store_b64 v7, v[38:39] offset:41472
; %bb.980:                              ;   in Loop: Header=BB49_974 Depth=2
	s_or_b32 exec_lo, exec_lo, s11
	v_cmp_gt_u32_e32 vcc_lo, s8, v4
	s_wait_dscnt 0x0
	s_barrier_signal -1
	s_barrier_wait -1
	s_and_b32 s9, s7, vcc_lo
	s_delay_alu instid0(SALU_CYCLE_1)
	s_and_saveexec_b32 s8, s9
	s_cbranch_execz .LBB49_982
; %bb.981:                              ;   in Loop: Header=BB49_974 Depth=2
	ds_load_b64 v[40:41], v37 offset:1024
	ds_load_b64 v[42:43], v7 offset:41472
	s_wait_dscnt 0x0
	v_pk_mul_f32 v[78:79], v[42:43], v[40:41] op_sel:[1,1] op_sel_hi:[0,1]
	s_delay_alu instid0(VALU_DEP_1) | instskip(SKIP_1) | instid1(VALU_DEP_2)
	v_pk_fma_f32 v[80:81], v[42:43], v[40:41], v[78:79] op_sel_hi:[1,0,1]
	v_pk_fma_f32 v[40:41], v[42:43], v[40:41], v[78:79] neg_lo:[0,0,1] neg_hi:[0,0,1]
	v_mov_b32_e32 v41, v81
	s_delay_alu instid0(VALU_DEP_1)
	v_pk_add_f32 v[38:39], v[38:39], v[40:41]
.LBB49_982:                             ;   in Loop: Header=BB49_974 Depth=2
	s_or_b32 exec_lo, exec_lo, s8
	s_add_co_i32 s8, s1, -2
	s_delay_alu instid0(SALU_CYCLE_1) | instskip(SKIP_3) | instid1(SALU_CYCLE_1)
	v_cmp_eq_u32_e32 vcc_lo, s8, v4
	s_barrier_signal -1
	s_barrier_wait -1
	;; [unrolled: 32-line block ×3, first 2 shown]
	s_and_b32 s9, s7, vcc_lo
	s_and_saveexec_b32 s8, s9
; %bb.987:                              ;   in Loop: Header=BB49_974 Depth=2
	ds_store_b64 v7, v[38:39] offset:41472
; %bb.988:                              ;   in Loop: Header=BB49_974 Depth=2
	s_or_b32 exec_lo, exec_lo, s8
	v_cmp_gt_u32_e32 vcc_lo, s11, v4
	s_wait_dscnt 0x0
	s_barrier_signal -1
	s_barrier_wait -1
	s_and_b32 s9, s7, vcc_lo
	s_delay_alu instid0(SALU_CYCLE_1)
	s_and_saveexec_b32 s8, s9
	s_cbranch_execz .LBB49_973
; %bb.989:                              ;   in Loop: Header=BB49_974 Depth=2
	ds_load_b64 v[40:41], v37
	ds_load_b64 v[42:43], v7 offset:41472
	s_wait_dscnt 0x0
	v_pk_mul_f32 v[78:79], v[42:43], v[40:41] op_sel:[1,1] op_sel_hi:[0,1]
	s_delay_alu instid0(VALU_DEP_1) | instskip(SKIP_1) | instid1(VALU_DEP_2)
	v_pk_fma_f32 v[80:81], v[42:43], v[40:41], v[78:79] op_sel_hi:[1,0,1]
	v_pk_fma_f32 v[40:41], v[42:43], v[40:41], v[78:79] neg_lo:[0,0,1] neg_hi:[0,0,1]
	v_mov_b32_e32 v41, v81
	s_delay_alu instid0(VALU_DEP_1)
	v_pk_add_f32 v[38:39], v[38:39], v[40:41]
	s_branch .LBB49_973
.LBB49_990:                             ;   in Loop: Header=BB49_3 Depth=1
	s_and_b32 vcc_lo, exec_lo, s103
	s_mov_b32 s1, -1
	s_cbranch_vccnz .LBB49_998
; %bb.991:                              ;   in Loop: Header=BB49_3 Depth=1
	s_and_not1_b32 vcc_lo, exec_lo, s1
	s_cbranch_vccz .LBB49_999
.LBB49_992:                             ;   in Loop: Header=BB49_3 Depth=1
	s_and_saveexec_b32 s1, s0
	s_cbranch_execz .LBB49_994
.LBB49_993:                             ;   in Loop: Header=BB49_3 Depth=1
	v_lshl_add_u64 v[36:37], v[12:13], 3, s[96:97]
	global_store_b64 v[36:37], v[38:39], off
.LBB49_994:                             ;   in Loop: Header=BB49_3 Depth=1
	s_wait_xcnt 0x0
	s_or_b32 exec_lo, exec_lo, s1
	global_wb scope:SCOPE_DEV
	s_wait_storecnt 0x0
	global_inv scope:SCOPE_DEV
	s_wait_loadcnt 0x0
	s_barrier_signal -1
	s_barrier_wait -1
	s_and_saveexec_b32 s0, s34
	s_cbranch_execz .LBB49_2
; %bb.995:                              ;   in Loop: Header=BB49_3 Depth=1
	s_lshl_b64 s[96:97], s[84:85], 2
	s_delay_alu instid0(SALU_CYCLE_1)
	s_add_nc_u64 s[96:97], s[82:83], s[96:97]
	global_load_b32 v36, v7, s[96:97]
	s_wait_loadcnt 0x0
	v_add_nc_u32_e32 v36, 1, v36
	global_store_b32 v7, v36, s[96:97]
	s_branch .LBB49_2
.LBB49_996:                             ;   in Loop: Header=BB49_3 Depth=1
	s_or_b32 exec_lo, exec_lo, s11
	s_delay_alu instid0(SALU_CYCLE_1)
	s_and_b32 vcc_lo, exec_lo, s1
	s_cbranch_vccnz .LBB49_972
.LBB49_997:                             ;   in Loop: Header=BB49_3 Depth=1
	v_mov_b64_e32 v[38:39], v[40:41]
	s_and_saveexec_b32 s1, s0
	s_cbranch_execnz .LBB49_993
	s_branch .LBB49_994
.LBB49_998:                             ;   in Loop: Header=BB49_3 Depth=1
	s_and_not1_b32 s0, s0, exec_lo
	s_and_b32 s8, s7, exec_lo
	s_delay_alu instid0(SALU_CYCLE_1)
	s_or_b32 s0, s0, s8
	s_cbranch_execnz .LBB49_992
.LBB49_999:                             ;   in Loop: Header=BB49_3 Depth=1
	v_readlane_b32 s1, v88, 14
	s_and_not1_b32 s0, s0, exec_lo
	s_and_b32 s1, s1, exec_lo
	s_delay_alu instid0(SALU_CYCLE_1) | instskip(NEXT) | instid1(SALU_CYCLE_1)
	s_or_b32 s0, s0, s1
	s_and_saveexec_b32 s1, s0
	s_cbranch_execnz .LBB49_993
	s_branch .LBB49_994
.LBB49_1000:                            ;   in Loop: Header=BB49_3 Depth=1
	ds_load_b64 v[40:41], v49 offset:31680
	ds_load_b64 v[42:43], v50 offset:32744
	s_wait_dscnt 0x0
	v_dual_mul_f32 v78, v43, v41 :: v_dual_mul_f32 v41, v42, v41
	s_delay_alu instid0(VALU_DEP_1) | instskip(NEXT) | instid1(VALU_DEP_1)
	v_dual_fma_f32 v42, v42, v40, -v78 :: v_dual_fmac_f32 v41, v43, v40
	v_dual_add_f32 v38, v38, v42 :: v_dual_add_f32 v39, v39, v41
	s_or_b32 exec_lo, exec_lo, s8
	s_and_saveexec_b32 s8, s15
	s_cbranch_execz .LBB49_87
.LBB49_1001:                            ;   in Loop: Header=BB49_3 Depth=1
	ds_load_b64 v[40:41], v49 offset:32192
	ds_load_b64 v[42:43], v50 offset:32752
	s_wait_dscnt 0x0
	v_dual_mul_f32 v78, v43, v41 :: v_dual_mul_f32 v79, v42, v41
	s_delay_alu instid0(VALU_DEP_1) | instskip(NEXT) | instid1(VALU_DEP_1)
	v_dual_fma_f32 v78, v42, v40, -v78 :: v_dual_fmac_f32 v79, v43, v40
	v_pk_add_f32 v[38:39], v[38:39], v[78:79]
	s_or_b32 exec_lo, exec_lo, s8
	s_and_saveexec_b32 s8, s3
	s_cbranch_execnz .LBB49_88
	s_branch .LBB49_89
.LBB49_1002:                            ;   in Loop: Header=BB49_3 Depth=1
	ds_load_b64 v[40:41], v53 offset:29568
	ds_load_b64 v[42:43], v54 offset:32712
	s_wait_dscnt 0x0
	v_dual_mul_f32 v78, v43, v41 :: v_dual_mul_f32 v41, v42, v41
	s_delay_alu instid0(VALU_DEP_1) | instskip(NEXT) | instid1(VALU_DEP_1)
	v_dual_fma_f32 v42, v42, v40, -v78 :: v_dual_fmac_f32 v41, v43, v40
	v_dual_add_f32 v38, v38, v42 :: v_dual_add_f32 v39, v39, v41
	s_or_b32 exec_lo, exec_lo, s8
	s_and_saveexec_b32 s8, s17
	s_cbranch_execz .LBB49_125
.LBB49_1003:                            ;   in Loop: Header=BB49_3 Depth=1
	ds_load_b64 v[40:41], v53 offset:30080
	ds_load_b64 v[42:43], v54 offset:32720
	s_wait_dscnt 0x0
	v_dual_mul_f32 v78, v43, v41 :: v_dual_mul_f32 v41, v42, v41
	s_delay_alu instid0(VALU_DEP_1) | instskip(NEXT) | instid1(VALU_DEP_1)
	v_dual_fma_f32 v42, v42, v40, -v78 :: v_dual_fmac_f32 v41, v43, v40
	v_dual_add_f32 v38, v38, v42 :: v_dual_add_f32 v39, v39, v41
	s_or_b32 exec_lo, exec_lo, s8
	s_and_saveexec_b32 s8, s18
	s_cbranch_execz .LBB49_126
.LBB49_1004:                            ;   in Loop: Header=BB49_3 Depth=1
	ds_load_b64 v[40:41], v53 offset:30592
	ds_load_b64 v[42:43], v54 offset:32728
	s_wait_dscnt 0x0
	v_dual_mul_f32 v78, v43, v41 :: v_dual_mul_f32 v41, v42, v41
	s_delay_alu instid0(VALU_DEP_1) | instskip(NEXT) | instid1(VALU_DEP_1)
	v_dual_fma_f32 v42, v42, v40, -v78 :: v_dual_fmac_f32 v41, v43, v40
	v_dual_add_f32 v38, v38, v42 :: v_dual_add_f32 v39, v39, v41
	s_or_b32 exec_lo, exec_lo, s8
	s_and_saveexec_b32 s8, s19
	s_cbranch_execz .LBB49_127
.LBB49_1005:                            ;   in Loop: Header=BB49_3 Depth=1
	ds_load_b64 v[40:41], v53 offset:31104
	ds_load_b64 v[42:43], v54 offset:32736
	s_wait_dscnt 0x0
	v_dual_mul_f32 v78, v43, v41 :: v_dual_mul_f32 v79, v42, v41
	s_delay_alu instid0(VALU_DEP_1) | instskip(NEXT) | instid1(VALU_DEP_1)
	v_dual_fma_f32 v78, v42, v40, -v78 :: v_dual_fmac_f32 v79, v43, v40
	v_pk_add_f32 v[38:39], v[38:39], v[78:79]
	s_or_b32 exec_lo, exec_lo, s8
	s_and_saveexec_b32 s8, s20
	s_cbranch_execz .LBB49_128
.LBB49_1006:                            ;   in Loop: Header=BB49_3 Depth=1
	ds_load_b64 v[40:41], v53 offset:31616
	ds_load_b64 v[42:43], v54 offset:32744
	s_wait_dscnt 0x0
	v_pk_mul_f32 v[78:79], v[42:43], v[40:41] op_sel:[1,1] op_sel_hi:[0,1]
	s_delay_alu instid0(VALU_DEP_1) | instskip(SKIP_1) | instid1(VALU_DEP_2)
	v_pk_fma_f32 v[80:81], v[42:43], v[40:41], v[78:79] op_sel_hi:[1,0,1]
	v_pk_fma_f32 v[40:41], v[42:43], v[40:41], v[78:79] neg_lo:[0,0,1] neg_hi:[0,0,1]
	v_mov_b32_e32 v41, v81
	s_delay_alu instid0(VALU_DEP_1)
	v_pk_add_f32 v[38:39], v[38:39], v[40:41]
	s_or_b32 exec_lo, exec_lo, s8
	s_and_saveexec_b32 s8, s4
	s_cbranch_execz .LBB49_129
.LBB49_1007:                            ;   in Loop: Header=BB49_3 Depth=1
	ds_load_b64 v[40:41], v53 offset:32128
	ds_load_b64 v[42:43], v54 offset:32752
	s_wait_dscnt 0x0
	v_pk_mul_f32 v[78:79], v[42:43], v[40:41] op_sel:[1,1] op_sel_hi:[0,1]
	s_delay_alu instid0(VALU_DEP_1) | instskip(SKIP_1) | instid1(VALU_DEP_2)
	v_pk_fma_f32 v[80:81], v[42:43], v[40:41], v[78:79] op_sel_hi:[1,0,1]
	v_pk_fma_f32 v[40:41], v[42:43], v[40:41], v[78:79] neg_lo:[0,0,1] neg_hi:[0,0,1]
	v_mov_b32_e32 v41, v81
	s_delay_alu instid0(VALU_DEP_1)
	v_pk_add_f32 v[38:39], v[38:39], v[40:41]
	s_or_b32 exec_lo, exec_lo, s8
	s_and_saveexec_b32 s8, s15
	s_cbranch_execnz .LBB49_130
	s_branch .LBB49_131
.LBB49_1008:                            ;   in Loop: Header=BB49_3 Depth=1
	ds_load_b64 v[40:41], v49 offset:27520
	ds_load_b64 v[42:43], v50 offset:28584
	s_wait_dscnt 0x0
	v_dual_mul_f32 v78, v43, v41 :: v_dual_mul_f32 v41, v42, v41
	s_delay_alu instid0(VALU_DEP_1) | instskip(NEXT) | instid1(VALU_DEP_1)
	v_dual_fma_f32 v42, v42, v40, -v78 :: v_dual_fmac_f32 v41, v43, v40
	v_dual_add_f32 v38, v38, v42 :: v_dual_add_f32 v39, v39, v41
	s_or_b32 exec_lo, exec_lo, s8
	s_and_saveexec_b32 s8, s15
	s_cbranch_execz .LBB49_183
.LBB49_1009:                            ;   in Loop: Header=BB49_3 Depth=1
	ds_load_b64 v[40:41], v49 offset:28032
	ds_load_b64 v[42:43], v50 offset:28592
	s_wait_dscnt 0x0
	v_dual_mul_f32 v78, v43, v41 :: v_dual_mul_f32 v79, v42, v41
	s_delay_alu instid0(VALU_DEP_1) | instskip(NEXT) | instid1(VALU_DEP_1)
	v_dual_fma_f32 v78, v42, v40, -v78 :: v_dual_fmac_f32 v79, v43, v40
	v_pk_add_f32 v[38:39], v[38:39], v[78:79]
	s_or_b32 exec_lo, exec_lo, s8
	s_and_saveexec_b32 s8, s3
	s_cbranch_execnz .LBB49_184
	s_branch .LBB49_185
.LBB49_1010:                            ;   in Loop: Header=BB49_3 Depth=1
	ds_load_b64 v[40:41], v57 offset:30464
	ds_load_b64 v[42:43], v58 offset:32728
	s_wait_dscnt 0x0
	v_dual_mul_f32 v78, v43, v41 :: v_dual_mul_f32 v41, v42, v41
	s_delay_alu instid0(VALU_DEP_1) | instskip(NEXT) | instid1(VALU_DEP_1)
	v_dual_fma_f32 v42, v42, v40, -v78 :: v_dual_fmac_f32 v41, v43, v40
	v_dual_add_f32 v38, v38, v42 :: v_dual_add_f32 v39, v39, v41
	s_or_b32 exec_lo, exec_lo, s8
	s_and_saveexec_b32 s8, s5
	s_cbranch_execz .LBB49_241
.LBB49_1011:                            ;   in Loop: Header=BB49_3 Depth=1
	ds_load_b64 v[40:41], v57 offset:30976
	ds_load_b64 v[42:43], v58 offset:32736
	s_wait_dscnt 0x0
	v_dual_mul_f32 v78, v43, v41 :: v_dual_mul_f32 v41, v42, v41
	s_delay_alu instid0(VALU_DEP_1) | instskip(NEXT) | instid1(VALU_DEP_1)
	v_dual_fma_f32 v42, v42, v40, -v78 :: v_dual_fmac_f32 v41, v43, v40
	v_dual_add_f32 v38, v38, v42 :: v_dual_add_f32 v39, v39, v41
	s_or_b32 exec_lo, exec_lo, s8
	s_and_saveexec_b32 s8, s17
	s_cbranch_execz .LBB49_242
.LBB49_1012:                            ;   in Loop: Header=BB49_3 Depth=1
	ds_load_b64 v[40:41], v57 offset:31488
	ds_load_b64 v[42:43], v58 offset:32744
	s_wait_dscnt 0x0
	v_dual_mul_f32 v78, v43, v41 :: v_dual_mul_f32 v41, v42, v41
	s_delay_alu instid0(VALU_DEP_1) | instskip(NEXT) | instid1(VALU_DEP_1)
	v_dual_fma_f32 v42, v42, v40, -v78 :: v_dual_fmac_f32 v41, v43, v40
	v_dual_add_f32 v38, v38, v42 :: v_dual_add_f32 v39, v39, v41
	s_or_b32 exec_lo, exec_lo, s8
	s_and_saveexec_b32 s8, s19
	s_cbranch_execz .LBB49_243
.LBB49_1013:                            ;   in Loop: Header=BB49_3 Depth=1
	ds_load_b64 v[40:41], v57 offset:32000
	ds_load_b64 v[42:43], v58 offset:32752
	s_wait_dscnt 0x0
	v_dual_mul_f32 v78, v43, v41 :: v_dual_mul_f32 v79, v42, v41
	s_delay_alu instid0(VALU_DEP_1) | instskip(NEXT) | instid1(VALU_DEP_1)
	v_dual_fma_f32 v78, v42, v40, -v78 :: v_dual_fmac_f32 v79, v43, v40
	v_pk_add_f32 v[38:39], v[38:39], v[78:79]
	s_or_b32 exec_lo, exec_lo, s8
	s_and_saveexec_b32 s8, s4
	s_cbranch_execnz .LBB49_244
	s_branch .LBB49_245
.LBB49_1014:                            ;   in Loop: Header=BB49_3 Depth=1
	ds_load_b64 v[40:41], v49 offset:23360
	ds_load_b64 v[42:43], v50 offset:24424
	s_wait_dscnt 0x0
	v_dual_mul_f32 v78, v43, v41 :: v_dual_mul_f32 v41, v42, v41
	s_delay_alu instid0(VALU_DEP_1) | instskip(NEXT) | instid1(VALU_DEP_1)
	v_dual_fma_f32 v42, v42, v40, -v78 :: v_dual_fmac_f32 v41, v43, v40
	v_dual_add_f32 v38, v38, v42 :: v_dual_add_f32 v39, v39, v41
	s_or_b32 exec_lo, exec_lo, s8
	s_and_saveexec_b32 s8, s15
	s_cbranch_execz .LBB49_329
.LBB49_1015:                            ;   in Loop: Header=BB49_3 Depth=1
	ds_load_b64 v[40:41], v49 offset:23872
	ds_load_b64 v[42:43], v50 offset:24432
	s_wait_dscnt 0x0
	v_dual_mul_f32 v78, v43, v41 :: v_dual_mul_f32 v79, v42, v41
	s_delay_alu instid0(VALU_DEP_1) | instskip(NEXT) | instid1(VALU_DEP_1)
	v_dual_fma_f32 v78, v42, v40, -v78 :: v_dual_fmac_f32 v79, v43, v40
	v_pk_add_f32 v[38:39], v[38:39], v[78:79]
	s_or_b32 exec_lo, exec_lo, s8
	s_and_saveexec_b32 s8, s3
	s_cbranch_execnz .LBB49_330
	s_branch .LBB49_331
.LBB49_1016:                            ;   in Loop: Header=BB49_3 Depth=1
	ds_load_b64 v[40:41], v53 offset:21248
	ds_load_b64 v[42:43], v54 offset:24392
	s_wait_dscnt 0x0
	v_dual_mul_f32 v78, v43, v41 :: v_dual_mul_f32 v41, v42, v41
	s_delay_alu instid0(VALU_DEP_1) | instskip(NEXT) | instid1(VALU_DEP_1)
	v_dual_fma_f32 v42, v42, v40, -v78 :: v_dual_fmac_f32 v41, v43, v40
	v_dual_add_f32 v38, v38, v42 :: v_dual_add_f32 v39, v39, v41
	s_or_b32 exec_lo, exec_lo, s8
	s_and_saveexec_b32 s8, s17
	s_cbranch_execz .LBB49_367
.LBB49_1017:                            ;   in Loop: Header=BB49_3 Depth=1
	ds_load_b64 v[40:41], v53 offset:21760
	ds_load_b64 v[42:43], v54 offset:24400
	s_wait_dscnt 0x0
	v_dual_mul_f32 v78, v43, v41 :: v_dual_mul_f32 v41, v42, v41
	s_delay_alu instid0(VALU_DEP_1) | instskip(NEXT) | instid1(VALU_DEP_1)
	v_dual_fma_f32 v42, v42, v40, -v78 :: v_dual_fmac_f32 v41, v43, v40
	v_dual_add_f32 v38, v38, v42 :: v_dual_add_f32 v39, v39, v41
	s_or_b32 exec_lo, exec_lo, s8
	s_and_saveexec_b32 s8, s18
	s_cbranch_execz .LBB49_368
.LBB49_1018:                            ;   in Loop: Header=BB49_3 Depth=1
	ds_load_b64 v[40:41], v53 offset:22272
	ds_load_b64 v[42:43], v54 offset:24408
	s_wait_dscnt 0x0
	v_dual_mul_f32 v78, v43, v41 :: v_dual_mul_f32 v41, v42, v41
	s_delay_alu instid0(VALU_DEP_1) | instskip(NEXT) | instid1(VALU_DEP_1)
	v_dual_fma_f32 v42, v42, v40, -v78 :: v_dual_fmac_f32 v41, v43, v40
	v_dual_add_f32 v38, v38, v42 :: v_dual_add_f32 v39, v39, v41
	s_or_b32 exec_lo, exec_lo, s8
	s_and_saveexec_b32 s8, s19
	s_cbranch_execz .LBB49_369
.LBB49_1019:                            ;   in Loop: Header=BB49_3 Depth=1
	ds_load_b64 v[40:41], v53 offset:22784
	ds_load_b64 v[42:43], v54 offset:24416
	s_wait_dscnt 0x0
	v_dual_mul_f32 v78, v43, v41 :: v_dual_mul_f32 v79, v42, v41
	s_delay_alu instid0(VALU_DEP_1) | instskip(NEXT) | instid1(VALU_DEP_1)
	v_dual_fma_f32 v78, v42, v40, -v78 :: v_dual_fmac_f32 v79, v43, v40
	v_pk_add_f32 v[38:39], v[38:39], v[78:79]
	s_or_b32 exec_lo, exec_lo, s8
	s_and_saveexec_b32 s8, s20
	s_cbranch_execz .LBB49_370
.LBB49_1020:                            ;   in Loop: Header=BB49_3 Depth=1
	ds_load_b64 v[40:41], v53 offset:23296
	ds_load_b64 v[42:43], v54 offset:24424
	s_wait_dscnt 0x0
	v_pk_mul_f32 v[78:79], v[42:43], v[40:41] op_sel:[1,1] op_sel_hi:[0,1]
	s_delay_alu instid0(VALU_DEP_1) | instskip(SKIP_1) | instid1(VALU_DEP_2)
	v_pk_fma_f32 v[80:81], v[42:43], v[40:41], v[78:79] op_sel_hi:[1,0,1]
	v_pk_fma_f32 v[40:41], v[42:43], v[40:41], v[78:79] neg_lo:[0,0,1] neg_hi:[0,0,1]
	v_mov_b32_e32 v41, v81
	s_delay_alu instid0(VALU_DEP_1)
	v_pk_add_f32 v[38:39], v[38:39], v[40:41]
	s_or_b32 exec_lo, exec_lo, s8
	s_and_saveexec_b32 s8, s4
	s_cbranch_execz .LBB49_371
.LBB49_1021:                            ;   in Loop: Header=BB49_3 Depth=1
	ds_load_b64 v[40:41], v53 offset:23808
	ds_load_b64 v[42:43], v54 offset:24432
	s_wait_dscnt 0x0
	v_pk_mul_f32 v[78:79], v[42:43], v[40:41] op_sel:[1,1] op_sel_hi:[0,1]
	s_delay_alu instid0(VALU_DEP_1) | instskip(SKIP_1) | instid1(VALU_DEP_2)
	v_pk_fma_f32 v[80:81], v[42:43], v[40:41], v[78:79] op_sel_hi:[1,0,1]
	v_pk_fma_f32 v[40:41], v[42:43], v[40:41], v[78:79] neg_lo:[0,0,1] neg_hi:[0,0,1]
	v_mov_b32_e32 v41, v81
	s_delay_alu instid0(VALU_DEP_1)
	v_pk_add_f32 v[38:39], v[38:39], v[40:41]
	s_or_b32 exec_lo, exec_lo, s8
	s_and_saveexec_b32 s8, s15
	s_cbranch_execnz .LBB49_372
	s_branch .LBB49_373
.LBB49_1022:                            ;   in Loop: Header=BB49_3 Depth=1
	ds_load_b64 v[40:41], v49 offset:19200
	ds_load_b64 v[42:43], v50 offset:20264
	s_wait_dscnt 0x0
	v_dual_mul_f32 v78, v43, v41 :: v_dual_mul_f32 v41, v42, v41
	s_delay_alu instid0(VALU_DEP_1) | instskip(NEXT) | instid1(VALU_DEP_1)
	v_dual_fma_f32 v42, v42, v40, -v78 :: v_dual_fmac_f32 v41, v43, v40
	v_dual_add_f32 v38, v38, v42 :: v_dual_add_f32 v39, v39, v41
	s_or_b32 exec_lo, exec_lo, s8
	s_and_saveexec_b32 s8, s15
	s_cbranch_execz .LBB49_425
.LBB49_1023:                            ;   in Loop: Header=BB49_3 Depth=1
	ds_load_b64 v[40:41], v49 offset:19712
	ds_load_b64 v[42:43], v50 offset:20272
	s_wait_dscnt 0x0
	v_dual_mul_f32 v78, v43, v41 :: v_dual_mul_f32 v79, v42, v41
	s_delay_alu instid0(VALU_DEP_1) | instskip(NEXT) | instid1(VALU_DEP_1)
	v_dual_fma_f32 v78, v42, v40, -v78 :: v_dual_fmac_f32 v79, v43, v40
	v_pk_add_f32 v[38:39], v[38:39], v[78:79]
	s_or_b32 exec_lo, exec_lo, s8
	s_and_saveexec_b32 s8, s3
	s_cbranch_execnz .LBB49_426
	s_branch .LBB49_427
.LBB49_1024:                            ;   in Loop: Header=BB49_3 Depth=1
	ds_load_b64 v[40:41], v62 offset:31232
	ds_load_b64 v[42:43], v63 offset:32744
	s_wait_dscnt 0x0
	v_pk_mul_f32 v[78:79], v[42:43], v[40:41] op_sel:[1,1] op_sel_hi:[0,1]
	s_delay_alu instid0(VALU_DEP_1) | instskip(SKIP_1) | instid1(VALU_DEP_2)
	v_pk_fma_f32 v[80:81], v[42:43], v[40:41], v[78:79] op_sel_hi:[1,0,1]
	v_pk_fma_f32 v[40:41], v[42:43], v[40:41], v[78:79] neg_lo:[0,0,1] neg_hi:[0,0,1]
	v_mov_b32_e32 v41, v81
	s_delay_alu instid0(VALU_DEP_1)
	v_pk_add_f32 v[38:39], v[38:39], v[40:41]
	s_or_b32 exec_lo, exec_lo, s8
	s_and_saveexec_b32 s8, s5
	s_cbranch_execz .LBB49_519
.LBB49_1025:                            ;   in Loop: Header=BB49_3 Depth=1
	ds_load_b64 v[40:41], v62 offset:31744
	ds_load_b64 v[42:43], v63 offset:32752
	s_wait_dscnt 0x0
	v_pk_mul_f32 v[78:79], v[42:43], v[40:41] op_sel:[1,1] op_sel_hi:[0,1]
	s_delay_alu instid0(VALU_DEP_1) | instskip(SKIP_1) | instid1(VALU_DEP_2)
	v_pk_fma_f32 v[80:81], v[42:43], v[40:41], v[78:79] op_sel_hi:[1,0,1]
	v_pk_fma_f32 v[40:41], v[42:43], v[40:41], v[78:79] neg_lo:[0,0,1] neg_hi:[0,0,1]
	v_mov_b32_e32 v41, v81
	s_delay_alu instid0(VALU_DEP_1) | instskip(SKIP_2) | instid1(SALU_CYCLE_1)
	v_pk_add_f32 v[38:39], v[38:39], v[40:41]
	s_or_b32 exec_lo, exec_lo, s8
	s_and_saveexec_b32 s8, s19
	s_xor_b32 s8, exec_lo, s8
	s_cbranch_execnz .LBB49_520
	s_branch .LBB49_521
.LBB49_1026:                            ;   in Loop: Header=BB49_3 Depth=1
	ds_load_b64 v[40:41], v49 offset:15040
	ds_load_b64 v[42:43], v50 offset:16104
	s_wait_dscnt 0x0
	v_dual_mul_f32 v78, v43, v41 :: v_dual_mul_f32 v41, v42, v41
	s_delay_alu instid0(VALU_DEP_1) | instskip(NEXT) | instid1(VALU_DEP_1)
	v_dual_fma_f32 v42, v42, v40, -v78 :: v_dual_fmac_f32 v41, v43, v40
	v_dual_add_f32 v38, v38, v42 :: v_dual_add_f32 v39, v39, v41
	s_or_b32 exec_lo, exec_lo, s8
	s_and_saveexec_b32 s8, s15
	s_cbranch_execz .LBB49_561
.LBB49_1027:                            ;   in Loop: Header=BB49_3 Depth=1
	ds_load_b64 v[40:41], v49 offset:15552
	ds_load_b64 v[42:43], v50 offset:16112
	s_wait_dscnt 0x0
	v_dual_mul_f32 v78, v43, v41 :: v_dual_mul_f32 v79, v42, v41
	s_delay_alu instid0(VALU_DEP_1) | instskip(NEXT) | instid1(VALU_DEP_1)
	v_dual_fma_f32 v78, v42, v40, -v78 :: v_dual_fmac_f32 v79, v43, v40
	v_pk_add_f32 v[38:39], v[38:39], v[78:79]
	s_or_b32 exec_lo, exec_lo, s8
	s_and_saveexec_b32 s8, s3
	s_cbranch_execnz .LBB49_562
	s_branch .LBB49_563
.LBB49_1028:                            ;   in Loop: Header=BB49_3 Depth=1
	ds_load_b64 v[40:41], v53 offset:12928
	ds_load_b64 v[42:43], v54 offset:16072
	s_wait_dscnt 0x0
	v_dual_mul_f32 v78, v43, v41 :: v_dual_mul_f32 v41, v42, v41
	s_delay_alu instid0(VALU_DEP_1) | instskip(NEXT) | instid1(VALU_DEP_1)
	v_dual_fma_f32 v42, v42, v40, -v78 :: v_dual_fmac_f32 v41, v43, v40
	v_dual_add_f32 v38, v38, v42 :: v_dual_add_f32 v39, v39, v41
	s_or_b32 exec_lo, exec_lo, s8
	s_and_saveexec_b32 s8, s17
	s_cbranch_execz .LBB49_599
.LBB49_1029:                            ;   in Loop: Header=BB49_3 Depth=1
	ds_load_b64 v[40:41], v53 offset:13440
	ds_load_b64 v[42:43], v54 offset:16080
	s_wait_dscnt 0x0
	v_dual_mul_f32 v78, v43, v41 :: v_dual_mul_f32 v41, v42, v41
	s_delay_alu instid0(VALU_DEP_1) | instskip(NEXT) | instid1(VALU_DEP_1)
	v_dual_fma_f32 v42, v42, v40, -v78 :: v_dual_fmac_f32 v41, v43, v40
	v_dual_add_f32 v38, v38, v42 :: v_dual_add_f32 v39, v39, v41
	s_or_b32 exec_lo, exec_lo, s8
	s_and_saveexec_b32 s8, s18
	s_cbranch_execz .LBB49_600
.LBB49_1030:                            ;   in Loop: Header=BB49_3 Depth=1
	ds_load_b64 v[40:41], v53 offset:13952
	ds_load_b64 v[42:43], v54 offset:16088
	s_wait_dscnt 0x0
	v_dual_mul_f32 v78, v43, v41 :: v_dual_mul_f32 v41, v42, v41
	s_delay_alu instid0(VALU_DEP_1) | instskip(NEXT) | instid1(VALU_DEP_1)
	v_dual_fma_f32 v42, v42, v40, -v78 :: v_dual_fmac_f32 v41, v43, v40
	v_dual_add_f32 v38, v38, v42 :: v_dual_add_f32 v39, v39, v41
	s_or_b32 exec_lo, exec_lo, s8
	s_and_saveexec_b32 s8, s19
	s_cbranch_execz .LBB49_601
.LBB49_1031:                            ;   in Loop: Header=BB49_3 Depth=1
	ds_load_b64 v[40:41], v53 offset:14464
	ds_load_b64 v[42:43], v54 offset:16096
	s_wait_dscnt 0x0
	v_dual_mul_f32 v78, v43, v41 :: v_dual_mul_f32 v79, v42, v41
	s_delay_alu instid0(VALU_DEP_1) | instskip(NEXT) | instid1(VALU_DEP_1)
	v_dual_fma_f32 v78, v42, v40, -v78 :: v_dual_fmac_f32 v79, v43, v40
	v_pk_add_f32 v[38:39], v[38:39], v[78:79]
	s_or_b32 exec_lo, exec_lo, s8
	s_and_saveexec_b32 s8, s20
	s_cbranch_execz .LBB49_602
.LBB49_1032:                            ;   in Loop: Header=BB49_3 Depth=1
	ds_load_b64 v[40:41], v53 offset:14976
	ds_load_b64 v[42:43], v54 offset:16104
	s_wait_dscnt 0x0
	v_pk_mul_f32 v[78:79], v[42:43], v[40:41] op_sel:[1,1] op_sel_hi:[0,1]
	s_delay_alu instid0(VALU_DEP_1) | instskip(SKIP_1) | instid1(VALU_DEP_2)
	v_pk_fma_f32 v[80:81], v[42:43], v[40:41], v[78:79] op_sel_hi:[1,0,1]
	v_pk_fma_f32 v[40:41], v[42:43], v[40:41], v[78:79] neg_lo:[0,0,1] neg_hi:[0,0,1]
	v_mov_b32_e32 v41, v81
	s_delay_alu instid0(VALU_DEP_1)
	v_pk_add_f32 v[38:39], v[38:39], v[40:41]
	s_or_b32 exec_lo, exec_lo, s8
	s_and_saveexec_b32 s8, s4
	s_cbranch_execz .LBB49_603
.LBB49_1033:                            ;   in Loop: Header=BB49_3 Depth=1
	ds_load_b64 v[40:41], v53 offset:15488
	ds_load_b64 v[42:43], v54 offset:16112
	s_wait_dscnt 0x0
	v_pk_mul_f32 v[78:79], v[42:43], v[40:41] op_sel:[1,1] op_sel_hi:[0,1]
	s_delay_alu instid0(VALU_DEP_1) | instskip(SKIP_1) | instid1(VALU_DEP_2)
	v_pk_fma_f32 v[80:81], v[42:43], v[40:41], v[78:79] op_sel_hi:[1,0,1]
	v_pk_fma_f32 v[40:41], v[42:43], v[40:41], v[78:79] neg_lo:[0,0,1] neg_hi:[0,0,1]
	v_mov_b32_e32 v41, v81
	s_delay_alu instid0(VALU_DEP_1)
	v_pk_add_f32 v[38:39], v[38:39], v[40:41]
	s_or_b32 exec_lo, exec_lo, s8
	s_and_saveexec_b32 s8, s15
	s_cbranch_execnz .LBB49_604
	s_branch .LBB49_605
.LBB49_1034:                            ;   in Loop: Header=BB49_3 Depth=1
	ds_load_b64 v[40:41], v49 offset:10880
	ds_load_b64 v[42:43], v50 offset:11944
	s_wait_dscnt 0x0
	v_dual_mul_f32 v78, v43, v41 :: v_dual_mul_f32 v41, v42, v41
	s_delay_alu instid0(VALU_DEP_1) | instskip(NEXT) | instid1(VALU_DEP_1)
	v_dual_fma_f32 v42, v42, v40, -v78 :: v_dual_fmac_f32 v41, v43, v40
	v_dual_add_f32 v38, v38, v42 :: v_dual_add_f32 v39, v39, v41
	s_or_b32 exec_lo, exec_lo, s8
	s_and_saveexec_b32 s8, s15
	s_cbranch_execz .LBB49_657
.LBB49_1035:                            ;   in Loop: Header=BB49_3 Depth=1
	ds_load_b64 v[40:41], v49 offset:11392
	ds_load_b64 v[42:43], v50 offset:11952
	s_wait_dscnt 0x0
	v_dual_mul_f32 v78, v43, v41 :: v_dual_mul_f32 v79, v42, v41
	s_delay_alu instid0(VALU_DEP_1) | instskip(NEXT) | instid1(VALU_DEP_1)
	v_dual_fma_f32 v78, v42, v40, -v78 :: v_dual_fmac_f32 v79, v43, v40
	v_pk_add_f32 v[38:39], v[38:39], v[78:79]
	s_or_b32 exec_lo, exec_lo, s8
	s_and_saveexec_b32 s8, s3
	s_cbranch_execnz .LBB49_658
	s_branch .LBB49_659
.LBB49_1036:                            ;   in Loop: Header=BB49_3 Depth=1
	ds_load_b64 v[40:41], v57 offset:13824
	ds_load_b64 v[42:43], v58 offset:16088
	s_wait_dscnt 0x0
	v_dual_mul_f32 v78, v43, v41 :: v_dual_mul_f32 v41, v42, v41
	s_delay_alu instid0(VALU_DEP_1) | instskip(NEXT) | instid1(VALU_DEP_1)
	v_dual_fma_f32 v42, v42, v40, -v78 :: v_dual_fmac_f32 v41, v43, v40
	v_dual_add_f32 v38, v38, v42 :: v_dual_add_f32 v39, v39, v41
	s_or_b32 exec_lo, exec_lo, s8
	s_and_saveexec_b32 s8, s5
	s_cbranch_execz .LBB49_715
.LBB49_1037:                            ;   in Loop: Header=BB49_3 Depth=1
	ds_load_b64 v[40:41], v57 offset:14336
	ds_load_b64 v[42:43], v58 offset:16096
	s_wait_dscnt 0x0
	v_dual_mul_f32 v78, v43, v41 :: v_dual_mul_f32 v41, v42, v41
	s_delay_alu instid0(VALU_DEP_1) | instskip(NEXT) | instid1(VALU_DEP_1)
	v_dual_fma_f32 v42, v42, v40, -v78 :: v_dual_fmac_f32 v41, v43, v40
	v_dual_add_f32 v38, v38, v42 :: v_dual_add_f32 v39, v39, v41
	s_or_b32 exec_lo, exec_lo, s8
	s_and_saveexec_b32 s8, s17
	s_cbranch_execz .LBB49_716
.LBB49_1038:                            ;   in Loop: Header=BB49_3 Depth=1
	ds_load_b64 v[40:41], v57 offset:14848
	ds_load_b64 v[42:43], v58 offset:16104
	s_wait_dscnt 0x0
	v_dual_mul_f32 v78, v43, v41 :: v_dual_mul_f32 v41, v42, v41
	s_delay_alu instid0(VALU_DEP_1) | instskip(NEXT) | instid1(VALU_DEP_1)
	v_dual_fma_f32 v42, v42, v40, -v78 :: v_dual_fmac_f32 v41, v43, v40
	v_dual_add_f32 v38, v38, v42 :: v_dual_add_f32 v39, v39, v41
	s_or_b32 exec_lo, exec_lo, s8
	s_and_saveexec_b32 s8, s19
	s_cbranch_execz .LBB49_717
.LBB49_1039:                            ;   in Loop: Header=BB49_3 Depth=1
	ds_load_b64 v[40:41], v57 offset:15360
	ds_load_b64 v[42:43], v58 offset:16112
	s_wait_dscnt 0x0
	v_dual_mul_f32 v78, v43, v41 :: v_dual_mul_f32 v79, v42, v41
	s_delay_alu instid0(VALU_DEP_1) | instskip(NEXT) | instid1(VALU_DEP_1)
	v_dual_fma_f32 v78, v42, v40, -v78 :: v_dual_fmac_f32 v79, v43, v40
	v_pk_add_f32 v[38:39], v[38:39], v[78:79]
	s_or_b32 exec_lo, exec_lo, s8
	s_and_saveexec_b32 s8, s4
	s_cbranch_execnz .LBB49_718
	s_branch .LBB49_719
.LBB49_1040:                            ;   in Loop: Header=BB49_3 Depth=1
	ds_load_b64 v[40:41], v49 offset:6720
	ds_load_b64 v[42:43], v50 offset:7784
	s_wait_dscnt 0x0
	v_dual_mul_f32 v78, v43, v41 :: v_dual_mul_f32 v41, v42, v41
	s_delay_alu instid0(VALU_DEP_1) | instskip(NEXT) | instid1(VALU_DEP_1)
	v_dual_fma_f32 v42, v42, v40, -v78 :: v_dual_fmac_f32 v41, v43, v40
	v_dual_add_f32 v38, v38, v42 :: v_dual_add_f32 v39, v39, v41
	s_or_b32 exec_lo, exec_lo, s8
	s_and_saveexec_b32 s8, s15
	s_cbranch_execz .LBB49_803
.LBB49_1041:                            ;   in Loop: Header=BB49_3 Depth=1
	ds_load_b64 v[40:41], v49 offset:7232
	ds_load_b64 v[42:43], v50 offset:7792
	s_wait_dscnt 0x0
	v_dual_mul_f32 v78, v43, v41 :: v_dual_mul_f32 v79, v42, v41
	s_delay_alu instid0(VALU_DEP_1) | instskip(NEXT) | instid1(VALU_DEP_1)
	v_dual_fma_f32 v78, v42, v40, -v78 :: v_dual_fmac_f32 v79, v43, v40
	v_pk_add_f32 v[38:39], v[38:39], v[78:79]
	s_or_b32 exec_lo, exec_lo, s8
	s_and_saveexec_b32 s8, s3
	s_cbranch_execnz .LBB49_804
	s_branch .LBB49_805
.LBB49_1042:                            ;   in Loop: Header=BB49_3 Depth=1
	ds_load_b64 v[40:41], v53 offset:4608
	ds_load_b64 v[42:43], v54 offset:7752
	s_wait_dscnt 0x0
	v_dual_mul_f32 v78, v43, v41 :: v_dual_mul_f32 v41, v42, v41
	s_delay_alu instid0(VALU_DEP_1) | instskip(NEXT) | instid1(VALU_DEP_1)
	v_dual_fma_f32 v42, v42, v40, -v78 :: v_dual_fmac_f32 v41, v43, v40
	v_dual_add_f32 v38, v38, v42 :: v_dual_add_f32 v39, v39, v41
	s_or_b32 exec_lo, exec_lo, s8
	s_and_saveexec_b32 s8, s17
	s_cbranch_execz .LBB49_841
.LBB49_1043:                            ;   in Loop: Header=BB49_3 Depth=1
	ds_load_b64 v[40:41], v53 offset:5120
	ds_load_b64 v[42:43], v54 offset:7760
	s_wait_dscnt 0x0
	v_dual_mul_f32 v78, v43, v41 :: v_dual_mul_f32 v41, v42, v41
	s_delay_alu instid0(VALU_DEP_1) | instskip(NEXT) | instid1(VALU_DEP_1)
	v_dual_fma_f32 v42, v42, v40, -v78 :: v_dual_fmac_f32 v41, v43, v40
	v_dual_add_f32 v38, v38, v42 :: v_dual_add_f32 v39, v39, v41
	s_or_b32 exec_lo, exec_lo, s8
	s_and_saveexec_b32 s8, s18
	s_cbranch_execz .LBB49_842
.LBB49_1044:                            ;   in Loop: Header=BB49_3 Depth=1
	ds_load_b64 v[40:41], v53 offset:5632
	ds_load_b64 v[42:43], v54 offset:7768
	s_wait_dscnt 0x0
	v_dual_mul_f32 v78, v43, v41 :: v_dual_mul_f32 v41, v42, v41
	s_delay_alu instid0(VALU_DEP_1) | instskip(NEXT) | instid1(VALU_DEP_1)
	v_dual_fma_f32 v42, v42, v40, -v78 :: v_dual_fmac_f32 v41, v43, v40
	v_dual_add_f32 v38, v38, v42 :: v_dual_add_f32 v39, v39, v41
	s_or_b32 exec_lo, exec_lo, s8
	s_and_saveexec_b32 s8, s19
	s_cbranch_execz .LBB49_843
.LBB49_1045:                            ;   in Loop: Header=BB49_3 Depth=1
	ds_load_b64 v[40:41], v53 offset:6144
	ds_load_b64 v[42:43], v54 offset:7776
	s_wait_dscnt 0x0
	v_dual_mul_f32 v78, v43, v41 :: v_dual_mul_f32 v79, v42, v41
	s_delay_alu instid0(VALU_DEP_1) | instskip(NEXT) | instid1(VALU_DEP_1)
	v_dual_fma_f32 v78, v42, v40, -v78 :: v_dual_fmac_f32 v79, v43, v40
	v_pk_add_f32 v[38:39], v[38:39], v[78:79]
	s_or_b32 exec_lo, exec_lo, s8
	s_and_saveexec_b32 s8, s20
	s_cbranch_execz .LBB49_844
.LBB49_1046:                            ;   in Loop: Header=BB49_3 Depth=1
	ds_load_b64 v[40:41], v53 offset:6656
	ds_load_b64 v[42:43], v54 offset:7784
	s_wait_dscnt 0x0
	v_pk_mul_f32 v[78:79], v[42:43], v[40:41] op_sel:[1,1] op_sel_hi:[0,1]
	s_delay_alu instid0(VALU_DEP_1) | instskip(SKIP_1) | instid1(VALU_DEP_2)
	v_pk_fma_f32 v[80:81], v[42:43], v[40:41], v[78:79] op_sel_hi:[1,0,1]
	v_pk_fma_f32 v[40:41], v[42:43], v[40:41], v[78:79] neg_lo:[0,0,1] neg_hi:[0,0,1]
	v_mov_b32_e32 v41, v81
	s_delay_alu instid0(VALU_DEP_1)
	v_pk_add_f32 v[38:39], v[38:39], v[40:41]
	s_or_b32 exec_lo, exec_lo, s8
	s_and_saveexec_b32 s8, s4
	s_cbranch_execz .LBB49_845
.LBB49_1047:                            ;   in Loop: Header=BB49_3 Depth=1
	ds_load_b64 v[40:41], v53 offset:7168
	ds_load_b64 v[42:43], v54 offset:7792
	s_wait_dscnt 0x0
	v_pk_mul_f32 v[78:79], v[42:43], v[40:41] op_sel:[1,1] op_sel_hi:[0,1]
	s_delay_alu instid0(VALU_DEP_1) | instskip(SKIP_1) | instid1(VALU_DEP_2)
	v_pk_fma_f32 v[80:81], v[42:43], v[40:41], v[78:79] op_sel_hi:[1,0,1]
	v_pk_fma_f32 v[40:41], v[42:43], v[40:41], v[78:79] neg_lo:[0,0,1] neg_hi:[0,0,1]
	v_mov_b32_e32 v41, v81
	s_delay_alu instid0(VALU_DEP_1)
	v_pk_add_f32 v[38:39], v[38:39], v[40:41]
	s_or_b32 exec_lo, exec_lo, s8
	s_and_saveexec_b32 s8, s15
	s_cbranch_execnz .LBB49_846
	s_branch .LBB49_847
.LBB49_1048:                            ;   in Loop: Header=BB49_3 Depth=1
	ds_load_b64 v[40:41], v49 offset:2560
	ds_load_b64 v[42:43], v50 offset:3624
	s_wait_dscnt 0x0
	v_dual_mul_f32 v78, v43, v41 :: v_dual_mul_f32 v41, v42, v41
	s_delay_alu instid0(VALU_DEP_1) | instskip(NEXT) | instid1(VALU_DEP_1)
	v_dual_fma_f32 v42, v42, v40, -v78 :: v_dual_fmac_f32 v41, v43, v40
	v_dual_add_f32 v38, v38, v42 :: v_dual_add_f32 v39, v39, v41
	s_or_b32 exec_lo, exec_lo, s8
	s_and_saveexec_b32 s8, s15
	s_cbranch_execz .LBB49_899
.LBB49_1049:                            ;   in Loop: Header=BB49_3 Depth=1
	ds_load_b64 v[40:41], v49 offset:3072
	ds_load_b64 v[42:43], v50 offset:3632
	s_wait_dscnt 0x0
	v_dual_mul_f32 v78, v43, v41 :: v_dual_mul_f32 v79, v42, v41
	s_delay_alu instid0(VALU_DEP_1) | instskip(NEXT) | instid1(VALU_DEP_1)
	v_dual_fma_f32 v78, v42, v40, -v78 :: v_dual_fmac_f32 v79, v43, v40
	v_pk_add_f32 v[38:39], v[38:39], v[78:79]
	s_or_b32 exec_lo, exec_lo, s8
	s_and_saveexec_b32 s8, s3
	s_cbranch_execnz .LBB49_900
	s_branch .LBB49_901
.LBB49_1050:
	s_endpgm
	.section	.rodata,"a",@progbits
	.p2align	6, 0x0
	.amdhsa_kernel _ZL19rocblas_trsv_deviceILi64ELi16ELb0ELb0ELb0ELb1E19rocblas_complex_numIfEPKS1_S3_PS1_EviT7_lllT6_T8_lllPii
		.amdhsa_group_segment_fixed_size 41480
		.amdhsa_private_segment_fixed_size 48
		.amdhsa_kernarg_size 352
		.amdhsa_user_sgpr_count 2
		.amdhsa_user_sgpr_dispatch_ptr 0
		.amdhsa_user_sgpr_queue_ptr 0
		.amdhsa_user_sgpr_kernarg_segment_ptr 1
		.amdhsa_user_sgpr_dispatch_id 0
		.amdhsa_user_sgpr_kernarg_preload_length 0
		.amdhsa_user_sgpr_kernarg_preload_offset 0
		.amdhsa_user_sgpr_private_segment_size 0
		.amdhsa_wavefront_size32 1
		.amdhsa_uses_dynamic_stack 0
		.amdhsa_enable_private_segment 1
		.amdhsa_system_sgpr_workgroup_id_x 1
		.amdhsa_system_sgpr_workgroup_id_y 0
		.amdhsa_system_sgpr_workgroup_id_z 1
		.amdhsa_system_sgpr_workgroup_info 0
		.amdhsa_system_vgpr_workitem_id 1
		.amdhsa_next_free_vgpr 89
		.amdhsa_next_free_sgpr 105
		.amdhsa_named_barrier_count 0
		.amdhsa_reserve_vcc 1
		.amdhsa_float_round_mode_32 0
		.amdhsa_float_round_mode_16_64 0
		.amdhsa_float_denorm_mode_32 3
		.amdhsa_float_denorm_mode_16_64 3
		.amdhsa_fp16_overflow 0
		.amdhsa_memory_ordered 1
		.amdhsa_forward_progress 1
		.amdhsa_inst_pref_size 255
		.amdhsa_round_robin_scheduling 0
		.amdhsa_exception_fp_ieee_invalid_op 0
		.amdhsa_exception_fp_denorm_src 0
		.amdhsa_exception_fp_ieee_div_zero 0
		.amdhsa_exception_fp_ieee_overflow 0
		.amdhsa_exception_fp_ieee_underflow 0
		.amdhsa_exception_fp_ieee_inexact 0
		.amdhsa_exception_int_div_zero 0
	.end_amdhsa_kernel
	.section	.text._ZL19rocblas_trsv_deviceILi64ELi16ELb0ELb0ELb0ELb1E19rocblas_complex_numIfEPKS1_S3_PS1_EviT7_lllT6_T8_lllPii,"axG",@progbits,_ZL19rocblas_trsv_deviceILi64ELi16ELb0ELb0ELb0ELb1E19rocblas_complex_numIfEPKS1_S3_PS1_EviT7_lllT6_T8_lllPii,comdat
.Lfunc_end49:
	.size	_ZL19rocblas_trsv_deviceILi64ELi16ELb0ELb0ELb0ELb1E19rocblas_complex_numIfEPKS1_S3_PS1_EviT7_lllT6_T8_lllPii, .Lfunc_end49-_ZL19rocblas_trsv_deviceILi64ELi16ELb0ELb0ELb0ELb1E19rocblas_complex_numIfEPKS1_S3_PS1_EviT7_lllT6_T8_lllPii
                                        ; -- End function
	.set _ZL19rocblas_trsv_deviceILi64ELi16ELb0ELb0ELb0ELb1E19rocblas_complex_numIfEPKS1_S3_PS1_EviT7_lllT6_T8_lllPii.num_vgpr, 89
	.set _ZL19rocblas_trsv_deviceILi64ELi16ELb0ELb0ELb0ELb1E19rocblas_complex_numIfEPKS1_S3_PS1_EviT7_lllT6_T8_lllPii.num_agpr, 0
	.set _ZL19rocblas_trsv_deviceILi64ELi16ELb0ELb0ELb0ELb1E19rocblas_complex_numIfEPKS1_S3_PS1_EviT7_lllT6_T8_lllPii.numbered_sgpr, 105
	.set _ZL19rocblas_trsv_deviceILi64ELi16ELb0ELb0ELb0ELb1E19rocblas_complex_numIfEPKS1_S3_PS1_EviT7_lllT6_T8_lllPii.num_named_barrier, 0
	.set _ZL19rocblas_trsv_deviceILi64ELi16ELb0ELb0ELb0ELb1E19rocblas_complex_numIfEPKS1_S3_PS1_EviT7_lllT6_T8_lllPii.private_seg_size, 48
	.set _ZL19rocblas_trsv_deviceILi64ELi16ELb0ELb0ELb0ELb1E19rocblas_complex_numIfEPKS1_S3_PS1_EviT7_lllT6_T8_lllPii.uses_vcc, 1
	.set _ZL19rocblas_trsv_deviceILi64ELi16ELb0ELb0ELb0ELb1E19rocblas_complex_numIfEPKS1_S3_PS1_EviT7_lllT6_T8_lllPii.uses_flat_scratch, 0
	.set _ZL19rocblas_trsv_deviceILi64ELi16ELb0ELb0ELb0ELb1E19rocblas_complex_numIfEPKS1_S3_PS1_EviT7_lllT6_T8_lllPii.has_dyn_sized_stack, 0
	.set _ZL19rocblas_trsv_deviceILi64ELi16ELb0ELb0ELb0ELb1E19rocblas_complex_numIfEPKS1_S3_PS1_EviT7_lllT6_T8_lllPii.has_recursion, 0
	.set _ZL19rocblas_trsv_deviceILi64ELi16ELb0ELb0ELb0ELb1E19rocblas_complex_numIfEPKS1_S3_PS1_EviT7_lllT6_T8_lllPii.has_indirect_call, 0
	.section	.AMDGPU.csdata,"",@progbits
; Kernel info:
; codeLenInByte = 36496
; TotalNumSgprs: 107
; NumVgprs: 89
; ScratchSize: 48
; MemoryBound: 0
; FloatMode: 240
; IeeeMode: 1
; LDSByteSize: 41480 bytes/workgroup (compile time only)
; SGPRBlocks: 0
; VGPRBlocks: 5
; NumSGPRsForWavesPerEU: 107
; NumVGPRsForWavesPerEU: 89
; NamedBarCnt: 0
; Occupancy: 10
; WaveLimiterHint : 0
; COMPUTE_PGM_RSRC2:SCRATCH_EN: 1
; COMPUTE_PGM_RSRC2:USER_SGPR: 2
; COMPUTE_PGM_RSRC2:TRAP_HANDLER: 0
; COMPUTE_PGM_RSRC2:TGID_X_EN: 1
; COMPUTE_PGM_RSRC2:TGID_Y_EN: 0
; COMPUTE_PGM_RSRC2:TGID_Z_EN: 1
; COMPUTE_PGM_RSRC2:TIDIG_COMP_CNT: 1
	.section	.text._ZL19rocblas_trsv_deviceILi64ELi16ELb0ELb1ELb0ELb1E19rocblas_complex_numIfEPKS1_S3_PS1_EviT7_lllT6_T8_lllPii,"axG",@progbits,_ZL19rocblas_trsv_deviceILi64ELi16ELb0ELb1ELb0ELb1E19rocblas_complex_numIfEPKS1_S3_PS1_EviT7_lllT6_T8_lllPii,comdat
	.globl	_ZL19rocblas_trsv_deviceILi64ELi16ELb0ELb1ELb0ELb1E19rocblas_complex_numIfEPKS1_S3_PS1_EviT7_lllT6_T8_lllPii ; -- Begin function _ZL19rocblas_trsv_deviceILi64ELi16ELb0ELb1ELb0ELb1E19rocblas_complex_numIfEPKS1_S3_PS1_EviT7_lllT6_T8_lllPii
	.p2align	8
	.type	_ZL19rocblas_trsv_deviceILi64ELi16ELb0ELb1ELb0ELb1E19rocblas_complex_numIfEPKS1_S3_PS1_EviT7_lllT6_T8_lllPii,@function
_ZL19rocblas_trsv_deviceILi64ELi16ELb0ELb1ELb0ELb1E19rocblas_complex_numIfEPKS1_S3_PS1_EviT7_lllT6_T8_lllPii: ; @_ZL19rocblas_trsv_deviceILi64ELi16ELb0ELb1ELb0ELb1E19rocblas_complex_numIfEPKS1_S3_PS1_EviT7_lllT6_T8_lllPii
; %bb.0:
	s_load_b32 s86, s[0:1], 0x58
	s_bfe_u32 s2, ttmp6, 0x40014
	s_lshr_b32 s3, ttmp7, 16
	s_add_co_i32 s2, s2, 1
	s_bfe_u32 s5, ttmp6, 0x40008
	s_mul_i32 s4, s3, s2
	s_getreg_b32 s2, hwreg(HW_REG_IB_STS2, 6, 4)
	s_add_co_i32 s5, s5, s4
	s_cmp_eq_u32 s2, 0
	s_mov_b32 s81, 0
	s_cselect_b32 s80, s3, s5
	s_wait_kmcnt 0x0
	s_cmp_ge_u32 s80, s86
	s_cbranch_scc1 .LBB50_1112
; %bb.1:
	s_clause 0x2
	s_load_b512 s[60:75], s[0:1], 0x8
	s_load_b32 s3, s[0:1], 0x6c
	s_load_b32 s87, s[0:1], 0x0
	s_bfe_u32 s5, ttmp6, 0x4000c
	s_and_b32 s4, ttmp6, 15
	s_add_co_i32 s5, s5, 1
	s_load_b128 s[76:79], s[0:1], 0x48
	s_wait_xcnt 0x0
	s_mul_i32 s0, ttmp9, s5
	v_and_b32_e32 v6, 0x3ff, v0
	s_add_co_i32 s4, s4, s0
	v_bfe_u32 v2, v0, 10, 10
	v_mov_b32_e32 v5, 0
                                        ; implicit-def: $vgpr107 : SGPR spill to VGPR lane
	s_delay_alu instid0(VALU_DEP_3) | instskip(SKIP_1) | instid1(VALU_DEP_4)
	v_dual_lshlrev_b32 v1, 6, v6 :: v_dual_bitop2_b32 v28, 3, v0 bitop3:0x40
	v_mbcnt_lo_u32_b32 v16, -1, 0
	v_lshl_add_u32 v33, v2, 6, v6
	s_delay_alu instid0(VALU_DEP_4)
	v_dual_mov_b32 v9, v5 :: v_dual_add_nc_u32 v36, 16, v2
	v_add_nc_u32_e32 v40, 48, v2
	v_cmp_ne_u32_e64 s5, 3, v28
	s_wait_kmcnt 0x0
	s_lshl_b64 s[12:13], s[62:63], 3
	s_lshl_b64 s[14:15], s[72:73], 3
	s_cmp_eq_u32 s2, 0
	v_lshl_add_u32 v10, v36, 6, v6
	s_cselect_b32 s88, ttmp9, s4
	s_add_co_i32 s1, s87, -1
	s_ashr_i32 s2, s87, 31
	s_and_b32 s0, s3, 0xffff
	s_ashr_i32 s3, s1, 31
	s_lshr_b32 s2, s2, 26
	s_lshr_b32 s3, s3, 26
	s_add_co_i32 s2, s87, s2
	s_add_co_i32 s1, s1, s3
	s_and_not1_b32 s2, s2, 63
	s_ashr_i32 s1, s1, 6
	s_sub_co_i32 s18, s87, s2
	s_cmp_eq_u32 s1, s88
	v_mad_u32_u24 v8, v2, s0, v6
	s_cselect_b32 s1, -1, 0
	s_cmp_lg_u32 s18, 0
	v_sub_co_u32 v7, s2, s88, 1
	s_cselect_b32 s0, -1, 0
	s_lshl_b32 s16, s88, 6
	s_and_b32 s19, s0, s1
	v_dual_add_nc_u32 v3, v2, v1 :: v_dual_add_nc_u32 v32, s16, v2
	s_xor_b32 s0, s2, -1
	s_xor_b32 s90, s19, -1
	s_cmp_lt_i32 s88, 5
	v_dual_add_nc_u32 v4, v36, v1 :: v_dual_add_nc_u32 v30, s16, v6
	s_cselect_b32 vcc_lo, -1, 0
	v_writelane_b32 v107, s0, 0
	v_dual_cndmask_b32 v34, v33, v3, vcc_lo :: v_dual_bitop2_b32 v3, 1, v0 bitop3:0x40
	v_add_nc_u32_e32 v38, 32, v2
	s_add_nc_u64 s[0:1], s[64:65], 1
	s_ashr_i32 s17, s16, 31
	v_cmp_gt_u32_e64 s4, 2, v6
	s_mul_u64 s[10:11], s[0:1], s[16:17]
	v_cmp_gt_u32_e64 s0, 4, v33
	v_cmp_eq_u32_e64 s2, 1, v3
	v_cmp_eq_u32_e64 s3, 0, v3
	;; [unrolled: 1-line block ×4, first 2 shown]
	v_and_b32_e32 v29, 7, v0
	s_and_b32 s92, s2, s0
	s_and_b32 s93, s3, s0
	v_cmp_gt_u32_e64 s2, 16, v33
	v_cmp_eq_u32_e64 s3, 3, v28
	s_or_b32 vcc_lo, vcc_lo, s19
	s_and_b32 s94, s1, s4
	v_cndmask_b32_e32 v35, v10, v4, vcc_lo
	s_and_b32 s96, s5, s2
	s_and_b32 s95, s3, s2
	;; [unrolled: 1-line block ×3, first 2 shown]
	v_cmp_eq_u32_e64 s4, 1, v28
	v_cmp_eq_u32_e64 s5, 0, v28
	v_cmp_gt_u32_e64 s6, 4, v6
	v_cmp_gt_u32_e64 s3, 64, v33
	v_add_nc_u32_e32 v10, v38, v1
	v_cmp_ne_u32_e64 s8, 7, v29
	s_and_b32 s99, s4, s2
	s_and_b32 s100, s5, s2
	;; [unrolled: 1-line block ×3, first 2 shown]
	v_cmp_eq_u32_e64 s4, 6, v29
	s_and_b32 s103, s8, s3
	v_cmp_gt_u32_e64 s5, 6, v29
	v_cmp_eq_u32_e64 s6, 5, v29
	v_cmp_eq_u32_e64 s8, 4, v29
	v_cmp_gt_u32_e64 s7, 2, v28
	s_and_b32 s104, s4, s3
	s_and_b32 vcc_hi, s5, s3
	s_and_b32 s39, s6, s3
	s_and_b32 s41, s8, s3
	v_cmp_gt_u32_e64 s4, 4, v29
	v_cmp_eq_u32_e64 s5, 3, v29
	v_cmp_gt_u32_e64 s6, 3, v29
	v_cmp_gt_u32_e64 s8, 2, v29
	v_dual_add_nc_u32 v1, v40, v1 :: v_dual_bitop2_b32 v41, 15, v0 bitop3:0x40
	s_and_b32 s98, s7, s2
	v_cmp_eq_u32_e64 s7, 7, v29
	s_and_b32 s42, s4, s3
	s_and_b32 s43, s5, s3
	;; [unrolled: 1-line block ×4, first 2 shown]
	v_cmp_eq_u32_e64 s5, 1, v29
	v_cmp_eq_u32_e64 s6, 0, v29
	v_cmp_gt_u32_e64 s4, 0x100, v33
	v_cmp_eq_u32_e64 s8, 15, v41
	s_and_b32 s102, s7, s3
	v_cmp_gt_u32_e64 s7, 5, v29
	s_and_b32 s47, s5, s3
	v_cmp_ne_u32_e64 s5, 15, v41
	s_and_b32 s48, s6, s3
	s_and_b32 s6, s8, s4
	;; [unrolled: 1-line block ×3, first 2 shown]
	v_writelane_b32 v107, s6, 1
	v_cmp_eq_u32_e64 s7, 2, v29
	v_cmp_eq_u32_e64 s6, 14, v41
	s_and_b32 s5, s5, s4
	v_cmp_gt_u32_e64 s8, 13, v41
	v_writelane_b32 v107, s5, 2
	s_and_b32 s45, s7, s3
	v_cmp_gt_u32_e64 s7, 8, v6
	v_cmp_gt_u32_e64 s5, 14, v41
	s_and_b32 s6, s6, s4
	v_cmp_le_i32_e64 s9, s18, v6
	v_writelane_b32 v107, s6, 3
	s_and_b32 s49, s1, s7
	v_cmp_eq_u32_e64 s7, 13, v41
	s_and_b32 s5, s5, s4
	v_cmp_eq_u32_e64 s6, 12, v41
	v_writelane_b32 v107, s5, 4
	v_lshl_add_u32 v11, v38, 6, v6
	s_and_b32 s5, s7, s4
	v_cmp_gt_u32_e64 s7, 11, v41
	s_and_b32 s6, s6, s4
	v_writelane_b32 v107, s5, 5
	s_and_b32 s5, s8, s4
	v_cmp_eq_u32_e64 s8, 10, v41
	v_lshl_add_u32 v12, v40, 6, v6
	s_and_b32 s57, s9, s19
	v_writelane_b32 v107, s5, 6
	v_cmp_gt_u32_e64 s5, 12, v41
	s_xor_b32 s91, vcc_lo, -1
	v_dual_add_nc_u32 v4, s16, v8 :: v_dual_cndmask_b32 v44, v11, v10, vcc_lo
	v_writelane_b32 v107, s6, 7
	v_cmp_eq_u32_e64 s6, 11, v41
	s_and_b32 s5, s5, s4
	v_cndmask_b32_e32 v45, v12, v1, vcc_lo
	v_cmp_le_i32_e32 vcc_lo, s18, v38
	v_writelane_b32 v107, s5, 8
	s_and_b32 s6, s6, s4
	v_cmp_gt_u32_e64 s5, 10, v41
	v_add_nc_u64_e32 v[26:27], s[16:17], v[8:9]
	v_dual_lshrrev_b32 v1, 1, v33 :: v_dual_ashrrev_i32 v31, 31, v30
	v_writelane_b32 v107, s6, 9
	s_and_b32 s6, s7, s4
	s_and_b32 s25, s5, s4
	v_cmp_gt_u32_e64 s5, 9, v41
	v_cmp_eq_u32_e64 s7, 8, v41
	v_writelane_b32 v107, s6, 10
	s_and_b32 s6, s8, s4
	v_cmp_gt_u32_e64 s8, 8, v41
	s_and_b32 s29, s5, s4
	v_cmp_gt_u32_e64 s5, 7, v41
	v_writelane_b32 v107, s6, 11
	v_cmp_eq_u32_e64 s6, 9, v41
	s_and_b32 s31, s7, s4
	s_and_b32 s34, s8, s4
	;; [unrolled: 1-line block ×3, first 2 shown]
	v_cmp_gt_u32_e64 s5, 5, v41
	s_and_b32 s27, s6, s4
	v_cmp_eq_u32_e64 s6, 7, v41
	v_cmp_gt_u32_e64 s7, 6, v41
	v_cmp_eq_u32_e64 s8, 5, v41
	s_and_b32 s33, s5, s4
	v_cmp_gt_u32_e64 s5, 4, v41
	s_and_b32 s38, s6, s4
	v_cmp_eq_u32_e64 s6, 6, v41
	s_and_b32 s28, s7, s4
	s_and_b32 s30, s8, s4
	v_cmp_eq_u32_e64 s7, 3, v41
	v_cmp_gt_u32_e64 s8, 3, v41
	s_and_b32 s26, s6, s4
	v_cmp_eq_u32_e64 s6, 4, v41
	s_and_b32 s50, s5, s4
	v_cmp_gt_u32_e64 s5, 2, v41
	s_and_b32 s51, s7, s4
	s_and_b32 s52, s8, s4
	;; [unrolled: 1-line block ×3, first 2 shown]
	v_cmp_eq_u32_e64 s6, 2, v41
	v_cmp_eq_u32_e64 s7, 0, v41
	v_cmp_gt_u32_e64 s8, 16, v6
	s_and_b32 s54, s5, s4
	v_cmp_gt_u32_e64 s5, 32, v6
	s_and_b32 s53, s6, s4
	v_cmp_eq_u32_e64 s6, 1, v41
	s_and_b32 s56, s7, s4
	s_and_b32 s58, s1, s8
	s_and_b32 s5, s1, s5
	v_subrev_nc_u32_e32 v10, 64, v32
	s_and_b32 s55, s6, s4
	s_xor_b32 s6, s57, -1
	v_writelane_b32 v107, s5, 12
	s_and_b32 s59, s1, s6
	s_cmp_gt_i32 s88, 0
	v_cmp_le_i32_e64 s5, s18, v2
	s_cselect_b32 s23, -1, 0
	s_or_b32 s16, vcc_lo, s9
	v_cmp_le_i32_e32 vcc_lo, s18, v40
	v_cmp_le_i32_e64 s6, s18, v36
	s_or_b32 s7, s5, s9
	v_dual_lshrrev_b32 v46, 2, v33 :: v_dual_lshrrev_b32 v11, 10, v0
	s_or_b32 s17, vcc_lo, s9
	v_cmp_gt_i32_e32 vcc_lo, s18, v6
	s_delay_alu instid0(VALU_DEP_2)
	v_dual_lshlrev_b32 v47, 9, v1 :: v_dual_lshlrev_b32 v48, 9, v46
	v_subrev_nc_u32_e32 v88, 48, v32
	v_lshlrev_b32_e32 v74, 3, v3
	s_and_b32 s5, s1, vcc_lo
	v_cmp_gt_i32_e32 vcc_lo, s87, v10
	v_writelane_b32 v107, s5, 13
	v_cmp_gt_i32_e64 s5, s87, v30
	s_or_b32 s8, s6, s9
	v_bitop3_b32 v101, v0, v11, 0x3ff bitop3:0xa8
	v_dual_ashrrev_i32 v11, 31, v10 :: v_dual_lshlrev_b32 v76, 3, v28
	v_dual_sub_nc_u32 v77, v74, v47 :: v_dual_lshlrev_b32 v78, 3, v29
	v_mul_u64_e32 v[28:29], s[74:75], v[4:5]
	s_and_b32 s6, vcc_lo, s5
	v_subrev_nc_u32_e32 v4, 32, v32
	v_cmp_gt_i32_e32 vcc_lo, s87, v88
	v_writelane_b32 v107, s6, 14
	v_dual_sub_nc_u32 v56, 0, v47 :: v_dual_lshlrev_b32 v14, 6, v33
	v_dual_sub_nc_u32 v58, 0, v48 :: v_dual_bitop2_b32 v49, -8, v33 bitop3:0x40
	s_and_b32 s6, vcc_lo, s5
	v_cmp_gt_i32_e32 vcc_lo, s87, v4
	v_writelane_b32 v107, s6, 15
	v_dual_lshrrev_b32 v84, 4, v33 :: v_dual_lshrrev_b32 v86, 5, v33
	v_and_b32_e32 v83, 0xfffffe00, v14
	s_and_b32 s6, vcc_lo, s5
	v_add_max_i32_e64 v98, v32, -16, v30
	v_writelane_b32 v107, s6, 16
	v_cmp_ge_u32_e64 s6, v6, v2
	v_dual_lshlrev_b32 v85, 9, v84 :: v_dual_lshlrev_b32 v87, 9, v86
	v_dual_mov_b32 v42, 0 :: v_dual_mov_b32 v37, v5
	s_or_b32 s7, s7, s6
	v_dual_mov_b32 v39, v5 :: v_dual_bitop2_b32 v99, v36, v6 bitop3:0x54
	v_writelane_b32 v107, s7, 17
	v_cmp_ge_u32_e64 s7, v6, v36
	v_dual_sub_nc_u32 v81, v76, v48 :: v_dual_lshlrev_b32 v80, 3, v41
	v_dual_mov_b32 v41, v5 :: v_dual_add_nc_u32 v82, 0x8000, v49
	s_or_b32 s8, s8, s7
	v_dual_mov_b32 v3, v5 :: v_dual_lshlrev_b32 v32, 3, v6
	v_writelane_b32 v107, s8, 18
	v_cmp_ge_u32_e64 s8, v6, v38
	s_add_nc_u64 s[72:73], s[60:61], s[12:13]
	v_mul_u64_e32 v[12:13], s[64:65], v[30:31]
	v_dual_sub_nc_u32 v62, 0, v83 :: v_dual_bitop2_b32 v60, 31, v0 bitop3:0x40
	s_or_b32 s9, s16, s8
	v_dual_sub_nc_u32 v66, 0, v87 :: v_dual_lshlrev_b32 v43, 20, v16
	v_writelane_b32 v107, s9, 19
	v_cmp_ge_u32_e64 s9, v6, v40
	v_mul_u64_e32 v[14:15], s[74:75], v[30:31]
	v_mul_u64_e32 v[20:21], s[64:65], v[36:37]
	;; [unrolled: 1-line block ×3, first 2 shown]
	v_lshl_add_u32 v75, v1, 3, 0x8000
	s_or_b32 s12, s17, s9
	v_mul_u64_e32 v[0:1], s[74:75], v[26:27]
	v_mul_u64_e32 v[26:27], s[64:65], v[40:41]
	;; [unrolled: 1-line block ×3, first 2 shown]
	v_writelane_b32 v107, s12, 20
	s_lshl_b64 s[64:65], s[10:11], 3
	v_cmp_le_i32_e64 s10, s87, v98
	v_lshlrev_b32_e32 v92, 3, v2
	v_add_nc_u64_e32 v[16:17], src_flat_scratch_base_lo, v[42:43]
	v_dual_mov_b32 v42, 8 :: v_dual_bitop2_b32 v100, v38, v6 bitop3:0x54
	s_delay_alu instid0(VALU_DEP_4) | instskip(SKIP_2) | instid1(VALU_DEP_4)
	v_writelane_b32 v107, s10, 21
	v_cmp_gt_u32_e64 s10, 64, v101
                                        ; implicit-def: $vgpr106 : SGPR spill to VGPR lane
	v_or_b32_e32 v4, v40, v6
	v_add_nc_u64_e32 v[18:19], src_flat_scratch_base_lo, v[42:43]
	v_dual_mov_b32 v42, 16 :: v_dual_lshlrev_b32 v9, 3, v6
	s_delay_alu instid0(VALU_DEP_4) | instskip(SKIP_2) | instid1(VALU_DEP_4)
	v_writelane_b32 v107, s10, 22
	v_cmp_gt_u32_e64 s10, 64, v99
	v_mul_i32_i24_e32 v71, 0xfffffe08, v6
	v_add_nc_u64_e32 v[24:25], src_flat_scratch_base_lo, v[42:43]
	v_mad_u32_u24 v50, 0x1f8, v6, v9
	v_dual_mov_b32 v42, 24 :: v_dual_add_nc_u32 v91, 0x8000, v9
	v_writelane_b32 v107, s10, 23
	v_cmp_gt_u32_e64 s10, 64, v100
	s_delay_alu instid0(VALU_DEP_4) | instskip(SKIP_2) | instid1(VALU_DEP_4)
	v_mad_i32_i24 v51, 0xfffffe08, v6, v50
	v_mad_u32_u24 v96, 0x1f8, v6, v71
	v_dual_lshlrev_b32 v63, 3, v60 :: v_dual_sub_nc_u32 v64, 0, v85
	v_writelane_b32 v107, s10, 24
	v_cmp_gt_u32_e64 s10, 0xf0, v33
	v_mad_u32_u24 v52, 0x1f8, v6, v51
	v_mad_u32 v96, v96, 7, v9
	v_or_b32_e32 v70, 0xa000, v92
	v_dual_lshlrev_b32 v3, 3, v34 :: v_dual_lshlrev_b32 v88, 3, v35
	v_writelane_b32 v107, s10, 25
	v_cmp_gt_u32_e64 s10, 0xe0, v33
	v_mad_i32_i24 v53, 0xfffffe08, v6, v52
	v_mov_b64_e32 v[34:35], 0
	v_mov_b64_e32 v[36:37], 0x3f800000
	v_add_nc_u64_e32 v[38:39], src_flat_scratch_base_lo, v[42:43]
	v_writelane_b32 v107, s10, 26
	v_cmp_gt_u32_e64 s10, 0xd0, v33
	v_mad_u32_u24 v54, 0x1f8, v6, v53
	v_cmp_lt_u32_e32 vcc_lo, 0x3ff, v33
	v_lshl_add_u32 v72, v8, 3, 0xa000
	v_lshl_add_u32 v73, v33, 3, 0x8000
	v_writelane_b32 v107, s10, 27
	v_cmp_gt_u32_e64 s10, 0xc0, v33
	v_mad_i32_i24 v55, 0xfffffe08, v6, v54
	s_add_nc_u64 s[70:71], s[70:71], s[14:15]
	v_lshl_add_u32 v79, v46, 3, 0x8000
	v_sub_nc_u32_e32 v83, v78, v83
	v_writelane_b32 v107, s10, 28
	v_cmp_gt_u32_e64 s10, 0xb0, v33
	v_mad_u32_u24 v57, 0x1f8, v6, v55
	v_lshl_add_u32 v84, v84, 3, 0x8000
	v_dual_sub_nc_u32 v85, v80, v85 :: v_dual_sub_nc_u32 v87, v63, v87
	s_delay_alu instid0(VALU_DEP_4) | instskip(SKIP_4) | instid1(VALU_DEP_4)
	v_writelane_b32 v107, s10, 29
	v_cmp_gt_u32_e64 s10, 0xa0, v33
	v_mad_i32_i24 v59, 0xfffffe08, v6, v57
	v_lshl_add_u32 v86, v86, 3, 0x8000
	v_dual_lshlrev_b32 v89, 3, v44 :: v_dual_lshlrev_b32 v90, 3, v45
	v_writelane_b32 v107, s10, 30
	v_cmp_gt_u32_e64 s10, 0x90, v33
	v_mad_u32_u24 v61, 0x1f8, v6, v59
	v_add_nc_u32_e32 v94, v70, v9
	v_or_b32_e32 v95, 0x3800, v63
	v_subrev_nc_u32_e32 v97, 31, v60
	v_writelane_b32 v107, s10, 31
	v_cmp_gt_u32_e64 s10, 0x70, v33
	v_mad_i32_i24 v65, 0xfffffe08, v6, v61
	v_cmp_eq_u32_e64 s11, 0, v101
	v_cmp_gt_u32_e64 s15, 2, v33
	v_cmp_gt_u32_e64 s16, 12, v33
	v_writelane_b32 v106, s10, 0
	v_cmp_gt_u32_e64 s10, 0x50, v33
	v_mad_u32_u24 v67, 0x1f8, v6, v65
	v_lshl_add_u32 v93, v2, 9, v65
	v_cmp_gt_u32_e64 s17, 8, v33
	v_cmp_gt_u32_e64 s18, 56, v33
	v_writelane_b32 v106, s10, 1
	v_cmp_gt_u32_e64 s10, 64, v4
	v_mad_i32_i24 v68, 0xfffffe08, v6, v67
	v_cmp_gt_u32_e64 s19, 48, v33
	v_cmp_gt_u32_e64 s20, 40, v33
	;; [unrolled: 1-line block ×3, first 2 shown]
	v_writelane_b32 v106, s10, 2
	v_cmp_gt_u32_e64 s10, 0x3e0, v33
	v_mad_u32_u24 v69, 0x1f8, v6, v68
	v_cmp_gt_u32_e64 s22, 24, v33
	v_cmp_gt_u32_e64 s13, 0x80, v33
	;; [unrolled: 1-line block ×3, first 2 shown]
	v_writelane_b32 v106, s10, 3
	v_cmp_gt_u32_e64 s10, 0x3c0, v33
	v_add_nc_u32_e32 v92, v69, v92
	v_cmp_gt_u32_e64 s35, 0x400, v33
	v_cmp_eq_u32_e64 s36, 0, v8
	v_cmp_gt_u32_e64 s37, 64, v8
	v_writelane_b32 v106, s10, 4
	v_cmp_gt_u32_e64 s10, 0x3a0, v33
	s_xor_b32 s60, vcc_lo, -1
	v_writelane_b32 v106, s10, 5
	v_cmp_gt_u32_e64 s10, 0x380, v33
	s_delay_alu instid0(VALU_DEP_1) | instskip(SKIP_1) | instid1(VALU_DEP_1)
	v_writelane_b32 v106, s10, 6
	v_cmp_gt_u32_e64 s10, 0x360, v33
	v_writelane_b32 v106, s10, 7
	v_cmp_gt_u32_e64 s10, 0x340, v33
	s_delay_alu instid0(VALU_DEP_1) | instskip(SKIP_1) | instid1(VALU_DEP_1)
	v_writelane_b32 v106, s10, 8
	v_cmp_gt_u32_e64 s10, 0x320, v33
	;; [unrolled: 5-line block ×10, first 2 shown]
	v_writelane_b32 v106, s10, 25
	s_branch .LBB50_3
.LBB50_2:                               ;   in Loop: Header=BB50_3 Depth=1
	s_wait_xcnt 0x0
	s_or_b32 exec_lo, exec_lo, s61
	s_add_co_i32 s80, s80, 0x10000
	global_wb scope:SCOPE_DEV
	s_wait_storecnt 0x0
	global_inv scope:SCOPE_DEV
	s_cmp_lt_u32 s80, s86
	s_cbranch_scc0 .LBB50_1112
.LBB50_3:                               ; =>This Loop Header: Depth=1
                                        ;     Child Loop BB50_537 Depth 2
                                        ;     Child Loop BB50_985 Depth 2
                                        ;       Child Loop BB50_987 Depth 3
                                        ;     Child Loop BB50_1016 Depth 2
	global_load_b64 v[42:43], v5, s[68:69]
	s_mul_u64 s[62:63], s[66:67], s[80:81]
	v_readlane_b32 s10, v107, 0
	s_lshl_b64 s[62:63], s[62:63], 3
	s_delay_alu instid0(SALU_CYCLE_1) | instskip(NEXT) | instid1(SALU_CYCLE_1)
	s_add_nc_u64 s[62:63], s[72:73], s[62:63]
	v_lshl_add_u64 v[40:41], v[12:13], 3, s[62:63]
	s_and_not1_b32 vcc_lo, exec_lo, s10
	s_cbranch_vccnz .LBB50_15
; %bb.4:                                ;   in Loop: Header=BB50_3 Depth=1
	s_delay_alu instid0(VALU_DEP_1)
	v_lshl_add_u64 v[44:45], v[10:11], 3, v[40:41]
	v_dual_mov_b32 v46, 0 :: v_dual_mov_b32 v48, 0
	v_mov_b32_e32 v49, 0
	v_readlane_b32 s10, v107, 14
	s_wait_loadcnt 0x0
	s_barrier_signal -1
	s_barrier_wait -1
	s_wait_xcnt 0x0
	s_and_saveexec_b32 s61, s10
	s_cbranch_execz .LBB50_6
; %bb.5:                                ;   in Loop: Header=BB50_3 Depth=1
	global_load_b64 v[48:49], v[44:45], off
.LBB50_6:                               ;   in Loop: Header=BB50_3 Depth=1
	s_wait_xcnt 0x0
	s_or_b32 exec_lo, exec_lo, s61
	v_mov_b32_e32 v47, 0
	v_readlane_b32 s10, v107, 15
	s_wait_loadcnt 0x0
	scratch_store_b64 off, v[48:49], off
	s_wait_storecnt 0x0
	s_barrier_signal -1
	s_barrier_wait -1
	s_wait_xcnt 0x0
	s_and_saveexec_b32 s61, s10
	s_cbranch_execz .LBB50_8
; %bb.7:                                ;   in Loop: Header=BB50_3 Depth=1
	global_load_b64 v[46:47], v[44:45], off offset:128
.LBB50_8:                               ;   in Loop: Header=BB50_3 Depth=1
	s_wait_xcnt 0x0
	s_or_b32 exec_lo, exec_lo, s61
	s_wait_loadcnt 0x0
	scratch_store_b64 off, v[46:47], off offset:8
	s_wait_xcnt 0x0
	v_dual_mov_b32 v46, 0 :: v_dual_mov_b32 v47, 0
	v_readlane_b32 s10, v107, 16
	s_wait_storecnt 0x0
	s_barrier_signal -1
	s_barrier_wait -1
	s_and_saveexec_b32 s61, s10
	s_cbranch_execz .LBB50_10
; %bb.9:                                ;   in Loop: Header=BB50_3 Depth=1
	global_load_b64 v[46:47], v[44:45], off offset:256
.LBB50_10:                              ;   in Loop: Header=BB50_3 Depth=1
	s_wait_xcnt 0x0
	s_or_b32 exec_lo, exec_lo, s61
	v_readlane_b32 s10, v107, 21
	s_wait_loadcnt 0x0
	scratch_store_b64 off, v[46:47], off offset:16
	s_wait_storecnt 0x0
	s_barrier_signal -1
	s_barrier_wait -1
	s_wait_xcnt 0x0
	s_and_saveexec_b32 s61, s10
	s_delay_alu instid0(SALU_CYCLE_1)
	s_xor_b32 s61, exec_lo, s61
	s_cbranch_execz .LBB50_12
; %bb.11:                               ;   in Loop: Header=BB50_3 Depth=1
	scratch_store_b64 off, v[34:35], off offset:24
                                        ; implicit-def: $vgpr44_vgpr45
.LBB50_12:                              ;   in Loop: Header=BB50_3 Depth=1
	s_wait_xcnt 0x0
	s_and_not1_saveexec_b32 s61, s61
	s_cbranch_execz .LBB50_14
; %bb.13:                               ;   in Loop: Header=BB50_3 Depth=1
	global_load_b64 v[44:45], v[44:45], off offset:384
	s_wait_loadcnt 0x0
	scratch_store_b64 off, v[44:45], off offset:24
.LBB50_14:                              ;   in Loop: Header=BB50_3 Depth=1
	s_wait_xcnt 0x0
	s_or_b32 exec_lo, exec_lo, s61
.LBB50_15:                              ;   in Loop: Header=BB50_3 Depth=1
	v_mov_b32_e32 v33, v5
	s_add_nc_u64 s[62:63], s[62:63], s[64:65]
	s_and_not1_b32 vcc_lo, exec_lo, s90
	s_mov_b32 s61, -1
	s_delay_alu instid0(VALU_DEP_1)
	v_add_nc_u64_e32 v[44:45], s[62:63], v[32:33]
	s_cbranch_vccnz .LBB50_26
; %bb.16:                               ;   in Loop: Header=BB50_3 Depth=1
	s_wait_xcnt 0x0
	s_and_saveexec_b32 s61, s6
	s_delay_alu instid0(SALU_CYCLE_1)
	s_xor_b32 s61, exec_lo, s61
	s_cbranch_execnz .LBB50_1037
; %bb.17:                               ;   in Loop: Header=BB50_3 Depth=1
	s_and_not1_saveexec_b32 s61, s61
	s_cbranch_execnz .LBB50_1040
.LBB50_18:                              ;   in Loop: Header=BB50_3 Depth=1
	s_or_b32 exec_lo, exec_lo, s61
	s_and_saveexec_b32 s61, s7
	s_delay_alu instid0(SALU_CYCLE_1)
	s_xor_b32 s61, exec_lo, s61
	s_cbranch_execnz .LBB50_1041
.LBB50_19:                              ;   in Loop: Header=BB50_3 Depth=1
	s_and_not1_saveexec_b32 s61, s61
	s_cbranch_execnz .LBB50_1044
.LBB50_20:                              ;   in Loop: Header=BB50_3 Depth=1
	s_or_b32 exec_lo, exec_lo, s61
	s_and_saveexec_b32 s61, s8
	s_delay_alu instid0(SALU_CYCLE_1)
	s_xor_b32 s61, exec_lo, s61
	s_cbranch_execnz .LBB50_1045
.LBB50_21:                              ;   in Loop: Header=BB50_3 Depth=1
	s_and_not1_saveexec_b32 s61, s61
	s_cbranch_execnz .LBB50_1048
.LBB50_22:                              ;   in Loop: Header=BB50_3 Depth=1
	s_or_b32 exec_lo, exec_lo, s61
	s_and_saveexec_b32 s61, s9
	s_delay_alu instid0(SALU_CYCLE_1)
	s_xor_b32 s61, exec_lo, s61
	s_cbranch_execnz .LBB50_1049
.LBB50_23:                              ;   in Loop: Header=BB50_3 Depth=1
	s_and_not1_saveexec_b32 s61, s61
	s_cbranch_execz .LBB50_25
.LBB50_24:                              ;   in Loop: Header=BB50_3 Depth=1
	v_lshl_add_u64 v[46:47], v[26:27], 3, v[44:45]
	global_load_b64 v[46:47], v[46:47], off
	s_wait_loadcnt 0x0
	v_pk_add_f32 v[46:47], v[46:47], 0 neg_lo:[1,1] neg_hi:[1,1]
	ds_store_b64 v90, v[46:47]
.LBB50_25:                              ;   in Loop: Header=BB50_3 Depth=1
	s_or_b32 exec_lo, exec_lo, s61
	s_mov_b32 s61, 0
.LBB50_26:                              ;   in Loop: Header=BB50_3 Depth=1
	s_delay_alu instid0(SALU_CYCLE_1)
	s_and_b32 vcc_lo, exec_lo, s61
	s_cbranch_vccz .LBB50_52
; %bb.27:                               ;   in Loop: Header=BB50_3 Depth=1
	v_readlane_b32 s10, v107, 17
	s_wait_xcnt 0x0
	s_and_saveexec_b32 s61, s10
	s_delay_alu instid0(SALU_CYCLE_1)
	s_xor_b32 s61, exec_lo, s61
	s_cbranch_execz .LBB50_31
; %bb.28:                               ;   in Loop: Header=BB50_3 Depth=1
	v_readlane_b32 s10, v107, 22
	s_and_saveexec_b32 s62, s10
; %bb.29:                               ;   in Loop: Header=BB50_3 Depth=1
	ds_store_b64 v92, v[34:35]
; %bb.30:                               ;   in Loop: Header=BB50_3 Depth=1
	s_or_b32 exec_lo, exec_lo, s62
.LBB50_31:                              ;   in Loop: Header=BB50_3 Depth=1
	s_and_not1_saveexec_b32 s61, s61
	s_cbranch_execz .LBB50_33
; %bb.32:                               ;   in Loop: Header=BB50_3 Depth=1
	v_lshl_add_u64 v[46:47], v[30:31], 3, v[44:45]
	global_load_b64 v[46:47], v[46:47], off
	s_wait_loadcnt 0x0
	v_pk_add_f32 v[46:47], v[46:47], 0 neg_lo:[1,1] neg_hi:[1,1]
	ds_store_b64 v92, v[46:47]
.LBB50_33:                              ;   in Loop: Header=BB50_3 Depth=1
	s_or_b32 exec_lo, exec_lo, s61
	v_readlane_b32 s10, v107, 18
	s_and_saveexec_b32 s61, s10
	s_delay_alu instid0(SALU_CYCLE_1)
	s_xor_b32 s61, exec_lo, s61
	s_cbranch_execz .LBB50_37
; %bb.34:                               ;   in Loop: Header=BB50_3 Depth=1
	v_readlane_b32 s10, v107, 23
	s_and_saveexec_b32 s62, s10
; %bb.35:                               ;   in Loop: Header=BB50_3 Depth=1
	ds_store_b64 v88, v[34:35]
; %bb.36:                               ;   in Loop: Header=BB50_3 Depth=1
	s_or_b32 exec_lo, exec_lo, s62
.LBB50_37:                              ;   in Loop: Header=BB50_3 Depth=1
	s_and_not1_saveexec_b32 s61, s61
	s_cbranch_execz .LBB50_39
; %bb.38:                               ;   in Loop: Header=BB50_3 Depth=1
	v_lshl_add_u64 v[46:47], v[20:21], 3, v[44:45]
	global_load_b64 v[46:47], v[46:47], off
	s_wait_loadcnt 0x0
	v_pk_add_f32 v[46:47], v[46:47], 0 neg_lo:[1,1] neg_hi:[1,1]
	ds_store_b64 v88, v[46:47]
.LBB50_39:                              ;   in Loop: Header=BB50_3 Depth=1
	s_or_b32 exec_lo, exec_lo, s61
	v_readlane_b32 s10, v107, 19
	;; [unrolled: 23-line block ×3, first 2 shown]
	s_and_saveexec_b32 s61, s10
	s_delay_alu instid0(SALU_CYCLE_1)
	s_xor_b32 s61, exec_lo, s61
	s_cbranch_execz .LBB50_49
; %bb.46:                               ;   in Loop: Header=BB50_3 Depth=1
	v_readlane_b32 s10, v106, 2
	s_and_saveexec_b32 s62, s10
; %bb.47:                               ;   in Loop: Header=BB50_3 Depth=1
	ds_store_b64 v90, v[34:35]
; %bb.48:                               ;   in Loop: Header=BB50_3 Depth=1
	s_or_b32 exec_lo, exec_lo, s62
                                        ; implicit-def: $vgpr44_vgpr45
.LBB50_49:                              ;   in Loop: Header=BB50_3 Depth=1
	s_and_not1_saveexec_b32 s61, s61
	s_cbranch_execz .LBB50_51
; %bb.50:                               ;   in Loop: Header=BB50_3 Depth=1
	v_lshl_add_u64 v[44:45], v[26:27], 3, v[44:45]
	global_load_b64 v[44:45], v[44:45], off
	s_wait_loadcnt 0x0
	v_pk_add_f32 v[44:45], v[44:45], 0 neg_lo:[1,1] neg_hi:[1,1]
	ds_store_b64 v90, v[44:45]
.LBB50_51:                              ;   in Loop: Header=BB50_3 Depth=1
	s_or_b32 exec_lo, exec_lo, s61
.LBB50_52:                              ;   in Loop: Header=BB50_3 Depth=1
	s_delay_alu instid0(SALU_CYCLE_1)
	s_and_not1_b32 vcc_lo, exec_lo, s91
	s_wait_storecnt 0x0
	s_wait_loadcnt_dscnt 0x0
	s_barrier_signal -1
	s_barrier_wait -1
	s_cbranch_vccnz .LBB50_980
; %bb.53:                               ;   in Loop: Header=BB50_3 Depth=1
	s_and_saveexec_b32 s61, s11
	s_cbranch_execz .LBB50_55
; %bb.54:                               ;   in Loop: Header=BB50_3 Depth=1
	ds_load_b64 v[44:45], v5 offset:32752
	v_add_nc_u32_e64 v4, 0x7800, 0
	ds_store_b64 v5, v[36:37] offset:32760
	s_wait_dscnt 0x1
	ds_store_2addr_b64 v4, v[36:37], v[44:45] offset0:190 offset1:191
.LBB50_55:                              ;   in Loop: Header=BB50_3 Depth=1
	s_or_b32 exec_lo, exec_lo, s61
	v_dual_mov_b32 v44, 0 :: v_dual_mov_b32 v45, 0
	s_wait_dscnt 0x0
	s_barrier_signal -1
	s_barrier_wait -1
	global_wb scope:SCOPE_DEV
	s_wait_storecnt 0x0
	global_inv scope:SCOPE_DEV
	s_and_saveexec_b32 s62, s0
	s_cbranch_execz .LBB50_59
; %bb.56:                               ;   in Loop: Header=BB50_3 Depth=1
	ds_load_b64 v[44:45], v74 offset:32224
	ds_load_b64 v[46:47], v56 offset:32752
	s_wait_dscnt 0x0
	v_pk_mul_f32 v[48:49], v[46:47], v[44:45] op_sel:[1,1] op_sel_hi:[0,1]
	s_delay_alu instid0(VALU_DEP_1) | instskip(SKIP_1) | instid1(VALU_DEP_2)
	v_pk_fma_f32 v[98:99], v[46:47], v[44:45], v[48:49] op_sel_hi:[1,0,1]
	v_pk_fma_f32 v[44:45], v[46:47], v[44:45], v[48:49] neg_lo:[0,0,1] neg_hi:[0,0,1]
	v_mov_b32_e32 v45, v99
	s_delay_alu instid0(VALU_DEP_1)
	v_pk_add_f32 v[44:45], v[44:45], 0 op_sel_hi:[1,0]
	s_and_saveexec_b32 s61, s15
	s_cbranch_execz .LBB50_58
; %bb.57:                               ;   in Loop: Header=BB50_3 Depth=1
	ds_load_b64 v[46:47], v9 offset:32736
	ds_load_b64 v[48:49], v5 offset:32760
	s_wait_dscnt 0x0
	v_pk_mul_f32 v[98:99], v[48:49], v[46:47] op_sel:[1,1] op_sel_hi:[0,1]
	s_delay_alu instid0(VALU_DEP_1) | instskip(SKIP_1) | instid1(VALU_DEP_2)
	v_pk_fma_f32 v[100:101], v[48:49], v[46:47], v[98:99] op_sel_hi:[1,0,1]
	v_pk_fma_f32 v[46:47], v[48:49], v[46:47], v[98:99] neg_lo:[0,0,1] neg_hi:[0,0,1]
	v_mov_b32_e32 v47, v101
	s_delay_alu instid0(VALU_DEP_1)
	v_pk_add_f32 v[44:45], v[44:45], v[46:47]
.LBB50_58:                              ;   in Loop: Header=BB50_3 Depth=1
	s_or_b32 exec_lo, exec_lo, s61
.LBB50_59:                              ;   in Loop: Header=BB50_3 Depth=1
	s_delay_alu instid0(SALU_CYCLE_1)
	s_or_b32 exec_lo, exec_lo, s62
	s_and_saveexec_b32 s61, s92
; %bb.60:                               ;   in Loop: Header=BB50_3 Depth=1
	s_delay_alu instid0(VALU_DEP_1)
	v_pk_add_f32 v[46:47], v[44:45], 0 neg_lo:[1,1] neg_hi:[1,1]
	ds_store_b64 v75, v[46:47]
; %bb.61:                               ;   in Loop: Header=BB50_3 Depth=1
	s_or_b32 exec_lo, exec_lo, s61
	s_wait_loadcnt_dscnt 0x0
	s_barrier_signal -1
	s_barrier_wait -1
	s_and_saveexec_b32 s61, s93
	s_cbranch_execz .LBB50_63
; %bb.62:                               ;   in Loop: Header=BB50_3 Depth=1
	ds_load_b64 v[46:47], v5 offset:31712
	ds_load_b64 v[48:49], v75
	s_wait_dscnt 0x0
	v_pk_mul_f32 v[98:99], v[48:49], v[46:47] op_sel_hi:[1,0]
	s_delay_alu instid0(VALU_DEP_1) | instskip(SKIP_1) | instid1(VALU_DEP_2)
	v_pk_fma_f32 v[100:101], v[48:49], v[46:47], v[98:99] op_sel:[1,1,0] op_sel_hi:[0,1,1]
	v_pk_fma_f32 v[46:47], v[48:49], v[46:47], v[98:99] op_sel:[1,1,0] op_sel_hi:[0,1,1] neg_lo:[0,0,1] neg_hi:[0,0,1]
	v_pk_add_f32 v[48:49], v[44:45], v[100:101] neg_lo:[0,1] neg_hi:[0,1]
	s_delay_alu instid0(VALU_DEP_2) | instskip(NEXT) | instid1(VALU_DEP_2)
	v_pk_add_f32 v[44:45], v[44:45], v[46:47]
	v_mov_b32_e32 v45, v49
.LBB50_63:                              ;   in Loop: Header=BB50_3 Depth=1
	s_or_b32 exec_lo, exec_lo, s61
	s_barrier_signal -1
	s_barrier_wait -1
	s_and_saveexec_b32 s61, s93
; %bb.64:                               ;   in Loop: Header=BB50_3 Depth=1
	v_pk_add_f32 v[46:47], v[44:45], 0 neg_lo:[1,1] neg_hi:[1,1]
	ds_store_b64 v75, v[46:47]
; %bb.65:                               ;   in Loop: Header=BB50_3 Depth=1
	s_or_b32 exec_lo, exec_lo, s61
	s_wait_dscnt 0x0
	s_barrier_signal -1
	s_barrier_wait -1
	s_barrier_signal -1
	s_barrier_wait -1
	s_and_saveexec_b32 s61, s0
; %bb.66:                               ;   in Loop: Header=BB50_3 Depth=1
	ds_store_b64 v77, v[44:45] offset:32736
; %bb.67:                               ;   in Loop: Header=BB50_3 Depth=1
	s_or_b32 exec_lo, exec_lo, s61
	s_wait_dscnt 0x0
	s_barrier_signal -1
	s_barrier_wait -1
	s_barrier_signal -1
	s_barrier_wait -1
	s_and_saveexec_b32 s61, s94
	s_cbranch_execz .LBB50_69
; %bb.68:                               ;   in Loop: Header=BB50_3 Depth=1
	ds_load_b64 v[44:45], v50 offset:32224
	s_wait_dscnt 0x0
	ds_store_b64 v9, v[44:45] offset:31216
	ds_load_b64 v[44:45], v50 offset:32232
	s_wait_dscnt 0x0
	ds_store_b64 v9, v[44:45] offset:31728
.LBB50_69:                              ;   in Loop: Header=BB50_3 Depth=1
	s_or_b32 exec_lo, exec_lo, s61
	s_wait_dscnt 0x0
	s_barrier_signal -1
	s_barrier_wait -1
	s_and_saveexec_b32 s61, s11
	s_cbranch_execz .LBB50_71
; %bb.70:                               ;   in Loop: Header=BB50_3 Depth=1
	ds_load_b64 v[44:45], v5 offset:31712
	v_add_nc_u32_e64 v4, 0x7800, 0
	ds_store_b64 v5, v[36:37] offset:31720
	s_wait_dscnt 0x1
	ds_store_2addr_b64 v4, v[36:37], v[44:45] offset0:60 offset1:61
.LBB50_71:                              ;   in Loop: Header=BB50_3 Depth=1
	s_or_b32 exec_lo, exec_lo, s61
	v_mov_b64_e32 v[44:45], 0
	s_wait_dscnt 0x0
	s_barrier_signal -1
	s_barrier_wait -1
	global_wb scope:SCOPE_DEV
	s_wait_storecnt 0x0
	global_inv scope:SCOPE_DEV
	s_and_saveexec_b32 s62, s2
	s_cbranch_execz .LBB50_77
; %bb.72:                               ;   in Loop: Header=BB50_3 Depth=1
	ds_load_b64 v[44:45], v76 offset:31168
	ds_load_b64 v[46:47], v58 offset:32736
	s_wait_dscnt 0x0
	v_dual_mul_f32 v4, v47, v45 :: v_dual_mul_f32 v33, v46, v45
	s_delay_alu instid0(VALU_DEP_1) | instskip(NEXT) | instid1(VALU_DEP_1)
	v_dual_fma_f32 v4, v46, v44, -v4 :: v_dual_fmac_f32 v33, v47, v44
	v_dual_add_f32 v44, 0, v4 :: v_dual_add_f32 v45, 0, v33
	s_and_saveexec_b32 s61, s16
	s_cbranch_execnz .LBB50_1060
; %bb.73:                               ;   in Loop: Header=BB50_3 Depth=1
	s_or_b32 exec_lo, exec_lo, s61
	s_and_saveexec_b32 s61, s17
	s_cbranch_execnz .LBB50_1061
.LBB50_74:                              ;   in Loop: Header=BB50_3 Depth=1
	s_or_b32 exec_lo, exec_lo, s61
	s_and_saveexec_b32 s61, s0
	s_cbranch_execz .LBB50_76
.LBB50_75:                              ;   in Loop: Header=BB50_3 Depth=1
	ds_load_b64 v[46:47], v51 offset:32704
	ds_load_b64 v[48:49], v5 offset:32760
	s_wait_dscnt 0x0
	v_pk_mul_f32 v[98:99], v[48:49], v[46:47] op_sel:[1,1] op_sel_hi:[0,1]
	s_delay_alu instid0(VALU_DEP_1) | instskip(SKIP_1) | instid1(VALU_DEP_2)
	v_pk_fma_f32 v[100:101], v[48:49], v[46:47], v[98:99] op_sel_hi:[1,0,1]
	v_pk_fma_f32 v[46:47], v[48:49], v[46:47], v[98:99] neg_lo:[0,0,1] neg_hi:[0,0,1]
	v_mov_b32_e32 v47, v101
	s_delay_alu instid0(VALU_DEP_1)
	v_pk_add_f32 v[44:45], v[44:45], v[46:47]
.LBB50_76:                              ;   in Loop: Header=BB50_3 Depth=1
	s_or_b32 exec_lo, exec_lo, s61
.LBB50_77:                              ;   in Loop: Header=BB50_3 Depth=1
	s_delay_alu instid0(SALU_CYCLE_1)
	s_or_b32 exec_lo, exec_lo, s62
	s_and_saveexec_b32 s61, s95
; %bb.78:                               ;   in Loop: Header=BB50_3 Depth=1
	s_delay_alu instid0(VALU_DEP_1)
	v_pk_add_f32 v[46:47], v[44:45], 0 neg_lo:[1,1] neg_hi:[1,1]
	ds_store_b64 v79, v[46:47]
; %bb.79:                               ;   in Loop: Header=BB50_3 Depth=1
	s_or_b32 exec_lo, exec_lo, s61
	s_wait_loadcnt_dscnt 0x0
	s_barrier_signal -1
	s_barrier_wait -1
	s_and_saveexec_b32 s61, s96
	s_cbranch_execz .LBB50_81
; %bb.80:                               ;   in Loop: Header=BB50_3 Depth=1
	ds_load_b64 v[46:47], v76 offset:30656
	ds_load_b64 v[48:49], v79
	s_wait_dscnt 0x0
	v_pk_mul_f32 v[98:99], v[48:49], v[46:47] op_sel:[1,1] op_sel_hi:[0,1]
	s_delay_alu instid0(VALU_DEP_1) | instskip(SKIP_1) | instid1(VALU_DEP_2)
	v_pk_fma_f32 v[100:101], v[48:49], v[46:47], v[98:99] op_sel_hi:[1,0,1]
	v_pk_fma_f32 v[46:47], v[48:49], v[46:47], v[98:99] neg_lo:[0,0,1] neg_hi:[0,0,1]
	v_mov_b32_e32 v47, v101
	s_delay_alu instid0(VALU_DEP_1)
	v_pk_add_f32 v[44:45], v[44:45], v[46:47] neg_lo:[0,1] neg_hi:[0,1]
.LBB50_81:                              ;   in Loop: Header=BB50_3 Depth=1
	s_or_b32 exec_lo, exec_lo, s61
	s_barrier_signal -1
	s_barrier_wait -1
	s_and_saveexec_b32 s61, s97
; %bb.82:                               ;   in Loop: Header=BB50_3 Depth=1
	v_pk_add_f32 v[46:47], v[44:45], 0 neg_lo:[1,1] neg_hi:[1,1]
	ds_store_b64 v79, v[46:47]
; %bb.83:                               ;   in Loop: Header=BB50_3 Depth=1
	s_or_b32 exec_lo, exec_lo, s61
	s_wait_dscnt 0x0
	s_barrier_signal -1
	s_barrier_wait -1
	s_and_saveexec_b32 s61, s98
	s_cbranch_execz .LBB50_85
; %bb.84:                               ;   in Loop: Header=BB50_3 Depth=1
	ds_load_b64 v[46:47], v76 offset:30144
	ds_load_b64 v[48:49], v79
	s_wait_dscnt 0x0
	v_pk_mul_f32 v[98:99], v[48:49], v[46:47] op_sel:[1,1] op_sel_hi:[0,1]
	s_delay_alu instid0(VALU_DEP_1) | instskip(SKIP_1) | instid1(VALU_DEP_2)
	v_pk_fma_f32 v[100:101], v[48:49], v[46:47], v[98:99] op_sel_hi:[1,0,1]
	v_pk_fma_f32 v[46:47], v[48:49], v[46:47], v[98:99] neg_lo:[0,0,1] neg_hi:[0,0,1]
	v_mov_b32_e32 v47, v101
	s_delay_alu instid0(VALU_DEP_1)
	v_pk_add_f32 v[44:45], v[44:45], v[46:47] neg_lo:[0,1] neg_hi:[0,1]
.LBB50_85:                              ;   in Loop: Header=BB50_3 Depth=1
	s_or_b32 exec_lo, exec_lo, s61
	s_barrier_signal -1
	s_barrier_wait -1
	s_and_saveexec_b32 s61, s99
; %bb.86:                               ;   in Loop: Header=BB50_3 Depth=1
	v_pk_add_f32 v[46:47], v[44:45], 0 neg_lo:[1,1] neg_hi:[1,1]
	ds_store_b64 v79, v[46:47]
; %bb.87:                               ;   in Loop: Header=BB50_3 Depth=1
	s_or_b32 exec_lo, exec_lo, s61
	s_wait_dscnt 0x0
	s_barrier_signal -1
	s_barrier_wait -1
	s_and_saveexec_b32 s61, s100
	s_cbranch_execz .LBB50_89
; %bb.88:                               ;   in Loop: Header=BB50_3 Depth=1
	ds_load_b64 v[46:47], v5 offset:29632
	ds_load_b64 v[48:49], v79
	s_wait_dscnt 0x0
	v_pk_mul_f32 v[98:99], v[48:49], v[46:47] op_sel:[1,1] op_sel_hi:[0,1]
	s_delay_alu instid0(VALU_DEP_1) | instskip(SKIP_1) | instid1(VALU_DEP_2)
	v_pk_fma_f32 v[100:101], v[48:49], v[46:47], v[98:99] op_sel_hi:[1,0,1]
	v_pk_fma_f32 v[46:47], v[48:49], v[46:47], v[98:99] neg_lo:[0,0,1] neg_hi:[0,0,1]
	v_mov_b32_e32 v47, v101
	s_delay_alu instid0(VALU_DEP_1)
	v_pk_add_f32 v[44:45], v[44:45], v[46:47] neg_lo:[0,1] neg_hi:[0,1]
.LBB50_89:                              ;   in Loop: Header=BB50_3 Depth=1
	s_or_b32 exec_lo, exec_lo, s61
	s_barrier_signal -1
	s_barrier_wait -1
	s_and_saveexec_b32 s61, s100
; %bb.90:                               ;   in Loop: Header=BB50_3 Depth=1
	v_pk_add_f32 v[46:47], v[44:45], 0 neg_lo:[1,1] neg_hi:[1,1]
	ds_store_b64 v79, v[46:47]
; %bb.91:                               ;   in Loop: Header=BB50_3 Depth=1
	s_or_b32 exec_lo, exec_lo, s61
	s_wait_dscnt 0x0
	s_barrier_signal -1
	s_barrier_wait -1
	s_barrier_signal -1
	s_barrier_wait -1
	s_and_saveexec_b32 s61, s2
; %bb.92:                               ;   in Loop: Header=BB50_3 Depth=1
	ds_store_b64 v81, v[44:45] offset:32704
; %bb.93:                               ;   in Loop: Header=BB50_3 Depth=1
	s_or_b32 exec_lo, exec_lo, s61
	s_wait_dscnt 0x0
	s_barrier_signal -1
	s_barrier_wait -1
	s_barrier_signal -1
	s_barrier_wait -1
	s_and_saveexec_b32 s61, s101
	s_cbranch_execz .LBB50_95
; %bb.94:                               ;   in Loop: Header=BB50_3 Depth=1
	ds_load_b64 v[44:45], v52 offset:31168
	s_wait_dscnt 0x0
	ds_store_b64 v53, v[44:45] offset:29152
	ds_load_b64 v[44:45], v52 offset:31176
	s_wait_dscnt 0x0
	ds_store_b64 v53, v[44:45] offset:29664
	;; [unrolled: 3-line block ×4, first 2 shown]
.LBB50_95:                              ;   in Loop: Header=BB50_3 Depth=1
	s_or_b32 exec_lo, exec_lo, s61
	s_wait_dscnt 0x0
	s_barrier_signal -1
	s_barrier_wait -1
	s_and_saveexec_b32 s61, s11
	s_cbranch_execz .LBB50_97
; %bb.96:                               ;   in Loop: Header=BB50_3 Depth=1
	ds_load_b64 v[44:45], v5 offset:30672
	v_add_nc_u32_e64 v4, 0x7000, 0
	ds_store_b64 v5, v[36:37] offset:30680
	s_wait_dscnt 0x1
	ds_store_2addr_b64 v4, v[36:37], v[44:45] offset0:186 offset1:187
.LBB50_97:                              ;   in Loop: Header=BB50_3 Depth=1
	s_or_b32 exec_lo, exec_lo, s61
	v_dual_mov_b32 v44, 0 :: v_dual_mov_b32 v45, 0
	s_wait_dscnt 0x0
	s_barrier_signal -1
	s_barrier_wait -1
	global_wb scope:SCOPE_DEV
	s_wait_storecnt 0x0
	global_inv scope:SCOPE_DEV
	s_and_saveexec_b32 s62, s0
	s_cbranch_execz .LBB50_101
; %bb.98:                               ;   in Loop: Header=BB50_3 Depth=1
	ds_load_b64 v[44:45], v74 offset:30144
	ds_load_b64 v[46:47], v56 offset:30672
	s_wait_dscnt 0x0
	v_pk_mul_f32 v[48:49], v[46:47], v[44:45] op_sel:[1,1] op_sel_hi:[0,1]
	s_delay_alu instid0(VALU_DEP_1) | instskip(SKIP_1) | instid1(VALU_DEP_2)
	v_pk_fma_f32 v[98:99], v[46:47], v[44:45], v[48:49] op_sel_hi:[1,0,1]
	v_pk_fma_f32 v[44:45], v[46:47], v[44:45], v[48:49] neg_lo:[0,0,1] neg_hi:[0,0,1]
	v_mov_b32_e32 v45, v99
	s_delay_alu instid0(VALU_DEP_1)
	v_pk_add_f32 v[44:45], v[44:45], 0 op_sel_hi:[1,0]
	s_and_saveexec_b32 s61, s15
	s_cbranch_execz .LBB50_100
; %bb.99:                               ;   in Loop: Header=BB50_3 Depth=1
	ds_load_b64 v[46:47], v53 offset:30656
	ds_load_b64 v[48:49], v5 offset:30680
	s_wait_dscnt 0x0
	v_pk_mul_f32 v[98:99], v[48:49], v[46:47] op_sel:[1,1] op_sel_hi:[0,1]
	s_delay_alu instid0(VALU_DEP_1) | instskip(SKIP_1) | instid1(VALU_DEP_2)
	v_pk_fma_f32 v[100:101], v[48:49], v[46:47], v[98:99] op_sel_hi:[1,0,1]
	v_pk_fma_f32 v[46:47], v[48:49], v[46:47], v[98:99] neg_lo:[0,0,1] neg_hi:[0,0,1]
	v_mov_b32_e32 v47, v101
	s_delay_alu instid0(VALU_DEP_1)
	v_pk_add_f32 v[44:45], v[44:45], v[46:47]
.LBB50_100:                             ;   in Loop: Header=BB50_3 Depth=1
	s_or_b32 exec_lo, exec_lo, s61
.LBB50_101:                             ;   in Loop: Header=BB50_3 Depth=1
	s_delay_alu instid0(SALU_CYCLE_1)
	s_or_b32 exec_lo, exec_lo, s62
	s_and_saveexec_b32 s61, s92
; %bb.102:                              ;   in Loop: Header=BB50_3 Depth=1
	s_delay_alu instid0(VALU_DEP_1)
	v_pk_add_f32 v[46:47], v[44:45], 0 neg_lo:[1,1] neg_hi:[1,1]
	ds_store_b64 v75, v[46:47]
; %bb.103:                              ;   in Loop: Header=BB50_3 Depth=1
	s_or_b32 exec_lo, exec_lo, s61
	s_wait_loadcnt_dscnt 0x0
	s_barrier_signal -1
	s_barrier_wait -1
	s_and_saveexec_b32 s61, s93
	s_cbranch_execz .LBB50_105
; %bb.104:                              ;   in Loop: Header=BB50_3 Depth=1
	ds_load_b64 v[46:47], v5 offset:29632
	ds_load_b64 v[48:49], v75
	s_wait_dscnt 0x0
	v_pk_mul_f32 v[98:99], v[48:49], v[46:47] op_sel_hi:[1,0]
	s_delay_alu instid0(VALU_DEP_1) | instskip(SKIP_1) | instid1(VALU_DEP_2)
	v_pk_fma_f32 v[100:101], v[48:49], v[46:47], v[98:99] op_sel:[1,1,0] op_sel_hi:[0,1,1]
	v_pk_fma_f32 v[46:47], v[48:49], v[46:47], v[98:99] op_sel:[1,1,0] op_sel_hi:[0,1,1] neg_lo:[0,0,1] neg_hi:[0,0,1]
	v_pk_add_f32 v[48:49], v[44:45], v[100:101] neg_lo:[0,1] neg_hi:[0,1]
	s_delay_alu instid0(VALU_DEP_2) | instskip(NEXT) | instid1(VALU_DEP_2)
	v_pk_add_f32 v[44:45], v[44:45], v[46:47]
	v_mov_b32_e32 v45, v49
.LBB50_105:                             ;   in Loop: Header=BB50_3 Depth=1
	s_or_b32 exec_lo, exec_lo, s61
	s_barrier_signal -1
	s_barrier_wait -1
	s_and_saveexec_b32 s61, s93
; %bb.106:                              ;   in Loop: Header=BB50_3 Depth=1
	v_pk_add_f32 v[46:47], v[44:45], 0 neg_lo:[1,1] neg_hi:[1,1]
	ds_store_b64 v75, v[46:47]
; %bb.107:                              ;   in Loop: Header=BB50_3 Depth=1
	s_or_b32 exec_lo, exec_lo, s61
	s_wait_dscnt 0x0
	s_barrier_signal -1
	s_barrier_wait -1
	s_barrier_signal -1
	s_barrier_wait -1
	s_and_saveexec_b32 s61, s0
; %bb.108:                              ;   in Loop: Header=BB50_3 Depth=1
	ds_store_b64 v77, v[44:45] offset:30656
; %bb.109:                              ;   in Loop: Header=BB50_3 Depth=1
	s_or_b32 exec_lo, exec_lo, s61
	s_wait_dscnt 0x0
	s_barrier_signal -1
	s_barrier_wait -1
	s_barrier_signal -1
	s_barrier_wait -1
	s_and_saveexec_b32 s61, s94
	s_cbranch_execz .LBB50_111
; %bb.110:                              ;   in Loop: Header=BB50_3 Depth=1
	ds_load_b64 v[44:45], v54 offset:30144
	s_wait_dscnt 0x0
	ds_store_b64 v53, v[44:45] offset:29136
	ds_load_b64 v[44:45], v54 offset:30152
	s_wait_dscnt 0x0
	ds_store_b64 v53, v[44:45] offset:29648
.LBB50_111:                             ;   in Loop: Header=BB50_3 Depth=1
	s_or_b32 exec_lo, exec_lo, s61
	s_wait_dscnt 0x0
	s_barrier_signal -1
	s_barrier_wait -1
	s_and_saveexec_b32 s61, s11
	s_cbranch_execz .LBB50_113
; %bb.112:                              ;   in Loop: Header=BB50_3 Depth=1
	ds_load_b64 v[44:45], v5 offset:29632
	v_add_nc_u32_e64 v4, 0x7000, 0
	ds_store_b64 v5, v[36:37] offset:29640
	s_wait_dscnt 0x1
	ds_store_2addr_b64 v4, v[36:37], v[44:45] offset0:56 offset1:57
.LBB50_113:                             ;   in Loop: Header=BB50_3 Depth=1
	s_or_b32 exec_lo, exec_lo, s61
	v_mov_b64_e32 v[44:45], 0
	s_wait_dscnt 0x0
	s_barrier_signal -1
	s_barrier_wait -1
	global_wb scope:SCOPE_DEV
	s_wait_storecnt 0x0
	global_inv scope:SCOPE_DEV
	s_and_saveexec_b32 s62, s3
	s_cbranch_execz .LBB50_123
; %bb.114:                              ;   in Loop: Header=BB50_3 Depth=1
	ds_load_b64 v[44:45], v78 offset:29056
	ds_load_b64 v[46:47], v62 offset:32704
	s_wait_dscnt 0x0
	v_dual_mul_f32 v4, v47, v45 :: v_dual_mul_f32 v33, v46, v45
	s_delay_alu instid0(VALU_DEP_1) | instskip(NEXT) | instid1(VALU_DEP_1)
	v_dual_fma_f32 v4, v46, v44, -v4 :: v_dual_fmac_f32 v33, v47, v44
	v_dual_add_f32 v44, 0, v4 :: v_dual_add_f32 v45, 0, v33
	s_and_saveexec_b32 s61, s18
	s_cbranch_execnz .LBB50_1062
; %bb.115:                              ;   in Loop: Header=BB50_3 Depth=1
	s_or_b32 exec_lo, exec_lo, s61
	s_and_saveexec_b32 s61, s19
	s_cbranch_execnz .LBB50_1063
.LBB50_116:                             ;   in Loop: Header=BB50_3 Depth=1
	s_or_b32 exec_lo, exec_lo, s61
	s_and_saveexec_b32 s61, s20
	s_cbranch_execnz .LBB50_1064
.LBB50_117:                             ;   in Loop: Header=BB50_3 Depth=1
	s_or_b32 exec_lo, exec_lo, s61
	s_and_saveexec_b32 s61, s21
	s_cbranch_execnz .LBB50_1065
.LBB50_118:                             ;   in Loop: Header=BB50_3 Depth=1
	s_or_b32 exec_lo, exec_lo, s61
	s_and_saveexec_b32 s61, s22
	s_cbranch_execnz .LBB50_1066
.LBB50_119:                             ;   in Loop: Header=BB50_3 Depth=1
	s_or_b32 exec_lo, exec_lo, s61
	s_and_saveexec_b32 s61, s2
	s_cbranch_execnz .LBB50_1067
.LBB50_120:                             ;   in Loop: Header=BB50_3 Depth=1
	s_or_b32 exec_lo, exec_lo, s61
	s_and_saveexec_b32 s61, s17
	s_cbranch_execz .LBB50_122
.LBB50_121:                             ;   in Loop: Header=BB50_3 Depth=1
	ds_load_b64 v[46:47], v55 offset:32640
	ds_load_b64 v[48:49], v5 offset:32760
	s_wait_dscnt 0x0
	v_pk_mul_f32 v[98:99], v[48:49], v[46:47] op_sel:[1,1] op_sel_hi:[0,1]
	s_delay_alu instid0(VALU_DEP_1) | instskip(SKIP_1) | instid1(VALU_DEP_2)
	v_pk_fma_f32 v[100:101], v[48:49], v[46:47], v[98:99] op_sel_hi:[1,0,1]
	v_pk_fma_f32 v[46:47], v[48:49], v[46:47], v[98:99] neg_lo:[0,0,1] neg_hi:[0,0,1]
	v_mov_b32_e32 v47, v101
	s_delay_alu instid0(VALU_DEP_1)
	v_pk_add_f32 v[44:45], v[44:45], v[46:47]
.LBB50_122:                             ;   in Loop: Header=BB50_3 Depth=1
	s_or_b32 exec_lo, exec_lo, s61
.LBB50_123:                             ;   in Loop: Header=BB50_3 Depth=1
	s_delay_alu instid0(SALU_CYCLE_1)
	s_or_b32 exec_lo, exec_lo, s62
	s_and_saveexec_b32 s61, s102
; %bb.124:                              ;   in Loop: Header=BB50_3 Depth=1
	s_delay_alu instid0(VALU_DEP_1)
	v_pk_add_f32 v[46:47], v[44:45], 0 neg_lo:[1,1] neg_hi:[1,1]
	ds_store_b64 v82, v[46:47]
; %bb.125:                              ;   in Loop: Header=BB50_3 Depth=1
	s_or_b32 exec_lo, exec_lo, s61
	s_wait_loadcnt_dscnt 0x0
	s_barrier_signal -1
	s_barrier_wait -1
	s_and_saveexec_b32 s61, s103
	s_cbranch_execz .LBB50_127
; %bb.126:                              ;   in Loop: Header=BB50_3 Depth=1
	ds_load_b64 v[46:47], v78 offset:28544
	ds_load_b64 v[48:49], v82
	s_wait_dscnt 0x0
	v_pk_mul_f32 v[98:99], v[48:49], v[46:47] op_sel:[1,1] op_sel_hi:[0,1]
	s_delay_alu instid0(VALU_DEP_1) | instskip(SKIP_1) | instid1(VALU_DEP_2)
	v_pk_fma_f32 v[100:101], v[48:49], v[46:47], v[98:99] op_sel_hi:[1,0,1]
	v_pk_fma_f32 v[46:47], v[48:49], v[46:47], v[98:99] neg_lo:[0,0,1] neg_hi:[0,0,1]
	v_mov_b32_e32 v47, v101
	s_delay_alu instid0(VALU_DEP_1)
	v_pk_add_f32 v[44:45], v[44:45], v[46:47] neg_lo:[0,1] neg_hi:[0,1]
.LBB50_127:                             ;   in Loop: Header=BB50_3 Depth=1
	s_or_b32 exec_lo, exec_lo, s61
	s_barrier_signal -1
	s_barrier_wait -1
	s_and_saveexec_b32 s61, s104
; %bb.128:                              ;   in Loop: Header=BB50_3 Depth=1
	v_pk_add_f32 v[46:47], v[44:45], 0 neg_lo:[1,1] neg_hi:[1,1]
	ds_store_b64 v82, v[46:47]
; %bb.129:                              ;   in Loop: Header=BB50_3 Depth=1
	s_or_b32 exec_lo, exec_lo, s61
	s_wait_dscnt 0x0
	s_barrier_signal -1
	s_barrier_wait -1
	s_and_saveexec_b32 s61, vcc_hi
	s_cbranch_execz .LBB50_131
; %bb.130:                              ;   in Loop: Header=BB50_3 Depth=1
	ds_load_b64 v[46:47], v78 offset:28032
	ds_load_b64 v[48:49], v82
	s_wait_dscnt 0x0
	v_dual_mul_f32 v4, v49, v47 :: v_dual_mul_f32 v33, v48, v47
	s_delay_alu instid0(VALU_DEP_1) | instskip(NEXT) | instid1(VALU_DEP_1)
	v_dual_fma_f32 v4, v48, v46, -v4 :: v_dual_fmac_f32 v33, v49, v46
	v_dual_sub_f32 v44, v44, v4 :: v_dual_sub_f32 v45, v45, v33
.LBB50_131:                             ;   in Loop: Header=BB50_3 Depth=1
	s_or_b32 exec_lo, exec_lo, s61
	s_barrier_signal -1
	s_barrier_wait -1
	s_and_saveexec_b32 s61, s39
; %bb.132:                              ;   in Loop: Header=BB50_3 Depth=1
	v_pk_add_f32 v[46:47], v[44:45], 0 neg_lo:[1,1] neg_hi:[1,1]
	ds_store_b64 v82, v[46:47]
; %bb.133:                              ;   in Loop: Header=BB50_3 Depth=1
	s_or_b32 exec_lo, exec_lo, s61
	s_wait_dscnt 0x0
	s_barrier_signal -1
	s_barrier_wait -1
	s_and_saveexec_b32 s61, s40
	s_cbranch_execz .LBB50_135
; %bb.134:                              ;   in Loop: Header=BB50_3 Depth=1
	ds_load_b64 v[46:47], v78 offset:27520
	ds_load_b64 v[48:49], v82
	s_wait_dscnt 0x0
	v_dual_mul_f32 v4, v49, v47 :: v_dual_mul_f32 v99, v48, v47
	s_delay_alu instid0(VALU_DEP_1) | instskip(NEXT) | instid1(VALU_DEP_1)
	v_dual_fma_f32 v98, v48, v46, -v4 :: v_dual_fmac_f32 v99, v49, v46
	v_pk_add_f32 v[44:45], v[44:45], v[98:99] neg_lo:[0,1] neg_hi:[0,1]
.LBB50_135:                             ;   in Loop: Header=BB50_3 Depth=1
	s_or_b32 exec_lo, exec_lo, s61
	s_barrier_signal -1
	s_barrier_wait -1
	s_and_saveexec_b32 s61, s41
; %bb.136:                              ;   in Loop: Header=BB50_3 Depth=1
	v_pk_add_f32 v[46:47], v[44:45], 0 neg_lo:[1,1] neg_hi:[1,1]
	ds_store_b64 v82, v[46:47]
; %bb.137:                              ;   in Loop: Header=BB50_3 Depth=1
	s_or_b32 exec_lo, exec_lo, s61
	s_wait_dscnt 0x0
	s_barrier_signal -1
	s_barrier_wait -1
	s_and_saveexec_b32 s61, s42
	s_cbranch_execz .LBB50_139
; %bb.138:                              ;   in Loop: Header=BB50_3 Depth=1
	ds_load_b64 v[46:47], v78 offset:27008
	ds_load_b64 v[48:49], v82
	s_wait_dscnt 0x0
	v_pk_mul_f32 v[98:99], v[48:49], v[46:47] op_sel:[1,1] op_sel_hi:[0,1]
	s_delay_alu instid0(VALU_DEP_1) | instskip(SKIP_1) | instid1(VALU_DEP_2)
	v_pk_fma_f32 v[100:101], v[48:49], v[46:47], v[98:99] op_sel_hi:[1,0,1]
	v_pk_fma_f32 v[46:47], v[48:49], v[46:47], v[98:99] neg_lo:[0,0,1] neg_hi:[0,0,1]
	v_mov_b32_e32 v47, v101
	s_delay_alu instid0(VALU_DEP_1)
	v_pk_add_f32 v[44:45], v[44:45], v[46:47] neg_lo:[0,1] neg_hi:[0,1]
.LBB50_139:                             ;   in Loop: Header=BB50_3 Depth=1
	s_or_b32 exec_lo, exec_lo, s61
	s_barrier_signal -1
	s_barrier_wait -1
	s_and_saveexec_b32 s61, s43
; %bb.140:                              ;   in Loop: Header=BB50_3 Depth=1
	v_pk_add_f32 v[46:47], v[44:45], 0 neg_lo:[1,1] neg_hi:[1,1]
	ds_store_b64 v82, v[46:47]
; %bb.141:                              ;   in Loop: Header=BB50_3 Depth=1
	s_or_b32 exec_lo, exec_lo, s61
	s_wait_dscnt 0x0
	s_barrier_signal -1
	s_barrier_wait -1
	s_and_saveexec_b32 s61, s44
	s_cbranch_execz .LBB50_143
; %bb.142:                              ;   in Loop: Header=BB50_3 Depth=1
	ds_load_b64 v[46:47], v78 offset:26496
	ds_load_b64 v[48:49], v82
	s_wait_dscnt 0x0
	v_pk_mul_f32 v[98:99], v[48:49], v[46:47] op_sel:[1,1] op_sel_hi:[0,1]
	s_delay_alu instid0(VALU_DEP_1) | instskip(SKIP_1) | instid1(VALU_DEP_2)
	v_pk_fma_f32 v[100:101], v[48:49], v[46:47], v[98:99] op_sel_hi:[1,0,1]
	v_pk_fma_f32 v[46:47], v[48:49], v[46:47], v[98:99] neg_lo:[0,0,1] neg_hi:[0,0,1]
	v_mov_b32_e32 v47, v101
	s_delay_alu instid0(VALU_DEP_1)
	v_pk_add_f32 v[44:45], v[44:45], v[46:47] neg_lo:[0,1] neg_hi:[0,1]
.LBB50_143:                             ;   in Loop: Header=BB50_3 Depth=1
	;; [unrolled: 26-line block ×4, first 2 shown]
	s_or_b32 exec_lo, exec_lo, s61
	s_barrier_signal -1
	s_barrier_wait -1
	s_and_saveexec_b32 s61, s48
; %bb.152:                              ;   in Loop: Header=BB50_3 Depth=1
	v_pk_add_f32 v[46:47], v[44:45], 0 neg_lo:[1,1] neg_hi:[1,1]
	ds_store_b64 v82, v[46:47]
; %bb.153:                              ;   in Loop: Header=BB50_3 Depth=1
	s_or_b32 exec_lo, exec_lo, s61
	s_wait_dscnt 0x0
	s_barrier_signal -1
	s_barrier_wait -1
	s_barrier_signal -1
	s_barrier_wait -1
	s_and_saveexec_b32 s61, s3
; %bb.154:                              ;   in Loop: Header=BB50_3 Depth=1
	ds_store_b64 v83, v[44:45] offset:32640
; %bb.155:                              ;   in Loop: Header=BB50_3 Depth=1
	s_or_b32 exec_lo, exec_lo, s61
	s_wait_dscnt 0x0
	s_barrier_signal -1
	s_barrier_wait -1
	s_barrier_signal -1
	s_barrier_wait -1
	s_and_saveexec_b32 s61, s49
	s_cbranch_execz .LBB50_157
; %bb.156:                              ;   in Loop: Header=BB50_3 Depth=1
	ds_load_b64 v[44:45], v57 offset:29056
	s_wait_dscnt 0x0
	ds_store_b64 v59, v[44:45] offset:25024
	ds_load_b64 v[44:45], v57 offset:29064
	s_wait_dscnt 0x0
	ds_store_b64 v59, v[44:45] offset:25536
	ds_load_b64 v[44:45], v57 offset:29072
	s_wait_dscnt 0x0
	ds_store_b64 v59, v[44:45] offset:26048
	ds_load_b64 v[44:45], v57 offset:29080
	s_wait_dscnt 0x0
	ds_store_b64 v59, v[44:45] offset:26560
	ds_load_b64 v[44:45], v57 offset:29088
	s_wait_dscnt 0x0
	ds_store_b64 v59, v[44:45] offset:27072
	ds_load_b64 v[44:45], v57 offset:29096
	s_wait_dscnt 0x0
	ds_store_b64 v59, v[44:45] offset:27584
	ds_load_b64 v[44:45], v57 offset:29104
	s_wait_dscnt 0x0
	ds_store_b64 v59, v[44:45] offset:28096
	ds_load_b64 v[44:45], v57 offset:29112
	s_wait_dscnt 0x0
	ds_store_b64 v59, v[44:45] offset:28608
.LBB50_157:                             ;   in Loop: Header=BB50_3 Depth=1
	s_or_b32 exec_lo, exec_lo, s61
	s_wait_dscnt 0x0
	s_barrier_signal -1
	s_barrier_wait -1
	s_and_saveexec_b32 s61, s11
	s_cbranch_execz .LBB50_159
; %bb.158:                              ;   in Loop: Header=BB50_3 Depth=1
	ds_load_b64 v[44:45], v5 offset:28592
	v_add_nc_u32_e64 v4, 0x6800, 0
	ds_store_b64 v5, v[36:37] offset:28600
	s_wait_dscnt 0x1
	ds_store_2addr_b64 v4, v[36:37], v[44:45] offset0:182 offset1:183
.LBB50_159:                             ;   in Loop: Header=BB50_3 Depth=1
	s_or_b32 exec_lo, exec_lo, s61
	v_dual_mov_b32 v44, 0 :: v_dual_mov_b32 v45, 0
	s_wait_dscnt 0x0
	s_barrier_signal -1
	s_barrier_wait -1
	global_wb scope:SCOPE_DEV
	s_wait_storecnt 0x0
	global_inv scope:SCOPE_DEV
	s_and_saveexec_b32 s62, s0
	s_cbranch_execz .LBB50_163
; %bb.160:                              ;   in Loop: Header=BB50_3 Depth=1
	ds_load_b64 v[44:45], v74 offset:28064
	ds_load_b64 v[46:47], v56 offset:28592
	s_wait_dscnt 0x0
	v_pk_mul_f32 v[48:49], v[46:47], v[44:45] op_sel:[1,1] op_sel_hi:[0,1]
	s_delay_alu instid0(VALU_DEP_1) | instskip(SKIP_1) | instid1(VALU_DEP_2)
	v_pk_fma_f32 v[98:99], v[46:47], v[44:45], v[48:49] op_sel_hi:[1,0,1]
	v_pk_fma_f32 v[44:45], v[46:47], v[44:45], v[48:49] neg_lo:[0,0,1] neg_hi:[0,0,1]
	v_mov_b32_e32 v45, v99
	s_delay_alu instid0(VALU_DEP_1)
	v_pk_add_f32 v[44:45], v[44:45], 0 op_sel_hi:[1,0]
	s_and_saveexec_b32 s61, s15
	s_cbranch_execz .LBB50_162
; %bb.161:                              ;   in Loop: Header=BB50_3 Depth=1
	ds_load_b64 v[46:47], v59 offset:28576
	ds_load_b64 v[48:49], v5 offset:28600
	s_wait_dscnt 0x0
	v_pk_mul_f32 v[98:99], v[48:49], v[46:47] op_sel:[1,1] op_sel_hi:[0,1]
	s_delay_alu instid0(VALU_DEP_1) | instskip(SKIP_1) | instid1(VALU_DEP_2)
	v_pk_fma_f32 v[100:101], v[48:49], v[46:47], v[98:99] op_sel_hi:[1,0,1]
	v_pk_fma_f32 v[46:47], v[48:49], v[46:47], v[98:99] neg_lo:[0,0,1] neg_hi:[0,0,1]
	v_mov_b32_e32 v47, v101
	s_delay_alu instid0(VALU_DEP_1)
	v_pk_add_f32 v[44:45], v[44:45], v[46:47]
.LBB50_162:                             ;   in Loop: Header=BB50_3 Depth=1
	s_or_b32 exec_lo, exec_lo, s61
.LBB50_163:                             ;   in Loop: Header=BB50_3 Depth=1
	s_delay_alu instid0(SALU_CYCLE_1)
	s_or_b32 exec_lo, exec_lo, s62
	s_and_saveexec_b32 s61, s92
; %bb.164:                              ;   in Loop: Header=BB50_3 Depth=1
	s_delay_alu instid0(VALU_DEP_1)
	v_pk_add_f32 v[46:47], v[44:45], 0 neg_lo:[1,1] neg_hi:[1,1]
	ds_store_b64 v75, v[46:47]
; %bb.165:                              ;   in Loop: Header=BB50_3 Depth=1
	s_or_b32 exec_lo, exec_lo, s61
	s_wait_loadcnt_dscnt 0x0
	s_barrier_signal -1
	s_barrier_wait -1
	s_and_saveexec_b32 s61, s93
	s_cbranch_execz .LBB50_167
; %bb.166:                              ;   in Loop: Header=BB50_3 Depth=1
	ds_load_b64 v[46:47], v5 offset:27552
	ds_load_b64 v[48:49], v75
	s_wait_dscnt 0x0
	v_pk_mul_f32 v[98:99], v[48:49], v[46:47] op_sel_hi:[1,0]
	s_delay_alu instid0(VALU_DEP_1) | instskip(SKIP_1) | instid1(VALU_DEP_2)
	v_pk_fma_f32 v[100:101], v[48:49], v[46:47], v[98:99] op_sel:[1,1,0] op_sel_hi:[0,1,1]
	v_pk_fma_f32 v[46:47], v[48:49], v[46:47], v[98:99] op_sel:[1,1,0] op_sel_hi:[0,1,1] neg_lo:[0,0,1] neg_hi:[0,0,1]
	v_pk_add_f32 v[48:49], v[44:45], v[100:101] neg_lo:[0,1] neg_hi:[0,1]
	s_delay_alu instid0(VALU_DEP_2) | instskip(NEXT) | instid1(VALU_DEP_2)
	v_pk_add_f32 v[44:45], v[44:45], v[46:47]
	v_mov_b32_e32 v45, v49
.LBB50_167:                             ;   in Loop: Header=BB50_3 Depth=1
	s_or_b32 exec_lo, exec_lo, s61
	s_barrier_signal -1
	s_barrier_wait -1
	s_and_saveexec_b32 s61, s93
; %bb.168:                              ;   in Loop: Header=BB50_3 Depth=1
	v_pk_add_f32 v[46:47], v[44:45], 0 neg_lo:[1,1] neg_hi:[1,1]
	ds_store_b64 v75, v[46:47]
; %bb.169:                              ;   in Loop: Header=BB50_3 Depth=1
	s_or_b32 exec_lo, exec_lo, s61
	s_wait_dscnt 0x0
	s_barrier_signal -1
	s_barrier_wait -1
	s_barrier_signal -1
	s_barrier_wait -1
	s_and_saveexec_b32 s61, s0
; %bb.170:                              ;   in Loop: Header=BB50_3 Depth=1
	ds_store_b64 v77, v[44:45] offset:28576
; %bb.171:                              ;   in Loop: Header=BB50_3 Depth=1
	s_or_b32 exec_lo, exec_lo, s61
	s_wait_dscnt 0x0
	s_barrier_signal -1
	s_barrier_wait -1
	s_barrier_signal -1
	s_barrier_wait -1
	s_and_saveexec_b32 s61, s94
	s_cbranch_execz .LBB50_173
; %bb.172:                              ;   in Loop: Header=BB50_3 Depth=1
	ds_load_b64 v[44:45], v61 offset:28064
	s_wait_dscnt 0x0
	ds_store_b64 v59, v[44:45] offset:27056
	ds_load_b64 v[44:45], v61 offset:28072
	s_wait_dscnt 0x0
	ds_store_b64 v59, v[44:45] offset:27568
.LBB50_173:                             ;   in Loop: Header=BB50_3 Depth=1
	s_or_b32 exec_lo, exec_lo, s61
	s_wait_dscnt 0x0
	s_barrier_signal -1
	s_barrier_wait -1
	s_and_saveexec_b32 s61, s11
	s_cbranch_execz .LBB50_175
; %bb.174:                              ;   in Loop: Header=BB50_3 Depth=1
	ds_load_b64 v[44:45], v5 offset:27552
	v_add_nc_u32_e64 v4, 0x6800, 0
	ds_store_b64 v5, v[36:37] offset:27560
	s_wait_dscnt 0x1
	ds_store_2addr_b64 v4, v[36:37], v[44:45] offset0:52 offset1:53
.LBB50_175:                             ;   in Loop: Header=BB50_3 Depth=1
	s_or_b32 exec_lo, exec_lo, s61
	v_mov_b64_e32 v[44:45], 0
	s_wait_dscnt 0x0
	s_barrier_signal -1
	s_barrier_wait -1
	global_wb scope:SCOPE_DEV
	s_wait_storecnt 0x0
	global_inv scope:SCOPE_DEV
	s_and_saveexec_b32 s62, s2
	s_cbranch_execz .LBB50_181
; %bb.176:                              ;   in Loop: Header=BB50_3 Depth=1
	ds_load_b64 v[44:45], v76 offset:27008
	ds_load_b64 v[46:47], v58 offset:28576
	s_wait_dscnt 0x0
	v_dual_mul_f32 v4, v47, v45 :: v_dual_mul_f32 v33, v46, v45
	s_delay_alu instid0(VALU_DEP_1) | instskip(NEXT) | instid1(VALU_DEP_1)
	v_dual_fma_f32 v4, v46, v44, -v4 :: v_dual_fmac_f32 v33, v47, v44
	v_dual_add_f32 v44, 0, v4 :: v_dual_add_f32 v45, 0, v33
	s_and_saveexec_b32 s61, s16
	s_cbranch_execnz .LBB50_1068
; %bb.177:                              ;   in Loop: Header=BB50_3 Depth=1
	s_or_b32 exec_lo, exec_lo, s61
	s_and_saveexec_b32 s61, s17
	s_cbranch_execnz .LBB50_1069
.LBB50_178:                             ;   in Loop: Header=BB50_3 Depth=1
	s_or_b32 exec_lo, exec_lo, s61
	s_and_saveexec_b32 s61, s0
	s_cbranch_execz .LBB50_180
.LBB50_179:                             ;   in Loop: Header=BB50_3 Depth=1
	ds_load_b64 v[46:47], v65 offset:28544
	ds_load_b64 v[48:49], v5 offset:28600
	s_wait_dscnt 0x0
	v_pk_mul_f32 v[98:99], v[48:49], v[46:47] op_sel:[1,1] op_sel_hi:[0,1]
	s_delay_alu instid0(VALU_DEP_1) | instskip(SKIP_1) | instid1(VALU_DEP_2)
	v_pk_fma_f32 v[100:101], v[48:49], v[46:47], v[98:99] op_sel_hi:[1,0,1]
	v_pk_fma_f32 v[46:47], v[48:49], v[46:47], v[98:99] neg_lo:[0,0,1] neg_hi:[0,0,1]
	v_mov_b32_e32 v47, v101
	s_delay_alu instid0(VALU_DEP_1)
	v_pk_add_f32 v[44:45], v[44:45], v[46:47]
.LBB50_180:                             ;   in Loop: Header=BB50_3 Depth=1
	s_or_b32 exec_lo, exec_lo, s61
.LBB50_181:                             ;   in Loop: Header=BB50_3 Depth=1
	s_delay_alu instid0(SALU_CYCLE_1)
	s_or_b32 exec_lo, exec_lo, s62
	s_and_saveexec_b32 s61, s95
; %bb.182:                              ;   in Loop: Header=BB50_3 Depth=1
	s_delay_alu instid0(VALU_DEP_1)
	v_pk_add_f32 v[46:47], v[44:45], 0 neg_lo:[1,1] neg_hi:[1,1]
	ds_store_b64 v79, v[46:47]
; %bb.183:                              ;   in Loop: Header=BB50_3 Depth=1
	s_or_b32 exec_lo, exec_lo, s61
	s_wait_loadcnt_dscnt 0x0
	s_barrier_signal -1
	s_barrier_wait -1
	s_and_saveexec_b32 s61, s96
	s_cbranch_execz .LBB50_185
; %bb.184:                              ;   in Loop: Header=BB50_3 Depth=1
	ds_load_b64 v[46:47], v76 offset:26496
	ds_load_b64 v[48:49], v79
	s_wait_dscnt 0x0
	v_pk_mul_f32 v[98:99], v[48:49], v[46:47] op_sel:[1,1] op_sel_hi:[0,1]
	s_delay_alu instid0(VALU_DEP_1) | instskip(SKIP_1) | instid1(VALU_DEP_2)
	v_pk_fma_f32 v[100:101], v[48:49], v[46:47], v[98:99] op_sel_hi:[1,0,1]
	v_pk_fma_f32 v[46:47], v[48:49], v[46:47], v[98:99] neg_lo:[0,0,1] neg_hi:[0,0,1]
	v_mov_b32_e32 v47, v101
	s_delay_alu instid0(VALU_DEP_1)
	v_pk_add_f32 v[44:45], v[44:45], v[46:47] neg_lo:[0,1] neg_hi:[0,1]
.LBB50_185:                             ;   in Loop: Header=BB50_3 Depth=1
	s_or_b32 exec_lo, exec_lo, s61
	s_barrier_signal -1
	s_barrier_wait -1
	s_and_saveexec_b32 s61, s97
; %bb.186:                              ;   in Loop: Header=BB50_3 Depth=1
	v_pk_add_f32 v[46:47], v[44:45], 0 neg_lo:[1,1] neg_hi:[1,1]
	ds_store_b64 v79, v[46:47]
; %bb.187:                              ;   in Loop: Header=BB50_3 Depth=1
	s_or_b32 exec_lo, exec_lo, s61
	s_wait_dscnt 0x0
	s_barrier_signal -1
	s_barrier_wait -1
	s_and_saveexec_b32 s61, s98
	s_cbranch_execz .LBB50_189
; %bb.188:                              ;   in Loop: Header=BB50_3 Depth=1
	ds_load_b64 v[46:47], v76 offset:25984
	ds_load_b64 v[48:49], v79
	s_wait_dscnt 0x0
	v_pk_mul_f32 v[98:99], v[48:49], v[46:47] op_sel:[1,1] op_sel_hi:[0,1]
	s_delay_alu instid0(VALU_DEP_1) | instskip(SKIP_1) | instid1(VALU_DEP_2)
	v_pk_fma_f32 v[100:101], v[48:49], v[46:47], v[98:99] op_sel_hi:[1,0,1]
	v_pk_fma_f32 v[46:47], v[48:49], v[46:47], v[98:99] neg_lo:[0,0,1] neg_hi:[0,0,1]
	v_mov_b32_e32 v47, v101
	s_delay_alu instid0(VALU_DEP_1)
	v_pk_add_f32 v[44:45], v[44:45], v[46:47] neg_lo:[0,1] neg_hi:[0,1]
.LBB50_189:                             ;   in Loop: Header=BB50_3 Depth=1
	s_or_b32 exec_lo, exec_lo, s61
	s_barrier_signal -1
	s_barrier_wait -1
	s_and_saveexec_b32 s61, s99
; %bb.190:                              ;   in Loop: Header=BB50_3 Depth=1
	v_pk_add_f32 v[46:47], v[44:45], 0 neg_lo:[1,1] neg_hi:[1,1]
	ds_store_b64 v79, v[46:47]
; %bb.191:                              ;   in Loop: Header=BB50_3 Depth=1
	s_or_b32 exec_lo, exec_lo, s61
	s_wait_dscnt 0x0
	;; [unrolled: 26-line block ×3, first 2 shown]
	s_barrier_signal -1
	s_barrier_wait -1
	s_barrier_signal -1
	s_barrier_wait -1
	s_and_saveexec_b32 s61, s2
; %bb.196:                              ;   in Loop: Header=BB50_3 Depth=1
	ds_store_b64 v81, v[44:45] offset:28544
; %bb.197:                              ;   in Loop: Header=BB50_3 Depth=1
	s_or_b32 exec_lo, exec_lo, s61
	s_wait_dscnt 0x0
	s_barrier_signal -1
	s_barrier_wait -1
	s_barrier_signal -1
	s_barrier_wait -1
	s_and_saveexec_b32 s61, s101
	s_cbranch_execz .LBB50_199
; %bb.198:                              ;   in Loop: Header=BB50_3 Depth=1
	ds_load_b64 v[44:45], v67 offset:27008
	s_wait_dscnt 0x0
	ds_store_b64 v68, v[44:45] offset:24992
	ds_load_b64 v[44:45], v67 offset:27016
	s_wait_dscnt 0x0
	ds_store_b64 v68, v[44:45] offset:25504
	;; [unrolled: 3-line block ×4, first 2 shown]
.LBB50_199:                             ;   in Loop: Header=BB50_3 Depth=1
	s_or_b32 exec_lo, exec_lo, s61
	s_wait_dscnt 0x0
	s_barrier_signal -1
	s_barrier_wait -1
	s_and_saveexec_b32 s61, s11
	s_cbranch_execz .LBB50_201
; %bb.200:                              ;   in Loop: Header=BB50_3 Depth=1
	ds_load_b64 v[44:45], v5 offset:26512
	v_add_nc_u32_e64 v4, 0x6000, 0
	ds_store_b64 v5, v[36:37] offset:26520
	s_wait_dscnt 0x1
	ds_store_2addr_b64 v4, v[36:37], v[44:45] offset0:178 offset1:179
.LBB50_201:                             ;   in Loop: Header=BB50_3 Depth=1
	s_or_b32 exec_lo, exec_lo, s61
	v_dual_mov_b32 v44, 0 :: v_dual_mov_b32 v45, 0
	s_wait_dscnt 0x0
	s_barrier_signal -1
	s_barrier_wait -1
	global_wb scope:SCOPE_DEV
	s_wait_storecnt 0x0
	global_inv scope:SCOPE_DEV
	s_and_saveexec_b32 s62, s0
	s_cbranch_execz .LBB50_205
; %bb.202:                              ;   in Loop: Header=BB50_3 Depth=1
	ds_load_b64 v[44:45], v74 offset:25984
	ds_load_b64 v[46:47], v56 offset:26512
	s_wait_dscnt 0x0
	v_pk_mul_f32 v[48:49], v[46:47], v[44:45] op_sel:[1,1] op_sel_hi:[0,1]
	s_delay_alu instid0(VALU_DEP_1) | instskip(SKIP_1) | instid1(VALU_DEP_2)
	v_pk_fma_f32 v[98:99], v[46:47], v[44:45], v[48:49] op_sel_hi:[1,0,1]
	v_pk_fma_f32 v[44:45], v[46:47], v[44:45], v[48:49] neg_lo:[0,0,1] neg_hi:[0,0,1]
	v_mov_b32_e32 v45, v99
	s_delay_alu instid0(VALU_DEP_1)
	v_pk_add_f32 v[44:45], v[44:45], 0 op_sel_hi:[1,0]
	s_and_saveexec_b32 s61, s15
	s_cbranch_execz .LBB50_204
; %bb.203:                              ;   in Loop: Header=BB50_3 Depth=1
	ds_load_b64 v[46:47], v68 offset:26496
	ds_load_b64 v[48:49], v5 offset:26520
	s_wait_dscnt 0x0
	v_pk_mul_f32 v[98:99], v[48:49], v[46:47] op_sel:[1,1] op_sel_hi:[0,1]
	s_delay_alu instid0(VALU_DEP_1) | instskip(SKIP_1) | instid1(VALU_DEP_2)
	v_pk_fma_f32 v[100:101], v[48:49], v[46:47], v[98:99] op_sel_hi:[1,0,1]
	v_pk_fma_f32 v[46:47], v[48:49], v[46:47], v[98:99] neg_lo:[0,0,1] neg_hi:[0,0,1]
	v_mov_b32_e32 v47, v101
	s_delay_alu instid0(VALU_DEP_1)
	v_pk_add_f32 v[44:45], v[44:45], v[46:47]
.LBB50_204:                             ;   in Loop: Header=BB50_3 Depth=1
	s_or_b32 exec_lo, exec_lo, s61
.LBB50_205:                             ;   in Loop: Header=BB50_3 Depth=1
	s_delay_alu instid0(SALU_CYCLE_1)
	s_or_b32 exec_lo, exec_lo, s62
	s_and_saveexec_b32 s61, s92
; %bb.206:                              ;   in Loop: Header=BB50_3 Depth=1
	s_delay_alu instid0(VALU_DEP_1)
	v_pk_add_f32 v[46:47], v[44:45], 0 neg_lo:[1,1] neg_hi:[1,1]
	ds_store_b64 v75, v[46:47]
; %bb.207:                              ;   in Loop: Header=BB50_3 Depth=1
	s_or_b32 exec_lo, exec_lo, s61
	s_wait_loadcnt_dscnt 0x0
	s_barrier_signal -1
	s_barrier_wait -1
	s_and_saveexec_b32 s61, s93
	s_cbranch_execz .LBB50_209
; %bb.208:                              ;   in Loop: Header=BB50_3 Depth=1
	ds_load_b64 v[46:47], v5 offset:25472
	ds_load_b64 v[48:49], v75
	s_wait_dscnt 0x0
	v_pk_mul_f32 v[98:99], v[48:49], v[46:47] op_sel_hi:[1,0]
	s_delay_alu instid0(VALU_DEP_1) | instskip(SKIP_1) | instid1(VALU_DEP_2)
	v_pk_fma_f32 v[100:101], v[48:49], v[46:47], v[98:99] op_sel:[1,1,0] op_sel_hi:[0,1,1]
	v_pk_fma_f32 v[46:47], v[48:49], v[46:47], v[98:99] op_sel:[1,1,0] op_sel_hi:[0,1,1] neg_lo:[0,0,1] neg_hi:[0,0,1]
	v_pk_add_f32 v[48:49], v[44:45], v[100:101] neg_lo:[0,1] neg_hi:[0,1]
	s_delay_alu instid0(VALU_DEP_2) | instskip(NEXT) | instid1(VALU_DEP_2)
	v_pk_add_f32 v[44:45], v[44:45], v[46:47]
	v_mov_b32_e32 v45, v49
.LBB50_209:                             ;   in Loop: Header=BB50_3 Depth=1
	s_or_b32 exec_lo, exec_lo, s61
	s_barrier_signal -1
	s_barrier_wait -1
	s_and_saveexec_b32 s61, s93
; %bb.210:                              ;   in Loop: Header=BB50_3 Depth=1
	v_pk_add_f32 v[46:47], v[44:45], 0 neg_lo:[1,1] neg_hi:[1,1]
	ds_store_b64 v75, v[46:47]
; %bb.211:                              ;   in Loop: Header=BB50_3 Depth=1
	s_or_b32 exec_lo, exec_lo, s61
	s_wait_dscnt 0x0
	s_barrier_signal -1
	s_barrier_wait -1
	s_barrier_signal -1
	s_barrier_wait -1
	s_and_saveexec_b32 s61, s0
; %bb.212:                              ;   in Loop: Header=BB50_3 Depth=1
	ds_store_b64 v77, v[44:45] offset:26496
; %bb.213:                              ;   in Loop: Header=BB50_3 Depth=1
	s_or_b32 exec_lo, exec_lo, s61
	s_wait_dscnt 0x0
	s_barrier_signal -1
	s_barrier_wait -1
	s_barrier_signal -1
	s_barrier_wait -1
	s_and_saveexec_b32 s61, s94
	s_cbranch_execz .LBB50_215
; %bb.214:                              ;   in Loop: Header=BB50_3 Depth=1
	ds_load_b64 v[44:45], v69 offset:25984
	s_wait_dscnt 0x0
	ds_store_b64 v68, v[44:45] offset:24976
	ds_load_b64 v[44:45], v69 offset:25992
	s_wait_dscnt 0x0
	ds_store_b64 v68, v[44:45] offset:25488
.LBB50_215:                             ;   in Loop: Header=BB50_3 Depth=1
	s_or_b32 exec_lo, exec_lo, s61
	s_wait_dscnt 0x0
	s_barrier_signal -1
	s_barrier_wait -1
	s_and_saveexec_b32 s61, s11
	s_cbranch_execz .LBB50_217
; %bb.216:                              ;   in Loop: Header=BB50_3 Depth=1
	ds_load_b64 v[44:45], v5 offset:25472
	v_add_nc_u32_e64 v4, 0x6000, 0
	ds_store_b64 v5, v[36:37] offset:25480
	s_wait_dscnt 0x1
	ds_store_2addr_b64 v4, v[36:37], v[44:45] offset0:48 offset1:49
.LBB50_217:                             ;   in Loop: Header=BB50_3 Depth=1
	s_or_b32 exec_lo, exec_lo, s61
	v_mov_b64_e32 v[44:45], 0
	s_wait_dscnt 0x0
	s_barrier_signal -1
	s_barrier_wait -1
	global_wb scope:SCOPE_DEV
	s_wait_storecnt 0x0
	global_inv scope:SCOPE_DEV
	s_and_saveexec_b32 s62, s4
	s_cbranch_execz .LBB50_245
; %bb.218:                              ;   in Loop: Header=BB50_3 Depth=1
	ds_load_b64 v[44:45], v80 offset:24832
	ds_load_b64 v[46:47], v64 offset:32640
	v_readlane_b32 s10, v107, 25
	s_wait_dscnt 0x0
	v_dual_mul_f32 v4, v47, v45 :: v_dual_mul_f32 v33, v46, v45
	s_delay_alu instid0(VALU_DEP_1) | instskip(NEXT) | instid1(VALU_DEP_1)
	v_dual_fma_f32 v4, v46, v44, -v4 :: v_dual_fmac_f32 v33, v47, v44
	v_dual_add_f32 v44, 0, v4 :: v_dual_add_f32 v45, 0, v33
	s_and_saveexec_b32 s61, s10
	s_cbranch_execz .LBB50_220
; %bb.219:                              ;   in Loop: Header=BB50_3 Depth=1
	ds_load_b64 v[46:47], v80 offset:25344
	ds_load_b64 v[48:49], v64 offset:32648
	s_wait_dscnt 0x0
	v_dual_mul_f32 v4, v49, v47 :: v_dual_mul_f32 v33, v48, v47
	s_delay_alu instid0(VALU_DEP_1) | instskip(NEXT) | instid1(VALU_DEP_1)
	v_dual_fma_f32 v4, v48, v46, -v4 :: v_dual_fmac_f32 v33, v49, v46
	v_dual_add_f32 v44, v44, v4 :: v_dual_add_f32 v45, v45, v33
.LBB50_220:                             ;   in Loop: Header=BB50_3 Depth=1
	s_or_b32 exec_lo, exec_lo, s61
	v_readlane_b32 s10, v107, 26
	s_and_saveexec_b32 s61, s10
	s_cbranch_execz .LBB50_222
; %bb.221:                              ;   in Loop: Header=BB50_3 Depth=1
	ds_load_b64 v[46:47], v80 offset:25856
	ds_load_b64 v[48:49], v64 offset:32656
	s_wait_dscnt 0x0
	v_dual_mul_f32 v4, v49, v47 :: v_dual_mul_f32 v33, v48, v47
	s_delay_alu instid0(VALU_DEP_1) | instskip(NEXT) | instid1(VALU_DEP_1)
	v_dual_fma_f32 v4, v48, v46, -v4 :: v_dual_fmac_f32 v33, v49, v46
	v_dual_add_f32 v44, v44, v4 :: v_dual_add_f32 v45, v45, v33
.LBB50_222:                             ;   in Loop: Header=BB50_3 Depth=1
	s_or_b32 exec_lo, exec_lo, s61
	v_readlane_b32 s10, v107, 27
	;; [unrolled: 13-line block ×6, first 2 shown]
	s_and_saveexec_b32 s61, s10
	s_cbranch_execz .LBB50_232
; %bb.231:                              ;   in Loop: Header=BB50_3 Depth=1
	ds_load_b64 v[46:47], v80 offset:28416
	ds_load_b64 v[48:49], v64 offset:32696
	s_wait_dscnt 0x0
	v_dual_mul_f32 v4, v49, v47 :: v_dual_mul_f32 v33, v48, v47
	s_delay_alu instid0(VALU_DEP_1) | instskip(NEXT) | instid1(VALU_DEP_1)
	v_dual_fma_f32 v4, v48, v46, -v4 :: v_dual_fmac_f32 v33, v49, v46
	v_dual_add_f32 v44, v44, v4 :: v_dual_add_f32 v45, v45, v33
.LBB50_232:                             ;   in Loop: Header=BB50_3 Depth=1
	s_or_b32 exec_lo, exec_lo, s61
	s_and_saveexec_b32 s61, s13
	s_cbranch_execz .LBB50_234
; %bb.233:                              ;   in Loop: Header=BB50_3 Depth=1
	ds_load_b64 v[46:47], v80 offset:28928
	ds_load_b64 v[48:49], v64 offset:32704
	s_wait_dscnt 0x0
	v_dual_mul_f32 v4, v49, v47 :: v_dual_mul_f32 v33, v48, v47
	s_delay_alu instid0(VALU_DEP_1) | instskip(NEXT) | instid1(VALU_DEP_1)
	v_dual_fma_f32 v4, v48, v46, -v4 :: v_dual_fmac_f32 v33, v49, v46
	v_dual_add_f32 v44, v44, v4 :: v_dual_add_f32 v45, v45, v33
.LBB50_234:                             ;   in Loop: Header=BB50_3 Depth=1
	s_or_b32 exec_lo, exec_lo, s61
	v_readlane_b32 s10, v106, 0
	s_and_saveexec_b32 s61, s10
	s_cbranch_execz .LBB50_236
; %bb.235:                              ;   in Loop: Header=BB50_3 Depth=1
	ds_load_b64 v[46:47], v80 offset:29440
	ds_load_b64 v[48:49], v64 offset:32712
	s_wait_dscnt 0x0
	v_dual_mul_f32 v4, v49, v47 :: v_dual_mul_f32 v33, v48, v47
	s_delay_alu instid0(VALU_DEP_1) | instskip(NEXT) | instid1(VALU_DEP_1)
	v_dual_fma_f32 v4, v48, v46, -v4 :: v_dual_fmac_f32 v33, v49, v46
	v_dual_add_f32 v44, v44, v4 :: v_dual_add_f32 v45, v45, v33
.LBB50_236:                             ;   in Loop: Header=BB50_3 Depth=1
	s_or_b32 exec_lo, exec_lo, s61
	s_and_saveexec_b32 s61, s14
	s_cbranch_execz .LBB50_238
; %bb.237:                              ;   in Loop: Header=BB50_3 Depth=1
	ds_load_b64 v[46:47], v80 offset:29952
	ds_load_b64 v[48:49], v64 offset:32720
	s_wait_dscnt 0x0
	v_dual_mul_f32 v4, v49, v47 :: v_dual_mul_f32 v33, v48, v47
	s_delay_alu instid0(VALU_DEP_1) | instskip(NEXT) | instid1(VALU_DEP_1)
	v_dual_fma_f32 v4, v48, v46, -v4 :: v_dual_fmac_f32 v33, v49, v46
	v_dual_add_f32 v44, v44, v4 :: v_dual_add_f32 v45, v45, v33
.LBB50_238:                             ;   in Loop: Header=BB50_3 Depth=1
	s_or_b32 exec_lo, exec_lo, s61
	v_readlane_b32 s10, v106, 1
	s_and_saveexec_b32 s61, s10
	s_cbranch_execnz .LBB50_1070
; %bb.239:                              ;   in Loop: Header=BB50_3 Depth=1
	s_or_b32 exec_lo, exec_lo, s61
	s_and_saveexec_b32 s61, s3
	s_cbranch_execnz .LBB50_1071
.LBB50_240:                             ;   in Loop: Header=BB50_3 Depth=1
	s_or_b32 exec_lo, exec_lo, s61
	s_and_saveexec_b32 s61, s19
	s_cbranch_execnz .LBB50_1072
.LBB50_241:                             ;   in Loop: Header=BB50_3 Depth=1
	s_or_b32 exec_lo, exec_lo, s61
	s_and_saveexec_b32 s61, s21
	s_cbranch_execnz .LBB50_1073
.LBB50_242:                             ;   in Loop: Header=BB50_3 Depth=1
	s_or_b32 exec_lo, exec_lo, s61
	s_and_saveexec_b32 s61, s2
	s_cbranch_execz .LBB50_244
.LBB50_243:                             ;   in Loop: Header=BB50_3 Depth=1
	ds_load_b64 v[46:47], v9 offset:32512
	ds_load_b64 v[48:49], v5 offset:32760
	s_wait_dscnt 0x0
	v_pk_mul_f32 v[98:99], v[48:49], v[46:47] op_sel:[1,1] op_sel_hi:[0,1]
	s_delay_alu instid0(VALU_DEP_1) | instskip(SKIP_1) | instid1(VALU_DEP_2)
	v_pk_fma_f32 v[100:101], v[48:49], v[46:47], v[98:99] op_sel_hi:[1,0,1]
	v_pk_fma_f32 v[46:47], v[48:49], v[46:47], v[98:99] neg_lo:[0,0,1] neg_hi:[0,0,1]
	v_mov_b32_e32 v47, v101
	s_delay_alu instid0(VALU_DEP_1)
	v_pk_add_f32 v[44:45], v[44:45], v[46:47]
.LBB50_244:                             ;   in Loop: Header=BB50_3 Depth=1
	s_or_b32 exec_lo, exec_lo, s61
.LBB50_245:                             ;   in Loop: Header=BB50_3 Depth=1
	s_delay_alu instid0(SALU_CYCLE_1)
	s_or_b32 exec_lo, exec_lo, s62
	v_readlane_b32 s10, v107, 1
	s_and_saveexec_b32 s61, s10
; %bb.246:                              ;   in Loop: Header=BB50_3 Depth=1
	v_pk_add_f32 v[46:47], v[44:45], 0 neg_lo:[1,1] neg_hi:[1,1]
	ds_store_b64 v84, v[46:47]
; %bb.247:                              ;   in Loop: Header=BB50_3 Depth=1
	s_or_b32 exec_lo, exec_lo, s61
	v_readlane_b32 s10, v107, 2
	s_wait_loadcnt_dscnt 0x0
	s_barrier_signal -1
	s_barrier_wait -1
	s_and_saveexec_b32 s61, s10
	s_cbranch_execz .LBB50_249
; %bb.248:                              ;   in Loop: Header=BB50_3 Depth=1
	ds_load_b64 v[46:47], v80 offset:24320
	ds_load_b64 v[48:49], v84
	s_wait_dscnt 0x0
	v_pk_mul_f32 v[98:99], v[48:49], v[46:47] op_sel:[1,1] op_sel_hi:[0,1]
	s_delay_alu instid0(VALU_DEP_1) | instskip(SKIP_1) | instid1(VALU_DEP_2)
	v_pk_fma_f32 v[100:101], v[48:49], v[46:47], v[98:99] op_sel_hi:[1,0,1]
	v_pk_fma_f32 v[46:47], v[48:49], v[46:47], v[98:99] neg_lo:[0,0,1] neg_hi:[0,0,1]
	v_mov_b32_e32 v47, v101
	s_delay_alu instid0(VALU_DEP_1)
	v_pk_add_f32 v[44:45], v[44:45], v[46:47] neg_lo:[0,1] neg_hi:[0,1]
.LBB50_249:                             ;   in Loop: Header=BB50_3 Depth=1
	s_or_b32 exec_lo, exec_lo, s61
	v_readlane_b32 s10, v107, 3
	s_barrier_signal -1
	s_barrier_wait -1
	s_and_saveexec_b32 s61, s10
; %bb.250:                              ;   in Loop: Header=BB50_3 Depth=1
	v_pk_add_f32 v[46:47], v[44:45], 0 neg_lo:[1,1] neg_hi:[1,1]
	ds_store_b64 v84, v[46:47]
; %bb.251:                              ;   in Loop: Header=BB50_3 Depth=1
	s_or_b32 exec_lo, exec_lo, s61
	v_readlane_b32 s10, v107, 4
	s_wait_dscnt 0x0
	s_barrier_signal -1
	s_barrier_wait -1
	s_and_saveexec_b32 s61, s10
	s_cbranch_execz .LBB50_253
; %bb.252:                              ;   in Loop: Header=BB50_3 Depth=1
	ds_load_b64 v[46:47], v80 offset:23808
	ds_load_b64 v[48:49], v84
	s_wait_dscnt 0x0
	v_pk_mul_f32 v[98:99], v[48:49], v[46:47] op_sel:[1,1] op_sel_hi:[0,1]
	s_delay_alu instid0(VALU_DEP_1) | instskip(SKIP_1) | instid1(VALU_DEP_2)
	v_pk_fma_f32 v[100:101], v[48:49], v[46:47], v[98:99] op_sel_hi:[1,0,1]
	v_pk_fma_f32 v[46:47], v[48:49], v[46:47], v[98:99] neg_lo:[0,0,1] neg_hi:[0,0,1]
	v_mov_b32_e32 v47, v101
	s_delay_alu instid0(VALU_DEP_1)
	v_pk_add_f32 v[44:45], v[44:45], v[46:47] neg_lo:[0,1] neg_hi:[0,1]
.LBB50_253:                             ;   in Loop: Header=BB50_3 Depth=1
	s_or_b32 exec_lo, exec_lo, s61
	v_readlane_b32 s10, v107, 5
	s_barrier_signal -1
	s_barrier_wait -1
	s_and_saveexec_b32 s61, s10
; %bb.254:                              ;   in Loop: Header=BB50_3 Depth=1
	v_pk_add_f32 v[46:47], v[44:45], 0 neg_lo:[1,1] neg_hi:[1,1]
	ds_store_b64 v84, v[46:47]
; %bb.255:                              ;   in Loop: Header=BB50_3 Depth=1
	s_or_b32 exec_lo, exec_lo, s61
	v_readlane_b32 s10, v107, 6
	s_wait_dscnt 0x0
	;; [unrolled: 28-line block ×3, first 2 shown]
	s_barrier_signal -1
	s_barrier_wait -1
	s_and_saveexec_b32 s61, s10
	s_cbranch_execz .LBB50_261
; %bb.260:                              ;   in Loop: Header=BB50_3 Depth=1
	ds_load_b64 v[46:47], v80 offset:22784
	ds_load_b64 v[48:49], v84
	s_wait_dscnt 0x0
	v_dual_mul_f32 v4, v49, v47 :: v_dual_mul_f32 v33, v48, v47
	s_delay_alu instid0(VALU_DEP_1) | instskip(NEXT) | instid1(VALU_DEP_1)
	v_dual_fma_f32 v4, v48, v46, -v4 :: v_dual_fmac_f32 v33, v49, v46
	v_dual_sub_f32 v44, v44, v4 :: v_dual_sub_f32 v45, v45, v33
.LBB50_261:                             ;   in Loop: Header=BB50_3 Depth=1
	s_or_b32 exec_lo, exec_lo, s61
	v_readlane_b32 s10, v107, 9
	s_barrier_signal -1
	s_barrier_wait -1
	s_and_saveexec_b32 s61, s10
; %bb.262:                              ;   in Loop: Header=BB50_3 Depth=1
	v_pk_add_f32 v[46:47], v[44:45], 0 neg_lo:[1,1] neg_hi:[1,1]
	ds_store_b64 v84, v[46:47]
; %bb.263:                              ;   in Loop: Header=BB50_3 Depth=1
	s_or_b32 exec_lo, exec_lo, s61
	v_readlane_b32 s10, v107, 10
	s_wait_dscnt 0x0
	s_barrier_signal -1
	s_barrier_wait -1
	s_and_saveexec_b32 s61, s10
	s_cbranch_execz .LBB50_265
; %bb.264:                              ;   in Loop: Header=BB50_3 Depth=1
	ds_load_b64 v[46:47], v80 offset:22272
	ds_load_b64 v[48:49], v84
	s_wait_dscnt 0x0
	v_dual_mul_f32 v4, v49, v47 :: v_dual_mul_f32 v99, v48, v47
	s_delay_alu instid0(VALU_DEP_1) | instskip(NEXT) | instid1(VALU_DEP_1)
	v_dual_fma_f32 v98, v48, v46, -v4 :: v_dual_fmac_f32 v99, v49, v46
	v_pk_add_f32 v[44:45], v[44:45], v[98:99] neg_lo:[0,1] neg_hi:[0,1]
.LBB50_265:                             ;   in Loop: Header=BB50_3 Depth=1
	s_or_b32 exec_lo, exec_lo, s61
	v_readlane_b32 s10, v107, 11
	s_barrier_signal -1
	s_barrier_wait -1
	s_and_saveexec_b32 s61, s10
; %bb.266:                              ;   in Loop: Header=BB50_3 Depth=1
	v_pk_add_f32 v[46:47], v[44:45], 0 neg_lo:[1,1] neg_hi:[1,1]
	ds_store_b64 v84, v[46:47]
; %bb.267:                              ;   in Loop: Header=BB50_3 Depth=1
	s_or_b32 exec_lo, exec_lo, s61
	s_wait_dscnt 0x0
	s_barrier_signal -1
	s_barrier_wait -1
	s_and_saveexec_b32 s61, s25
	s_cbranch_execz .LBB50_269
; %bb.268:                              ;   in Loop: Header=BB50_3 Depth=1
	ds_load_b64 v[46:47], v80 offset:21760
	ds_load_b64 v[48:49], v84
	s_wait_dscnt 0x0
	v_pk_mul_f32 v[98:99], v[48:49], v[46:47] op_sel:[1,1] op_sel_hi:[0,1]
	s_delay_alu instid0(VALU_DEP_1) | instskip(SKIP_1) | instid1(VALU_DEP_2)
	v_pk_fma_f32 v[100:101], v[48:49], v[46:47], v[98:99] op_sel_hi:[1,0,1]
	v_pk_fma_f32 v[46:47], v[48:49], v[46:47], v[98:99] neg_lo:[0,0,1] neg_hi:[0,0,1]
	v_mov_b32_e32 v47, v101
	s_delay_alu instid0(VALU_DEP_1)
	v_pk_add_f32 v[44:45], v[44:45], v[46:47] neg_lo:[0,1] neg_hi:[0,1]
.LBB50_269:                             ;   in Loop: Header=BB50_3 Depth=1
	s_or_b32 exec_lo, exec_lo, s61
	s_barrier_signal -1
	s_barrier_wait -1
	s_and_saveexec_b32 s61, s27
; %bb.270:                              ;   in Loop: Header=BB50_3 Depth=1
	v_pk_add_f32 v[46:47], v[44:45], 0 neg_lo:[1,1] neg_hi:[1,1]
	ds_store_b64 v84, v[46:47]
; %bb.271:                              ;   in Loop: Header=BB50_3 Depth=1
	s_or_b32 exec_lo, exec_lo, s61
	s_wait_dscnt 0x0
	s_barrier_signal -1
	s_barrier_wait -1
	s_and_saveexec_b32 s61, s29
	s_cbranch_execz .LBB50_273
; %bb.272:                              ;   in Loop: Header=BB50_3 Depth=1
	ds_load_b64 v[46:47], v80 offset:21248
	ds_load_b64 v[48:49], v84
	s_wait_dscnt 0x0
	v_pk_mul_f32 v[98:99], v[48:49], v[46:47] op_sel:[1,1] op_sel_hi:[0,1]
	s_delay_alu instid0(VALU_DEP_1) | instskip(SKIP_1) | instid1(VALU_DEP_2)
	v_pk_fma_f32 v[100:101], v[48:49], v[46:47], v[98:99] op_sel_hi:[1,0,1]
	v_pk_fma_f32 v[46:47], v[48:49], v[46:47], v[98:99] neg_lo:[0,0,1] neg_hi:[0,0,1]
	v_mov_b32_e32 v47, v101
	s_delay_alu instid0(VALU_DEP_1)
	v_pk_add_f32 v[44:45], v[44:45], v[46:47] neg_lo:[0,1] neg_hi:[0,1]
.LBB50_273:                             ;   in Loop: Header=BB50_3 Depth=1
	s_or_b32 exec_lo, exec_lo, s61
	;; [unrolled: 26-line block ×4, first 2 shown]
	s_barrier_signal -1
	s_barrier_wait -1
	s_and_saveexec_b32 s61, s26
; %bb.282:                              ;   in Loop: Header=BB50_3 Depth=1
	v_pk_add_f32 v[46:47], v[44:45], 0 neg_lo:[1,1] neg_hi:[1,1]
	ds_store_b64 v84, v[46:47]
; %bb.283:                              ;   in Loop: Header=BB50_3 Depth=1
	s_or_b32 exec_lo, exec_lo, s61
	s_wait_dscnt 0x0
	s_barrier_signal -1
	s_barrier_wait -1
	s_and_saveexec_b32 s61, s28
	s_cbranch_execz .LBB50_285
; %bb.284:                              ;   in Loop: Header=BB50_3 Depth=1
	ds_load_b64 v[46:47], v80 offset:19712
	ds_load_b64 v[48:49], v84
	s_wait_dscnt 0x0
	v_dual_mul_f32 v4, v49, v47 :: v_dual_mul_f32 v33, v48, v47
	s_delay_alu instid0(VALU_DEP_1) | instskip(NEXT) | instid1(VALU_DEP_1)
	v_dual_fma_f32 v4, v48, v46, -v4 :: v_dual_fmac_f32 v33, v49, v46
	v_dual_sub_f32 v44, v44, v4 :: v_dual_sub_f32 v45, v45, v33
.LBB50_285:                             ;   in Loop: Header=BB50_3 Depth=1
	s_or_b32 exec_lo, exec_lo, s61
	s_barrier_signal -1
	s_barrier_wait -1
	s_and_saveexec_b32 s61, s30
; %bb.286:                              ;   in Loop: Header=BB50_3 Depth=1
	v_pk_add_f32 v[46:47], v[44:45], 0 neg_lo:[1,1] neg_hi:[1,1]
	ds_store_b64 v84, v[46:47]
; %bb.287:                              ;   in Loop: Header=BB50_3 Depth=1
	s_or_b32 exec_lo, exec_lo, s61
	s_wait_dscnt 0x0
	s_barrier_signal -1
	s_barrier_wait -1
	s_and_saveexec_b32 s61, s33
	s_cbranch_execz .LBB50_289
; %bb.288:                              ;   in Loop: Header=BB50_3 Depth=1
	ds_load_b64 v[46:47], v80 offset:19200
	ds_load_b64 v[48:49], v84
	s_wait_dscnt 0x0
	v_dual_mul_f32 v4, v49, v47 :: v_dual_mul_f32 v99, v48, v47
	s_delay_alu instid0(VALU_DEP_1) | instskip(NEXT) | instid1(VALU_DEP_1)
	v_dual_fma_f32 v98, v48, v46, -v4 :: v_dual_fmac_f32 v99, v49, v46
	v_pk_add_f32 v[44:45], v[44:45], v[98:99] neg_lo:[0,1] neg_hi:[0,1]
.LBB50_289:                             ;   in Loop: Header=BB50_3 Depth=1
	s_or_b32 exec_lo, exec_lo, s61
	s_barrier_signal -1
	s_barrier_wait -1
	s_and_saveexec_b32 s61, s89
; %bb.290:                              ;   in Loop: Header=BB50_3 Depth=1
	v_pk_add_f32 v[46:47], v[44:45], 0 neg_lo:[1,1] neg_hi:[1,1]
	ds_store_b64 v84, v[46:47]
; %bb.291:                              ;   in Loop: Header=BB50_3 Depth=1
	s_or_b32 exec_lo, exec_lo, s61
	s_wait_dscnt 0x0
	s_barrier_signal -1
	s_barrier_wait -1
	s_and_saveexec_b32 s61, s50
	s_cbranch_execz .LBB50_293
; %bb.292:                              ;   in Loop: Header=BB50_3 Depth=1
	ds_load_b64 v[46:47], v80 offset:18688
	ds_load_b64 v[48:49], v84
	s_wait_dscnt 0x0
	v_pk_mul_f32 v[98:99], v[48:49], v[46:47] op_sel:[1,1] op_sel_hi:[0,1]
	s_delay_alu instid0(VALU_DEP_1) | instskip(SKIP_1) | instid1(VALU_DEP_2)
	v_pk_fma_f32 v[100:101], v[48:49], v[46:47], v[98:99] op_sel_hi:[1,0,1]
	v_pk_fma_f32 v[46:47], v[48:49], v[46:47], v[98:99] neg_lo:[0,0,1] neg_hi:[0,0,1]
	v_mov_b32_e32 v47, v101
	s_delay_alu instid0(VALU_DEP_1)
	v_pk_add_f32 v[44:45], v[44:45], v[46:47] neg_lo:[0,1] neg_hi:[0,1]
.LBB50_293:                             ;   in Loop: Header=BB50_3 Depth=1
	s_or_b32 exec_lo, exec_lo, s61
	s_barrier_signal -1
	s_barrier_wait -1
	s_and_saveexec_b32 s61, s51
; %bb.294:                              ;   in Loop: Header=BB50_3 Depth=1
	v_pk_add_f32 v[46:47], v[44:45], 0 neg_lo:[1,1] neg_hi:[1,1]
	ds_store_b64 v84, v[46:47]
; %bb.295:                              ;   in Loop: Header=BB50_3 Depth=1
	s_or_b32 exec_lo, exec_lo, s61
	s_wait_dscnt 0x0
	s_barrier_signal -1
	s_barrier_wait -1
	s_and_saveexec_b32 s61, s52
	s_cbranch_execz .LBB50_297
; %bb.296:                              ;   in Loop: Header=BB50_3 Depth=1
	ds_load_b64 v[46:47], v80 offset:18176
	ds_load_b64 v[48:49], v84
	s_wait_dscnt 0x0
	v_pk_mul_f32 v[98:99], v[48:49], v[46:47] op_sel:[1,1] op_sel_hi:[0,1]
	s_delay_alu instid0(VALU_DEP_1) | instskip(SKIP_1) | instid1(VALU_DEP_2)
	v_pk_fma_f32 v[100:101], v[48:49], v[46:47], v[98:99] op_sel_hi:[1,0,1]
	v_pk_fma_f32 v[46:47], v[48:49], v[46:47], v[98:99] neg_lo:[0,0,1] neg_hi:[0,0,1]
	v_mov_b32_e32 v47, v101
	s_delay_alu instid0(VALU_DEP_1)
	v_pk_add_f32 v[44:45], v[44:45], v[46:47] neg_lo:[0,1] neg_hi:[0,1]
.LBB50_297:                             ;   in Loop: Header=BB50_3 Depth=1
	;; [unrolled: 26-line block ×4, first 2 shown]
	s_or_b32 exec_lo, exec_lo, s61
	s_barrier_signal -1
	s_barrier_wait -1
	s_and_saveexec_b32 s61, s56
; %bb.306:                              ;   in Loop: Header=BB50_3 Depth=1
	v_pk_add_f32 v[46:47], v[44:45], 0 neg_lo:[1,1] neg_hi:[1,1]
	ds_store_b64 v84, v[46:47]
; %bb.307:                              ;   in Loop: Header=BB50_3 Depth=1
	s_or_b32 exec_lo, exec_lo, s61
	s_wait_dscnt 0x0
	s_barrier_signal -1
	s_barrier_wait -1
	s_barrier_signal -1
	s_barrier_wait -1
	s_and_saveexec_b32 s61, s4
; %bb.308:                              ;   in Loop: Header=BB50_3 Depth=1
	ds_store_b64 v85, v[44:45] offset:32512
; %bb.309:                              ;   in Loop: Header=BB50_3 Depth=1
	s_or_b32 exec_lo, exec_lo, s61
	s_wait_dscnt 0x0
	s_barrier_signal -1
	s_barrier_wait -1
	s_barrier_signal -1
	s_barrier_wait -1
	s_and_saveexec_b32 s62, s58
	s_cbranch_execz .LBB50_311
; %bb.310:                              ;   in Loop: Header=BB50_3 Depth=1
	ds_load_b64 v[44:45], v50 offset:24832
	s_wait_dscnt 0x0
	ds_store_b64 v51, v[44:45] offset:16768
	ds_load_b64 v[44:45], v50 offset:24840
	s_wait_dscnt 0x0
	ds_store_b64 v51, v[44:45] offset:17280
	;; [unrolled: 3-line block ×16, first 2 shown]
.LBB50_311:                             ;   in Loop: Header=BB50_3 Depth=1
	s_or_b32 exec_lo, exec_lo, s62
	s_wait_dscnt 0x0
	s_barrier_signal -1
	s_barrier_wait -1
	s_and_saveexec_b32 s61, s11
	s_cbranch_execz .LBB50_313
; %bb.312:                              ;   in Loop: Header=BB50_3 Depth=1
	ds_load_b64 v[44:45], v5 offset:24432
	v_add_nc_u32_e64 v4, 0x5800, 0
	ds_store_b64 v5, v[36:37] offset:24440
	s_wait_dscnt 0x1
	ds_store_2addr_b64 v4, v[36:37], v[44:45] offset0:174 offset1:175
.LBB50_313:                             ;   in Loop: Header=BB50_3 Depth=1
	s_or_b32 exec_lo, exec_lo, s61
	v_dual_mov_b32 v44, 0 :: v_dual_mov_b32 v45, 0
	s_wait_dscnt 0x0
	s_barrier_signal -1
	s_barrier_wait -1
	global_wb scope:SCOPE_DEV
	s_wait_storecnt 0x0
	global_inv scope:SCOPE_DEV
	s_and_saveexec_b32 s62, s0
	s_cbranch_execz .LBB50_317
; %bb.314:                              ;   in Loop: Header=BB50_3 Depth=1
	ds_load_b64 v[44:45], v74 offset:23904
	ds_load_b64 v[46:47], v56 offset:24432
	s_wait_dscnt 0x0
	v_pk_mul_f32 v[48:49], v[46:47], v[44:45] op_sel:[1,1] op_sel_hi:[0,1]
	s_delay_alu instid0(VALU_DEP_1) | instskip(SKIP_1) | instid1(VALU_DEP_2)
	v_pk_fma_f32 v[98:99], v[46:47], v[44:45], v[48:49] op_sel_hi:[1,0,1]
	v_pk_fma_f32 v[44:45], v[46:47], v[44:45], v[48:49] neg_lo:[0,0,1] neg_hi:[0,0,1]
	v_mov_b32_e32 v45, v99
	s_delay_alu instid0(VALU_DEP_1)
	v_pk_add_f32 v[44:45], v[44:45], 0 op_sel_hi:[1,0]
	s_and_saveexec_b32 s61, s15
	s_cbranch_execz .LBB50_316
; %bb.315:                              ;   in Loop: Header=BB50_3 Depth=1
	ds_load_b64 v[46:47], v9 offset:24416
	ds_load_b64 v[48:49], v5 offset:24440
	s_wait_dscnt 0x0
	v_pk_mul_f32 v[98:99], v[48:49], v[46:47] op_sel:[1,1] op_sel_hi:[0,1]
	s_delay_alu instid0(VALU_DEP_1) | instskip(SKIP_1) | instid1(VALU_DEP_2)
	v_pk_fma_f32 v[100:101], v[48:49], v[46:47], v[98:99] op_sel_hi:[1,0,1]
	v_pk_fma_f32 v[46:47], v[48:49], v[46:47], v[98:99] neg_lo:[0,0,1] neg_hi:[0,0,1]
	v_mov_b32_e32 v47, v101
	s_delay_alu instid0(VALU_DEP_1)
	v_pk_add_f32 v[44:45], v[44:45], v[46:47]
.LBB50_316:                             ;   in Loop: Header=BB50_3 Depth=1
	s_or_b32 exec_lo, exec_lo, s61
.LBB50_317:                             ;   in Loop: Header=BB50_3 Depth=1
	s_delay_alu instid0(SALU_CYCLE_1)
	s_or_b32 exec_lo, exec_lo, s62
	s_and_saveexec_b32 s61, s92
; %bb.318:                              ;   in Loop: Header=BB50_3 Depth=1
	s_delay_alu instid0(VALU_DEP_1)
	v_pk_add_f32 v[46:47], v[44:45], 0 neg_lo:[1,1] neg_hi:[1,1]
	ds_store_b64 v75, v[46:47]
; %bb.319:                              ;   in Loop: Header=BB50_3 Depth=1
	s_or_b32 exec_lo, exec_lo, s61
	s_wait_loadcnt_dscnt 0x0
	s_barrier_signal -1
	s_barrier_wait -1
	s_and_saveexec_b32 s61, s93
	s_cbranch_execz .LBB50_321
; %bb.320:                              ;   in Loop: Header=BB50_3 Depth=1
	ds_load_b64 v[46:47], v5 offset:23392
	ds_load_b64 v[48:49], v75
	s_wait_dscnt 0x0
	v_pk_mul_f32 v[98:99], v[48:49], v[46:47] op_sel_hi:[1,0]
	s_delay_alu instid0(VALU_DEP_1) | instskip(SKIP_1) | instid1(VALU_DEP_2)
	v_pk_fma_f32 v[100:101], v[48:49], v[46:47], v[98:99] op_sel:[1,1,0] op_sel_hi:[0,1,1]
	v_pk_fma_f32 v[46:47], v[48:49], v[46:47], v[98:99] op_sel:[1,1,0] op_sel_hi:[0,1,1] neg_lo:[0,0,1] neg_hi:[0,0,1]
	v_pk_add_f32 v[48:49], v[44:45], v[100:101] neg_lo:[0,1] neg_hi:[0,1]
	s_delay_alu instid0(VALU_DEP_2) | instskip(NEXT) | instid1(VALU_DEP_2)
	v_pk_add_f32 v[44:45], v[44:45], v[46:47]
	v_mov_b32_e32 v45, v49
.LBB50_321:                             ;   in Loop: Header=BB50_3 Depth=1
	s_or_b32 exec_lo, exec_lo, s61
	s_barrier_signal -1
	s_barrier_wait -1
	s_and_saveexec_b32 s61, s93
; %bb.322:                              ;   in Loop: Header=BB50_3 Depth=1
	v_pk_add_f32 v[46:47], v[44:45], 0 neg_lo:[1,1] neg_hi:[1,1]
	ds_store_b64 v75, v[46:47]
; %bb.323:                              ;   in Loop: Header=BB50_3 Depth=1
	s_or_b32 exec_lo, exec_lo, s61
	s_wait_dscnt 0x0
	s_barrier_signal -1
	s_barrier_wait -1
	s_barrier_signal -1
	s_barrier_wait -1
	s_and_saveexec_b32 s61, s0
; %bb.324:                              ;   in Loop: Header=BB50_3 Depth=1
	ds_store_b64 v77, v[44:45] offset:24416
; %bb.325:                              ;   in Loop: Header=BB50_3 Depth=1
	s_or_b32 exec_lo, exec_lo, s61
	s_wait_dscnt 0x0
	s_barrier_signal -1
	s_barrier_wait -1
	s_barrier_signal -1
	s_barrier_wait -1
	s_and_saveexec_b32 s61, s94
	s_cbranch_execz .LBB50_327
; %bb.326:                              ;   in Loop: Header=BB50_3 Depth=1
	ds_load_b64 v[44:45], v50 offset:23904
	s_wait_dscnt 0x0
	ds_store_b64 v9, v[44:45] offset:22896
	ds_load_b64 v[44:45], v50 offset:23912
	s_wait_dscnt 0x0
	ds_store_b64 v9, v[44:45] offset:23408
.LBB50_327:                             ;   in Loop: Header=BB50_3 Depth=1
	s_or_b32 exec_lo, exec_lo, s61
	s_wait_dscnt 0x0
	s_barrier_signal -1
	s_barrier_wait -1
	s_and_saveexec_b32 s61, s11
	s_cbranch_execz .LBB50_329
; %bb.328:                              ;   in Loop: Header=BB50_3 Depth=1
	ds_load_b64 v[44:45], v5 offset:23392
	v_add_nc_u32_e64 v4, 0x5800, 0
	ds_store_b64 v5, v[36:37] offset:23400
	s_wait_dscnt 0x1
	ds_store_2addr_b64 v4, v[36:37], v[44:45] offset0:44 offset1:45
.LBB50_329:                             ;   in Loop: Header=BB50_3 Depth=1
	s_or_b32 exec_lo, exec_lo, s61
	v_mov_b64_e32 v[44:45], 0
	s_wait_dscnt 0x0
	s_barrier_signal -1
	s_barrier_wait -1
	global_wb scope:SCOPE_DEV
	s_wait_storecnt 0x0
	global_inv scope:SCOPE_DEV
	s_and_saveexec_b32 s62, s2
	s_cbranch_execz .LBB50_335
; %bb.330:                              ;   in Loop: Header=BB50_3 Depth=1
	ds_load_b64 v[44:45], v76 offset:22848
	ds_load_b64 v[46:47], v58 offset:24416
	s_wait_dscnt 0x0
	v_dual_mul_f32 v4, v47, v45 :: v_dual_mul_f32 v33, v46, v45
	s_delay_alu instid0(VALU_DEP_1) | instskip(NEXT) | instid1(VALU_DEP_1)
	v_dual_fma_f32 v4, v46, v44, -v4 :: v_dual_fmac_f32 v33, v47, v44
	v_dual_add_f32 v44, 0, v4 :: v_dual_add_f32 v45, 0, v33
	s_and_saveexec_b32 s61, s16
	s_cbranch_execnz .LBB50_1074
; %bb.331:                              ;   in Loop: Header=BB50_3 Depth=1
	s_or_b32 exec_lo, exec_lo, s61
	s_and_saveexec_b32 s61, s17
	s_cbranch_execnz .LBB50_1075
.LBB50_332:                             ;   in Loop: Header=BB50_3 Depth=1
	s_or_b32 exec_lo, exec_lo, s61
	s_and_saveexec_b32 s61, s0
	s_cbranch_execz .LBB50_334
.LBB50_333:                             ;   in Loop: Header=BB50_3 Depth=1
	ds_load_b64 v[46:47], v51 offset:24384
	ds_load_b64 v[48:49], v5 offset:24440
	s_wait_dscnt 0x0
	v_pk_mul_f32 v[98:99], v[48:49], v[46:47] op_sel:[1,1] op_sel_hi:[0,1]
	s_delay_alu instid0(VALU_DEP_1) | instskip(SKIP_1) | instid1(VALU_DEP_2)
	v_pk_fma_f32 v[100:101], v[48:49], v[46:47], v[98:99] op_sel_hi:[1,0,1]
	v_pk_fma_f32 v[46:47], v[48:49], v[46:47], v[98:99] neg_lo:[0,0,1] neg_hi:[0,0,1]
	v_mov_b32_e32 v47, v101
	s_delay_alu instid0(VALU_DEP_1)
	v_pk_add_f32 v[44:45], v[44:45], v[46:47]
.LBB50_334:                             ;   in Loop: Header=BB50_3 Depth=1
	s_or_b32 exec_lo, exec_lo, s61
.LBB50_335:                             ;   in Loop: Header=BB50_3 Depth=1
	s_delay_alu instid0(SALU_CYCLE_1)
	s_or_b32 exec_lo, exec_lo, s62
	s_and_saveexec_b32 s61, s95
; %bb.336:                              ;   in Loop: Header=BB50_3 Depth=1
	s_delay_alu instid0(VALU_DEP_1)
	v_pk_add_f32 v[46:47], v[44:45], 0 neg_lo:[1,1] neg_hi:[1,1]
	ds_store_b64 v79, v[46:47]
; %bb.337:                              ;   in Loop: Header=BB50_3 Depth=1
	s_or_b32 exec_lo, exec_lo, s61
	s_wait_loadcnt_dscnt 0x0
	s_barrier_signal -1
	s_barrier_wait -1
	s_and_saveexec_b32 s61, s96
	s_cbranch_execz .LBB50_339
; %bb.338:                              ;   in Loop: Header=BB50_3 Depth=1
	ds_load_b64 v[46:47], v76 offset:22336
	ds_load_b64 v[48:49], v79
	s_wait_dscnt 0x0
	v_pk_mul_f32 v[98:99], v[48:49], v[46:47] op_sel:[1,1] op_sel_hi:[0,1]
	s_delay_alu instid0(VALU_DEP_1) | instskip(SKIP_1) | instid1(VALU_DEP_2)
	v_pk_fma_f32 v[100:101], v[48:49], v[46:47], v[98:99] op_sel_hi:[1,0,1]
	v_pk_fma_f32 v[46:47], v[48:49], v[46:47], v[98:99] neg_lo:[0,0,1] neg_hi:[0,0,1]
	v_mov_b32_e32 v47, v101
	s_delay_alu instid0(VALU_DEP_1)
	v_pk_add_f32 v[44:45], v[44:45], v[46:47] neg_lo:[0,1] neg_hi:[0,1]
.LBB50_339:                             ;   in Loop: Header=BB50_3 Depth=1
	s_or_b32 exec_lo, exec_lo, s61
	s_barrier_signal -1
	s_barrier_wait -1
	s_and_saveexec_b32 s61, s97
; %bb.340:                              ;   in Loop: Header=BB50_3 Depth=1
	v_pk_add_f32 v[46:47], v[44:45], 0 neg_lo:[1,1] neg_hi:[1,1]
	ds_store_b64 v79, v[46:47]
; %bb.341:                              ;   in Loop: Header=BB50_3 Depth=1
	s_or_b32 exec_lo, exec_lo, s61
	s_wait_dscnt 0x0
	s_barrier_signal -1
	s_barrier_wait -1
	s_and_saveexec_b32 s61, s98
	s_cbranch_execz .LBB50_343
; %bb.342:                              ;   in Loop: Header=BB50_3 Depth=1
	ds_load_b64 v[46:47], v76 offset:21824
	ds_load_b64 v[48:49], v79
	s_wait_dscnt 0x0
	v_pk_mul_f32 v[98:99], v[48:49], v[46:47] op_sel:[1,1] op_sel_hi:[0,1]
	s_delay_alu instid0(VALU_DEP_1) | instskip(SKIP_1) | instid1(VALU_DEP_2)
	v_pk_fma_f32 v[100:101], v[48:49], v[46:47], v[98:99] op_sel_hi:[1,0,1]
	v_pk_fma_f32 v[46:47], v[48:49], v[46:47], v[98:99] neg_lo:[0,0,1] neg_hi:[0,0,1]
	v_mov_b32_e32 v47, v101
	s_delay_alu instid0(VALU_DEP_1)
	v_pk_add_f32 v[44:45], v[44:45], v[46:47] neg_lo:[0,1] neg_hi:[0,1]
.LBB50_343:                             ;   in Loop: Header=BB50_3 Depth=1
	s_or_b32 exec_lo, exec_lo, s61
	s_barrier_signal -1
	s_barrier_wait -1
	s_and_saveexec_b32 s61, s99
; %bb.344:                              ;   in Loop: Header=BB50_3 Depth=1
	v_pk_add_f32 v[46:47], v[44:45], 0 neg_lo:[1,1] neg_hi:[1,1]
	ds_store_b64 v79, v[46:47]
; %bb.345:                              ;   in Loop: Header=BB50_3 Depth=1
	s_or_b32 exec_lo, exec_lo, s61
	s_wait_dscnt 0x0
	;; [unrolled: 26-line block ×3, first 2 shown]
	s_barrier_signal -1
	s_barrier_wait -1
	s_barrier_signal -1
	s_barrier_wait -1
	s_and_saveexec_b32 s61, s2
; %bb.350:                              ;   in Loop: Header=BB50_3 Depth=1
	ds_store_b64 v81, v[44:45] offset:24384
; %bb.351:                              ;   in Loop: Header=BB50_3 Depth=1
	s_or_b32 exec_lo, exec_lo, s61
	s_wait_dscnt 0x0
	s_barrier_signal -1
	s_barrier_wait -1
	s_barrier_signal -1
	s_barrier_wait -1
	s_and_saveexec_b32 s61, s101
	s_cbranch_execz .LBB50_353
; %bb.352:                              ;   in Loop: Header=BB50_3 Depth=1
	ds_load_b64 v[44:45], v52 offset:22848
	s_wait_dscnt 0x0
	ds_store_b64 v53, v[44:45] offset:20832
	ds_load_b64 v[44:45], v52 offset:22856
	s_wait_dscnt 0x0
	ds_store_b64 v53, v[44:45] offset:21344
	;; [unrolled: 3-line block ×4, first 2 shown]
.LBB50_353:                             ;   in Loop: Header=BB50_3 Depth=1
	s_or_b32 exec_lo, exec_lo, s61
	s_wait_dscnt 0x0
	s_barrier_signal -1
	s_barrier_wait -1
	s_and_saveexec_b32 s61, s11
	s_cbranch_execz .LBB50_355
; %bb.354:                              ;   in Loop: Header=BB50_3 Depth=1
	ds_load_b64 v[44:45], v5 offset:22352
	v_add_nc_u32_e64 v4, 0x5000, 0
	ds_store_b64 v5, v[36:37] offset:22360
	s_wait_dscnt 0x1
	ds_store_2addr_b64 v4, v[36:37], v[44:45] offset0:170 offset1:171
.LBB50_355:                             ;   in Loop: Header=BB50_3 Depth=1
	s_or_b32 exec_lo, exec_lo, s61
	v_dual_mov_b32 v44, 0 :: v_dual_mov_b32 v45, 0
	s_wait_dscnt 0x0
	s_barrier_signal -1
	s_barrier_wait -1
	global_wb scope:SCOPE_DEV
	s_wait_storecnt 0x0
	global_inv scope:SCOPE_DEV
	s_and_saveexec_b32 s62, s0
	s_cbranch_execz .LBB50_359
; %bb.356:                              ;   in Loop: Header=BB50_3 Depth=1
	ds_load_b64 v[44:45], v74 offset:21824
	ds_load_b64 v[46:47], v56 offset:22352
	s_wait_dscnt 0x0
	v_pk_mul_f32 v[48:49], v[46:47], v[44:45] op_sel:[1,1] op_sel_hi:[0,1]
	s_delay_alu instid0(VALU_DEP_1) | instskip(SKIP_1) | instid1(VALU_DEP_2)
	v_pk_fma_f32 v[98:99], v[46:47], v[44:45], v[48:49] op_sel_hi:[1,0,1]
	v_pk_fma_f32 v[44:45], v[46:47], v[44:45], v[48:49] neg_lo:[0,0,1] neg_hi:[0,0,1]
	v_mov_b32_e32 v45, v99
	s_delay_alu instid0(VALU_DEP_1)
	v_pk_add_f32 v[44:45], v[44:45], 0 op_sel_hi:[1,0]
	s_and_saveexec_b32 s61, s15
	s_cbranch_execz .LBB50_358
; %bb.357:                              ;   in Loop: Header=BB50_3 Depth=1
	ds_load_b64 v[46:47], v53 offset:22336
	ds_load_b64 v[48:49], v5 offset:22360
	s_wait_dscnt 0x0
	v_pk_mul_f32 v[98:99], v[48:49], v[46:47] op_sel:[1,1] op_sel_hi:[0,1]
	s_delay_alu instid0(VALU_DEP_1) | instskip(SKIP_1) | instid1(VALU_DEP_2)
	v_pk_fma_f32 v[100:101], v[48:49], v[46:47], v[98:99] op_sel_hi:[1,0,1]
	v_pk_fma_f32 v[46:47], v[48:49], v[46:47], v[98:99] neg_lo:[0,0,1] neg_hi:[0,0,1]
	v_mov_b32_e32 v47, v101
	s_delay_alu instid0(VALU_DEP_1)
	v_pk_add_f32 v[44:45], v[44:45], v[46:47]
.LBB50_358:                             ;   in Loop: Header=BB50_3 Depth=1
	s_or_b32 exec_lo, exec_lo, s61
.LBB50_359:                             ;   in Loop: Header=BB50_3 Depth=1
	s_delay_alu instid0(SALU_CYCLE_1)
	s_or_b32 exec_lo, exec_lo, s62
	s_and_saveexec_b32 s61, s92
; %bb.360:                              ;   in Loop: Header=BB50_3 Depth=1
	s_delay_alu instid0(VALU_DEP_1)
	v_pk_add_f32 v[46:47], v[44:45], 0 neg_lo:[1,1] neg_hi:[1,1]
	ds_store_b64 v75, v[46:47]
; %bb.361:                              ;   in Loop: Header=BB50_3 Depth=1
	s_or_b32 exec_lo, exec_lo, s61
	s_wait_loadcnt_dscnt 0x0
	s_barrier_signal -1
	s_barrier_wait -1
	s_and_saveexec_b32 s61, s93
	s_cbranch_execz .LBB50_363
; %bb.362:                              ;   in Loop: Header=BB50_3 Depth=1
	ds_load_b64 v[46:47], v5 offset:21312
	ds_load_b64 v[48:49], v75
	s_wait_dscnt 0x0
	v_pk_mul_f32 v[98:99], v[48:49], v[46:47] op_sel_hi:[1,0]
	s_delay_alu instid0(VALU_DEP_1) | instskip(SKIP_1) | instid1(VALU_DEP_2)
	v_pk_fma_f32 v[100:101], v[48:49], v[46:47], v[98:99] op_sel:[1,1,0] op_sel_hi:[0,1,1]
	v_pk_fma_f32 v[46:47], v[48:49], v[46:47], v[98:99] op_sel:[1,1,0] op_sel_hi:[0,1,1] neg_lo:[0,0,1] neg_hi:[0,0,1]
	v_pk_add_f32 v[48:49], v[44:45], v[100:101] neg_lo:[0,1] neg_hi:[0,1]
	s_delay_alu instid0(VALU_DEP_2) | instskip(NEXT) | instid1(VALU_DEP_2)
	v_pk_add_f32 v[44:45], v[44:45], v[46:47]
	v_mov_b32_e32 v45, v49
.LBB50_363:                             ;   in Loop: Header=BB50_3 Depth=1
	s_or_b32 exec_lo, exec_lo, s61
	s_barrier_signal -1
	s_barrier_wait -1
	s_and_saveexec_b32 s61, s93
; %bb.364:                              ;   in Loop: Header=BB50_3 Depth=1
	v_pk_add_f32 v[46:47], v[44:45], 0 neg_lo:[1,1] neg_hi:[1,1]
	ds_store_b64 v75, v[46:47]
; %bb.365:                              ;   in Loop: Header=BB50_3 Depth=1
	s_or_b32 exec_lo, exec_lo, s61
	s_wait_dscnt 0x0
	s_barrier_signal -1
	s_barrier_wait -1
	s_barrier_signal -1
	s_barrier_wait -1
	s_and_saveexec_b32 s61, s0
; %bb.366:                              ;   in Loop: Header=BB50_3 Depth=1
	ds_store_b64 v77, v[44:45] offset:22336
; %bb.367:                              ;   in Loop: Header=BB50_3 Depth=1
	s_or_b32 exec_lo, exec_lo, s61
	s_wait_dscnt 0x0
	s_barrier_signal -1
	s_barrier_wait -1
	s_barrier_signal -1
	s_barrier_wait -1
	s_and_saveexec_b32 s61, s94
	s_cbranch_execz .LBB50_369
; %bb.368:                              ;   in Loop: Header=BB50_3 Depth=1
	ds_load_b64 v[44:45], v54 offset:21824
	s_wait_dscnt 0x0
	ds_store_b64 v53, v[44:45] offset:20816
	ds_load_b64 v[44:45], v54 offset:21832
	s_wait_dscnt 0x0
	ds_store_b64 v53, v[44:45] offset:21328
.LBB50_369:                             ;   in Loop: Header=BB50_3 Depth=1
	s_or_b32 exec_lo, exec_lo, s61
	s_wait_dscnt 0x0
	s_barrier_signal -1
	s_barrier_wait -1
	s_and_saveexec_b32 s61, s11
	s_cbranch_execz .LBB50_371
; %bb.370:                              ;   in Loop: Header=BB50_3 Depth=1
	ds_load_b64 v[44:45], v5 offset:21312
	v_add_nc_u32_e64 v4, 0x5000, 0
	ds_store_b64 v5, v[36:37] offset:21320
	s_wait_dscnt 0x1
	ds_store_2addr_b64 v4, v[36:37], v[44:45] offset0:40 offset1:41
.LBB50_371:                             ;   in Loop: Header=BB50_3 Depth=1
	s_or_b32 exec_lo, exec_lo, s61
	v_mov_b64_e32 v[44:45], 0
	s_wait_dscnt 0x0
	s_barrier_signal -1
	s_barrier_wait -1
	global_wb scope:SCOPE_DEV
	s_wait_storecnt 0x0
	global_inv scope:SCOPE_DEV
	s_and_saveexec_b32 s62, s3
	s_cbranch_execz .LBB50_381
; %bb.372:                              ;   in Loop: Header=BB50_3 Depth=1
	ds_load_b64 v[44:45], v78 offset:20736
	ds_load_b64 v[46:47], v62 offset:24384
	s_wait_dscnt 0x0
	v_dual_mul_f32 v4, v47, v45 :: v_dual_mul_f32 v33, v46, v45
	s_delay_alu instid0(VALU_DEP_1) | instskip(NEXT) | instid1(VALU_DEP_1)
	v_dual_fma_f32 v4, v46, v44, -v4 :: v_dual_fmac_f32 v33, v47, v44
	v_dual_add_f32 v44, 0, v4 :: v_dual_add_f32 v45, 0, v33
	s_and_saveexec_b32 s61, s18
	s_cbranch_execnz .LBB50_1076
; %bb.373:                              ;   in Loop: Header=BB50_3 Depth=1
	s_or_b32 exec_lo, exec_lo, s61
	s_and_saveexec_b32 s61, s19
	s_cbranch_execnz .LBB50_1077
.LBB50_374:                             ;   in Loop: Header=BB50_3 Depth=1
	s_or_b32 exec_lo, exec_lo, s61
	s_and_saveexec_b32 s61, s20
	s_cbranch_execnz .LBB50_1078
.LBB50_375:                             ;   in Loop: Header=BB50_3 Depth=1
	s_or_b32 exec_lo, exec_lo, s61
	s_and_saveexec_b32 s61, s21
	s_cbranch_execnz .LBB50_1079
.LBB50_376:                             ;   in Loop: Header=BB50_3 Depth=1
	s_or_b32 exec_lo, exec_lo, s61
	s_and_saveexec_b32 s61, s22
	s_cbranch_execnz .LBB50_1080
.LBB50_377:                             ;   in Loop: Header=BB50_3 Depth=1
	s_or_b32 exec_lo, exec_lo, s61
	s_and_saveexec_b32 s61, s2
	s_cbranch_execnz .LBB50_1081
.LBB50_378:                             ;   in Loop: Header=BB50_3 Depth=1
	s_or_b32 exec_lo, exec_lo, s61
	s_and_saveexec_b32 s61, s17
	s_cbranch_execz .LBB50_380
.LBB50_379:                             ;   in Loop: Header=BB50_3 Depth=1
	ds_load_b64 v[46:47], v55 offset:24320
	ds_load_b64 v[48:49], v5 offset:24440
	s_wait_dscnt 0x0
	v_pk_mul_f32 v[98:99], v[48:49], v[46:47] op_sel:[1,1] op_sel_hi:[0,1]
	s_delay_alu instid0(VALU_DEP_1) | instskip(SKIP_1) | instid1(VALU_DEP_2)
	v_pk_fma_f32 v[100:101], v[48:49], v[46:47], v[98:99] op_sel_hi:[1,0,1]
	v_pk_fma_f32 v[46:47], v[48:49], v[46:47], v[98:99] neg_lo:[0,0,1] neg_hi:[0,0,1]
	v_mov_b32_e32 v47, v101
	s_delay_alu instid0(VALU_DEP_1)
	v_pk_add_f32 v[44:45], v[44:45], v[46:47]
.LBB50_380:                             ;   in Loop: Header=BB50_3 Depth=1
	s_or_b32 exec_lo, exec_lo, s61
.LBB50_381:                             ;   in Loop: Header=BB50_3 Depth=1
	s_delay_alu instid0(SALU_CYCLE_1)
	s_or_b32 exec_lo, exec_lo, s62
	s_and_saveexec_b32 s61, s102
; %bb.382:                              ;   in Loop: Header=BB50_3 Depth=1
	s_delay_alu instid0(VALU_DEP_1)
	v_pk_add_f32 v[46:47], v[44:45], 0 neg_lo:[1,1] neg_hi:[1,1]
	ds_store_b64 v82, v[46:47]
; %bb.383:                              ;   in Loop: Header=BB50_3 Depth=1
	s_or_b32 exec_lo, exec_lo, s61
	s_wait_loadcnt_dscnt 0x0
	s_barrier_signal -1
	s_barrier_wait -1
	s_and_saveexec_b32 s61, s103
	s_cbranch_execz .LBB50_385
; %bb.384:                              ;   in Loop: Header=BB50_3 Depth=1
	ds_load_b64 v[46:47], v78 offset:20224
	ds_load_b64 v[48:49], v82
	s_wait_dscnt 0x0
	v_pk_mul_f32 v[98:99], v[48:49], v[46:47] op_sel:[1,1] op_sel_hi:[0,1]
	s_delay_alu instid0(VALU_DEP_1) | instskip(SKIP_1) | instid1(VALU_DEP_2)
	v_pk_fma_f32 v[100:101], v[48:49], v[46:47], v[98:99] op_sel_hi:[1,0,1]
	v_pk_fma_f32 v[46:47], v[48:49], v[46:47], v[98:99] neg_lo:[0,0,1] neg_hi:[0,0,1]
	v_mov_b32_e32 v47, v101
	s_delay_alu instid0(VALU_DEP_1)
	v_pk_add_f32 v[44:45], v[44:45], v[46:47] neg_lo:[0,1] neg_hi:[0,1]
.LBB50_385:                             ;   in Loop: Header=BB50_3 Depth=1
	s_or_b32 exec_lo, exec_lo, s61
	s_barrier_signal -1
	s_barrier_wait -1
	s_and_saveexec_b32 s61, s104
; %bb.386:                              ;   in Loop: Header=BB50_3 Depth=1
	v_pk_add_f32 v[46:47], v[44:45], 0 neg_lo:[1,1] neg_hi:[1,1]
	ds_store_b64 v82, v[46:47]
; %bb.387:                              ;   in Loop: Header=BB50_3 Depth=1
	s_or_b32 exec_lo, exec_lo, s61
	s_wait_dscnt 0x0
	s_barrier_signal -1
	s_barrier_wait -1
	s_and_saveexec_b32 s61, vcc_hi
	s_cbranch_execz .LBB50_389
; %bb.388:                              ;   in Loop: Header=BB50_3 Depth=1
	ds_load_b64 v[46:47], v78 offset:19712
	ds_load_b64 v[48:49], v82
	s_wait_dscnt 0x0
	v_dual_mul_f32 v4, v49, v47 :: v_dual_mul_f32 v33, v48, v47
	s_delay_alu instid0(VALU_DEP_1) | instskip(NEXT) | instid1(VALU_DEP_1)
	v_dual_fma_f32 v4, v48, v46, -v4 :: v_dual_fmac_f32 v33, v49, v46
	v_dual_sub_f32 v44, v44, v4 :: v_dual_sub_f32 v45, v45, v33
.LBB50_389:                             ;   in Loop: Header=BB50_3 Depth=1
	s_or_b32 exec_lo, exec_lo, s61
	s_barrier_signal -1
	s_barrier_wait -1
	s_and_saveexec_b32 s61, s39
; %bb.390:                              ;   in Loop: Header=BB50_3 Depth=1
	v_pk_add_f32 v[46:47], v[44:45], 0 neg_lo:[1,1] neg_hi:[1,1]
	ds_store_b64 v82, v[46:47]
; %bb.391:                              ;   in Loop: Header=BB50_3 Depth=1
	s_or_b32 exec_lo, exec_lo, s61
	s_wait_dscnt 0x0
	s_barrier_signal -1
	s_barrier_wait -1
	s_and_saveexec_b32 s61, s40
	s_cbranch_execz .LBB50_393
; %bb.392:                              ;   in Loop: Header=BB50_3 Depth=1
	ds_load_b64 v[46:47], v78 offset:19200
	ds_load_b64 v[48:49], v82
	s_wait_dscnt 0x0
	v_dual_mul_f32 v4, v49, v47 :: v_dual_mul_f32 v99, v48, v47
	s_delay_alu instid0(VALU_DEP_1) | instskip(NEXT) | instid1(VALU_DEP_1)
	v_dual_fma_f32 v98, v48, v46, -v4 :: v_dual_fmac_f32 v99, v49, v46
	v_pk_add_f32 v[44:45], v[44:45], v[98:99] neg_lo:[0,1] neg_hi:[0,1]
.LBB50_393:                             ;   in Loop: Header=BB50_3 Depth=1
	s_or_b32 exec_lo, exec_lo, s61
	s_barrier_signal -1
	s_barrier_wait -1
	s_and_saveexec_b32 s61, s41
; %bb.394:                              ;   in Loop: Header=BB50_3 Depth=1
	v_pk_add_f32 v[46:47], v[44:45], 0 neg_lo:[1,1] neg_hi:[1,1]
	ds_store_b64 v82, v[46:47]
; %bb.395:                              ;   in Loop: Header=BB50_3 Depth=1
	s_or_b32 exec_lo, exec_lo, s61
	s_wait_dscnt 0x0
	s_barrier_signal -1
	s_barrier_wait -1
	s_and_saveexec_b32 s61, s42
	s_cbranch_execz .LBB50_397
; %bb.396:                              ;   in Loop: Header=BB50_3 Depth=1
	ds_load_b64 v[46:47], v78 offset:18688
	ds_load_b64 v[48:49], v82
	s_wait_dscnt 0x0
	v_pk_mul_f32 v[98:99], v[48:49], v[46:47] op_sel:[1,1] op_sel_hi:[0,1]
	s_delay_alu instid0(VALU_DEP_1) | instskip(SKIP_1) | instid1(VALU_DEP_2)
	v_pk_fma_f32 v[100:101], v[48:49], v[46:47], v[98:99] op_sel_hi:[1,0,1]
	v_pk_fma_f32 v[46:47], v[48:49], v[46:47], v[98:99] neg_lo:[0,0,1] neg_hi:[0,0,1]
	v_mov_b32_e32 v47, v101
	s_delay_alu instid0(VALU_DEP_1)
	v_pk_add_f32 v[44:45], v[44:45], v[46:47] neg_lo:[0,1] neg_hi:[0,1]
.LBB50_397:                             ;   in Loop: Header=BB50_3 Depth=1
	s_or_b32 exec_lo, exec_lo, s61
	s_barrier_signal -1
	s_barrier_wait -1
	s_and_saveexec_b32 s61, s43
; %bb.398:                              ;   in Loop: Header=BB50_3 Depth=1
	v_pk_add_f32 v[46:47], v[44:45], 0 neg_lo:[1,1] neg_hi:[1,1]
	ds_store_b64 v82, v[46:47]
; %bb.399:                              ;   in Loop: Header=BB50_3 Depth=1
	s_or_b32 exec_lo, exec_lo, s61
	s_wait_dscnt 0x0
	s_barrier_signal -1
	s_barrier_wait -1
	s_and_saveexec_b32 s61, s44
	s_cbranch_execz .LBB50_401
; %bb.400:                              ;   in Loop: Header=BB50_3 Depth=1
	ds_load_b64 v[46:47], v78 offset:18176
	ds_load_b64 v[48:49], v82
	s_wait_dscnt 0x0
	v_pk_mul_f32 v[98:99], v[48:49], v[46:47] op_sel:[1,1] op_sel_hi:[0,1]
	s_delay_alu instid0(VALU_DEP_1) | instskip(SKIP_1) | instid1(VALU_DEP_2)
	v_pk_fma_f32 v[100:101], v[48:49], v[46:47], v[98:99] op_sel_hi:[1,0,1]
	v_pk_fma_f32 v[46:47], v[48:49], v[46:47], v[98:99] neg_lo:[0,0,1] neg_hi:[0,0,1]
	v_mov_b32_e32 v47, v101
	s_delay_alu instid0(VALU_DEP_1)
	v_pk_add_f32 v[44:45], v[44:45], v[46:47] neg_lo:[0,1] neg_hi:[0,1]
.LBB50_401:                             ;   in Loop: Header=BB50_3 Depth=1
	s_or_b32 exec_lo, exec_lo, s61
	s_barrier_signal -1
	s_barrier_wait -1
	s_and_saveexec_b32 s61, s45
; %bb.402:                              ;   in Loop: Header=BB50_3 Depth=1
	v_pk_add_f32 v[46:47], v[44:45], 0 neg_lo:[1,1] neg_hi:[1,1]
	ds_store_b64 v82, v[46:47]
; %bb.403:                              ;   in Loop: Header=BB50_3 Depth=1
	s_or_b32 exec_lo, exec_lo, s61
	s_wait_dscnt 0x0
	s_barrier_signal -1
	s_barrier_wait -1
	s_and_saveexec_b32 s61, s46
	s_cbranch_execz .LBB50_405
; %bb.404:                              ;   in Loop: Header=BB50_3 Depth=1
	ds_load_b64 v[46:47], v78 offset:17664
	ds_load_b64 v[48:49], v82
	s_wait_dscnt 0x0
	v_pk_mul_f32 v[98:99], v[48:49], v[46:47] op_sel:[1,1] op_sel_hi:[0,1]
	s_delay_alu instid0(VALU_DEP_1) | instskip(SKIP_1) | instid1(VALU_DEP_2)
	v_pk_fma_f32 v[100:101], v[48:49], v[46:47], v[98:99] op_sel_hi:[1,0,1]
	v_pk_fma_f32 v[46:47], v[48:49], v[46:47], v[98:99] neg_lo:[0,0,1] neg_hi:[0,0,1]
	v_mov_b32_e32 v47, v101
	s_delay_alu instid0(VALU_DEP_1)
	v_pk_add_f32 v[44:45], v[44:45], v[46:47] neg_lo:[0,1] neg_hi:[0,1]
.LBB50_405:                             ;   in Loop: Header=BB50_3 Depth=1
	s_or_b32 exec_lo, exec_lo, s61
	s_barrier_signal -1
	s_barrier_wait -1
	s_and_saveexec_b32 s61, s47
; %bb.406:                              ;   in Loop: Header=BB50_3 Depth=1
	v_pk_add_f32 v[46:47], v[44:45], 0 neg_lo:[1,1] neg_hi:[1,1]
	ds_store_b64 v82, v[46:47]
; %bb.407:                              ;   in Loop: Header=BB50_3 Depth=1
	s_or_b32 exec_lo, exec_lo, s61
	s_wait_dscnt 0x0
	s_barrier_signal -1
	s_barrier_wait -1
	s_and_saveexec_b32 s61, s48
	s_cbranch_execz .LBB50_409
; %bb.408:                              ;   in Loop: Header=BB50_3 Depth=1
	ds_load_b64 v[46:47], v5 offset:17152
	ds_load_b64 v[48:49], v82
	s_wait_dscnt 0x0
	v_pk_mul_f32 v[98:99], v[48:49], v[46:47] op_sel:[1,1] op_sel_hi:[0,1]
	s_delay_alu instid0(VALU_DEP_1) | instskip(SKIP_1) | instid1(VALU_DEP_2)
	v_pk_fma_f32 v[100:101], v[48:49], v[46:47], v[98:99] op_sel_hi:[1,0,1]
	v_pk_fma_f32 v[46:47], v[48:49], v[46:47], v[98:99] neg_lo:[0,0,1] neg_hi:[0,0,1]
	v_mov_b32_e32 v47, v101
	s_delay_alu instid0(VALU_DEP_1)
	v_pk_add_f32 v[44:45], v[44:45], v[46:47] neg_lo:[0,1] neg_hi:[0,1]
.LBB50_409:                             ;   in Loop: Header=BB50_3 Depth=1
	s_or_b32 exec_lo, exec_lo, s61
	s_barrier_signal -1
	s_barrier_wait -1
	s_and_saveexec_b32 s61, s48
; %bb.410:                              ;   in Loop: Header=BB50_3 Depth=1
	v_pk_add_f32 v[46:47], v[44:45], 0 neg_lo:[1,1] neg_hi:[1,1]
	ds_store_b64 v82, v[46:47]
; %bb.411:                              ;   in Loop: Header=BB50_3 Depth=1
	s_or_b32 exec_lo, exec_lo, s61
	s_wait_dscnt 0x0
	s_barrier_signal -1
	s_barrier_wait -1
	s_barrier_signal -1
	s_barrier_wait -1
	s_and_saveexec_b32 s61, s3
; %bb.412:                              ;   in Loop: Header=BB50_3 Depth=1
	ds_store_b64 v83, v[44:45] offset:24320
; %bb.413:                              ;   in Loop: Header=BB50_3 Depth=1
	s_or_b32 exec_lo, exec_lo, s61
	s_wait_dscnt 0x0
	s_barrier_signal -1
	s_barrier_wait -1
	s_barrier_signal -1
	s_barrier_wait -1
	s_and_saveexec_b32 s61, s49
	s_cbranch_execz .LBB50_415
; %bb.414:                              ;   in Loop: Header=BB50_3 Depth=1
	ds_load_b64 v[44:45], v57 offset:20736
	s_wait_dscnt 0x0
	ds_store_b64 v59, v[44:45] offset:16704
	ds_load_b64 v[44:45], v57 offset:20744
	s_wait_dscnt 0x0
	ds_store_b64 v59, v[44:45] offset:17216
	;; [unrolled: 3-line block ×8, first 2 shown]
.LBB50_415:                             ;   in Loop: Header=BB50_3 Depth=1
	s_or_b32 exec_lo, exec_lo, s61
	s_wait_dscnt 0x0
	s_barrier_signal -1
	s_barrier_wait -1
	s_and_saveexec_b32 s61, s11
	s_cbranch_execz .LBB50_417
; %bb.416:                              ;   in Loop: Header=BB50_3 Depth=1
	ds_load_b64 v[44:45], v5 offset:20272
	v_add_nc_u32_e64 v4, 0x4800, 0
	ds_store_b64 v5, v[36:37] offset:20280
	s_wait_dscnt 0x1
	ds_store_2addr_b64 v4, v[36:37], v[44:45] offset0:166 offset1:167
.LBB50_417:                             ;   in Loop: Header=BB50_3 Depth=1
	s_or_b32 exec_lo, exec_lo, s61
	v_dual_mov_b32 v44, 0 :: v_dual_mov_b32 v45, 0
	s_wait_dscnt 0x0
	s_barrier_signal -1
	s_barrier_wait -1
	global_wb scope:SCOPE_DEV
	s_wait_storecnt 0x0
	global_inv scope:SCOPE_DEV
	s_and_saveexec_b32 s62, s0
	s_cbranch_execz .LBB50_421
; %bb.418:                              ;   in Loop: Header=BB50_3 Depth=1
	ds_load_b64 v[44:45], v74 offset:19744
	ds_load_b64 v[46:47], v56 offset:20272
	s_wait_dscnt 0x0
	v_pk_mul_f32 v[48:49], v[46:47], v[44:45] op_sel:[1,1] op_sel_hi:[0,1]
	s_delay_alu instid0(VALU_DEP_1) | instskip(SKIP_1) | instid1(VALU_DEP_2)
	v_pk_fma_f32 v[98:99], v[46:47], v[44:45], v[48:49] op_sel_hi:[1,0,1]
	v_pk_fma_f32 v[44:45], v[46:47], v[44:45], v[48:49] neg_lo:[0,0,1] neg_hi:[0,0,1]
	v_mov_b32_e32 v45, v99
	s_delay_alu instid0(VALU_DEP_1)
	v_pk_add_f32 v[44:45], v[44:45], 0 op_sel_hi:[1,0]
	s_and_saveexec_b32 s61, s15
	s_cbranch_execz .LBB50_420
; %bb.419:                              ;   in Loop: Header=BB50_3 Depth=1
	ds_load_b64 v[46:47], v59 offset:20256
	ds_load_b64 v[48:49], v5 offset:20280
	s_wait_dscnt 0x0
	v_pk_mul_f32 v[98:99], v[48:49], v[46:47] op_sel:[1,1] op_sel_hi:[0,1]
	s_delay_alu instid0(VALU_DEP_1) | instskip(SKIP_1) | instid1(VALU_DEP_2)
	v_pk_fma_f32 v[100:101], v[48:49], v[46:47], v[98:99] op_sel_hi:[1,0,1]
	v_pk_fma_f32 v[46:47], v[48:49], v[46:47], v[98:99] neg_lo:[0,0,1] neg_hi:[0,0,1]
	v_mov_b32_e32 v47, v101
	s_delay_alu instid0(VALU_DEP_1)
	v_pk_add_f32 v[44:45], v[44:45], v[46:47]
.LBB50_420:                             ;   in Loop: Header=BB50_3 Depth=1
	s_or_b32 exec_lo, exec_lo, s61
.LBB50_421:                             ;   in Loop: Header=BB50_3 Depth=1
	s_delay_alu instid0(SALU_CYCLE_1)
	s_or_b32 exec_lo, exec_lo, s62
	s_and_saveexec_b32 s61, s92
; %bb.422:                              ;   in Loop: Header=BB50_3 Depth=1
	s_delay_alu instid0(VALU_DEP_1)
	v_pk_add_f32 v[46:47], v[44:45], 0 neg_lo:[1,1] neg_hi:[1,1]
	ds_store_b64 v75, v[46:47]
; %bb.423:                              ;   in Loop: Header=BB50_3 Depth=1
	s_or_b32 exec_lo, exec_lo, s61
	s_wait_loadcnt_dscnt 0x0
	s_barrier_signal -1
	s_barrier_wait -1
	s_and_saveexec_b32 s61, s93
	s_cbranch_execz .LBB50_425
; %bb.424:                              ;   in Loop: Header=BB50_3 Depth=1
	ds_load_b64 v[46:47], v5 offset:19232
	ds_load_b64 v[48:49], v75
	s_wait_dscnt 0x0
	v_pk_mul_f32 v[98:99], v[48:49], v[46:47] op_sel_hi:[1,0]
	s_delay_alu instid0(VALU_DEP_1) | instskip(SKIP_1) | instid1(VALU_DEP_2)
	v_pk_fma_f32 v[100:101], v[48:49], v[46:47], v[98:99] op_sel:[1,1,0] op_sel_hi:[0,1,1]
	v_pk_fma_f32 v[46:47], v[48:49], v[46:47], v[98:99] op_sel:[1,1,0] op_sel_hi:[0,1,1] neg_lo:[0,0,1] neg_hi:[0,0,1]
	v_pk_add_f32 v[48:49], v[44:45], v[100:101] neg_lo:[0,1] neg_hi:[0,1]
	s_delay_alu instid0(VALU_DEP_2) | instskip(NEXT) | instid1(VALU_DEP_2)
	v_pk_add_f32 v[44:45], v[44:45], v[46:47]
	v_mov_b32_e32 v45, v49
.LBB50_425:                             ;   in Loop: Header=BB50_3 Depth=1
	s_or_b32 exec_lo, exec_lo, s61
	s_barrier_signal -1
	s_barrier_wait -1
	s_and_saveexec_b32 s61, s93
; %bb.426:                              ;   in Loop: Header=BB50_3 Depth=1
	v_pk_add_f32 v[46:47], v[44:45], 0 neg_lo:[1,1] neg_hi:[1,1]
	ds_store_b64 v75, v[46:47]
; %bb.427:                              ;   in Loop: Header=BB50_3 Depth=1
	s_or_b32 exec_lo, exec_lo, s61
	s_wait_dscnt 0x0
	s_barrier_signal -1
	s_barrier_wait -1
	s_barrier_signal -1
	s_barrier_wait -1
	s_and_saveexec_b32 s61, s0
; %bb.428:                              ;   in Loop: Header=BB50_3 Depth=1
	ds_store_b64 v77, v[44:45] offset:20256
; %bb.429:                              ;   in Loop: Header=BB50_3 Depth=1
	s_or_b32 exec_lo, exec_lo, s61
	s_wait_dscnt 0x0
	s_barrier_signal -1
	s_barrier_wait -1
	s_barrier_signal -1
	s_barrier_wait -1
	s_and_saveexec_b32 s61, s94
	s_cbranch_execz .LBB50_431
; %bb.430:                              ;   in Loop: Header=BB50_3 Depth=1
	ds_load_b64 v[44:45], v61 offset:19744
	s_wait_dscnt 0x0
	ds_store_b64 v59, v[44:45] offset:18736
	ds_load_b64 v[44:45], v61 offset:19752
	s_wait_dscnt 0x0
	ds_store_b64 v59, v[44:45] offset:19248
.LBB50_431:                             ;   in Loop: Header=BB50_3 Depth=1
	s_or_b32 exec_lo, exec_lo, s61
	s_wait_dscnt 0x0
	s_barrier_signal -1
	s_barrier_wait -1
	s_and_saveexec_b32 s61, s11
	s_cbranch_execz .LBB50_433
; %bb.432:                              ;   in Loop: Header=BB50_3 Depth=1
	ds_load_b64 v[44:45], v5 offset:19232
	v_add_nc_u32_e64 v4, 0x4800, 0
	ds_store_b64 v5, v[36:37] offset:19240
	s_wait_dscnt 0x1
	ds_store_2addr_b64 v4, v[36:37], v[44:45] offset0:36 offset1:37
.LBB50_433:                             ;   in Loop: Header=BB50_3 Depth=1
	s_or_b32 exec_lo, exec_lo, s61
	v_mov_b64_e32 v[44:45], 0
	s_wait_dscnt 0x0
	s_barrier_signal -1
	s_barrier_wait -1
	global_wb scope:SCOPE_DEV
	s_wait_storecnt 0x0
	global_inv scope:SCOPE_DEV
	s_and_saveexec_b32 s62, s2
	s_cbranch_execz .LBB50_439
; %bb.434:                              ;   in Loop: Header=BB50_3 Depth=1
	ds_load_b64 v[44:45], v76 offset:18688
	ds_load_b64 v[46:47], v58 offset:20256
	s_wait_dscnt 0x0
	v_dual_mul_f32 v4, v47, v45 :: v_dual_mul_f32 v33, v46, v45
	s_delay_alu instid0(VALU_DEP_1) | instskip(NEXT) | instid1(VALU_DEP_1)
	v_dual_fma_f32 v4, v46, v44, -v4 :: v_dual_fmac_f32 v33, v47, v44
	v_dual_add_f32 v44, 0, v4 :: v_dual_add_f32 v45, 0, v33
	s_and_saveexec_b32 s61, s16
	s_cbranch_execnz .LBB50_1082
; %bb.435:                              ;   in Loop: Header=BB50_3 Depth=1
	s_or_b32 exec_lo, exec_lo, s61
	s_and_saveexec_b32 s61, s17
	s_cbranch_execnz .LBB50_1083
.LBB50_436:                             ;   in Loop: Header=BB50_3 Depth=1
	s_or_b32 exec_lo, exec_lo, s61
	s_and_saveexec_b32 s61, s0
	s_cbranch_execz .LBB50_438
.LBB50_437:                             ;   in Loop: Header=BB50_3 Depth=1
	ds_load_b64 v[46:47], v65 offset:20224
	ds_load_b64 v[48:49], v5 offset:20280
	s_wait_dscnt 0x0
	v_pk_mul_f32 v[98:99], v[48:49], v[46:47] op_sel:[1,1] op_sel_hi:[0,1]
	s_delay_alu instid0(VALU_DEP_1) | instskip(SKIP_1) | instid1(VALU_DEP_2)
	v_pk_fma_f32 v[100:101], v[48:49], v[46:47], v[98:99] op_sel_hi:[1,0,1]
	v_pk_fma_f32 v[46:47], v[48:49], v[46:47], v[98:99] neg_lo:[0,0,1] neg_hi:[0,0,1]
	v_mov_b32_e32 v47, v101
	s_delay_alu instid0(VALU_DEP_1)
	v_pk_add_f32 v[44:45], v[44:45], v[46:47]
.LBB50_438:                             ;   in Loop: Header=BB50_3 Depth=1
	s_or_b32 exec_lo, exec_lo, s61
.LBB50_439:                             ;   in Loop: Header=BB50_3 Depth=1
	s_delay_alu instid0(SALU_CYCLE_1)
	s_or_b32 exec_lo, exec_lo, s62
	s_and_saveexec_b32 s61, s95
; %bb.440:                              ;   in Loop: Header=BB50_3 Depth=1
	s_delay_alu instid0(VALU_DEP_1)
	v_pk_add_f32 v[46:47], v[44:45], 0 neg_lo:[1,1] neg_hi:[1,1]
	ds_store_b64 v79, v[46:47]
; %bb.441:                              ;   in Loop: Header=BB50_3 Depth=1
	s_or_b32 exec_lo, exec_lo, s61
	s_wait_loadcnt_dscnt 0x0
	s_barrier_signal -1
	s_barrier_wait -1
	s_and_saveexec_b32 s61, s96
	s_cbranch_execz .LBB50_443
; %bb.442:                              ;   in Loop: Header=BB50_3 Depth=1
	ds_load_b64 v[46:47], v76 offset:18176
	ds_load_b64 v[48:49], v79
	s_wait_dscnt 0x0
	v_pk_mul_f32 v[98:99], v[48:49], v[46:47] op_sel:[1,1] op_sel_hi:[0,1]
	s_delay_alu instid0(VALU_DEP_1) | instskip(SKIP_1) | instid1(VALU_DEP_2)
	v_pk_fma_f32 v[100:101], v[48:49], v[46:47], v[98:99] op_sel_hi:[1,0,1]
	v_pk_fma_f32 v[46:47], v[48:49], v[46:47], v[98:99] neg_lo:[0,0,1] neg_hi:[0,0,1]
	v_mov_b32_e32 v47, v101
	s_delay_alu instid0(VALU_DEP_1)
	v_pk_add_f32 v[44:45], v[44:45], v[46:47] neg_lo:[0,1] neg_hi:[0,1]
.LBB50_443:                             ;   in Loop: Header=BB50_3 Depth=1
	s_or_b32 exec_lo, exec_lo, s61
	s_barrier_signal -1
	s_barrier_wait -1
	s_and_saveexec_b32 s61, s97
; %bb.444:                              ;   in Loop: Header=BB50_3 Depth=1
	v_pk_add_f32 v[46:47], v[44:45], 0 neg_lo:[1,1] neg_hi:[1,1]
	ds_store_b64 v79, v[46:47]
; %bb.445:                              ;   in Loop: Header=BB50_3 Depth=1
	s_or_b32 exec_lo, exec_lo, s61
	s_wait_dscnt 0x0
	s_barrier_signal -1
	s_barrier_wait -1
	s_and_saveexec_b32 s61, s98
	s_cbranch_execz .LBB50_447
; %bb.446:                              ;   in Loop: Header=BB50_3 Depth=1
	ds_load_b64 v[46:47], v76 offset:17664
	ds_load_b64 v[48:49], v79
	s_wait_dscnt 0x0
	v_pk_mul_f32 v[98:99], v[48:49], v[46:47] op_sel:[1,1] op_sel_hi:[0,1]
	s_delay_alu instid0(VALU_DEP_1) | instskip(SKIP_1) | instid1(VALU_DEP_2)
	v_pk_fma_f32 v[100:101], v[48:49], v[46:47], v[98:99] op_sel_hi:[1,0,1]
	v_pk_fma_f32 v[46:47], v[48:49], v[46:47], v[98:99] neg_lo:[0,0,1] neg_hi:[0,0,1]
	v_mov_b32_e32 v47, v101
	s_delay_alu instid0(VALU_DEP_1)
	v_pk_add_f32 v[44:45], v[44:45], v[46:47] neg_lo:[0,1] neg_hi:[0,1]
.LBB50_447:                             ;   in Loop: Header=BB50_3 Depth=1
	s_or_b32 exec_lo, exec_lo, s61
	s_barrier_signal -1
	s_barrier_wait -1
	s_and_saveexec_b32 s61, s99
; %bb.448:                              ;   in Loop: Header=BB50_3 Depth=1
	v_pk_add_f32 v[46:47], v[44:45], 0 neg_lo:[1,1] neg_hi:[1,1]
	ds_store_b64 v79, v[46:47]
; %bb.449:                              ;   in Loop: Header=BB50_3 Depth=1
	s_or_b32 exec_lo, exec_lo, s61
	s_wait_dscnt 0x0
	;; [unrolled: 26-line block ×3, first 2 shown]
	s_barrier_signal -1
	s_barrier_wait -1
	s_barrier_signal -1
	s_barrier_wait -1
	s_and_saveexec_b32 s61, s2
; %bb.454:                              ;   in Loop: Header=BB50_3 Depth=1
	ds_store_b64 v81, v[44:45] offset:20224
; %bb.455:                              ;   in Loop: Header=BB50_3 Depth=1
	s_or_b32 exec_lo, exec_lo, s61
	s_wait_dscnt 0x0
	s_barrier_signal -1
	s_barrier_wait -1
	s_barrier_signal -1
	s_barrier_wait -1
	s_and_saveexec_b32 s61, s101
	s_cbranch_execz .LBB50_457
; %bb.456:                              ;   in Loop: Header=BB50_3 Depth=1
	ds_load_b64 v[44:45], v67 offset:18688
	s_wait_dscnt 0x0
	ds_store_b64 v68, v[44:45] offset:16672
	ds_load_b64 v[44:45], v67 offset:18696
	s_wait_dscnt 0x0
	ds_store_b64 v68, v[44:45] offset:17184
	;; [unrolled: 3-line block ×4, first 2 shown]
.LBB50_457:                             ;   in Loop: Header=BB50_3 Depth=1
	s_or_b32 exec_lo, exec_lo, s61
	s_wait_dscnt 0x0
	s_barrier_signal -1
	s_barrier_wait -1
	s_and_saveexec_b32 s61, s11
	s_cbranch_execz .LBB50_459
; %bb.458:                              ;   in Loop: Header=BB50_3 Depth=1
	ds_load_b64 v[44:45], v5 offset:18192
	v_add_nc_u32_e64 v4, 0x4000, 0
	ds_store_b64 v5, v[36:37] offset:18200
	s_wait_dscnt 0x1
	ds_store_2addr_b64 v4, v[36:37], v[44:45] offset0:162 offset1:163
.LBB50_459:                             ;   in Loop: Header=BB50_3 Depth=1
	s_or_b32 exec_lo, exec_lo, s61
	v_dual_mov_b32 v44, 0 :: v_dual_mov_b32 v45, 0
	s_wait_dscnt 0x0
	s_barrier_signal -1
	s_barrier_wait -1
	global_wb scope:SCOPE_DEV
	s_wait_storecnt 0x0
	global_inv scope:SCOPE_DEV
	s_and_saveexec_b32 s62, s0
	s_cbranch_execz .LBB50_463
; %bb.460:                              ;   in Loop: Header=BB50_3 Depth=1
	ds_load_b64 v[44:45], v74 offset:17664
	ds_load_b64 v[46:47], v56 offset:18192
	s_wait_dscnt 0x0
	v_pk_mul_f32 v[48:49], v[46:47], v[44:45] op_sel:[1,1] op_sel_hi:[0,1]
	s_delay_alu instid0(VALU_DEP_1) | instskip(SKIP_1) | instid1(VALU_DEP_2)
	v_pk_fma_f32 v[98:99], v[46:47], v[44:45], v[48:49] op_sel_hi:[1,0,1]
	v_pk_fma_f32 v[44:45], v[46:47], v[44:45], v[48:49] neg_lo:[0,0,1] neg_hi:[0,0,1]
	v_mov_b32_e32 v45, v99
	s_delay_alu instid0(VALU_DEP_1)
	v_pk_add_f32 v[44:45], v[44:45], 0 op_sel_hi:[1,0]
	s_and_saveexec_b32 s61, s15
	s_cbranch_execz .LBB50_462
; %bb.461:                              ;   in Loop: Header=BB50_3 Depth=1
	ds_load_b64 v[46:47], v68 offset:18176
	ds_load_b64 v[48:49], v5 offset:18200
	s_wait_dscnt 0x0
	v_pk_mul_f32 v[98:99], v[48:49], v[46:47] op_sel:[1,1] op_sel_hi:[0,1]
	s_delay_alu instid0(VALU_DEP_1) | instskip(SKIP_1) | instid1(VALU_DEP_2)
	v_pk_fma_f32 v[100:101], v[48:49], v[46:47], v[98:99] op_sel_hi:[1,0,1]
	v_pk_fma_f32 v[46:47], v[48:49], v[46:47], v[98:99] neg_lo:[0,0,1] neg_hi:[0,0,1]
	v_mov_b32_e32 v47, v101
	s_delay_alu instid0(VALU_DEP_1)
	v_pk_add_f32 v[44:45], v[44:45], v[46:47]
.LBB50_462:                             ;   in Loop: Header=BB50_3 Depth=1
	s_or_b32 exec_lo, exec_lo, s61
.LBB50_463:                             ;   in Loop: Header=BB50_3 Depth=1
	s_delay_alu instid0(SALU_CYCLE_1)
	s_or_b32 exec_lo, exec_lo, s62
	s_and_saveexec_b32 s61, s92
; %bb.464:                              ;   in Loop: Header=BB50_3 Depth=1
	s_delay_alu instid0(VALU_DEP_1)
	v_pk_add_f32 v[46:47], v[44:45], 0 neg_lo:[1,1] neg_hi:[1,1]
	ds_store_b64 v75, v[46:47]
; %bb.465:                              ;   in Loop: Header=BB50_3 Depth=1
	s_or_b32 exec_lo, exec_lo, s61
	s_wait_loadcnt_dscnt 0x0
	s_barrier_signal -1
	s_barrier_wait -1
	s_and_saveexec_b32 s61, s93
	s_cbranch_execz .LBB50_467
; %bb.466:                              ;   in Loop: Header=BB50_3 Depth=1
	ds_load_b64 v[46:47], v5 offset:17152
	ds_load_b64 v[48:49], v75
	s_wait_dscnt 0x0
	v_pk_mul_f32 v[98:99], v[48:49], v[46:47] op_sel_hi:[1,0]
	s_delay_alu instid0(VALU_DEP_1) | instskip(SKIP_1) | instid1(VALU_DEP_2)
	v_pk_fma_f32 v[100:101], v[48:49], v[46:47], v[98:99] op_sel:[1,1,0] op_sel_hi:[0,1,1]
	v_pk_fma_f32 v[46:47], v[48:49], v[46:47], v[98:99] op_sel:[1,1,0] op_sel_hi:[0,1,1] neg_lo:[0,0,1] neg_hi:[0,0,1]
	v_pk_add_f32 v[48:49], v[44:45], v[100:101] neg_lo:[0,1] neg_hi:[0,1]
	s_delay_alu instid0(VALU_DEP_2) | instskip(NEXT) | instid1(VALU_DEP_2)
	v_pk_add_f32 v[44:45], v[44:45], v[46:47]
	v_mov_b32_e32 v45, v49
.LBB50_467:                             ;   in Loop: Header=BB50_3 Depth=1
	s_or_b32 exec_lo, exec_lo, s61
	s_barrier_signal -1
	s_barrier_wait -1
	s_and_saveexec_b32 s61, s93
; %bb.468:                              ;   in Loop: Header=BB50_3 Depth=1
	v_pk_add_f32 v[46:47], v[44:45], 0 neg_lo:[1,1] neg_hi:[1,1]
	ds_store_b64 v75, v[46:47]
; %bb.469:                              ;   in Loop: Header=BB50_3 Depth=1
	s_or_b32 exec_lo, exec_lo, s61
	s_wait_dscnt 0x0
	s_barrier_signal -1
	s_barrier_wait -1
	s_barrier_signal -1
	s_barrier_wait -1
	s_and_saveexec_b32 s61, s0
; %bb.470:                              ;   in Loop: Header=BB50_3 Depth=1
	ds_store_b64 v77, v[44:45] offset:18176
; %bb.471:                              ;   in Loop: Header=BB50_3 Depth=1
	s_or_b32 exec_lo, exec_lo, s61
	s_wait_dscnt 0x0
	s_barrier_signal -1
	s_barrier_wait -1
	s_barrier_signal -1
	s_barrier_wait -1
	s_and_saveexec_b32 s61, s94
	s_cbranch_execz .LBB50_473
; %bb.472:                              ;   in Loop: Header=BB50_3 Depth=1
	ds_load_b64 v[44:45], v69 offset:17664
	s_wait_dscnt 0x0
	ds_store_b64 v68, v[44:45] offset:16656
	ds_load_b64 v[44:45], v69 offset:17672
	s_wait_dscnt 0x0
	ds_store_b64 v68, v[44:45] offset:17168
.LBB50_473:                             ;   in Loop: Header=BB50_3 Depth=1
	s_or_b32 exec_lo, exec_lo, s61
	s_wait_dscnt 0x0
	s_barrier_signal -1
	s_barrier_wait -1
	s_and_saveexec_b32 s61, s11
	s_cbranch_execz .LBB50_475
; %bb.474:                              ;   in Loop: Header=BB50_3 Depth=1
	ds_load_b64 v[44:45], v5 offset:17152
	v_add_nc_u32_e64 v4, 0x4000, 0
	ds_store_b64 v5, v[36:37] offset:17160
	s_wait_dscnt 0x1
	ds_store_2addr_b64 v4, v[36:37], v[44:45] offset0:32 offset1:33
.LBB50_475:                             ;   in Loop: Header=BB50_3 Depth=1
	s_or_b32 exec_lo, exec_lo, s61
	v_mov_b64_e32 v[44:45], 0
	s_wait_dscnt 0x0
	s_barrier_signal -1
	s_barrier_wait -1
	global_wb scope:SCOPE_DEV
	s_wait_storecnt 0x0
	global_inv scope:SCOPE_DEV
	s_and_saveexec_b32 s62, s35
	s_cbranch_execz .LBB50_535
; %bb.476:                              ;   in Loop: Header=BB50_3 Depth=1
	ds_load_b64 v[44:45], v63 offset:16384
	ds_load_b64 v[46:47], v66 offset:32512
	v_readlane_b32 s10, v106, 3
	s_wait_dscnt 0x0
	v_dual_mul_f32 v4, v47, v45 :: v_dual_mul_f32 v33, v46, v45
	s_delay_alu instid0(VALU_DEP_1) | instskip(NEXT) | instid1(VALU_DEP_1)
	v_dual_fma_f32 v4, v46, v44, -v4 :: v_dual_fmac_f32 v33, v47, v44
	v_dual_add_f32 v44, 0, v4 :: v_dual_add_f32 v45, 0, v33
	s_and_saveexec_b32 s61, s10
	s_cbranch_execz .LBB50_478
; %bb.477:                              ;   in Loop: Header=BB50_3 Depth=1
	ds_load_b64 v[46:47], v63 offset:16896
	ds_load_b64 v[48:49], v66 offset:32520
	s_wait_dscnt 0x0
	v_dual_mul_f32 v4, v49, v47 :: v_dual_mul_f32 v33, v48, v47
	s_delay_alu instid0(VALU_DEP_1) | instskip(NEXT) | instid1(VALU_DEP_1)
	v_dual_fma_f32 v4, v48, v46, -v4 :: v_dual_fmac_f32 v33, v49, v46
	v_dual_add_f32 v44, v44, v4 :: v_dual_add_f32 v45, v45, v33
.LBB50_478:                             ;   in Loop: Header=BB50_3 Depth=1
	s_or_b32 exec_lo, exec_lo, s61
	v_readlane_b32 s10, v106, 4
	s_and_saveexec_b32 s61, s10
	s_cbranch_execz .LBB50_480
; %bb.479:                              ;   in Loop: Header=BB50_3 Depth=1
	ds_load_b64 v[46:47], v63 offset:17408
	ds_load_b64 v[48:49], v66 offset:32528
	s_wait_dscnt 0x0
	v_dual_mul_f32 v4, v49, v47 :: v_dual_mul_f32 v33, v48, v47
	s_delay_alu instid0(VALU_DEP_1) | instskip(NEXT) | instid1(VALU_DEP_1)
	v_dual_fma_f32 v4, v48, v46, -v4 :: v_dual_fmac_f32 v33, v49, v46
	v_dual_add_f32 v44, v44, v4 :: v_dual_add_f32 v45, v45, v33
.LBB50_480:                             ;   in Loop: Header=BB50_3 Depth=1
	s_or_b32 exec_lo, exec_lo, s61
	v_readlane_b32 s10, v106, 5
	;; [unrolled: 13-line block ×22, first 2 shown]
	s_and_saveexec_b32 s61, s10
	s_cbranch_execz .LBB50_522
; %bb.521:                              ;   in Loop: Header=BB50_3 Depth=1
	ds_load_b64 v[46:47], v63 offset:28160
	ds_load_b64 v[48:49], v66 offset:32696
	s_wait_dscnt 0x0
	v_dual_mul_f32 v4, v49, v47 :: v_dual_mul_f32 v33, v48, v47
	s_delay_alu instid0(VALU_DEP_1) | instskip(NEXT) | instid1(VALU_DEP_1)
	v_dual_fma_f32 v4, v48, v46, -v4 :: v_dual_fmac_f32 v33, v49, v46
	v_dual_add_f32 v44, v44, v4 :: v_dual_add_f32 v45, v45, v33
.LBB50_522:                             ;   in Loop: Header=BB50_3 Depth=1
	s_or_b32 exec_lo, exec_lo, s61
	s_and_saveexec_b32 s61, s4
	s_cbranch_execz .LBB50_524
; %bb.523:                              ;   in Loop: Header=BB50_3 Depth=1
	ds_load_b64 v[46:47], v63 offset:28672
	ds_load_b64 v[48:49], v66 offset:32704
	s_wait_dscnt 0x0
	v_dual_mul_f32 v4, v49, v47 :: v_dual_mul_f32 v33, v48, v47
	s_delay_alu instid0(VALU_DEP_1) | instskip(NEXT) | instid1(VALU_DEP_1)
	v_dual_fma_f32 v4, v48, v46, -v4 :: v_dual_fmac_f32 v33, v49, v46
	v_dual_add_f32 v44, v44, v4 :: v_dual_add_f32 v45, v45, v33
.LBB50_524:                             ;   in Loop: Header=BB50_3 Depth=1
	s_or_b32 exec_lo, exec_lo, s61
	v_readlane_b32 s10, v107, 26
	s_and_saveexec_b32 s61, s10
	s_cbranch_execz .LBB50_526
; %bb.525:                              ;   in Loop: Header=BB50_3 Depth=1
	ds_load_b64 v[46:47], v63 offset:29184
	ds_load_b64 v[48:49], v66 offset:32712
	s_wait_dscnt 0x0
	v_dual_mul_f32 v4, v49, v47 :: v_dual_mul_f32 v33, v48, v47
	s_delay_alu instid0(VALU_DEP_1) | instskip(NEXT) | instid1(VALU_DEP_1)
	v_dual_fma_f32 v4, v48, v46, -v4 :: v_dual_fmac_f32 v33, v49, v46
	v_dual_add_f32 v44, v44, v4 :: v_dual_add_f32 v45, v45, v33
.LBB50_526:                             ;   in Loop: Header=BB50_3 Depth=1
	s_or_b32 exec_lo, exec_lo, s61
	v_readlane_b32 s10, v107, 28
	;; [unrolled: 13-line block ×3, first 2 shown]
	s_and_saveexec_b32 s61, s10
	s_cbranch_execnz .LBB50_1084
; %bb.529:                              ;   in Loop: Header=BB50_3 Depth=1
	s_or_b32 exec_lo, exec_lo, s61
	s_and_saveexec_b32 s61, s13
	s_cbranch_execnz .LBB50_1085
.LBB50_530:                             ;   in Loop: Header=BB50_3 Depth=1
	s_or_b32 exec_lo, exec_lo, s61
	s_and_saveexec_b32 s61, s14
	s_cbranch_execnz .LBB50_1086
.LBB50_531:                             ;   in Loop: Header=BB50_3 Depth=1
	s_or_b32 exec_lo, exec_lo, s61
	s_and_saveexec_b32 s61, s3
	s_cbranch_execnz .LBB50_1087
.LBB50_532:                             ;   in Loop: Header=BB50_3 Depth=1
	s_or_b32 exec_lo, exec_lo, s61
	s_and_saveexec_b32 s61, s21
	s_delay_alu instid0(SALU_CYCLE_1)
	s_xor_b32 s61, exec_lo, s61
	s_cbranch_execz .LBB50_534
.LBB50_533:                             ;   in Loop: Header=BB50_3 Depth=1
	ds_load_b64 v[46:47], v63 offset:32256
	ds_load_b64 v[48:49], v66 offset:32760
	s_wait_dscnt 0x0
	v_pk_mul_f32 v[98:99], v[48:49], v[46:47] op_sel:[1,1] op_sel_hi:[0,1]
	s_delay_alu instid0(VALU_DEP_1) | instskip(SKIP_1) | instid1(VALU_DEP_2)
	v_pk_fma_f32 v[100:101], v[48:49], v[46:47], v[98:99] op_sel_hi:[1,0,1]
	v_pk_fma_f32 v[46:47], v[48:49], v[46:47], v[98:99] neg_lo:[0,0,1] neg_hi:[0,0,1]
	v_mov_b32_e32 v47, v101
	s_delay_alu instid0(VALU_DEP_1)
	v_pk_add_f32 v[44:45], v[44:45], v[46:47]
.LBB50_534:                             ;   in Loop: Header=BB50_3 Depth=1
	s_or_b32 exec_lo, exec_lo, s61
.LBB50_535:                             ;   in Loop: Header=BB50_3 Depth=1
	s_delay_alu instid0(SALU_CYCLE_1)
	s_or_b32 exec_lo, exec_lo, s62
	v_dual_mov_b32 v4, v97 :: v_dual_mov_b32 v33, v95
	s_mov_b32 s62, 31
	s_branch .LBB50_537
.LBB50_536:                             ;   in Loop: Header=BB50_537 Depth=2
	s_or_b32 exec_lo, exec_lo, s61
	v_add_nc_u32_e32 v33, 0xfffff800, v33
	v_add_nc_u32_e32 v4, 4, v4
	s_add_co_i32 s62, s62, -4
	s_cmp_eq_u32 s63, 0
	s_barrier_signal -1
	s_barrier_wait -1
	s_cbranch_scc1 .LBB50_553
.LBB50_537:                             ;   Parent Loop BB50_3 Depth=1
                                        ; =>  This Inner Loop Header: Depth=2
	s_delay_alu instid0(VALU_DEP_1) | instskip(SKIP_1) | instid1(SALU_CYCLE_1)
	v_cmp_eq_u32_e32 vcc_lo, 0, v4
	s_and_b32 s63, s60, vcc_lo
	s_and_saveexec_b32 s61, s63
; %bb.538:                              ;   in Loop: Header=BB50_537 Depth=2
	v_pk_add_f32 v[46:47], v[44:45], 0 neg_lo:[1,1] neg_hi:[1,1]
	ds_store_b64 v86, v[46:47]
; %bb.539:                              ;   in Loop: Header=BB50_537 Depth=2
	s_or_b32 exec_lo, exec_lo, s61
	v_cmp_gt_u32_e32 vcc_lo, s62, v60
	s_wait_loadcnt_dscnt 0x0
	s_barrier_signal -1
	s_barrier_wait -1
	s_and_b32 s63, s60, vcc_lo
	s_delay_alu instid0(SALU_CYCLE_1)
	s_and_saveexec_b32 s61, s63
	s_cbranch_execz .LBB50_541
; %bb.540:                              ;   in Loop: Header=BB50_537 Depth=2
	ds_load_b64 v[46:47], v33 offset:1536
	ds_load_b64 v[48:49], v86
	s_wait_dscnt 0x0
	v_pk_mul_f32 v[98:99], v[48:49], v[46:47] op_sel:[1,1] op_sel_hi:[0,1]
	s_delay_alu instid0(VALU_DEP_1) | instskip(SKIP_1) | instid1(VALU_DEP_2)
	v_pk_fma_f32 v[100:101], v[48:49], v[46:47], v[98:99] op_sel_hi:[1,0,1]
	v_pk_fma_f32 v[46:47], v[48:49], v[46:47], v[98:99] neg_lo:[0,0,1] neg_hi:[0,0,1]
	v_mov_b32_e32 v47, v101
	s_delay_alu instid0(VALU_DEP_1)
	v_pk_add_f32 v[44:45], v[44:45], v[46:47] neg_lo:[0,1] neg_hi:[0,1]
.LBB50_541:                             ;   in Loop: Header=BB50_537 Depth=2
	s_or_b32 exec_lo, exec_lo, s61
	s_add_co_i32 s61, s62, -1
	s_delay_alu instid0(SALU_CYCLE_1) | instskip(SKIP_3) | instid1(SALU_CYCLE_1)
	v_cmp_eq_u32_e32 vcc_lo, s61, v60
	s_barrier_signal -1
	s_barrier_wait -1
	s_and_b32 s82, s60, vcc_lo
	s_and_saveexec_b32 s63, s82
; %bb.542:                              ;   in Loop: Header=BB50_537 Depth=2
	v_pk_add_f32 v[46:47], v[44:45], 0 neg_lo:[1,1] neg_hi:[1,1]
	ds_store_b64 v86, v[46:47]
; %bb.543:                              ;   in Loop: Header=BB50_537 Depth=2
	s_or_b32 exec_lo, exec_lo, s63
	v_cmp_gt_u32_e32 vcc_lo, s61, v60
	s_wait_dscnt 0x0
	s_barrier_signal -1
	s_barrier_wait -1
	s_and_b32 s63, s60, vcc_lo
	s_delay_alu instid0(SALU_CYCLE_1)
	s_and_saveexec_b32 s61, s63
	s_cbranch_execz .LBB50_545
; %bb.544:                              ;   in Loop: Header=BB50_537 Depth=2
	ds_load_b64 v[46:47], v33 offset:1024
	ds_load_b64 v[48:49], v86
	s_wait_dscnt 0x0
	v_pk_mul_f32 v[98:99], v[48:49], v[46:47] op_sel:[1,1] op_sel_hi:[0,1]
	s_delay_alu instid0(VALU_DEP_1) | instskip(SKIP_1) | instid1(VALU_DEP_2)
	v_pk_fma_f32 v[100:101], v[48:49], v[46:47], v[98:99] op_sel_hi:[1,0,1]
	v_pk_fma_f32 v[46:47], v[48:49], v[46:47], v[98:99] neg_lo:[0,0,1] neg_hi:[0,0,1]
	v_mov_b32_e32 v47, v101
	s_delay_alu instid0(VALU_DEP_1)
	v_pk_add_f32 v[44:45], v[44:45], v[46:47] neg_lo:[0,1] neg_hi:[0,1]
.LBB50_545:                             ;   in Loop: Header=BB50_537 Depth=2
	s_or_b32 exec_lo, exec_lo, s61
	s_add_co_i32 s61, s62, -2
	s_delay_alu instid0(SALU_CYCLE_1) | instskip(SKIP_3) | instid1(SALU_CYCLE_1)
	v_cmp_eq_u32_e32 vcc_lo, s61, v60
	s_barrier_signal -1
	s_barrier_wait -1
	s_and_b32 s82, s60, vcc_lo
	s_and_saveexec_b32 s63, s82
; %bb.546:                              ;   in Loop: Header=BB50_537 Depth=2
	v_pk_add_f32 v[46:47], v[44:45], 0 neg_lo:[1,1] neg_hi:[1,1]
	ds_store_b64 v86, v[46:47]
; %bb.547:                              ;   in Loop: Header=BB50_537 Depth=2
	s_or_b32 exec_lo, exec_lo, s63
	v_cmp_gt_u32_e32 vcc_lo, s61, v60
	s_wait_dscnt 0x0
	;; [unrolled: 33-line block ×3, first 2 shown]
	s_barrier_signal -1
	s_barrier_wait -1
	s_and_b32 s82, s60, vcc_lo
	s_delay_alu instid0(SALU_CYCLE_1)
	s_and_saveexec_b32 s61, s82
	s_cbranch_execz .LBB50_536
; %bb.552:                              ;   in Loop: Header=BB50_537 Depth=2
	ds_load_b64 v[46:47], v33
	ds_load_b64 v[48:49], v86
	s_wait_dscnt 0x0
	v_pk_mul_f32 v[98:99], v[48:49], v[46:47] op_sel:[1,1] op_sel_hi:[0,1]
	s_delay_alu instid0(VALU_DEP_1) | instskip(SKIP_1) | instid1(VALU_DEP_2)
	v_pk_fma_f32 v[100:101], v[48:49], v[46:47], v[98:99] op_sel_hi:[1,0,1]
	v_pk_fma_f32 v[46:47], v[48:49], v[46:47], v[98:99] neg_lo:[0,0,1] neg_hi:[0,0,1]
	v_mov_b32_e32 v47, v101
	s_delay_alu instid0(VALU_DEP_1)
	v_pk_add_f32 v[44:45], v[44:45], v[46:47] neg_lo:[0,1] neg_hi:[0,1]
	s_branch .LBB50_536
.LBB50_553:                             ;   in Loop: Header=BB50_3 Depth=1
	s_and_saveexec_b32 s61, s35
; %bb.554:                              ;   in Loop: Header=BB50_3 Depth=1
	ds_store_b64 v87, v[44:45] offset:32256
; %bb.555:                              ;   in Loop: Header=BB50_3 Depth=1
	s_or_b32 exec_lo, exec_lo, s61
	v_readlane_b32 s10, v107, 12
	s_wait_dscnt 0x0
	s_barrier_signal -1
	s_barrier_wait -1
	s_barrier_signal -1
	s_barrier_wait -1
	s_and_saveexec_b32 s62, s10
	s_cbranch_execz .LBB50_557
; %bb.556:                              ;   in Loop: Header=BB50_3 Depth=1
	ds_load_b64 v[44:45], v69 offset:16384
	v_add_nc_u32_e32 v4, v69, v71
	s_wait_dscnt 0x0
	ds_store_b64 v4, v[44:45] offset:256
	ds_load_b64 v[44:45], v69 offset:16392
	s_wait_dscnt 0x0
	ds_store_b64 v4, v[44:45] offset:768
	ds_load_b64 v[44:45], v69 offset:16400
	;; [unrolled: 3-line block ×31, first 2 shown]
	s_wait_dscnt 0x0
	ds_store_b64 v4, v[44:45] offset:16128
.LBB50_557:                             ;   in Loop: Header=BB50_3 Depth=1
	s_or_b32 exec_lo, exec_lo, s62
	s_wait_dscnt 0x0
	s_barrier_signal -1
	s_barrier_wait -1
	s_and_saveexec_b32 s61, s11
	s_cbranch_execz .LBB50_559
; %bb.558:                              ;   in Loop: Header=BB50_3 Depth=1
	ds_load_b64 v[44:45], v5 offset:16112
	v_add_nc_u32_e64 v4, 0x3800, 0
	ds_store_b64 v5, v[36:37] offset:16120
	s_wait_dscnt 0x1
	ds_store_2addr_b64 v4, v[36:37], v[44:45] offset0:158 offset1:159
.LBB50_559:                             ;   in Loop: Header=BB50_3 Depth=1
	s_or_b32 exec_lo, exec_lo, s61
	v_dual_mov_b32 v44, 0 :: v_dual_mov_b32 v45, 0
	s_wait_dscnt 0x0
	s_barrier_signal -1
	s_barrier_wait -1
	global_wb scope:SCOPE_DEV
	s_wait_storecnt 0x0
	global_inv scope:SCOPE_DEV
	s_and_saveexec_b32 s62, s0
	s_cbranch_execz .LBB50_563
; %bb.560:                              ;   in Loop: Header=BB50_3 Depth=1
	ds_load_b64 v[44:45], v74 offset:15584
	ds_load_b64 v[46:47], v56 offset:16112
	s_wait_dscnt 0x0
	v_pk_mul_f32 v[48:49], v[46:47], v[44:45] op_sel:[1,1] op_sel_hi:[0,1]
	s_delay_alu instid0(VALU_DEP_1) | instskip(SKIP_1) | instid1(VALU_DEP_2)
	v_pk_fma_f32 v[98:99], v[46:47], v[44:45], v[48:49] op_sel_hi:[1,0,1]
	v_pk_fma_f32 v[44:45], v[46:47], v[44:45], v[48:49] neg_lo:[0,0,1] neg_hi:[0,0,1]
	v_mov_b32_e32 v45, v99
	s_delay_alu instid0(VALU_DEP_1)
	v_pk_add_f32 v[44:45], v[44:45], 0 op_sel_hi:[1,0]
	s_and_saveexec_b32 s61, s15
	s_cbranch_execz .LBB50_562
; %bb.561:                              ;   in Loop: Header=BB50_3 Depth=1
	ds_load_b64 v[46:47], v9 offset:16096
	ds_load_b64 v[48:49], v5 offset:16120
	s_wait_dscnt 0x0
	v_pk_mul_f32 v[98:99], v[48:49], v[46:47] op_sel:[1,1] op_sel_hi:[0,1]
	s_delay_alu instid0(VALU_DEP_1) | instskip(SKIP_1) | instid1(VALU_DEP_2)
	v_pk_fma_f32 v[100:101], v[48:49], v[46:47], v[98:99] op_sel_hi:[1,0,1]
	v_pk_fma_f32 v[46:47], v[48:49], v[46:47], v[98:99] neg_lo:[0,0,1] neg_hi:[0,0,1]
	v_mov_b32_e32 v47, v101
	s_delay_alu instid0(VALU_DEP_1)
	v_pk_add_f32 v[44:45], v[44:45], v[46:47]
.LBB50_562:                             ;   in Loop: Header=BB50_3 Depth=1
	s_or_b32 exec_lo, exec_lo, s61
.LBB50_563:                             ;   in Loop: Header=BB50_3 Depth=1
	s_delay_alu instid0(SALU_CYCLE_1)
	s_or_b32 exec_lo, exec_lo, s62
	s_and_saveexec_b32 s61, s92
; %bb.564:                              ;   in Loop: Header=BB50_3 Depth=1
	s_delay_alu instid0(VALU_DEP_1)
	v_pk_add_f32 v[46:47], v[44:45], 0 neg_lo:[1,1] neg_hi:[1,1]
	ds_store_b64 v75, v[46:47]
; %bb.565:                              ;   in Loop: Header=BB50_3 Depth=1
	s_or_b32 exec_lo, exec_lo, s61
	s_wait_loadcnt_dscnt 0x0
	s_barrier_signal -1
	s_barrier_wait -1
	s_and_saveexec_b32 s61, s93
	s_cbranch_execz .LBB50_567
; %bb.566:                              ;   in Loop: Header=BB50_3 Depth=1
	ds_load_b64 v[46:47], v5 offset:15072
	ds_load_b64 v[48:49], v75
	s_wait_dscnt 0x0
	v_pk_mul_f32 v[98:99], v[48:49], v[46:47] op_sel_hi:[1,0]
	s_delay_alu instid0(VALU_DEP_1) | instskip(SKIP_1) | instid1(VALU_DEP_2)
	v_pk_fma_f32 v[100:101], v[48:49], v[46:47], v[98:99] op_sel:[1,1,0] op_sel_hi:[0,1,1]
	v_pk_fma_f32 v[46:47], v[48:49], v[46:47], v[98:99] op_sel:[1,1,0] op_sel_hi:[0,1,1] neg_lo:[0,0,1] neg_hi:[0,0,1]
	v_pk_add_f32 v[48:49], v[44:45], v[100:101] neg_lo:[0,1] neg_hi:[0,1]
	s_delay_alu instid0(VALU_DEP_2) | instskip(NEXT) | instid1(VALU_DEP_2)
	v_pk_add_f32 v[44:45], v[44:45], v[46:47]
	v_mov_b32_e32 v45, v49
.LBB50_567:                             ;   in Loop: Header=BB50_3 Depth=1
	s_or_b32 exec_lo, exec_lo, s61
	s_barrier_signal -1
	s_barrier_wait -1
	s_and_saveexec_b32 s61, s93
; %bb.568:                              ;   in Loop: Header=BB50_3 Depth=1
	v_pk_add_f32 v[46:47], v[44:45], 0 neg_lo:[1,1] neg_hi:[1,1]
	ds_store_b64 v75, v[46:47]
; %bb.569:                              ;   in Loop: Header=BB50_3 Depth=1
	s_or_b32 exec_lo, exec_lo, s61
	s_wait_dscnt 0x0
	s_barrier_signal -1
	s_barrier_wait -1
	s_barrier_signal -1
	s_barrier_wait -1
	s_and_saveexec_b32 s61, s0
; %bb.570:                              ;   in Loop: Header=BB50_3 Depth=1
	ds_store_b64 v77, v[44:45] offset:16096
; %bb.571:                              ;   in Loop: Header=BB50_3 Depth=1
	s_or_b32 exec_lo, exec_lo, s61
	s_wait_dscnt 0x0
	s_barrier_signal -1
	s_barrier_wait -1
	s_barrier_signal -1
	s_barrier_wait -1
	s_and_saveexec_b32 s61, s94
	s_cbranch_execz .LBB50_573
; %bb.572:                              ;   in Loop: Header=BB50_3 Depth=1
	ds_load_b64 v[44:45], v50 offset:15584
	s_wait_dscnt 0x0
	ds_store_b64 v9, v[44:45] offset:14576
	ds_load_b64 v[44:45], v50 offset:15592
	s_wait_dscnt 0x0
	ds_store_b64 v9, v[44:45] offset:15088
.LBB50_573:                             ;   in Loop: Header=BB50_3 Depth=1
	s_or_b32 exec_lo, exec_lo, s61
	s_wait_dscnt 0x0
	s_barrier_signal -1
	s_barrier_wait -1
	s_and_saveexec_b32 s61, s11
	s_cbranch_execz .LBB50_575
; %bb.574:                              ;   in Loop: Header=BB50_3 Depth=1
	ds_load_b64 v[44:45], v5 offset:15072
	v_add_nc_u32_e64 v4, 0x3800, 0
	ds_store_b64 v5, v[36:37] offset:15080
	s_wait_dscnt 0x1
	ds_store_2addr_b64 v4, v[36:37], v[44:45] offset0:28 offset1:29
.LBB50_575:                             ;   in Loop: Header=BB50_3 Depth=1
	s_or_b32 exec_lo, exec_lo, s61
	v_mov_b64_e32 v[44:45], 0
	s_wait_dscnt 0x0
	s_barrier_signal -1
	s_barrier_wait -1
	global_wb scope:SCOPE_DEV
	s_wait_storecnt 0x0
	global_inv scope:SCOPE_DEV
	s_and_saveexec_b32 s62, s2
	s_cbranch_execz .LBB50_581
; %bb.576:                              ;   in Loop: Header=BB50_3 Depth=1
	ds_load_b64 v[44:45], v76 offset:14528
	ds_load_b64 v[46:47], v58 offset:16096
	s_wait_dscnt 0x0
	v_dual_mul_f32 v4, v47, v45 :: v_dual_mul_f32 v33, v46, v45
	s_delay_alu instid0(VALU_DEP_1) | instskip(NEXT) | instid1(VALU_DEP_1)
	v_dual_fma_f32 v4, v46, v44, -v4 :: v_dual_fmac_f32 v33, v47, v44
	v_dual_add_f32 v44, 0, v4 :: v_dual_add_f32 v45, 0, v33
	s_and_saveexec_b32 s61, s16
	s_cbranch_execnz .LBB50_1088
; %bb.577:                              ;   in Loop: Header=BB50_3 Depth=1
	s_or_b32 exec_lo, exec_lo, s61
	s_and_saveexec_b32 s61, s17
	s_cbranch_execnz .LBB50_1089
.LBB50_578:                             ;   in Loop: Header=BB50_3 Depth=1
	s_or_b32 exec_lo, exec_lo, s61
	s_and_saveexec_b32 s61, s0
	s_cbranch_execz .LBB50_580
.LBB50_579:                             ;   in Loop: Header=BB50_3 Depth=1
	ds_load_b64 v[46:47], v51 offset:16064
	ds_load_b64 v[48:49], v5 offset:16120
	s_wait_dscnt 0x0
	v_pk_mul_f32 v[98:99], v[48:49], v[46:47] op_sel:[1,1] op_sel_hi:[0,1]
	s_delay_alu instid0(VALU_DEP_1) | instskip(SKIP_1) | instid1(VALU_DEP_2)
	v_pk_fma_f32 v[100:101], v[48:49], v[46:47], v[98:99] op_sel_hi:[1,0,1]
	v_pk_fma_f32 v[46:47], v[48:49], v[46:47], v[98:99] neg_lo:[0,0,1] neg_hi:[0,0,1]
	v_mov_b32_e32 v47, v101
	s_delay_alu instid0(VALU_DEP_1)
	v_pk_add_f32 v[44:45], v[44:45], v[46:47]
.LBB50_580:                             ;   in Loop: Header=BB50_3 Depth=1
	s_or_b32 exec_lo, exec_lo, s61
.LBB50_581:                             ;   in Loop: Header=BB50_3 Depth=1
	s_delay_alu instid0(SALU_CYCLE_1)
	s_or_b32 exec_lo, exec_lo, s62
	s_and_saveexec_b32 s61, s95
; %bb.582:                              ;   in Loop: Header=BB50_3 Depth=1
	s_delay_alu instid0(VALU_DEP_1)
	v_pk_add_f32 v[46:47], v[44:45], 0 neg_lo:[1,1] neg_hi:[1,1]
	ds_store_b64 v79, v[46:47]
; %bb.583:                              ;   in Loop: Header=BB50_3 Depth=1
	s_or_b32 exec_lo, exec_lo, s61
	s_wait_loadcnt_dscnt 0x0
	s_barrier_signal -1
	s_barrier_wait -1
	s_and_saveexec_b32 s61, s96
	s_cbranch_execz .LBB50_585
; %bb.584:                              ;   in Loop: Header=BB50_3 Depth=1
	ds_load_b64 v[46:47], v76 offset:14016
	ds_load_b64 v[48:49], v79
	s_wait_dscnt 0x0
	v_pk_mul_f32 v[98:99], v[48:49], v[46:47] op_sel:[1,1] op_sel_hi:[0,1]
	s_delay_alu instid0(VALU_DEP_1) | instskip(SKIP_1) | instid1(VALU_DEP_2)
	v_pk_fma_f32 v[100:101], v[48:49], v[46:47], v[98:99] op_sel_hi:[1,0,1]
	v_pk_fma_f32 v[46:47], v[48:49], v[46:47], v[98:99] neg_lo:[0,0,1] neg_hi:[0,0,1]
	v_mov_b32_e32 v47, v101
	s_delay_alu instid0(VALU_DEP_1)
	v_pk_add_f32 v[44:45], v[44:45], v[46:47] neg_lo:[0,1] neg_hi:[0,1]
.LBB50_585:                             ;   in Loop: Header=BB50_3 Depth=1
	s_or_b32 exec_lo, exec_lo, s61
	s_barrier_signal -1
	s_barrier_wait -1
	s_and_saveexec_b32 s61, s97
; %bb.586:                              ;   in Loop: Header=BB50_3 Depth=1
	v_pk_add_f32 v[46:47], v[44:45], 0 neg_lo:[1,1] neg_hi:[1,1]
	ds_store_b64 v79, v[46:47]
; %bb.587:                              ;   in Loop: Header=BB50_3 Depth=1
	s_or_b32 exec_lo, exec_lo, s61
	s_wait_dscnt 0x0
	s_barrier_signal -1
	s_barrier_wait -1
	s_and_saveexec_b32 s61, s98
	s_cbranch_execz .LBB50_589
; %bb.588:                              ;   in Loop: Header=BB50_3 Depth=1
	ds_load_b64 v[46:47], v76 offset:13504
	ds_load_b64 v[48:49], v79
	s_wait_dscnt 0x0
	v_pk_mul_f32 v[98:99], v[48:49], v[46:47] op_sel:[1,1] op_sel_hi:[0,1]
	s_delay_alu instid0(VALU_DEP_1) | instskip(SKIP_1) | instid1(VALU_DEP_2)
	v_pk_fma_f32 v[100:101], v[48:49], v[46:47], v[98:99] op_sel_hi:[1,0,1]
	v_pk_fma_f32 v[46:47], v[48:49], v[46:47], v[98:99] neg_lo:[0,0,1] neg_hi:[0,0,1]
	v_mov_b32_e32 v47, v101
	s_delay_alu instid0(VALU_DEP_1)
	v_pk_add_f32 v[44:45], v[44:45], v[46:47] neg_lo:[0,1] neg_hi:[0,1]
.LBB50_589:                             ;   in Loop: Header=BB50_3 Depth=1
	s_or_b32 exec_lo, exec_lo, s61
	s_barrier_signal -1
	s_barrier_wait -1
	s_and_saveexec_b32 s61, s99
; %bb.590:                              ;   in Loop: Header=BB50_3 Depth=1
	v_pk_add_f32 v[46:47], v[44:45], 0 neg_lo:[1,1] neg_hi:[1,1]
	ds_store_b64 v79, v[46:47]
; %bb.591:                              ;   in Loop: Header=BB50_3 Depth=1
	s_or_b32 exec_lo, exec_lo, s61
	s_wait_dscnt 0x0
	;; [unrolled: 26-line block ×3, first 2 shown]
	s_barrier_signal -1
	s_barrier_wait -1
	s_barrier_signal -1
	s_barrier_wait -1
	s_and_saveexec_b32 s61, s2
; %bb.596:                              ;   in Loop: Header=BB50_3 Depth=1
	ds_store_b64 v81, v[44:45] offset:16064
; %bb.597:                              ;   in Loop: Header=BB50_3 Depth=1
	s_or_b32 exec_lo, exec_lo, s61
	s_wait_dscnt 0x0
	s_barrier_signal -1
	s_barrier_wait -1
	s_barrier_signal -1
	s_barrier_wait -1
	s_and_saveexec_b32 s61, s101
	s_cbranch_execz .LBB50_599
; %bb.598:                              ;   in Loop: Header=BB50_3 Depth=1
	ds_load_b64 v[44:45], v52 offset:14528
	s_wait_dscnt 0x0
	ds_store_b64 v53, v[44:45] offset:12512
	ds_load_b64 v[44:45], v52 offset:14536
	s_wait_dscnt 0x0
	ds_store_b64 v53, v[44:45] offset:13024
	;; [unrolled: 3-line block ×4, first 2 shown]
.LBB50_599:                             ;   in Loop: Header=BB50_3 Depth=1
	s_or_b32 exec_lo, exec_lo, s61
	s_wait_dscnt 0x0
	s_barrier_signal -1
	s_barrier_wait -1
	s_and_saveexec_b32 s61, s11
	s_cbranch_execz .LBB50_601
; %bb.600:                              ;   in Loop: Header=BB50_3 Depth=1
	ds_load_b64 v[44:45], v5 offset:14032
	v_add_nc_u32_e64 v4, 0x3000, 0
	ds_store_b64 v5, v[36:37] offset:14040
	s_wait_dscnt 0x1
	ds_store_2addr_b64 v4, v[36:37], v[44:45] offset0:154 offset1:155
.LBB50_601:                             ;   in Loop: Header=BB50_3 Depth=1
	s_or_b32 exec_lo, exec_lo, s61
	v_dual_mov_b32 v44, 0 :: v_dual_mov_b32 v45, 0
	s_wait_dscnt 0x0
	s_barrier_signal -1
	s_barrier_wait -1
	global_wb scope:SCOPE_DEV
	s_wait_storecnt 0x0
	global_inv scope:SCOPE_DEV
	s_and_saveexec_b32 s62, s0
	s_cbranch_execz .LBB50_605
; %bb.602:                              ;   in Loop: Header=BB50_3 Depth=1
	ds_load_b64 v[44:45], v74 offset:13504
	ds_load_b64 v[46:47], v56 offset:14032
	s_wait_dscnt 0x0
	v_pk_mul_f32 v[48:49], v[46:47], v[44:45] op_sel:[1,1] op_sel_hi:[0,1]
	s_delay_alu instid0(VALU_DEP_1) | instskip(SKIP_1) | instid1(VALU_DEP_2)
	v_pk_fma_f32 v[98:99], v[46:47], v[44:45], v[48:49] op_sel_hi:[1,0,1]
	v_pk_fma_f32 v[44:45], v[46:47], v[44:45], v[48:49] neg_lo:[0,0,1] neg_hi:[0,0,1]
	v_mov_b32_e32 v45, v99
	s_delay_alu instid0(VALU_DEP_1)
	v_pk_add_f32 v[44:45], v[44:45], 0 op_sel_hi:[1,0]
	s_and_saveexec_b32 s61, s15
	s_cbranch_execz .LBB50_604
; %bb.603:                              ;   in Loop: Header=BB50_3 Depth=1
	ds_load_b64 v[46:47], v53 offset:14016
	ds_load_b64 v[48:49], v5 offset:14040
	s_wait_dscnt 0x0
	v_pk_mul_f32 v[98:99], v[48:49], v[46:47] op_sel:[1,1] op_sel_hi:[0,1]
	s_delay_alu instid0(VALU_DEP_1) | instskip(SKIP_1) | instid1(VALU_DEP_2)
	v_pk_fma_f32 v[100:101], v[48:49], v[46:47], v[98:99] op_sel_hi:[1,0,1]
	v_pk_fma_f32 v[46:47], v[48:49], v[46:47], v[98:99] neg_lo:[0,0,1] neg_hi:[0,0,1]
	v_mov_b32_e32 v47, v101
	s_delay_alu instid0(VALU_DEP_1)
	v_pk_add_f32 v[44:45], v[44:45], v[46:47]
.LBB50_604:                             ;   in Loop: Header=BB50_3 Depth=1
	s_or_b32 exec_lo, exec_lo, s61
.LBB50_605:                             ;   in Loop: Header=BB50_3 Depth=1
	s_delay_alu instid0(SALU_CYCLE_1)
	s_or_b32 exec_lo, exec_lo, s62
	s_and_saveexec_b32 s61, s92
; %bb.606:                              ;   in Loop: Header=BB50_3 Depth=1
	s_delay_alu instid0(VALU_DEP_1)
	v_pk_add_f32 v[46:47], v[44:45], 0 neg_lo:[1,1] neg_hi:[1,1]
	ds_store_b64 v75, v[46:47]
; %bb.607:                              ;   in Loop: Header=BB50_3 Depth=1
	s_or_b32 exec_lo, exec_lo, s61
	s_wait_loadcnt_dscnt 0x0
	s_barrier_signal -1
	s_barrier_wait -1
	s_and_saveexec_b32 s61, s93
	s_cbranch_execz .LBB50_609
; %bb.608:                              ;   in Loop: Header=BB50_3 Depth=1
	ds_load_b64 v[46:47], v5 offset:12992
	ds_load_b64 v[48:49], v75
	s_wait_dscnt 0x0
	v_pk_mul_f32 v[98:99], v[48:49], v[46:47] op_sel_hi:[1,0]
	s_delay_alu instid0(VALU_DEP_1) | instskip(SKIP_1) | instid1(VALU_DEP_2)
	v_pk_fma_f32 v[100:101], v[48:49], v[46:47], v[98:99] op_sel:[1,1,0] op_sel_hi:[0,1,1]
	v_pk_fma_f32 v[46:47], v[48:49], v[46:47], v[98:99] op_sel:[1,1,0] op_sel_hi:[0,1,1] neg_lo:[0,0,1] neg_hi:[0,0,1]
	v_pk_add_f32 v[48:49], v[44:45], v[100:101] neg_lo:[0,1] neg_hi:[0,1]
	s_delay_alu instid0(VALU_DEP_2) | instskip(NEXT) | instid1(VALU_DEP_2)
	v_pk_add_f32 v[44:45], v[44:45], v[46:47]
	v_mov_b32_e32 v45, v49
.LBB50_609:                             ;   in Loop: Header=BB50_3 Depth=1
	s_or_b32 exec_lo, exec_lo, s61
	s_barrier_signal -1
	s_barrier_wait -1
	s_and_saveexec_b32 s61, s93
; %bb.610:                              ;   in Loop: Header=BB50_3 Depth=1
	v_pk_add_f32 v[46:47], v[44:45], 0 neg_lo:[1,1] neg_hi:[1,1]
	ds_store_b64 v75, v[46:47]
; %bb.611:                              ;   in Loop: Header=BB50_3 Depth=1
	s_or_b32 exec_lo, exec_lo, s61
	s_wait_dscnt 0x0
	s_barrier_signal -1
	s_barrier_wait -1
	s_barrier_signal -1
	s_barrier_wait -1
	s_and_saveexec_b32 s61, s0
; %bb.612:                              ;   in Loop: Header=BB50_3 Depth=1
	ds_store_b64 v77, v[44:45] offset:14016
; %bb.613:                              ;   in Loop: Header=BB50_3 Depth=1
	s_or_b32 exec_lo, exec_lo, s61
	s_wait_dscnt 0x0
	s_barrier_signal -1
	s_barrier_wait -1
	s_barrier_signal -1
	s_barrier_wait -1
	s_and_saveexec_b32 s61, s94
	s_cbranch_execz .LBB50_615
; %bb.614:                              ;   in Loop: Header=BB50_3 Depth=1
	ds_load_b64 v[44:45], v54 offset:13504
	s_wait_dscnt 0x0
	ds_store_b64 v53, v[44:45] offset:12496
	ds_load_b64 v[44:45], v54 offset:13512
	s_wait_dscnt 0x0
	ds_store_b64 v53, v[44:45] offset:13008
.LBB50_615:                             ;   in Loop: Header=BB50_3 Depth=1
	s_or_b32 exec_lo, exec_lo, s61
	s_wait_dscnt 0x0
	s_barrier_signal -1
	s_barrier_wait -1
	s_and_saveexec_b32 s61, s11
	s_cbranch_execz .LBB50_617
; %bb.616:                              ;   in Loop: Header=BB50_3 Depth=1
	ds_load_b64 v[44:45], v5 offset:12992
	v_add_nc_u32_e64 v4, 0x3000, 0
	ds_store_b64 v5, v[36:37] offset:13000
	s_wait_dscnt 0x1
	ds_store_2addr_b64 v4, v[36:37], v[44:45] offset0:24 offset1:25
.LBB50_617:                             ;   in Loop: Header=BB50_3 Depth=1
	s_or_b32 exec_lo, exec_lo, s61
	v_mov_b64_e32 v[44:45], 0
	s_wait_dscnt 0x0
	s_barrier_signal -1
	s_barrier_wait -1
	global_wb scope:SCOPE_DEV
	s_wait_storecnt 0x0
	global_inv scope:SCOPE_DEV
	s_and_saveexec_b32 s62, s3
	s_cbranch_execz .LBB50_627
; %bb.618:                              ;   in Loop: Header=BB50_3 Depth=1
	ds_load_b64 v[44:45], v78 offset:12416
	ds_load_b64 v[46:47], v62 offset:16064
	s_wait_dscnt 0x0
	v_dual_mul_f32 v4, v47, v45 :: v_dual_mul_f32 v33, v46, v45
	s_delay_alu instid0(VALU_DEP_1) | instskip(NEXT) | instid1(VALU_DEP_1)
	v_dual_fma_f32 v4, v46, v44, -v4 :: v_dual_fmac_f32 v33, v47, v44
	v_dual_add_f32 v44, 0, v4 :: v_dual_add_f32 v45, 0, v33
	s_and_saveexec_b32 s61, s18
	s_cbranch_execnz .LBB50_1090
; %bb.619:                              ;   in Loop: Header=BB50_3 Depth=1
	s_or_b32 exec_lo, exec_lo, s61
	s_and_saveexec_b32 s61, s19
	s_cbranch_execnz .LBB50_1091
.LBB50_620:                             ;   in Loop: Header=BB50_3 Depth=1
	s_or_b32 exec_lo, exec_lo, s61
	s_and_saveexec_b32 s61, s20
	s_cbranch_execnz .LBB50_1092
.LBB50_621:                             ;   in Loop: Header=BB50_3 Depth=1
	s_or_b32 exec_lo, exec_lo, s61
	s_and_saveexec_b32 s61, s21
	s_cbranch_execnz .LBB50_1093
.LBB50_622:                             ;   in Loop: Header=BB50_3 Depth=1
	s_or_b32 exec_lo, exec_lo, s61
	s_and_saveexec_b32 s61, s22
	s_cbranch_execnz .LBB50_1094
.LBB50_623:                             ;   in Loop: Header=BB50_3 Depth=1
	s_or_b32 exec_lo, exec_lo, s61
	s_and_saveexec_b32 s61, s2
	s_cbranch_execnz .LBB50_1095
.LBB50_624:                             ;   in Loop: Header=BB50_3 Depth=1
	s_or_b32 exec_lo, exec_lo, s61
	s_and_saveexec_b32 s61, s17
	s_cbranch_execz .LBB50_626
.LBB50_625:                             ;   in Loop: Header=BB50_3 Depth=1
	ds_load_b64 v[46:47], v55 offset:16000
	ds_load_b64 v[48:49], v5 offset:16120
	s_wait_dscnt 0x0
	v_pk_mul_f32 v[98:99], v[48:49], v[46:47] op_sel:[1,1] op_sel_hi:[0,1]
	s_delay_alu instid0(VALU_DEP_1) | instskip(SKIP_1) | instid1(VALU_DEP_2)
	v_pk_fma_f32 v[100:101], v[48:49], v[46:47], v[98:99] op_sel_hi:[1,0,1]
	v_pk_fma_f32 v[46:47], v[48:49], v[46:47], v[98:99] neg_lo:[0,0,1] neg_hi:[0,0,1]
	v_mov_b32_e32 v47, v101
	s_delay_alu instid0(VALU_DEP_1)
	v_pk_add_f32 v[44:45], v[44:45], v[46:47]
.LBB50_626:                             ;   in Loop: Header=BB50_3 Depth=1
	s_or_b32 exec_lo, exec_lo, s61
.LBB50_627:                             ;   in Loop: Header=BB50_3 Depth=1
	s_delay_alu instid0(SALU_CYCLE_1)
	s_or_b32 exec_lo, exec_lo, s62
	s_and_saveexec_b32 s61, s102
; %bb.628:                              ;   in Loop: Header=BB50_3 Depth=1
	s_delay_alu instid0(VALU_DEP_1)
	v_pk_add_f32 v[46:47], v[44:45], 0 neg_lo:[1,1] neg_hi:[1,1]
	ds_store_b64 v82, v[46:47]
; %bb.629:                              ;   in Loop: Header=BB50_3 Depth=1
	s_or_b32 exec_lo, exec_lo, s61
	s_wait_loadcnt_dscnt 0x0
	s_barrier_signal -1
	s_barrier_wait -1
	s_and_saveexec_b32 s61, s103
	s_cbranch_execz .LBB50_631
; %bb.630:                              ;   in Loop: Header=BB50_3 Depth=1
	ds_load_b64 v[46:47], v78 offset:11904
	ds_load_b64 v[48:49], v82
	s_wait_dscnt 0x0
	v_pk_mul_f32 v[98:99], v[48:49], v[46:47] op_sel:[1,1] op_sel_hi:[0,1]
	s_delay_alu instid0(VALU_DEP_1) | instskip(SKIP_1) | instid1(VALU_DEP_2)
	v_pk_fma_f32 v[100:101], v[48:49], v[46:47], v[98:99] op_sel_hi:[1,0,1]
	v_pk_fma_f32 v[46:47], v[48:49], v[46:47], v[98:99] neg_lo:[0,0,1] neg_hi:[0,0,1]
	v_mov_b32_e32 v47, v101
	s_delay_alu instid0(VALU_DEP_1)
	v_pk_add_f32 v[44:45], v[44:45], v[46:47] neg_lo:[0,1] neg_hi:[0,1]
.LBB50_631:                             ;   in Loop: Header=BB50_3 Depth=1
	s_or_b32 exec_lo, exec_lo, s61
	s_barrier_signal -1
	s_barrier_wait -1
	s_and_saveexec_b32 s61, s104
; %bb.632:                              ;   in Loop: Header=BB50_3 Depth=1
	v_pk_add_f32 v[46:47], v[44:45], 0 neg_lo:[1,1] neg_hi:[1,1]
	ds_store_b64 v82, v[46:47]
; %bb.633:                              ;   in Loop: Header=BB50_3 Depth=1
	s_or_b32 exec_lo, exec_lo, s61
	s_wait_dscnt 0x0
	s_barrier_signal -1
	s_barrier_wait -1
	s_and_saveexec_b32 s61, vcc_hi
	s_cbranch_execz .LBB50_635
; %bb.634:                              ;   in Loop: Header=BB50_3 Depth=1
	ds_load_b64 v[46:47], v78 offset:11392
	ds_load_b64 v[48:49], v82
	s_wait_dscnt 0x0
	v_dual_mul_f32 v4, v49, v47 :: v_dual_mul_f32 v33, v48, v47
	s_delay_alu instid0(VALU_DEP_1) | instskip(NEXT) | instid1(VALU_DEP_1)
	v_dual_fma_f32 v4, v48, v46, -v4 :: v_dual_fmac_f32 v33, v49, v46
	v_dual_sub_f32 v44, v44, v4 :: v_dual_sub_f32 v45, v45, v33
.LBB50_635:                             ;   in Loop: Header=BB50_3 Depth=1
	s_or_b32 exec_lo, exec_lo, s61
	s_barrier_signal -1
	s_barrier_wait -1
	s_and_saveexec_b32 s61, s39
; %bb.636:                              ;   in Loop: Header=BB50_3 Depth=1
	v_pk_add_f32 v[46:47], v[44:45], 0 neg_lo:[1,1] neg_hi:[1,1]
	ds_store_b64 v82, v[46:47]
; %bb.637:                              ;   in Loop: Header=BB50_3 Depth=1
	s_or_b32 exec_lo, exec_lo, s61
	s_wait_dscnt 0x0
	s_barrier_signal -1
	s_barrier_wait -1
	s_and_saveexec_b32 s61, s40
	s_cbranch_execz .LBB50_639
; %bb.638:                              ;   in Loop: Header=BB50_3 Depth=1
	ds_load_b64 v[46:47], v78 offset:10880
	ds_load_b64 v[48:49], v82
	s_wait_dscnt 0x0
	v_dual_mul_f32 v4, v49, v47 :: v_dual_mul_f32 v99, v48, v47
	s_delay_alu instid0(VALU_DEP_1) | instskip(NEXT) | instid1(VALU_DEP_1)
	v_dual_fma_f32 v98, v48, v46, -v4 :: v_dual_fmac_f32 v99, v49, v46
	v_pk_add_f32 v[44:45], v[44:45], v[98:99] neg_lo:[0,1] neg_hi:[0,1]
.LBB50_639:                             ;   in Loop: Header=BB50_3 Depth=1
	s_or_b32 exec_lo, exec_lo, s61
	s_barrier_signal -1
	s_barrier_wait -1
	s_and_saveexec_b32 s61, s41
; %bb.640:                              ;   in Loop: Header=BB50_3 Depth=1
	v_pk_add_f32 v[46:47], v[44:45], 0 neg_lo:[1,1] neg_hi:[1,1]
	ds_store_b64 v82, v[46:47]
; %bb.641:                              ;   in Loop: Header=BB50_3 Depth=1
	s_or_b32 exec_lo, exec_lo, s61
	s_wait_dscnt 0x0
	s_barrier_signal -1
	s_barrier_wait -1
	s_and_saveexec_b32 s61, s42
	s_cbranch_execz .LBB50_643
; %bb.642:                              ;   in Loop: Header=BB50_3 Depth=1
	ds_load_b64 v[46:47], v78 offset:10368
	ds_load_b64 v[48:49], v82
	s_wait_dscnt 0x0
	v_pk_mul_f32 v[98:99], v[48:49], v[46:47] op_sel:[1,1] op_sel_hi:[0,1]
	s_delay_alu instid0(VALU_DEP_1) | instskip(SKIP_1) | instid1(VALU_DEP_2)
	v_pk_fma_f32 v[100:101], v[48:49], v[46:47], v[98:99] op_sel_hi:[1,0,1]
	v_pk_fma_f32 v[46:47], v[48:49], v[46:47], v[98:99] neg_lo:[0,0,1] neg_hi:[0,0,1]
	v_mov_b32_e32 v47, v101
	s_delay_alu instid0(VALU_DEP_1)
	v_pk_add_f32 v[44:45], v[44:45], v[46:47] neg_lo:[0,1] neg_hi:[0,1]
.LBB50_643:                             ;   in Loop: Header=BB50_3 Depth=1
	s_or_b32 exec_lo, exec_lo, s61
	s_barrier_signal -1
	s_barrier_wait -1
	s_and_saveexec_b32 s61, s43
; %bb.644:                              ;   in Loop: Header=BB50_3 Depth=1
	v_pk_add_f32 v[46:47], v[44:45], 0 neg_lo:[1,1] neg_hi:[1,1]
	ds_store_b64 v82, v[46:47]
; %bb.645:                              ;   in Loop: Header=BB50_3 Depth=1
	s_or_b32 exec_lo, exec_lo, s61
	s_wait_dscnt 0x0
	s_barrier_signal -1
	s_barrier_wait -1
	s_and_saveexec_b32 s61, s44
	s_cbranch_execz .LBB50_647
; %bb.646:                              ;   in Loop: Header=BB50_3 Depth=1
	ds_load_b64 v[46:47], v78 offset:9856
	ds_load_b64 v[48:49], v82
	s_wait_dscnt 0x0
	v_pk_mul_f32 v[98:99], v[48:49], v[46:47] op_sel:[1,1] op_sel_hi:[0,1]
	s_delay_alu instid0(VALU_DEP_1) | instskip(SKIP_1) | instid1(VALU_DEP_2)
	v_pk_fma_f32 v[100:101], v[48:49], v[46:47], v[98:99] op_sel_hi:[1,0,1]
	v_pk_fma_f32 v[46:47], v[48:49], v[46:47], v[98:99] neg_lo:[0,0,1] neg_hi:[0,0,1]
	v_mov_b32_e32 v47, v101
	s_delay_alu instid0(VALU_DEP_1)
	v_pk_add_f32 v[44:45], v[44:45], v[46:47] neg_lo:[0,1] neg_hi:[0,1]
.LBB50_647:                             ;   in Loop: Header=BB50_3 Depth=1
	s_or_b32 exec_lo, exec_lo, s61
	s_barrier_signal -1
	s_barrier_wait -1
	s_and_saveexec_b32 s61, s45
; %bb.648:                              ;   in Loop: Header=BB50_3 Depth=1
	v_pk_add_f32 v[46:47], v[44:45], 0 neg_lo:[1,1] neg_hi:[1,1]
	ds_store_b64 v82, v[46:47]
; %bb.649:                              ;   in Loop: Header=BB50_3 Depth=1
	s_or_b32 exec_lo, exec_lo, s61
	s_wait_dscnt 0x0
	s_barrier_signal -1
	s_barrier_wait -1
	s_and_saveexec_b32 s61, s46
	s_cbranch_execz .LBB50_651
; %bb.650:                              ;   in Loop: Header=BB50_3 Depth=1
	ds_load_b64 v[46:47], v78 offset:9344
	ds_load_b64 v[48:49], v82
	s_wait_dscnt 0x0
	v_pk_mul_f32 v[98:99], v[48:49], v[46:47] op_sel:[1,1] op_sel_hi:[0,1]
	s_delay_alu instid0(VALU_DEP_1) | instskip(SKIP_1) | instid1(VALU_DEP_2)
	v_pk_fma_f32 v[100:101], v[48:49], v[46:47], v[98:99] op_sel_hi:[1,0,1]
	v_pk_fma_f32 v[46:47], v[48:49], v[46:47], v[98:99] neg_lo:[0,0,1] neg_hi:[0,0,1]
	v_mov_b32_e32 v47, v101
	s_delay_alu instid0(VALU_DEP_1)
	v_pk_add_f32 v[44:45], v[44:45], v[46:47] neg_lo:[0,1] neg_hi:[0,1]
.LBB50_651:                             ;   in Loop: Header=BB50_3 Depth=1
	s_or_b32 exec_lo, exec_lo, s61
	s_barrier_signal -1
	s_barrier_wait -1
	s_and_saveexec_b32 s61, s47
; %bb.652:                              ;   in Loop: Header=BB50_3 Depth=1
	v_pk_add_f32 v[46:47], v[44:45], 0 neg_lo:[1,1] neg_hi:[1,1]
	ds_store_b64 v82, v[46:47]
; %bb.653:                              ;   in Loop: Header=BB50_3 Depth=1
	s_or_b32 exec_lo, exec_lo, s61
	s_wait_dscnt 0x0
	s_barrier_signal -1
	s_barrier_wait -1
	s_and_saveexec_b32 s61, s48
	s_cbranch_execz .LBB50_655
; %bb.654:                              ;   in Loop: Header=BB50_3 Depth=1
	ds_load_b64 v[46:47], v5 offset:8832
	ds_load_b64 v[48:49], v82
	s_wait_dscnt 0x0
	v_pk_mul_f32 v[98:99], v[48:49], v[46:47] op_sel:[1,1] op_sel_hi:[0,1]
	s_delay_alu instid0(VALU_DEP_1) | instskip(SKIP_1) | instid1(VALU_DEP_2)
	v_pk_fma_f32 v[100:101], v[48:49], v[46:47], v[98:99] op_sel_hi:[1,0,1]
	v_pk_fma_f32 v[46:47], v[48:49], v[46:47], v[98:99] neg_lo:[0,0,1] neg_hi:[0,0,1]
	v_mov_b32_e32 v47, v101
	s_delay_alu instid0(VALU_DEP_1)
	v_pk_add_f32 v[44:45], v[44:45], v[46:47] neg_lo:[0,1] neg_hi:[0,1]
.LBB50_655:                             ;   in Loop: Header=BB50_3 Depth=1
	s_or_b32 exec_lo, exec_lo, s61
	s_barrier_signal -1
	s_barrier_wait -1
	s_and_saveexec_b32 s61, s48
; %bb.656:                              ;   in Loop: Header=BB50_3 Depth=1
	v_pk_add_f32 v[46:47], v[44:45], 0 neg_lo:[1,1] neg_hi:[1,1]
	ds_store_b64 v82, v[46:47]
; %bb.657:                              ;   in Loop: Header=BB50_3 Depth=1
	s_or_b32 exec_lo, exec_lo, s61
	s_wait_dscnt 0x0
	s_barrier_signal -1
	s_barrier_wait -1
	s_barrier_signal -1
	s_barrier_wait -1
	s_and_saveexec_b32 s61, s3
; %bb.658:                              ;   in Loop: Header=BB50_3 Depth=1
	ds_store_b64 v83, v[44:45] offset:16000
; %bb.659:                              ;   in Loop: Header=BB50_3 Depth=1
	s_or_b32 exec_lo, exec_lo, s61
	s_wait_dscnt 0x0
	s_barrier_signal -1
	s_barrier_wait -1
	s_barrier_signal -1
	s_barrier_wait -1
	s_and_saveexec_b32 s61, s49
	s_cbranch_execz .LBB50_661
; %bb.660:                              ;   in Loop: Header=BB50_3 Depth=1
	ds_load_b64 v[44:45], v57 offset:12416
	s_wait_dscnt 0x0
	ds_store_b64 v59, v[44:45] offset:8384
	ds_load_b64 v[44:45], v57 offset:12424
	s_wait_dscnt 0x0
	ds_store_b64 v59, v[44:45] offset:8896
	;; [unrolled: 3-line block ×8, first 2 shown]
.LBB50_661:                             ;   in Loop: Header=BB50_3 Depth=1
	s_or_b32 exec_lo, exec_lo, s61
	s_wait_dscnt 0x0
	s_barrier_signal -1
	s_barrier_wait -1
	s_and_saveexec_b32 s61, s11
	s_cbranch_execz .LBB50_663
; %bb.662:                              ;   in Loop: Header=BB50_3 Depth=1
	ds_load_b64 v[44:45], v5 offset:11952
	v_add_nc_u32_e64 v4, 0x2800, 0
	ds_store_b64 v5, v[36:37] offset:11960
	s_wait_dscnt 0x1
	ds_store_2addr_b64 v4, v[36:37], v[44:45] offset0:150 offset1:151
.LBB50_663:                             ;   in Loop: Header=BB50_3 Depth=1
	s_or_b32 exec_lo, exec_lo, s61
	v_dual_mov_b32 v44, 0 :: v_dual_mov_b32 v45, 0
	s_wait_dscnt 0x0
	s_barrier_signal -1
	s_barrier_wait -1
	global_wb scope:SCOPE_DEV
	s_wait_storecnt 0x0
	global_inv scope:SCOPE_DEV
	s_and_saveexec_b32 s62, s0
	s_cbranch_execz .LBB50_667
; %bb.664:                              ;   in Loop: Header=BB50_3 Depth=1
	ds_load_b64 v[44:45], v74 offset:11424
	ds_load_b64 v[46:47], v56 offset:11952
	s_wait_dscnt 0x0
	v_pk_mul_f32 v[48:49], v[46:47], v[44:45] op_sel:[1,1] op_sel_hi:[0,1]
	s_delay_alu instid0(VALU_DEP_1) | instskip(SKIP_1) | instid1(VALU_DEP_2)
	v_pk_fma_f32 v[98:99], v[46:47], v[44:45], v[48:49] op_sel_hi:[1,0,1]
	v_pk_fma_f32 v[44:45], v[46:47], v[44:45], v[48:49] neg_lo:[0,0,1] neg_hi:[0,0,1]
	v_mov_b32_e32 v45, v99
	s_delay_alu instid0(VALU_DEP_1)
	v_pk_add_f32 v[44:45], v[44:45], 0 op_sel_hi:[1,0]
	s_and_saveexec_b32 s61, s15
	s_cbranch_execz .LBB50_666
; %bb.665:                              ;   in Loop: Header=BB50_3 Depth=1
	ds_load_b64 v[46:47], v59 offset:11936
	ds_load_b64 v[48:49], v5 offset:11960
	s_wait_dscnt 0x0
	v_pk_mul_f32 v[98:99], v[48:49], v[46:47] op_sel:[1,1] op_sel_hi:[0,1]
	s_delay_alu instid0(VALU_DEP_1) | instskip(SKIP_1) | instid1(VALU_DEP_2)
	v_pk_fma_f32 v[100:101], v[48:49], v[46:47], v[98:99] op_sel_hi:[1,0,1]
	v_pk_fma_f32 v[46:47], v[48:49], v[46:47], v[98:99] neg_lo:[0,0,1] neg_hi:[0,0,1]
	v_mov_b32_e32 v47, v101
	s_delay_alu instid0(VALU_DEP_1)
	v_pk_add_f32 v[44:45], v[44:45], v[46:47]
.LBB50_666:                             ;   in Loop: Header=BB50_3 Depth=1
	s_or_b32 exec_lo, exec_lo, s61
.LBB50_667:                             ;   in Loop: Header=BB50_3 Depth=1
	s_delay_alu instid0(SALU_CYCLE_1)
	s_or_b32 exec_lo, exec_lo, s62
	s_and_saveexec_b32 s61, s92
; %bb.668:                              ;   in Loop: Header=BB50_3 Depth=1
	s_delay_alu instid0(VALU_DEP_1)
	v_pk_add_f32 v[46:47], v[44:45], 0 neg_lo:[1,1] neg_hi:[1,1]
	ds_store_b64 v75, v[46:47]
; %bb.669:                              ;   in Loop: Header=BB50_3 Depth=1
	s_or_b32 exec_lo, exec_lo, s61
	s_wait_loadcnt_dscnt 0x0
	s_barrier_signal -1
	s_barrier_wait -1
	s_and_saveexec_b32 s61, s93
	s_cbranch_execz .LBB50_671
; %bb.670:                              ;   in Loop: Header=BB50_3 Depth=1
	ds_load_b64 v[46:47], v5 offset:10912
	ds_load_b64 v[48:49], v75
	s_wait_dscnt 0x0
	v_pk_mul_f32 v[98:99], v[48:49], v[46:47] op_sel_hi:[1,0]
	s_delay_alu instid0(VALU_DEP_1) | instskip(SKIP_1) | instid1(VALU_DEP_2)
	v_pk_fma_f32 v[100:101], v[48:49], v[46:47], v[98:99] op_sel:[1,1,0] op_sel_hi:[0,1,1]
	v_pk_fma_f32 v[46:47], v[48:49], v[46:47], v[98:99] op_sel:[1,1,0] op_sel_hi:[0,1,1] neg_lo:[0,0,1] neg_hi:[0,0,1]
	v_pk_add_f32 v[48:49], v[44:45], v[100:101] neg_lo:[0,1] neg_hi:[0,1]
	s_delay_alu instid0(VALU_DEP_2) | instskip(NEXT) | instid1(VALU_DEP_2)
	v_pk_add_f32 v[44:45], v[44:45], v[46:47]
	v_mov_b32_e32 v45, v49
.LBB50_671:                             ;   in Loop: Header=BB50_3 Depth=1
	s_or_b32 exec_lo, exec_lo, s61
	s_barrier_signal -1
	s_barrier_wait -1
	s_and_saveexec_b32 s61, s93
; %bb.672:                              ;   in Loop: Header=BB50_3 Depth=1
	v_pk_add_f32 v[46:47], v[44:45], 0 neg_lo:[1,1] neg_hi:[1,1]
	ds_store_b64 v75, v[46:47]
; %bb.673:                              ;   in Loop: Header=BB50_3 Depth=1
	s_or_b32 exec_lo, exec_lo, s61
	s_wait_dscnt 0x0
	s_barrier_signal -1
	s_barrier_wait -1
	s_barrier_signal -1
	s_barrier_wait -1
	s_and_saveexec_b32 s61, s0
; %bb.674:                              ;   in Loop: Header=BB50_3 Depth=1
	ds_store_b64 v77, v[44:45] offset:11936
; %bb.675:                              ;   in Loop: Header=BB50_3 Depth=1
	s_or_b32 exec_lo, exec_lo, s61
	s_wait_dscnt 0x0
	s_barrier_signal -1
	s_barrier_wait -1
	s_barrier_signal -1
	s_barrier_wait -1
	s_and_saveexec_b32 s61, s94
	s_cbranch_execz .LBB50_677
; %bb.676:                              ;   in Loop: Header=BB50_3 Depth=1
	ds_load_b64 v[44:45], v61 offset:11424
	s_wait_dscnt 0x0
	ds_store_b64 v59, v[44:45] offset:10416
	ds_load_b64 v[44:45], v61 offset:11432
	s_wait_dscnt 0x0
	ds_store_b64 v59, v[44:45] offset:10928
.LBB50_677:                             ;   in Loop: Header=BB50_3 Depth=1
	s_or_b32 exec_lo, exec_lo, s61
	s_wait_dscnt 0x0
	s_barrier_signal -1
	s_barrier_wait -1
	s_and_saveexec_b32 s61, s11
	s_cbranch_execz .LBB50_679
; %bb.678:                              ;   in Loop: Header=BB50_3 Depth=1
	ds_load_b64 v[44:45], v5 offset:10912
	v_add_nc_u32_e64 v4, 0x2800, 0
	ds_store_b64 v5, v[36:37] offset:10920
	s_wait_dscnt 0x1
	ds_store_2addr_b64 v4, v[36:37], v[44:45] offset0:20 offset1:21
.LBB50_679:                             ;   in Loop: Header=BB50_3 Depth=1
	s_or_b32 exec_lo, exec_lo, s61
	v_mov_b64_e32 v[44:45], 0
	s_wait_dscnt 0x0
	s_barrier_signal -1
	s_barrier_wait -1
	global_wb scope:SCOPE_DEV
	s_wait_storecnt 0x0
	global_inv scope:SCOPE_DEV
	s_and_saveexec_b32 s62, s2
	s_cbranch_execz .LBB50_685
; %bb.680:                              ;   in Loop: Header=BB50_3 Depth=1
	ds_load_b64 v[44:45], v76 offset:10368
	ds_load_b64 v[46:47], v58 offset:11936
	s_wait_dscnt 0x0
	v_dual_mul_f32 v4, v47, v45 :: v_dual_mul_f32 v33, v46, v45
	s_delay_alu instid0(VALU_DEP_1) | instskip(NEXT) | instid1(VALU_DEP_1)
	v_dual_fma_f32 v4, v46, v44, -v4 :: v_dual_fmac_f32 v33, v47, v44
	v_dual_add_f32 v44, 0, v4 :: v_dual_add_f32 v45, 0, v33
	s_and_saveexec_b32 s61, s16
	s_cbranch_execnz .LBB50_1096
; %bb.681:                              ;   in Loop: Header=BB50_3 Depth=1
	s_or_b32 exec_lo, exec_lo, s61
	s_and_saveexec_b32 s61, s17
	s_cbranch_execnz .LBB50_1097
.LBB50_682:                             ;   in Loop: Header=BB50_3 Depth=1
	s_or_b32 exec_lo, exec_lo, s61
	s_and_saveexec_b32 s61, s0
	s_cbranch_execz .LBB50_684
.LBB50_683:                             ;   in Loop: Header=BB50_3 Depth=1
	ds_load_b64 v[46:47], v65 offset:11904
	ds_load_b64 v[48:49], v5 offset:11960
	s_wait_dscnt 0x0
	v_pk_mul_f32 v[98:99], v[48:49], v[46:47] op_sel:[1,1] op_sel_hi:[0,1]
	s_delay_alu instid0(VALU_DEP_1) | instskip(SKIP_1) | instid1(VALU_DEP_2)
	v_pk_fma_f32 v[100:101], v[48:49], v[46:47], v[98:99] op_sel_hi:[1,0,1]
	v_pk_fma_f32 v[46:47], v[48:49], v[46:47], v[98:99] neg_lo:[0,0,1] neg_hi:[0,0,1]
	v_mov_b32_e32 v47, v101
	s_delay_alu instid0(VALU_DEP_1)
	v_pk_add_f32 v[44:45], v[44:45], v[46:47]
.LBB50_684:                             ;   in Loop: Header=BB50_3 Depth=1
	s_or_b32 exec_lo, exec_lo, s61
.LBB50_685:                             ;   in Loop: Header=BB50_3 Depth=1
	s_delay_alu instid0(SALU_CYCLE_1)
	s_or_b32 exec_lo, exec_lo, s62
	s_and_saveexec_b32 s61, s95
; %bb.686:                              ;   in Loop: Header=BB50_3 Depth=1
	s_delay_alu instid0(VALU_DEP_1)
	v_pk_add_f32 v[46:47], v[44:45], 0 neg_lo:[1,1] neg_hi:[1,1]
	ds_store_b64 v79, v[46:47]
; %bb.687:                              ;   in Loop: Header=BB50_3 Depth=1
	s_or_b32 exec_lo, exec_lo, s61
	s_wait_loadcnt_dscnt 0x0
	s_barrier_signal -1
	s_barrier_wait -1
	s_and_saveexec_b32 s61, s96
	s_cbranch_execz .LBB50_689
; %bb.688:                              ;   in Loop: Header=BB50_3 Depth=1
	ds_load_b64 v[46:47], v76 offset:9856
	ds_load_b64 v[48:49], v79
	s_wait_dscnt 0x0
	v_pk_mul_f32 v[98:99], v[48:49], v[46:47] op_sel:[1,1] op_sel_hi:[0,1]
	s_delay_alu instid0(VALU_DEP_1) | instskip(SKIP_1) | instid1(VALU_DEP_2)
	v_pk_fma_f32 v[100:101], v[48:49], v[46:47], v[98:99] op_sel_hi:[1,0,1]
	v_pk_fma_f32 v[46:47], v[48:49], v[46:47], v[98:99] neg_lo:[0,0,1] neg_hi:[0,0,1]
	v_mov_b32_e32 v47, v101
	s_delay_alu instid0(VALU_DEP_1)
	v_pk_add_f32 v[44:45], v[44:45], v[46:47] neg_lo:[0,1] neg_hi:[0,1]
.LBB50_689:                             ;   in Loop: Header=BB50_3 Depth=1
	s_or_b32 exec_lo, exec_lo, s61
	s_barrier_signal -1
	s_barrier_wait -1
	s_and_saveexec_b32 s61, s97
; %bb.690:                              ;   in Loop: Header=BB50_3 Depth=1
	v_pk_add_f32 v[46:47], v[44:45], 0 neg_lo:[1,1] neg_hi:[1,1]
	ds_store_b64 v79, v[46:47]
; %bb.691:                              ;   in Loop: Header=BB50_3 Depth=1
	s_or_b32 exec_lo, exec_lo, s61
	s_wait_dscnt 0x0
	s_barrier_signal -1
	s_barrier_wait -1
	s_and_saveexec_b32 s61, s98
	s_cbranch_execz .LBB50_693
; %bb.692:                              ;   in Loop: Header=BB50_3 Depth=1
	ds_load_b64 v[46:47], v76 offset:9344
	ds_load_b64 v[48:49], v79
	s_wait_dscnt 0x0
	v_pk_mul_f32 v[98:99], v[48:49], v[46:47] op_sel:[1,1] op_sel_hi:[0,1]
	s_delay_alu instid0(VALU_DEP_1) | instskip(SKIP_1) | instid1(VALU_DEP_2)
	v_pk_fma_f32 v[100:101], v[48:49], v[46:47], v[98:99] op_sel_hi:[1,0,1]
	v_pk_fma_f32 v[46:47], v[48:49], v[46:47], v[98:99] neg_lo:[0,0,1] neg_hi:[0,0,1]
	v_mov_b32_e32 v47, v101
	s_delay_alu instid0(VALU_DEP_1)
	v_pk_add_f32 v[44:45], v[44:45], v[46:47] neg_lo:[0,1] neg_hi:[0,1]
.LBB50_693:                             ;   in Loop: Header=BB50_3 Depth=1
	s_or_b32 exec_lo, exec_lo, s61
	s_barrier_signal -1
	s_barrier_wait -1
	s_and_saveexec_b32 s61, s99
; %bb.694:                              ;   in Loop: Header=BB50_3 Depth=1
	v_pk_add_f32 v[46:47], v[44:45], 0 neg_lo:[1,1] neg_hi:[1,1]
	ds_store_b64 v79, v[46:47]
; %bb.695:                              ;   in Loop: Header=BB50_3 Depth=1
	s_or_b32 exec_lo, exec_lo, s61
	s_wait_dscnt 0x0
	;; [unrolled: 26-line block ×3, first 2 shown]
	s_barrier_signal -1
	s_barrier_wait -1
	s_barrier_signal -1
	s_barrier_wait -1
	s_and_saveexec_b32 s61, s2
; %bb.700:                              ;   in Loop: Header=BB50_3 Depth=1
	ds_store_b64 v81, v[44:45] offset:11904
; %bb.701:                              ;   in Loop: Header=BB50_3 Depth=1
	s_or_b32 exec_lo, exec_lo, s61
	s_wait_dscnt 0x0
	s_barrier_signal -1
	s_barrier_wait -1
	s_barrier_signal -1
	s_barrier_wait -1
	s_and_saveexec_b32 s61, s101
	s_cbranch_execz .LBB50_703
; %bb.702:                              ;   in Loop: Header=BB50_3 Depth=1
	ds_load_b64 v[44:45], v67 offset:10368
	s_wait_dscnt 0x0
	ds_store_b64 v68, v[44:45] offset:8352
	ds_load_b64 v[44:45], v67 offset:10376
	s_wait_dscnt 0x0
	ds_store_b64 v68, v[44:45] offset:8864
	;; [unrolled: 3-line block ×4, first 2 shown]
.LBB50_703:                             ;   in Loop: Header=BB50_3 Depth=1
	s_or_b32 exec_lo, exec_lo, s61
	s_wait_dscnt 0x0
	s_barrier_signal -1
	s_barrier_wait -1
	s_and_saveexec_b32 s61, s11
	s_cbranch_execz .LBB50_705
; %bb.704:                              ;   in Loop: Header=BB50_3 Depth=1
	ds_load_b64 v[44:45], v5 offset:9872
	v_add_nc_u32_e64 v4, 0x2000, 0
	ds_store_b64 v5, v[36:37] offset:9880
	s_wait_dscnt 0x1
	ds_store_2addr_b64 v4, v[36:37], v[44:45] offset0:146 offset1:147
.LBB50_705:                             ;   in Loop: Header=BB50_3 Depth=1
	s_or_b32 exec_lo, exec_lo, s61
	v_dual_mov_b32 v44, 0 :: v_dual_mov_b32 v45, 0
	s_wait_dscnt 0x0
	s_barrier_signal -1
	s_barrier_wait -1
	global_wb scope:SCOPE_DEV
	s_wait_storecnt 0x0
	global_inv scope:SCOPE_DEV
	s_and_saveexec_b32 s62, s0
	s_cbranch_execz .LBB50_709
; %bb.706:                              ;   in Loop: Header=BB50_3 Depth=1
	ds_load_b64 v[44:45], v74 offset:9344
	ds_load_b64 v[46:47], v56 offset:9872
	s_wait_dscnt 0x0
	v_pk_mul_f32 v[48:49], v[46:47], v[44:45] op_sel:[1,1] op_sel_hi:[0,1]
	s_delay_alu instid0(VALU_DEP_1) | instskip(SKIP_1) | instid1(VALU_DEP_2)
	v_pk_fma_f32 v[98:99], v[46:47], v[44:45], v[48:49] op_sel_hi:[1,0,1]
	v_pk_fma_f32 v[44:45], v[46:47], v[44:45], v[48:49] neg_lo:[0,0,1] neg_hi:[0,0,1]
	v_mov_b32_e32 v45, v99
	s_delay_alu instid0(VALU_DEP_1)
	v_pk_add_f32 v[44:45], v[44:45], 0 op_sel_hi:[1,0]
	s_and_saveexec_b32 s61, s15
	s_cbranch_execz .LBB50_708
; %bb.707:                              ;   in Loop: Header=BB50_3 Depth=1
	ds_load_b64 v[46:47], v68 offset:9856
	ds_load_b64 v[48:49], v5 offset:9880
	s_wait_dscnt 0x0
	v_pk_mul_f32 v[98:99], v[48:49], v[46:47] op_sel:[1,1] op_sel_hi:[0,1]
	s_delay_alu instid0(VALU_DEP_1) | instskip(SKIP_1) | instid1(VALU_DEP_2)
	v_pk_fma_f32 v[100:101], v[48:49], v[46:47], v[98:99] op_sel_hi:[1,0,1]
	v_pk_fma_f32 v[46:47], v[48:49], v[46:47], v[98:99] neg_lo:[0,0,1] neg_hi:[0,0,1]
	v_mov_b32_e32 v47, v101
	s_delay_alu instid0(VALU_DEP_1)
	v_pk_add_f32 v[44:45], v[44:45], v[46:47]
.LBB50_708:                             ;   in Loop: Header=BB50_3 Depth=1
	s_or_b32 exec_lo, exec_lo, s61
.LBB50_709:                             ;   in Loop: Header=BB50_3 Depth=1
	s_delay_alu instid0(SALU_CYCLE_1)
	s_or_b32 exec_lo, exec_lo, s62
	s_and_saveexec_b32 s61, s92
; %bb.710:                              ;   in Loop: Header=BB50_3 Depth=1
	s_delay_alu instid0(VALU_DEP_1)
	v_pk_add_f32 v[46:47], v[44:45], 0 neg_lo:[1,1] neg_hi:[1,1]
	ds_store_b64 v75, v[46:47]
; %bb.711:                              ;   in Loop: Header=BB50_3 Depth=1
	s_or_b32 exec_lo, exec_lo, s61
	s_wait_loadcnt_dscnt 0x0
	s_barrier_signal -1
	s_barrier_wait -1
	s_and_saveexec_b32 s61, s93
	s_cbranch_execz .LBB50_713
; %bb.712:                              ;   in Loop: Header=BB50_3 Depth=1
	ds_load_b64 v[46:47], v5 offset:8832
	ds_load_b64 v[48:49], v75
	s_wait_dscnt 0x0
	v_pk_mul_f32 v[98:99], v[48:49], v[46:47] op_sel_hi:[1,0]
	s_delay_alu instid0(VALU_DEP_1) | instskip(SKIP_1) | instid1(VALU_DEP_2)
	v_pk_fma_f32 v[100:101], v[48:49], v[46:47], v[98:99] op_sel:[1,1,0] op_sel_hi:[0,1,1]
	v_pk_fma_f32 v[46:47], v[48:49], v[46:47], v[98:99] op_sel:[1,1,0] op_sel_hi:[0,1,1] neg_lo:[0,0,1] neg_hi:[0,0,1]
	v_pk_add_f32 v[48:49], v[44:45], v[100:101] neg_lo:[0,1] neg_hi:[0,1]
	s_delay_alu instid0(VALU_DEP_2) | instskip(NEXT) | instid1(VALU_DEP_2)
	v_pk_add_f32 v[44:45], v[44:45], v[46:47]
	v_mov_b32_e32 v45, v49
.LBB50_713:                             ;   in Loop: Header=BB50_3 Depth=1
	s_or_b32 exec_lo, exec_lo, s61
	s_barrier_signal -1
	s_barrier_wait -1
	s_and_saveexec_b32 s61, s93
; %bb.714:                              ;   in Loop: Header=BB50_3 Depth=1
	v_pk_add_f32 v[46:47], v[44:45], 0 neg_lo:[1,1] neg_hi:[1,1]
	ds_store_b64 v75, v[46:47]
; %bb.715:                              ;   in Loop: Header=BB50_3 Depth=1
	s_or_b32 exec_lo, exec_lo, s61
	s_wait_dscnt 0x0
	s_barrier_signal -1
	s_barrier_wait -1
	s_barrier_signal -1
	s_barrier_wait -1
	s_and_saveexec_b32 s61, s0
; %bb.716:                              ;   in Loop: Header=BB50_3 Depth=1
	ds_store_b64 v77, v[44:45] offset:9856
; %bb.717:                              ;   in Loop: Header=BB50_3 Depth=1
	s_or_b32 exec_lo, exec_lo, s61
	s_wait_dscnt 0x0
	s_barrier_signal -1
	s_barrier_wait -1
	s_barrier_signal -1
	s_barrier_wait -1
	s_and_saveexec_b32 s61, s94
	s_cbranch_execz .LBB50_719
; %bb.718:                              ;   in Loop: Header=BB50_3 Depth=1
	ds_load_b64 v[44:45], v69 offset:9344
	s_wait_dscnt 0x0
	ds_store_b64 v68, v[44:45] offset:8336
	ds_load_b64 v[44:45], v69 offset:9352
	s_wait_dscnt 0x0
	ds_store_b64 v68, v[44:45] offset:8848
.LBB50_719:                             ;   in Loop: Header=BB50_3 Depth=1
	s_or_b32 exec_lo, exec_lo, s61
	s_wait_dscnt 0x0
	s_barrier_signal -1
	s_barrier_wait -1
	s_and_saveexec_b32 s61, s11
	s_cbranch_execz .LBB50_721
; %bb.720:                              ;   in Loop: Header=BB50_3 Depth=1
	ds_load_b64 v[44:45], v5 offset:8832
	v_add_nc_u32_e64 v4, 0x2000, 0
	ds_store_b64 v5, v[36:37] offset:8840
	s_wait_dscnt 0x1
	ds_store_2addr_b64 v4, v[36:37], v[44:45] offset0:16 offset1:17
.LBB50_721:                             ;   in Loop: Header=BB50_3 Depth=1
	s_or_b32 exec_lo, exec_lo, s61
	v_mov_b64_e32 v[44:45], 0
	s_wait_dscnt 0x0
	s_barrier_signal -1
	s_barrier_wait -1
	global_wb scope:SCOPE_DEV
	s_wait_storecnt 0x0
	global_inv scope:SCOPE_DEV
	s_and_saveexec_b32 s62, s4
	s_cbranch_execz .LBB50_749
; %bb.722:                              ;   in Loop: Header=BB50_3 Depth=1
	ds_load_b64 v[44:45], v80 offset:8192
	ds_load_b64 v[46:47], v64 offset:16000
	v_readlane_b32 s10, v107, 25
	s_wait_dscnt 0x0
	v_dual_mul_f32 v4, v47, v45 :: v_dual_mul_f32 v33, v46, v45
	s_delay_alu instid0(VALU_DEP_1) | instskip(NEXT) | instid1(VALU_DEP_1)
	v_dual_fma_f32 v4, v46, v44, -v4 :: v_dual_fmac_f32 v33, v47, v44
	v_dual_add_f32 v44, 0, v4 :: v_dual_add_f32 v45, 0, v33
	s_and_saveexec_b32 s61, s10
	s_cbranch_execz .LBB50_724
; %bb.723:                              ;   in Loop: Header=BB50_3 Depth=1
	ds_load_b64 v[46:47], v80 offset:8704
	ds_load_b64 v[48:49], v64 offset:16008
	s_wait_dscnt 0x0
	v_dual_mul_f32 v4, v49, v47 :: v_dual_mul_f32 v33, v48, v47
	s_delay_alu instid0(VALU_DEP_1) | instskip(NEXT) | instid1(VALU_DEP_1)
	v_dual_fma_f32 v4, v48, v46, -v4 :: v_dual_fmac_f32 v33, v49, v46
	v_dual_add_f32 v44, v44, v4 :: v_dual_add_f32 v45, v45, v33
.LBB50_724:                             ;   in Loop: Header=BB50_3 Depth=1
	s_or_b32 exec_lo, exec_lo, s61
	v_readlane_b32 s10, v107, 26
	s_and_saveexec_b32 s61, s10
	s_cbranch_execz .LBB50_726
; %bb.725:                              ;   in Loop: Header=BB50_3 Depth=1
	ds_load_b64 v[46:47], v80 offset:9216
	ds_load_b64 v[48:49], v64 offset:16016
	s_wait_dscnt 0x0
	v_dual_mul_f32 v4, v49, v47 :: v_dual_mul_f32 v33, v48, v47
	s_delay_alu instid0(VALU_DEP_1) | instskip(NEXT) | instid1(VALU_DEP_1)
	v_dual_fma_f32 v4, v48, v46, -v4 :: v_dual_fmac_f32 v33, v49, v46
	v_dual_add_f32 v44, v44, v4 :: v_dual_add_f32 v45, v45, v33
.LBB50_726:                             ;   in Loop: Header=BB50_3 Depth=1
	s_or_b32 exec_lo, exec_lo, s61
	v_readlane_b32 s10, v107, 27
	;; [unrolled: 13-line block ×6, first 2 shown]
	s_and_saveexec_b32 s61, s10
	s_cbranch_execz .LBB50_736
; %bb.735:                              ;   in Loop: Header=BB50_3 Depth=1
	ds_load_b64 v[46:47], v80 offset:11776
	ds_load_b64 v[48:49], v64 offset:16056
	s_wait_dscnt 0x0
	v_dual_mul_f32 v4, v49, v47 :: v_dual_mul_f32 v33, v48, v47
	s_delay_alu instid0(VALU_DEP_1) | instskip(NEXT) | instid1(VALU_DEP_1)
	v_dual_fma_f32 v4, v48, v46, -v4 :: v_dual_fmac_f32 v33, v49, v46
	v_dual_add_f32 v44, v44, v4 :: v_dual_add_f32 v45, v45, v33
.LBB50_736:                             ;   in Loop: Header=BB50_3 Depth=1
	s_or_b32 exec_lo, exec_lo, s61
	s_and_saveexec_b32 s61, s13
	s_cbranch_execz .LBB50_738
; %bb.737:                              ;   in Loop: Header=BB50_3 Depth=1
	ds_load_b64 v[46:47], v80 offset:12288
	ds_load_b64 v[48:49], v64 offset:16064
	s_wait_dscnt 0x0
	v_dual_mul_f32 v4, v49, v47 :: v_dual_mul_f32 v33, v48, v47
	s_delay_alu instid0(VALU_DEP_1) | instskip(NEXT) | instid1(VALU_DEP_1)
	v_dual_fma_f32 v4, v48, v46, -v4 :: v_dual_fmac_f32 v33, v49, v46
	v_dual_add_f32 v44, v44, v4 :: v_dual_add_f32 v45, v45, v33
.LBB50_738:                             ;   in Loop: Header=BB50_3 Depth=1
	s_or_b32 exec_lo, exec_lo, s61
	v_readlane_b32 s10, v106, 0
	s_and_saveexec_b32 s61, s10
	s_cbranch_execz .LBB50_740
; %bb.739:                              ;   in Loop: Header=BB50_3 Depth=1
	ds_load_b64 v[46:47], v80 offset:12800
	ds_load_b64 v[48:49], v64 offset:16072
	s_wait_dscnt 0x0
	v_dual_mul_f32 v4, v49, v47 :: v_dual_mul_f32 v33, v48, v47
	s_delay_alu instid0(VALU_DEP_1) | instskip(NEXT) | instid1(VALU_DEP_1)
	v_dual_fma_f32 v4, v48, v46, -v4 :: v_dual_fmac_f32 v33, v49, v46
	v_dual_add_f32 v44, v44, v4 :: v_dual_add_f32 v45, v45, v33
.LBB50_740:                             ;   in Loop: Header=BB50_3 Depth=1
	s_or_b32 exec_lo, exec_lo, s61
	s_and_saveexec_b32 s61, s14
	s_cbranch_execz .LBB50_742
; %bb.741:                              ;   in Loop: Header=BB50_3 Depth=1
	ds_load_b64 v[46:47], v80 offset:13312
	ds_load_b64 v[48:49], v64 offset:16080
	s_wait_dscnt 0x0
	v_dual_mul_f32 v4, v49, v47 :: v_dual_mul_f32 v33, v48, v47
	s_delay_alu instid0(VALU_DEP_1) | instskip(NEXT) | instid1(VALU_DEP_1)
	v_dual_fma_f32 v4, v48, v46, -v4 :: v_dual_fmac_f32 v33, v49, v46
	v_dual_add_f32 v44, v44, v4 :: v_dual_add_f32 v45, v45, v33
.LBB50_742:                             ;   in Loop: Header=BB50_3 Depth=1
	s_or_b32 exec_lo, exec_lo, s61
	v_readlane_b32 s10, v106, 1
	s_and_saveexec_b32 s61, s10
	s_cbranch_execnz .LBB50_1098
; %bb.743:                              ;   in Loop: Header=BB50_3 Depth=1
	s_or_b32 exec_lo, exec_lo, s61
	s_and_saveexec_b32 s61, s3
	s_cbranch_execnz .LBB50_1099
.LBB50_744:                             ;   in Loop: Header=BB50_3 Depth=1
	s_or_b32 exec_lo, exec_lo, s61
	s_and_saveexec_b32 s61, s19
	s_cbranch_execnz .LBB50_1100
.LBB50_745:                             ;   in Loop: Header=BB50_3 Depth=1
	s_or_b32 exec_lo, exec_lo, s61
	s_and_saveexec_b32 s61, s21
	s_cbranch_execnz .LBB50_1101
.LBB50_746:                             ;   in Loop: Header=BB50_3 Depth=1
	s_or_b32 exec_lo, exec_lo, s61
	s_and_saveexec_b32 s61, s2
	s_cbranch_execz .LBB50_748
.LBB50_747:                             ;   in Loop: Header=BB50_3 Depth=1
	ds_load_b64 v[46:47], v9 offset:15872
	ds_load_b64 v[48:49], v5 offset:16120
	s_wait_dscnt 0x0
	v_pk_mul_f32 v[98:99], v[48:49], v[46:47] op_sel:[1,1] op_sel_hi:[0,1]
	s_delay_alu instid0(VALU_DEP_1) | instskip(SKIP_1) | instid1(VALU_DEP_2)
	v_pk_fma_f32 v[100:101], v[48:49], v[46:47], v[98:99] op_sel_hi:[1,0,1]
	v_pk_fma_f32 v[46:47], v[48:49], v[46:47], v[98:99] neg_lo:[0,0,1] neg_hi:[0,0,1]
	v_mov_b32_e32 v47, v101
	s_delay_alu instid0(VALU_DEP_1)
	v_pk_add_f32 v[44:45], v[44:45], v[46:47]
.LBB50_748:                             ;   in Loop: Header=BB50_3 Depth=1
	s_or_b32 exec_lo, exec_lo, s61
.LBB50_749:                             ;   in Loop: Header=BB50_3 Depth=1
	s_delay_alu instid0(SALU_CYCLE_1)
	s_or_b32 exec_lo, exec_lo, s62
	v_readlane_b32 s10, v107, 1
	s_and_saveexec_b32 s61, s10
; %bb.750:                              ;   in Loop: Header=BB50_3 Depth=1
	v_pk_add_f32 v[46:47], v[44:45], 0 neg_lo:[1,1] neg_hi:[1,1]
	ds_store_b64 v84, v[46:47]
; %bb.751:                              ;   in Loop: Header=BB50_3 Depth=1
	s_or_b32 exec_lo, exec_lo, s61
	v_readlane_b32 s10, v107, 2
	s_wait_loadcnt_dscnt 0x0
	s_barrier_signal -1
	s_barrier_wait -1
	s_and_saveexec_b32 s61, s10
	s_cbranch_execz .LBB50_753
; %bb.752:                              ;   in Loop: Header=BB50_3 Depth=1
	ds_load_b64 v[46:47], v80 offset:7680
	ds_load_b64 v[48:49], v84
	s_wait_dscnt 0x0
	v_pk_mul_f32 v[98:99], v[48:49], v[46:47] op_sel:[1,1] op_sel_hi:[0,1]
	s_delay_alu instid0(VALU_DEP_1) | instskip(SKIP_1) | instid1(VALU_DEP_2)
	v_pk_fma_f32 v[100:101], v[48:49], v[46:47], v[98:99] op_sel_hi:[1,0,1]
	v_pk_fma_f32 v[46:47], v[48:49], v[46:47], v[98:99] neg_lo:[0,0,1] neg_hi:[0,0,1]
	v_mov_b32_e32 v47, v101
	s_delay_alu instid0(VALU_DEP_1)
	v_pk_add_f32 v[44:45], v[44:45], v[46:47] neg_lo:[0,1] neg_hi:[0,1]
.LBB50_753:                             ;   in Loop: Header=BB50_3 Depth=1
	s_or_b32 exec_lo, exec_lo, s61
	v_readlane_b32 s10, v107, 3
	s_barrier_signal -1
	s_barrier_wait -1
	s_and_saveexec_b32 s61, s10
; %bb.754:                              ;   in Loop: Header=BB50_3 Depth=1
	v_pk_add_f32 v[46:47], v[44:45], 0 neg_lo:[1,1] neg_hi:[1,1]
	ds_store_b64 v84, v[46:47]
; %bb.755:                              ;   in Loop: Header=BB50_3 Depth=1
	s_or_b32 exec_lo, exec_lo, s61
	v_readlane_b32 s10, v107, 4
	s_wait_dscnt 0x0
	s_barrier_signal -1
	s_barrier_wait -1
	s_and_saveexec_b32 s61, s10
	s_cbranch_execz .LBB50_757
; %bb.756:                              ;   in Loop: Header=BB50_3 Depth=1
	ds_load_b64 v[46:47], v80 offset:7168
	ds_load_b64 v[48:49], v84
	s_wait_dscnt 0x0
	v_pk_mul_f32 v[98:99], v[48:49], v[46:47] op_sel:[1,1] op_sel_hi:[0,1]
	s_delay_alu instid0(VALU_DEP_1) | instskip(SKIP_1) | instid1(VALU_DEP_2)
	v_pk_fma_f32 v[100:101], v[48:49], v[46:47], v[98:99] op_sel_hi:[1,0,1]
	v_pk_fma_f32 v[46:47], v[48:49], v[46:47], v[98:99] neg_lo:[0,0,1] neg_hi:[0,0,1]
	v_mov_b32_e32 v47, v101
	s_delay_alu instid0(VALU_DEP_1)
	v_pk_add_f32 v[44:45], v[44:45], v[46:47] neg_lo:[0,1] neg_hi:[0,1]
.LBB50_757:                             ;   in Loop: Header=BB50_3 Depth=1
	s_or_b32 exec_lo, exec_lo, s61
	v_readlane_b32 s10, v107, 5
	s_barrier_signal -1
	s_barrier_wait -1
	s_and_saveexec_b32 s61, s10
; %bb.758:                              ;   in Loop: Header=BB50_3 Depth=1
	v_pk_add_f32 v[46:47], v[44:45], 0 neg_lo:[1,1] neg_hi:[1,1]
	ds_store_b64 v84, v[46:47]
; %bb.759:                              ;   in Loop: Header=BB50_3 Depth=1
	s_or_b32 exec_lo, exec_lo, s61
	v_readlane_b32 s10, v107, 6
	s_wait_dscnt 0x0
	;; [unrolled: 28-line block ×3, first 2 shown]
	s_barrier_signal -1
	s_barrier_wait -1
	s_and_saveexec_b32 s61, s10
	s_cbranch_execz .LBB50_765
; %bb.764:                              ;   in Loop: Header=BB50_3 Depth=1
	ds_load_b64 v[46:47], v80 offset:6144
	ds_load_b64 v[48:49], v84
	s_wait_dscnt 0x0
	v_dual_mul_f32 v4, v49, v47 :: v_dual_mul_f32 v33, v48, v47
	s_delay_alu instid0(VALU_DEP_1) | instskip(NEXT) | instid1(VALU_DEP_1)
	v_dual_fma_f32 v4, v48, v46, -v4 :: v_dual_fmac_f32 v33, v49, v46
	v_dual_sub_f32 v44, v44, v4 :: v_dual_sub_f32 v45, v45, v33
.LBB50_765:                             ;   in Loop: Header=BB50_3 Depth=1
	s_or_b32 exec_lo, exec_lo, s61
	v_readlane_b32 s10, v107, 9
	s_barrier_signal -1
	s_barrier_wait -1
	s_and_saveexec_b32 s61, s10
; %bb.766:                              ;   in Loop: Header=BB50_3 Depth=1
	v_pk_add_f32 v[46:47], v[44:45], 0 neg_lo:[1,1] neg_hi:[1,1]
	ds_store_b64 v84, v[46:47]
; %bb.767:                              ;   in Loop: Header=BB50_3 Depth=1
	s_or_b32 exec_lo, exec_lo, s61
	v_readlane_b32 s10, v107, 10
	s_wait_dscnt 0x0
	s_barrier_signal -1
	s_barrier_wait -1
	s_and_saveexec_b32 s61, s10
	s_cbranch_execz .LBB50_769
; %bb.768:                              ;   in Loop: Header=BB50_3 Depth=1
	ds_load_b64 v[46:47], v80 offset:5632
	ds_load_b64 v[48:49], v84
	s_wait_dscnt 0x0
	v_dual_mul_f32 v4, v49, v47 :: v_dual_mul_f32 v99, v48, v47
	s_delay_alu instid0(VALU_DEP_1) | instskip(NEXT) | instid1(VALU_DEP_1)
	v_dual_fma_f32 v98, v48, v46, -v4 :: v_dual_fmac_f32 v99, v49, v46
	v_pk_add_f32 v[44:45], v[44:45], v[98:99] neg_lo:[0,1] neg_hi:[0,1]
.LBB50_769:                             ;   in Loop: Header=BB50_3 Depth=1
	s_or_b32 exec_lo, exec_lo, s61
	v_readlane_b32 s10, v107, 11
	s_barrier_signal -1
	s_barrier_wait -1
	s_and_saveexec_b32 s61, s10
; %bb.770:                              ;   in Loop: Header=BB50_3 Depth=1
	v_pk_add_f32 v[46:47], v[44:45], 0 neg_lo:[1,1] neg_hi:[1,1]
	ds_store_b64 v84, v[46:47]
; %bb.771:                              ;   in Loop: Header=BB50_3 Depth=1
	s_or_b32 exec_lo, exec_lo, s61
	s_wait_dscnt 0x0
	s_barrier_signal -1
	s_barrier_wait -1
	s_and_saveexec_b32 s61, s25
	s_cbranch_execz .LBB50_773
; %bb.772:                              ;   in Loop: Header=BB50_3 Depth=1
	ds_load_b64 v[46:47], v80 offset:5120
	ds_load_b64 v[48:49], v84
	s_wait_dscnt 0x0
	v_pk_mul_f32 v[98:99], v[48:49], v[46:47] op_sel:[1,1] op_sel_hi:[0,1]
	s_delay_alu instid0(VALU_DEP_1) | instskip(SKIP_1) | instid1(VALU_DEP_2)
	v_pk_fma_f32 v[100:101], v[48:49], v[46:47], v[98:99] op_sel_hi:[1,0,1]
	v_pk_fma_f32 v[46:47], v[48:49], v[46:47], v[98:99] neg_lo:[0,0,1] neg_hi:[0,0,1]
	v_mov_b32_e32 v47, v101
	s_delay_alu instid0(VALU_DEP_1)
	v_pk_add_f32 v[44:45], v[44:45], v[46:47] neg_lo:[0,1] neg_hi:[0,1]
.LBB50_773:                             ;   in Loop: Header=BB50_3 Depth=1
	s_or_b32 exec_lo, exec_lo, s61
	s_barrier_signal -1
	s_barrier_wait -1
	s_and_saveexec_b32 s61, s27
; %bb.774:                              ;   in Loop: Header=BB50_3 Depth=1
	v_pk_add_f32 v[46:47], v[44:45], 0 neg_lo:[1,1] neg_hi:[1,1]
	ds_store_b64 v84, v[46:47]
; %bb.775:                              ;   in Loop: Header=BB50_3 Depth=1
	s_or_b32 exec_lo, exec_lo, s61
	s_wait_dscnt 0x0
	s_barrier_signal -1
	s_barrier_wait -1
	s_and_saveexec_b32 s61, s29
	s_cbranch_execz .LBB50_777
; %bb.776:                              ;   in Loop: Header=BB50_3 Depth=1
	ds_load_b64 v[46:47], v80 offset:4608
	ds_load_b64 v[48:49], v84
	s_wait_dscnt 0x0
	v_pk_mul_f32 v[98:99], v[48:49], v[46:47] op_sel:[1,1] op_sel_hi:[0,1]
	s_delay_alu instid0(VALU_DEP_1) | instskip(SKIP_1) | instid1(VALU_DEP_2)
	v_pk_fma_f32 v[100:101], v[48:49], v[46:47], v[98:99] op_sel_hi:[1,0,1]
	v_pk_fma_f32 v[46:47], v[48:49], v[46:47], v[98:99] neg_lo:[0,0,1] neg_hi:[0,0,1]
	v_mov_b32_e32 v47, v101
	s_delay_alu instid0(VALU_DEP_1)
	v_pk_add_f32 v[44:45], v[44:45], v[46:47] neg_lo:[0,1] neg_hi:[0,1]
.LBB50_777:                             ;   in Loop: Header=BB50_3 Depth=1
	s_or_b32 exec_lo, exec_lo, s61
	;; [unrolled: 26-line block ×4, first 2 shown]
	s_barrier_signal -1
	s_barrier_wait -1
	s_and_saveexec_b32 s61, s26
; %bb.786:                              ;   in Loop: Header=BB50_3 Depth=1
	v_pk_add_f32 v[46:47], v[44:45], 0 neg_lo:[1,1] neg_hi:[1,1]
	ds_store_b64 v84, v[46:47]
; %bb.787:                              ;   in Loop: Header=BB50_3 Depth=1
	s_or_b32 exec_lo, exec_lo, s61
	s_wait_dscnt 0x0
	s_barrier_signal -1
	s_barrier_wait -1
	s_and_saveexec_b32 s61, s28
	s_cbranch_execz .LBB50_789
; %bb.788:                              ;   in Loop: Header=BB50_3 Depth=1
	ds_load_b64 v[46:47], v80 offset:3072
	ds_load_b64 v[48:49], v84
	s_wait_dscnt 0x0
	v_dual_mul_f32 v4, v49, v47 :: v_dual_mul_f32 v33, v48, v47
	s_delay_alu instid0(VALU_DEP_1) | instskip(NEXT) | instid1(VALU_DEP_1)
	v_dual_fma_f32 v4, v48, v46, -v4 :: v_dual_fmac_f32 v33, v49, v46
	v_dual_sub_f32 v44, v44, v4 :: v_dual_sub_f32 v45, v45, v33
.LBB50_789:                             ;   in Loop: Header=BB50_3 Depth=1
	s_or_b32 exec_lo, exec_lo, s61
	s_barrier_signal -1
	s_barrier_wait -1
	s_and_saveexec_b32 s61, s30
; %bb.790:                              ;   in Loop: Header=BB50_3 Depth=1
	v_pk_add_f32 v[46:47], v[44:45], 0 neg_lo:[1,1] neg_hi:[1,1]
	ds_store_b64 v84, v[46:47]
; %bb.791:                              ;   in Loop: Header=BB50_3 Depth=1
	s_or_b32 exec_lo, exec_lo, s61
	s_wait_dscnt 0x0
	s_barrier_signal -1
	s_barrier_wait -1
	s_and_saveexec_b32 s61, s33
	s_cbranch_execz .LBB50_793
; %bb.792:                              ;   in Loop: Header=BB50_3 Depth=1
	ds_load_b64 v[46:47], v80 offset:2560
	ds_load_b64 v[48:49], v84
	s_wait_dscnt 0x0
	v_dual_mul_f32 v4, v49, v47 :: v_dual_mul_f32 v99, v48, v47
	s_delay_alu instid0(VALU_DEP_1) | instskip(NEXT) | instid1(VALU_DEP_1)
	v_dual_fma_f32 v98, v48, v46, -v4 :: v_dual_fmac_f32 v99, v49, v46
	v_pk_add_f32 v[44:45], v[44:45], v[98:99] neg_lo:[0,1] neg_hi:[0,1]
.LBB50_793:                             ;   in Loop: Header=BB50_3 Depth=1
	s_or_b32 exec_lo, exec_lo, s61
	s_barrier_signal -1
	s_barrier_wait -1
	s_and_saveexec_b32 s61, s89
; %bb.794:                              ;   in Loop: Header=BB50_3 Depth=1
	v_pk_add_f32 v[46:47], v[44:45], 0 neg_lo:[1,1] neg_hi:[1,1]
	ds_store_b64 v84, v[46:47]
; %bb.795:                              ;   in Loop: Header=BB50_3 Depth=1
	s_or_b32 exec_lo, exec_lo, s61
	s_wait_dscnt 0x0
	s_barrier_signal -1
	s_barrier_wait -1
	s_and_saveexec_b32 s61, s50
	s_cbranch_execz .LBB50_797
; %bb.796:                              ;   in Loop: Header=BB50_3 Depth=1
	ds_load_b64 v[46:47], v80 offset:2048
	ds_load_b64 v[48:49], v84
	s_wait_dscnt 0x0
	v_pk_mul_f32 v[98:99], v[48:49], v[46:47] op_sel:[1,1] op_sel_hi:[0,1]
	s_delay_alu instid0(VALU_DEP_1) | instskip(SKIP_1) | instid1(VALU_DEP_2)
	v_pk_fma_f32 v[100:101], v[48:49], v[46:47], v[98:99] op_sel_hi:[1,0,1]
	v_pk_fma_f32 v[46:47], v[48:49], v[46:47], v[98:99] neg_lo:[0,0,1] neg_hi:[0,0,1]
	v_mov_b32_e32 v47, v101
	s_delay_alu instid0(VALU_DEP_1)
	v_pk_add_f32 v[44:45], v[44:45], v[46:47] neg_lo:[0,1] neg_hi:[0,1]
.LBB50_797:                             ;   in Loop: Header=BB50_3 Depth=1
	s_or_b32 exec_lo, exec_lo, s61
	s_barrier_signal -1
	s_barrier_wait -1
	s_and_saveexec_b32 s61, s51
; %bb.798:                              ;   in Loop: Header=BB50_3 Depth=1
	v_pk_add_f32 v[46:47], v[44:45], 0 neg_lo:[1,1] neg_hi:[1,1]
	ds_store_b64 v84, v[46:47]
; %bb.799:                              ;   in Loop: Header=BB50_3 Depth=1
	s_or_b32 exec_lo, exec_lo, s61
	s_wait_dscnt 0x0
	s_barrier_signal -1
	s_barrier_wait -1
	s_and_saveexec_b32 s61, s52
	s_cbranch_execz .LBB50_801
; %bb.800:                              ;   in Loop: Header=BB50_3 Depth=1
	ds_load_b64 v[46:47], v80 offset:1536
	ds_load_b64 v[48:49], v84
	s_wait_dscnt 0x0
	v_pk_mul_f32 v[98:99], v[48:49], v[46:47] op_sel:[1,1] op_sel_hi:[0,1]
	s_delay_alu instid0(VALU_DEP_1) | instskip(SKIP_1) | instid1(VALU_DEP_2)
	v_pk_fma_f32 v[100:101], v[48:49], v[46:47], v[98:99] op_sel_hi:[1,0,1]
	v_pk_fma_f32 v[46:47], v[48:49], v[46:47], v[98:99] neg_lo:[0,0,1] neg_hi:[0,0,1]
	v_mov_b32_e32 v47, v101
	s_delay_alu instid0(VALU_DEP_1)
	v_pk_add_f32 v[44:45], v[44:45], v[46:47] neg_lo:[0,1] neg_hi:[0,1]
.LBB50_801:                             ;   in Loop: Header=BB50_3 Depth=1
	;; [unrolled: 26-line block ×4, first 2 shown]
	s_or_b32 exec_lo, exec_lo, s61
	s_barrier_signal -1
	s_barrier_wait -1
	s_and_saveexec_b32 s61, s56
; %bb.810:                              ;   in Loop: Header=BB50_3 Depth=1
	v_pk_add_f32 v[46:47], v[44:45], 0 neg_lo:[1,1] neg_hi:[1,1]
	ds_store_b64 v84, v[46:47]
; %bb.811:                              ;   in Loop: Header=BB50_3 Depth=1
	s_or_b32 exec_lo, exec_lo, s61
	s_wait_dscnt 0x0
	s_barrier_signal -1
	s_barrier_wait -1
	s_barrier_signal -1
	s_barrier_wait -1
	s_and_saveexec_b32 s61, s4
; %bb.812:                              ;   in Loop: Header=BB50_3 Depth=1
	ds_store_b64 v85, v[44:45] offset:15872
; %bb.813:                              ;   in Loop: Header=BB50_3 Depth=1
	s_or_b32 exec_lo, exec_lo, s61
	s_wait_dscnt 0x0
	s_barrier_signal -1
	s_barrier_wait -1
	s_barrier_signal -1
	s_barrier_wait -1
	s_and_saveexec_b32 s62, s58
	s_cbranch_execz .LBB50_815
; %bb.814:                              ;   in Loop: Header=BB50_3 Depth=1
	ds_load_b64 v[44:45], v50 offset:8192
	s_wait_dscnt 0x0
	ds_store_b64 v51, v[44:45] offset:128
	ds_load_b64 v[44:45], v50 offset:8200
	s_wait_dscnt 0x0
	ds_store_b64 v51, v[44:45] offset:640
	;; [unrolled: 3-line block ×16, first 2 shown]
.LBB50_815:                             ;   in Loop: Header=BB50_3 Depth=1
	s_or_b32 exec_lo, exec_lo, s62
	s_wait_dscnt 0x0
	s_barrier_signal -1
	s_barrier_wait -1
	s_and_saveexec_b32 s61, s11
	s_cbranch_execz .LBB50_817
; %bb.816:                              ;   in Loop: Header=BB50_3 Depth=1
	ds_load_b64 v[44:45], v5 offset:7792
	v_add_nc_u32_e64 v4, 0x1800, 0
	ds_store_b64 v5, v[36:37] offset:7800
	s_wait_dscnt 0x1
	ds_store_2addr_b64 v4, v[36:37], v[44:45] offset0:142 offset1:143
.LBB50_817:                             ;   in Loop: Header=BB50_3 Depth=1
	s_or_b32 exec_lo, exec_lo, s61
	v_dual_mov_b32 v44, 0 :: v_dual_mov_b32 v45, 0
	s_wait_dscnt 0x0
	s_barrier_signal -1
	s_barrier_wait -1
	global_wb scope:SCOPE_DEV
	s_wait_storecnt 0x0
	global_inv scope:SCOPE_DEV
	s_and_saveexec_b32 s62, s0
	s_cbranch_execz .LBB50_821
; %bb.818:                              ;   in Loop: Header=BB50_3 Depth=1
	ds_load_b64 v[44:45], v74 offset:7264
	ds_load_b64 v[46:47], v56 offset:7792
	s_wait_dscnt 0x0
	v_pk_mul_f32 v[48:49], v[46:47], v[44:45] op_sel:[1,1] op_sel_hi:[0,1]
	s_delay_alu instid0(VALU_DEP_1) | instskip(SKIP_1) | instid1(VALU_DEP_2)
	v_pk_fma_f32 v[98:99], v[46:47], v[44:45], v[48:49] op_sel_hi:[1,0,1]
	v_pk_fma_f32 v[44:45], v[46:47], v[44:45], v[48:49] neg_lo:[0,0,1] neg_hi:[0,0,1]
	v_mov_b32_e32 v45, v99
	s_delay_alu instid0(VALU_DEP_1)
	v_pk_add_f32 v[44:45], v[44:45], 0 op_sel_hi:[1,0]
	s_and_saveexec_b32 s61, s15
	s_cbranch_execz .LBB50_820
; %bb.819:                              ;   in Loop: Header=BB50_3 Depth=1
	ds_load_b64 v[46:47], v9 offset:7776
	ds_load_b64 v[48:49], v5 offset:7800
	s_wait_dscnt 0x0
	v_pk_mul_f32 v[98:99], v[48:49], v[46:47] op_sel:[1,1] op_sel_hi:[0,1]
	s_delay_alu instid0(VALU_DEP_1) | instskip(SKIP_1) | instid1(VALU_DEP_2)
	v_pk_fma_f32 v[100:101], v[48:49], v[46:47], v[98:99] op_sel_hi:[1,0,1]
	v_pk_fma_f32 v[46:47], v[48:49], v[46:47], v[98:99] neg_lo:[0,0,1] neg_hi:[0,0,1]
	v_mov_b32_e32 v47, v101
	s_delay_alu instid0(VALU_DEP_1)
	v_pk_add_f32 v[44:45], v[44:45], v[46:47]
.LBB50_820:                             ;   in Loop: Header=BB50_3 Depth=1
	s_or_b32 exec_lo, exec_lo, s61
.LBB50_821:                             ;   in Loop: Header=BB50_3 Depth=1
	s_delay_alu instid0(SALU_CYCLE_1)
	s_or_b32 exec_lo, exec_lo, s62
	s_and_saveexec_b32 s61, s92
; %bb.822:                              ;   in Loop: Header=BB50_3 Depth=1
	s_delay_alu instid0(VALU_DEP_1)
	v_pk_add_f32 v[46:47], v[44:45], 0 neg_lo:[1,1] neg_hi:[1,1]
	ds_store_b64 v75, v[46:47]
; %bb.823:                              ;   in Loop: Header=BB50_3 Depth=1
	s_or_b32 exec_lo, exec_lo, s61
	s_wait_loadcnt_dscnt 0x0
	s_barrier_signal -1
	s_barrier_wait -1
	s_and_saveexec_b32 s61, s93
	s_cbranch_execz .LBB50_825
; %bb.824:                              ;   in Loop: Header=BB50_3 Depth=1
	ds_load_b64 v[46:47], v5 offset:6752
	ds_load_b64 v[48:49], v75
	s_wait_dscnt 0x0
	v_pk_mul_f32 v[98:99], v[48:49], v[46:47] op_sel_hi:[1,0]
	s_delay_alu instid0(VALU_DEP_1) | instskip(SKIP_1) | instid1(VALU_DEP_2)
	v_pk_fma_f32 v[100:101], v[48:49], v[46:47], v[98:99] op_sel:[1,1,0] op_sel_hi:[0,1,1]
	v_pk_fma_f32 v[46:47], v[48:49], v[46:47], v[98:99] op_sel:[1,1,0] op_sel_hi:[0,1,1] neg_lo:[0,0,1] neg_hi:[0,0,1]
	v_pk_add_f32 v[48:49], v[44:45], v[100:101] neg_lo:[0,1] neg_hi:[0,1]
	s_delay_alu instid0(VALU_DEP_2) | instskip(NEXT) | instid1(VALU_DEP_2)
	v_pk_add_f32 v[44:45], v[44:45], v[46:47]
	v_mov_b32_e32 v45, v49
.LBB50_825:                             ;   in Loop: Header=BB50_3 Depth=1
	s_or_b32 exec_lo, exec_lo, s61
	s_barrier_signal -1
	s_barrier_wait -1
	s_and_saveexec_b32 s61, s93
; %bb.826:                              ;   in Loop: Header=BB50_3 Depth=1
	v_pk_add_f32 v[46:47], v[44:45], 0 neg_lo:[1,1] neg_hi:[1,1]
	ds_store_b64 v75, v[46:47]
; %bb.827:                              ;   in Loop: Header=BB50_3 Depth=1
	s_or_b32 exec_lo, exec_lo, s61
	s_wait_dscnt 0x0
	s_barrier_signal -1
	s_barrier_wait -1
	s_barrier_signal -1
	s_barrier_wait -1
	s_and_saveexec_b32 s61, s0
; %bb.828:                              ;   in Loop: Header=BB50_3 Depth=1
	ds_store_b64 v77, v[44:45] offset:7776
; %bb.829:                              ;   in Loop: Header=BB50_3 Depth=1
	s_or_b32 exec_lo, exec_lo, s61
	s_wait_dscnt 0x0
	s_barrier_signal -1
	s_barrier_wait -1
	s_barrier_signal -1
	s_barrier_wait -1
	s_and_saveexec_b32 s61, s94
	s_cbranch_execz .LBB50_831
; %bb.830:                              ;   in Loop: Header=BB50_3 Depth=1
	ds_load_b64 v[44:45], v50 offset:7264
	s_wait_dscnt 0x0
	ds_store_b64 v9, v[44:45] offset:6256
	ds_load_b64 v[44:45], v50 offset:7272
	s_wait_dscnt 0x0
	ds_store_b64 v9, v[44:45] offset:6768
.LBB50_831:                             ;   in Loop: Header=BB50_3 Depth=1
	s_or_b32 exec_lo, exec_lo, s61
	s_wait_dscnt 0x0
	s_barrier_signal -1
	s_barrier_wait -1
	s_and_saveexec_b32 s61, s11
	s_cbranch_execz .LBB50_833
; %bb.832:                              ;   in Loop: Header=BB50_3 Depth=1
	ds_load_b64 v[44:45], v5 offset:6752
	v_add_nc_u32_e64 v4, 0x1800, 0
	ds_store_b64 v5, v[36:37] offset:6760
	s_wait_dscnt 0x1
	ds_store_2addr_b64 v4, v[36:37], v[44:45] offset0:12 offset1:13
.LBB50_833:                             ;   in Loop: Header=BB50_3 Depth=1
	s_or_b32 exec_lo, exec_lo, s61
	v_mov_b64_e32 v[44:45], 0
	s_wait_dscnt 0x0
	s_barrier_signal -1
	s_barrier_wait -1
	global_wb scope:SCOPE_DEV
	s_wait_storecnt 0x0
	global_inv scope:SCOPE_DEV
	s_and_saveexec_b32 s62, s2
	s_cbranch_execz .LBB50_839
; %bb.834:                              ;   in Loop: Header=BB50_3 Depth=1
	ds_load_b64 v[44:45], v76 offset:6208
	ds_load_b64 v[46:47], v58 offset:7776
	s_wait_dscnt 0x0
	v_dual_mul_f32 v4, v47, v45 :: v_dual_mul_f32 v33, v46, v45
	s_delay_alu instid0(VALU_DEP_1) | instskip(NEXT) | instid1(VALU_DEP_1)
	v_dual_fma_f32 v4, v46, v44, -v4 :: v_dual_fmac_f32 v33, v47, v44
	v_dual_add_f32 v44, 0, v4 :: v_dual_add_f32 v45, 0, v33
	s_and_saveexec_b32 s61, s16
	s_cbranch_execnz .LBB50_1102
; %bb.835:                              ;   in Loop: Header=BB50_3 Depth=1
	s_or_b32 exec_lo, exec_lo, s61
	s_and_saveexec_b32 s61, s17
	s_cbranch_execnz .LBB50_1103
.LBB50_836:                             ;   in Loop: Header=BB50_3 Depth=1
	s_or_b32 exec_lo, exec_lo, s61
	s_and_saveexec_b32 s61, s0
	s_cbranch_execz .LBB50_838
.LBB50_837:                             ;   in Loop: Header=BB50_3 Depth=1
	ds_load_b64 v[46:47], v51 offset:7744
	ds_load_b64 v[48:49], v5 offset:7800
	s_wait_dscnt 0x0
	v_pk_mul_f32 v[98:99], v[48:49], v[46:47] op_sel:[1,1] op_sel_hi:[0,1]
	s_delay_alu instid0(VALU_DEP_1) | instskip(SKIP_1) | instid1(VALU_DEP_2)
	v_pk_fma_f32 v[100:101], v[48:49], v[46:47], v[98:99] op_sel_hi:[1,0,1]
	v_pk_fma_f32 v[46:47], v[48:49], v[46:47], v[98:99] neg_lo:[0,0,1] neg_hi:[0,0,1]
	v_mov_b32_e32 v47, v101
	s_delay_alu instid0(VALU_DEP_1)
	v_pk_add_f32 v[44:45], v[44:45], v[46:47]
.LBB50_838:                             ;   in Loop: Header=BB50_3 Depth=1
	s_or_b32 exec_lo, exec_lo, s61
.LBB50_839:                             ;   in Loop: Header=BB50_3 Depth=1
	s_delay_alu instid0(SALU_CYCLE_1)
	s_or_b32 exec_lo, exec_lo, s62
	s_and_saveexec_b32 s61, s95
; %bb.840:                              ;   in Loop: Header=BB50_3 Depth=1
	s_delay_alu instid0(VALU_DEP_1)
	v_pk_add_f32 v[46:47], v[44:45], 0 neg_lo:[1,1] neg_hi:[1,1]
	ds_store_b64 v79, v[46:47]
; %bb.841:                              ;   in Loop: Header=BB50_3 Depth=1
	s_or_b32 exec_lo, exec_lo, s61
	s_wait_loadcnt_dscnt 0x0
	s_barrier_signal -1
	s_barrier_wait -1
	s_and_saveexec_b32 s61, s96
	s_cbranch_execz .LBB50_843
; %bb.842:                              ;   in Loop: Header=BB50_3 Depth=1
	ds_load_b64 v[46:47], v76 offset:5696
	ds_load_b64 v[48:49], v79
	s_wait_dscnt 0x0
	v_pk_mul_f32 v[98:99], v[48:49], v[46:47] op_sel:[1,1] op_sel_hi:[0,1]
	s_delay_alu instid0(VALU_DEP_1) | instskip(SKIP_1) | instid1(VALU_DEP_2)
	v_pk_fma_f32 v[100:101], v[48:49], v[46:47], v[98:99] op_sel_hi:[1,0,1]
	v_pk_fma_f32 v[46:47], v[48:49], v[46:47], v[98:99] neg_lo:[0,0,1] neg_hi:[0,0,1]
	v_mov_b32_e32 v47, v101
	s_delay_alu instid0(VALU_DEP_1)
	v_pk_add_f32 v[44:45], v[44:45], v[46:47] neg_lo:[0,1] neg_hi:[0,1]
.LBB50_843:                             ;   in Loop: Header=BB50_3 Depth=1
	s_or_b32 exec_lo, exec_lo, s61
	s_barrier_signal -1
	s_barrier_wait -1
	s_and_saveexec_b32 s61, s97
; %bb.844:                              ;   in Loop: Header=BB50_3 Depth=1
	v_pk_add_f32 v[46:47], v[44:45], 0 neg_lo:[1,1] neg_hi:[1,1]
	ds_store_b64 v79, v[46:47]
; %bb.845:                              ;   in Loop: Header=BB50_3 Depth=1
	s_or_b32 exec_lo, exec_lo, s61
	s_wait_dscnt 0x0
	s_barrier_signal -1
	s_barrier_wait -1
	s_and_saveexec_b32 s61, s98
	s_cbranch_execz .LBB50_847
; %bb.846:                              ;   in Loop: Header=BB50_3 Depth=1
	ds_load_b64 v[46:47], v76 offset:5184
	ds_load_b64 v[48:49], v79
	s_wait_dscnt 0x0
	v_pk_mul_f32 v[98:99], v[48:49], v[46:47] op_sel:[1,1] op_sel_hi:[0,1]
	s_delay_alu instid0(VALU_DEP_1) | instskip(SKIP_1) | instid1(VALU_DEP_2)
	v_pk_fma_f32 v[100:101], v[48:49], v[46:47], v[98:99] op_sel_hi:[1,0,1]
	v_pk_fma_f32 v[46:47], v[48:49], v[46:47], v[98:99] neg_lo:[0,0,1] neg_hi:[0,0,1]
	v_mov_b32_e32 v47, v101
	s_delay_alu instid0(VALU_DEP_1)
	v_pk_add_f32 v[44:45], v[44:45], v[46:47] neg_lo:[0,1] neg_hi:[0,1]
.LBB50_847:                             ;   in Loop: Header=BB50_3 Depth=1
	s_or_b32 exec_lo, exec_lo, s61
	s_barrier_signal -1
	s_barrier_wait -1
	s_and_saveexec_b32 s61, s99
; %bb.848:                              ;   in Loop: Header=BB50_3 Depth=1
	v_pk_add_f32 v[46:47], v[44:45], 0 neg_lo:[1,1] neg_hi:[1,1]
	ds_store_b64 v79, v[46:47]
; %bb.849:                              ;   in Loop: Header=BB50_3 Depth=1
	s_or_b32 exec_lo, exec_lo, s61
	s_wait_dscnt 0x0
	;; [unrolled: 26-line block ×3, first 2 shown]
	s_barrier_signal -1
	s_barrier_wait -1
	s_barrier_signal -1
	s_barrier_wait -1
	s_and_saveexec_b32 s61, s2
; %bb.854:                              ;   in Loop: Header=BB50_3 Depth=1
	ds_store_b64 v81, v[44:45] offset:7744
; %bb.855:                              ;   in Loop: Header=BB50_3 Depth=1
	s_or_b32 exec_lo, exec_lo, s61
	s_wait_dscnt 0x0
	s_barrier_signal -1
	s_barrier_wait -1
	s_barrier_signal -1
	s_barrier_wait -1
	s_and_saveexec_b32 s61, s101
	s_cbranch_execz .LBB50_857
; %bb.856:                              ;   in Loop: Header=BB50_3 Depth=1
	ds_load_b64 v[44:45], v52 offset:6208
	s_wait_dscnt 0x0
	ds_store_b64 v53, v[44:45] offset:4192
	ds_load_b64 v[44:45], v52 offset:6216
	s_wait_dscnt 0x0
	ds_store_b64 v53, v[44:45] offset:4704
	ds_load_b64 v[44:45], v52 offset:6224
	s_wait_dscnt 0x0
	ds_store_b64 v53, v[44:45] offset:5216
	ds_load_b64 v[44:45], v52 offset:6232
	s_wait_dscnt 0x0
	ds_store_b64 v53, v[44:45] offset:5728
.LBB50_857:                             ;   in Loop: Header=BB50_3 Depth=1
	s_or_b32 exec_lo, exec_lo, s61
	s_wait_dscnt 0x0
	s_barrier_signal -1
	s_barrier_wait -1
	s_and_saveexec_b32 s61, s11
	s_cbranch_execz .LBB50_859
; %bb.858:                              ;   in Loop: Header=BB50_3 Depth=1
	ds_load_b64 v[44:45], v5 offset:5712
	v_add_nc_u32_e64 v4, 0x1000, 0
	ds_store_b64 v5, v[36:37] offset:5720
	s_wait_dscnt 0x1
	ds_store_2addr_b64 v4, v[36:37], v[44:45] offset0:138 offset1:139
.LBB50_859:                             ;   in Loop: Header=BB50_3 Depth=1
	s_or_b32 exec_lo, exec_lo, s61
	v_dual_mov_b32 v44, 0 :: v_dual_mov_b32 v45, 0
	s_wait_dscnt 0x0
	s_barrier_signal -1
	s_barrier_wait -1
	global_wb scope:SCOPE_DEV
	s_wait_storecnt 0x0
	global_inv scope:SCOPE_DEV
	s_and_saveexec_b32 s62, s0
	s_cbranch_execz .LBB50_863
; %bb.860:                              ;   in Loop: Header=BB50_3 Depth=1
	ds_load_b64 v[44:45], v74 offset:5184
	ds_load_b64 v[46:47], v56 offset:5712
	s_wait_dscnt 0x0
	v_pk_mul_f32 v[48:49], v[46:47], v[44:45] op_sel:[1,1] op_sel_hi:[0,1]
	s_delay_alu instid0(VALU_DEP_1) | instskip(SKIP_1) | instid1(VALU_DEP_2)
	v_pk_fma_f32 v[98:99], v[46:47], v[44:45], v[48:49] op_sel_hi:[1,0,1]
	v_pk_fma_f32 v[44:45], v[46:47], v[44:45], v[48:49] neg_lo:[0,0,1] neg_hi:[0,0,1]
	v_mov_b32_e32 v45, v99
	s_delay_alu instid0(VALU_DEP_1)
	v_pk_add_f32 v[44:45], v[44:45], 0 op_sel_hi:[1,0]
	s_and_saveexec_b32 s61, s15
	s_cbranch_execz .LBB50_862
; %bb.861:                              ;   in Loop: Header=BB50_3 Depth=1
	ds_load_b64 v[46:47], v53 offset:5696
	ds_load_b64 v[48:49], v5 offset:5720
	s_wait_dscnt 0x0
	v_pk_mul_f32 v[98:99], v[48:49], v[46:47] op_sel:[1,1] op_sel_hi:[0,1]
	s_delay_alu instid0(VALU_DEP_1) | instskip(SKIP_1) | instid1(VALU_DEP_2)
	v_pk_fma_f32 v[100:101], v[48:49], v[46:47], v[98:99] op_sel_hi:[1,0,1]
	v_pk_fma_f32 v[46:47], v[48:49], v[46:47], v[98:99] neg_lo:[0,0,1] neg_hi:[0,0,1]
	v_mov_b32_e32 v47, v101
	s_delay_alu instid0(VALU_DEP_1)
	v_pk_add_f32 v[44:45], v[44:45], v[46:47]
.LBB50_862:                             ;   in Loop: Header=BB50_3 Depth=1
	s_or_b32 exec_lo, exec_lo, s61
.LBB50_863:                             ;   in Loop: Header=BB50_3 Depth=1
	s_delay_alu instid0(SALU_CYCLE_1)
	s_or_b32 exec_lo, exec_lo, s62
	s_and_saveexec_b32 s61, s92
; %bb.864:                              ;   in Loop: Header=BB50_3 Depth=1
	s_delay_alu instid0(VALU_DEP_1)
	v_pk_add_f32 v[46:47], v[44:45], 0 neg_lo:[1,1] neg_hi:[1,1]
	ds_store_b64 v75, v[46:47]
; %bb.865:                              ;   in Loop: Header=BB50_3 Depth=1
	s_or_b32 exec_lo, exec_lo, s61
	s_wait_loadcnt_dscnt 0x0
	s_barrier_signal -1
	s_barrier_wait -1
	s_and_saveexec_b32 s61, s93
	s_cbranch_execz .LBB50_867
; %bb.866:                              ;   in Loop: Header=BB50_3 Depth=1
	ds_load_b64 v[46:47], v5 offset:4672
	ds_load_b64 v[48:49], v75
	s_wait_dscnt 0x0
	v_pk_mul_f32 v[98:99], v[48:49], v[46:47] op_sel_hi:[1,0]
	s_delay_alu instid0(VALU_DEP_1) | instskip(SKIP_1) | instid1(VALU_DEP_2)
	v_pk_fma_f32 v[100:101], v[48:49], v[46:47], v[98:99] op_sel:[1,1,0] op_sel_hi:[0,1,1]
	v_pk_fma_f32 v[46:47], v[48:49], v[46:47], v[98:99] op_sel:[1,1,0] op_sel_hi:[0,1,1] neg_lo:[0,0,1] neg_hi:[0,0,1]
	v_pk_add_f32 v[48:49], v[44:45], v[100:101] neg_lo:[0,1] neg_hi:[0,1]
	s_delay_alu instid0(VALU_DEP_2) | instskip(NEXT) | instid1(VALU_DEP_2)
	v_pk_add_f32 v[44:45], v[44:45], v[46:47]
	v_mov_b32_e32 v45, v49
.LBB50_867:                             ;   in Loop: Header=BB50_3 Depth=1
	s_or_b32 exec_lo, exec_lo, s61
	s_barrier_signal -1
	s_barrier_wait -1
	s_and_saveexec_b32 s61, s93
; %bb.868:                              ;   in Loop: Header=BB50_3 Depth=1
	v_pk_add_f32 v[46:47], v[44:45], 0 neg_lo:[1,1] neg_hi:[1,1]
	ds_store_b64 v75, v[46:47]
; %bb.869:                              ;   in Loop: Header=BB50_3 Depth=1
	s_or_b32 exec_lo, exec_lo, s61
	s_wait_dscnt 0x0
	s_barrier_signal -1
	s_barrier_wait -1
	s_barrier_signal -1
	s_barrier_wait -1
	s_and_saveexec_b32 s61, s0
; %bb.870:                              ;   in Loop: Header=BB50_3 Depth=1
	ds_store_b64 v77, v[44:45] offset:5696
; %bb.871:                              ;   in Loop: Header=BB50_3 Depth=1
	s_or_b32 exec_lo, exec_lo, s61
	s_wait_dscnt 0x0
	s_barrier_signal -1
	s_barrier_wait -1
	s_barrier_signal -1
	s_barrier_wait -1
	s_and_saveexec_b32 s61, s94
	s_cbranch_execz .LBB50_873
; %bb.872:                              ;   in Loop: Header=BB50_3 Depth=1
	ds_load_b64 v[44:45], v54 offset:5184
	s_wait_dscnt 0x0
	ds_store_b64 v53, v[44:45] offset:4176
	ds_load_b64 v[44:45], v54 offset:5192
	s_wait_dscnt 0x0
	ds_store_b64 v53, v[44:45] offset:4688
.LBB50_873:                             ;   in Loop: Header=BB50_3 Depth=1
	s_or_b32 exec_lo, exec_lo, s61
	s_wait_dscnt 0x0
	s_barrier_signal -1
	s_barrier_wait -1
	s_and_saveexec_b32 s61, s11
	s_cbranch_execz .LBB50_875
; %bb.874:                              ;   in Loop: Header=BB50_3 Depth=1
	ds_load_b64 v[44:45], v5 offset:4672
	v_add_nc_u32_e64 v4, 0x1000, 0
	ds_store_b64 v5, v[36:37] offset:4680
	s_wait_dscnt 0x1
	ds_store_2addr_b64 v4, v[36:37], v[44:45] offset0:8 offset1:9
.LBB50_875:                             ;   in Loop: Header=BB50_3 Depth=1
	s_or_b32 exec_lo, exec_lo, s61
	v_mov_b64_e32 v[44:45], 0
	s_wait_dscnt 0x0
	s_barrier_signal -1
	s_barrier_wait -1
	global_wb scope:SCOPE_DEV
	s_wait_storecnt 0x0
	global_inv scope:SCOPE_DEV
	s_and_saveexec_b32 s62, s3
	s_cbranch_execz .LBB50_885
; %bb.876:                              ;   in Loop: Header=BB50_3 Depth=1
	ds_load_b64 v[44:45], v78 offset:4096
	ds_load_b64 v[46:47], v62 offset:7744
	s_wait_dscnt 0x0
	v_dual_mul_f32 v4, v47, v45 :: v_dual_mul_f32 v33, v46, v45
	s_delay_alu instid0(VALU_DEP_1) | instskip(NEXT) | instid1(VALU_DEP_1)
	v_dual_fma_f32 v4, v46, v44, -v4 :: v_dual_fmac_f32 v33, v47, v44
	v_dual_add_f32 v44, 0, v4 :: v_dual_add_f32 v45, 0, v33
	s_and_saveexec_b32 s61, s18
	s_cbranch_execnz .LBB50_1104
; %bb.877:                              ;   in Loop: Header=BB50_3 Depth=1
	s_or_b32 exec_lo, exec_lo, s61
	s_and_saveexec_b32 s61, s19
	s_cbranch_execnz .LBB50_1105
.LBB50_878:                             ;   in Loop: Header=BB50_3 Depth=1
	s_or_b32 exec_lo, exec_lo, s61
	s_and_saveexec_b32 s61, s20
	s_cbranch_execnz .LBB50_1106
.LBB50_879:                             ;   in Loop: Header=BB50_3 Depth=1
	s_or_b32 exec_lo, exec_lo, s61
	s_and_saveexec_b32 s61, s21
	s_cbranch_execnz .LBB50_1107
.LBB50_880:                             ;   in Loop: Header=BB50_3 Depth=1
	s_or_b32 exec_lo, exec_lo, s61
	s_and_saveexec_b32 s61, s22
	s_cbranch_execnz .LBB50_1108
.LBB50_881:                             ;   in Loop: Header=BB50_3 Depth=1
	s_or_b32 exec_lo, exec_lo, s61
	s_and_saveexec_b32 s61, s2
	s_cbranch_execnz .LBB50_1109
.LBB50_882:                             ;   in Loop: Header=BB50_3 Depth=1
	s_or_b32 exec_lo, exec_lo, s61
	s_and_saveexec_b32 s61, s17
	s_cbranch_execz .LBB50_884
.LBB50_883:                             ;   in Loop: Header=BB50_3 Depth=1
	ds_load_b64 v[46:47], v55 offset:7680
	ds_load_b64 v[48:49], v5 offset:7800
	s_wait_dscnt 0x0
	v_pk_mul_f32 v[98:99], v[48:49], v[46:47] op_sel:[1,1] op_sel_hi:[0,1]
	s_delay_alu instid0(VALU_DEP_1) | instskip(SKIP_1) | instid1(VALU_DEP_2)
	v_pk_fma_f32 v[100:101], v[48:49], v[46:47], v[98:99] op_sel_hi:[1,0,1]
	v_pk_fma_f32 v[46:47], v[48:49], v[46:47], v[98:99] neg_lo:[0,0,1] neg_hi:[0,0,1]
	v_mov_b32_e32 v47, v101
	s_delay_alu instid0(VALU_DEP_1)
	v_pk_add_f32 v[44:45], v[44:45], v[46:47]
.LBB50_884:                             ;   in Loop: Header=BB50_3 Depth=1
	s_or_b32 exec_lo, exec_lo, s61
.LBB50_885:                             ;   in Loop: Header=BB50_3 Depth=1
	s_delay_alu instid0(SALU_CYCLE_1)
	s_or_b32 exec_lo, exec_lo, s62
	s_and_saveexec_b32 s61, s102
; %bb.886:                              ;   in Loop: Header=BB50_3 Depth=1
	s_delay_alu instid0(VALU_DEP_1)
	v_pk_add_f32 v[46:47], v[44:45], 0 neg_lo:[1,1] neg_hi:[1,1]
	ds_store_b64 v82, v[46:47]
; %bb.887:                              ;   in Loop: Header=BB50_3 Depth=1
	s_or_b32 exec_lo, exec_lo, s61
	s_wait_loadcnt_dscnt 0x0
	s_barrier_signal -1
	s_barrier_wait -1
	s_and_saveexec_b32 s61, s103
	s_cbranch_execz .LBB50_889
; %bb.888:                              ;   in Loop: Header=BB50_3 Depth=1
	ds_load_b64 v[46:47], v78 offset:3584
	ds_load_b64 v[48:49], v82
	s_wait_dscnt 0x0
	v_pk_mul_f32 v[98:99], v[48:49], v[46:47] op_sel:[1,1] op_sel_hi:[0,1]
	s_delay_alu instid0(VALU_DEP_1) | instskip(SKIP_1) | instid1(VALU_DEP_2)
	v_pk_fma_f32 v[100:101], v[48:49], v[46:47], v[98:99] op_sel_hi:[1,0,1]
	v_pk_fma_f32 v[46:47], v[48:49], v[46:47], v[98:99] neg_lo:[0,0,1] neg_hi:[0,0,1]
	v_mov_b32_e32 v47, v101
	s_delay_alu instid0(VALU_DEP_1)
	v_pk_add_f32 v[44:45], v[44:45], v[46:47] neg_lo:[0,1] neg_hi:[0,1]
.LBB50_889:                             ;   in Loop: Header=BB50_3 Depth=1
	s_or_b32 exec_lo, exec_lo, s61
	s_barrier_signal -1
	s_barrier_wait -1
	s_and_saveexec_b32 s61, s104
; %bb.890:                              ;   in Loop: Header=BB50_3 Depth=1
	v_pk_add_f32 v[46:47], v[44:45], 0 neg_lo:[1,1] neg_hi:[1,1]
	ds_store_b64 v82, v[46:47]
; %bb.891:                              ;   in Loop: Header=BB50_3 Depth=1
	s_or_b32 exec_lo, exec_lo, s61
	s_wait_dscnt 0x0
	s_barrier_signal -1
	s_barrier_wait -1
	s_and_saveexec_b32 s61, vcc_hi
	s_cbranch_execz .LBB50_893
; %bb.892:                              ;   in Loop: Header=BB50_3 Depth=1
	ds_load_b64 v[46:47], v78 offset:3072
	ds_load_b64 v[48:49], v82
	s_wait_dscnt 0x0
	v_dual_mul_f32 v4, v49, v47 :: v_dual_mul_f32 v33, v48, v47
	s_delay_alu instid0(VALU_DEP_1) | instskip(NEXT) | instid1(VALU_DEP_1)
	v_dual_fma_f32 v4, v48, v46, -v4 :: v_dual_fmac_f32 v33, v49, v46
	v_dual_sub_f32 v44, v44, v4 :: v_dual_sub_f32 v45, v45, v33
.LBB50_893:                             ;   in Loop: Header=BB50_3 Depth=1
	s_or_b32 exec_lo, exec_lo, s61
	s_barrier_signal -1
	s_barrier_wait -1
	s_and_saveexec_b32 s61, s39
; %bb.894:                              ;   in Loop: Header=BB50_3 Depth=1
	v_pk_add_f32 v[46:47], v[44:45], 0 neg_lo:[1,1] neg_hi:[1,1]
	ds_store_b64 v82, v[46:47]
; %bb.895:                              ;   in Loop: Header=BB50_3 Depth=1
	s_or_b32 exec_lo, exec_lo, s61
	s_wait_dscnt 0x0
	s_barrier_signal -1
	s_barrier_wait -1
	s_and_saveexec_b32 s61, s40
	s_cbranch_execz .LBB50_897
; %bb.896:                              ;   in Loop: Header=BB50_3 Depth=1
	ds_load_b64 v[46:47], v78 offset:2560
	ds_load_b64 v[48:49], v82
	s_wait_dscnt 0x0
	v_dual_mul_f32 v4, v49, v47 :: v_dual_mul_f32 v99, v48, v47
	s_delay_alu instid0(VALU_DEP_1) | instskip(NEXT) | instid1(VALU_DEP_1)
	v_dual_fma_f32 v98, v48, v46, -v4 :: v_dual_fmac_f32 v99, v49, v46
	v_pk_add_f32 v[44:45], v[44:45], v[98:99] neg_lo:[0,1] neg_hi:[0,1]
.LBB50_897:                             ;   in Loop: Header=BB50_3 Depth=1
	s_or_b32 exec_lo, exec_lo, s61
	s_barrier_signal -1
	s_barrier_wait -1
	s_and_saveexec_b32 s61, s41
; %bb.898:                              ;   in Loop: Header=BB50_3 Depth=1
	v_pk_add_f32 v[46:47], v[44:45], 0 neg_lo:[1,1] neg_hi:[1,1]
	ds_store_b64 v82, v[46:47]
; %bb.899:                              ;   in Loop: Header=BB50_3 Depth=1
	s_or_b32 exec_lo, exec_lo, s61
	s_wait_dscnt 0x0
	s_barrier_signal -1
	s_barrier_wait -1
	s_and_saveexec_b32 s61, s42
	s_cbranch_execz .LBB50_901
; %bb.900:                              ;   in Loop: Header=BB50_3 Depth=1
	ds_load_b64 v[46:47], v78 offset:2048
	ds_load_b64 v[48:49], v82
	s_wait_dscnt 0x0
	v_pk_mul_f32 v[98:99], v[48:49], v[46:47] op_sel:[1,1] op_sel_hi:[0,1]
	s_delay_alu instid0(VALU_DEP_1) | instskip(SKIP_1) | instid1(VALU_DEP_2)
	v_pk_fma_f32 v[100:101], v[48:49], v[46:47], v[98:99] op_sel_hi:[1,0,1]
	v_pk_fma_f32 v[46:47], v[48:49], v[46:47], v[98:99] neg_lo:[0,0,1] neg_hi:[0,0,1]
	v_mov_b32_e32 v47, v101
	s_delay_alu instid0(VALU_DEP_1)
	v_pk_add_f32 v[44:45], v[44:45], v[46:47] neg_lo:[0,1] neg_hi:[0,1]
.LBB50_901:                             ;   in Loop: Header=BB50_3 Depth=1
	s_or_b32 exec_lo, exec_lo, s61
	s_barrier_signal -1
	s_barrier_wait -1
	s_and_saveexec_b32 s61, s43
; %bb.902:                              ;   in Loop: Header=BB50_3 Depth=1
	v_pk_add_f32 v[46:47], v[44:45], 0 neg_lo:[1,1] neg_hi:[1,1]
	ds_store_b64 v82, v[46:47]
; %bb.903:                              ;   in Loop: Header=BB50_3 Depth=1
	s_or_b32 exec_lo, exec_lo, s61
	s_wait_dscnt 0x0
	s_barrier_signal -1
	s_barrier_wait -1
	s_and_saveexec_b32 s61, s44
	s_cbranch_execz .LBB50_905
; %bb.904:                              ;   in Loop: Header=BB50_3 Depth=1
	ds_load_b64 v[46:47], v78 offset:1536
	ds_load_b64 v[48:49], v82
	s_wait_dscnt 0x0
	v_pk_mul_f32 v[98:99], v[48:49], v[46:47] op_sel:[1,1] op_sel_hi:[0,1]
	s_delay_alu instid0(VALU_DEP_1) | instskip(SKIP_1) | instid1(VALU_DEP_2)
	v_pk_fma_f32 v[100:101], v[48:49], v[46:47], v[98:99] op_sel_hi:[1,0,1]
	v_pk_fma_f32 v[46:47], v[48:49], v[46:47], v[98:99] neg_lo:[0,0,1] neg_hi:[0,0,1]
	v_mov_b32_e32 v47, v101
	s_delay_alu instid0(VALU_DEP_1)
	v_pk_add_f32 v[44:45], v[44:45], v[46:47] neg_lo:[0,1] neg_hi:[0,1]
.LBB50_905:                             ;   in Loop: Header=BB50_3 Depth=1
	;; [unrolled: 26-line block ×4, first 2 shown]
	s_or_b32 exec_lo, exec_lo, s61
	s_barrier_signal -1
	s_barrier_wait -1
	s_and_saveexec_b32 s61, s48
; %bb.914:                              ;   in Loop: Header=BB50_3 Depth=1
	v_pk_add_f32 v[46:47], v[44:45], 0 neg_lo:[1,1] neg_hi:[1,1]
	ds_store_b64 v82, v[46:47]
; %bb.915:                              ;   in Loop: Header=BB50_3 Depth=1
	s_or_b32 exec_lo, exec_lo, s61
	s_wait_dscnt 0x0
	s_barrier_signal -1
	s_barrier_wait -1
	s_barrier_signal -1
	s_barrier_wait -1
	s_and_saveexec_b32 s61, s3
; %bb.916:                              ;   in Loop: Header=BB50_3 Depth=1
	ds_store_b64 v83, v[44:45] offset:7680
; %bb.917:                              ;   in Loop: Header=BB50_3 Depth=1
	s_or_b32 exec_lo, exec_lo, s61
	s_wait_dscnt 0x0
	s_barrier_signal -1
	s_barrier_wait -1
	s_barrier_signal -1
	s_barrier_wait -1
	s_and_saveexec_b32 s61, s49
	s_cbranch_execz .LBB50_919
; %bb.918:                              ;   in Loop: Header=BB50_3 Depth=1
	ds_load_b64 v[44:45], v57 offset:4096
	s_wait_dscnt 0x0
	ds_store_b64 v59, v[44:45] offset:64
	ds_load_b64 v[44:45], v57 offset:4104
	s_wait_dscnt 0x0
	ds_store_b64 v59, v[44:45] offset:576
	;; [unrolled: 3-line block ×8, first 2 shown]
.LBB50_919:                             ;   in Loop: Header=BB50_3 Depth=1
	s_or_b32 exec_lo, exec_lo, s61
	s_wait_dscnt 0x0
	s_barrier_signal -1
	s_barrier_wait -1
	s_and_saveexec_b32 s61, s11
	s_cbranch_execz .LBB50_921
; %bb.920:                              ;   in Loop: Header=BB50_3 Depth=1
	ds_load_b64 v[44:45], v5 offset:3632
	v_add_nc_u32_e64 v4, 0x800, 0
	ds_store_b64 v5, v[36:37] offset:3640
	s_wait_dscnt 0x1
	ds_store_2addr_b64 v4, v[36:37], v[44:45] offset0:134 offset1:135
.LBB50_921:                             ;   in Loop: Header=BB50_3 Depth=1
	s_or_b32 exec_lo, exec_lo, s61
	v_dual_mov_b32 v44, 0 :: v_dual_mov_b32 v45, 0
	s_wait_dscnt 0x0
	s_barrier_signal -1
	s_barrier_wait -1
	global_wb scope:SCOPE_DEV
	s_wait_storecnt 0x0
	global_inv scope:SCOPE_DEV
	s_and_saveexec_b32 s62, s0
	s_cbranch_execz .LBB50_925
; %bb.922:                              ;   in Loop: Header=BB50_3 Depth=1
	ds_load_b64 v[44:45], v74 offset:3104
	ds_load_b64 v[46:47], v56 offset:3632
	s_wait_dscnt 0x0
	v_pk_mul_f32 v[48:49], v[46:47], v[44:45] op_sel:[1,1] op_sel_hi:[0,1]
	s_delay_alu instid0(VALU_DEP_1) | instskip(SKIP_1) | instid1(VALU_DEP_2)
	v_pk_fma_f32 v[98:99], v[46:47], v[44:45], v[48:49] op_sel_hi:[1,0,1]
	v_pk_fma_f32 v[44:45], v[46:47], v[44:45], v[48:49] neg_lo:[0,0,1] neg_hi:[0,0,1]
	v_mov_b32_e32 v45, v99
	s_delay_alu instid0(VALU_DEP_1)
	v_pk_add_f32 v[44:45], v[44:45], 0 op_sel_hi:[1,0]
	s_and_saveexec_b32 s61, s15
	s_cbranch_execz .LBB50_924
; %bb.923:                              ;   in Loop: Header=BB50_3 Depth=1
	ds_load_b64 v[46:47], v59 offset:3616
	ds_load_b64 v[48:49], v5 offset:3640
	s_wait_dscnt 0x0
	v_pk_mul_f32 v[98:99], v[48:49], v[46:47] op_sel:[1,1] op_sel_hi:[0,1]
	s_delay_alu instid0(VALU_DEP_1) | instskip(SKIP_1) | instid1(VALU_DEP_2)
	v_pk_fma_f32 v[100:101], v[48:49], v[46:47], v[98:99] op_sel_hi:[1,0,1]
	v_pk_fma_f32 v[46:47], v[48:49], v[46:47], v[98:99] neg_lo:[0,0,1] neg_hi:[0,0,1]
	v_mov_b32_e32 v47, v101
	s_delay_alu instid0(VALU_DEP_1)
	v_pk_add_f32 v[44:45], v[44:45], v[46:47]
.LBB50_924:                             ;   in Loop: Header=BB50_3 Depth=1
	s_or_b32 exec_lo, exec_lo, s61
.LBB50_925:                             ;   in Loop: Header=BB50_3 Depth=1
	s_delay_alu instid0(SALU_CYCLE_1)
	s_or_b32 exec_lo, exec_lo, s62
	s_and_saveexec_b32 s61, s92
; %bb.926:                              ;   in Loop: Header=BB50_3 Depth=1
	s_delay_alu instid0(VALU_DEP_1)
	v_pk_add_f32 v[46:47], v[44:45], 0 neg_lo:[1,1] neg_hi:[1,1]
	ds_store_b64 v75, v[46:47]
; %bb.927:                              ;   in Loop: Header=BB50_3 Depth=1
	s_or_b32 exec_lo, exec_lo, s61
	s_wait_loadcnt_dscnt 0x0
	s_barrier_signal -1
	s_barrier_wait -1
	s_and_saveexec_b32 s61, s93
	s_cbranch_execz .LBB50_929
; %bb.928:                              ;   in Loop: Header=BB50_3 Depth=1
	ds_load_b64 v[46:47], v5 offset:2592
	ds_load_b64 v[48:49], v75
	s_wait_dscnt 0x0
	v_pk_mul_f32 v[98:99], v[48:49], v[46:47] op_sel_hi:[1,0]
	s_delay_alu instid0(VALU_DEP_1) | instskip(SKIP_1) | instid1(VALU_DEP_2)
	v_pk_fma_f32 v[100:101], v[48:49], v[46:47], v[98:99] op_sel:[1,1,0] op_sel_hi:[0,1,1]
	v_pk_fma_f32 v[46:47], v[48:49], v[46:47], v[98:99] op_sel:[1,1,0] op_sel_hi:[0,1,1] neg_lo:[0,0,1] neg_hi:[0,0,1]
	v_pk_add_f32 v[48:49], v[44:45], v[100:101] neg_lo:[0,1] neg_hi:[0,1]
	s_delay_alu instid0(VALU_DEP_2) | instskip(NEXT) | instid1(VALU_DEP_2)
	v_pk_add_f32 v[44:45], v[44:45], v[46:47]
	v_mov_b32_e32 v45, v49
.LBB50_929:                             ;   in Loop: Header=BB50_3 Depth=1
	s_or_b32 exec_lo, exec_lo, s61
	s_barrier_signal -1
	s_barrier_wait -1
	s_and_saveexec_b32 s61, s93
; %bb.930:                              ;   in Loop: Header=BB50_3 Depth=1
	v_pk_add_f32 v[46:47], v[44:45], 0 neg_lo:[1,1] neg_hi:[1,1]
	ds_store_b64 v75, v[46:47]
; %bb.931:                              ;   in Loop: Header=BB50_3 Depth=1
	s_or_b32 exec_lo, exec_lo, s61
	s_wait_dscnt 0x0
	s_barrier_signal -1
	s_barrier_wait -1
	s_barrier_signal -1
	s_barrier_wait -1
	s_and_saveexec_b32 s61, s0
; %bb.932:                              ;   in Loop: Header=BB50_3 Depth=1
	ds_store_b64 v77, v[44:45] offset:3616
; %bb.933:                              ;   in Loop: Header=BB50_3 Depth=1
	s_or_b32 exec_lo, exec_lo, s61
	s_wait_dscnt 0x0
	s_barrier_signal -1
	s_barrier_wait -1
	s_barrier_signal -1
	s_barrier_wait -1
	s_and_saveexec_b32 s61, s94
	s_cbranch_execz .LBB50_935
; %bb.934:                              ;   in Loop: Header=BB50_3 Depth=1
	ds_load_b64 v[44:45], v61 offset:3104
	s_wait_dscnt 0x0
	ds_store_b64 v59, v[44:45] offset:2096
	ds_load_b64 v[44:45], v61 offset:3112
	s_wait_dscnt 0x0
	ds_store_b64 v59, v[44:45] offset:2608
.LBB50_935:                             ;   in Loop: Header=BB50_3 Depth=1
	s_or_b32 exec_lo, exec_lo, s61
	s_wait_dscnt 0x0
	s_barrier_signal -1
	s_barrier_wait -1
	s_and_saveexec_b32 s61, s11
	s_cbranch_execz .LBB50_937
; %bb.936:                              ;   in Loop: Header=BB50_3 Depth=1
	ds_load_b64 v[44:45], v5 offset:2592
	v_add_nc_u32_e64 v4, 0x800, 0
	ds_store_b64 v5, v[36:37] offset:2600
	s_wait_dscnt 0x1
	ds_store_2addr_b64 v4, v[36:37], v[44:45] offset0:4 offset1:5
.LBB50_937:                             ;   in Loop: Header=BB50_3 Depth=1
	s_or_b32 exec_lo, exec_lo, s61
	v_mov_b64_e32 v[44:45], 0
	s_wait_dscnt 0x0
	s_barrier_signal -1
	s_barrier_wait -1
	global_wb scope:SCOPE_DEV
	s_wait_storecnt 0x0
	global_inv scope:SCOPE_DEV
	s_and_saveexec_b32 s62, s2
	s_cbranch_execz .LBB50_943
; %bb.938:                              ;   in Loop: Header=BB50_3 Depth=1
	ds_load_b64 v[44:45], v76 offset:2048
	ds_load_b64 v[46:47], v58 offset:3616
	s_wait_dscnt 0x0
	v_dual_mul_f32 v4, v47, v45 :: v_dual_mul_f32 v33, v46, v45
	s_delay_alu instid0(VALU_DEP_1) | instskip(NEXT) | instid1(VALU_DEP_1)
	v_dual_fma_f32 v4, v46, v44, -v4 :: v_dual_fmac_f32 v33, v47, v44
	v_dual_add_f32 v44, 0, v4 :: v_dual_add_f32 v45, 0, v33
	s_and_saveexec_b32 s61, s16
	s_cbranch_execnz .LBB50_1110
; %bb.939:                              ;   in Loop: Header=BB50_3 Depth=1
	s_or_b32 exec_lo, exec_lo, s61
	s_and_saveexec_b32 s61, s17
	s_cbranch_execnz .LBB50_1111
.LBB50_940:                             ;   in Loop: Header=BB50_3 Depth=1
	s_or_b32 exec_lo, exec_lo, s61
	s_and_saveexec_b32 s61, s0
	s_cbranch_execz .LBB50_942
.LBB50_941:                             ;   in Loop: Header=BB50_3 Depth=1
	ds_load_b64 v[46:47], v65 offset:3584
	ds_load_b64 v[48:49], v5 offset:3640
	s_wait_dscnt 0x0
	v_pk_mul_f32 v[98:99], v[48:49], v[46:47] op_sel:[1,1] op_sel_hi:[0,1]
	s_delay_alu instid0(VALU_DEP_1) | instskip(SKIP_1) | instid1(VALU_DEP_2)
	v_pk_fma_f32 v[100:101], v[48:49], v[46:47], v[98:99] op_sel_hi:[1,0,1]
	v_pk_fma_f32 v[46:47], v[48:49], v[46:47], v[98:99] neg_lo:[0,0,1] neg_hi:[0,0,1]
	v_mov_b32_e32 v47, v101
	s_delay_alu instid0(VALU_DEP_1)
	v_pk_add_f32 v[44:45], v[44:45], v[46:47]
.LBB50_942:                             ;   in Loop: Header=BB50_3 Depth=1
	s_or_b32 exec_lo, exec_lo, s61
.LBB50_943:                             ;   in Loop: Header=BB50_3 Depth=1
	s_delay_alu instid0(SALU_CYCLE_1)
	s_or_b32 exec_lo, exec_lo, s62
	s_and_saveexec_b32 s61, s95
; %bb.944:                              ;   in Loop: Header=BB50_3 Depth=1
	s_delay_alu instid0(VALU_DEP_1)
	v_pk_add_f32 v[46:47], v[44:45], 0 neg_lo:[1,1] neg_hi:[1,1]
	ds_store_b64 v79, v[46:47]
; %bb.945:                              ;   in Loop: Header=BB50_3 Depth=1
	s_or_b32 exec_lo, exec_lo, s61
	s_wait_loadcnt_dscnt 0x0
	s_barrier_signal -1
	s_barrier_wait -1
	s_and_saveexec_b32 s61, s96
	s_cbranch_execz .LBB50_947
; %bb.946:                              ;   in Loop: Header=BB50_3 Depth=1
	ds_load_b64 v[46:47], v76 offset:1536
	ds_load_b64 v[48:49], v79
	s_wait_dscnt 0x0
	v_pk_mul_f32 v[98:99], v[48:49], v[46:47] op_sel:[1,1] op_sel_hi:[0,1]
	s_delay_alu instid0(VALU_DEP_1) | instskip(SKIP_1) | instid1(VALU_DEP_2)
	v_pk_fma_f32 v[100:101], v[48:49], v[46:47], v[98:99] op_sel_hi:[1,0,1]
	v_pk_fma_f32 v[46:47], v[48:49], v[46:47], v[98:99] neg_lo:[0,0,1] neg_hi:[0,0,1]
	v_mov_b32_e32 v47, v101
	s_delay_alu instid0(VALU_DEP_1)
	v_pk_add_f32 v[44:45], v[44:45], v[46:47] neg_lo:[0,1] neg_hi:[0,1]
.LBB50_947:                             ;   in Loop: Header=BB50_3 Depth=1
	s_or_b32 exec_lo, exec_lo, s61
	s_barrier_signal -1
	s_barrier_wait -1
	s_and_saveexec_b32 s61, s97
; %bb.948:                              ;   in Loop: Header=BB50_3 Depth=1
	v_pk_add_f32 v[46:47], v[44:45], 0 neg_lo:[1,1] neg_hi:[1,1]
	ds_store_b64 v79, v[46:47]
; %bb.949:                              ;   in Loop: Header=BB50_3 Depth=1
	s_or_b32 exec_lo, exec_lo, s61
	s_wait_dscnt 0x0
	s_barrier_signal -1
	s_barrier_wait -1
	s_and_saveexec_b32 s61, s98
	s_cbranch_execz .LBB50_951
; %bb.950:                              ;   in Loop: Header=BB50_3 Depth=1
	ds_load_b64 v[46:47], v76 offset:1024
	ds_load_b64 v[48:49], v79
	s_wait_dscnt 0x0
	v_pk_mul_f32 v[98:99], v[48:49], v[46:47] op_sel:[1,1] op_sel_hi:[0,1]
	s_delay_alu instid0(VALU_DEP_1) | instskip(SKIP_1) | instid1(VALU_DEP_2)
	v_pk_fma_f32 v[100:101], v[48:49], v[46:47], v[98:99] op_sel_hi:[1,0,1]
	v_pk_fma_f32 v[46:47], v[48:49], v[46:47], v[98:99] neg_lo:[0,0,1] neg_hi:[0,0,1]
	v_mov_b32_e32 v47, v101
	s_delay_alu instid0(VALU_DEP_1)
	v_pk_add_f32 v[44:45], v[44:45], v[46:47] neg_lo:[0,1] neg_hi:[0,1]
.LBB50_951:                             ;   in Loop: Header=BB50_3 Depth=1
	s_or_b32 exec_lo, exec_lo, s61
	s_barrier_signal -1
	s_barrier_wait -1
	s_and_saveexec_b32 s61, s99
; %bb.952:                              ;   in Loop: Header=BB50_3 Depth=1
	v_pk_add_f32 v[46:47], v[44:45], 0 neg_lo:[1,1] neg_hi:[1,1]
	ds_store_b64 v79, v[46:47]
; %bb.953:                              ;   in Loop: Header=BB50_3 Depth=1
	s_or_b32 exec_lo, exec_lo, s61
	s_wait_dscnt 0x0
	;; [unrolled: 26-line block ×3, first 2 shown]
	s_barrier_signal -1
	s_barrier_wait -1
	s_barrier_signal -1
	s_barrier_wait -1
	s_and_saveexec_b32 s61, s2
; %bb.958:                              ;   in Loop: Header=BB50_3 Depth=1
	ds_store_b64 v81, v[44:45] offset:3584
; %bb.959:                              ;   in Loop: Header=BB50_3 Depth=1
	s_or_b32 exec_lo, exec_lo, s61
	s_wait_dscnt 0x0
	s_barrier_signal -1
	s_barrier_wait -1
	s_barrier_signal -1
	s_barrier_wait -1
	s_and_saveexec_b32 s61, s101
	s_cbranch_execz .LBB50_961
; %bb.960:                              ;   in Loop: Header=BB50_3 Depth=1
	ds_load_b64 v[44:45], v67 offset:2048
	s_wait_dscnt 0x0
	ds_store_b64 v68, v[44:45] offset:32
	ds_load_b64 v[44:45], v67 offset:2056
	s_wait_dscnt 0x0
	ds_store_b64 v68, v[44:45] offset:544
	;; [unrolled: 3-line block ×4, first 2 shown]
.LBB50_961:                             ;   in Loop: Header=BB50_3 Depth=1
	s_or_b32 exec_lo, exec_lo, s61
	s_wait_dscnt 0x0
	s_barrier_signal -1
	s_barrier_wait -1
	s_and_saveexec_b32 s61, s11
	s_cbranch_execz .LBB50_963
; %bb.962:                              ;   in Loop: Header=BB50_3 Depth=1
	ds_load_b64 v[44:45], v5 offset:1552
	ds_store_b64 v5, v[36:37] offset:1560
	s_wait_dscnt 0x1
	ds_store_2addr_b64 v5, v[36:37], v[44:45] offset0:130 offset1:131
.LBB50_963:                             ;   in Loop: Header=BB50_3 Depth=1
	s_or_b32 exec_lo, exec_lo, s61
	v_dual_mov_b32 v44, 0 :: v_dual_mov_b32 v45, 0
	s_wait_dscnt 0x0
	s_barrier_signal -1
	s_barrier_wait -1
	global_wb scope:SCOPE_DEV
	s_wait_storecnt 0x0
	global_inv scope:SCOPE_DEV
	s_and_saveexec_b32 s62, s0
	s_cbranch_execz .LBB50_967
; %bb.964:                              ;   in Loop: Header=BB50_3 Depth=1
	ds_load_b64 v[44:45], v74 offset:1024
	ds_load_b64 v[46:47], v56 offset:1552
	s_wait_dscnt 0x0
	v_pk_mul_f32 v[48:49], v[46:47], v[44:45] op_sel:[1,1] op_sel_hi:[0,1]
	s_delay_alu instid0(VALU_DEP_1) | instskip(SKIP_1) | instid1(VALU_DEP_2)
	v_pk_fma_f32 v[98:99], v[46:47], v[44:45], v[48:49] op_sel_hi:[1,0,1]
	v_pk_fma_f32 v[44:45], v[46:47], v[44:45], v[48:49] neg_lo:[0,0,1] neg_hi:[0,0,1]
	v_mov_b32_e32 v45, v99
	s_delay_alu instid0(VALU_DEP_1)
	v_pk_add_f32 v[44:45], v[44:45], 0 op_sel_hi:[1,0]
	s_and_saveexec_b32 s61, s15
	s_cbranch_execz .LBB50_966
; %bb.965:                              ;   in Loop: Header=BB50_3 Depth=1
	ds_load_b64 v[46:47], v68 offset:1536
	ds_load_b64 v[48:49], v5 offset:1560
	s_wait_dscnt 0x0
	v_pk_mul_f32 v[98:99], v[48:49], v[46:47] op_sel:[1,1] op_sel_hi:[0,1]
	s_delay_alu instid0(VALU_DEP_1) | instskip(SKIP_1) | instid1(VALU_DEP_2)
	v_pk_fma_f32 v[100:101], v[48:49], v[46:47], v[98:99] op_sel_hi:[1,0,1]
	v_pk_fma_f32 v[46:47], v[48:49], v[46:47], v[98:99] neg_lo:[0,0,1] neg_hi:[0,0,1]
	v_mov_b32_e32 v47, v101
	s_delay_alu instid0(VALU_DEP_1)
	v_pk_add_f32 v[44:45], v[44:45], v[46:47]
.LBB50_966:                             ;   in Loop: Header=BB50_3 Depth=1
	s_or_b32 exec_lo, exec_lo, s61
.LBB50_967:                             ;   in Loop: Header=BB50_3 Depth=1
	s_delay_alu instid0(SALU_CYCLE_1)
	s_or_b32 exec_lo, exec_lo, s62
	s_and_saveexec_b32 s61, s92
; %bb.968:                              ;   in Loop: Header=BB50_3 Depth=1
	s_delay_alu instid0(VALU_DEP_1)
	v_pk_add_f32 v[46:47], v[44:45], 0 neg_lo:[1,1] neg_hi:[1,1]
	ds_store_b64 v75, v[46:47]
; %bb.969:                              ;   in Loop: Header=BB50_3 Depth=1
	s_or_b32 exec_lo, exec_lo, s61
	s_wait_loadcnt_dscnt 0x0
	s_barrier_signal -1
	s_barrier_wait -1
	s_and_saveexec_b32 s61, s93
	s_cbranch_execz .LBB50_971
; %bb.970:                              ;   in Loop: Header=BB50_3 Depth=1
	ds_load_b64 v[46:47], v5 offset:512
	ds_load_b64 v[48:49], v75
	s_wait_dscnt 0x0
	v_pk_mul_f32 v[98:99], v[48:49], v[46:47] op_sel_hi:[1,0]
	s_delay_alu instid0(VALU_DEP_1) | instskip(SKIP_1) | instid1(VALU_DEP_2)
	v_pk_fma_f32 v[100:101], v[48:49], v[46:47], v[98:99] op_sel:[1,1,0] op_sel_hi:[0,1,1]
	v_pk_fma_f32 v[46:47], v[48:49], v[46:47], v[98:99] op_sel:[1,1,0] op_sel_hi:[0,1,1] neg_lo:[0,0,1] neg_hi:[0,0,1]
	v_pk_add_f32 v[48:49], v[44:45], v[100:101] neg_lo:[0,1] neg_hi:[0,1]
	s_delay_alu instid0(VALU_DEP_2) | instskip(NEXT) | instid1(VALU_DEP_2)
	v_pk_add_f32 v[44:45], v[44:45], v[46:47]
	v_mov_b32_e32 v45, v49
.LBB50_971:                             ;   in Loop: Header=BB50_3 Depth=1
	s_or_b32 exec_lo, exec_lo, s61
	s_barrier_signal -1
	s_barrier_wait -1
	s_and_saveexec_b32 s61, s93
; %bb.972:                              ;   in Loop: Header=BB50_3 Depth=1
	v_pk_add_f32 v[46:47], v[44:45], 0 neg_lo:[1,1] neg_hi:[1,1]
	ds_store_b64 v75, v[46:47]
; %bb.973:                              ;   in Loop: Header=BB50_3 Depth=1
	s_or_b32 exec_lo, exec_lo, s61
	s_wait_dscnt 0x0
	s_barrier_signal -1
	s_barrier_wait -1
	s_barrier_signal -1
	s_barrier_wait -1
	s_and_saveexec_b32 s61, s0
; %bb.974:                              ;   in Loop: Header=BB50_3 Depth=1
	ds_store_b64 v77, v[44:45] offset:1536
; %bb.975:                              ;   in Loop: Header=BB50_3 Depth=1
	s_or_b32 exec_lo, exec_lo, s61
	s_wait_dscnt 0x0
	s_barrier_signal -1
	s_barrier_wait -1
	s_barrier_signal -1
	s_barrier_wait -1
	s_and_saveexec_b32 s61, s94
	s_cbranch_execz .LBB50_977
; %bb.976:                              ;   in Loop: Header=BB50_3 Depth=1
	ds_load_b64 v[44:45], v69 offset:1024
	s_wait_dscnt 0x0
	ds_store_b64 v68, v[44:45] offset:16
	ds_load_b64 v[44:45], v69 offset:1032
	s_wait_dscnt 0x0
	ds_store_b64 v68, v[44:45] offset:528
.LBB50_977:                             ;   in Loop: Header=BB50_3 Depth=1
	s_or_b32 exec_lo, exec_lo, s61
	s_wait_dscnt 0x0
	s_barrier_signal -1
	s_barrier_wait -1
	s_and_saveexec_b32 s61, s11
	s_cbranch_execz .LBB50_979
; %bb.978:                              ;   in Loop: Header=BB50_3 Depth=1
	ds_load_b64 v[44:45], v5 offset:512
	ds_store_b64 v5, v[36:37] offset:520
	s_wait_dscnt 0x1
	ds_store_2addr_b64 v5, v[36:37], v[44:45] offset1:1
.LBB50_979:                             ;   in Loop: Header=BB50_3 Depth=1
	s_or_b32 exec_lo, exec_lo, s61
.LBB50_980:                             ;   in Loop: Header=BB50_3 Depth=1
	v_mov_b64_e32 v[44:45], 0
	s_mul_u64 s[62:63], s[76:77], s[80:81]
	s_wait_dscnt 0x0
	s_lshl_b64 s[62:63], s[62:63], 3
	s_barrier_signal -1
	s_add_nc_u64 s[82:83], s[70:71], s[62:63]
	s_barrier_wait -1
	s_and_saveexec_b32 s61, s59
	s_cbranch_execz .LBB50_982
; %bb.981:                              ;   in Loop: Header=BB50_3 Depth=1
	v_lshl_add_u64 v[44:45], v[14:15], 3, s[82:83]
	global_load_b64 v[44:45], v[44:45], off
	s_wait_loadcnt 0x0
	v_pk_mul_f32 v[46:47], v[42:43], v[44:45] op_sel:[1,0] neg_lo:[1,0]
	s_delay_alu instid0(VALU_DEP_1)
	v_pk_fma_f32 v[44:45], v[42:43], v[44:45], v[46:47] op_sel:[0,0,1] op_sel_hi:[0,1,0] neg_lo:[1,0,0] neg_hi:[1,0,0]
.LBB50_982:                             ;   in Loop: Header=BB50_3 Depth=1
	s_or_b32 exec_lo, exec_lo, s61
	s_delay_alu instid0(SALU_CYCLE_1)
	s_and_not1_b32 vcc_lo, exec_lo, s23
	s_cbranch_vccnz .LBB50_1001
; %bb.983:                              ;   in Loop: Header=BB50_3 Depth=1
	v_mov_b32_e32 v33, -1
	s_lshl_b64 s[62:63], s[80:81], 2
	s_delay_alu instid0(SALU_CYCLE_1)
	s_add_nc_u64 s[84:85], s[78:79], s[62:63]
	s_mov_b32 s63, 0
	s_branch .LBB50_985
.LBB50_984:                             ;   in Loop: Header=BB50_985 Depth=2
	s_or_b32 exec_lo, exec_lo, s61
	s_add_co_i32 s63, s63, 1
	s_delay_alu instid0(SALU_CYCLE_1)
	s_cmp_eq_u32 s63, s88
	s_cbranch_scc1 .LBB50_1001
.LBB50_985:                             ;   Parent Loop BB50_3 Depth=1
                                        ; =>  This Loop Header: Depth=2
                                        ;       Child Loop BB50_987 Depth 3
	v_cmp_gt_i32_e32 vcc_lo, s63, v33
	s_and_b32 s62, s36, vcc_lo
	s_delay_alu instid0(SALU_CYCLE_1)
	s_and_saveexec_b32 s61, s62
	s_cbranch_execz .LBB50_988
; %bb.986:                              ;   in Loop: Header=BB50_985 Depth=2
	global_load_b32 v33, v5, s[84:85]
	s_wait_loadcnt 0x0
	v_cmp_le_i32_e32 vcc_lo, s63, v33
	s_cbranch_vccnz .LBB50_988
.LBB50_987:                             ;   Parent Loop BB50_3 Depth=1
                                        ;     Parent Loop BB50_985 Depth=2
                                        ; =>    This Inner Loop Header: Depth=3
	global_wb scope:SCOPE_DEV
	s_wait_storecnt 0x0
	global_inv scope:SCOPE_DEV
	global_load_b32 v33, v5, s[84:85]
	s_wait_loadcnt 0x0
	v_cmp_gt_i32_e32 vcc_lo, s63, v33
	s_cbranch_vccnz .LBB50_987
.LBB50_988:                             ;   in Loop: Header=BB50_985 Depth=2
	s_or_b32 exec_lo, exec_lo, s61
	s_lshl_b32 s62, s63, 6
	global_wb scope:SCOPE_DEV
	s_wait_storecnt 0x0
	global_inv scope:SCOPE_DEV
	s_wait_loadcnt 0x0
	s_barrier_signal -1
	s_barrier_wait -1
	s_and_saveexec_b32 s61, s37
	s_cbranch_execz .LBB50_993
; %bb.989:                              ;   in Loop: Header=BB50_985 Depth=2
	v_or_b32_e32 v4, s62, v8
	s_delay_alu instid0(VALU_DEP_1) | instskip(SKIP_1) | instid1(SALU_CYCLE_1)
	v_cmp_le_i32_e32 vcc_lo, s87, v4
	s_and_saveexec_b32 s10, vcc_lo
	s_xor_b32 vcc_lo, exec_lo, s10
; %bb.990:                              ;   in Loop: Header=BB50_985 Depth=2
	ds_store_b64 v72, v[34:35]
; %bb.991:                              ;   in Loop: Header=BB50_985 Depth=2
	s_and_not1_saveexec_b32 s10, vcc_lo
	s_cbranch_execz .LBB50_993
; %bb.992:                              ;   in Loop: Header=BB50_985 Depth=2
	v_mul_u64_e32 v[42:43], s[74:75], v[4:5]
	s_delay_alu instid0(VALU_DEP_1)
	v_lshl_add_u64 v[42:43], v[42:43], 3, s[82:83]
	global_load_b64 v[42:43], v[42:43], off
	s_wait_loadcnt 0x0
	ds_store_b64 v72, v[42:43]
.LBB50_993:                             ;   in Loop: Header=BB50_985 Depth=2
	s_or_b32 exec_lo, exec_lo, s61
	v_add_nc_u32_e32 v4, s62, v2
	s_wait_dscnt 0x0
	v_cmp_eq_u32_e32 vcc_lo, s63, v7
	s_barrier_signal -1
	s_barrier_wait -1
	v_cmp_gt_i32_e64 s62, s87, v4
	v_lshl_add_u64 v[42:43], v[4:5], 3, v[40:41]
	s_and_b32 s10, s62, s5
	s_delay_alu instid0(SALU_CYCLE_1)
	s_and_saveexec_b32 s61, s10
	s_cbranch_execz .LBB50_995
; %bb.994:                              ;   in Loop: Header=BB50_985 Depth=2
	s_delay_alu instid0(VALU_DEP_1) | instskip(SKIP_4) | instid1(VALU_DEP_1)
	v_dual_cndmask_b32 v47, v43, v17 :: v_dual_cndmask_b32 v46, v42, v16
	ds_load_b64 v[48:49], v70
	flat_load_b64 v[46:47], v[46:47]
	s_wait_loadcnt_dscnt 0x0
	v_dual_mul_f32 v98, v49, v47 :: v_dual_mul_f32 v47, v48, v47
	v_dual_fma_f32 v48, v48, v46, -v98 :: v_dual_fmac_f32 v47, v49, v46
	s_delay_alu instid0(VALU_DEP_1)
	v_dual_add_f32 v44, v44, v48 :: v_dual_add_f32 v45, v45, v47
.LBB50_995:                             ;   in Loop: Header=BB50_985 Depth=2
	s_or_b32 exec_lo, exec_lo, s61
	v_add_nc_u32_e32 v46, 16, v4
	s_delay_alu instid0(VALU_DEP_1) | instskip(SKIP_1) | instid1(SALU_CYCLE_1)
	v_cmp_gt_i32_e64 s62, s87, v46
	s_and_b32 s10, s62, s5
	s_and_saveexec_b32 s61, s10
	s_cbranch_execz .LBB50_997
; %bb.996:                              ;   in Loop: Header=BB50_985 Depth=2
	v_add_nc_u64_e32 v[46:47], 0x80, v[42:43]
	ds_load_b64 v[48:49], v70 offset:128
	v_dual_cndmask_b32 v47, v47, v19 :: v_dual_cndmask_b32 v46, v46, v18
	flat_load_b64 v[46:47], v[46:47]
	s_wait_loadcnt_dscnt 0x0
	v_dual_mul_f32 v98, v49, v47 :: v_dual_mul_f32 v47, v48, v47
	s_delay_alu instid0(VALU_DEP_1) | instskip(NEXT) | instid1(VALU_DEP_1)
	v_dual_fma_f32 v48, v48, v46, -v98 :: v_dual_fmac_f32 v47, v49, v46
	v_dual_add_f32 v44, v44, v48 :: v_dual_add_f32 v45, v45, v47
.LBB50_997:                             ;   in Loop: Header=BB50_985 Depth=2
	s_or_b32 exec_lo, exec_lo, s61
	v_add_nc_u32_e32 v46, 32, v4
	s_delay_alu instid0(VALU_DEP_1) | instskip(SKIP_1) | instid1(SALU_CYCLE_1)
	v_cmp_gt_i32_e64 s62, s87, v46
	s_and_b32 s10, s62, s5
	s_and_saveexec_b32 s61, s10
	s_cbranch_execz .LBB50_999
; %bb.998:                              ;   in Loop: Header=BB50_985 Depth=2
	v_add_nc_u64_e32 v[46:47], 0x100, v[42:43]
	ds_load_b64 v[48:49], v70 offset:256
	v_dual_cndmask_b32 v47, v47, v25 :: v_dual_cndmask_b32 v46, v46, v24
	flat_load_b64 v[46:47], v[46:47]
	s_wait_loadcnt_dscnt 0x0
	v_dual_mul_f32 v98, v49, v47 :: v_dual_mul_f32 v99, v48, v47
	s_delay_alu instid0(VALU_DEP_1) | instskip(NEXT) | instid1(VALU_DEP_1)
	v_dual_fma_f32 v98, v48, v46, -v98 :: v_dual_fmac_f32 v99, v49, v46
	v_pk_add_f32 v[44:45], v[44:45], v[98:99]
.LBB50_999:                             ;   in Loop: Header=BB50_985 Depth=2
	s_or_b32 exec_lo, exec_lo, s61
	v_add_nc_u32_e32 v4, 48, v4
	s_delay_alu instid0(VALU_DEP_1) | instskip(SKIP_1) | instid1(SALU_CYCLE_1)
	v_cmp_gt_i32_e64 s62, s87, v4
	s_and_b32 s10, s62, s5
	s_and_saveexec_b32 s61, s10
	s_cbranch_execz .LBB50_984
; %bb.1000:                             ;   in Loop: Header=BB50_985 Depth=2
	v_add_nc_u64_e32 v[42:43], 0x180, v[42:43]
	ds_load_b64 v[46:47], v70 offset:384
	v_dual_cndmask_b32 v43, v43, v39 :: v_dual_cndmask_b32 v42, v42, v38
	flat_load_b64 v[42:43], v[42:43]
	s_wait_loadcnt_dscnt 0x0
	v_pk_mul_f32 v[48:49], v[46:47], v[42:43] op_sel:[1,1] op_sel_hi:[0,1]
	s_delay_alu instid0(VALU_DEP_1) | instskip(SKIP_1) | instid1(VALU_DEP_2)
	v_pk_fma_f32 v[98:99], v[46:47], v[42:43], v[48:49] op_sel_hi:[1,0,1]
	v_pk_fma_f32 v[42:43], v[46:47], v[42:43], v[48:49] neg_lo:[0,0,1] neg_hi:[0,0,1]
	v_mov_b32_e32 v43, v99
	s_delay_alu instid0(VALU_DEP_1)
	v_pk_add_f32 v[44:45], v[44:45], v[42:43]
	s_branch .LBB50_984
.LBB50_1001:                            ;   in Loop: Header=BB50_3 Depth=1
	ds_store_b64 v73, v[44:45]
	s_wait_dscnt 0x0
	s_barrier_signal -1
	s_barrier_wait -1
	s_and_saveexec_b32 s62, s1
	s_cbranch_execz .LBB50_1003
; %bb.1002:                             ;   in Loop: Header=BB50_3 Depth=1
	ds_load_2addr_stride64_b64 v[40:43], v91 offset0:1 offset1:2
	ds_load_2addr_stride64_b64 v[46:49], v91 offset0:3 offset1:4
	;; [unrolled: 1-line block ×3, first 2 shown]
	s_wait_dscnt 0x2
	v_pk_add_f32 v[40:41], v[44:45], v[40:41]
	s_delay_alu instid0(VALU_DEP_1) | instskip(SKIP_3) | instid1(VALU_DEP_1)
	v_pk_add_f32 v[44:45], v[40:41], v[42:43]
	ds_load_2addr_stride64_b64 v[40:43], v91 offset0:7 offset1:8
	s_wait_dscnt 0x2
	v_pk_add_f32 v[44:45], v[44:45], v[46:47]
	v_pk_add_f32 v[48:49], v[44:45], v[48:49]
	ds_load_2addr_stride64_b64 v[44:47], v91 offset0:9 offset1:10
	s_wait_dscnt 0x2
	v_pk_add_f32 v[48:49], v[48:49], v[98:99]
	s_delay_alu instid0(VALU_DEP_1) | instskip(SKIP_3) | instid1(VALU_DEP_1)
	v_pk_add_f32 v[48:49], v[48:49], v[100:101]
	ds_load_2addr_stride64_b64 v[98:101], v91 offset0:11 offset1:12
	s_wait_dscnt 0x2
	v_pk_add_f32 v[40:41], v[48:49], v[40:41]
	v_pk_add_f32 v[48:49], v[40:41], v[42:43]
	ds_load_2addr_stride64_b64 v[40:43], v91 offset0:13 offset1:14
	s_wait_dscnt 0x2
	v_pk_add_f32 v[44:45], v[48:49], v[44:45]
	s_delay_alu instid0(VALU_DEP_1) | instskip(SKIP_3) | instid1(VALU_DEP_1)
	v_pk_add_f32 v[44:45], v[44:45], v[46:47]
	ds_load_b64 v[46:47], v91 offset:7680
	s_wait_dscnt 0x2
	v_pk_add_f32 v[44:45], v[44:45], v[98:99]
	v_pk_add_f32 v[44:45], v[44:45], v[100:101]
	s_wait_dscnt 0x1
	s_delay_alu instid0(VALU_DEP_1) | instskip(NEXT) | instid1(VALU_DEP_1)
	v_pk_add_f32 v[40:41], v[44:45], v[40:41]
	v_pk_add_f32 v[40:41], v[40:41], v[42:43]
	s_wait_dscnt 0x0
	s_delay_alu instid0(VALU_DEP_1) | instskip(NEXT) | instid1(VALU_DEP_1)
	v_pk_add_f32 v[40:41], v[40:41], v[46:47]
	v_cndmask_b32_e64 v45, -v41, 0, s57
	s_delay_alu instid0(VALU_DEP_2)
	v_cndmask_b32_e64 v44, -v40, 0, s57
.LBB50_1003:                            ;   in Loop: Header=BB50_3 Depth=1
	s_or_b32 exec_lo, exec_lo, s62
	s_delay_alu instid0(SALU_CYCLE_1)
	s_and_not1_b32 vcc_lo, exec_lo, s91
	s_cbranch_vccnz .LBB50_1013
; %bb.1004:                             ;   in Loop: Header=BB50_3 Depth=1
	s_and_saveexec_b32 s61, s1
; %bb.1005:                             ;   in Loop: Header=BB50_3 Depth=1
	ds_store_b64 v94, v[44:45]
; %bb.1006:                             ;   in Loop: Header=BB50_3 Depth=1
	s_or_b32 exec_lo, exec_lo, s61
	v_mov_b64_e32 v[40:41], 0
	s_wait_dscnt 0x0
	s_barrier_signal -1
	s_barrier_wait -1
	s_and_saveexec_b32 s61, s6
	s_cbranch_execnz .LBB50_1052
; %bb.1007:                             ;   in Loop: Header=BB50_3 Depth=1
	s_or_b32 exec_lo, exec_lo, s61
	s_and_saveexec_b32 s61, s7
	s_cbranch_execnz .LBB50_1053
.LBB50_1008:                            ;   in Loop: Header=BB50_3 Depth=1
	s_or_b32 exec_lo, exec_lo, s61
	s_and_saveexec_b32 s61, s8
	s_cbranch_execnz .LBB50_1054
.LBB50_1009:                            ;   in Loop: Header=BB50_3 Depth=1
	s_or_b32 exec_lo, exec_lo, s61
	s_and_saveexec_b32 s61, s9
	s_cbranch_execz .LBB50_1011
.LBB50_1010:                            ;   in Loop: Header=BB50_3 Depth=1
	ds_load_b64 v[42:43], v93 offset:24576
	ds_load_b64 v[46:47], v70 offset:384
	s_wait_dscnt 0x0
	v_pk_mul_f32 v[48:49], v[46:47], v[42:43] op_sel:[1,1] op_sel_hi:[0,1]
	s_delay_alu instid0(VALU_DEP_1) | instskip(SKIP_1) | instid1(VALU_DEP_2)
	v_pk_fma_f32 v[98:99], v[46:47], v[42:43], v[48:49] op_sel_hi:[1,0,1]
	v_pk_fma_f32 v[42:43], v[46:47], v[42:43], v[48:49] neg_lo:[0,0,1] neg_hi:[0,0,1]
	v_mov_b32_e32 v43, v99
	s_delay_alu instid0(VALU_DEP_1)
	v_pk_add_f32 v[40:41], v[40:41], v[42:43]
.LBB50_1011:                            ;   in Loop: Header=BB50_3 Depth=1
	s_or_b32 exec_lo, exec_lo, s61
	s_mov_b32 s63, 0
	s_mov_b32 s62, 0
	ds_store_b64 v73, v[40:41]
	s_wait_dscnt 0x0
	s_barrier_signal -1
	s_barrier_wait -1
                                        ; implicit-def: $vgpr42_vgpr43
	s_and_saveexec_b32 s84, s1
	s_cbranch_execz .LBB50_1055
; %bb.1012:                             ;   in Loop: Header=BB50_3 Depth=1
	ds_load_2addr_stride64_b64 v[46:49], v91 offset0:1 offset1:2
	ds_load_2addr_stride64_b64 v[98:101], v91 offset0:3 offset1:4
	ds_load_2addr_stride64_b64 v[102:105], v91 offset0:5 offset1:6
	s_mov_b32 s62, exec_lo
	s_wait_dscnt 0x2
	v_pk_add_f32 v[40:41], v[40:41], v[46:47]
	s_delay_alu instid0(VALU_DEP_1) | instskip(SKIP_3) | instid1(VALU_DEP_1)
	v_pk_add_f32 v[46:47], v[40:41], v[48:49]
	ds_load_2addr_stride64_b64 v[40:43], v91 offset0:7 offset1:8
	s_wait_dscnt 0x2
	v_pk_add_f32 v[46:47], v[46:47], v[98:99]
	v_pk_add_f32 v[98:99], v[46:47], v[100:101]
	ds_load_2addr_stride64_b64 v[46:49], v91 offset0:9 offset1:10
	s_wait_dscnt 0x2
	v_pk_add_f32 v[98:99], v[98:99], v[102:103]
	s_delay_alu instid0(VALU_DEP_1) | instskip(SKIP_3) | instid1(VALU_DEP_1)
	v_pk_add_f32 v[102:103], v[98:99], v[104:105]
	ds_load_2addr_stride64_b64 v[98:101], v91 offset0:11 offset1:12
	s_wait_dscnt 0x2
	v_pk_add_f32 v[40:41], v[102:103], v[40:41]
	v_pk_add_f32 v[40:41], v[40:41], v[42:43]
	s_wait_dscnt 0x1
	s_delay_alu instid0(VALU_DEP_1)
	v_pk_add_f32 v[46:47], v[40:41], v[46:47]
	ds_load_2addr_stride64_b64 v[40:43], v91 offset0:13 offset1:14
	v_pk_add_f32 v[46:47], v[46:47], v[48:49]
	ds_load_b64 v[48:49], v91 offset:7680
	s_wait_dscnt 0x2
	v_pk_add_f32 v[46:47], v[46:47], v[98:99]
	s_delay_alu instid0(VALU_DEP_1) | instskip(SKIP_1) | instid1(VALU_DEP_1)
	v_pk_add_f32 v[46:47], v[46:47], v[100:101]
	s_wait_dscnt 0x1
	v_pk_add_f32 v[40:41], v[46:47], v[40:41]
	s_delay_alu instid0(VALU_DEP_1) | instskip(SKIP_1) | instid1(VALU_DEP_1)
	v_pk_add_f32 v[40:41], v[40:41], v[42:43]
	s_wait_dscnt 0x0
	v_pk_add_f32 v[42:43], v[40:41], v[48:49]
	s_or_b32 exec_lo, exec_lo, s84
	s_delay_alu instid0(SALU_CYCLE_1)
	s_and_b32 vcc_lo, exec_lo, s63
	s_cbranch_vccnz .LBB50_1014
	s_branch .LBB50_1056
.LBB50_1013:                            ;   in Loop: Header=BB50_3 Depth=1
	s_mov_b32 s62, 0
                                        ; implicit-def: $vgpr42_vgpr43
	s_cbranch_execz .LBB50_1056
.LBB50_1014:                            ;   in Loop: Header=BB50_3 Depth=1
	v_dual_mov_b32 v4, v6 :: v_dual_mov_b32 v33, v96
	s_mov_b32 s63, 0
	s_branch .LBB50_1016
.LBB50_1015:                            ;   in Loop: Header=BB50_1016 Depth=2
	s_or_b32 exec_lo, exec_lo, s61
	v_add_nc_u32_e32 v33, 0x800, v33
	v_add_nc_u32_e32 v4, -4, v4
	s_add_co_i32 s63, s63, 4
	s_delay_alu instid0(SALU_CYCLE_1)
	s_cmp_lg_u32 s63, 64
	s_barrier_signal -1
	s_barrier_wait -1
	s_cbranch_scc0 .LBB50_1032
.LBB50_1016:                            ;   Parent Loop BB50_3 Depth=1
                                        ; =>  This Inner Loop Header: Depth=2
	s_delay_alu instid0(VALU_DEP_1) | instskip(SKIP_1) | instid1(SALU_CYCLE_1)
	v_cmp_eq_u32_e32 vcc_lo, 0, v4
	s_and_b32 s10, s1, vcc_lo
	s_and_saveexec_b32 s61, s10
; %bb.1017:                             ;   in Loop: Header=BB50_1016 Depth=2
	ds_store_b64 v5, v[44:45] offset:41472
; %bb.1018:                             ;   in Loop: Header=BB50_1016 Depth=2
	s_or_b32 exec_lo, exec_lo, s61
	v_cmp_lt_u32_e32 vcc_lo, s63, v6
	s_wait_dscnt 0x0
	s_barrier_signal -1
	s_barrier_wait -1
	s_and_b32 s10, s1, vcc_lo
	s_delay_alu instid0(SALU_CYCLE_1)
	s_and_saveexec_b32 s61, s10
	s_cbranch_execz .LBB50_1020
; %bb.1019:                             ;   in Loop: Header=BB50_1016 Depth=2
	ds_load_b64 v[40:41], v33
	ds_load_b64 v[42:43], v5 offset:41472
	s_wait_dscnt 0x0
	v_pk_mul_f32 v[46:47], v[42:43], v[40:41] op_sel:[1,1] op_sel_hi:[0,1]
	s_delay_alu instid0(VALU_DEP_1) | instskip(SKIP_1) | instid1(VALU_DEP_2)
	v_pk_fma_f32 v[48:49], v[42:43], v[40:41], v[46:47] op_sel_hi:[1,0,1]
	v_pk_fma_f32 v[40:41], v[42:43], v[40:41], v[46:47] neg_lo:[0,0,1] neg_hi:[0,0,1]
	v_mov_b32_e32 v41, v49
	s_delay_alu instid0(VALU_DEP_1)
	v_pk_add_f32 v[44:45], v[44:45], v[40:41]
.LBB50_1020:                            ;   in Loop: Header=BB50_1016 Depth=2
	s_or_b32 exec_lo, exec_lo, s61
	s_or_b32 s61, s63, 1
	s_delay_alu instid0(SALU_CYCLE_1) | instskip(SKIP_3) | instid1(SALU_CYCLE_1)
	v_cmp_eq_u32_e32 vcc_lo, s61, v6
	s_barrier_signal -1
	s_barrier_wait -1
	s_and_b32 s10, s1, vcc_lo
	s_and_saveexec_b32 s84, s10
; %bb.1021:                             ;   in Loop: Header=BB50_1016 Depth=2
	ds_store_b64 v5, v[44:45] offset:41472
; %bb.1022:                             ;   in Loop: Header=BB50_1016 Depth=2
	s_or_b32 exec_lo, exec_lo, s84
	v_cmp_lt_u32_e32 vcc_lo, s61, v6
	s_wait_dscnt 0x0
	s_barrier_signal -1
	s_barrier_wait -1
	s_and_b32 s10, s1, vcc_lo
	s_delay_alu instid0(SALU_CYCLE_1)
	s_and_saveexec_b32 s61, s10
	s_cbranch_execz .LBB50_1024
; %bb.1023:                             ;   in Loop: Header=BB50_1016 Depth=2
	ds_load_b64 v[40:41], v33 offset:512
	ds_load_b64 v[42:43], v5 offset:41472
	s_wait_dscnt 0x0
	v_pk_mul_f32 v[46:47], v[42:43], v[40:41] op_sel:[1,1] op_sel_hi:[0,1]
	s_delay_alu instid0(VALU_DEP_1) | instskip(SKIP_1) | instid1(VALU_DEP_2)
	v_pk_fma_f32 v[48:49], v[42:43], v[40:41], v[46:47] op_sel_hi:[1,0,1]
	v_pk_fma_f32 v[40:41], v[42:43], v[40:41], v[46:47] neg_lo:[0,0,1] neg_hi:[0,0,1]
	v_mov_b32_e32 v41, v49
	s_delay_alu instid0(VALU_DEP_1)
	v_pk_add_f32 v[44:45], v[44:45], v[40:41]
.LBB50_1024:                            ;   in Loop: Header=BB50_1016 Depth=2
	s_or_b32 exec_lo, exec_lo, s61
	s_or_b32 s61, s63, 2
	s_delay_alu instid0(SALU_CYCLE_1) | instskip(SKIP_3) | instid1(SALU_CYCLE_1)
	v_cmp_eq_u32_e32 vcc_lo, s61, v6
	s_barrier_signal -1
	s_barrier_wait -1
	s_and_b32 s10, s1, vcc_lo
	s_and_saveexec_b32 s84, s10
; %bb.1025:                             ;   in Loop: Header=BB50_1016 Depth=2
	ds_store_b64 v5, v[44:45] offset:41472
; %bb.1026:                             ;   in Loop: Header=BB50_1016 Depth=2
	s_or_b32 exec_lo, exec_lo, s84
	v_cmp_lt_u32_e32 vcc_lo, s61, v6
	s_wait_dscnt 0x0
	s_barrier_signal -1
	s_barrier_wait -1
	s_and_b32 s10, s1, vcc_lo
	s_delay_alu instid0(SALU_CYCLE_1)
	s_and_saveexec_b32 s61, s10
	s_cbranch_execz .LBB50_1028
; %bb.1027:                             ;   in Loop: Header=BB50_1016 Depth=2
	ds_load_b64 v[40:41], v33 offset:1024
	ds_load_b64 v[42:43], v5 offset:41472
	s_wait_dscnt 0x0
	v_pk_mul_f32 v[46:47], v[42:43], v[40:41] op_sel:[1,1] op_sel_hi:[0,1]
	s_delay_alu instid0(VALU_DEP_1) | instskip(SKIP_1) | instid1(VALU_DEP_2)
	v_pk_fma_f32 v[48:49], v[42:43], v[40:41], v[46:47] op_sel_hi:[1,0,1]
	v_pk_fma_f32 v[40:41], v[42:43], v[40:41], v[46:47] neg_lo:[0,0,1] neg_hi:[0,0,1]
	v_mov_b32_e32 v41, v49
	s_delay_alu instid0(VALU_DEP_1)
	v_pk_add_f32 v[44:45], v[44:45], v[40:41]
.LBB50_1028:                            ;   in Loop: Header=BB50_1016 Depth=2
	s_or_b32 exec_lo, exec_lo, s61
	s_or_b32 s61, s63, 3
	s_delay_alu instid0(SALU_CYCLE_1) | instskip(SKIP_3) | instid1(SALU_CYCLE_1)
	v_cmp_eq_u32_e32 vcc_lo, s61, v6
	s_barrier_signal -1
	s_barrier_wait -1
	s_and_b32 s10, s1, vcc_lo
	s_and_saveexec_b32 s84, s10
; %bb.1029:                             ;   in Loop: Header=BB50_1016 Depth=2
	ds_store_b64 v5, v[44:45] offset:41472
; %bb.1030:                             ;   in Loop: Header=BB50_1016 Depth=2
	s_or_b32 exec_lo, exec_lo, s84
	v_cmp_lt_u32_e32 vcc_lo, s61, v6
	s_wait_dscnt 0x0
	s_barrier_signal -1
	s_barrier_wait -1
	s_and_b32 s10, s1, vcc_lo
	s_delay_alu instid0(SALU_CYCLE_1)
	s_and_saveexec_b32 s61, s10
	s_cbranch_execz .LBB50_1015
; %bb.1031:                             ;   in Loop: Header=BB50_1016 Depth=2
	ds_load_b64 v[40:41], v33 offset:1536
	ds_load_b64 v[42:43], v5 offset:41472
	s_wait_dscnt 0x0
	v_pk_mul_f32 v[46:47], v[42:43], v[40:41] op_sel:[1,1] op_sel_hi:[0,1]
	s_delay_alu instid0(VALU_DEP_1) | instskip(SKIP_1) | instid1(VALU_DEP_2)
	v_pk_fma_f32 v[48:49], v[42:43], v[40:41], v[46:47] op_sel_hi:[1,0,1]
	v_pk_fma_f32 v[40:41], v[42:43], v[40:41], v[46:47] neg_lo:[0,0,1] neg_hi:[0,0,1]
	v_mov_b32_e32 v41, v49
	s_delay_alu instid0(VALU_DEP_1)
	v_pk_add_f32 v[44:45], v[44:45], v[40:41]
	s_branch .LBB50_1015
.LBB50_1032:                            ;   in Loop: Header=BB50_3 Depth=1
	s_and_b32 vcc_lo, exec_lo, s90
	s_mov_b32 s61, -1
	s_cbranch_vccz .LBB50_1034
; %bb.1033:                             ;   in Loop: Header=BB50_3 Depth=1
	s_and_not1_b32 s10, s62, exec_lo
	s_and_b32 s12, s1, exec_lo
	s_mov_b32 s61, 0
	s_or_b32 s62, s10, s12
.LBB50_1034:                            ;   in Loop: Header=BB50_3 Depth=1
	s_and_not1_b32 vcc_lo, exec_lo, s61
	s_cbranch_vccnz .LBB50_1036
; %bb.1035:                             ;   in Loop: Header=BB50_3 Depth=1
	v_readlane_b32 s12, v107, 13
	s_and_not1_b32 s10, s62, exec_lo
	s_and_b32 s12, s12, exec_lo
	s_delay_alu instid0(SALU_CYCLE_1)
	s_or_b32 s62, s10, s12
.LBB50_1036:                            ;   in Loop: Header=BB50_3 Depth=1
	v_mov_b64_e32 v[40:41], v[0:1]
	s_and_saveexec_b32 s61, s62
	s_cbranch_execnz .LBB50_1057
	s_branch .LBB50_1058
.LBB50_1037:                            ;   in Loop: Header=BB50_3 Depth=1
	v_readlane_b32 s10, v107, 22
	s_and_saveexec_b32 s62, s10
; %bb.1038:                             ;   in Loop: Header=BB50_3 Depth=1
	ds_store_b64 v3, v[34:35]
; %bb.1039:                             ;   in Loop: Header=BB50_3 Depth=1
	s_or_b32 exec_lo, exec_lo, s62
	s_and_not1_saveexec_b32 s61, s61
	s_cbranch_execz .LBB50_18
.LBB50_1040:                            ;   in Loop: Header=BB50_3 Depth=1
	v_lshl_add_u64 v[46:47], v[30:31], 3, v[44:45]
	global_load_b64 v[46:47], v[46:47], off
	s_wait_loadcnt 0x0
	v_pk_add_f32 v[46:47], v[46:47], 0 neg_lo:[1,1] neg_hi:[1,1]
	ds_store_b64 v3, v[46:47]
	s_or_b32 exec_lo, exec_lo, s61
	s_and_saveexec_b32 s61, s7
	s_delay_alu instid0(SALU_CYCLE_1)
	s_xor_b32 s61, exec_lo, s61
	s_cbranch_execz .LBB50_19
.LBB50_1041:                            ;   in Loop: Header=BB50_3 Depth=1
	v_readlane_b32 s10, v107, 23
	s_and_saveexec_b32 s62, s10
; %bb.1042:                             ;   in Loop: Header=BB50_3 Depth=1
	ds_store_b64 v88, v[34:35]
; %bb.1043:                             ;   in Loop: Header=BB50_3 Depth=1
	s_or_b32 exec_lo, exec_lo, s62
	s_and_not1_saveexec_b32 s61, s61
	s_cbranch_execz .LBB50_20
.LBB50_1044:                            ;   in Loop: Header=BB50_3 Depth=1
	v_lshl_add_u64 v[46:47], v[20:21], 3, v[44:45]
	global_load_b64 v[46:47], v[46:47], off
	s_wait_loadcnt 0x0
	v_pk_add_f32 v[46:47], v[46:47], 0 neg_lo:[1,1] neg_hi:[1,1]
	ds_store_b64 v88, v[46:47]
	s_or_b32 exec_lo, exec_lo, s61
	s_and_saveexec_b32 s61, s8
	s_delay_alu instid0(SALU_CYCLE_1)
	s_xor_b32 s61, exec_lo, s61
	s_cbranch_execz .LBB50_21
.LBB50_1045:                            ;   in Loop: Header=BB50_3 Depth=1
	v_readlane_b32 s10, v107, 24
	s_and_saveexec_b32 s62, s10
; %bb.1046:                             ;   in Loop: Header=BB50_3 Depth=1
	ds_store_b64 v89, v[34:35]
; %bb.1047:                             ;   in Loop: Header=BB50_3 Depth=1
	s_or_b32 exec_lo, exec_lo, s62
	s_and_not1_saveexec_b32 s61, s61
	s_cbranch_execz .LBB50_22
.LBB50_1048:                            ;   in Loop: Header=BB50_3 Depth=1
	v_lshl_add_u64 v[46:47], v[22:23], 3, v[44:45]
	global_load_b64 v[46:47], v[46:47], off
	s_wait_loadcnt 0x0
	v_pk_add_f32 v[46:47], v[46:47], 0 neg_lo:[1,1] neg_hi:[1,1]
	ds_store_b64 v89, v[46:47]
	s_or_b32 exec_lo, exec_lo, s61
	s_and_saveexec_b32 s61, s9
	s_delay_alu instid0(SALU_CYCLE_1)
	s_xor_b32 s61, exec_lo, s61
	s_cbranch_execz .LBB50_23
.LBB50_1049:                            ;   in Loop: Header=BB50_3 Depth=1
	v_readlane_b32 s10, v106, 2
	s_and_saveexec_b32 s62, s10
; %bb.1050:                             ;   in Loop: Header=BB50_3 Depth=1
	ds_store_b64 v90, v[34:35]
; %bb.1051:                             ;   in Loop: Header=BB50_3 Depth=1
	s_or_b32 exec_lo, exec_lo, s62
	s_and_not1_saveexec_b32 s61, s61
	s_cbranch_execnz .LBB50_24
	s_branch .LBB50_25
.LBB50_1052:                            ;   in Loop: Header=BB50_3 Depth=1
	ds_load_b64 v[40:41], v93
	ds_load_b64 v[42:43], v70
	s_wait_dscnt 0x0
	v_dual_mul_f32 v4, v43, v41 :: v_dual_mul_f32 v33, v42, v41
	s_delay_alu instid0(VALU_DEP_1) | instskip(NEXT) | instid1(VALU_DEP_1)
	v_dual_fma_f32 v4, v42, v40, -v4 :: v_dual_fmac_f32 v33, v43, v40
	v_dual_add_f32 v40, 0, v4 :: v_dual_add_f32 v41, 0, v33
	s_or_b32 exec_lo, exec_lo, s61
	s_and_saveexec_b32 s61, s7
	s_cbranch_execz .LBB50_1008
.LBB50_1053:                            ;   in Loop: Header=BB50_3 Depth=1
	ds_load_b64 v[42:43], v93 offset:8192
	ds_load_b64 v[46:47], v70 offset:128
	s_wait_dscnt 0x0
	v_dual_mul_f32 v4, v47, v43 :: v_dual_mul_f32 v49, v46, v43
	s_delay_alu instid0(VALU_DEP_1) | instskip(NEXT) | instid1(VALU_DEP_1)
	v_dual_fma_f32 v48, v46, v42, -v4 :: v_dual_fmac_f32 v49, v47, v42
	v_pk_add_f32 v[40:41], v[40:41], v[48:49]
	s_or_b32 exec_lo, exec_lo, s61
	s_and_saveexec_b32 s61, s8
	s_cbranch_execz .LBB50_1009
.LBB50_1054:                            ;   in Loop: Header=BB50_3 Depth=1
	ds_load_b64 v[42:43], v93 offset:16384
	ds_load_b64 v[46:47], v70 offset:256
	s_wait_dscnt 0x0
	v_pk_mul_f32 v[48:49], v[46:47], v[42:43] op_sel:[1,1] op_sel_hi:[0,1]
	s_delay_alu instid0(VALU_DEP_1) | instskip(SKIP_1) | instid1(VALU_DEP_2)
	v_pk_fma_f32 v[98:99], v[46:47], v[42:43], v[48:49] op_sel_hi:[1,0,1]
	v_pk_fma_f32 v[42:43], v[46:47], v[42:43], v[48:49] neg_lo:[0,0,1] neg_hi:[0,0,1]
	v_mov_b32_e32 v43, v99
	s_delay_alu instid0(VALU_DEP_1)
	v_pk_add_f32 v[40:41], v[40:41], v[42:43]
	s_or_b32 exec_lo, exec_lo, s61
	s_and_saveexec_b32 s61, s9
	s_cbranch_execnz .LBB50_1010
	s_branch .LBB50_1011
.LBB50_1055:                            ;   in Loop: Header=BB50_3 Depth=1
	s_or_b32 exec_lo, exec_lo, s84
	s_delay_alu instid0(SALU_CYCLE_1)
	s_and_b32 vcc_lo, exec_lo, s63
	s_cbranch_vccnz .LBB50_1014
.LBB50_1056:                            ;   in Loop: Header=BB50_3 Depth=1
	v_mov_b64_e32 v[44:45], v[42:43]
	v_mov_b64_e32 v[40:41], v[28:29]
	s_and_saveexec_b32 s61, s62
	s_cbranch_execz .LBB50_1058
.LBB50_1057:                            ;   in Loop: Header=BB50_3 Depth=1
	s_delay_alu instid0(VALU_DEP_1)
	v_lshl_add_u64 v[40:41], v[40:41], 3, s[82:83]
	global_store_b64 v[40:41], v[44:45], off
.LBB50_1058:                            ;   in Loop: Header=BB50_3 Depth=1
	s_wait_xcnt 0x0
	s_or_b32 exec_lo, exec_lo, s61
	global_wb scope:SCOPE_DEV
	s_wait_storecnt 0x0
	global_inv scope:SCOPE_DEV
	s_wait_loadcnt 0x0
	s_barrier_signal -1
	s_barrier_wait -1
	s_and_saveexec_b32 s61, s36
	s_cbranch_execz .LBB50_2
; %bb.1059:                             ;   in Loop: Header=BB50_3 Depth=1
	s_lshl_b64 s[62:63], s[80:81], 2
	s_delay_alu instid0(SALU_CYCLE_1)
	s_add_nc_u64 s[62:63], s[78:79], s[62:63]
	global_load_b32 v4, v5, s[62:63]
	s_wait_loadcnt 0x0
	v_add_nc_u32_e32 v4, 1, v4
	global_store_b32 v5, v4, s[62:63]
	s_branch .LBB50_2
.LBB50_1060:                            ;   in Loop: Header=BB50_3 Depth=1
	ds_load_b64 v[46:47], v76 offset:31680
	ds_load_b64 v[48:49], v58 offset:32744
	s_wait_dscnt 0x0
	v_dual_mul_f32 v4, v49, v47 :: v_dual_mul_f32 v33, v48, v47
	s_delay_alu instid0(VALU_DEP_1) | instskip(NEXT) | instid1(VALU_DEP_1)
	v_dual_fma_f32 v4, v48, v46, -v4 :: v_dual_fmac_f32 v33, v49, v46
	v_dual_add_f32 v44, v44, v4 :: v_dual_add_f32 v45, v45, v33
	s_or_b32 exec_lo, exec_lo, s61
	s_and_saveexec_b32 s61, s17
	s_cbranch_execz .LBB50_74
.LBB50_1061:                            ;   in Loop: Header=BB50_3 Depth=1
	ds_load_b64 v[46:47], v76 offset:32192
	ds_load_b64 v[48:49], v58 offset:32752
	s_wait_dscnt 0x0
	v_dual_mul_f32 v4, v49, v47 :: v_dual_mul_f32 v99, v48, v47
	s_delay_alu instid0(VALU_DEP_1) | instskip(NEXT) | instid1(VALU_DEP_1)
	v_dual_fma_f32 v98, v48, v46, -v4 :: v_dual_fmac_f32 v99, v49, v46
	v_pk_add_f32 v[44:45], v[44:45], v[98:99]
	s_or_b32 exec_lo, exec_lo, s61
	s_and_saveexec_b32 s61, s0
	s_cbranch_execnz .LBB50_75
	s_branch .LBB50_76
.LBB50_1062:                            ;   in Loop: Header=BB50_3 Depth=1
	ds_load_b64 v[46:47], v78 offset:29568
	ds_load_b64 v[48:49], v62 offset:32712
	s_wait_dscnt 0x0
	v_dual_mul_f32 v4, v49, v47 :: v_dual_mul_f32 v33, v48, v47
	s_delay_alu instid0(VALU_DEP_1) | instskip(NEXT) | instid1(VALU_DEP_1)
	v_dual_fma_f32 v4, v48, v46, -v4 :: v_dual_fmac_f32 v33, v49, v46
	v_dual_add_f32 v44, v44, v4 :: v_dual_add_f32 v45, v45, v33
	s_or_b32 exec_lo, exec_lo, s61
	s_and_saveexec_b32 s61, s19
	s_cbranch_execz .LBB50_116
.LBB50_1063:                            ;   in Loop: Header=BB50_3 Depth=1
	ds_load_b64 v[46:47], v78 offset:30080
	ds_load_b64 v[48:49], v62 offset:32720
	s_wait_dscnt 0x0
	v_dual_mul_f32 v4, v49, v47 :: v_dual_mul_f32 v33, v48, v47
	s_delay_alu instid0(VALU_DEP_1) | instskip(NEXT) | instid1(VALU_DEP_1)
	v_dual_fma_f32 v4, v48, v46, -v4 :: v_dual_fmac_f32 v33, v49, v46
	v_dual_add_f32 v44, v44, v4 :: v_dual_add_f32 v45, v45, v33
	s_or_b32 exec_lo, exec_lo, s61
	s_and_saveexec_b32 s61, s20
	s_cbranch_execz .LBB50_117
.LBB50_1064:                            ;   in Loop: Header=BB50_3 Depth=1
	ds_load_b64 v[46:47], v78 offset:30592
	ds_load_b64 v[48:49], v62 offset:32728
	s_wait_dscnt 0x0
	v_dual_mul_f32 v4, v49, v47 :: v_dual_mul_f32 v33, v48, v47
	s_delay_alu instid0(VALU_DEP_1) | instskip(NEXT) | instid1(VALU_DEP_1)
	v_dual_fma_f32 v4, v48, v46, -v4 :: v_dual_fmac_f32 v33, v49, v46
	v_dual_add_f32 v44, v44, v4 :: v_dual_add_f32 v45, v45, v33
	s_or_b32 exec_lo, exec_lo, s61
	s_and_saveexec_b32 s61, s21
	s_cbranch_execz .LBB50_118
.LBB50_1065:                            ;   in Loop: Header=BB50_3 Depth=1
	ds_load_b64 v[46:47], v78 offset:31104
	ds_load_b64 v[48:49], v62 offset:32736
	s_wait_dscnt 0x0
	v_dual_mul_f32 v4, v49, v47 :: v_dual_mul_f32 v99, v48, v47
	s_delay_alu instid0(VALU_DEP_1) | instskip(NEXT) | instid1(VALU_DEP_1)
	v_dual_fma_f32 v98, v48, v46, -v4 :: v_dual_fmac_f32 v99, v49, v46
	v_pk_add_f32 v[44:45], v[44:45], v[98:99]
	s_or_b32 exec_lo, exec_lo, s61
	s_and_saveexec_b32 s61, s22
	s_cbranch_execz .LBB50_119
.LBB50_1066:                            ;   in Loop: Header=BB50_3 Depth=1
	ds_load_b64 v[46:47], v78 offset:31616
	ds_load_b64 v[48:49], v62 offset:32744
	s_wait_dscnt 0x0
	v_pk_mul_f32 v[98:99], v[48:49], v[46:47] op_sel:[1,1] op_sel_hi:[0,1]
	s_delay_alu instid0(VALU_DEP_1) | instskip(SKIP_1) | instid1(VALU_DEP_2)
	v_pk_fma_f32 v[100:101], v[48:49], v[46:47], v[98:99] op_sel_hi:[1,0,1]
	v_pk_fma_f32 v[46:47], v[48:49], v[46:47], v[98:99] neg_lo:[0,0,1] neg_hi:[0,0,1]
	v_mov_b32_e32 v47, v101
	s_delay_alu instid0(VALU_DEP_1)
	v_pk_add_f32 v[44:45], v[44:45], v[46:47]
	s_or_b32 exec_lo, exec_lo, s61
	s_and_saveexec_b32 s61, s2
	s_cbranch_execz .LBB50_120
.LBB50_1067:                            ;   in Loop: Header=BB50_3 Depth=1
	ds_load_b64 v[46:47], v78 offset:32128
	ds_load_b64 v[48:49], v62 offset:32752
	s_wait_dscnt 0x0
	v_pk_mul_f32 v[98:99], v[48:49], v[46:47] op_sel:[1,1] op_sel_hi:[0,1]
	s_delay_alu instid0(VALU_DEP_1) | instskip(SKIP_1) | instid1(VALU_DEP_2)
	v_pk_fma_f32 v[100:101], v[48:49], v[46:47], v[98:99] op_sel_hi:[1,0,1]
	v_pk_fma_f32 v[46:47], v[48:49], v[46:47], v[98:99] neg_lo:[0,0,1] neg_hi:[0,0,1]
	v_mov_b32_e32 v47, v101
	s_delay_alu instid0(VALU_DEP_1)
	v_pk_add_f32 v[44:45], v[44:45], v[46:47]
	s_or_b32 exec_lo, exec_lo, s61
	s_and_saveexec_b32 s61, s17
	s_cbranch_execnz .LBB50_121
	s_branch .LBB50_122
.LBB50_1068:                            ;   in Loop: Header=BB50_3 Depth=1
	ds_load_b64 v[46:47], v76 offset:27520
	ds_load_b64 v[48:49], v58 offset:28584
	s_wait_dscnt 0x0
	v_dual_mul_f32 v4, v49, v47 :: v_dual_mul_f32 v33, v48, v47
	s_delay_alu instid0(VALU_DEP_1) | instskip(NEXT) | instid1(VALU_DEP_1)
	v_dual_fma_f32 v4, v48, v46, -v4 :: v_dual_fmac_f32 v33, v49, v46
	v_dual_add_f32 v44, v44, v4 :: v_dual_add_f32 v45, v45, v33
	s_or_b32 exec_lo, exec_lo, s61
	s_and_saveexec_b32 s61, s17
	s_cbranch_execz .LBB50_178
.LBB50_1069:                            ;   in Loop: Header=BB50_3 Depth=1
	ds_load_b64 v[46:47], v76 offset:28032
	ds_load_b64 v[48:49], v58 offset:28592
	s_wait_dscnt 0x0
	v_dual_mul_f32 v4, v49, v47 :: v_dual_mul_f32 v99, v48, v47
	s_delay_alu instid0(VALU_DEP_1) | instskip(NEXT) | instid1(VALU_DEP_1)
	v_dual_fma_f32 v98, v48, v46, -v4 :: v_dual_fmac_f32 v99, v49, v46
	v_pk_add_f32 v[44:45], v[44:45], v[98:99]
	s_or_b32 exec_lo, exec_lo, s61
	s_and_saveexec_b32 s61, s0
	s_cbranch_execnz .LBB50_179
	s_branch .LBB50_180
.LBB50_1070:                            ;   in Loop: Header=BB50_3 Depth=1
	ds_load_b64 v[46:47], v80 offset:30464
	ds_load_b64 v[48:49], v64 offset:32728
	s_wait_dscnt 0x0
	v_dual_mul_f32 v4, v49, v47 :: v_dual_mul_f32 v33, v48, v47
	s_delay_alu instid0(VALU_DEP_1) | instskip(NEXT) | instid1(VALU_DEP_1)
	v_dual_fma_f32 v4, v48, v46, -v4 :: v_dual_fmac_f32 v33, v49, v46
	v_dual_add_f32 v44, v44, v4 :: v_dual_add_f32 v45, v45, v33
	s_or_b32 exec_lo, exec_lo, s61
	s_and_saveexec_b32 s61, s3
	s_cbranch_execz .LBB50_240
.LBB50_1071:                            ;   in Loop: Header=BB50_3 Depth=1
	ds_load_b64 v[46:47], v80 offset:30976
	ds_load_b64 v[48:49], v64 offset:32736
	s_wait_dscnt 0x0
	v_dual_mul_f32 v4, v49, v47 :: v_dual_mul_f32 v33, v48, v47
	s_delay_alu instid0(VALU_DEP_1) | instskip(NEXT) | instid1(VALU_DEP_1)
	v_dual_fma_f32 v4, v48, v46, -v4 :: v_dual_fmac_f32 v33, v49, v46
	v_dual_add_f32 v44, v44, v4 :: v_dual_add_f32 v45, v45, v33
	s_or_b32 exec_lo, exec_lo, s61
	s_and_saveexec_b32 s61, s19
	s_cbranch_execz .LBB50_241
.LBB50_1072:                            ;   in Loop: Header=BB50_3 Depth=1
	ds_load_b64 v[46:47], v80 offset:31488
	ds_load_b64 v[48:49], v64 offset:32744
	s_wait_dscnt 0x0
	v_dual_mul_f32 v4, v49, v47 :: v_dual_mul_f32 v33, v48, v47
	s_delay_alu instid0(VALU_DEP_1) | instskip(NEXT) | instid1(VALU_DEP_1)
	v_dual_fma_f32 v4, v48, v46, -v4 :: v_dual_fmac_f32 v33, v49, v46
	v_dual_add_f32 v44, v44, v4 :: v_dual_add_f32 v45, v45, v33
	s_or_b32 exec_lo, exec_lo, s61
	s_and_saveexec_b32 s61, s21
	s_cbranch_execz .LBB50_242
.LBB50_1073:                            ;   in Loop: Header=BB50_3 Depth=1
	ds_load_b64 v[46:47], v80 offset:32000
	ds_load_b64 v[48:49], v64 offset:32752
	s_wait_dscnt 0x0
	v_dual_mul_f32 v4, v49, v47 :: v_dual_mul_f32 v99, v48, v47
	s_delay_alu instid0(VALU_DEP_1) | instskip(NEXT) | instid1(VALU_DEP_1)
	v_dual_fma_f32 v98, v48, v46, -v4 :: v_dual_fmac_f32 v99, v49, v46
	v_pk_add_f32 v[44:45], v[44:45], v[98:99]
	s_or_b32 exec_lo, exec_lo, s61
	s_and_saveexec_b32 s61, s2
	s_cbranch_execnz .LBB50_243
	s_branch .LBB50_244
.LBB50_1074:                            ;   in Loop: Header=BB50_3 Depth=1
	ds_load_b64 v[46:47], v76 offset:23360
	ds_load_b64 v[48:49], v58 offset:24424
	s_wait_dscnt 0x0
	v_dual_mul_f32 v4, v49, v47 :: v_dual_mul_f32 v33, v48, v47
	s_delay_alu instid0(VALU_DEP_1) | instskip(NEXT) | instid1(VALU_DEP_1)
	v_dual_fma_f32 v4, v48, v46, -v4 :: v_dual_fmac_f32 v33, v49, v46
	v_dual_add_f32 v44, v44, v4 :: v_dual_add_f32 v45, v45, v33
	s_or_b32 exec_lo, exec_lo, s61
	s_and_saveexec_b32 s61, s17
	s_cbranch_execz .LBB50_332
.LBB50_1075:                            ;   in Loop: Header=BB50_3 Depth=1
	ds_load_b64 v[46:47], v76 offset:23872
	ds_load_b64 v[48:49], v58 offset:24432
	s_wait_dscnt 0x0
	v_dual_mul_f32 v4, v49, v47 :: v_dual_mul_f32 v99, v48, v47
	s_delay_alu instid0(VALU_DEP_1) | instskip(NEXT) | instid1(VALU_DEP_1)
	v_dual_fma_f32 v98, v48, v46, -v4 :: v_dual_fmac_f32 v99, v49, v46
	v_pk_add_f32 v[44:45], v[44:45], v[98:99]
	s_or_b32 exec_lo, exec_lo, s61
	s_and_saveexec_b32 s61, s0
	s_cbranch_execnz .LBB50_333
	s_branch .LBB50_334
.LBB50_1076:                            ;   in Loop: Header=BB50_3 Depth=1
	ds_load_b64 v[46:47], v78 offset:21248
	ds_load_b64 v[48:49], v62 offset:24392
	s_wait_dscnt 0x0
	v_dual_mul_f32 v4, v49, v47 :: v_dual_mul_f32 v33, v48, v47
	s_delay_alu instid0(VALU_DEP_1) | instskip(NEXT) | instid1(VALU_DEP_1)
	v_dual_fma_f32 v4, v48, v46, -v4 :: v_dual_fmac_f32 v33, v49, v46
	v_dual_add_f32 v44, v44, v4 :: v_dual_add_f32 v45, v45, v33
	s_or_b32 exec_lo, exec_lo, s61
	s_and_saveexec_b32 s61, s19
	s_cbranch_execz .LBB50_374
.LBB50_1077:                            ;   in Loop: Header=BB50_3 Depth=1
	ds_load_b64 v[46:47], v78 offset:21760
	ds_load_b64 v[48:49], v62 offset:24400
	s_wait_dscnt 0x0
	v_dual_mul_f32 v4, v49, v47 :: v_dual_mul_f32 v33, v48, v47
	s_delay_alu instid0(VALU_DEP_1) | instskip(NEXT) | instid1(VALU_DEP_1)
	v_dual_fma_f32 v4, v48, v46, -v4 :: v_dual_fmac_f32 v33, v49, v46
	v_dual_add_f32 v44, v44, v4 :: v_dual_add_f32 v45, v45, v33
	s_or_b32 exec_lo, exec_lo, s61
	s_and_saveexec_b32 s61, s20
	s_cbranch_execz .LBB50_375
.LBB50_1078:                            ;   in Loop: Header=BB50_3 Depth=1
	ds_load_b64 v[46:47], v78 offset:22272
	ds_load_b64 v[48:49], v62 offset:24408
	s_wait_dscnt 0x0
	v_dual_mul_f32 v4, v49, v47 :: v_dual_mul_f32 v33, v48, v47
	s_delay_alu instid0(VALU_DEP_1) | instskip(NEXT) | instid1(VALU_DEP_1)
	v_dual_fma_f32 v4, v48, v46, -v4 :: v_dual_fmac_f32 v33, v49, v46
	v_dual_add_f32 v44, v44, v4 :: v_dual_add_f32 v45, v45, v33
	s_or_b32 exec_lo, exec_lo, s61
	s_and_saveexec_b32 s61, s21
	s_cbranch_execz .LBB50_376
.LBB50_1079:                            ;   in Loop: Header=BB50_3 Depth=1
	ds_load_b64 v[46:47], v78 offset:22784
	ds_load_b64 v[48:49], v62 offset:24416
	s_wait_dscnt 0x0
	v_dual_mul_f32 v4, v49, v47 :: v_dual_mul_f32 v99, v48, v47
	s_delay_alu instid0(VALU_DEP_1) | instskip(NEXT) | instid1(VALU_DEP_1)
	v_dual_fma_f32 v98, v48, v46, -v4 :: v_dual_fmac_f32 v99, v49, v46
	v_pk_add_f32 v[44:45], v[44:45], v[98:99]
	s_or_b32 exec_lo, exec_lo, s61
	s_and_saveexec_b32 s61, s22
	s_cbranch_execz .LBB50_377
.LBB50_1080:                            ;   in Loop: Header=BB50_3 Depth=1
	ds_load_b64 v[46:47], v78 offset:23296
	ds_load_b64 v[48:49], v62 offset:24424
	s_wait_dscnt 0x0
	v_pk_mul_f32 v[98:99], v[48:49], v[46:47] op_sel:[1,1] op_sel_hi:[0,1]
	s_delay_alu instid0(VALU_DEP_1) | instskip(SKIP_1) | instid1(VALU_DEP_2)
	v_pk_fma_f32 v[100:101], v[48:49], v[46:47], v[98:99] op_sel_hi:[1,0,1]
	v_pk_fma_f32 v[46:47], v[48:49], v[46:47], v[98:99] neg_lo:[0,0,1] neg_hi:[0,0,1]
	v_mov_b32_e32 v47, v101
	s_delay_alu instid0(VALU_DEP_1)
	v_pk_add_f32 v[44:45], v[44:45], v[46:47]
	s_or_b32 exec_lo, exec_lo, s61
	s_and_saveexec_b32 s61, s2
	s_cbranch_execz .LBB50_378
.LBB50_1081:                            ;   in Loop: Header=BB50_3 Depth=1
	ds_load_b64 v[46:47], v78 offset:23808
	ds_load_b64 v[48:49], v62 offset:24432
	s_wait_dscnt 0x0
	v_pk_mul_f32 v[98:99], v[48:49], v[46:47] op_sel:[1,1] op_sel_hi:[0,1]
	s_delay_alu instid0(VALU_DEP_1) | instskip(SKIP_1) | instid1(VALU_DEP_2)
	v_pk_fma_f32 v[100:101], v[48:49], v[46:47], v[98:99] op_sel_hi:[1,0,1]
	v_pk_fma_f32 v[46:47], v[48:49], v[46:47], v[98:99] neg_lo:[0,0,1] neg_hi:[0,0,1]
	v_mov_b32_e32 v47, v101
	s_delay_alu instid0(VALU_DEP_1)
	v_pk_add_f32 v[44:45], v[44:45], v[46:47]
	s_or_b32 exec_lo, exec_lo, s61
	s_and_saveexec_b32 s61, s17
	s_cbranch_execnz .LBB50_379
	s_branch .LBB50_380
.LBB50_1082:                            ;   in Loop: Header=BB50_3 Depth=1
	ds_load_b64 v[46:47], v76 offset:19200
	ds_load_b64 v[48:49], v58 offset:20264
	s_wait_dscnt 0x0
	v_dual_mul_f32 v4, v49, v47 :: v_dual_mul_f32 v33, v48, v47
	s_delay_alu instid0(VALU_DEP_1) | instskip(NEXT) | instid1(VALU_DEP_1)
	v_dual_fma_f32 v4, v48, v46, -v4 :: v_dual_fmac_f32 v33, v49, v46
	v_dual_add_f32 v44, v44, v4 :: v_dual_add_f32 v45, v45, v33
	s_or_b32 exec_lo, exec_lo, s61
	s_and_saveexec_b32 s61, s17
	s_cbranch_execz .LBB50_436
.LBB50_1083:                            ;   in Loop: Header=BB50_3 Depth=1
	ds_load_b64 v[46:47], v76 offset:19712
	ds_load_b64 v[48:49], v58 offset:20272
	s_wait_dscnt 0x0
	v_dual_mul_f32 v4, v49, v47 :: v_dual_mul_f32 v99, v48, v47
	s_delay_alu instid0(VALU_DEP_1) | instskip(NEXT) | instid1(VALU_DEP_1)
	v_dual_fma_f32 v98, v48, v46, -v4 :: v_dual_fmac_f32 v99, v49, v46
	v_pk_add_f32 v[44:45], v[44:45], v[98:99]
	s_or_b32 exec_lo, exec_lo, s61
	s_and_saveexec_b32 s61, s0
	s_cbranch_execnz .LBB50_437
	s_branch .LBB50_438
.LBB50_1084:                            ;   in Loop: Header=BB50_3 Depth=1
	ds_load_b64 v[46:47], v63 offset:30208
	ds_load_b64 v[48:49], v66 offset:32728
	s_wait_dscnt 0x0
	v_dual_mul_f32 v4, v49, v47 :: v_dual_mul_f32 v33, v48, v47
	s_delay_alu instid0(VALU_DEP_1) | instskip(NEXT) | instid1(VALU_DEP_1)
	v_dual_fma_f32 v4, v48, v46, -v4 :: v_dual_fmac_f32 v33, v49, v46
	v_dual_add_f32 v44, v44, v4 :: v_dual_add_f32 v45, v45, v33
	s_or_b32 exec_lo, exec_lo, s61
	s_and_saveexec_b32 s61, s13
	s_cbranch_execz .LBB50_530
.LBB50_1085:                            ;   in Loop: Header=BB50_3 Depth=1
	ds_load_b64 v[46:47], v63 offset:30720
	ds_load_b64 v[48:49], v66 offset:32736
	s_wait_dscnt 0x0
	v_dual_mul_f32 v4, v49, v47 :: v_dual_mul_f32 v99, v48, v47
	s_delay_alu instid0(VALU_DEP_1) | instskip(NEXT) | instid1(VALU_DEP_1)
	v_dual_fma_f32 v98, v48, v46, -v4 :: v_dual_fmac_f32 v99, v49, v46
	v_pk_add_f32 v[44:45], v[44:45], v[98:99]
	s_or_b32 exec_lo, exec_lo, s61
	s_and_saveexec_b32 s61, s14
	s_cbranch_execz .LBB50_531
.LBB50_1086:                            ;   in Loop: Header=BB50_3 Depth=1
	ds_load_b64 v[46:47], v63 offset:31232
	ds_load_b64 v[48:49], v66 offset:32744
	s_wait_dscnt 0x0
	v_pk_mul_f32 v[98:99], v[48:49], v[46:47] op_sel:[1,1] op_sel_hi:[0,1]
	s_delay_alu instid0(VALU_DEP_1) | instskip(SKIP_1) | instid1(VALU_DEP_2)
	v_pk_fma_f32 v[100:101], v[48:49], v[46:47], v[98:99] op_sel_hi:[1,0,1]
	v_pk_fma_f32 v[46:47], v[48:49], v[46:47], v[98:99] neg_lo:[0,0,1] neg_hi:[0,0,1]
	v_mov_b32_e32 v47, v101
	s_delay_alu instid0(VALU_DEP_1)
	v_pk_add_f32 v[44:45], v[44:45], v[46:47]
	s_or_b32 exec_lo, exec_lo, s61
	s_and_saveexec_b32 s61, s3
	s_cbranch_execz .LBB50_532
.LBB50_1087:                            ;   in Loop: Header=BB50_3 Depth=1
	ds_load_b64 v[46:47], v63 offset:31744
	ds_load_b64 v[48:49], v66 offset:32752
	s_wait_dscnt 0x0
	v_pk_mul_f32 v[98:99], v[48:49], v[46:47] op_sel:[1,1] op_sel_hi:[0,1]
	s_delay_alu instid0(VALU_DEP_1) | instskip(SKIP_1) | instid1(VALU_DEP_2)
	v_pk_fma_f32 v[100:101], v[48:49], v[46:47], v[98:99] op_sel_hi:[1,0,1]
	v_pk_fma_f32 v[46:47], v[48:49], v[46:47], v[98:99] neg_lo:[0,0,1] neg_hi:[0,0,1]
	v_mov_b32_e32 v47, v101
	s_delay_alu instid0(VALU_DEP_1) | instskip(SKIP_2) | instid1(SALU_CYCLE_1)
	v_pk_add_f32 v[44:45], v[44:45], v[46:47]
	s_or_b32 exec_lo, exec_lo, s61
	s_and_saveexec_b32 s61, s21
	s_xor_b32 s61, exec_lo, s61
	s_cbranch_execnz .LBB50_533
	s_branch .LBB50_534
.LBB50_1088:                            ;   in Loop: Header=BB50_3 Depth=1
	ds_load_b64 v[46:47], v76 offset:15040
	ds_load_b64 v[48:49], v58 offset:16104
	s_wait_dscnt 0x0
	v_dual_mul_f32 v4, v49, v47 :: v_dual_mul_f32 v33, v48, v47
	s_delay_alu instid0(VALU_DEP_1) | instskip(NEXT) | instid1(VALU_DEP_1)
	v_dual_fma_f32 v4, v48, v46, -v4 :: v_dual_fmac_f32 v33, v49, v46
	v_dual_add_f32 v44, v44, v4 :: v_dual_add_f32 v45, v45, v33
	s_or_b32 exec_lo, exec_lo, s61
	s_and_saveexec_b32 s61, s17
	s_cbranch_execz .LBB50_578
.LBB50_1089:                            ;   in Loop: Header=BB50_3 Depth=1
	ds_load_b64 v[46:47], v76 offset:15552
	ds_load_b64 v[48:49], v58 offset:16112
	s_wait_dscnt 0x0
	v_dual_mul_f32 v4, v49, v47 :: v_dual_mul_f32 v99, v48, v47
	s_delay_alu instid0(VALU_DEP_1) | instskip(NEXT) | instid1(VALU_DEP_1)
	v_dual_fma_f32 v98, v48, v46, -v4 :: v_dual_fmac_f32 v99, v49, v46
	v_pk_add_f32 v[44:45], v[44:45], v[98:99]
	s_or_b32 exec_lo, exec_lo, s61
	s_and_saveexec_b32 s61, s0
	s_cbranch_execnz .LBB50_579
	s_branch .LBB50_580
.LBB50_1090:                            ;   in Loop: Header=BB50_3 Depth=1
	ds_load_b64 v[46:47], v78 offset:12928
	ds_load_b64 v[48:49], v62 offset:16072
	s_wait_dscnt 0x0
	v_dual_mul_f32 v4, v49, v47 :: v_dual_mul_f32 v33, v48, v47
	s_delay_alu instid0(VALU_DEP_1) | instskip(NEXT) | instid1(VALU_DEP_1)
	v_dual_fma_f32 v4, v48, v46, -v4 :: v_dual_fmac_f32 v33, v49, v46
	v_dual_add_f32 v44, v44, v4 :: v_dual_add_f32 v45, v45, v33
	s_or_b32 exec_lo, exec_lo, s61
	s_and_saveexec_b32 s61, s19
	s_cbranch_execz .LBB50_620
.LBB50_1091:                            ;   in Loop: Header=BB50_3 Depth=1
	ds_load_b64 v[46:47], v78 offset:13440
	ds_load_b64 v[48:49], v62 offset:16080
	s_wait_dscnt 0x0
	v_dual_mul_f32 v4, v49, v47 :: v_dual_mul_f32 v33, v48, v47
	s_delay_alu instid0(VALU_DEP_1) | instskip(NEXT) | instid1(VALU_DEP_1)
	v_dual_fma_f32 v4, v48, v46, -v4 :: v_dual_fmac_f32 v33, v49, v46
	v_dual_add_f32 v44, v44, v4 :: v_dual_add_f32 v45, v45, v33
	s_or_b32 exec_lo, exec_lo, s61
	s_and_saveexec_b32 s61, s20
	s_cbranch_execz .LBB50_621
.LBB50_1092:                            ;   in Loop: Header=BB50_3 Depth=1
	ds_load_b64 v[46:47], v78 offset:13952
	ds_load_b64 v[48:49], v62 offset:16088
	s_wait_dscnt 0x0
	v_dual_mul_f32 v4, v49, v47 :: v_dual_mul_f32 v33, v48, v47
	s_delay_alu instid0(VALU_DEP_1) | instskip(NEXT) | instid1(VALU_DEP_1)
	v_dual_fma_f32 v4, v48, v46, -v4 :: v_dual_fmac_f32 v33, v49, v46
	v_dual_add_f32 v44, v44, v4 :: v_dual_add_f32 v45, v45, v33
	s_or_b32 exec_lo, exec_lo, s61
	s_and_saveexec_b32 s61, s21
	s_cbranch_execz .LBB50_622
.LBB50_1093:                            ;   in Loop: Header=BB50_3 Depth=1
	ds_load_b64 v[46:47], v78 offset:14464
	ds_load_b64 v[48:49], v62 offset:16096
	s_wait_dscnt 0x0
	v_dual_mul_f32 v4, v49, v47 :: v_dual_mul_f32 v99, v48, v47
	s_delay_alu instid0(VALU_DEP_1) | instskip(NEXT) | instid1(VALU_DEP_1)
	v_dual_fma_f32 v98, v48, v46, -v4 :: v_dual_fmac_f32 v99, v49, v46
	v_pk_add_f32 v[44:45], v[44:45], v[98:99]
	s_or_b32 exec_lo, exec_lo, s61
	s_and_saveexec_b32 s61, s22
	s_cbranch_execz .LBB50_623
.LBB50_1094:                            ;   in Loop: Header=BB50_3 Depth=1
	ds_load_b64 v[46:47], v78 offset:14976
	ds_load_b64 v[48:49], v62 offset:16104
	s_wait_dscnt 0x0
	v_pk_mul_f32 v[98:99], v[48:49], v[46:47] op_sel:[1,1] op_sel_hi:[0,1]
	s_delay_alu instid0(VALU_DEP_1) | instskip(SKIP_1) | instid1(VALU_DEP_2)
	v_pk_fma_f32 v[100:101], v[48:49], v[46:47], v[98:99] op_sel_hi:[1,0,1]
	v_pk_fma_f32 v[46:47], v[48:49], v[46:47], v[98:99] neg_lo:[0,0,1] neg_hi:[0,0,1]
	v_mov_b32_e32 v47, v101
	s_delay_alu instid0(VALU_DEP_1)
	v_pk_add_f32 v[44:45], v[44:45], v[46:47]
	s_or_b32 exec_lo, exec_lo, s61
	s_and_saveexec_b32 s61, s2
	s_cbranch_execz .LBB50_624
.LBB50_1095:                            ;   in Loop: Header=BB50_3 Depth=1
	ds_load_b64 v[46:47], v78 offset:15488
	ds_load_b64 v[48:49], v62 offset:16112
	s_wait_dscnt 0x0
	v_pk_mul_f32 v[98:99], v[48:49], v[46:47] op_sel:[1,1] op_sel_hi:[0,1]
	s_delay_alu instid0(VALU_DEP_1) | instskip(SKIP_1) | instid1(VALU_DEP_2)
	v_pk_fma_f32 v[100:101], v[48:49], v[46:47], v[98:99] op_sel_hi:[1,0,1]
	v_pk_fma_f32 v[46:47], v[48:49], v[46:47], v[98:99] neg_lo:[0,0,1] neg_hi:[0,0,1]
	v_mov_b32_e32 v47, v101
	s_delay_alu instid0(VALU_DEP_1)
	v_pk_add_f32 v[44:45], v[44:45], v[46:47]
	s_or_b32 exec_lo, exec_lo, s61
	s_and_saveexec_b32 s61, s17
	s_cbranch_execnz .LBB50_625
	s_branch .LBB50_626
.LBB50_1096:                            ;   in Loop: Header=BB50_3 Depth=1
	ds_load_b64 v[46:47], v76 offset:10880
	ds_load_b64 v[48:49], v58 offset:11944
	s_wait_dscnt 0x0
	v_dual_mul_f32 v4, v49, v47 :: v_dual_mul_f32 v33, v48, v47
	s_delay_alu instid0(VALU_DEP_1) | instskip(NEXT) | instid1(VALU_DEP_1)
	v_dual_fma_f32 v4, v48, v46, -v4 :: v_dual_fmac_f32 v33, v49, v46
	v_dual_add_f32 v44, v44, v4 :: v_dual_add_f32 v45, v45, v33
	s_or_b32 exec_lo, exec_lo, s61
	s_and_saveexec_b32 s61, s17
	s_cbranch_execz .LBB50_682
.LBB50_1097:                            ;   in Loop: Header=BB50_3 Depth=1
	ds_load_b64 v[46:47], v76 offset:11392
	ds_load_b64 v[48:49], v58 offset:11952
	s_wait_dscnt 0x0
	v_dual_mul_f32 v4, v49, v47 :: v_dual_mul_f32 v99, v48, v47
	s_delay_alu instid0(VALU_DEP_1) | instskip(NEXT) | instid1(VALU_DEP_1)
	v_dual_fma_f32 v98, v48, v46, -v4 :: v_dual_fmac_f32 v99, v49, v46
	v_pk_add_f32 v[44:45], v[44:45], v[98:99]
	s_or_b32 exec_lo, exec_lo, s61
	s_and_saveexec_b32 s61, s0
	s_cbranch_execnz .LBB50_683
	s_branch .LBB50_684
.LBB50_1098:                            ;   in Loop: Header=BB50_3 Depth=1
	ds_load_b64 v[46:47], v80 offset:13824
	ds_load_b64 v[48:49], v64 offset:16088
	s_wait_dscnt 0x0
	v_dual_mul_f32 v4, v49, v47 :: v_dual_mul_f32 v33, v48, v47
	s_delay_alu instid0(VALU_DEP_1) | instskip(NEXT) | instid1(VALU_DEP_1)
	v_dual_fma_f32 v4, v48, v46, -v4 :: v_dual_fmac_f32 v33, v49, v46
	v_dual_add_f32 v44, v44, v4 :: v_dual_add_f32 v45, v45, v33
	s_or_b32 exec_lo, exec_lo, s61
	s_and_saveexec_b32 s61, s3
	s_cbranch_execz .LBB50_744
.LBB50_1099:                            ;   in Loop: Header=BB50_3 Depth=1
	ds_load_b64 v[46:47], v80 offset:14336
	ds_load_b64 v[48:49], v64 offset:16096
	s_wait_dscnt 0x0
	v_dual_mul_f32 v4, v49, v47 :: v_dual_mul_f32 v33, v48, v47
	s_delay_alu instid0(VALU_DEP_1) | instskip(NEXT) | instid1(VALU_DEP_1)
	v_dual_fma_f32 v4, v48, v46, -v4 :: v_dual_fmac_f32 v33, v49, v46
	v_dual_add_f32 v44, v44, v4 :: v_dual_add_f32 v45, v45, v33
	s_or_b32 exec_lo, exec_lo, s61
	s_and_saveexec_b32 s61, s19
	s_cbranch_execz .LBB50_745
.LBB50_1100:                            ;   in Loop: Header=BB50_3 Depth=1
	ds_load_b64 v[46:47], v80 offset:14848
	ds_load_b64 v[48:49], v64 offset:16104
	s_wait_dscnt 0x0
	v_dual_mul_f32 v4, v49, v47 :: v_dual_mul_f32 v33, v48, v47
	s_delay_alu instid0(VALU_DEP_1) | instskip(NEXT) | instid1(VALU_DEP_1)
	v_dual_fma_f32 v4, v48, v46, -v4 :: v_dual_fmac_f32 v33, v49, v46
	v_dual_add_f32 v44, v44, v4 :: v_dual_add_f32 v45, v45, v33
	s_or_b32 exec_lo, exec_lo, s61
	s_and_saveexec_b32 s61, s21
	s_cbranch_execz .LBB50_746
.LBB50_1101:                            ;   in Loop: Header=BB50_3 Depth=1
	ds_load_b64 v[46:47], v80 offset:15360
	ds_load_b64 v[48:49], v64 offset:16112
	s_wait_dscnt 0x0
	v_dual_mul_f32 v4, v49, v47 :: v_dual_mul_f32 v99, v48, v47
	s_delay_alu instid0(VALU_DEP_1) | instskip(NEXT) | instid1(VALU_DEP_1)
	v_dual_fma_f32 v98, v48, v46, -v4 :: v_dual_fmac_f32 v99, v49, v46
	v_pk_add_f32 v[44:45], v[44:45], v[98:99]
	s_or_b32 exec_lo, exec_lo, s61
	s_and_saveexec_b32 s61, s2
	s_cbranch_execnz .LBB50_747
	s_branch .LBB50_748
.LBB50_1102:                            ;   in Loop: Header=BB50_3 Depth=1
	ds_load_b64 v[46:47], v76 offset:6720
	ds_load_b64 v[48:49], v58 offset:7784
	s_wait_dscnt 0x0
	v_dual_mul_f32 v4, v49, v47 :: v_dual_mul_f32 v33, v48, v47
	s_delay_alu instid0(VALU_DEP_1) | instskip(NEXT) | instid1(VALU_DEP_1)
	v_dual_fma_f32 v4, v48, v46, -v4 :: v_dual_fmac_f32 v33, v49, v46
	v_dual_add_f32 v44, v44, v4 :: v_dual_add_f32 v45, v45, v33
	s_or_b32 exec_lo, exec_lo, s61
	s_and_saveexec_b32 s61, s17
	s_cbranch_execz .LBB50_836
.LBB50_1103:                            ;   in Loop: Header=BB50_3 Depth=1
	ds_load_b64 v[46:47], v76 offset:7232
	ds_load_b64 v[48:49], v58 offset:7792
	s_wait_dscnt 0x0
	v_dual_mul_f32 v4, v49, v47 :: v_dual_mul_f32 v99, v48, v47
	s_delay_alu instid0(VALU_DEP_1) | instskip(NEXT) | instid1(VALU_DEP_1)
	v_dual_fma_f32 v98, v48, v46, -v4 :: v_dual_fmac_f32 v99, v49, v46
	v_pk_add_f32 v[44:45], v[44:45], v[98:99]
	s_or_b32 exec_lo, exec_lo, s61
	s_and_saveexec_b32 s61, s0
	s_cbranch_execnz .LBB50_837
	s_branch .LBB50_838
.LBB50_1104:                            ;   in Loop: Header=BB50_3 Depth=1
	ds_load_b64 v[46:47], v78 offset:4608
	ds_load_b64 v[48:49], v62 offset:7752
	s_wait_dscnt 0x0
	v_dual_mul_f32 v4, v49, v47 :: v_dual_mul_f32 v33, v48, v47
	s_delay_alu instid0(VALU_DEP_1) | instskip(NEXT) | instid1(VALU_DEP_1)
	v_dual_fma_f32 v4, v48, v46, -v4 :: v_dual_fmac_f32 v33, v49, v46
	v_dual_add_f32 v44, v44, v4 :: v_dual_add_f32 v45, v45, v33
	s_or_b32 exec_lo, exec_lo, s61
	s_and_saveexec_b32 s61, s19
	s_cbranch_execz .LBB50_878
.LBB50_1105:                            ;   in Loop: Header=BB50_3 Depth=1
	ds_load_b64 v[46:47], v78 offset:5120
	ds_load_b64 v[48:49], v62 offset:7760
	s_wait_dscnt 0x0
	v_dual_mul_f32 v4, v49, v47 :: v_dual_mul_f32 v33, v48, v47
	s_delay_alu instid0(VALU_DEP_1) | instskip(NEXT) | instid1(VALU_DEP_1)
	v_dual_fma_f32 v4, v48, v46, -v4 :: v_dual_fmac_f32 v33, v49, v46
	v_dual_add_f32 v44, v44, v4 :: v_dual_add_f32 v45, v45, v33
	s_or_b32 exec_lo, exec_lo, s61
	s_and_saveexec_b32 s61, s20
	s_cbranch_execz .LBB50_879
.LBB50_1106:                            ;   in Loop: Header=BB50_3 Depth=1
	ds_load_b64 v[46:47], v78 offset:5632
	ds_load_b64 v[48:49], v62 offset:7768
	s_wait_dscnt 0x0
	v_dual_mul_f32 v4, v49, v47 :: v_dual_mul_f32 v33, v48, v47
	s_delay_alu instid0(VALU_DEP_1) | instskip(NEXT) | instid1(VALU_DEP_1)
	v_dual_fma_f32 v4, v48, v46, -v4 :: v_dual_fmac_f32 v33, v49, v46
	v_dual_add_f32 v44, v44, v4 :: v_dual_add_f32 v45, v45, v33
	s_or_b32 exec_lo, exec_lo, s61
	s_and_saveexec_b32 s61, s21
	s_cbranch_execz .LBB50_880
.LBB50_1107:                            ;   in Loop: Header=BB50_3 Depth=1
	ds_load_b64 v[46:47], v78 offset:6144
	ds_load_b64 v[48:49], v62 offset:7776
	s_wait_dscnt 0x0
	v_dual_mul_f32 v4, v49, v47 :: v_dual_mul_f32 v99, v48, v47
	s_delay_alu instid0(VALU_DEP_1) | instskip(NEXT) | instid1(VALU_DEP_1)
	v_dual_fma_f32 v98, v48, v46, -v4 :: v_dual_fmac_f32 v99, v49, v46
	v_pk_add_f32 v[44:45], v[44:45], v[98:99]
	s_or_b32 exec_lo, exec_lo, s61
	s_and_saveexec_b32 s61, s22
	s_cbranch_execz .LBB50_881
.LBB50_1108:                            ;   in Loop: Header=BB50_3 Depth=1
	ds_load_b64 v[46:47], v78 offset:6656
	ds_load_b64 v[48:49], v62 offset:7784
	s_wait_dscnt 0x0
	v_pk_mul_f32 v[98:99], v[48:49], v[46:47] op_sel:[1,1] op_sel_hi:[0,1]
	s_delay_alu instid0(VALU_DEP_1) | instskip(SKIP_1) | instid1(VALU_DEP_2)
	v_pk_fma_f32 v[100:101], v[48:49], v[46:47], v[98:99] op_sel_hi:[1,0,1]
	v_pk_fma_f32 v[46:47], v[48:49], v[46:47], v[98:99] neg_lo:[0,0,1] neg_hi:[0,0,1]
	v_mov_b32_e32 v47, v101
	s_delay_alu instid0(VALU_DEP_1)
	v_pk_add_f32 v[44:45], v[44:45], v[46:47]
	s_or_b32 exec_lo, exec_lo, s61
	s_and_saveexec_b32 s61, s2
	s_cbranch_execz .LBB50_882
.LBB50_1109:                            ;   in Loop: Header=BB50_3 Depth=1
	ds_load_b64 v[46:47], v78 offset:7168
	ds_load_b64 v[48:49], v62 offset:7792
	s_wait_dscnt 0x0
	v_pk_mul_f32 v[98:99], v[48:49], v[46:47] op_sel:[1,1] op_sel_hi:[0,1]
	s_delay_alu instid0(VALU_DEP_1) | instskip(SKIP_1) | instid1(VALU_DEP_2)
	v_pk_fma_f32 v[100:101], v[48:49], v[46:47], v[98:99] op_sel_hi:[1,0,1]
	v_pk_fma_f32 v[46:47], v[48:49], v[46:47], v[98:99] neg_lo:[0,0,1] neg_hi:[0,0,1]
	v_mov_b32_e32 v47, v101
	s_delay_alu instid0(VALU_DEP_1)
	v_pk_add_f32 v[44:45], v[44:45], v[46:47]
	s_or_b32 exec_lo, exec_lo, s61
	s_and_saveexec_b32 s61, s17
	s_cbranch_execnz .LBB50_883
	s_branch .LBB50_884
.LBB50_1110:                            ;   in Loop: Header=BB50_3 Depth=1
	ds_load_b64 v[46:47], v76 offset:2560
	ds_load_b64 v[48:49], v58 offset:3624
	s_wait_dscnt 0x0
	v_dual_mul_f32 v4, v49, v47 :: v_dual_mul_f32 v33, v48, v47
	s_delay_alu instid0(VALU_DEP_1) | instskip(NEXT) | instid1(VALU_DEP_1)
	v_dual_fma_f32 v4, v48, v46, -v4 :: v_dual_fmac_f32 v33, v49, v46
	v_dual_add_f32 v44, v44, v4 :: v_dual_add_f32 v45, v45, v33
	s_or_b32 exec_lo, exec_lo, s61
	s_and_saveexec_b32 s61, s17
	s_cbranch_execz .LBB50_940
.LBB50_1111:                            ;   in Loop: Header=BB50_3 Depth=1
	ds_load_b64 v[46:47], v76 offset:3072
	ds_load_b64 v[48:49], v58 offset:3632
	s_wait_dscnt 0x0
	v_dual_mul_f32 v4, v49, v47 :: v_dual_mul_f32 v99, v48, v47
	s_delay_alu instid0(VALU_DEP_1) | instskip(NEXT) | instid1(VALU_DEP_1)
	v_dual_fma_f32 v98, v48, v46, -v4 :: v_dual_fmac_f32 v99, v49, v46
	v_pk_add_f32 v[44:45], v[44:45], v[98:99]
	s_or_b32 exec_lo, exec_lo, s61
	s_and_saveexec_b32 s61, s0
	s_cbranch_execnz .LBB50_941
	s_branch .LBB50_942
.LBB50_1112:
	s_endpgm
	.section	.rodata,"a",@progbits
	.p2align	6, 0x0
	.amdhsa_kernel _ZL19rocblas_trsv_deviceILi64ELi16ELb0ELb1ELb0ELb1E19rocblas_complex_numIfEPKS1_S3_PS1_EviT7_lllT6_T8_lllPii
		.amdhsa_group_segment_fixed_size 41480
		.amdhsa_private_segment_fixed_size 48
		.amdhsa_kernarg_size 352
		.amdhsa_user_sgpr_count 2
		.amdhsa_user_sgpr_dispatch_ptr 0
		.amdhsa_user_sgpr_queue_ptr 0
		.amdhsa_user_sgpr_kernarg_segment_ptr 1
		.amdhsa_user_sgpr_dispatch_id 0
		.amdhsa_user_sgpr_kernarg_preload_length 0
		.amdhsa_user_sgpr_kernarg_preload_offset 0
		.amdhsa_user_sgpr_private_segment_size 0
		.amdhsa_wavefront_size32 1
		.amdhsa_uses_dynamic_stack 0
		.amdhsa_enable_private_segment 1
		.amdhsa_system_sgpr_workgroup_id_x 1
		.amdhsa_system_sgpr_workgroup_id_y 0
		.amdhsa_system_sgpr_workgroup_id_z 1
		.amdhsa_system_sgpr_workgroup_info 0
		.amdhsa_system_vgpr_workitem_id 1
		.amdhsa_next_free_vgpr 108
		.amdhsa_next_free_sgpr 105
		.amdhsa_named_barrier_count 0
		.amdhsa_reserve_vcc 1
		.amdhsa_float_round_mode_32 0
		.amdhsa_float_round_mode_16_64 0
		.amdhsa_float_denorm_mode_32 3
		.amdhsa_float_denorm_mode_16_64 3
		.amdhsa_fp16_overflow 0
		.amdhsa_memory_ordered 1
		.amdhsa_forward_progress 1
		.amdhsa_inst_pref_size 255
		.amdhsa_round_robin_scheduling 0
		.amdhsa_exception_fp_ieee_invalid_op 0
		.amdhsa_exception_fp_denorm_src 0
		.amdhsa_exception_fp_ieee_div_zero 0
		.amdhsa_exception_fp_ieee_overflow 0
		.amdhsa_exception_fp_ieee_underflow 0
		.amdhsa_exception_fp_ieee_inexact 0
		.amdhsa_exception_int_div_zero 0
	.end_amdhsa_kernel
	.section	.text._ZL19rocblas_trsv_deviceILi64ELi16ELb0ELb1ELb0ELb1E19rocblas_complex_numIfEPKS1_S3_PS1_EviT7_lllT6_T8_lllPii,"axG",@progbits,_ZL19rocblas_trsv_deviceILi64ELi16ELb0ELb1ELb0ELb1E19rocblas_complex_numIfEPKS1_S3_PS1_EviT7_lllT6_T8_lllPii,comdat
.Lfunc_end50:
	.size	_ZL19rocblas_trsv_deviceILi64ELi16ELb0ELb1ELb0ELb1E19rocblas_complex_numIfEPKS1_S3_PS1_EviT7_lllT6_T8_lllPii, .Lfunc_end50-_ZL19rocblas_trsv_deviceILi64ELi16ELb0ELb1ELb0ELb1E19rocblas_complex_numIfEPKS1_S3_PS1_EviT7_lllT6_T8_lllPii
                                        ; -- End function
	.set _ZL19rocblas_trsv_deviceILi64ELi16ELb0ELb1ELb0ELb1E19rocblas_complex_numIfEPKS1_S3_PS1_EviT7_lllT6_T8_lllPii.num_vgpr, 108
	.set _ZL19rocblas_trsv_deviceILi64ELi16ELb0ELb1ELb0ELb1E19rocblas_complex_numIfEPKS1_S3_PS1_EviT7_lllT6_T8_lllPii.num_agpr, 0
	.set _ZL19rocblas_trsv_deviceILi64ELi16ELb0ELb1ELb0ELb1E19rocblas_complex_numIfEPKS1_S3_PS1_EviT7_lllT6_T8_lllPii.numbered_sgpr, 105
	.set _ZL19rocblas_trsv_deviceILi64ELi16ELb0ELb1ELb0ELb1E19rocblas_complex_numIfEPKS1_S3_PS1_EviT7_lllT6_T8_lllPii.num_named_barrier, 0
	.set _ZL19rocblas_trsv_deviceILi64ELi16ELb0ELb1ELb0ELb1E19rocblas_complex_numIfEPKS1_S3_PS1_EviT7_lllT6_T8_lllPii.private_seg_size, 48
	.set _ZL19rocblas_trsv_deviceILi64ELi16ELb0ELb1ELb0ELb1E19rocblas_complex_numIfEPKS1_S3_PS1_EviT7_lllT6_T8_lllPii.uses_vcc, 1
	.set _ZL19rocblas_trsv_deviceILi64ELi16ELb0ELb1ELb0ELb1E19rocblas_complex_numIfEPKS1_S3_PS1_EviT7_lllT6_T8_lllPii.uses_flat_scratch, 0
	.set _ZL19rocblas_trsv_deviceILi64ELi16ELb0ELb1ELb0ELb1E19rocblas_complex_numIfEPKS1_S3_PS1_EviT7_lllT6_T8_lllPii.has_dyn_sized_stack, 0
	.set _ZL19rocblas_trsv_deviceILi64ELi16ELb0ELb1ELb0ELb1E19rocblas_complex_numIfEPKS1_S3_PS1_EviT7_lllT6_T8_lllPii.has_recursion, 0
	.set _ZL19rocblas_trsv_deviceILi64ELi16ELb0ELb1ELb0ELb1E19rocblas_complex_numIfEPKS1_S3_PS1_EviT7_lllT6_T8_lllPii.has_indirect_call, 0
	.section	.AMDGPU.csdata,"",@progbits
; Kernel info:
; codeLenInByte = 41292
; TotalNumSgprs: 107
; NumVgprs: 108
; ScratchSize: 48
; MemoryBound: 0
; FloatMode: 240
; IeeeMode: 1
; LDSByteSize: 41480 bytes/workgroup (compile time only)
; SGPRBlocks: 0
; VGPRBlocks: 6
; NumSGPRsForWavesPerEU: 107
; NumVGPRsForWavesPerEU: 108
; NamedBarCnt: 0
; Occupancy: 9
; WaveLimiterHint : 0
; COMPUTE_PGM_RSRC2:SCRATCH_EN: 1
; COMPUTE_PGM_RSRC2:USER_SGPR: 2
; COMPUTE_PGM_RSRC2:TRAP_HANDLER: 0
; COMPUTE_PGM_RSRC2:TGID_X_EN: 1
; COMPUTE_PGM_RSRC2:TGID_Y_EN: 0
; COMPUTE_PGM_RSRC2:TGID_Z_EN: 1
; COMPUTE_PGM_RSRC2:TIDIG_COMP_CNT: 1
	.section	.text._ZL19rocblas_trsv_deviceILi64ELi16ELb0ELb1ELb1ELb1E19rocblas_complex_numIfEPKS1_S3_PS1_EviT7_lllT6_T8_lllPii,"axG",@progbits,_ZL19rocblas_trsv_deviceILi64ELi16ELb0ELb1ELb1ELb1E19rocblas_complex_numIfEPKS1_S3_PS1_EviT7_lllT6_T8_lllPii,comdat
	.globl	_ZL19rocblas_trsv_deviceILi64ELi16ELb0ELb1ELb1ELb1E19rocblas_complex_numIfEPKS1_S3_PS1_EviT7_lllT6_T8_lllPii ; -- Begin function _ZL19rocblas_trsv_deviceILi64ELi16ELb0ELb1ELb1ELb1E19rocblas_complex_numIfEPKS1_S3_PS1_EviT7_lllT6_T8_lllPii
	.p2align	8
	.type	_ZL19rocblas_trsv_deviceILi64ELi16ELb0ELb1ELb1ELb1E19rocblas_complex_numIfEPKS1_S3_PS1_EviT7_lllT6_T8_lllPii,@function
_ZL19rocblas_trsv_deviceILi64ELi16ELb0ELb1ELb1ELb1E19rocblas_complex_numIfEPKS1_S3_PS1_EviT7_lllT6_T8_lllPii: ; @_ZL19rocblas_trsv_deviceILi64ELi16ELb0ELb1ELb1ELb1E19rocblas_complex_numIfEPKS1_S3_PS1_EviT7_lllT6_T8_lllPii
; %bb.0:
	s_load_b32 s84, s[0:1], 0x58
	s_bfe_u32 s2, ttmp6, 0x40014
	s_lshr_b32 s3, ttmp7, 16
	s_add_co_i32 s2, s2, 1
	s_bfe_u32 s5, ttmp6, 0x40008
	s_mul_i32 s4, s3, s2
	s_getreg_b32 s2, hwreg(HW_REG_IB_STS2, 6, 4)
	s_add_co_i32 s5, s5, s4
	s_cmp_eq_u32 s2, 0
	s_mov_b32 s77, 0
	s_cselect_b32 s76, s3, s5
	s_wait_kmcnt 0x0
	s_cmp_ge_u32 s76, s84
	s_cbranch_scc1 .LBB51_1126
; %bb.1:
	s_clause 0x2
	s_load_b512 s[56:71], s[0:1], 0x8
	s_load_b32 s3, s[0:1], 0x6c
	s_load_b32 s85, s[0:1], 0x0
	s_bfe_u32 s5, ttmp6, 0x4000c
	s_and_b32 s4, ttmp6, 15
	s_add_co_i32 s5, s5, 1
	s_load_b128 s[72:75], s[0:1], 0x48
	s_wait_xcnt 0x0
	s_mul_i32 s0, ttmp9, s5
	v_bfe_u32 v2, v0, 10, 10
	s_add_co_i32 s4, s4, s0
	v_and_b32_e32 v6, 0x3ff, v0
	v_dual_mov_b32 v5, 0 :: v_dual_bitop2_b32 v23, 1, v0 bitop3:0x40
	s_delay_alu instid0(VALU_DEP_3) | instskip(SKIP_1) | instid1(VALU_DEP_4)
	v_add_nc_u32_e32 v20, 32, v2
                                        ; implicit-def: $vgpr111 : SGPR spill to VGPR lane
	v_add_nc_u32_e32 v18, 16, v2
	v_lshl_add_u32 v27, v2, 6, v6
	s_delay_alu instid0(VALU_DEP_4)
	v_dual_lshlrev_b32 v1, 6, v6 :: v_dual_mov_b32 v9, v5
	v_dual_add_nc_u32 v22, 48, v2 :: v_dual_bitop2_b32 v24, 3, v0 bitop3:0x40
	s_wait_kmcnt 0x0
	s_lshl_b64 s[12:13], s[58:59], 3
	s_lshl_b64 s[14:15], s[68:69], 3
	s_cmp_eq_u32 s2, 0
	v_lshl_add_u32 v10, v18, 6, v6
	s_cselect_b32 s86, ttmp9, s4
	s_add_co_i32 s1, s85, -1
	s_ashr_i32 s2, s85, 31
	s_and_b32 s0, s3, 0xffff
	s_ashr_i32 s3, s1, 31
	s_lshr_b32 s2, s2, 26
	s_lshr_b32 s3, s3, 26
	s_add_co_i32 s2, s85, s2
	s_add_co_i32 s1, s1, s3
	s_and_not1_b32 s2, s2, 63
	s_ashr_i32 s1, s1, 6
	s_sub_co_i32 s18, s85, s2
	s_cmp_eq_u32 s1, s86
	v_mad_u32_u24 v8, v2, s0, v6
	s_cselect_b32 s1, -1, 0
	s_cmp_lg_u32 s18, 0
	v_sub_co_u32 v7, s2, s86, 1
	s_cselect_b32 s0, -1, 0
	s_lshl_b32 s16, s86, 6
	s_and_b32 s19, s0, s1
	s_xor_b32 s0, s2, -1
	s_xor_b32 s88, s19, -1
	s_cmp_lt_i32 s86, 5
	v_writelane_b32 v111, s0, 0
	s_cselect_b32 vcc_lo, -1, 0
	s_add_nc_u64 s[0:1], s[60:61], 1
	s_ashr_i32 s17, s16, 31
	v_cmp_eq_u32_e64 s2, 1, v23
	s_mul_u64 s[10:11], s[0:1], s[16:17]
	v_cmp_gt_u32_e64 s0, 4, v27
	v_cmp_eq_u32_e64 s3, 0, v23
	v_dual_add_nc_u32 v3, v2, v1 :: v_dual_add_nc_u32 v19, s16, v2
	v_dual_add_nc_u32 v4, v18, v1 :: v_dual_add_nc_u32 v16, s16, v6
	v_cmp_eq_u32_e64 s1, 0, v2
	v_cmp_gt_u32_e64 s4, 2, v6
	s_and_b32 s90, s2, s0
	s_and_b32 s91, s3, s0
	v_cmp_gt_u32_e64 s2, 16, v27
	v_cmp_eq_u32_e64 s3, 3, v24
	v_cmp_ne_u32_e64 s5, 3, v24
	v_cmp_eq_u32_e64 s6, 2, v24
	v_dual_cndmask_b32 v3, v27, v3, vcc_lo :: v_dual_bitop2_b32 v25, 7, v0 bitop3:0x40
	s_or_b32 vcc_lo, vcc_lo, s19
	s_and_b32 s92, s1, s4
	v_cndmask_b32_e32 v21, v10, v4, vcc_lo
	s_and_b32 s93, s3, s2
	s_and_b32 s94, s5, s2
	;; [unrolled: 1-line block ×3, first 2 shown]
	v_cmp_eq_u32_e64 s4, 1, v24
	v_cmp_eq_u32_e64 s5, 0, v24
	v_cmp_gt_u32_e64 s6, 4, v6
	v_cmp_gt_u32_e64 s3, 64, v27
	v_add_nc_u32_e32 v10, v20, v1
	v_cmp_ne_u32_e64 s8, 7, v25
	s_and_b32 s97, s4, s2
	s_and_b32 s98, s5, s2
	;; [unrolled: 1-line block ×3, first 2 shown]
	v_cmp_eq_u32_e64 s4, 6, v25
	s_and_b32 s101, s8, s3
	v_cmp_gt_u32_e64 s5, 6, v25
	v_cmp_eq_u32_e64 s6, 5, v25
	v_cmp_eq_u32_e64 s8, 4, v25
	v_cmp_gt_u32_e64 s7, 2, v24
	s_and_b32 s102, s4, s3
	s_and_b32 s103, s5, s3
	;; [unrolled: 1-line block ×4, first 2 shown]
	v_cmp_gt_u32_e64 s4, 4, v25
	v_cmp_eq_u32_e64 s5, 3, v25
	v_cmp_gt_u32_e64 s6, 3, v25
	v_cmp_gt_u32_e64 s8, 2, v25
	v_dual_add_nc_u32 v1, v22, v1 :: v_dual_bitop2_b32 v26, 15, v0 bitop3:0x40
	s_and_b32 s96, s7, s2
	v_cmp_eq_u32_e64 s7, 7, v25
	s_and_b32 s39, s4, s3
	s_and_b32 s40, s5, s3
	;; [unrolled: 1-line block ×4, first 2 shown]
	v_cmp_eq_u32_e64 s5, 1, v25
	v_cmp_eq_u32_e64 s6, 0, v25
	v_cmp_gt_u32_e64 s4, 0x100, v27
	v_cmp_eq_u32_e64 s8, 15, v26
	s_and_b32 s100, s7, s3
	v_cmp_gt_u32_e64 s7, 5, v25
	s_and_b32 s44, s5, s3
	v_cmp_ne_u32_e64 s5, 15, v26
	s_and_b32 s45, s6, s3
	s_and_b32 s6, s8, s4
	s_and_b32 vcc_hi, s7, s3
	v_writelane_b32 v111, s6, 1
	v_cmp_eq_u32_e64 s7, 2, v25
	v_cmp_eq_u32_e64 s6, 14, v26
	s_and_b32 s5, s5, s4
	v_cmp_gt_u32_e64 s8, 13, v26
	v_writelane_b32 v111, s5, 2
	s_and_b32 s42, s7, s3
	v_cmp_gt_u32_e64 s7, 8, v6
	v_cmp_gt_u32_e64 s5, 14, v26
	s_and_b32 s6, s6, s4
	v_lshl_add_u32 v12, v22, 6, v6
	v_writelane_b32 v111, s6, 3
	s_and_b32 s46, s1, s7
	v_cmp_eq_u32_e64 s7, 13, v26
	s_and_b32 s5, s5, s4
	v_cmp_eq_u32_e64 s6, 12, v26
	v_writelane_b32 v111, s5, 4
	v_cndmask_b32_e32 v29, v12, v1, vcc_lo
	s_and_b32 s5, s7, s4
	v_cmp_gt_u32_e64 s7, 11, v26
	s_and_b32 s6, s6, s4
	v_writelane_b32 v111, s5, 5
	s_and_b32 s5, s8, s4
	v_cmp_eq_u32_e64 s8, 10, v26
	v_dual_lshrrev_b32 v1, 10, v0 :: v_dual_lshrrev_b32 v30, 1, v27
	v_writelane_b32 v111, s5, 6
	v_cmp_gt_u32_e64 s5, 12, v26
	s_and_b32 s59, s8, s4
	v_cmp_gt_u32_e64 s8, 8, v26
	v_bitop3_b32 v33, v0, v1, 0x3ff bitop3:0xa8
	v_writelane_b32 v111, s6, 7
	v_cmp_eq_u32_e64 s6, 11, v26
	s_and_b32 s5, s5, s4
	s_and_b32 s30, s8, s4
	v_cmp_eq_u32_e64 s8, 5, v26
	v_writelane_b32 v111, s5, 8
	s_and_b32 s6, s6, s4
	v_cmp_gt_u32_e64 s5, 10, v26
	v_dual_lshlrev_b32 v1, 9, v30 :: v_dual_lshlrev_b32 v52, 3, v23
	v_writelane_b32 v111, s6, 9
	s_and_b32 s6, s7, s4
	s_and_b32 s22, s5, s4
	v_cmp_gt_u32_e64 s5, 9, v26
	v_cmp_eq_u32_e64 s7, 8, v26
	v_writelane_b32 v111, s6, 10
	v_cmp_eq_u32_e64 s6, 9, v26
	s_and_b32 s27, s8, s4
	s_and_b32 s26, s5, s4
	v_cmp_gt_u32_e64 s5, 7, v26
	s_and_b32 s28, s7, s4
	s_and_b32 s24, s6, s4
	v_cmp_eq_u32_e64 s6, 7, v26
	v_cmp_gt_u32_e64 s7, 6, v26
	s_and_b32 s37, s5, s4
	v_cmp_gt_u32_e64 s5, 5, v26
	v_cmp_gt_u32_e64 s8, 3, v26
	s_and_b32 s33, s6, s4
	v_cmp_eq_u32_e64 s6, 6, v26
	s_and_b32 s25, s7, s4
	s_and_b32 s29, s5, s4
	v_cmp_gt_u32_e64 s5, 4, v26
	v_cmp_eq_u32_e64 s7, 3, v26
	s_and_b32 s23, s6, s4
	v_cmp_eq_u32_e64 s6, 4, v26
	v_dual_lshrrev_b32 v23, 2, v27 :: v_dual_sub_nc_u32 v55, 0, v1
	s_and_b32 s87, s5, s4
	v_cmp_gt_u32_e64 s5, 2, v26
	s_and_b32 s31, s6, s4
	v_cmp_eq_u32_e64 s6, 2, v26
	v_cmp_le_i32_e64 s9, s18, v6
	v_lshl_add_u32 v11, v20, 6, v6
	s_and_b32 s47, s7, s4
	s_and_b32 s48, s8, s4
	;; [unrolled: 1-line block ×3, first 2 shown]
	v_cmp_eq_u32_e64 s6, 1, v26
	v_cmp_eq_u32_e64 s7, 0, v26
	v_cmp_gt_u32_e64 s8, 16, v6
	s_and_b32 s50, s5, s4
	v_cmp_gt_u32_e64 s5, 32, v6
	v_dual_sub_nc_u32 v56, v52, v1 :: v_dual_lshlrev_b32 v1, 9, v23
	v_lshl_add_u32 v58, v23, 3, 0x8000
	v_dual_lshlrev_b32 v23, 6, v27 :: v_dual_lshlrev_b32 v59, 3, v24
	s_and_b32 s53, s9, s19
	s_xor_b32 s89, vcc_lo, -1
	v_dual_add_nc_u32 v4, s16, v8 :: v_dual_cndmask_b32 v28, v11, v10, vcc_lo
	s_and_b32 s51, s6, s4
	s_xor_b32 s6, s53, -1
	v_cmp_le_i32_e32 vcc_lo, s18, v20
	v_add_nc_u64_e32 v[14:15], s[16:17], v[8:9]
	s_and_b32 s52, s7, s4
	s_and_b32 s54, s1, s8
	;; [unrolled: 1-line block ×4, first 2 shown]
	v_lshlrev_b32_e32 v9, 3, v6
	v_and_b32_e32 v23, 0xfffffe00, v23
	v_lshlrev_b32_e32 v63, 3, v25
	s_cmp_gt_i32 s86, 0
	v_dual_sub_nc_u32 v60, 0, v1 :: v_dual_bitop2_b32 v24, -8, v27 bitop3:0x40
	s_cselect_b32 s58, -1, 0
	s_or_b32 s16, vcc_lo, s9
	v_cmp_le_i32_e32 vcc_lo, s18, v22
	v_mad_u32_u24 v49, 0x1f8, v6, v9
	v_dual_sub_nc_u32 v62, v59, v1 :: v_dual_sub_nc_u32 v66, 0, v23
	v_lshrrev_b32_e32 v1, 4, v27
	v_dual_sub_nc_u32 v67, v63, v23 :: v_dual_bitop2_b32 v69, 31, v0 bitop3:0x40
	v_lshrrev_b32_e32 v23, 5, v27
	v_writelane_b32 v111, s5, 11
	v_cmp_le_i32_e64 s5, s18, v2
	s_or_b32 s17, vcc_lo, s9
	v_cmp_gt_i32_e32 vcc_lo, s18, v6
	v_subrev_nc_u32_e32 v10, 64, v19
	v_ashrrev_i32_e32 v17, 31, v16
	v_mad_i32_i24 v50, 0xfffffe08, v6, v49
	v_dual_lshlrev_b32 v0, 9, v1 :: v_dual_lshlrev_b32 v70, 3, v26
	v_lshl_add_u32 v71, v1, 3, 0x8000
	v_dual_lshlrev_b32 v1, 9, v23 :: v_dual_lshlrev_b32 v72, 3, v69
	s_delay_alu instid0(VALU_DEP_3)
	v_sub_nc_u32_e32 v73, 0, v0
	s_or_b32 s7, s5, s9
	s_and_b32 s5, s1, vcc_lo
	v_cmp_le_i32_e64 s6, s18, v18
	v_ashrrev_i32_e32 v11, 31, v10
	v_mul_u64_e32 v[12:13], s[60:61], v[16:17]
	v_mad_u32_u24 v51, 0x1f8, v6, v50
	v_dual_sub_nc_u32 v74, v70, v0 :: v_dual_sub_nc_u32 v76, 0, v1
	v_sub_nc_u32_e32 v77, v72, v1
	v_mul_u64_e32 v[0:1], s[70:71], v[16:17]
	v_writelane_b32 v111, s5, 12
	v_subrev_nc_u32_e32 v17, 48, v19
	v_cmp_gt_i32_e64 s5, s85, v16
	v_cmp_gt_i32_e32 vcc_lo, s85, v10
	s_or_b32 s8, s6, s9
	v_mad_i32_i24 v53, 0xfffffe08, v6, v51
	v_subrev_nc_u32_e32 v16, 32, v19
	s_add_nc_u64 s[68:69], s[56:57], s[12:13]
	s_and_b32 s6, vcc_lo, s5
	v_cmp_gt_i32_e32 vcc_lo, s85, v17
	v_writelane_b32 v111, s6, 13
	v_mad_u32_u24 v57, 0x1f8, v6, v53
	v_dual_add_nc_u32 v17, -16, v19 :: v_dual_bitop2_b32 v35, v18, v6 bitop3:0x54
	v_lshlrev_b32_e32 v26, 3, v6
	s_and_b32 s6, vcc_lo, s5
	v_cmp_gt_i32_e32 vcc_lo, s85, v16
	v_writelane_b32 v111, s6, 14
	v_mad_i32_i24 v61, 0xfffffe08, v6, v57
	v_lshlrev_b32_e32 v16, 3, v2
	s_lshl_b64 s[78:79], s[10:11], 3
	s_and_b32 s6, vcc_lo, s5
	v_cmp_gt_i32_e32 vcc_lo, s85, v17
	v_writelane_b32 v111, s6, 15
	v_mad_u32_u24 v64, 0x1f8, v6, v61
	v_or_b32_e32 v87, 0xa000, v16
	v_cmp_gt_u32_e64 s11, 64, v33
	s_and_b32 s6, vcc_lo, s5
	v_or_b32_e32 v37, v20, v6
	v_writelane_b32 v111, s6, 16
	v_cmp_ge_u32_e64 s6, v6, v2
	v_mad_i32_i24 v68, 0xfffffe08, v6, v64
	v_add_nc_u32_e32 v95, v87, v9
                                        ; implicit-def: $vgpr110 : SGPR spill to VGPR lane
	v_or_b32_e32 v39, v22, v6
	v_lshl_add_u32 v75, v23, 3, 0x8000
	s_or_b32 s7, s7, s6
	v_mad_u32_u24 v78, 0x1f8, v6, v68
	v_writelane_b32 v111, s7, 17
	v_cmp_ge_u32_e64 s7, v6, v18
	v_dual_mov_b32 v19, v5 :: v_dual_lshlrev_b32 v82, 3, v21
	s_delay_alu instid0(VALU_DEP_4)
	v_mad_i32_i24 v79, 0xfffffe08, v6, v78
	v_dual_lshlrev_b32 v83, 3, v28 :: v_dual_mov_b32 v21, v5
	s_or_b32 s8, s8, s7
	v_dual_lshlrev_b32 v85, 3, v29 :: v_dual_mov_b32 v23, v5
	v_writelane_b32 v111, s8, 18
	v_cmp_ge_u32_e64 s8, v6, v20
	v_mad_u32_u24 v80, 0x1f8, v6, v79
	v_mul_i32_i24_e32 v89, 0xfffffe08, v6
	v_dual_lshlrev_b32 v81, 3, v3 :: v_dual_mov_b32 v3, v5
	s_or_b32 s9, s16, s8
	s_delay_alu instid0(VALU_DEP_3)
	v_mad_i32_i24 v84, 0xfffffe08, v6, v80
	v_writelane_b32 v111, s9, 19
	v_cmp_ge_u32_e64 s9, v6, v22
	v_add_nc_u32_e32 v65, 0x8000, v24
	v_mul_u64_e32 v[14:15], s[70:71], v[14:15]
	v_mad_u32_u24 v86, 0x1f8, v6, v84
	v_mul_u64_e32 v[24:25], s[60:61], v[2:3]
	s_or_b32 s12, s17, s9
	v_lshl_add_u32 v54, v30, 3, 0x8000
	v_writelane_b32 v111, s12, 20
	v_add_nc_u32_e32 v88, v86, v16
	v_mul_u64_e32 v[16:17], s[60:61], v[18:19]
	v_mul_u64_e32 v[18:19], s[60:61], v[20:21]
	;; [unrolled: 1-line block ×3, first 2 shown]
	v_writelane_b32 v111, s11, 21
	v_cmp_gt_u32_e64 s11, 64, v35
	v_mad_u32_u24 v23, 0x1f8, v6, v89
	v_cmp_lt_u32_e32 vcc_lo, 0x3ff, v27
	v_mov_b64_e32 v[28:29], 0
	v_mov_b64_e32 v[30:31], 0x3f800000
	v_writelane_b32 v111, s11, 22
	v_cmp_gt_u32_e64 s11, 64, v37
	v_mad_u32 v90, v23, 7, v9
	v_mul_u64_e32 v[22:23], s[70:71], v[4:5]
	s_add_nc_u64 s[66:67], s[66:67], s[14:15]
	v_lshl_add_u32 v91, v8, 3, 0xa000
	v_writelane_b32 v111, s11, 23
	v_cmp_gt_u32_e64 s11, 0xf0, v27
	v_lshl_add_u32 v92, v27, 3, 0x8000
	v_add_nc_u32_e32 v93, 0x8000, v9
	v_lshl_add_u32 v94, v2, 9, v79
	v_or_b32_e32 v96, 0x3800, v72
	v_writelane_b32 v111, s11, 24
	v_cmp_gt_u32_e64 s11, 0xe0, v27
	v_subrev_nc_u32_e32 v97, 31, v69
	v_cmp_eq_u32_e64 s10, 0, v33
	v_cmp_gt_u32_e64 s14, 2, v27
	v_cmp_gt_u32_e64 s15, 12, v27
	v_writelane_b32 v111, s11, 25
	v_cmp_gt_u32_e64 s11, 0xd0, v27
	v_cmp_gt_u32_e64 s16, 8, v27
	;; [unrolled: 1-line block ×5, first 2 shown]
	v_writelane_b32 v111, s11, 26
	v_cmp_gt_u32_e64 s11, 0xc0, v27
	v_cmp_gt_u32_e64 s20, 32, v27
	;; [unrolled: 1-line block ×5, first 2 shown]
	v_writelane_b32 v111, s11, 27
	v_cmp_gt_u32_e64 s11, 0xb0, v27
	v_cmp_eq_u32_e64 s35, 0, v8
	v_cmp_gt_u32_e64 s36, 64, v8
	s_xor_b32 s56, vcc_lo, -1
                                        ; implicit-def: $vgpr32
                                        ; implicit-def: $vgpr34
                                        ; implicit-def: $vgpr36
                                        ; implicit-def: $vgpr38
	v_writelane_b32 v111, s11, 28
	v_cmp_gt_u32_e64 s11, 0xa0, v27
	s_delay_alu instid0(VALU_DEP_1) | instskip(SKIP_1) | instid1(VALU_DEP_1)
	v_writelane_b32 v111, s11, 29
	v_cmp_gt_u32_e64 s11, 0x90, v27
	v_writelane_b32 v111, s11, 30
	v_cmp_gt_u32_e64 s11, 0x80, v27
	s_delay_alu instid0(VALU_DEP_1) | instskip(SKIP_1) | instid1(VALU_DEP_1)
	v_writelane_b32 v111, s11, 31
	v_cmp_gt_u32_e64 s11, 0x70, v27
	v_writelane_b32 v110, s11, 0
	v_cmp_gt_u32_e64 s11, 0x50, v27
	s_delay_alu instid0(VALU_DEP_1) | instskip(SKIP_1) | instid1(VALU_DEP_1)
	v_writelane_b32 v110, s11, 1
	v_cmp_gt_u32_e64 s11, 64, v39
	v_writelane_b32 v110, s11, 2
	v_cmp_gt_u32_e64 s11, 0x3e0, v27
	s_delay_alu instid0(VALU_DEP_1) | instskip(SKIP_1) | instid1(VALU_DEP_1)
	v_writelane_b32 v110, s11, 3
	v_cmp_gt_u32_e64 s11, 0x3c0, v27
	v_writelane_b32 v110, s11, 4
	v_cmp_gt_u32_e64 s11, 0x3a0, v27
	s_delay_alu instid0(VALU_DEP_1) | instskip(SKIP_1) | instid1(VALU_DEP_1)
	v_writelane_b32 v110, s11, 5
	v_cmp_gt_u32_e64 s11, 0x380, v27
	v_writelane_b32 v110, s11, 6
	v_cmp_gt_u32_e64 s11, 0x360, v27
	s_delay_alu instid0(VALU_DEP_1) | instskip(SKIP_1) | instid1(VALU_DEP_1)
	v_writelane_b32 v110, s11, 7
	v_cmp_gt_u32_e64 s11, 0x340, v27
	v_writelane_b32 v110, s11, 8
	v_cmp_gt_u32_e64 s11, 0x320, v27
	s_delay_alu instid0(VALU_DEP_1) | instskip(SKIP_1) | instid1(VALU_DEP_1)
	v_writelane_b32 v110, s11, 9
	v_cmp_gt_u32_e64 s11, 0x300, v27
	v_writelane_b32 v110, s11, 10
	v_cmp_gt_u32_e64 s11, 0x2e0, v27
	s_delay_alu instid0(VALU_DEP_1) | instskip(SKIP_1) | instid1(VALU_DEP_1)
	v_writelane_b32 v110, s11, 11
	v_cmp_gt_u32_e64 s11, 0x2c0, v27
	v_writelane_b32 v110, s11, 12
	v_cmp_gt_u32_e64 s11, 0x2a0, v27
	s_delay_alu instid0(VALU_DEP_1) | instskip(SKIP_1) | instid1(VALU_DEP_1)
	v_writelane_b32 v110, s11, 13
	v_cmp_gt_u32_e64 s11, 0x280, v27
	v_writelane_b32 v110, s11, 14
	v_cmp_gt_u32_e64 s11, 0x260, v27
	s_delay_alu instid0(VALU_DEP_1) | instskip(SKIP_1) | instid1(VALU_DEP_1)
	v_writelane_b32 v110, s11, 15
	v_cmp_gt_u32_e64 s11, 0x240, v27
	v_writelane_b32 v110, s11, 16
	v_cmp_gt_u32_e64 s11, 0x220, v27
	s_delay_alu instid0(VALU_DEP_1) | instskip(SKIP_1) | instid1(VALU_DEP_1)
	v_writelane_b32 v110, s11, 17
	v_cmp_gt_u32_e64 s11, 0x200, v27
	v_writelane_b32 v110, s11, 18
	v_cmp_gt_u32_e64 s11, 0x1e0, v27
	s_delay_alu instid0(VALU_DEP_1) | instskip(SKIP_1) | instid1(VALU_DEP_1)
	v_writelane_b32 v110, s11, 19
	v_cmp_gt_u32_e64 s11, 0x1c0, v27
	v_writelane_b32 v110, s11, 20
	v_cmp_gt_u32_e64 s11, 0x1a0, v27
	s_delay_alu instid0(VALU_DEP_1) | instskip(SKIP_1) | instid1(VALU_DEP_1)
	v_writelane_b32 v110, s11, 21
	v_cmp_gt_u32_e64 s11, 0x180, v27
	v_writelane_b32 v110, s11, 22
	v_cmp_gt_u32_e64 s11, 0x160, v27
	s_delay_alu instid0(VALU_DEP_1) | instskip(SKIP_1) | instid1(VALU_DEP_1)
	v_writelane_b32 v110, s11, 23
	v_cmp_gt_u32_e64 s11, 0x140, v27
	v_writelane_b32 v110, s11, 24
	v_cmp_gt_u32_e64 s11, 0x120, v27
	s_delay_alu instid0(VALU_DEP_1)
	v_writelane_b32 v110, s11, 25
	s_branch .LBB51_3
.LBB51_2:                               ;   in Loop: Header=BB51_3 Depth=1
	s_wait_xcnt 0x0
	s_or_b32 exec_lo, exec_lo, s57
	s_add_co_i32 s76, s76, 0x10000
	global_wb scope:SCOPE_DEV
	s_wait_storecnt 0x0
	global_inv scope:SCOPE_DEV
	s_cmp_lt_u32 s76, s84
	s_cbranch_scc0 .LBB51_1126
.LBB51_3:                               ; =>This Loop Header: Depth=1
                                        ;     Child Loop BB51_536 Depth 2
                                        ;     Child Loop BB51_985 Depth 2
                                        ;       Child Loop BB51_987 Depth 3
                                        ;     Child Loop BB51_1031 Depth 2
	global_load_b64 v[42:43], v5, s[64:65]
	s_mul_u64 s[60:61], s[62:63], s[76:77]
	v_readlane_b32 s11, v111, 0
	s_lshl_b64 s[60:61], s[60:61], 3
	s_delay_alu instid0(SALU_CYCLE_1) | instskip(NEXT) | instid1(SALU_CYCLE_1)
	s_add_nc_u64 s[80:81], s[68:69], s[60:61]
	v_lshl_add_u64 v[40:41], v[12:13], 3, s[80:81]
	s_and_not1_b32 vcc_lo, exec_lo, s11
	s_cbranch_vccnz .LBB51_13
; %bb.4:                                ;   in Loop: Header=BB51_3 Depth=1
	s_delay_alu instid0(VALU_DEP_1)
	v_lshl_add_u64 v[44:45], v[10:11], 3, v[40:41]
	v_dual_mov_b32 v34, 0 :: v_dual_mov_b32 v32, 0
	v_mov_b32_e32 v33, 0
	v_readlane_b32 s11, v111, 13
	s_wait_loadcnt 0x0
	s_barrier_signal -1
	s_barrier_wait -1
	s_wait_xcnt 0x0
	s_and_saveexec_b32 s57, s11
	s_cbranch_execz .LBB51_6
; %bb.5:                                ;   in Loop: Header=BB51_3 Depth=1
	global_load_b64 v[32:33], v[44:45], off
.LBB51_6:                               ;   in Loop: Header=BB51_3 Depth=1
	s_wait_xcnt 0x0
	s_or_b32 exec_lo, exec_lo, s57
	v_mov_b32_e32 v35, 0
	v_readlane_b32 s11, v111, 14
	s_wait_loadcnt 0x0
	s_barrier_signal -1
	s_barrier_wait -1
	s_and_saveexec_b32 s57, s11
	s_cbranch_execz .LBB51_8
; %bb.7:                                ;   in Loop: Header=BB51_3 Depth=1
	global_load_b64 v[34:35], v[44:45], off offset:128
.LBB51_8:                               ;   in Loop: Header=BB51_3 Depth=1
	s_wait_xcnt 0x0
	s_or_b32 exec_lo, exec_lo, s57
	v_dual_mov_b32 v39, 0 :: v_dual_mov_b32 v36, 0
	v_mov_b32_e32 v37, 0
	v_readlane_b32 s11, v111, 15
	s_wait_loadcnt 0x0
	s_barrier_signal -1
	s_barrier_wait -1
	s_and_saveexec_b32 s57, s11
	s_cbranch_execz .LBB51_10
; %bb.9:                                ;   in Loop: Header=BB51_3 Depth=1
	global_load_b64 v[36:37], v[44:45], off offset:256
.LBB51_10:                              ;   in Loop: Header=BB51_3 Depth=1
	s_wait_xcnt 0x0
	s_or_b32 exec_lo, exec_lo, s57
	v_mov_b32_e32 v38, 0
	v_readlane_b32 s11, v111, 16
	s_wait_loadcnt 0x0
	s_barrier_signal -1
	s_barrier_wait -1
	s_and_saveexec_b32 s57, s11
	s_cbranch_execz .LBB51_12
; %bb.11:                               ;   in Loop: Header=BB51_3 Depth=1
	global_load_b64 v[38:39], v[44:45], off offset:384
.LBB51_12:                              ;   in Loop: Header=BB51_3 Depth=1
	s_wait_xcnt 0x0
	s_or_b32 exec_lo, exec_lo, s57
.LBB51_13:                              ;   in Loop: Header=BB51_3 Depth=1
	v_mov_b32_e32 v27, v5
	s_add_nc_u64 s[60:61], s[80:81], s[78:79]
	s_and_not1_b32 vcc_lo, exec_lo, s88
	s_mov_b32 s57, -1
	s_delay_alu instid0(VALU_DEP_1)
	v_add_nc_u64_e32 v[44:45], s[60:61], v[26:27]
	s_cbranch_vccnz .LBB51_24
; %bb.14:                               ;   in Loop: Header=BB51_3 Depth=1
	s_wait_xcnt 0x0
	s_and_saveexec_b32 s57, s6
	s_delay_alu instid0(SALU_CYCLE_1)
	s_xor_b32 s57, exec_lo, s57
	s_cbranch_execnz .LBB51_1052
; %bb.15:                               ;   in Loop: Header=BB51_3 Depth=1
	s_and_not1_saveexec_b32 s57, s57
	s_cbranch_execnz .LBB51_1055
.LBB51_16:                              ;   in Loop: Header=BB51_3 Depth=1
	s_or_b32 exec_lo, exec_lo, s57
	s_and_saveexec_b32 s57, s7
	s_delay_alu instid0(SALU_CYCLE_1)
	s_xor_b32 s57, exec_lo, s57
	s_cbranch_execnz .LBB51_1056
.LBB51_17:                              ;   in Loop: Header=BB51_3 Depth=1
	s_and_not1_saveexec_b32 s57, s57
	s_cbranch_execnz .LBB51_1059
.LBB51_18:                              ;   in Loop: Header=BB51_3 Depth=1
	s_or_b32 exec_lo, exec_lo, s57
	s_and_saveexec_b32 s57, s8
	s_delay_alu instid0(SALU_CYCLE_1)
	s_xor_b32 s57, exec_lo, s57
	s_cbranch_execnz .LBB51_1060
.LBB51_19:                              ;   in Loop: Header=BB51_3 Depth=1
	s_and_not1_saveexec_b32 s57, s57
	s_cbranch_execnz .LBB51_1063
.LBB51_20:                              ;   in Loop: Header=BB51_3 Depth=1
	s_or_b32 exec_lo, exec_lo, s57
	s_and_saveexec_b32 s57, s9
	s_delay_alu instid0(SALU_CYCLE_1)
	s_xor_b32 s57, exec_lo, s57
	s_cbranch_execnz .LBB51_1064
.LBB51_21:                              ;   in Loop: Header=BB51_3 Depth=1
	s_and_not1_saveexec_b32 s57, s57
	s_cbranch_execz .LBB51_23
.LBB51_22:                              ;   in Loop: Header=BB51_3 Depth=1
	v_lshl_add_u64 v[46:47], v[20:21], 3, v[44:45]
	global_load_b64 v[46:47], v[46:47], off
	s_wait_loadcnt 0x0
	v_xor_b32_e32 v46, 0x80000000, v46
	ds_store_b64 v85, v[46:47]
.LBB51_23:                              ;   in Loop: Header=BB51_3 Depth=1
	s_or_b32 exec_lo, exec_lo, s57
	s_mov_b32 s57, 0
.LBB51_24:                              ;   in Loop: Header=BB51_3 Depth=1
	s_delay_alu instid0(SALU_CYCLE_1)
	s_and_b32 vcc_lo, exec_lo, s57
	s_cbranch_vccz .LBB51_50
; %bb.25:                               ;   in Loop: Header=BB51_3 Depth=1
	v_readlane_b32 s11, v111, 17
	s_wait_xcnt 0x0
	s_and_saveexec_b32 s57, s11
	s_delay_alu instid0(SALU_CYCLE_1)
	s_xor_b32 s57, exec_lo, s57
	s_cbranch_execz .LBB51_29
; %bb.26:                               ;   in Loop: Header=BB51_3 Depth=1
	v_readlane_b32 s11, v111, 21
	s_and_saveexec_b32 s60, s11
; %bb.27:                               ;   in Loop: Header=BB51_3 Depth=1
	ds_store_b64 v88, v[28:29]
; %bb.28:                               ;   in Loop: Header=BB51_3 Depth=1
	s_or_b32 exec_lo, exec_lo, s60
.LBB51_29:                              ;   in Loop: Header=BB51_3 Depth=1
	s_and_not1_saveexec_b32 s57, s57
	s_cbranch_execz .LBB51_31
; %bb.30:                               ;   in Loop: Header=BB51_3 Depth=1
	v_lshl_add_u64 v[46:47], v[24:25], 3, v[44:45]
	global_load_b64 v[46:47], v[46:47], off
	s_wait_loadcnt 0x0
	v_xor_b32_e32 v46, 0x80000000, v46
	ds_store_b64 v88, v[46:47]
.LBB51_31:                              ;   in Loop: Header=BB51_3 Depth=1
	s_or_b32 exec_lo, exec_lo, s57
	v_readlane_b32 s11, v111, 18
	s_and_saveexec_b32 s57, s11
	s_delay_alu instid0(SALU_CYCLE_1)
	s_xor_b32 s57, exec_lo, s57
	s_cbranch_execz .LBB51_35
; %bb.32:                               ;   in Loop: Header=BB51_3 Depth=1
	v_readlane_b32 s11, v111, 22
	s_and_saveexec_b32 s60, s11
; %bb.33:                               ;   in Loop: Header=BB51_3 Depth=1
	ds_store_b64 v82, v[28:29]
; %bb.34:                               ;   in Loop: Header=BB51_3 Depth=1
	s_or_b32 exec_lo, exec_lo, s60
.LBB51_35:                              ;   in Loop: Header=BB51_3 Depth=1
	s_and_not1_saveexec_b32 s57, s57
	s_cbranch_execz .LBB51_37
; %bb.36:                               ;   in Loop: Header=BB51_3 Depth=1
	v_lshl_add_u64 v[46:47], v[16:17], 3, v[44:45]
	global_load_b64 v[46:47], v[46:47], off
	s_wait_loadcnt 0x0
	v_xor_b32_e32 v46, 0x80000000, v46
	ds_store_b64 v82, v[46:47]
.LBB51_37:                              ;   in Loop: Header=BB51_3 Depth=1
	s_or_b32 exec_lo, exec_lo, s57
	v_readlane_b32 s11, v111, 19
	;; [unrolled: 23-line block ×3, first 2 shown]
	s_and_saveexec_b32 s57, s11
	s_delay_alu instid0(SALU_CYCLE_1)
	s_xor_b32 s57, exec_lo, s57
	s_cbranch_execz .LBB51_47
; %bb.44:                               ;   in Loop: Header=BB51_3 Depth=1
	v_readlane_b32 s11, v110, 2
	s_and_saveexec_b32 s60, s11
; %bb.45:                               ;   in Loop: Header=BB51_3 Depth=1
	ds_store_b64 v85, v[28:29]
; %bb.46:                               ;   in Loop: Header=BB51_3 Depth=1
	s_or_b32 exec_lo, exec_lo, s60
                                        ; implicit-def: $vgpr44_vgpr45
.LBB51_47:                              ;   in Loop: Header=BB51_3 Depth=1
	s_and_not1_saveexec_b32 s57, s57
	s_cbranch_execz .LBB51_49
; %bb.48:                               ;   in Loop: Header=BB51_3 Depth=1
	v_lshl_add_u64 v[44:45], v[20:21], 3, v[44:45]
	global_load_b64 v[44:45], v[44:45], off
	s_wait_loadcnt 0x0
	v_xor_b32_e32 v44, 0x80000000, v44
	ds_store_b64 v85, v[44:45]
.LBB51_49:                              ;   in Loop: Header=BB51_3 Depth=1
	s_or_b32 exec_lo, exec_lo, s57
.LBB51_50:                              ;   in Loop: Header=BB51_3 Depth=1
	s_delay_alu instid0(SALU_CYCLE_1)
	s_and_not1_b32 vcc_lo, exec_lo, s89
	s_wait_loadcnt_dscnt 0x0
	s_barrier_signal -1
	s_barrier_wait -1
	s_cbranch_vccnz .LBB51_979
; %bb.51:                               ;   in Loop: Header=BB51_3 Depth=1
	s_and_saveexec_b32 s57, s10
	s_cbranch_execz .LBB51_53
; %bb.52:                               ;   in Loop: Header=BB51_3 Depth=1
	ds_load_b64 v[44:45], v5 offset:32752
	v_add_nc_u32_e64 v3, 0x7800, 0
	ds_store_b64 v5, v[30:31] offset:32760
	s_wait_dscnt 0x1
	ds_store_2addr_b64 v3, v[30:31], v[44:45] offset0:190 offset1:191
.LBB51_53:                              ;   in Loop: Header=BB51_3 Depth=1
	s_or_b32 exec_lo, exec_lo, s57
	v_dual_mov_b32 v44, 0 :: v_dual_mov_b32 v45, 0
	s_wait_dscnt 0x0
	s_barrier_signal -1
	s_barrier_wait -1
	global_wb scope:SCOPE_DEV
	s_wait_storecnt 0x0
	global_inv scope:SCOPE_DEV
	s_and_saveexec_b32 s57, s0
	s_cbranch_execz .LBB51_57
; %bb.54:                               ;   in Loop: Header=BB51_3 Depth=1
	ds_load_b64 v[44:45], v52 offset:32224
	ds_load_b64 v[46:47], v55 offset:32752
	s_wait_dscnt 0x0
	v_pk_mul_f32 v[98:99], v[46:47], v[44:45] op_sel:[1,1] op_sel_hi:[0,1]
	s_delay_alu instid0(VALU_DEP_1) | instskip(SKIP_1) | instid1(VALU_DEP_2)
	v_pk_fma_f32 v[100:101], v[46:47], v[44:45], v[98:99] op_sel_hi:[1,0,1]
	v_pk_fma_f32 v[44:45], v[46:47], v[44:45], v[98:99] neg_lo:[0,0,1] neg_hi:[0,0,1]
	v_mov_b32_e32 v45, v101
	s_delay_alu instid0(VALU_DEP_1)
	v_pk_add_f32 v[44:45], v[44:45], 0 op_sel_hi:[1,0]
	s_and_saveexec_b32 s60, s14
	s_cbranch_execz .LBB51_56
; %bb.55:                               ;   in Loop: Header=BB51_3 Depth=1
	ds_load_b64 v[46:47], v9 offset:32736
	ds_load_b64 v[98:99], v5 offset:32760
	s_wait_dscnt 0x0
	v_pk_mul_f32 v[100:101], v[98:99], v[46:47] op_sel:[1,1] op_sel_hi:[0,1]
	s_delay_alu instid0(VALU_DEP_1) | instskip(SKIP_1) | instid1(VALU_DEP_2)
	v_pk_fma_f32 v[102:103], v[98:99], v[46:47], v[100:101] op_sel_hi:[1,0,1]
	v_pk_fma_f32 v[46:47], v[98:99], v[46:47], v[100:101] neg_lo:[0,0,1] neg_hi:[0,0,1]
	v_mov_b32_e32 v47, v103
	s_delay_alu instid0(VALU_DEP_1)
	v_pk_add_f32 v[44:45], v[44:45], v[46:47]
.LBB51_56:                              ;   in Loop: Header=BB51_3 Depth=1
	s_or_b32 exec_lo, exec_lo, s60
.LBB51_57:                              ;   in Loop: Header=BB51_3 Depth=1
	s_delay_alu instid0(SALU_CYCLE_1)
	s_or_b32 exec_lo, exec_lo, s57
	s_and_saveexec_b32 s57, s90
; %bb.58:                               ;   in Loop: Header=BB51_3 Depth=1
	s_delay_alu instid0(VALU_DEP_1)
	v_pk_add_f32 v[46:47], v[44:45], 0 neg_lo:[1,1] neg_hi:[1,1]
	ds_store_b64 v54, v[46:47]
; %bb.59:                               ;   in Loop: Header=BB51_3 Depth=1
	s_or_b32 exec_lo, exec_lo, s57
	s_wait_loadcnt_dscnt 0x0
	s_barrier_signal -1
	s_barrier_wait -1
	s_and_saveexec_b32 s57, s91
	s_cbranch_execz .LBB51_61
; %bb.60:                               ;   in Loop: Header=BB51_3 Depth=1
	ds_load_b64 v[46:47], v5 offset:31712
	ds_load_b64 v[98:99], v54
	s_wait_dscnt 0x0
	v_pk_mul_f32 v[100:101], v[98:99], v[46:47] op_sel_hi:[1,0]
	s_delay_alu instid0(VALU_DEP_1) | instskip(SKIP_1) | instid1(VALU_DEP_2)
	v_pk_fma_f32 v[102:103], v[98:99], v[46:47], v[100:101] op_sel:[1,1,0] op_sel_hi:[0,1,1]
	v_pk_fma_f32 v[46:47], v[98:99], v[46:47], v[100:101] op_sel:[1,1,0] op_sel_hi:[0,1,1] neg_lo:[0,0,1] neg_hi:[0,0,1]
	v_pk_add_f32 v[98:99], v[44:45], v[102:103] neg_lo:[0,1] neg_hi:[0,1]
	s_delay_alu instid0(VALU_DEP_2) | instskip(NEXT) | instid1(VALU_DEP_2)
	v_pk_add_f32 v[44:45], v[44:45], v[46:47]
	v_mov_b32_e32 v45, v99
.LBB51_61:                              ;   in Loop: Header=BB51_3 Depth=1
	s_or_b32 exec_lo, exec_lo, s57
	s_barrier_signal -1
	s_barrier_wait -1
	s_and_saveexec_b32 s57, s91
; %bb.62:                               ;   in Loop: Header=BB51_3 Depth=1
	v_pk_add_f32 v[46:47], v[44:45], 0 neg_lo:[1,1] neg_hi:[1,1]
	ds_store_b64 v54, v[46:47]
; %bb.63:                               ;   in Loop: Header=BB51_3 Depth=1
	s_or_b32 exec_lo, exec_lo, s57
	s_wait_dscnt 0x0
	s_barrier_signal -1
	s_barrier_wait -1
	s_barrier_signal -1
	s_barrier_wait -1
	s_and_saveexec_b32 s57, s0
; %bb.64:                               ;   in Loop: Header=BB51_3 Depth=1
	ds_store_b64 v56, v[44:45] offset:32736
; %bb.65:                               ;   in Loop: Header=BB51_3 Depth=1
	s_or_b32 exec_lo, exec_lo, s57
	s_wait_dscnt 0x0
	s_barrier_signal -1
	s_barrier_wait -1
	s_barrier_signal -1
	s_barrier_wait -1
	s_and_saveexec_b32 s57, s92
	s_cbranch_execz .LBB51_67
; %bb.66:                               ;   in Loop: Header=BB51_3 Depth=1
	ds_load_b64 v[44:45], v49 offset:32224
	s_wait_dscnt 0x0
	ds_store_b64 v9, v[44:45] offset:31216
	ds_load_b64 v[44:45], v49 offset:32232
	s_wait_dscnt 0x0
	ds_store_b64 v9, v[44:45] offset:31728
.LBB51_67:                              ;   in Loop: Header=BB51_3 Depth=1
	s_or_b32 exec_lo, exec_lo, s57
	s_wait_dscnt 0x0
	s_barrier_signal -1
	s_barrier_wait -1
	s_and_saveexec_b32 s57, s10
	s_cbranch_execz .LBB51_69
; %bb.68:                               ;   in Loop: Header=BB51_3 Depth=1
	ds_load_b64 v[44:45], v5 offset:31712
	v_add_nc_u32_e64 v3, 0x7800, 0
	ds_store_b64 v5, v[30:31] offset:31720
	s_wait_dscnt 0x1
	ds_store_2addr_b64 v3, v[30:31], v[44:45] offset0:60 offset1:61
.LBB51_69:                              ;   in Loop: Header=BB51_3 Depth=1
	s_or_b32 exec_lo, exec_lo, s57
	v_mov_b64_e32 v[44:45], 0
	s_wait_dscnt 0x0
	s_barrier_signal -1
	s_barrier_wait -1
	global_wb scope:SCOPE_DEV
	s_wait_storecnt 0x0
	global_inv scope:SCOPE_DEV
	s_and_saveexec_b32 s57, s2
	s_cbranch_execz .LBB51_75
; %bb.70:                               ;   in Loop: Header=BB51_3 Depth=1
	ds_load_b64 v[44:45], v59 offset:31168
	ds_load_b64 v[46:47], v60 offset:32736
	s_wait_dscnt 0x0
	v_dual_mul_f32 v3, v47, v45 :: v_dual_mul_f32 v4, v46, v45
	s_delay_alu instid0(VALU_DEP_1) | instskip(NEXT) | instid1(VALU_DEP_1)
	v_dual_fma_f32 v3, v46, v44, -v3 :: v_dual_fmac_f32 v4, v47, v44
	v_dual_add_f32 v44, 0, v3 :: v_dual_add_f32 v45, 0, v4
	s_and_saveexec_b32 s60, s15
	s_cbranch_execnz .LBB51_1075
; %bb.71:                               ;   in Loop: Header=BB51_3 Depth=1
	s_or_b32 exec_lo, exec_lo, s60
	s_and_saveexec_b32 s60, s16
	s_cbranch_execnz .LBB51_1076
.LBB51_72:                              ;   in Loop: Header=BB51_3 Depth=1
	s_or_b32 exec_lo, exec_lo, s60
	s_and_saveexec_b32 s60, s0
	s_cbranch_execz .LBB51_74
.LBB51_73:                              ;   in Loop: Header=BB51_3 Depth=1
	ds_load_b64 v[46:47], v50 offset:32704
	ds_load_b64 v[98:99], v5 offset:32760
	s_wait_dscnt 0x0
	v_pk_mul_f32 v[100:101], v[98:99], v[46:47] op_sel:[1,1] op_sel_hi:[0,1]
	s_delay_alu instid0(VALU_DEP_1) | instskip(SKIP_1) | instid1(VALU_DEP_2)
	v_pk_fma_f32 v[102:103], v[98:99], v[46:47], v[100:101] op_sel_hi:[1,0,1]
	v_pk_fma_f32 v[46:47], v[98:99], v[46:47], v[100:101] neg_lo:[0,0,1] neg_hi:[0,0,1]
	v_mov_b32_e32 v47, v103
	s_delay_alu instid0(VALU_DEP_1)
	v_pk_add_f32 v[44:45], v[44:45], v[46:47]
.LBB51_74:                              ;   in Loop: Header=BB51_3 Depth=1
	s_or_b32 exec_lo, exec_lo, s60
.LBB51_75:                              ;   in Loop: Header=BB51_3 Depth=1
	s_delay_alu instid0(SALU_CYCLE_1)
	s_or_b32 exec_lo, exec_lo, s57
	s_and_saveexec_b32 s57, s93
; %bb.76:                               ;   in Loop: Header=BB51_3 Depth=1
	s_delay_alu instid0(VALU_DEP_1)
	v_pk_add_f32 v[46:47], v[44:45], 0 neg_lo:[1,1] neg_hi:[1,1]
	ds_store_b64 v58, v[46:47]
; %bb.77:                               ;   in Loop: Header=BB51_3 Depth=1
	s_or_b32 exec_lo, exec_lo, s57
	s_wait_loadcnt_dscnt 0x0
	s_barrier_signal -1
	s_barrier_wait -1
	s_and_saveexec_b32 s57, s94
	s_cbranch_execz .LBB51_79
; %bb.78:                               ;   in Loop: Header=BB51_3 Depth=1
	ds_load_b64 v[46:47], v59 offset:30656
	ds_load_b64 v[98:99], v58
	s_wait_dscnt 0x0
	v_pk_mul_f32 v[100:101], v[98:99], v[46:47] op_sel:[1,1] op_sel_hi:[0,1]
	s_delay_alu instid0(VALU_DEP_1) | instskip(SKIP_1) | instid1(VALU_DEP_2)
	v_pk_fma_f32 v[102:103], v[98:99], v[46:47], v[100:101] op_sel_hi:[1,0,1]
	v_pk_fma_f32 v[46:47], v[98:99], v[46:47], v[100:101] neg_lo:[0,0,1] neg_hi:[0,0,1]
	v_mov_b32_e32 v47, v103
	s_delay_alu instid0(VALU_DEP_1)
	v_pk_add_f32 v[44:45], v[44:45], v[46:47] neg_lo:[0,1] neg_hi:[0,1]
.LBB51_79:                              ;   in Loop: Header=BB51_3 Depth=1
	s_or_b32 exec_lo, exec_lo, s57
	s_barrier_signal -1
	s_barrier_wait -1
	s_and_saveexec_b32 s57, s95
; %bb.80:                               ;   in Loop: Header=BB51_3 Depth=1
	v_pk_add_f32 v[46:47], v[44:45], 0 neg_lo:[1,1] neg_hi:[1,1]
	ds_store_b64 v58, v[46:47]
; %bb.81:                               ;   in Loop: Header=BB51_3 Depth=1
	s_or_b32 exec_lo, exec_lo, s57
	s_wait_dscnt 0x0
	s_barrier_signal -1
	s_barrier_wait -1
	s_and_saveexec_b32 s57, s96
	s_cbranch_execz .LBB51_83
; %bb.82:                               ;   in Loop: Header=BB51_3 Depth=1
	ds_load_b64 v[46:47], v59 offset:30144
	ds_load_b64 v[98:99], v58
	s_wait_dscnt 0x0
	v_pk_mul_f32 v[100:101], v[98:99], v[46:47] op_sel:[1,1] op_sel_hi:[0,1]
	s_delay_alu instid0(VALU_DEP_1) | instskip(SKIP_1) | instid1(VALU_DEP_2)
	v_pk_fma_f32 v[102:103], v[98:99], v[46:47], v[100:101] op_sel_hi:[1,0,1]
	v_pk_fma_f32 v[46:47], v[98:99], v[46:47], v[100:101] neg_lo:[0,0,1] neg_hi:[0,0,1]
	v_mov_b32_e32 v47, v103
	s_delay_alu instid0(VALU_DEP_1)
	v_pk_add_f32 v[44:45], v[44:45], v[46:47] neg_lo:[0,1] neg_hi:[0,1]
.LBB51_83:                              ;   in Loop: Header=BB51_3 Depth=1
	s_or_b32 exec_lo, exec_lo, s57
	s_barrier_signal -1
	s_barrier_wait -1
	s_and_saveexec_b32 s57, s97
; %bb.84:                               ;   in Loop: Header=BB51_3 Depth=1
	v_pk_add_f32 v[46:47], v[44:45], 0 neg_lo:[1,1] neg_hi:[1,1]
	ds_store_b64 v58, v[46:47]
; %bb.85:                               ;   in Loop: Header=BB51_3 Depth=1
	s_or_b32 exec_lo, exec_lo, s57
	s_wait_dscnt 0x0
	;; [unrolled: 26-line block ×3, first 2 shown]
	s_barrier_signal -1
	s_barrier_wait -1
	s_barrier_signal -1
	s_barrier_wait -1
	s_and_saveexec_b32 s57, s2
; %bb.90:                               ;   in Loop: Header=BB51_3 Depth=1
	ds_store_b64 v62, v[44:45] offset:32704
; %bb.91:                               ;   in Loop: Header=BB51_3 Depth=1
	s_or_b32 exec_lo, exec_lo, s57
	s_wait_dscnt 0x0
	s_barrier_signal -1
	s_barrier_wait -1
	s_barrier_signal -1
	s_barrier_wait -1
	s_and_saveexec_b32 s57, s99
	s_cbranch_execz .LBB51_93
; %bb.92:                               ;   in Loop: Header=BB51_3 Depth=1
	ds_load_b64 v[44:45], v51 offset:31168
	s_wait_dscnt 0x0
	ds_store_b64 v53, v[44:45] offset:29152
	ds_load_b64 v[44:45], v51 offset:31176
	s_wait_dscnt 0x0
	ds_store_b64 v53, v[44:45] offset:29664
	;; [unrolled: 3-line block ×4, first 2 shown]
.LBB51_93:                              ;   in Loop: Header=BB51_3 Depth=1
	s_or_b32 exec_lo, exec_lo, s57
	s_wait_dscnt 0x0
	s_barrier_signal -1
	s_barrier_wait -1
	s_and_saveexec_b32 s57, s10
	s_cbranch_execz .LBB51_95
; %bb.94:                               ;   in Loop: Header=BB51_3 Depth=1
	ds_load_b64 v[44:45], v5 offset:30672
	v_add_nc_u32_e64 v3, 0x7000, 0
	ds_store_b64 v5, v[30:31] offset:30680
	s_wait_dscnt 0x1
	ds_store_2addr_b64 v3, v[30:31], v[44:45] offset0:186 offset1:187
.LBB51_95:                              ;   in Loop: Header=BB51_3 Depth=1
	s_or_b32 exec_lo, exec_lo, s57
	v_dual_mov_b32 v44, 0 :: v_dual_mov_b32 v45, 0
	s_wait_dscnt 0x0
	s_barrier_signal -1
	s_barrier_wait -1
	global_wb scope:SCOPE_DEV
	s_wait_storecnt 0x0
	global_inv scope:SCOPE_DEV
	s_and_saveexec_b32 s57, s0
	s_cbranch_execz .LBB51_99
; %bb.96:                               ;   in Loop: Header=BB51_3 Depth=1
	ds_load_b64 v[44:45], v52 offset:30144
	ds_load_b64 v[46:47], v55 offset:30672
	s_wait_dscnt 0x0
	v_pk_mul_f32 v[98:99], v[46:47], v[44:45] op_sel:[1,1] op_sel_hi:[0,1]
	s_delay_alu instid0(VALU_DEP_1) | instskip(SKIP_1) | instid1(VALU_DEP_2)
	v_pk_fma_f32 v[100:101], v[46:47], v[44:45], v[98:99] op_sel_hi:[1,0,1]
	v_pk_fma_f32 v[44:45], v[46:47], v[44:45], v[98:99] neg_lo:[0,0,1] neg_hi:[0,0,1]
	v_mov_b32_e32 v45, v101
	s_delay_alu instid0(VALU_DEP_1)
	v_pk_add_f32 v[44:45], v[44:45], 0 op_sel_hi:[1,0]
	s_and_saveexec_b32 s60, s14
	s_cbranch_execz .LBB51_98
; %bb.97:                               ;   in Loop: Header=BB51_3 Depth=1
	ds_load_b64 v[46:47], v53 offset:30656
	ds_load_b64 v[98:99], v5 offset:30680
	s_wait_dscnt 0x0
	v_pk_mul_f32 v[100:101], v[98:99], v[46:47] op_sel:[1,1] op_sel_hi:[0,1]
	s_delay_alu instid0(VALU_DEP_1) | instskip(SKIP_1) | instid1(VALU_DEP_2)
	v_pk_fma_f32 v[102:103], v[98:99], v[46:47], v[100:101] op_sel_hi:[1,0,1]
	v_pk_fma_f32 v[46:47], v[98:99], v[46:47], v[100:101] neg_lo:[0,0,1] neg_hi:[0,0,1]
	v_mov_b32_e32 v47, v103
	s_delay_alu instid0(VALU_DEP_1)
	v_pk_add_f32 v[44:45], v[44:45], v[46:47]
.LBB51_98:                              ;   in Loop: Header=BB51_3 Depth=1
	s_or_b32 exec_lo, exec_lo, s60
.LBB51_99:                              ;   in Loop: Header=BB51_3 Depth=1
	s_delay_alu instid0(SALU_CYCLE_1)
	s_or_b32 exec_lo, exec_lo, s57
	s_and_saveexec_b32 s57, s90
; %bb.100:                              ;   in Loop: Header=BB51_3 Depth=1
	s_delay_alu instid0(VALU_DEP_1)
	v_pk_add_f32 v[46:47], v[44:45], 0 neg_lo:[1,1] neg_hi:[1,1]
	ds_store_b64 v54, v[46:47]
; %bb.101:                              ;   in Loop: Header=BB51_3 Depth=1
	s_or_b32 exec_lo, exec_lo, s57
	s_wait_loadcnt_dscnt 0x0
	s_barrier_signal -1
	s_barrier_wait -1
	s_and_saveexec_b32 s57, s91
	s_cbranch_execz .LBB51_103
; %bb.102:                              ;   in Loop: Header=BB51_3 Depth=1
	ds_load_b64 v[46:47], v5 offset:29632
	ds_load_b64 v[98:99], v54
	s_wait_dscnt 0x0
	v_pk_mul_f32 v[100:101], v[98:99], v[46:47] op_sel_hi:[1,0]
	s_delay_alu instid0(VALU_DEP_1) | instskip(SKIP_1) | instid1(VALU_DEP_2)
	v_pk_fma_f32 v[102:103], v[98:99], v[46:47], v[100:101] op_sel:[1,1,0] op_sel_hi:[0,1,1]
	v_pk_fma_f32 v[46:47], v[98:99], v[46:47], v[100:101] op_sel:[1,1,0] op_sel_hi:[0,1,1] neg_lo:[0,0,1] neg_hi:[0,0,1]
	v_pk_add_f32 v[98:99], v[44:45], v[102:103] neg_lo:[0,1] neg_hi:[0,1]
	s_delay_alu instid0(VALU_DEP_2) | instskip(NEXT) | instid1(VALU_DEP_2)
	v_pk_add_f32 v[44:45], v[44:45], v[46:47]
	v_mov_b32_e32 v45, v99
.LBB51_103:                             ;   in Loop: Header=BB51_3 Depth=1
	s_or_b32 exec_lo, exec_lo, s57
	s_barrier_signal -1
	s_barrier_wait -1
	s_and_saveexec_b32 s57, s91
; %bb.104:                              ;   in Loop: Header=BB51_3 Depth=1
	v_pk_add_f32 v[46:47], v[44:45], 0 neg_lo:[1,1] neg_hi:[1,1]
	ds_store_b64 v54, v[46:47]
; %bb.105:                              ;   in Loop: Header=BB51_3 Depth=1
	s_or_b32 exec_lo, exec_lo, s57
	s_wait_dscnt 0x0
	s_barrier_signal -1
	s_barrier_wait -1
	s_barrier_signal -1
	s_barrier_wait -1
	s_and_saveexec_b32 s57, s0
; %bb.106:                              ;   in Loop: Header=BB51_3 Depth=1
	ds_store_b64 v56, v[44:45] offset:30656
; %bb.107:                              ;   in Loop: Header=BB51_3 Depth=1
	s_or_b32 exec_lo, exec_lo, s57
	s_wait_dscnt 0x0
	s_barrier_signal -1
	s_barrier_wait -1
	s_barrier_signal -1
	s_barrier_wait -1
	s_and_saveexec_b32 s57, s92
	s_cbranch_execz .LBB51_109
; %bb.108:                              ;   in Loop: Header=BB51_3 Depth=1
	ds_load_b64 v[44:45], v57 offset:30144
	s_wait_dscnt 0x0
	ds_store_b64 v53, v[44:45] offset:29136
	ds_load_b64 v[44:45], v57 offset:30152
	s_wait_dscnt 0x0
	ds_store_b64 v53, v[44:45] offset:29648
.LBB51_109:                             ;   in Loop: Header=BB51_3 Depth=1
	s_or_b32 exec_lo, exec_lo, s57
	s_wait_dscnt 0x0
	s_barrier_signal -1
	s_barrier_wait -1
	s_and_saveexec_b32 s57, s10
	s_cbranch_execz .LBB51_111
; %bb.110:                              ;   in Loop: Header=BB51_3 Depth=1
	ds_load_b64 v[44:45], v5 offset:29632
	v_add_nc_u32_e64 v3, 0x7000, 0
	ds_store_b64 v5, v[30:31] offset:29640
	s_wait_dscnt 0x1
	ds_store_2addr_b64 v3, v[30:31], v[44:45] offset0:56 offset1:57
.LBB51_111:                             ;   in Loop: Header=BB51_3 Depth=1
	s_or_b32 exec_lo, exec_lo, s57
	v_mov_b64_e32 v[44:45], 0
	s_wait_dscnt 0x0
	s_barrier_signal -1
	s_barrier_wait -1
	global_wb scope:SCOPE_DEV
	s_wait_storecnt 0x0
	global_inv scope:SCOPE_DEV
	s_and_saveexec_b32 s57, s3
	s_cbranch_execz .LBB51_121
; %bb.112:                              ;   in Loop: Header=BB51_3 Depth=1
	ds_load_b64 v[44:45], v63 offset:29056
	ds_load_b64 v[46:47], v66 offset:32704
	s_wait_dscnt 0x0
	v_dual_mul_f32 v3, v47, v45 :: v_dual_mul_f32 v4, v46, v45
	s_delay_alu instid0(VALU_DEP_1) | instskip(NEXT) | instid1(VALU_DEP_1)
	v_dual_fma_f32 v3, v46, v44, -v3 :: v_dual_fmac_f32 v4, v47, v44
	v_dual_add_f32 v44, 0, v3 :: v_dual_add_f32 v45, 0, v4
	s_and_saveexec_b32 s60, s17
	s_cbranch_execnz .LBB51_1077
; %bb.113:                              ;   in Loop: Header=BB51_3 Depth=1
	s_or_b32 exec_lo, exec_lo, s60
	s_and_saveexec_b32 s60, s18
	s_cbranch_execnz .LBB51_1078
.LBB51_114:                             ;   in Loop: Header=BB51_3 Depth=1
	s_or_b32 exec_lo, exec_lo, s60
	s_and_saveexec_b32 s60, s19
	s_cbranch_execnz .LBB51_1079
.LBB51_115:                             ;   in Loop: Header=BB51_3 Depth=1
	s_or_b32 exec_lo, exec_lo, s60
	s_and_saveexec_b32 s60, s20
	s_cbranch_execnz .LBB51_1080
.LBB51_116:                             ;   in Loop: Header=BB51_3 Depth=1
	s_or_b32 exec_lo, exec_lo, s60
	s_and_saveexec_b32 s60, s21
	s_cbranch_execnz .LBB51_1081
.LBB51_117:                             ;   in Loop: Header=BB51_3 Depth=1
	s_or_b32 exec_lo, exec_lo, s60
	s_and_saveexec_b32 s60, s2
	s_cbranch_execnz .LBB51_1082
.LBB51_118:                             ;   in Loop: Header=BB51_3 Depth=1
	s_or_b32 exec_lo, exec_lo, s60
	s_and_saveexec_b32 s60, s16
	s_cbranch_execz .LBB51_120
.LBB51_119:                             ;   in Loop: Header=BB51_3 Depth=1
	ds_load_b64 v[46:47], v61 offset:32640
	ds_load_b64 v[98:99], v5 offset:32760
	s_wait_dscnt 0x0
	v_pk_mul_f32 v[100:101], v[98:99], v[46:47] op_sel:[1,1] op_sel_hi:[0,1]
	s_delay_alu instid0(VALU_DEP_1) | instskip(SKIP_1) | instid1(VALU_DEP_2)
	v_pk_fma_f32 v[102:103], v[98:99], v[46:47], v[100:101] op_sel_hi:[1,0,1]
	v_pk_fma_f32 v[46:47], v[98:99], v[46:47], v[100:101] neg_lo:[0,0,1] neg_hi:[0,0,1]
	v_mov_b32_e32 v47, v103
	s_delay_alu instid0(VALU_DEP_1)
	v_pk_add_f32 v[44:45], v[44:45], v[46:47]
.LBB51_120:                             ;   in Loop: Header=BB51_3 Depth=1
	s_or_b32 exec_lo, exec_lo, s60
.LBB51_121:                             ;   in Loop: Header=BB51_3 Depth=1
	s_delay_alu instid0(SALU_CYCLE_1)
	s_or_b32 exec_lo, exec_lo, s57
	s_and_saveexec_b32 s57, s100
; %bb.122:                              ;   in Loop: Header=BB51_3 Depth=1
	s_delay_alu instid0(VALU_DEP_1)
	v_pk_add_f32 v[46:47], v[44:45], 0 neg_lo:[1,1] neg_hi:[1,1]
	ds_store_b64 v65, v[46:47]
; %bb.123:                              ;   in Loop: Header=BB51_3 Depth=1
	s_or_b32 exec_lo, exec_lo, s57
	s_wait_loadcnt_dscnt 0x0
	s_barrier_signal -1
	s_barrier_wait -1
	s_and_saveexec_b32 s57, s101
	s_cbranch_execz .LBB51_125
; %bb.124:                              ;   in Loop: Header=BB51_3 Depth=1
	ds_load_b64 v[46:47], v63 offset:28544
	ds_load_b64 v[98:99], v65
	s_wait_dscnt 0x0
	v_pk_mul_f32 v[100:101], v[98:99], v[46:47] op_sel:[1,1] op_sel_hi:[0,1]
	s_delay_alu instid0(VALU_DEP_1) | instskip(SKIP_1) | instid1(VALU_DEP_2)
	v_pk_fma_f32 v[102:103], v[98:99], v[46:47], v[100:101] op_sel_hi:[1,0,1]
	v_pk_fma_f32 v[46:47], v[98:99], v[46:47], v[100:101] neg_lo:[0,0,1] neg_hi:[0,0,1]
	v_mov_b32_e32 v47, v103
	s_delay_alu instid0(VALU_DEP_1)
	v_pk_add_f32 v[44:45], v[44:45], v[46:47] neg_lo:[0,1] neg_hi:[0,1]
.LBB51_125:                             ;   in Loop: Header=BB51_3 Depth=1
	s_or_b32 exec_lo, exec_lo, s57
	s_barrier_signal -1
	s_barrier_wait -1
	s_and_saveexec_b32 s57, s102
; %bb.126:                              ;   in Loop: Header=BB51_3 Depth=1
	v_pk_add_f32 v[46:47], v[44:45], 0 neg_lo:[1,1] neg_hi:[1,1]
	ds_store_b64 v65, v[46:47]
; %bb.127:                              ;   in Loop: Header=BB51_3 Depth=1
	s_or_b32 exec_lo, exec_lo, s57
	s_wait_dscnt 0x0
	s_barrier_signal -1
	s_barrier_wait -1
	s_and_saveexec_b32 s57, s103
	s_cbranch_execz .LBB51_129
; %bb.128:                              ;   in Loop: Header=BB51_3 Depth=1
	ds_load_b64 v[46:47], v63 offset:28032
	ds_load_b64 v[98:99], v65
	s_wait_dscnt 0x0
	v_dual_mul_f32 v3, v99, v47 :: v_dual_mul_f32 v4, v98, v47
	s_delay_alu instid0(VALU_DEP_1) | instskip(NEXT) | instid1(VALU_DEP_1)
	v_dual_fma_f32 v3, v98, v46, -v3 :: v_dual_fmac_f32 v4, v99, v46
	v_dual_sub_f32 v44, v44, v3 :: v_dual_sub_f32 v45, v45, v4
.LBB51_129:                             ;   in Loop: Header=BB51_3 Depth=1
	s_or_b32 exec_lo, exec_lo, s57
	s_barrier_signal -1
	s_barrier_wait -1
	s_and_saveexec_b32 s57, s104
; %bb.130:                              ;   in Loop: Header=BB51_3 Depth=1
	v_pk_add_f32 v[46:47], v[44:45], 0 neg_lo:[1,1] neg_hi:[1,1]
	ds_store_b64 v65, v[46:47]
; %bb.131:                              ;   in Loop: Header=BB51_3 Depth=1
	s_or_b32 exec_lo, exec_lo, s57
	s_wait_dscnt 0x0
	s_barrier_signal -1
	s_barrier_wait -1
	s_and_saveexec_b32 s57, vcc_hi
	s_cbranch_execz .LBB51_133
; %bb.132:                              ;   in Loop: Header=BB51_3 Depth=1
	ds_load_b64 v[46:47], v63 offset:27520
	ds_load_b64 v[98:99], v65
	s_wait_dscnt 0x0
	v_dual_mul_f32 v3, v99, v47 :: v_dual_mul_f32 v101, v98, v47
	s_delay_alu instid0(VALU_DEP_1) | instskip(NEXT) | instid1(VALU_DEP_1)
	v_dual_fma_f32 v100, v98, v46, -v3 :: v_dual_fmac_f32 v101, v99, v46
	v_pk_add_f32 v[44:45], v[44:45], v[100:101] neg_lo:[0,1] neg_hi:[0,1]
.LBB51_133:                             ;   in Loop: Header=BB51_3 Depth=1
	s_or_b32 exec_lo, exec_lo, s57
	s_barrier_signal -1
	s_barrier_wait -1
	s_and_saveexec_b32 s57, s38
; %bb.134:                              ;   in Loop: Header=BB51_3 Depth=1
	v_pk_add_f32 v[46:47], v[44:45], 0 neg_lo:[1,1] neg_hi:[1,1]
	ds_store_b64 v65, v[46:47]
; %bb.135:                              ;   in Loop: Header=BB51_3 Depth=1
	s_or_b32 exec_lo, exec_lo, s57
	s_wait_dscnt 0x0
	s_barrier_signal -1
	s_barrier_wait -1
	s_and_saveexec_b32 s57, s39
	s_cbranch_execz .LBB51_137
; %bb.136:                              ;   in Loop: Header=BB51_3 Depth=1
	ds_load_b64 v[46:47], v63 offset:27008
	ds_load_b64 v[98:99], v65
	s_wait_dscnt 0x0
	v_pk_mul_f32 v[100:101], v[98:99], v[46:47] op_sel:[1,1] op_sel_hi:[0,1]
	s_delay_alu instid0(VALU_DEP_1) | instskip(SKIP_1) | instid1(VALU_DEP_2)
	v_pk_fma_f32 v[102:103], v[98:99], v[46:47], v[100:101] op_sel_hi:[1,0,1]
	v_pk_fma_f32 v[46:47], v[98:99], v[46:47], v[100:101] neg_lo:[0,0,1] neg_hi:[0,0,1]
	v_mov_b32_e32 v47, v103
	s_delay_alu instid0(VALU_DEP_1)
	v_pk_add_f32 v[44:45], v[44:45], v[46:47] neg_lo:[0,1] neg_hi:[0,1]
.LBB51_137:                             ;   in Loop: Header=BB51_3 Depth=1
	s_or_b32 exec_lo, exec_lo, s57
	s_barrier_signal -1
	s_barrier_wait -1
	s_and_saveexec_b32 s57, s40
; %bb.138:                              ;   in Loop: Header=BB51_3 Depth=1
	v_pk_add_f32 v[46:47], v[44:45], 0 neg_lo:[1,1] neg_hi:[1,1]
	ds_store_b64 v65, v[46:47]
; %bb.139:                              ;   in Loop: Header=BB51_3 Depth=1
	s_or_b32 exec_lo, exec_lo, s57
	s_wait_dscnt 0x0
	s_barrier_signal -1
	s_barrier_wait -1
	s_and_saveexec_b32 s57, s41
	s_cbranch_execz .LBB51_141
; %bb.140:                              ;   in Loop: Header=BB51_3 Depth=1
	ds_load_b64 v[46:47], v63 offset:26496
	ds_load_b64 v[98:99], v65
	s_wait_dscnt 0x0
	v_pk_mul_f32 v[100:101], v[98:99], v[46:47] op_sel:[1,1] op_sel_hi:[0,1]
	s_delay_alu instid0(VALU_DEP_1) | instskip(SKIP_1) | instid1(VALU_DEP_2)
	v_pk_fma_f32 v[102:103], v[98:99], v[46:47], v[100:101] op_sel_hi:[1,0,1]
	v_pk_fma_f32 v[46:47], v[98:99], v[46:47], v[100:101] neg_lo:[0,0,1] neg_hi:[0,0,1]
	v_mov_b32_e32 v47, v103
	s_delay_alu instid0(VALU_DEP_1)
	v_pk_add_f32 v[44:45], v[44:45], v[46:47] neg_lo:[0,1] neg_hi:[0,1]
.LBB51_141:                             ;   in Loop: Header=BB51_3 Depth=1
	;; [unrolled: 26-line block ×4, first 2 shown]
	s_or_b32 exec_lo, exec_lo, s57
	s_barrier_signal -1
	s_barrier_wait -1
	s_and_saveexec_b32 s57, s45
; %bb.150:                              ;   in Loop: Header=BB51_3 Depth=1
	v_pk_add_f32 v[46:47], v[44:45], 0 neg_lo:[1,1] neg_hi:[1,1]
	ds_store_b64 v65, v[46:47]
; %bb.151:                              ;   in Loop: Header=BB51_3 Depth=1
	s_or_b32 exec_lo, exec_lo, s57
	s_wait_dscnt 0x0
	s_barrier_signal -1
	s_barrier_wait -1
	s_barrier_signal -1
	s_barrier_wait -1
	s_and_saveexec_b32 s57, s3
; %bb.152:                              ;   in Loop: Header=BB51_3 Depth=1
	ds_store_b64 v67, v[44:45] offset:32640
; %bb.153:                              ;   in Loop: Header=BB51_3 Depth=1
	s_or_b32 exec_lo, exec_lo, s57
	s_wait_dscnt 0x0
	s_barrier_signal -1
	s_barrier_wait -1
	s_barrier_signal -1
	s_barrier_wait -1
	s_and_saveexec_b32 s57, s46
	s_cbranch_execz .LBB51_155
; %bb.154:                              ;   in Loop: Header=BB51_3 Depth=1
	ds_load_b64 v[44:45], v64 offset:29056
	s_wait_dscnt 0x0
	ds_store_b64 v68, v[44:45] offset:25024
	ds_load_b64 v[44:45], v64 offset:29064
	s_wait_dscnt 0x0
	ds_store_b64 v68, v[44:45] offset:25536
	;; [unrolled: 3-line block ×8, first 2 shown]
.LBB51_155:                             ;   in Loop: Header=BB51_3 Depth=1
	s_or_b32 exec_lo, exec_lo, s57
	s_wait_dscnt 0x0
	s_barrier_signal -1
	s_barrier_wait -1
	s_and_saveexec_b32 s57, s10
	s_cbranch_execz .LBB51_157
; %bb.156:                              ;   in Loop: Header=BB51_3 Depth=1
	ds_load_b64 v[44:45], v5 offset:28592
	v_add_nc_u32_e64 v3, 0x6800, 0
	ds_store_b64 v5, v[30:31] offset:28600
	s_wait_dscnt 0x1
	ds_store_2addr_b64 v3, v[30:31], v[44:45] offset0:182 offset1:183
.LBB51_157:                             ;   in Loop: Header=BB51_3 Depth=1
	s_or_b32 exec_lo, exec_lo, s57
	v_dual_mov_b32 v44, 0 :: v_dual_mov_b32 v45, 0
	s_wait_dscnt 0x0
	s_barrier_signal -1
	s_barrier_wait -1
	global_wb scope:SCOPE_DEV
	s_wait_storecnt 0x0
	global_inv scope:SCOPE_DEV
	s_and_saveexec_b32 s57, s0
	s_cbranch_execz .LBB51_161
; %bb.158:                              ;   in Loop: Header=BB51_3 Depth=1
	ds_load_b64 v[44:45], v52 offset:28064
	ds_load_b64 v[46:47], v55 offset:28592
	s_wait_dscnt 0x0
	v_pk_mul_f32 v[98:99], v[46:47], v[44:45] op_sel:[1,1] op_sel_hi:[0,1]
	s_delay_alu instid0(VALU_DEP_1) | instskip(SKIP_1) | instid1(VALU_DEP_2)
	v_pk_fma_f32 v[100:101], v[46:47], v[44:45], v[98:99] op_sel_hi:[1,0,1]
	v_pk_fma_f32 v[44:45], v[46:47], v[44:45], v[98:99] neg_lo:[0,0,1] neg_hi:[0,0,1]
	v_mov_b32_e32 v45, v101
	s_delay_alu instid0(VALU_DEP_1)
	v_pk_add_f32 v[44:45], v[44:45], 0 op_sel_hi:[1,0]
	s_and_saveexec_b32 s60, s14
	s_cbranch_execz .LBB51_160
; %bb.159:                              ;   in Loop: Header=BB51_3 Depth=1
	ds_load_b64 v[46:47], v68 offset:28576
	ds_load_b64 v[98:99], v5 offset:28600
	s_wait_dscnt 0x0
	v_pk_mul_f32 v[100:101], v[98:99], v[46:47] op_sel:[1,1] op_sel_hi:[0,1]
	s_delay_alu instid0(VALU_DEP_1) | instskip(SKIP_1) | instid1(VALU_DEP_2)
	v_pk_fma_f32 v[102:103], v[98:99], v[46:47], v[100:101] op_sel_hi:[1,0,1]
	v_pk_fma_f32 v[46:47], v[98:99], v[46:47], v[100:101] neg_lo:[0,0,1] neg_hi:[0,0,1]
	v_mov_b32_e32 v47, v103
	s_delay_alu instid0(VALU_DEP_1)
	v_pk_add_f32 v[44:45], v[44:45], v[46:47]
.LBB51_160:                             ;   in Loop: Header=BB51_3 Depth=1
	s_or_b32 exec_lo, exec_lo, s60
.LBB51_161:                             ;   in Loop: Header=BB51_3 Depth=1
	s_delay_alu instid0(SALU_CYCLE_1)
	s_or_b32 exec_lo, exec_lo, s57
	s_and_saveexec_b32 s57, s90
; %bb.162:                              ;   in Loop: Header=BB51_3 Depth=1
	s_delay_alu instid0(VALU_DEP_1)
	v_pk_add_f32 v[46:47], v[44:45], 0 neg_lo:[1,1] neg_hi:[1,1]
	ds_store_b64 v54, v[46:47]
; %bb.163:                              ;   in Loop: Header=BB51_3 Depth=1
	s_or_b32 exec_lo, exec_lo, s57
	s_wait_loadcnt_dscnt 0x0
	s_barrier_signal -1
	s_barrier_wait -1
	s_and_saveexec_b32 s57, s91
	s_cbranch_execz .LBB51_165
; %bb.164:                              ;   in Loop: Header=BB51_3 Depth=1
	ds_load_b64 v[46:47], v5 offset:27552
	ds_load_b64 v[98:99], v54
	s_wait_dscnt 0x0
	v_pk_mul_f32 v[100:101], v[98:99], v[46:47] op_sel_hi:[1,0]
	s_delay_alu instid0(VALU_DEP_1) | instskip(SKIP_1) | instid1(VALU_DEP_2)
	v_pk_fma_f32 v[102:103], v[98:99], v[46:47], v[100:101] op_sel:[1,1,0] op_sel_hi:[0,1,1]
	v_pk_fma_f32 v[46:47], v[98:99], v[46:47], v[100:101] op_sel:[1,1,0] op_sel_hi:[0,1,1] neg_lo:[0,0,1] neg_hi:[0,0,1]
	v_pk_add_f32 v[98:99], v[44:45], v[102:103] neg_lo:[0,1] neg_hi:[0,1]
	s_delay_alu instid0(VALU_DEP_2) | instskip(NEXT) | instid1(VALU_DEP_2)
	v_pk_add_f32 v[44:45], v[44:45], v[46:47]
	v_mov_b32_e32 v45, v99
.LBB51_165:                             ;   in Loop: Header=BB51_3 Depth=1
	s_or_b32 exec_lo, exec_lo, s57
	s_barrier_signal -1
	s_barrier_wait -1
	s_and_saveexec_b32 s57, s91
; %bb.166:                              ;   in Loop: Header=BB51_3 Depth=1
	v_pk_add_f32 v[46:47], v[44:45], 0 neg_lo:[1,1] neg_hi:[1,1]
	ds_store_b64 v54, v[46:47]
; %bb.167:                              ;   in Loop: Header=BB51_3 Depth=1
	s_or_b32 exec_lo, exec_lo, s57
	s_wait_dscnt 0x0
	s_barrier_signal -1
	s_barrier_wait -1
	s_barrier_signal -1
	s_barrier_wait -1
	s_and_saveexec_b32 s57, s0
; %bb.168:                              ;   in Loop: Header=BB51_3 Depth=1
	ds_store_b64 v56, v[44:45] offset:28576
; %bb.169:                              ;   in Loop: Header=BB51_3 Depth=1
	s_or_b32 exec_lo, exec_lo, s57
	s_wait_dscnt 0x0
	s_barrier_signal -1
	s_barrier_wait -1
	s_barrier_signal -1
	s_barrier_wait -1
	s_and_saveexec_b32 s57, s92
	s_cbranch_execz .LBB51_171
; %bb.170:                              ;   in Loop: Header=BB51_3 Depth=1
	ds_load_b64 v[44:45], v78 offset:28064
	s_wait_dscnt 0x0
	ds_store_b64 v68, v[44:45] offset:27056
	ds_load_b64 v[44:45], v78 offset:28072
	s_wait_dscnt 0x0
	ds_store_b64 v68, v[44:45] offset:27568
.LBB51_171:                             ;   in Loop: Header=BB51_3 Depth=1
	s_or_b32 exec_lo, exec_lo, s57
	s_wait_dscnt 0x0
	s_barrier_signal -1
	s_barrier_wait -1
	s_and_saveexec_b32 s57, s10
	s_cbranch_execz .LBB51_173
; %bb.172:                              ;   in Loop: Header=BB51_3 Depth=1
	ds_load_b64 v[44:45], v5 offset:27552
	v_add_nc_u32_e64 v3, 0x6800, 0
	ds_store_b64 v5, v[30:31] offset:27560
	s_wait_dscnt 0x1
	ds_store_2addr_b64 v3, v[30:31], v[44:45] offset0:52 offset1:53
.LBB51_173:                             ;   in Loop: Header=BB51_3 Depth=1
	s_or_b32 exec_lo, exec_lo, s57
	v_mov_b64_e32 v[44:45], 0
	s_wait_dscnt 0x0
	s_barrier_signal -1
	s_barrier_wait -1
	global_wb scope:SCOPE_DEV
	s_wait_storecnt 0x0
	global_inv scope:SCOPE_DEV
	s_and_saveexec_b32 s57, s2
	s_cbranch_execz .LBB51_179
; %bb.174:                              ;   in Loop: Header=BB51_3 Depth=1
	ds_load_b64 v[44:45], v59 offset:27008
	ds_load_b64 v[46:47], v60 offset:28576
	s_wait_dscnt 0x0
	v_dual_mul_f32 v3, v47, v45 :: v_dual_mul_f32 v4, v46, v45
	s_delay_alu instid0(VALU_DEP_1) | instskip(NEXT) | instid1(VALU_DEP_1)
	v_dual_fma_f32 v3, v46, v44, -v3 :: v_dual_fmac_f32 v4, v47, v44
	v_dual_add_f32 v44, 0, v3 :: v_dual_add_f32 v45, 0, v4
	s_and_saveexec_b32 s60, s15
	s_cbranch_execnz .LBB51_1083
; %bb.175:                              ;   in Loop: Header=BB51_3 Depth=1
	s_or_b32 exec_lo, exec_lo, s60
	s_and_saveexec_b32 s60, s16
	s_cbranch_execnz .LBB51_1084
.LBB51_176:                             ;   in Loop: Header=BB51_3 Depth=1
	s_or_b32 exec_lo, exec_lo, s60
	s_and_saveexec_b32 s60, s0
	s_cbranch_execz .LBB51_178
.LBB51_177:                             ;   in Loop: Header=BB51_3 Depth=1
	ds_load_b64 v[46:47], v79 offset:28544
	ds_load_b64 v[98:99], v5 offset:28600
	s_wait_dscnt 0x0
	v_pk_mul_f32 v[100:101], v[98:99], v[46:47] op_sel:[1,1] op_sel_hi:[0,1]
	s_delay_alu instid0(VALU_DEP_1) | instskip(SKIP_1) | instid1(VALU_DEP_2)
	v_pk_fma_f32 v[102:103], v[98:99], v[46:47], v[100:101] op_sel_hi:[1,0,1]
	v_pk_fma_f32 v[46:47], v[98:99], v[46:47], v[100:101] neg_lo:[0,0,1] neg_hi:[0,0,1]
	v_mov_b32_e32 v47, v103
	s_delay_alu instid0(VALU_DEP_1)
	v_pk_add_f32 v[44:45], v[44:45], v[46:47]
.LBB51_178:                             ;   in Loop: Header=BB51_3 Depth=1
	s_or_b32 exec_lo, exec_lo, s60
.LBB51_179:                             ;   in Loop: Header=BB51_3 Depth=1
	s_delay_alu instid0(SALU_CYCLE_1)
	s_or_b32 exec_lo, exec_lo, s57
	s_and_saveexec_b32 s57, s93
; %bb.180:                              ;   in Loop: Header=BB51_3 Depth=1
	s_delay_alu instid0(VALU_DEP_1)
	v_pk_add_f32 v[46:47], v[44:45], 0 neg_lo:[1,1] neg_hi:[1,1]
	ds_store_b64 v58, v[46:47]
; %bb.181:                              ;   in Loop: Header=BB51_3 Depth=1
	s_or_b32 exec_lo, exec_lo, s57
	s_wait_loadcnt_dscnt 0x0
	s_barrier_signal -1
	s_barrier_wait -1
	s_and_saveexec_b32 s57, s94
	s_cbranch_execz .LBB51_183
; %bb.182:                              ;   in Loop: Header=BB51_3 Depth=1
	ds_load_b64 v[46:47], v59 offset:26496
	ds_load_b64 v[98:99], v58
	s_wait_dscnt 0x0
	v_pk_mul_f32 v[100:101], v[98:99], v[46:47] op_sel:[1,1] op_sel_hi:[0,1]
	s_delay_alu instid0(VALU_DEP_1) | instskip(SKIP_1) | instid1(VALU_DEP_2)
	v_pk_fma_f32 v[102:103], v[98:99], v[46:47], v[100:101] op_sel_hi:[1,0,1]
	v_pk_fma_f32 v[46:47], v[98:99], v[46:47], v[100:101] neg_lo:[0,0,1] neg_hi:[0,0,1]
	v_mov_b32_e32 v47, v103
	s_delay_alu instid0(VALU_DEP_1)
	v_pk_add_f32 v[44:45], v[44:45], v[46:47] neg_lo:[0,1] neg_hi:[0,1]
.LBB51_183:                             ;   in Loop: Header=BB51_3 Depth=1
	s_or_b32 exec_lo, exec_lo, s57
	s_barrier_signal -1
	s_barrier_wait -1
	s_and_saveexec_b32 s57, s95
; %bb.184:                              ;   in Loop: Header=BB51_3 Depth=1
	v_pk_add_f32 v[46:47], v[44:45], 0 neg_lo:[1,1] neg_hi:[1,1]
	ds_store_b64 v58, v[46:47]
; %bb.185:                              ;   in Loop: Header=BB51_3 Depth=1
	s_or_b32 exec_lo, exec_lo, s57
	s_wait_dscnt 0x0
	s_barrier_signal -1
	s_barrier_wait -1
	s_and_saveexec_b32 s57, s96
	s_cbranch_execz .LBB51_187
; %bb.186:                              ;   in Loop: Header=BB51_3 Depth=1
	ds_load_b64 v[46:47], v59 offset:25984
	ds_load_b64 v[98:99], v58
	s_wait_dscnt 0x0
	v_pk_mul_f32 v[100:101], v[98:99], v[46:47] op_sel:[1,1] op_sel_hi:[0,1]
	s_delay_alu instid0(VALU_DEP_1) | instskip(SKIP_1) | instid1(VALU_DEP_2)
	v_pk_fma_f32 v[102:103], v[98:99], v[46:47], v[100:101] op_sel_hi:[1,0,1]
	v_pk_fma_f32 v[46:47], v[98:99], v[46:47], v[100:101] neg_lo:[0,0,1] neg_hi:[0,0,1]
	v_mov_b32_e32 v47, v103
	s_delay_alu instid0(VALU_DEP_1)
	v_pk_add_f32 v[44:45], v[44:45], v[46:47] neg_lo:[0,1] neg_hi:[0,1]
.LBB51_187:                             ;   in Loop: Header=BB51_3 Depth=1
	s_or_b32 exec_lo, exec_lo, s57
	s_barrier_signal -1
	s_barrier_wait -1
	s_and_saveexec_b32 s57, s97
; %bb.188:                              ;   in Loop: Header=BB51_3 Depth=1
	v_pk_add_f32 v[46:47], v[44:45], 0 neg_lo:[1,1] neg_hi:[1,1]
	ds_store_b64 v58, v[46:47]
; %bb.189:                              ;   in Loop: Header=BB51_3 Depth=1
	s_or_b32 exec_lo, exec_lo, s57
	s_wait_dscnt 0x0
	;; [unrolled: 26-line block ×3, first 2 shown]
	s_barrier_signal -1
	s_barrier_wait -1
	s_barrier_signal -1
	s_barrier_wait -1
	s_and_saveexec_b32 s57, s2
; %bb.194:                              ;   in Loop: Header=BB51_3 Depth=1
	ds_store_b64 v62, v[44:45] offset:28544
; %bb.195:                              ;   in Loop: Header=BB51_3 Depth=1
	s_or_b32 exec_lo, exec_lo, s57
	s_wait_dscnt 0x0
	s_barrier_signal -1
	s_barrier_wait -1
	s_barrier_signal -1
	s_barrier_wait -1
	s_and_saveexec_b32 s57, s99
	s_cbranch_execz .LBB51_197
; %bb.196:                              ;   in Loop: Header=BB51_3 Depth=1
	ds_load_b64 v[44:45], v80 offset:27008
	s_wait_dscnt 0x0
	ds_store_b64 v84, v[44:45] offset:24992
	ds_load_b64 v[44:45], v80 offset:27016
	s_wait_dscnt 0x0
	ds_store_b64 v84, v[44:45] offset:25504
	ds_load_b64 v[44:45], v80 offset:27024
	s_wait_dscnt 0x0
	ds_store_b64 v84, v[44:45] offset:26016
	ds_load_b64 v[44:45], v80 offset:27032
	s_wait_dscnt 0x0
	ds_store_b64 v84, v[44:45] offset:26528
.LBB51_197:                             ;   in Loop: Header=BB51_3 Depth=1
	s_or_b32 exec_lo, exec_lo, s57
	s_wait_dscnt 0x0
	s_barrier_signal -1
	s_barrier_wait -1
	s_and_saveexec_b32 s57, s10
	s_cbranch_execz .LBB51_199
; %bb.198:                              ;   in Loop: Header=BB51_3 Depth=1
	ds_load_b64 v[44:45], v5 offset:26512
	v_add_nc_u32_e64 v3, 0x6000, 0
	ds_store_b64 v5, v[30:31] offset:26520
	s_wait_dscnt 0x1
	ds_store_2addr_b64 v3, v[30:31], v[44:45] offset0:178 offset1:179
.LBB51_199:                             ;   in Loop: Header=BB51_3 Depth=1
	s_or_b32 exec_lo, exec_lo, s57
	v_dual_mov_b32 v44, 0 :: v_dual_mov_b32 v45, 0
	s_wait_dscnt 0x0
	s_barrier_signal -1
	s_barrier_wait -1
	global_wb scope:SCOPE_DEV
	s_wait_storecnt 0x0
	global_inv scope:SCOPE_DEV
	s_and_saveexec_b32 s57, s0
	s_cbranch_execz .LBB51_203
; %bb.200:                              ;   in Loop: Header=BB51_3 Depth=1
	ds_load_b64 v[44:45], v52 offset:25984
	ds_load_b64 v[46:47], v55 offset:26512
	s_wait_dscnt 0x0
	v_pk_mul_f32 v[98:99], v[46:47], v[44:45] op_sel:[1,1] op_sel_hi:[0,1]
	s_delay_alu instid0(VALU_DEP_1) | instskip(SKIP_1) | instid1(VALU_DEP_2)
	v_pk_fma_f32 v[100:101], v[46:47], v[44:45], v[98:99] op_sel_hi:[1,0,1]
	v_pk_fma_f32 v[44:45], v[46:47], v[44:45], v[98:99] neg_lo:[0,0,1] neg_hi:[0,0,1]
	v_mov_b32_e32 v45, v101
	s_delay_alu instid0(VALU_DEP_1)
	v_pk_add_f32 v[44:45], v[44:45], 0 op_sel_hi:[1,0]
	s_and_saveexec_b32 s60, s14
	s_cbranch_execz .LBB51_202
; %bb.201:                              ;   in Loop: Header=BB51_3 Depth=1
	ds_load_b64 v[46:47], v84 offset:26496
	ds_load_b64 v[98:99], v5 offset:26520
	s_wait_dscnt 0x0
	v_pk_mul_f32 v[100:101], v[98:99], v[46:47] op_sel:[1,1] op_sel_hi:[0,1]
	s_delay_alu instid0(VALU_DEP_1) | instskip(SKIP_1) | instid1(VALU_DEP_2)
	v_pk_fma_f32 v[102:103], v[98:99], v[46:47], v[100:101] op_sel_hi:[1,0,1]
	v_pk_fma_f32 v[46:47], v[98:99], v[46:47], v[100:101] neg_lo:[0,0,1] neg_hi:[0,0,1]
	v_mov_b32_e32 v47, v103
	s_delay_alu instid0(VALU_DEP_1)
	v_pk_add_f32 v[44:45], v[44:45], v[46:47]
.LBB51_202:                             ;   in Loop: Header=BB51_3 Depth=1
	s_or_b32 exec_lo, exec_lo, s60
.LBB51_203:                             ;   in Loop: Header=BB51_3 Depth=1
	s_delay_alu instid0(SALU_CYCLE_1)
	s_or_b32 exec_lo, exec_lo, s57
	s_and_saveexec_b32 s57, s90
; %bb.204:                              ;   in Loop: Header=BB51_3 Depth=1
	s_delay_alu instid0(VALU_DEP_1)
	v_pk_add_f32 v[46:47], v[44:45], 0 neg_lo:[1,1] neg_hi:[1,1]
	ds_store_b64 v54, v[46:47]
; %bb.205:                              ;   in Loop: Header=BB51_3 Depth=1
	s_or_b32 exec_lo, exec_lo, s57
	s_wait_loadcnt_dscnt 0x0
	s_barrier_signal -1
	s_barrier_wait -1
	s_and_saveexec_b32 s57, s91
	s_cbranch_execz .LBB51_207
; %bb.206:                              ;   in Loop: Header=BB51_3 Depth=1
	ds_load_b64 v[46:47], v5 offset:25472
	ds_load_b64 v[98:99], v54
	s_wait_dscnt 0x0
	v_pk_mul_f32 v[100:101], v[98:99], v[46:47] op_sel_hi:[1,0]
	s_delay_alu instid0(VALU_DEP_1) | instskip(SKIP_1) | instid1(VALU_DEP_2)
	v_pk_fma_f32 v[102:103], v[98:99], v[46:47], v[100:101] op_sel:[1,1,0] op_sel_hi:[0,1,1]
	v_pk_fma_f32 v[46:47], v[98:99], v[46:47], v[100:101] op_sel:[1,1,0] op_sel_hi:[0,1,1] neg_lo:[0,0,1] neg_hi:[0,0,1]
	v_pk_add_f32 v[98:99], v[44:45], v[102:103] neg_lo:[0,1] neg_hi:[0,1]
	s_delay_alu instid0(VALU_DEP_2) | instskip(NEXT) | instid1(VALU_DEP_2)
	v_pk_add_f32 v[44:45], v[44:45], v[46:47]
	v_mov_b32_e32 v45, v99
.LBB51_207:                             ;   in Loop: Header=BB51_3 Depth=1
	s_or_b32 exec_lo, exec_lo, s57
	s_barrier_signal -1
	s_barrier_wait -1
	s_and_saveexec_b32 s57, s91
; %bb.208:                              ;   in Loop: Header=BB51_3 Depth=1
	v_pk_add_f32 v[46:47], v[44:45], 0 neg_lo:[1,1] neg_hi:[1,1]
	ds_store_b64 v54, v[46:47]
; %bb.209:                              ;   in Loop: Header=BB51_3 Depth=1
	s_or_b32 exec_lo, exec_lo, s57
	s_wait_dscnt 0x0
	s_barrier_signal -1
	s_barrier_wait -1
	s_barrier_signal -1
	s_barrier_wait -1
	s_and_saveexec_b32 s57, s0
; %bb.210:                              ;   in Loop: Header=BB51_3 Depth=1
	ds_store_b64 v56, v[44:45] offset:26496
; %bb.211:                              ;   in Loop: Header=BB51_3 Depth=1
	s_or_b32 exec_lo, exec_lo, s57
	s_wait_dscnt 0x0
	s_barrier_signal -1
	s_barrier_wait -1
	s_barrier_signal -1
	s_barrier_wait -1
	s_and_saveexec_b32 s57, s92
	s_cbranch_execz .LBB51_213
; %bb.212:                              ;   in Loop: Header=BB51_3 Depth=1
	ds_load_b64 v[44:45], v86 offset:25984
	s_wait_dscnt 0x0
	ds_store_b64 v84, v[44:45] offset:24976
	ds_load_b64 v[44:45], v86 offset:25992
	s_wait_dscnt 0x0
	ds_store_b64 v84, v[44:45] offset:25488
.LBB51_213:                             ;   in Loop: Header=BB51_3 Depth=1
	s_or_b32 exec_lo, exec_lo, s57
	s_wait_dscnt 0x0
	s_barrier_signal -1
	s_barrier_wait -1
	s_and_saveexec_b32 s57, s10
	s_cbranch_execz .LBB51_215
; %bb.214:                              ;   in Loop: Header=BB51_3 Depth=1
	ds_load_b64 v[44:45], v5 offset:25472
	v_add_nc_u32_e64 v3, 0x6000, 0
	ds_store_b64 v5, v[30:31] offset:25480
	s_wait_dscnt 0x1
	ds_store_2addr_b64 v3, v[30:31], v[44:45] offset0:48 offset1:49
.LBB51_215:                             ;   in Loop: Header=BB51_3 Depth=1
	s_or_b32 exec_lo, exec_lo, s57
	v_mov_b64_e32 v[44:45], 0
	s_wait_dscnt 0x0
	s_barrier_signal -1
	s_barrier_wait -1
	global_wb scope:SCOPE_DEV
	s_wait_storecnt 0x0
	global_inv scope:SCOPE_DEV
	s_and_saveexec_b32 s61, s4
	s_cbranch_execz .LBB51_243
; %bb.216:                              ;   in Loop: Header=BB51_3 Depth=1
	ds_load_b64 v[44:45], v70 offset:24832
	ds_load_b64 v[46:47], v73 offset:32640
	v_readlane_b32 s11, v111, 24
	s_wait_dscnt 0x0
	v_dual_mul_f32 v3, v47, v45 :: v_dual_mul_f32 v4, v46, v45
	s_delay_alu instid0(VALU_DEP_1) | instskip(NEXT) | instid1(VALU_DEP_1)
	v_dual_fma_f32 v3, v46, v44, -v3 :: v_dual_fmac_f32 v4, v47, v44
	v_dual_add_f32 v44, 0, v3 :: v_dual_add_f32 v45, 0, v4
	s_and_saveexec_b32 s57, s11
	s_cbranch_execz .LBB51_218
; %bb.217:                              ;   in Loop: Header=BB51_3 Depth=1
	ds_load_b64 v[46:47], v70 offset:25344
	ds_load_b64 v[98:99], v73 offset:32648
	s_wait_dscnt 0x0
	v_dual_mul_f32 v3, v99, v47 :: v_dual_mul_f32 v4, v98, v47
	s_delay_alu instid0(VALU_DEP_1) | instskip(NEXT) | instid1(VALU_DEP_1)
	v_dual_fma_f32 v3, v98, v46, -v3 :: v_dual_fmac_f32 v4, v99, v46
	v_dual_add_f32 v44, v44, v3 :: v_dual_add_f32 v45, v45, v4
.LBB51_218:                             ;   in Loop: Header=BB51_3 Depth=1
	s_or_b32 exec_lo, exec_lo, s57
	v_readlane_b32 s11, v111, 25
	s_and_saveexec_b32 s57, s11
	s_cbranch_execz .LBB51_220
; %bb.219:                              ;   in Loop: Header=BB51_3 Depth=1
	ds_load_b64 v[46:47], v70 offset:25856
	ds_load_b64 v[98:99], v73 offset:32656
	s_wait_dscnt 0x0
	v_dual_mul_f32 v3, v99, v47 :: v_dual_mul_f32 v4, v98, v47
	s_delay_alu instid0(VALU_DEP_1) | instskip(NEXT) | instid1(VALU_DEP_1)
	v_dual_fma_f32 v3, v98, v46, -v3 :: v_dual_fmac_f32 v4, v99, v46
	v_dual_add_f32 v44, v44, v3 :: v_dual_add_f32 v45, v45, v4
.LBB51_220:                             ;   in Loop: Header=BB51_3 Depth=1
	s_or_b32 exec_lo, exec_lo, s57
	v_readlane_b32 s11, v111, 26
	;; [unrolled: 13-line block ×8, first 2 shown]
	s_and_saveexec_b32 s57, s11
	s_cbranch_execz .LBB51_234
; %bb.233:                              ;   in Loop: Header=BB51_3 Depth=1
	ds_load_b64 v[46:47], v70 offset:29440
	ds_load_b64 v[98:99], v73 offset:32712
	s_wait_dscnt 0x0
	v_dual_mul_f32 v3, v99, v47 :: v_dual_mul_f32 v4, v98, v47
	s_delay_alu instid0(VALU_DEP_1) | instskip(NEXT) | instid1(VALU_DEP_1)
	v_dual_fma_f32 v3, v98, v46, -v3 :: v_dual_fmac_f32 v4, v99, v46
	v_dual_add_f32 v44, v44, v3 :: v_dual_add_f32 v45, v45, v4
.LBB51_234:                             ;   in Loop: Header=BB51_3 Depth=1
	s_or_b32 exec_lo, exec_lo, s57
	s_and_saveexec_b32 s57, s13
	s_cbranch_execz .LBB51_236
; %bb.235:                              ;   in Loop: Header=BB51_3 Depth=1
	ds_load_b64 v[46:47], v70 offset:29952
	ds_load_b64 v[98:99], v73 offset:32720
	s_wait_dscnt 0x0
	v_dual_mul_f32 v3, v99, v47 :: v_dual_mul_f32 v4, v98, v47
	s_delay_alu instid0(VALU_DEP_1) | instskip(NEXT) | instid1(VALU_DEP_1)
	v_dual_fma_f32 v3, v98, v46, -v3 :: v_dual_fmac_f32 v4, v99, v46
	v_dual_add_f32 v44, v44, v3 :: v_dual_add_f32 v45, v45, v4
.LBB51_236:                             ;   in Loop: Header=BB51_3 Depth=1
	s_or_b32 exec_lo, exec_lo, s57
	v_readlane_b32 s11, v110, 1
	s_and_saveexec_b32 s57, s11
	s_cbranch_execnz .LBB51_1085
; %bb.237:                              ;   in Loop: Header=BB51_3 Depth=1
	s_or_b32 exec_lo, exec_lo, s57
	s_and_saveexec_b32 s57, s3
	s_cbranch_execnz .LBB51_1086
.LBB51_238:                             ;   in Loop: Header=BB51_3 Depth=1
	s_or_b32 exec_lo, exec_lo, s57
	s_and_saveexec_b32 s57, s18
	s_cbranch_execnz .LBB51_1087
.LBB51_239:                             ;   in Loop: Header=BB51_3 Depth=1
	s_or_b32 exec_lo, exec_lo, s57
	s_and_saveexec_b32 s57, s20
	s_cbranch_execnz .LBB51_1088
.LBB51_240:                             ;   in Loop: Header=BB51_3 Depth=1
	s_or_b32 exec_lo, exec_lo, s57
	s_and_saveexec_b32 s57, s2
	s_cbranch_execz .LBB51_242
.LBB51_241:                             ;   in Loop: Header=BB51_3 Depth=1
	ds_load_b64 v[46:47], v9 offset:32512
	ds_load_b64 v[98:99], v5 offset:32760
	s_wait_dscnt 0x0
	v_pk_mul_f32 v[100:101], v[98:99], v[46:47] op_sel:[1,1] op_sel_hi:[0,1]
	s_delay_alu instid0(VALU_DEP_1) | instskip(SKIP_1) | instid1(VALU_DEP_2)
	v_pk_fma_f32 v[102:103], v[98:99], v[46:47], v[100:101] op_sel_hi:[1,0,1]
	v_pk_fma_f32 v[46:47], v[98:99], v[46:47], v[100:101] neg_lo:[0,0,1] neg_hi:[0,0,1]
	v_mov_b32_e32 v47, v103
	s_delay_alu instid0(VALU_DEP_1)
	v_pk_add_f32 v[44:45], v[44:45], v[46:47]
.LBB51_242:                             ;   in Loop: Header=BB51_3 Depth=1
	s_or_b32 exec_lo, exec_lo, s57
.LBB51_243:                             ;   in Loop: Header=BB51_3 Depth=1
	s_delay_alu instid0(SALU_CYCLE_1)
	s_or_b32 exec_lo, exec_lo, s61
	v_readlane_b32 s11, v111, 1
	s_and_saveexec_b32 s57, s11
; %bb.244:                              ;   in Loop: Header=BB51_3 Depth=1
	v_pk_add_f32 v[46:47], v[44:45], 0 neg_lo:[1,1] neg_hi:[1,1]
	ds_store_b64 v71, v[46:47]
; %bb.245:                              ;   in Loop: Header=BB51_3 Depth=1
	s_or_b32 exec_lo, exec_lo, s57
	v_readlane_b32 s11, v111, 2
	s_wait_loadcnt_dscnt 0x0
	s_barrier_signal -1
	s_barrier_wait -1
	s_and_saveexec_b32 s57, s11
	s_cbranch_execz .LBB51_247
; %bb.246:                              ;   in Loop: Header=BB51_3 Depth=1
	ds_load_b64 v[46:47], v70 offset:24320
	ds_load_b64 v[98:99], v71
	s_wait_dscnt 0x0
	v_pk_mul_f32 v[100:101], v[98:99], v[46:47] op_sel:[1,1] op_sel_hi:[0,1]
	s_delay_alu instid0(VALU_DEP_1) | instskip(SKIP_1) | instid1(VALU_DEP_2)
	v_pk_fma_f32 v[102:103], v[98:99], v[46:47], v[100:101] op_sel_hi:[1,0,1]
	v_pk_fma_f32 v[46:47], v[98:99], v[46:47], v[100:101] neg_lo:[0,0,1] neg_hi:[0,0,1]
	v_mov_b32_e32 v47, v103
	s_delay_alu instid0(VALU_DEP_1)
	v_pk_add_f32 v[44:45], v[44:45], v[46:47] neg_lo:[0,1] neg_hi:[0,1]
.LBB51_247:                             ;   in Loop: Header=BB51_3 Depth=1
	s_or_b32 exec_lo, exec_lo, s57
	v_readlane_b32 s11, v111, 3
	s_barrier_signal -1
	s_barrier_wait -1
	s_and_saveexec_b32 s57, s11
; %bb.248:                              ;   in Loop: Header=BB51_3 Depth=1
	v_pk_add_f32 v[46:47], v[44:45], 0 neg_lo:[1,1] neg_hi:[1,1]
	ds_store_b64 v71, v[46:47]
; %bb.249:                              ;   in Loop: Header=BB51_3 Depth=1
	s_or_b32 exec_lo, exec_lo, s57
	v_readlane_b32 s11, v111, 4
	s_wait_dscnt 0x0
	s_barrier_signal -1
	s_barrier_wait -1
	s_and_saveexec_b32 s57, s11
	s_cbranch_execz .LBB51_251
; %bb.250:                              ;   in Loop: Header=BB51_3 Depth=1
	ds_load_b64 v[46:47], v70 offset:23808
	ds_load_b64 v[98:99], v71
	s_wait_dscnt 0x0
	v_pk_mul_f32 v[100:101], v[98:99], v[46:47] op_sel:[1,1] op_sel_hi:[0,1]
	s_delay_alu instid0(VALU_DEP_1) | instskip(SKIP_1) | instid1(VALU_DEP_2)
	v_pk_fma_f32 v[102:103], v[98:99], v[46:47], v[100:101] op_sel_hi:[1,0,1]
	v_pk_fma_f32 v[46:47], v[98:99], v[46:47], v[100:101] neg_lo:[0,0,1] neg_hi:[0,0,1]
	v_mov_b32_e32 v47, v103
	s_delay_alu instid0(VALU_DEP_1)
	v_pk_add_f32 v[44:45], v[44:45], v[46:47] neg_lo:[0,1] neg_hi:[0,1]
.LBB51_251:                             ;   in Loop: Header=BB51_3 Depth=1
	s_or_b32 exec_lo, exec_lo, s57
	v_readlane_b32 s11, v111, 5
	s_barrier_signal -1
	s_barrier_wait -1
	s_and_saveexec_b32 s57, s11
; %bb.252:                              ;   in Loop: Header=BB51_3 Depth=1
	v_pk_add_f32 v[46:47], v[44:45], 0 neg_lo:[1,1] neg_hi:[1,1]
	ds_store_b64 v71, v[46:47]
; %bb.253:                              ;   in Loop: Header=BB51_3 Depth=1
	s_or_b32 exec_lo, exec_lo, s57
	v_readlane_b32 s11, v111, 6
	s_wait_dscnt 0x0
	s_barrier_signal -1
	s_barrier_wait -1
	s_and_saveexec_b32 s57, s11
	s_cbranch_execz .LBB51_255
; %bb.254:                              ;   in Loop: Header=BB51_3 Depth=1
	ds_load_b64 v[46:47], v70 offset:23296
	ds_load_b64 v[98:99], v71
	s_wait_dscnt 0x0
	v_pk_mul_f32 v[100:101], v[98:99], v[46:47] op_sel:[1,1] op_sel_hi:[0,1]
	s_delay_alu instid0(VALU_DEP_1) | instskip(SKIP_1) | instid1(VALU_DEP_2)
	v_pk_fma_f32 v[102:103], v[98:99], v[46:47], v[100:101] op_sel_hi:[1,0,1]
	v_pk_fma_f32 v[46:47], v[98:99], v[46:47], v[100:101] neg_lo:[0,0,1] neg_hi:[0,0,1]
	v_mov_b32_e32 v47, v103
	s_delay_alu instid0(VALU_DEP_1)
	v_pk_add_f32 v[44:45], v[44:45], v[46:47] neg_lo:[0,1] neg_hi:[0,1]
.LBB51_255:                             ;   in Loop: Header=BB51_3 Depth=1
	s_or_b32 exec_lo, exec_lo, s57
	v_readlane_b32 s11, v111, 7
	s_barrier_signal -1
	s_barrier_wait -1
	s_and_saveexec_b32 s57, s11
; %bb.256:                              ;   in Loop: Header=BB51_3 Depth=1
	v_pk_add_f32 v[46:47], v[44:45], 0 neg_lo:[1,1] neg_hi:[1,1]
	ds_store_b64 v71, v[46:47]
; %bb.257:                              ;   in Loop: Header=BB51_3 Depth=1
	s_or_b32 exec_lo, exec_lo, s57
	v_readlane_b32 s11, v111, 8
	s_wait_dscnt 0x0
	s_barrier_signal -1
	s_barrier_wait -1
	s_and_saveexec_b32 s57, s11
	s_cbranch_execz .LBB51_259
; %bb.258:                              ;   in Loop: Header=BB51_3 Depth=1
	ds_load_b64 v[46:47], v70 offset:22784
	ds_load_b64 v[98:99], v71
	s_wait_dscnt 0x0
	v_dual_mul_f32 v3, v99, v47 :: v_dual_mul_f32 v4, v98, v47
	s_delay_alu instid0(VALU_DEP_1) | instskip(NEXT) | instid1(VALU_DEP_1)
	v_dual_fma_f32 v3, v98, v46, -v3 :: v_dual_fmac_f32 v4, v99, v46
	v_dual_sub_f32 v44, v44, v3 :: v_dual_sub_f32 v45, v45, v4
.LBB51_259:                             ;   in Loop: Header=BB51_3 Depth=1
	s_or_b32 exec_lo, exec_lo, s57
	v_readlane_b32 s11, v111, 9
	s_barrier_signal -1
	s_barrier_wait -1
	s_and_saveexec_b32 s57, s11
; %bb.260:                              ;   in Loop: Header=BB51_3 Depth=1
	v_pk_add_f32 v[46:47], v[44:45], 0 neg_lo:[1,1] neg_hi:[1,1]
	ds_store_b64 v71, v[46:47]
; %bb.261:                              ;   in Loop: Header=BB51_3 Depth=1
	s_or_b32 exec_lo, exec_lo, s57
	v_readlane_b32 s11, v111, 10
	s_wait_dscnt 0x0
	s_barrier_signal -1
	s_barrier_wait -1
	s_and_saveexec_b32 s57, s11
	s_cbranch_execz .LBB51_263
; %bb.262:                              ;   in Loop: Header=BB51_3 Depth=1
	ds_load_b64 v[46:47], v70 offset:22272
	ds_load_b64 v[98:99], v71
	s_wait_dscnt 0x0
	v_dual_mul_f32 v3, v99, v47 :: v_dual_mul_f32 v101, v98, v47
	s_delay_alu instid0(VALU_DEP_1) | instskip(NEXT) | instid1(VALU_DEP_1)
	v_dual_fma_f32 v100, v98, v46, -v3 :: v_dual_fmac_f32 v101, v99, v46
	v_pk_add_f32 v[44:45], v[44:45], v[100:101] neg_lo:[0,1] neg_hi:[0,1]
.LBB51_263:                             ;   in Loop: Header=BB51_3 Depth=1
	s_or_b32 exec_lo, exec_lo, s57
	s_barrier_signal -1
	s_barrier_wait -1
	s_and_saveexec_b32 s57, s59
; %bb.264:                              ;   in Loop: Header=BB51_3 Depth=1
	v_pk_add_f32 v[46:47], v[44:45], 0 neg_lo:[1,1] neg_hi:[1,1]
	ds_store_b64 v71, v[46:47]
; %bb.265:                              ;   in Loop: Header=BB51_3 Depth=1
	s_or_b32 exec_lo, exec_lo, s57
	s_wait_dscnt 0x0
	s_barrier_signal -1
	s_barrier_wait -1
	s_and_saveexec_b32 s57, s22
	s_cbranch_execz .LBB51_267
; %bb.266:                              ;   in Loop: Header=BB51_3 Depth=1
	ds_load_b64 v[46:47], v70 offset:21760
	ds_load_b64 v[98:99], v71
	s_wait_dscnt 0x0
	v_pk_mul_f32 v[100:101], v[98:99], v[46:47] op_sel:[1,1] op_sel_hi:[0,1]
	s_delay_alu instid0(VALU_DEP_1) | instskip(SKIP_1) | instid1(VALU_DEP_2)
	v_pk_fma_f32 v[102:103], v[98:99], v[46:47], v[100:101] op_sel_hi:[1,0,1]
	v_pk_fma_f32 v[46:47], v[98:99], v[46:47], v[100:101] neg_lo:[0,0,1] neg_hi:[0,0,1]
	v_mov_b32_e32 v47, v103
	s_delay_alu instid0(VALU_DEP_1)
	v_pk_add_f32 v[44:45], v[44:45], v[46:47] neg_lo:[0,1] neg_hi:[0,1]
.LBB51_267:                             ;   in Loop: Header=BB51_3 Depth=1
	s_or_b32 exec_lo, exec_lo, s57
	s_barrier_signal -1
	s_barrier_wait -1
	s_and_saveexec_b32 s57, s24
; %bb.268:                              ;   in Loop: Header=BB51_3 Depth=1
	v_pk_add_f32 v[46:47], v[44:45], 0 neg_lo:[1,1] neg_hi:[1,1]
	ds_store_b64 v71, v[46:47]
; %bb.269:                              ;   in Loop: Header=BB51_3 Depth=1
	s_or_b32 exec_lo, exec_lo, s57
	s_wait_dscnt 0x0
	s_barrier_signal -1
	s_barrier_wait -1
	s_and_saveexec_b32 s57, s26
	s_cbranch_execz .LBB51_271
; %bb.270:                              ;   in Loop: Header=BB51_3 Depth=1
	ds_load_b64 v[46:47], v70 offset:21248
	ds_load_b64 v[98:99], v71
	s_wait_dscnt 0x0
	v_pk_mul_f32 v[100:101], v[98:99], v[46:47] op_sel:[1,1] op_sel_hi:[0,1]
	s_delay_alu instid0(VALU_DEP_1) | instskip(SKIP_1) | instid1(VALU_DEP_2)
	v_pk_fma_f32 v[102:103], v[98:99], v[46:47], v[100:101] op_sel_hi:[1,0,1]
	v_pk_fma_f32 v[46:47], v[98:99], v[46:47], v[100:101] neg_lo:[0,0,1] neg_hi:[0,0,1]
	v_mov_b32_e32 v47, v103
	s_delay_alu instid0(VALU_DEP_1)
	v_pk_add_f32 v[44:45], v[44:45], v[46:47] neg_lo:[0,1] neg_hi:[0,1]
.LBB51_271:                             ;   in Loop: Header=BB51_3 Depth=1
	s_or_b32 exec_lo, exec_lo, s57
	s_barrier_signal -1
	s_barrier_wait -1
	s_and_saveexec_b32 s57, s28
; %bb.272:                              ;   in Loop: Header=BB51_3 Depth=1
	v_pk_add_f32 v[46:47], v[44:45], 0 neg_lo:[1,1] neg_hi:[1,1]
	ds_store_b64 v71, v[46:47]
; %bb.273:                              ;   in Loop: Header=BB51_3 Depth=1
	s_or_b32 exec_lo, exec_lo, s57
	s_wait_dscnt 0x0
	s_barrier_signal -1
	s_barrier_wait -1
	s_and_saveexec_b32 s57, s30
	s_cbranch_execz .LBB51_275
; %bb.274:                              ;   in Loop: Header=BB51_3 Depth=1
	ds_load_b64 v[46:47], v70 offset:20736
	ds_load_b64 v[98:99], v71
	s_wait_dscnt 0x0
	v_pk_mul_f32 v[100:101], v[98:99], v[46:47] op_sel:[1,1] op_sel_hi:[0,1]
	s_delay_alu instid0(VALU_DEP_1) | instskip(SKIP_1) | instid1(VALU_DEP_2)
	v_pk_fma_f32 v[102:103], v[98:99], v[46:47], v[100:101] op_sel_hi:[1,0,1]
	v_pk_fma_f32 v[46:47], v[98:99], v[46:47], v[100:101] neg_lo:[0,0,1] neg_hi:[0,0,1]
	v_mov_b32_e32 v47, v103
	s_delay_alu instid0(VALU_DEP_1)
	v_pk_add_f32 v[44:45], v[44:45], v[46:47] neg_lo:[0,1] neg_hi:[0,1]
.LBB51_275:                             ;   in Loop: Header=BB51_3 Depth=1
	s_or_b32 exec_lo, exec_lo, s57
	s_barrier_signal -1
	s_barrier_wait -1
	s_and_saveexec_b32 s57, s33
; %bb.276:                              ;   in Loop: Header=BB51_3 Depth=1
	v_pk_add_f32 v[46:47], v[44:45], 0 neg_lo:[1,1] neg_hi:[1,1]
	ds_store_b64 v71, v[46:47]
; %bb.277:                              ;   in Loop: Header=BB51_3 Depth=1
	s_or_b32 exec_lo, exec_lo, s57
	s_wait_dscnt 0x0
	s_barrier_signal -1
	s_barrier_wait -1
	s_and_saveexec_b32 s57, s37
	s_cbranch_execz .LBB51_279
; %bb.278:                              ;   in Loop: Header=BB51_3 Depth=1
	ds_load_b64 v[46:47], v70 offset:20224
	ds_load_b64 v[98:99], v71
	s_wait_dscnt 0x0
	v_pk_mul_f32 v[100:101], v[98:99], v[46:47] op_sel:[1,1] op_sel_hi:[0,1]
	s_delay_alu instid0(VALU_DEP_1) | instskip(SKIP_1) | instid1(VALU_DEP_2)
	v_pk_fma_f32 v[102:103], v[98:99], v[46:47], v[100:101] op_sel_hi:[1,0,1]
	v_pk_fma_f32 v[46:47], v[98:99], v[46:47], v[100:101] neg_lo:[0,0,1] neg_hi:[0,0,1]
	v_mov_b32_e32 v47, v103
	s_delay_alu instid0(VALU_DEP_1)
	v_pk_add_f32 v[44:45], v[44:45], v[46:47] neg_lo:[0,1] neg_hi:[0,1]
.LBB51_279:                             ;   in Loop: Header=BB51_3 Depth=1
	s_or_b32 exec_lo, exec_lo, s57
	s_barrier_signal -1
	s_barrier_wait -1
	s_and_saveexec_b32 s57, s23
; %bb.280:                              ;   in Loop: Header=BB51_3 Depth=1
	v_pk_add_f32 v[46:47], v[44:45], 0 neg_lo:[1,1] neg_hi:[1,1]
	ds_store_b64 v71, v[46:47]
; %bb.281:                              ;   in Loop: Header=BB51_3 Depth=1
	s_or_b32 exec_lo, exec_lo, s57
	s_wait_dscnt 0x0
	s_barrier_signal -1
	s_barrier_wait -1
	s_and_saveexec_b32 s57, s25
	s_cbranch_execz .LBB51_283
; %bb.282:                              ;   in Loop: Header=BB51_3 Depth=1
	ds_load_b64 v[46:47], v70 offset:19712
	ds_load_b64 v[98:99], v71
	s_wait_dscnt 0x0
	v_dual_mul_f32 v3, v99, v47 :: v_dual_mul_f32 v4, v98, v47
	s_delay_alu instid0(VALU_DEP_1) | instskip(NEXT) | instid1(VALU_DEP_1)
	v_dual_fma_f32 v3, v98, v46, -v3 :: v_dual_fmac_f32 v4, v99, v46
	v_dual_sub_f32 v44, v44, v3 :: v_dual_sub_f32 v45, v45, v4
.LBB51_283:                             ;   in Loop: Header=BB51_3 Depth=1
	s_or_b32 exec_lo, exec_lo, s57
	s_barrier_signal -1
	s_barrier_wait -1
	s_and_saveexec_b32 s57, s27
; %bb.284:                              ;   in Loop: Header=BB51_3 Depth=1
	v_pk_add_f32 v[46:47], v[44:45], 0 neg_lo:[1,1] neg_hi:[1,1]
	ds_store_b64 v71, v[46:47]
; %bb.285:                              ;   in Loop: Header=BB51_3 Depth=1
	s_or_b32 exec_lo, exec_lo, s57
	s_wait_dscnt 0x0
	s_barrier_signal -1
	s_barrier_wait -1
	s_and_saveexec_b32 s57, s29
	s_cbranch_execz .LBB51_287
; %bb.286:                              ;   in Loop: Header=BB51_3 Depth=1
	ds_load_b64 v[46:47], v70 offset:19200
	ds_load_b64 v[98:99], v71
	s_wait_dscnt 0x0
	v_dual_mul_f32 v3, v99, v47 :: v_dual_mul_f32 v101, v98, v47
	s_delay_alu instid0(VALU_DEP_1) | instskip(NEXT) | instid1(VALU_DEP_1)
	v_dual_fma_f32 v100, v98, v46, -v3 :: v_dual_fmac_f32 v101, v99, v46
	v_pk_add_f32 v[44:45], v[44:45], v[100:101] neg_lo:[0,1] neg_hi:[0,1]
.LBB51_287:                             ;   in Loop: Header=BB51_3 Depth=1
	s_or_b32 exec_lo, exec_lo, s57
	s_barrier_signal -1
	s_barrier_wait -1
	s_and_saveexec_b32 s57, s31
; %bb.288:                              ;   in Loop: Header=BB51_3 Depth=1
	v_pk_add_f32 v[46:47], v[44:45], 0 neg_lo:[1,1] neg_hi:[1,1]
	ds_store_b64 v71, v[46:47]
; %bb.289:                              ;   in Loop: Header=BB51_3 Depth=1
	s_or_b32 exec_lo, exec_lo, s57
	s_wait_dscnt 0x0
	s_barrier_signal -1
	s_barrier_wait -1
	s_and_saveexec_b32 s57, s87
	s_cbranch_execz .LBB51_291
; %bb.290:                              ;   in Loop: Header=BB51_3 Depth=1
	ds_load_b64 v[46:47], v70 offset:18688
	ds_load_b64 v[98:99], v71
	s_wait_dscnt 0x0
	v_pk_mul_f32 v[100:101], v[98:99], v[46:47] op_sel:[1,1] op_sel_hi:[0,1]
	s_delay_alu instid0(VALU_DEP_1) | instskip(SKIP_1) | instid1(VALU_DEP_2)
	v_pk_fma_f32 v[102:103], v[98:99], v[46:47], v[100:101] op_sel_hi:[1,0,1]
	v_pk_fma_f32 v[46:47], v[98:99], v[46:47], v[100:101] neg_lo:[0,0,1] neg_hi:[0,0,1]
	v_mov_b32_e32 v47, v103
	s_delay_alu instid0(VALU_DEP_1)
	v_pk_add_f32 v[44:45], v[44:45], v[46:47] neg_lo:[0,1] neg_hi:[0,1]
.LBB51_291:                             ;   in Loop: Header=BB51_3 Depth=1
	s_or_b32 exec_lo, exec_lo, s57
	s_barrier_signal -1
	s_barrier_wait -1
	s_and_saveexec_b32 s57, s47
; %bb.292:                              ;   in Loop: Header=BB51_3 Depth=1
	v_pk_add_f32 v[46:47], v[44:45], 0 neg_lo:[1,1] neg_hi:[1,1]
	ds_store_b64 v71, v[46:47]
; %bb.293:                              ;   in Loop: Header=BB51_3 Depth=1
	s_or_b32 exec_lo, exec_lo, s57
	s_wait_dscnt 0x0
	s_barrier_signal -1
	s_barrier_wait -1
	s_and_saveexec_b32 s57, s48
	s_cbranch_execz .LBB51_295
; %bb.294:                              ;   in Loop: Header=BB51_3 Depth=1
	ds_load_b64 v[46:47], v70 offset:18176
	ds_load_b64 v[98:99], v71
	s_wait_dscnt 0x0
	v_pk_mul_f32 v[100:101], v[98:99], v[46:47] op_sel:[1,1] op_sel_hi:[0,1]
	s_delay_alu instid0(VALU_DEP_1) | instskip(SKIP_1) | instid1(VALU_DEP_2)
	v_pk_fma_f32 v[102:103], v[98:99], v[46:47], v[100:101] op_sel_hi:[1,0,1]
	v_pk_fma_f32 v[46:47], v[98:99], v[46:47], v[100:101] neg_lo:[0,0,1] neg_hi:[0,0,1]
	v_mov_b32_e32 v47, v103
	s_delay_alu instid0(VALU_DEP_1)
	v_pk_add_f32 v[44:45], v[44:45], v[46:47] neg_lo:[0,1] neg_hi:[0,1]
.LBB51_295:                             ;   in Loop: Header=BB51_3 Depth=1
	;; [unrolled: 26-line block ×4, first 2 shown]
	s_or_b32 exec_lo, exec_lo, s57
	s_barrier_signal -1
	s_barrier_wait -1
	s_and_saveexec_b32 s57, s52
; %bb.304:                              ;   in Loop: Header=BB51_3 Depth=1
	v_pk_add_f32 v[46:47], v[44:45], 0 neg_lo:[1,1] neg_hi:[1,1]
	ds_store_b64 v71, v[46:47]
; %bb.305:                              ;   in Loop: Header=BB51_3 Depth=1
	s_or_b32 exec_lo, exec_lo, s57
	s_wait_dscnt 0x0
	s_barrier_signal -1
	s_barrier_wait -1
	s_barrier_signal -1
	s_barrier_wait -1
	s_and_saveexec_b32 s57, s4
; %bb.306:                              ;   in Loop: Header=BB51_3 Depth=1
	ds_store_b64 v74, v[44:45] offset:32512
; %bb.307:                              ;   in Loop: Header=BB51_3 Depth=1
	s_or_b32 exec_lo, exec_lo, s57
	s_wait_dscnt 0x0
	s_barrier_signal -1
	s_barrier_wait -1
	s_barrier_signal -1
	s_barrier_wait -1
	s_and_saveexec_b32 s57, s54
	s_cbranch_execz .LBB51_309
; %bb.308:                              ;   in Loop: Header=BB51_3 Depth=1
	ds_load_b64 v[44:45], v49 offset:24832
	s_wait_dscnt 0x0
	ds_store_b64 v50, v[44:45] offset:16768
	ds_load_b64 v[44:45], v49 offset:24840
	s_wait_dscnt 0x0
	ds_store_b64 v50, v[44:45] offset:17280
	;; [unrolled: 3-line block ×16, first 2 shown]
.LBB51_309:                             ;   in Loop: Header=BB51_3 Depth=1
	s_or_b32 exec_lo, exec_lo, s57
	s_wait_dscnt 0x0
	s_barrier_signal -1
	s_barrier_wait -1
	s_and_saveexec_b32 s57, s10
	s_cbranch_execz .LBB51_311
; %bb.310:                              ;   in Loop: Header=BB51_3 Depth=1
	ds_load_b64 v[44:45], v5 offset:24432
	v_add_nc_u32_e64 v3, 0x5800, 0
	ds_store_b64 v5, v[30:31] offset:24440
	s_wait_dscnt 0x1
	ds_store_2addr_b64 v3, v[30:31], v[44:45] offset0:174 offset1:175
.LBB51_311:                             ;   in Loop: Header=BB51_3 Depth=1
	s_or_b32 exec_lo, exec_lo, s57
	v_dual_mov_b32 v44, 0 :: v_dual_mov_b32 v45, 0
	s_wait_dscnt 0x0
	s_barrier_signal -1
	s_barrier_wait -1
	global_wb scope:SCOPE_DEV
	s_wait_storecnt 0x0
	global_inv scope:SCOPE_DEV
	s_and_saveexec_b32 s57, s0
	s_cbranch_execz .LBB51_315
; %bb.312:                              ;   in Loop: Header=BB51_3 Depth=1
	ds_load_b64 v[44:45], v52 offset:23904
	ds_load_b64 v[46:47], v55 offset:24432
	s_wait_dscnt 0x0
	v_pk_mul_f32 v[98:99], v[46:47], v[44:45] op_sel:[1,1] op_sel_hi:[0,1]
	s_delay_alu instid0(VALU_DEP_1) | instskip(SKIP_1) | instid1(VALU_DEP_2)
	v_pk_fma_f32 v[100:101], v[46:47], v[44:45], v[98:99] op_sel_hi:[1,0,1]
	v_pk_fma_f32 v[44:45], v[46:47], v[44:45], v[98:99] neg_lo:[0,0,1] neg_hi:[0,0,1]
	v_mov_b32_e32 v45, v101
	s_delay_alu instid0(VALU_DEP_1)
	v_pk_add_f32 v[44:45], v[44:45], 0 op_sel_hi:[1,0]
	s_and_saveexec_b32 s60, s14
	s_cbranch_execz .LBB51_314
; %bb.313:                              ;   in Loop: Header=BB51_3 Depth=1
	ds_load_b64 v[46:47], v9 offset:24416
	ds_load_b64 v[98:99], v5 offset:24440
	s_wait_dscnt 0x0
	v_pk_mul_f32 v[100:101], v[98:99], v[46:47] op_sel:[1,1] op_sel_hi:[0,1]
	s_delay_alu instid0(VALU_DEP_1) | instskip(SKIP_1) | instid1(VALU_DEP_2)
	v_pk_fma_f32 v[102:103], v[98:99], v[46:47], v[100:101] op_sel_hi:[1,0,1]
	v_pk_fma_f32 v[46:47], v[98:99], v[46:47], v[100:101] neg_lo:[0,0,1] neg_hi:[0,0,1]
	v_mov_b32_e32 v47, v103
	s_delay_alu instid0(VALU_DEP_1)
	v_pk_add_f32 v[44:45], v[44:45], v[46:47]
.LBB51_314:                             ;   in Loop: Header=BB51_3 Depth=1
	s_or_b32 exec_lo, exec_lo, s60
.LBB51_315:                             ;   in Loop: Header=BB51_3 Depth=1
	s_delay_alu instid0(SALU_CYCLE_1)
	s_or_b32 exec_lo, exec_lo, s57
	s_and_saveexec_b32 s57, s90
; %bb.316:                              ;   in Loop: Header=BB51_3 Depth=1
	s_delay_alu instid0(VALU_DEP_1)
	v_pk_add_f32 v[46:47], v[44:45], 0 neg_lo:[1,1] neg_hi:[1,1]
	ds_store_b64 v54, v[46:47]
; %bb.317:                              ;   in Loop: Header=BB51_3 Depth=1
	s_or_b32 exec_lo, exec_lo, s57
	s_wait_loadcnt_dscnt 0x0
	s_barrier_signal -1
	s_barrier_wait -1
	s_and_saveexec_b32 s57, s91
	s_cbranch_execz .LBB51_319
; %bb.318:                              ;   in Loop: Header=BB51_3 Depth=1
	ds_load_b64 v[46:47], v5 offset:23392
	ds_load_b64 v[98:99], v54
	s_wait_dscnt 0x0
	v_pk_mul_f32 v[100:101], v[98:99], v[46:47] op_sel_hi:[1,0]
	s_delay_alu instid0(VALU_DEP_1) | instskip(SKIP_1) | instid1(VALU_DEP_2)
	v_pk_fma_f32 v[102:103], v[98:99], v[46:47], v[100:101] op_sel:[1,1,0] op_sel_hi:[0,1,1]
	v_pk_fma_f32 v[46:47], v[98:99], v[46:47], v[100:101] op_sel:[1,1,0] op_sel_hi:[0,1,1] neg_lo:[0,0,1] neg_hi:[0,0,1]
	v_pk_add_f32 v[98:99], v[44:45], v[102:103] neg_lo:[0,1] neg_hi:[0,1]
	s_delay_alu instid0(VALU_DEP_2) | instskip(NEXT) | instid1(VALU_DEP_2)
	v_pk_add_f32 v[44:45], v[44:45], v[46:47]
	v_mov_b32_e32 v45, v99
.LBB51_319:                             ;   in Loop: Header=BB51_3 Depth=1
	s_or_b32 exec_lo, exec_lo, s57
	s_barrier_signal -1
	s_barrier_wait -1
	s_and_saveexec_b32 s57, s91
; %bb.320:                              ;   in Loop: Header=BB51_3 Depth=1
	v_pk_add_f32 v[46:47], v[44:45], 0 neg_lo:[1,1] neg_hi:[1,1]
	ds_store_b64 v54, v[46:47]
; %bb.321:                              ;   in Loop: Header=BB51_3 Depth=1
	s_or_b32 exec_lo, exec_lo, s57
	s_wait_dscnt 0x0
	s_barrier_signal -1
	s_barrier_wait -1
	s_barrier_signal -1
	s_barrier_wait -1
	s_and_saveexec_b32 s57, s0
; %bb.322:                              ;   in Loop: Header=BB51_3 Depth=1
	ds_store_b64 v56, v[44:45] offset:24416
; %bb.323:                              ;   in Loop: Header=BB51_3 Depth=1
	s_or_b32 exec_lo, exec_lo, s57
	s_wait_dscnt 0x0
	s_barrier_signal -1
	s_barrier_wait -1
	s_barrier_signal -1
	s_barrier_wait -1
	s_and_saveexec_b32 s57, s92
	s_cbranch_execz .LBB51_325
; %bb.324:                              ;   in Loop: Header=BB51_3 Depth=1
	ds_load_b64 v[44:45], v49 offset:23904
	s_wait_dscnt 0x0
	ds_store_b64 v9, v[44:45] offset:22896
	ds_load_b64 v[44:45], v49 offset:23912
	s_wait_dscnt 0x0
	ds_store_b64 v9, v[44:45] offset:23408
.LBB51_325:                             ;   in Loop: Header=BB51_3 Depth=1
	s_or_b32 exec_lo, exec_lo, s57
	s_wait_dscnt 0x0
	s_barrier_signal -1
	s_barrier_wait -1
	s_and_saveexec_b32 s57, s10
	s_cbranch_execz .LBB51_327
; %bb.326:                              ;   in Loop: Header=BB51_3 Depth=1
	ds_load_b64 v[44:45], v5 offset:23392
	v_add_nc_u32_e64 v3, 0x5800, 0
	ds_store_b64 v5, v[30:31] offset:23400
	s_wait_dscnt 0x1
	ds_store_2addr_b64 v3, v[30:31], v[44:45] offset0:44 offset1:45
.LBB51_327:                             ;   in Loop: Header=BB51_3 Depth=1
	s_or_b32 exec_lo, exec_lo, s57
	v_mov_b64_e32 v[44:45], 0
	s_wait_dscnt 0x0
	s_barrier_signal -1
	s_barrier_wait -1
	global_wb scope:SCOPE_DEV
	s_wait_storecnt 0x0
	global_inv scope:SCOPE_DEV
	s_and_saveexec_b32 s57, s2
	s_cbranch_execz .LBB51_333
; %bb.328:                              ;   in Loop: Header=BB51_3 Depth=1
	ds_load_b64 v[44:45], v59 offset:22848
	ds_load_b64 v[46:47], v60 offset:24416
	s_wait_dscnt 0x0
	v_dual_mul_f32 v3, v47, v45 :: v_dual_mul_f32 v4, v46, v45
	s_delay_alu instid0(VALU_DEP_1) | instskip(NEXT) | instid1(VALU_DEP_1)
	v_dual_fma_f32 v3, v46, v44, -v3 :: v_dual_fmac_f32 v4, v47, v44
	v_dual_add_f32 v44, 0, v3 :: v_dual_add_f32 v45, 0, v4
	s_and_saveexec_b32 s60, s15
	s_cbranch_execnz .LBB51_1089
; %bb.329:                              ;   in Loop: Header=BB51_3 Depth=1
	s_or_b32 exec_lo, exec_lo, s60
	s_and_saveexec_b32 s60, s16
	s_cbranch_execnz .LBB51_1090
.LBB51_330:                             ;   in Loop: Header=BB51_3 Depth=1
	s_or_b32 exec_lo, exec_lo, s60
	s_and_saveexec_b32 s60, s0
	s_cbranch_execz .LBB51_332
.LBB51_331:                             ;   in Loop: Header=BB51_3 Depth=1
	ds_load_b64 v[46:47], v50 offset:24384
	ds_load_b64 v[98:99], v5 offset:24440
	s_wait_dscnt 0x0
	v_pk_mul_f32 v[100:101], v[98:99], v[46:47] op_sel:[1,1] op_sel_hi:[0,1]
	s_delay_alu instid0(VALU_DEP_1) | instskip(SKIP_1) | instid1(VALU_DEP_2)
	v_pk_fma_f32 v[102:103], v[98:99], v[46:47], v[100:101] op_sel_hi:[1,0,1]
	v_pk_fma_f32 v[46:47], v[98:99], v[46:47], v[100:101] neg_lo:[0,0,1] neg_hi:[0,0,1]
	v_mov_b32_e32 v47, v103
	s_delay_alu instid0(VALU_DEP_1)
	v_pk_add_f32 v[44:45], v[44:45], v[46:47]
.LBB51_332:                             ;   in Loop: Header=BB51_3 Depth=1
	s_or_b32 exec_lo, exec_lo, s60
.LBB51_333:                             ;   in Loop: Header=BB51_3 Depth=1
	s_delay_alu instid0(SALU_CYCLE_1)
	s_or_b32 exec_lo, exec_lo, s57
	s_and_saveexec_b32 s57, s93
; %bb.334:                              ;   in Loop: Header=BB51_3 Depth=1
	s_delay_alu instid0(VALU_DEP_1)
	v_pk_add_f32 v[46:47], v[44:45], 0 neg_lo:[1,1] neg_hi:[1,1]
	ds_store_b64 v58, v[46:47]
; %bb.335:                              ;   in Loop: Header=BB51_3 Depth=1
	s_or_b32 exec_lo, exec_lo, s57
	s_wait_loadcnt_dscnt 0x0
	s_barrier_signal -1
	s_barrier_wait -1
	s_and_saveexec_b32 s57, s94
	s_cbranch_execz .LBB51_337
; %bb.336:                              ;   in Loop: Header=BB51_3 Depth=1
	ds_load_b64 v[46:47], v59 offset:22336
	ds_load_b64 v[98:99], v58
	s_wait_dscnt 0x0
	v_pk_mul_f32 v[100:101], v[98:99], v[46:47] op_sel:[1,1] op_sel_hi:[0,1]
	s_delay_alu instid0(VALU_DEP_1) | instskip(SKIP_1) | instid1(VALU_DEP_2)
	v_pk_fma_f32 v[102:103], v[98:99], v[46:47], v[100:101] op_sel_hi:[1,0,1]
	v_pk_fma_f32 v[46:47], v[98:99], v[46:47], v[100:101] neg_lo:[0,0,1] neg_hi:[0,0,1]
	v_mov_b32_e32 v47, v103
	s_delay_alu instid0(VALU_DEP_1)
	v_pk_add_f32 v[44:45], v[44:45], v[46:47] neg_lo:[0,1] neg_hi:[0,1]
.LBB51_337:                             ;   in Loop: Header=BB51_3 Depth=1
	s_or_b32 exec_lo, exec_lo, s57
	s_barrier_signal -1
	s_barrier_wait -1
	s_and_saveexec_b32 s57, s95
; %bb.338:                              ;   in Loop: Header=BB51_3 Depth=1
	v_pk_add_f32 v[46:47], v[44:45], 0 neg_lo:[1,1] neg_hi:[1,1]
	ds_store_b64 v58, v[46:47]
; %bb.339:                              ;   in Loop: Header=BB51_3 Depth=1
	s_or_b32 exec_lo, exec_lo, s57
	s_wait_dscnt 0x0
	s_barrier_signal -1
	s_barrier_wait -1
	s_and_saveexec_b32 s57, s96
	s_cbranch_execz .LBB51_341
; %bb.340:                              ;   in Loop: Header=BB51_3 Depth=1
	ds_load_b64 v[46:47], v59 offset:21824
	ds_load_b64 v[98:99], v58
	s_wait_dscnt 0x0
	v_pk_mul_f32 v[100:101], v[98:99], v[46:47] op_sel:[1,1] op_sel_hi:[0,1]
	s_delay_alu instid0(VALU_DEP_1) | instskip(SKIP_1) | instid1(VALU_DEP_2)
	v_pk_fma_f32 v[102:103], v[98:99], v[46:47], v[100:101] op_sel_hi:[1,0,1]
	v_pk_fma_f32 v[46:47], v[98:99], v[46:47], v[100:101] neg_lo:[0,0,1] neg_hi:[0,0,1]
	v_mov_b32_e32 v47, v103
	s_delay_alu instid0(VALU_DEP_1)
	v_pk_add_f32 v[44:45], v[44:45], v[46:47] neg_lo:[0,1] neg_hi:[0,1]
.LBB51_341:                             ;   in Loop: Header=BB51_3 Depth=1
	s_or_b32 exec_lo, exec_lo, s57
	s_barrier_signal -1
	s_barrier_wait -1
	s_and_saveexec_b32 s57, s97
; %bb.342:                              ;   in Loop: Header=BB51_3 Depth=1
	v_pk_add_f32 v[46:47], v[44:45], 0 neg_lo:[1,1] neg_hi:[1,1]
	ds_store_b64 v58, v[46:47]
; %bb.343:                              ;   in Loop: Header=BB51_3 Depth=1
	s_or_b32 exec_lo, exec_lo, s57
	s_wait_dscnt 0x0
	;; [unrolled: 26-line block ×3, first 2 shown]
	s_barrier_signal -1
	s_barrier_wait -1
	s_barrier_signal -1
	s_barrier_wait -1
	s_and_saveexec_b32 s57, s2
; %bb.348:                              ;   in Loop: Header=BB51_3 Depth=1
	ds_store_b64 v62, v[44:45] offset:24384
; %bb.349:                              ;   in Loop: Header=BB51_3 Depth=1
	s_or_b32 exec_lo, exec_lo, s57
	s_wait_dscnt 0x0
	s_barrier_signal -1
	s_barrier_wait -1
	s_barrier_signal -1
	s_barrier_wait -1
	s_and_saveexec_b32 s57, s99
	s_cbranch_execz .LBB51_351
; %bb.350:                              ;   in Loop: Header=BB51_3 Depth=1
	ds_load_b64 v[44:45], v51 offset:22848
	s_wait_dscnt 0x0
	ds_store_b64 v53, v[44:45] offset:20832
	ds_load_b64 v[44:45], v51 offset:22856
	s_wait_dscnt 0x0
	ds_store_b64 v53, v[44:45] offset:21344
	;; [unrolled: 3-line block ×4, first 2 shown]
.LBB51_351:                             ;   in Loop: Header=BB51_3 Depth=1
	s_or_b32 exec_lo, exec_lo, s57
	s_wait_dscnt 0x0
	s_barrier_signal -1
	s_barrier_wait -1
	s_and_saveexec_b32 s57, s10
	s_cbranch_execz .LBB51_353
; %bb.352:                              ;   in Loop: Header=BB51_3 Depth=1
	ds_load_b64 v[44:45], v5 offset:22352
	v_add_nc_u32_e64 v3, 0x5000, 0
	ds_store_b64 v5, v[30:31] offset:22360
	s_wait_dscnt 0x1
	ds_store_2addr_b64 v3, v[30:31], v[44:45] offset0:170 offset1:171
.LBB51_353:                             ;   in Loop: Header=BB51_3 Depth=1
	s_or_b32 exec_lo, exec_lo, s57
	v_dual_mov_b32 v44, 0 :: v_dual_mov_b32 v45, 0
	s_wait_dscnt 0x0
	s_barrier_signal -1
	s_barrier_wait -1
	global_wb scope:SCOPE_DEV
	s_wait_storecnt 0x0
	global_inv scope:SCOPE_DEV
	s_and_saveexec_b32 s57, s0
	s_cbranch_execz .LBB51_357
; %bb.354:                              ;   in Loop: Header=BB51_3 Depth=1
	ds_load_b64 v[44:45], v52 offset:21824
	ds_load_b64 v[46:47], v55 offset:22352
	s_wait_dscnt 0x0
	v_pk_mul_f32 v[98:99], v[46:47], v[44:45] op_sel:[1,1] op_sel_hi:[0,1]
	s_delay_alu instid0(VALU_DEP_1) | instskip(SKIP_1) | instid1(VALU_DEP_2)
	v_pk_fma_f32 v[100:101], v[46:47], v[44:45], v[98:99] op_sel_hi:[1,0,1]
	v_pk_fma_f32 v[44:45], v[46:47], v[44:45], v[98:99] neg_lo:[0,0,1] neg_hi:[0,0,1]
	v_mov_b32_e32 v45, v101
	s_delay_alu instid0(VALU_DEP_1)
	v_pk_add_f32 v[44:45], v[44:45], 0 op_sel_hi:[1,0]
	s_and_saveexec_b32 s60, s14
	s_cbranch_execz .LBB51_356
; %bb.355:                              ;   in Loop: Header=BB51_3 Depth=1
	ds_load_b64 v[46:47], v53 offset:22336
	ds_load_b64 v[98:99], v5 offset:22360
	s_wait_dscnt 0x0
	v_pk_mul_f32 v[100:101], v[98:99], v[46:47] op_sel:[1,1] op_sel_hi:[0,1]
	s_delay_alu instid0(VALU_DEP_1) | instskip(SKIP_1) | instid1(VALU_DEP_2)
	v_pk_fma_f32 v[102:103], v[98:99], v[46:47], v[100:101] op_sel_hi:[1,0,1]
	v_pk_fma_f32 v[46:47], v[98:99], v[46:47], v[100:101] neg_lo:[0,0,1] neg_hi:[0,0,1]
	v_mov_b32_e32 v47, v103
	s_delay_alu instid0(VALU_DEP_1)
	v_pk_add_f32 v[44:45], v[44:45], v[46:47]
.LBB51_356:                             ;   in Loop: Header=BB51_3 Depth=1
	s_or_b32 exec_lo, exec_lo, s60
.LBB51_357:                             ;   in Loop: Header=BB51_3 Depth=1
	s_delay_alu instid0(SALU_CYCLE_1)
	s_or_b32 exec_lo, exec_lo, s57
	s_and_saveexec_b32 s57, s90
; %bb.358:                              ;   in Loop: Header=BB51_3 Depth=1
	s_delay_alu instid0(VALU_DEP_1)
	v_pk_add_f32 v[46:47], v[44:45], 0 neg_lo:[1,1] neg_hi:[1,1]
	ds_store_b64 v54, v[46:47]
; %bb.359:                              ;   in Loop: Header=BB51_3 Depth=1
	s_or_b32 exec_lo, exec_lo, s57
	s_wait_loadcnt_dscnt 0x0
	s_barrier_signal -1
	s_barrier_wait -1
	s_and_saveexec_b32 s57, s91
	s_cbranch_execz .LBB51_361
; %bb.360:                              ;   in Loop: Header=BB51_3 Depth=1
	ds_load_b64 v[46:47], v5 offset:21312
	ds_load_b64 v[98:99], v54
	s_wait_dscnt 0x0
	v_pk_mul_f32 v[100:101], v[98:99], v[46:47] op_sel_hi:[1,0]
	s_delay_alu instid0(VALU_DEP_1) | instskip(SKIP_1) | instid1(VALU_DEP_2)
	v_pk_fma_f32 v[102:103], v[98:99], v[46:47], v[100:101] op_sel:[1,1,0] op_sel_hi:[0,1,1]
	v_pk_fma_f32 v[46:47], v[98:99], v[46:47], v[100:101] op_sel:[1,1,0] op_sel_hi:[0,1,1] neg_lo:[0,0,1] neg_hi:[0,0,1]
	v_pk_add_f32 v[98:99], v[44:45], v[102:103] neg_lo:[0,1] neg_hi:[0,1]
	s_delay_alu instid0(VALU_DEP_2) | instskip(NEXT) | instid1(VALU_DEP_2)
	v_pk_add_f32 v[44:45], v[44:45], v[46:47]
	v_mov_b32_e32 v45, v99
.LBB51_361:                             ;   in Loop: Header=BB51_3 Depth=1
	s_or_b32 exec_lo, exec_lo, s57
	s_barrier_signal -1
	s_barrier_wait -1
	s_and_saveexec_b32 s57, s91
; %bb.362:                              ;   in Loop: Header=BB51_3 Depth=1
	v_pk_add_f32 v[46:47], v[44:45], 0 neg_lo:[1,1] neg_hi:[1,1]
	ds_store_b64 v54, v[46:47]
; %bb.363:                              ;   in Loop: Header=BB51_3 Depth=1
	s_or_b32 exec_lo, exec_lo, s57
	s_wait_dscnt 0x0
	s_barrier_signal -1
	s_barrier_wait -1
	s_barrier_signal -1
	s_barrier_wait -1
	s_and_saveexec_b32 s57, s0
; %bb.364:                              ;   in Loop: Header=BB51_3 Depth=1
	ds_store_b64 v56, v[44:45] offset:22336
; %bb.365:                              ;   in Loop: Header=BB51_3 Depth=1
	s_or_b32 exec_lo, exec_lo, s57
	s_wait_dscnt 0x0
	s_barrier_signal -1
	s_barrier_wait -1
	s_barrier_signal -1
	s_barrier_wait -1
	s_and_saveexec_b32 s57, s92
	s_cbranch_execz .LBB51_367
; %bb.366:                              ;   in Loop: Header=BB51_3 Depth=1
	ds_load_b64 v[44:45], v57 offset:21824
	s_wait_dscnt 0x0
	ds_store_b64 v53, v[44:45] offset:20816
	ds_load_b64 v[44:45], v57 offset:21832
	s_wait_dscnt 0x0
	ds_store_b64 v53, v[44:45] offset:21328
.LBB51_367:                             ;   in Loop: Header=BB51_3 Depth=1
	s_or_b32 exec_lo, exec_lo, s57
	s_wait_dscnt 0x0
	s_barrier_signal -1
	s_barrier_wait -1
	s_and_saveexec_b32 s57, s10
	s_cbranch_execz .LBB51_369
; %bb.368:                              ;   in Loop: Header=BB51_3 Depth=1
	ds_load_b64 v[44:45], v5 offset:21312
	v_add_nc_u32_e64 v3, 0x5000, 0
	ds_store_b64 v5, v[30:31] offset:21320
	s_wait_dscnt 0x1
	ds_store_2addr_b64 v3, v[30:31], v[44:45] offset0:40 offset1:41
.LBB51_369:                             ;   in Loop: Header=BB51_3 Depth=1
	s_or_b32 exec_lo, exec_lo, s57
	v_mov_b64_e32 v[44:45], 0
	s_wait_dscnt 0x0
	s_barrier_signal -1
	s_barrier_wait -1
	global_wb scope:SCOPE_DEV
	s_wait_storecnt 0x0
	global_inv scope:SCOPE_DEV
	s_and_saveexec_b32 s57, s3
	s_cbranch_execz .LBB51_379
; %bb.370:                              ;   in Loop: Header=BB51_3 Depth=1
	ds_load_b64 v[44:45], v63 offset:20736
	ds_load_b64 v[46:47], v66 offset:24384
	s_wait_dscnt 0x0
	v_dual_mul_f32 v3, v47, v45 :: v_dual_mul_f32 v4, v46, v45
	s_delay_alu instid0(VALU_DEP_1) | instskip(NEXT) | instid1(VALU_DEP_1)
	v_dual_fma_f32 v3, v46, v44, -v3 :: v_dual_fmac_f32 v4, v47, v44
	v_dual_add_f32 v44, 0, v3 :: v_dual_add_f32 v45, 0, v4
	s_and_saveexec_b32 s60, s17
	s_cbranch_execnz .LBB51_1091
; %bb.371:                              ;   in Loop: Header=BB51_3 Depth=1
	s_or_b32 exec_lo, exec_lo, s60
	s_and_saveexec_b32 s60, s18
	s_cbranch_execnz .LBB51_1092
.LBB51_372:                             ;   in Loop: Header=BB51_3 Depth=1
	s_or_b32 exec_lo, exec_lo, s60
	s_and_saveexec_b32 s60, s19
	s_cbranch_execnz .LBB51_1093
.LBB51_373:                             ;   in Loop: Header=BB51_3 Depth=1
	s_or_b32 exec_lo, exec_lo, s60
	s_and_saveexec_b32 s60, s20
	s_cbranch_execnz .LBB51_1094
.LBB51_374:                             ;   in Loop: Header=BB51_3 Depth=1
	s_or_b32 exec_lo, exec_lo, s60
	s_and_saveexec_b32 s60, s21
	s_cbranch_execnz .LBB51_1095
.LBB51_375:                             ;   in Loop: Header=BB51_3 Depth=1
	s_or_b32 exec_lo, exec_lo, s60
	s_and_saveexec_b32 s60, s2
	s_cbranch_execnz .LBB51_1096
.LBB51_376:                             ;   in Loop: Header=BB51_3 Depth=1
	s_or_b32 exec_lo, exec_lo, s60
	s_and_saveexec_b32 s60, s16
	s_cbranch_execz .LBB51_378
.LBB51_377:                             ;   in Loop: Header=BB51_3 Depth=1
	ds_load_b64 v[46:47], v61 offset:24320
	ds_load_b64 v[98:99], v5 offset:24440
	s_wait_dscnt 0x0
	v_pk_mul_f32 v[100:101], v[98:99], v[46:47] op_sel:[1,1] op_sel_hi:[0,1]
	s_delay_alu instid0(VALU_DEP_1) | instskip(SKIP_1) | instid1(VALU_DEP_2)
	v_pk_fma_f32 v[102:103], v[98:99], v[46:47], v[100:101] op_sel_hi:[1,0,1]
	v_pk_fma_f32 v[46:47], v[98:99], v[46:47], v[100:101] neg_lo:[0,0,1] neg_hi:[0,0,1]
	v_mov_b32_e32 v47, v103
	s_delay_alu instid0(VALU_DEP_1)
	v_pk_add_f32 v[44:45], v[44:45], v[46:47]
.LBB51_378:                             ;   in Loop: Header=BB51_3 Depth=1
	s_or_b32 exec_lo, exec_lo, s60
.LBB51_379:                             ;   in Loop: Header=BB51_3 Depth=1
	s_delay_alu instid0(SALU_CYCLE_1)
	s_or_b32 exec_lo, exec_lo, s57
	s_and_saveexec_b32 s57, s100
; %bb.380:                              ;   in Loop: Header=BB51_3 Depth=1
	s_delay_alu instid0(VALU_DEP_1)
	v_pk_add_f32 v[46:47], v[44:45], 0 neg_lo:[1,1] neg_hi:[1,1]
	ds_store_b64 v65, v[46:47]
; %bb.381:                              ;   in Loop: Header=BB51_3 Depth=1
	s_or_b32 exec_lo, exec_lo, s57
	s_wait_loadcnt_dscnt 0x0
	s_barrier_signal -1
	s_barrier_wait -1
	s_and_saveexec_b32 s57, s101
	s_cbranch_execz .LBB51_383
; %bb.382:                              ;   in Loop: Header=BB51_3 Depth=1
	ds_load_b64 v[46:47], v63 offset:20224
	ds_load_b64 v[98:99], v65
	s_wait_dscnt 0x0
	v_pk_mul_f32 v[100:101], v[98:99], v[46:47] op_sel:[1,1] op_sel_hi:[0,1]
	s_delay_alu instid0(VALU_DEP_1) | instskip(SKIP_1) | instid1(VALU_DEP_2)
	v_pk_fma_f32 v[102:103], v[98:99], v[46:47], v[100:101] op_sel_hi:[1,0,1]
	v_pk_fma_f32 v[46:47], v[98:99], v[46:47], v[100:101] neg_lo:[0,0,1] neg_hi:[0,0,1]
	v_mov_b32_e32 v47, v103
	s_delay_alu instid0(VALU_DEP_1)
	v_pk_add_f32 v[44:45], v[44:45], v[46:47] neg_lo:[0,1] neg_hi:[0,1]
.LBB51_383:                             ;   in Loop: Header=BB51_3 Depth=1
	s_or_b32 exec_lo, exec_lo, s57
	s_barrier_signal -1
	s_barrier_wait -1
	s_and_saveexec_b32 s57, s102
; %bb.384:                              ;   in Loop: Header=BB51_3 Depth=1
	v_pk_add_f32 v[46:47], v[44:45], 0 neg_lo:[1,1] neg_hi:[1,1]
	ds_store_b64 v65, v[46:47]
; %bb.385:                              ;   in Loop: Header=BB51_3 Depth=1
	s_or_b32 exec_lo, exec_lo, s57
	s_wait_dscnt 0x0
	s_barrier_signal -1
	s_barrier_wait -1
	s_and_saveexec_b32 s57, s103
	s_cbranch_execz .LBB51_387
; %bb.386:                              ;   in Loop: Header=BB51_3 Depth=1
	ds_load_b64 v[46:47], v63 offset:19712
	ds_load_b64 v[98:99], v65
	s_wait_dscnt 0x0
	v_dual_mul_f32 v3, v99, v47 :: v_dual_mul_f32 v4, v98, v47
	s_delay_alu instid0(VALU_DEP_1) | instskip(NEXT) | instid1(VALU_DEP_1)
	v_dual_fma_f32 v3, v98, v46, -v3 :: v_dual_fmac_f32 v4, v99, v46
	v_dual_sub_f32 v44, v44, v3 :: v_dual_sub_f32 v45, v45, v4
.LBB51_387:                             ;   in Loop: Header=BB51_3 Depth=1
	s_or_b32 exec_lo, exec_lo, s57
	s_barrier_signal -1
	s_barrier_wait -1
	s_and_saveexec_b32 s57, s104
; %bb.388:                              ;   in Loop: Header=BB51_3 Depth=1
	v_pk_add_f32 v[46:47], v[44:45], 0 neg_lo:[1,1] neg_hi:[1,1]
	ds_store_b64 v65, v[46:47]
; %bb.389:                              ;   in Loop: Header=BB51_3 Depth=1
	s_or_b32 exec_lo, exec_lo, s57
	s_wait_dscnt 0x0
	s_barrier_signal -1
	s_barrier_wait -1
	s_and_saveexec_b32 s57, vcc_hi
	s_cbranch_execz .LBB51_391
; %bb.390:                              ;   in Loop: Header=BB51_3 Depth=1
	ds_load_b64 v[46:47], v63 offset:19200
	ds_load_b64 v[98:99], v65
	s_wait_dscnt 0x0
	v_dual_mul_f32 v3, v99, v47 :: v_dual_mul_f32 v101, v98, v47
	s_delay_alu instid0(VALU_DEP_1) | instskip(NEXT) | instid1(VALU_DEP_1)
	v_dual_fma_f32 v100, v98, v46, -v3 :: v_dual_fmac_f32 v101, v99, v46
	v_pk_add_f32 v[44:45], v[44:45], v[100:101] neg_lo:[0,1] neg_hi:[0,1]
.LBB51_391:                             ;   in Loop: Header=BB51_3 Depth=1
	s_or_b32 exec_lo, exec_lo, s57
	s_barrier_signal -1
	s_barrier_wait -1
	s_and_saveexec_b32 s57, s38
; %bb.392:                              ;   in Loop: Header=BB51_3 Depth=1
	v_pk_add_f32 v[46:47], v[44:45], 0 neg_lo:[1,1] neg_hi:[1,1]
	ds_store_b64 v65, v[46:47]
; %bb.393:                              ;   in Loop: Header=BB51_3 Depth=1
	s_or_b32 exec_lo, exec_lo, s57
	s_wait_dscnt 0x0
	s_barrier_signal -1
	s_barrier_wait -1
	s_and_saveexec_b32 s57, s39
	s_cbranch_execz .LBB51_395
; %bb.394:                              ;   in Loop: Header=BB51_3 Depth=1
	ds_load_b64 v[46:47], v63 offset:18688
	ds_load_b64 v[98:99], v65
	s_wait_dscnt 0x0
	v_pk_mul_f32 v[100:101], v[98:99], v[46:47] op_sel:[1,1] op_sel_hi:[0,1]
	s_delay_alu instid0(VALU_DEP_1) | instskip(SKIP_1) | instid1(VALU_DEP_2)
	v_pk_fma_f32 v[102:103], v[98:99], v[46:47], v[100:101] op_sel_hi:[1,0,1]
	v_pk_fma_f32 v[46:47], v[98:99], v[46:47], v[100:101] neg_lo:[0,0,1] neg_hi:[0,0,1]
	v_mov_b32_e32 v47, v103
	s_delay_alu instid0(VALU_DEP_1)
	v_pk_add_f32 v[44:45], v[44:45], v[46:47] neg_lo:[0,1] neg_hi:[0,1]
.LBB51_395:                             ;   in Loop: Header=BB51_3 Depth=1
	s_or_b32 exec_lo, exec_lo, s57
	s_barrier_signal -1
	s_barrier_wait -1
	s_and_saveexec_b32 s57, s40
; %bb.396:                              ;   in Loop: Header=BB51_3 Depth=1
	v_pk_add_f32 v[46:47], v[44:45], 0 neg_lo:[1,1] neg_hi:[1,1]
	ds_store_b64 v65, v[46:47]
; %bb.397:                              ;   in Loop: Header=BB51_3 Depth=1
	s_or_b32 exec_lo, exec_lo, s57
	s_wait_dscnt 0x0
	s_barrier_signal -1
	s_barrier_wait -1
	s_and_saveexec_b32 s57, s41
	s_cbranch_execz .LBB51_399
; %bb.398:                              ;   in Loop: Header=BB51_3 Depth=1
	ds_load_b64 v[46:47], v63 offset:18176
	ds_load_b64 v[98:99], v65
	s_wait_dscnt 0x0
	v_pk_mul_f32 v[100:101], v[98:99], v[46:47] op_sel:[1,1] op_sel_hi:[0,1]
	s_delay_alu instid0(VALU_DEP_1) | instskip(SKIP_1) | instid1(VALU_DEP_2)
	v_pk_fma_f32 v[102:103], v[98:99], v[46:47], v[100:101] op_sel_hi:[1,0,1]
	v_pk_fma_f32 v[46:47], v[98:99], v[46:47], v[100:101] neg_lo:[0,0,1] neg_hi:[0,0,1]
	v_mov_b32_e32 v47, v103
	s_delay_alu instid0(VALU_DEP_1)
	v_pk_add_f32 v[44:45], v[44:45], v[46:47] neg_lo:[0,1] neg_hi:[0,1]
.LBB51_399:                             ;   in Loop: Header=BB51_3 Depth=1
	;; [unrolled: 26-line block ×4, first 2 shown]
	s_or_b32 exec_lo, exec_lo, s57
	s_barrier_signal -1
	s_barrier_wait -1
	s_and_saveexec_b32 s57, s45
; %bb.408:                              ;   in Loop: Header=BB51_3 Depth=1
	v_pk_add_f32 v[46:47], v[44:45], 0 neg_lo:[1,1] neg_hi:[1,1]
	ds_store_b64 v65, v[46:47]
; %bb.409:                              ;   in Loop: Header=BB51_3 Depth=1
	s_or_b32 exec_lo, exec_lo, s57
	s_wait_dscnt 0x0
	s_barrier_signal -1
	s_barrier_wait -1
	s_barrier_signal -1
	s_barrier_wait -1
	s_and_saveexec_b32 s57, s3
; %bb.410:                              ;   in Loop: Header=BB51_3 Depth=1
	ds_store_b64 v67, v[44:45] offset:24320
; %bb.411:                              ;   in Loop: Header=BB51_3 Depth=1
	s_or_b32 exec_lo, exec_lo, s57
	s_wait_dscnt 0x0
	s_barrier_signal -1
	s_barrier_wait -1
	s_barrier_signal -1
	s_barrier_wait -1
	s_and_saveexec_b32 s57, s46
	s_cbranch_execz .LBB51_413
; %bb.412:                              ;   in Loop: Header=BB51_3 Depth=1
	ds_load_b64 v[44:45], v64 offset:20736
	s_wait_dscnt 0x0
	ds_store_b64 v68, v[44:45] offset:16704
	ds_load_b64 v[44:45], v64 offset:20744
	s_wait_dscnt 0x0
	ds_store_b64 v68, v[44:45] offset:17216
	;; [unrolled: 3-line block ×8, first 2 shown]
.LBB51_413:                             ;   in Loop: Header=BB51_3 Depth=1
	s_or_b32 exec_lo, exec_lo, s57
	s_wait_dscnt 0x0
	s_barrier_signal -1
	s_barrier_wait -1
	s_and_saveexec_b32 s57, s10
	s_cbranch_execz .LBB51_415
; %bb.414:                              ;   in Loop: Header=BB51_3 Depth=1
	ds_load_b64 v[44:45], v5 offset:20272
	v_add_nc_u32_e64 v3, 0x4800, 0
	ds_store_b64 v5, v[30:31] offset:20280
	s_wait_dscnt 0x1
	ds_store_2addr_b64 v3, v[30:31], v[44:45] offset0:166 offset1:167
.LBB51_415:                             ;   in Loop: Header=BB51_3 Depth=1
	s_or_b32 exec_lo, exec_lo, s57
	v_dual_mov_b32 v44, 0 :: v_dual_mov_b32 v45, 0
	s_wait_dscnt 0x0
	s_barrier_signal -1
	s_barrier_wait -1
	global_wb scope:SCOPE_DEV
	s_wait_storecnt 0x0
	global_inv scope:SCOPE_DEV
	s_and_saveexec_b32 s57, s0
	s_cbranch_execz .LBB51_419
; %bb.416:                              ;   in Loop: Header=BB51_3 Depth=1
	ds_load_b64 v[44:45], v52 offset:19744
	ds_load_b64 v[46:47], v55 offset:20272
	s_wait_dscnt 0x0
	v_pk_mul_f32 v[98:99], v[46:47], v[44:45] op_sel:[1,1] op_sel_hi:[0,1]
	s_delay_alu instid0(VALU_DEP_1) | instskip(SKIP_1) | instid1(VALU_DEP_2)
	v_pk_fma_f32 v[100:101], v[46:47], v[44:45], v[98:99] op_sel_hi:[1,0,1]
	v_pk_fma_f32 v[44:45], v[46:47], v[44:45], v[98:99] neg_lo:[0,0,1] neg_hi:[0,0,1]
	v_mov_b32_e32 v45, v101
	s_delay_alu instid0(VALU_DEP_1)
	v_pk_add_f32 v[44:45], v[44:45], 0 op_sel_hi:[1,0]
	s_and_saveexec_b32 s60, s14
	s_cbranch_execz .LBB51_418
; %bb.417:                              ;   in Loop: Header=BB51_3 Depth=1
	ds_load_b64 v[46:47], v68 offset:20256
	ds_load_b64 v[98:99], v5 offset:20280
	s_wait_dscnt 0x0
	v_pk_mul_f32 v[100:101], v[98:99], v[46:47] op_sel:[1,1] op_sel_hi:[0,1]
	s_delay_alu instid0(VALU_DEP_1) | instskip(SKIP_1) | instid1(VALU_DEP_2)
	v_pk_fma_f32 v[102:103], v[98:99], v[46:47], v[100:101] op_sel_hi:[1,0,1]
	v_pk_fma_f32 v[46:47], v[98:99], v[46:47], v[100:101] neg_lo:[0,0,1] neg_hi:[0,0,1]
	v_mov_b32_e32 v47, v103
	s_delay_alu instid0(VALU_DEP_1)
	v_pk_add_f32 v[44:45], v[44:45], v[46:47]
.LBB51_418:                             ;   in Loop: Header=BB51_3 Depth=1
	s_or_b32 exec_lo, exec_lo, s60
.LBB51_419:                             ;   in Loop: Header=BB51_3 Depth=1
	s_delay_alu instid0(SALU_CYCLE_1)
	s_or_b32 exec_lo, exec_lo, s57
	s_and_saveexec_b32 s57, s90
; %bb.420:                              ;   in Loop: Header=BB51_3 Depth=1
	s_delay_alu instid0(VALU_DEP_1)
	v_pk_add_f32 v[46:47], v[44:45], 0 neg_lo:[1,1] neg_hi:[1,1]
	ds_store_b64 v54, v[46:47]
; %bb.421:                              ;   in Loop: Header=BB51_3 Depth=1
	s_or_b32 exec_lo, exec_lo, s57
	s_wait_loadcnt_dscnt 0x0
	s_barrier_signal -1
	s_barrier_wait -1
	s_and_saveexec_b32 s57, s91
	s_cbranch_execz .LBB51_423
; %bb.422:                              ;   in Loop: Header=BB51_3 Depth=1
	ds_load_b64 v[46:47], v5 offset:19232
	ds_load_b64 v[98:99], v54
	s_wait_dscnt 0x0
	v_pk_mul_f32 v[100:101], v[98:99], v[46:47] op_sel_hi:[1,0]
	s_delay_alu instid0(VALU_DEP_1) | instskip(SKIP_1) | instid1(VALU_DEP_2)
	v_pk_fma_f32 v[102:103], v[98:99], v[46:47], v[100:101] op_sel:[1,1,0] op_sel_hi:[0,1,1]
	v_pk_fma_f32 v[46:47], v[98:99], v[46:47], v[100:101] op_sel:[1,1,0] op_sel_hi:[0,1,1] neg_lo:[0,0,1] neg_hi:[0,0,1]
	v_pk_add_f32 v[98:99], v[44:45], v[102:103] neg_lo:[0,1] neg_hi:[0,1]
	s_delay_alu instid0(VALU_DEP_2) | instskip(NEXT) | instid1(VALU_DEP_2)
	v_pk_add_f32 v[44:45], v[44:45], v[46:47]
	v_mov_b32_e32 v45, v99
.LBB51_423:                             ;   in Loop: Header=BB51_3 Depth=1
	s_or_b32 exec_lo, exec_lo, s57
	s_barrier_signal -1
	s_barrier_wait -1
	s_and_saveexec_b32 s57, s91
; %bb.424:                              ;   in Loop: Header=BB51_3 Depth=1
	v_pk_add_f32 v[46:47], v[44:45], 0 neg_lo:[1,1] neg_hi:[1,1]
	ds_store_b64 v54, v[46:47]
; %bb.425:                              ;   in Loop: Header=BB51_3 Depth=1
	s_or_b32 exec_lo, exec_lo, s57
	s_wait_dscnt 0x0
	s_barrier_signal -1
	s_barrier_wait -1
	s_barrier_signal -1
	s_barrier_wait -1
	s_and_saveexec_b32 s57, s0
; %bb.426:                              ;   in Loop: Header=BB51_3 Depth=1
	ds_store_b64 v56, v[44:45] offset:20256
; %bb.427:                              ;   in Loop: Header=BB51_3 Depth=1
	s_or_b32 exec_lo, exec_lo, s57
	s_wait_dscnt 0x0
	s_barrier_signal -1
	s_barrier_wait -1
	s_barrier_signal -1
	s_barrier_wait -1
	s_and_saveexec_b32 s57, s92
	s_cbranch_execz .LBB51_429
; %bb.428:                              ;   in Loop: Header=BB51_3 Depth=1
	ds_load_b64 v[44:45], v78 offset:19744
	s_wait_dscnt 0x0
	ds_store_b64 v68, v[44:45] offset:18736
	ds_load_b64 v[44:45], v78 offset:19752
	s_wait_dscnt 0x0
	ds_store_b64 v68, v[44:45] offset:19248
.LBB51_429:                             ;   in Loop: Header=BB51_3 Depth=1
	s_or_b32 exec_lo, exec_lo, s57
	s_wait_dscnt 0x0
	s_barrier_signal -1
	s_barrier_wait -1
	s_and_saveexec_b32 s57, s10
	s_cbranch_execz .LBB51_431
; %bb.430:                              ;   in Loop: Header=BB51_3 Depth=1
	ds_load_b64 v[44:45], v5 offset:19232
	v_add_nc_u32_e64 v3, 0x4800, 0
	ds_store_b64 v5, v[30:31] offset:19240
	s_wait_dscnt 0x1
	ds_store_2addr_b64 v3, v[30:31], v[44:45] offset0:36 offset1:37
.LBB51_431:                             ;   in Loop: Header=BB51_3 Depth=1
	s_or_b32 exec_lo, exec_lo, s57
	v_mov_b64_e32 v[44:45], 0
	s_wait_dscnt 0x0
	s_barrier_signal -1
	s_barrier_wait -1
	global_wb scope:SCOPE_DEV
	s_wait_storecnt 0x0
	global_inv scope:SCOPE_DEV
	s_and_saveexec_b32 s57, s2
	s_cbranch_execz .LBB51_437
; %bb.432:                              ;   in Loop: Header=BB51_3 Depth=1
	ds_load_b64 v[44:45], v59 offset:18688
	ds_load_b64 v[46:47], v60 offset:20256
	s_wait_dscnt 0x0
	v_dual_mul_f32 v3, v47, v45 :: v_dual_mul_f32 v4, v46, v45
	s_delay_alu instid0(VALU_DEP_1) | instskip(NEXT) | instid1(VALU_DEP_1)
	v_dual_fma_f32 v3, v46, v44, -v3 :: v_dual_fmac_f32 v4, v47, v44
	v_dual_add_f32 v44, 0, v3 :: v_dual_add_f32 v45, 0, v4
	s_and_saveexec_b32 s60, s15
	s_cbranch_execnz .LBB51_1097
; %bb.433:                              ;   in Loop: Header=BB51_3 Depth=1
	s_or_b32 exec_lo, exec_lo, s60
	s_and_saveexec_b32 s60, s16
	s_cbranch_execnz .LBB51_1098
.LBB51_434:                             ;   in Loop: Header=BB51_3 Depth=1
	s_or_b32 exec_lo, exec_lo, s60
	s_and_saveexec_b32 s60, s0
	s_cbranch_execz .LBB51_436
.LBB51_435:                             ;   in Loop: Header=BB51_3 Depth=1
	ds_load_b64 v[46:47], v79 offset:20224
	ds_load_b64 v[98:99], v5 offset:20280
	s_wait_dscnt 0x0
	v_pk_mul_f32 v[100:101], v[98:99], v[46:47] op_sel:[1,1] op_sel_hi:[0,1]
	s_delay_alu instid0(VALU_DEP_1) | instskip(SKIP_1) | instid1(VALU_DEP_2)
	v_pk_fma_f32 v[102:103], v[98:99], v[46:47], v[100:101] op_sel_hi:[1,0,1]
	v_pk_fma_f32 v[46:47], v[98:99], v[46:47], v[100:101] neg_lo:[0,0,1] neg_hi:[0,0,1]
	v_mov_b32_e32 v47, v103
	s_delay_alu instid0(VALU_DEP_1)
	v_pk_add_f32 v[44:45], v[44:45], v[46:47]
.LBB51_436:                             ;   in Loop: Header=BB51_3 Depth=1
	s_or_b32 exec_lo, exec_lo, s60
.LBB51_437:                             ;   in Loop: Header=BB51_3 Depth=1
	s_delay_alu instid0(SALU_CYCLE_1)
	s_or_b32 exec_lo, exec_lo, s57
	s_and_saveexec_b32 s57, s93
; %bb.438:                              ;   in Loop: Header=BB51_3 Depth=1
	s_delay_alu instid0(VALU_DEP_1)
	v_pk_add_f32 v[46:47], v[44:45], 0 neg_lo:[1,1] neg_hi:[1,1]
	ds_store_b64 v58, v[46:47]
; %bb.439:                              ;   in Loop: Header=BB51_3 Depth=1
	s_or_b32 exec_lo, exec_lo, s57
	s_wait_loadcnt_dscnt 0x0
	s_barrier_signal -1
	s_barrier_wait -1
	s_and_saveexec_b32 s57, s94
	s_cbranch_execz .LBB51_441
; %bb.440:                              ;   in Loop: Header=BB51_3 Depth=1
	ds_load_b64 v[46:47], v59 offset:18176
	ds_load_b64 v[98:99], v58
	s_wait_dscnt 0x0
	v_pk_mul_f32 v[100:101], v[98:99], v[46:47] op_sel:[1,1] op_sel_hi:[0,1]
	s_delay_alu instid0(VALU_DEP_1) | instskip(SKIP_1) | instid1(VALU_DEP_2)
	v_pk_fma_f32 v[102:103], v[98:99], v[46:47], v[100:101] op_sel_hi:[1,0,1]
	v_pk_fma_f32 v[46:47], v[98:99], v[46:47], v[100:101] neg_lo:[0,0,1] neg_hi:[0,0,1]
	v_mov_b32_e32 v47, v103
	s_delay_alu instid0(VALU_DEP_1)
	v_pk_add_f32 v[44:45], v[44:45], v[46:47] neg_lo:[0,1] neg_hi:[0,1]
.LBB51_441:                             ;   in Loop: Header=BB51_3 Depth=1
	s_or_b32 exec_lo, exec_lo, s57
	s_barrier_signal -1
	s_barrier_wait -1
	s_and_saveexec_b32 s57, s95
; %bb.442:                              ;   in Loop: Header=BB51_3 Depth=1
	v_pk_add_f32 v[46:47], v[44:45], 0 neg_lo:[1,1] neg_hi:[1,1]
	ds_store_b64 v58, v[46:47]
; %bb.443:                              ;   in Loop: Header=BB51_3 Depth=1
	s_or_b32 exec_lo, exec_lo, s57
	s_wait_dscnt 0x0
	s_barrier_signal -1
	s_barrier_wait -1
	s_and_saveexec_b32 s57, s96
	s_cbranch_execz .LBB51_445
; %bb.444:                              ;   in Loop: Header=BB51_3 Depth=1
	ds_load_b64 v[46:47], v59 offset:17664
	ds_load_b64 v[98:99], v58
	s_wait_dscnt 0x0
	v_pk_mul_f32 v[100:101], v[98:99], v[46:47] op_sel:[1,1] op_sel_hi:[0,1]
	s_delay_alu instid0(VALU_DEP_1) | instskip(SKIP_1) | instid1(VALU_DEP_2)
	v_pk_fma_f32 v[102:103], v[98:99], v[46:47], v[100:101] op_sel_hi:[1,0,1]
	v_pk_fma_f32 v[46:47], v[98:99], v[46:47], v[100:101] neg_lo:[0,0,1] neg_hi:[0,0,1]
	v_mov_b32_e32 v47, v103
	s_delay_alu instid0(VALU_DEP_1)
	v_pk_add_f32 v[44:45], v[44:45], v[46:47] neg_lo:[0,1] neg_hi:[0,1]
.LBB51_445:                             ;   in Loop: Header=BB51_3 Depth=1
	s_or_b32 exec_lo, exec_lo, s57
	s_barrier_signal -1
	s_barrier_wait -1
	s_and_saveexec_b32 s57, s97
; %bb.446:                              ;   in Loop: Header=BB51_3 Depth=1
	v_pk_add_f32 v[46:47], v[44:45], 0 neg_lo:[1,1] neg_hi:[1,1]
	ds_store_b64 v58, v[46:47]
; %bb.447:                              ;   in Loop: Header=BB51_3 Depth=1
	s_or_b32 exec_lo, exec_lo, s57
	s_wait_dscnt 0x0
	;; [unrolled: 26-line block ×3, first 2 shown]
	s_barrier_signal -1
	s_barrier_wait -1
	s_barrier_signal -1
	s_barrier_wait -1
	s_and_saveexec_b32 s57, s2
; %bb.452:                              ;   in Loop: Header=BB51_3 Depth=1
	ds_store_b64 v62, v[44:45] offset:20224
; %bb.453:                              ;   in Loop: Header=BB51_3 Depth=1
	s_or_b32 exec_lo, exec_lo, s57
	s_wait_dscnt 0x0
	s_barrier_signal -1
	s_barrier_wait -1
	s_barrier_signal -1
	s_barrier_wait -1
	s_and_saveexec_b32 s57, s99
	s_cbranch_execz .LBB51_455
; %bb.454:                              ;   in Loop: Header=BB51_3 Depth=1
	ds_load_b64 v[44:45], v80 offset:18688
	s_wait_dscnt 0x0
	ds_store_b64 v84, v[44:45] offset:16672
	ds_load_b64 v[44:45], v80 offset:18696
	s_wait_dscnt 0x0
	ds_store_b64 v84, v[44:45] offset:17184
	;; [unrolled: 3-line block ×4, first 2 shown]
.LBB51_455:                             ;   in Loop: Header=BB51_3 Depth=1
	s_or_b32 exec_lo, exec_lo, s57
	s_wait_dscnt 0x0
	s_barrier_signal -1
	s_barrier_wait -1
	s_and_saveexec_b32 s57, s10
	s_cbranch_execz .LBB51_457
; %bb.456:                              ;   in Loop: Header=BB51_3 Depth=1
	ds_load_b64 v[44:45], v5 offset:18192
	v_add_nc_u32_e64 v3, 0x4000, 0
	ds_store_b64 v5, v[30:31] offset:18200
	s_wait_dscnt 0x1
	ds_store_2addr_b64 v3, v[30:31], v[44:45] offset0:162 offset1:163
.LBB51_457:                             ;   in Loop: Header=BB51_3 Depth=1
	s_or_b32 exec_lo, exec_lo, s57
	v_dual_mov_b32 v44, 0 :: v_dual_mov_b32 v45, 0
	s_wait_dscnt 0x0
	s_barrier_signal -1
	s_barrier_wait -1
	global_wb scope:SCOPE_DEV
	s_wait_storecnt 0x0
	global_inv scope:SCOPE_DEV
	s_and_saveexec_b32 s57, s0
	s_cbranch_execz .LBB51_461
; %bb.458:                              ;   in Loop: Header=BB51_3 Depth=1
	ds_load_b64 v[44:45], v52 offset:17664
	ds_load_b64 v[46:47], v55 offset:18192
	s_wait_dscnt 0x0
	v_pk_mul_f32 v[98:99], v[46:47], v[44:45] op_sel:[1,1] op_sel_hi:[0,1]
	s_delay_alu instid0(VALU_DEP_1) | instskip(SKIP_1) | instid1(VALU_DEP_2)
	v_pk_fma_f32 v[100:101], v[46:47], v[44:45], v[98:99] op_sel_hi:[1,0,1]
	v_pk_fma_f32 v[44:45], v[46:47], v[44:45], v[98:99] neg_lo:[0,0,1] neg_hi:[0,0,1]
	v_mov_b32_e32 v45, v101
	s_delay_alu instid0(VALU_DEP_1)
	v_pk_add_f32 v[44:45], v[44:45], 0 op_sel_hi:[1,0]
	s_and_saveexec_b32 s60, s14
	s_cbranch_execz .LBB51_460
; %bb.459:                              ;   in Loop: Header=BB51_3 Depth=1
	ds_load_b64 v[46:47], v84 offset:18176
	ds_load_b64 v[98:99], v5 offset:18200
	s_wait_dscnt 0x0
	v_pk_mul_f32 v[100:101], v[98:99], v[46:47] op_sel:[1,1] op_sel_hi:[0,1]
	s_delay_alu instid0(VALU_DEP_1) | instskip(SKIP_1) | instid1(VALU_DEP_2)
	v_pk_fma_f32 v[102:103], v[98:99], v[46:47], v[100:101] op_sel_hi:[1,0,1]
	v_pk_fma_f32 v[46:47], v[98:99], v[46:47], v[100:101] neg_lo:[0,0,1] neg_hi:[0,0,1]
	v_mov_b32_e32 v47, v103
	s_delay_alu instid0(VALU_DEP_1)
	v_pk_add_f32 v[44:45], v[44:45], v[46:47]
.LBB51_460:                             ;   in Loop: Header=BB51_3 Depth=1
	s_or_b32 exec_lo, exec_lo, s60
.LBB51_461:                             ;   in Loop: Header=BB51_3 Depth=1
	s_delay_alu instid0(SALU_CYCLE_1)
	s_or_b32 exec_lo, exec_lo, s57
	s_and_saveexec_b32 s57, s90
; %bb.462:                              ;   in Loop: Header=BB51_3 Depth=1
	s_delay_alu instid0(VALU_DEP_1)
	v_pk_add_f32 v[46:47], v[44:45], 0 neg_lo:[1,1] neg_hi:[1,1]
	ds_store_b64 v54, v[46:47]
; %bb.463:                              ;   in Loop: Header=BB51_3 Depth=1
	s_or_b32 exec_lo, exec_lo, s57
	s_wait_loadcnt_dscnt 0x0
	s_barrier_signal -1
	s_barrier_wait -1
	s_and_saveexec_b32 s57, s91
	s_cbranch_execz .LBB51_465
; %bb.464:                              ;   in Loop: Header=BB51_3 Depth=1
	ds_load_b64 v[46:47], v5 offset:17152
	ds_load_b64 v[98:99], v54
	s_wait_dscnt 0x0
	v_pk_mul_f32 v[100:101], v[98:99], v[46:47] op_sel_hi:[1,0]
	s_delay_alu instid0(VALU_DEP_1) | instskip(SKIP_1) | instid1(VALU_DEP_2)
	v_pk_fma_f32 v[102:103], v[98:99], v[46:47], v[100:101] op_sel:[1,1,0] op_sel_hi:[0,1,1]
	v_pk_fma_f32 v[46:47], v[98:99], v[46:47], v[100:101] op_sel:[1,1,0] op_sel_hi:[0,1,1] neg_lo:[0,0,1] neg_hi:[0,0,1]
	v_pk_add_f32 v[98:99], v[44:45], v[102:103] neg_lo:[0,1] neg_hi:[0,1]
	s_delay_alu instid0(VALU_DEP_2) | instskip(NEXT) | instid1(VALU_DEP_2)
	v_pk_add_f32 v[44:45], v[44:45], v[46:47]
	v_mov_b32_e32 v45, v99
.LBB51_465:                             ;   in Loop: Header=BB51_3 Depth=1
	s_or_b32 exec_lo, exec_lo, s57
	s_barrier_signal -1
	s_barrier_wait -1
	s_and_saveexec_b32 s57, s91
; %bb.466:                              ;   in Loop: Header=BB51_3 Depth=1
	v_pk_add_f32 v[46:47], v[44:45], 0 neg_lo:[1,1] neg_hi:[1,1]
	ds_store_b64 v54, v[46:47]
; %bb.467:                              ;   in Loop: Header=BB51_3 Depth=1
	s_or_b32 exec_lo, exec_lo, s57
	s_wait_dscnt 0x0
	s_barrier_signal -1
	s_barrier_wait -1
	s_barrier_signal -1
	s_barrier_wait -1
	s_and_saveexec_b32 s57, s0
; %bb.468:                              ;   in Loop: Header=BB51_3 Depth=1
	ds_store_b64 v56, v[44:45] offset:18176
; %bb.469:                              ;   in Loop: Header=BB51_3 Depth=1
	s_or_b32 exec_lo, exec_lo, s57
	s_wait_dscnt 0x0
	s_barrier_signal -1
	s_barrier_wait -1
	s_barrier_signal -1
	s_barrier_wait -1
	s_and_saveexec_b32 s57, s92
	s_cbranch_execz .LBB51_471
; %bb.470:                              ;   in Loop: Header=BB51_3 Depth=1
	ds_load_b64 v[44:45], v86 offset:17664
	s_wait_dscnt 0x0
	ds_store_b64 v84, v[44:45] offset:16656
	ds_load_b64 v[44:45], v86 offset:17672
	s_wait_dscnt 0x0
	ds_store_b64 v84, v[44:45] offset:17168
.LBB51_471:                             ;   in Loop: Header=BB51_3 Depth=1
	s_or_b32 exec_lo, exec_lo, s57
	s_wait_dscnt 0x0
	s_barrier_signal -1
	s_barrier_wait -1
	s_and_saveexec_b32 s57, s10
	s_cbranch_execz .LBB51_473
; %bb.472:                              ;   in Loop: Header=BB51_3 Depth=1
	ds_load_b64 v[44:45], v5 offset:17152
	v_add_nc_u32_e64 v3, 0x4000, 0
	ds_store_b64 v5, v[30:31] offset:17160
	s_wait_dscnt 0x1
	ds_store_2addr_b64 v3, v[30:31], v[44:45] offset0:32 offset1:33
.LBB51_473:                             ;   in Loop: Header=BB51_3 Depth=1
	s_or_b32 exec_lo, exec_lo, s57
	v_mov_b64_e32 v[44:45], 0
	s_wait_dscnt 0x0
	s_barrier_signal -1
	s_barrier_wait -1
	global_wb scope:SCOPE_DEV
	s_wait_storecnt 0x0
	global_inv scope:SCOPE_DEV
	s_and_saveexec_b32 s61, s34
	s_cbranch_execz .LBB51_534
; %bb.474:                              ;   in Loop: Header=BB51_3 Depth=1
	ds_load_b64 v[44:45], v72 offset:16384
	ds_load_b64 v[46:47], v76 offset:32512
	v_readlane_b32 s11, v110, 3
	s_wait_dscnt 0x0
	v_dual_mul_f32 v3, v47, v45 :: v_dual_mul_f32 v4, v46, v45
	s_delay_alu instid0(VALU_DEP_1) | instskip(NEXT) | instid1(VALU_DEP_1)
	v_dual_fma_f32 v3, v46, v44, -v3 :: v_dual_fmac_f32 v4, v47, v44
	v_dual_add_f32 v44, 0, v3 :: v_dual_add_f32 v45, 0, v4
	s_and_saveexec_b32 s57, s11
	s_cbranch_execz .LBB51_476
; %bb.475:                              ;   in Loop: Header=BB51_3 Depth=1
	ds_load_b64 v[46:47], v72 offset:16896
	ds_load_b64 v[98:99], v76 offset:32520
	s_wait_dscnt 0x0
	v_dual_mul_f32 v3, v99, v47 :: v_dual_mul_f32 v4, v98, v47
	s_delay_alu instid0(VALU_DEP_1) | instskip(NEXT) | instid1(VALU_DEP_1)
	v_dual_fma_f32 v3, v98, v46, -v3 :: v_dual_fmac_f32 v4, v99, v46
	v_dual_add_f32 v44, v44, v3 :: v_dual_add_f32 v45, v45, v4
.LBB51_476:                             ;   in Loop: Header=BB51_3 Depth=1
	s_or_b32 exec_lo, exec_lo, s57
	v_readlane_b32 s11, v110, 4
	s_and_saveexec_b32 s57, s11
	s_cbranch_execz .LBB51_478
; %bb.477:                              ;   in Loop: Header=BB51_3 Depth=1
	ds_load_b64 v[46:47], v72 offset:17408
	ds_load_b64 v[98:99], v76 offset:32528
	s_wait_dscnt 0x0
	v_dual_mul_f32 v3, v99, v47 :: v_dual_mul_f32 v4, v98, v47
	s_delay_alu instid0(VALU_DEP_1) | instskip(NEXT) | instid1(VALU_DEP_1)
	v_dual_fma_f32 v3, v98, v46, -v3 :: v_dual_fmac_f32 v4, v99, v46
	v_dual_add_f32 v44, v44, v3 :: v_dual_add_f32 v45, v45, v4
.LBB51_478:                             ;   in Loop: Header=BB51_3 Depth=1
	s_or_b32 exec_lo, exec_lo, s57
	v_readlane_b32 s11, v110, 5
	;; [unrolled: 13-line block ×22, first 2 shown]
	s_and_saveexec_b32 s57, s11
	s_cbranch_execz .LBB51_520
; %bb.519:                              ;   in Loop: Header=BB51_3 Depth=1
	ds_load_b64 v[46:47], v72 offset:28160
	ds_load_b64 v[98:99], v76 offset:32696
	s_wait_dscnt 0x0
	v_dual_mul_f32 v3, v99, v47 :: v_dual_mul_f32 v4, v98, v47
	s_delay_alu instid0(VALU_DEP_1) | instskip(NEXT) | instid1(VALU_DEP_1)
	v_dual_fma_f32 v3, v98, v46, -v3 :: v_dual_fmac_f32 v4, v99, v46
	v_dual_add_f32 v44, v44, v3 :: v_dual_add_f32 v45, v45, v4
.LBB51_520:                             ;   in Loop: Header=BB51_3 Depth=1
	s_or_b32 exec_lo, exec_lo, s57
	s_and_saveexec_b32 s57, s4
	s_cbranch_execz .LBB51_522
; %bb.521:                              ;   in Loop: Header=BB51_3 Depth=1
	ds_load_b64 v[46:47], v72 offset:28672
	ds_load_b64 v[98:99], v76 offset:32704
	s_wait_dscnt 0x0
	v_dual_mul_f32 v3, v99, v47 :: v_dual_mul_f32 v4, v98, v47
	s_delay_alu instid0(VALU_DEP_1) | instskip(NEXT) | instid1(VALU_DEP_1)
	v_dual_fma_f32 v3, v98, v46, -v3 :: v_dual_fmac_f32 v4, v99, v46
	v_dual_add_f32 v44, v44, v3 :: v_dual_add_f32 v45, v45, v4
.LBB51_522:                             ;   in Loop: Header=BB51_3 Depth=1
	s_or_b32 exec_lo, exec_lo, s57
	v_readlane_b32 s11, v111, 25
	s_and_saveexec_b32 s57, s11
	s_cbranch_execz .LBB51_524
; %bb.523:                              ;   in Loop: Header=BB51_3 Depth=1
	ds_load_b64 v[46:47], v72 offset:29184
	ds_load_b64 v[98:99], v76 offset:32712
	s_wait_dscnt 0x0
	v_dual_mul_f32 v3, v99, v47 :: v_dual_mul_f32 v4, v98, v47
	s_delay_alu instid0(VALU_DEP_1) | instskip(NEXT) | instid1(VALU_DEP_1)
	v_dual_fma_f32 v3, v98, v46, -v3 :: v_dual_fmac_f32 v4, v99, v46
	v_dual_add_f32 v44, v44, v3 :: v_dual_add_f32 v45, v45, v4
.LBB51_524:                             ;   in Loop: Header=BB51_3 Depth=1
	s_or_b32 exec_lo, exec_lo, s57
	v_readlane_b32 s11, v111, 27
	;; [unrolled: 13-line block ×4, first 2 shown]
	s_and_saveexec_b32 s57, s11
	s_cbranch_execnz .LBB51_1099
; %bb.529:                              ;   in Loop: Header=BB51_3 Depth=1
	s_or_b32 exec_lo, exec_lo, s57
	s_and_saveexec_b32 s57, s13
	s_cbranch_execnz .LBB51_1100
.LBB51_530:                             ;   in Loop: Header=BB51_3 Depth=1
	s_or_b32 exec_lo, exec_lo, s57
	s_and_saveexec_b32 s57, s3
	s_cbranch_execnz .LBB51_1101
.LBB51_531:                             ;   in Loop: Header=BB51_3 Depth=1
	s_or_b32 exec_lo, exec_lo, s57
	s_and_saveexec_b32 s57, s20
	s_delay_alu instid0(SALU_CYCLE_1)
	s_xor_b32 s57, exec_lo, s57
	s_cbranch_execz .LBB51_533
.LBB51_532:                             ;   in Loop: Header=BB51_3 Depth=1
	ds_load_b64 v[46:47], v72 offset:32256
	ds_load_b64 v[98:99], v76 offset:32760
	s_wait_dscnt 0x0
	v_pk_mul_f32 v[100:101], v[98:99], v[46:47] op_sel:[1,1] op_sel_hi:[0,1]
	s_delay_alu instid0(VALU_DEP_1) | instskip(SKIP_1) | instid1(VALU_DEP_2)
	v_pk_fma_f32 v[102:103], v[98:99], v[46:47], v[100:101] op_sel_hi:[1,0,1]
	v_pk_fma_f32 v[46:47], v[98:99], v[46:47], v[100:101] neg_lo:[0,0,1] neg_hi:[0,0,1]
	v_mov_b32_e32 v47, v103
	s_delay_alu instid0(VALU_DEP_1)
	v_pk_add_f32 v[44:45], v[44:45], v[46:47]
.LBB51_533:                             ;   in Loop: Header=BB51_3 Depth=1
	s_or_b32 exec_lo, exec_lo, s57
.LBB51_534:                             ;   in Loop: Header=BB51_3 Depth=1
	s_delay_alu instid0(SALU_CYCLE_1)
	s_or_b32 exec_lo, exec_lo, s61
	v_dual_mov_b32 v3, v97 :: v_dual_mov_b32 v4, v96
	s_mov_b32 s57, 31
	s_branch .LBB51_536
.LBB51_535:                             ;   in Loop: Header=BB51_536 Depth=2
	s_or_b32 exec_lo, exec_lo, s60
	v_add_nc_u32_e32 v4, 0xfffff800, v4
	v_add_nc_u32_e32 v3, 4, v3
	s_add_co_i32 s57, s57, -4
	s_cmp_eq_u32 s61, 0
	s_barrier_signal -1
	s_barrier_wait -1
	s_cbranch_scc1 .LBB51_552
.LBB51_536:                             ;   Parent Loop BB51_3 Depth=1
                                        ; =>  This Inner Loop Header: Depth=2
	s_delay_alu instid0(VALU_DEP_1) | instskip(SKIP_1) | instid1(SALU_CYCLE_1)
	v_cmp_eq_u32_e32 vcc_lo, 0, v3
	s_and_b32 s61, s56, vcc_lo
	s_and_saveexec_b32 s60, s61
; %bb.537:                              ;   in Loop: Header=BB51_536 Depth=2
	v_pk_add_f32 v[46:47], v[44:45], 0 neg_lo:[1,1] neg_hi:[1,1]
	ds_store_b64 v75, v[46:47]
; %bb.538:                              ;   in Loop: Header=BB51_536 Depth=2
	s_or_b32 exec_lo, exec_lo, s60
	v_cmp_gt_u32_e32 vcc_lo, s57, v69
	s_wait_loadcnt_dscnt 0x0
	s_barrier_signal -1
	s_barrier_wait -1
	s_and_b32 s61, s56, vcc_lo
	s_delay_alu instid0(SALU_CYCLE_1)
	s_and_saveexec_b32 s60, s61
	s_cbranch_execz .LBB51_540
; %bb.539:                              ;   in Loop: Header=BB51_536 Depth=2
	ds_load_b64 v[46:47], v4 offset:1536
	ds_load_b64 v[98:99], v75
	s_wait_dscnt 0x0
	v_pk_mul_f32 v[100:101], v[98:99], v[46:47] op_sel:[1,1] op_sel_hi:[0,1]
	s_delay_alu instid0(VALU_DEP_1) | instskip(SKIP_1) | instid1(VALU_DEP_2)
	v_pk_fma_f32 v[102:103], v[98:99], v[46:47], v[100:101] op_sel_hi:[1,0,1]
	v_pk_fma_f32 v[46:47], v[98:99], v[46:47], v[100:101] neg_lo:[0,0,1] neg_hi:[0,0,1]
	v_mov_b32_e32 v47, v103
	s_delay_alu instid0(VALU_DEP_1)
	v_pk_add_f32 v[44:45], v[44:45], v[46:47] neg_lo:[0,1] neg_hi:[0,1]
.LBB51_540:                             ;   in Loop: Header=BB51_536 Depth=2
	s_or_b32 exec_lo, exec_lo, s60
	s_add_co_i32 s60, s57, -1
	s_delay_alu instid0(SALU_CYCLE_1) | instskip(SKIP_3) | instid1(SALU_CYCLE_1)
	v_cmp_eq_u32_e32 vcc_lo, s60, v69
	s_barrier_signal -1
	s_barrier_wait -1
	s_and_b32 s80, s56, vcc_lo
	s_and_saveexec_b32 s61, s80
; %bb.541:                              ;   in Loop: Header=BB51_536 Depth=2
	v_pk_add_f32 v[46:47], v[44:45], 0 neg_lo:[1,1] neg_hi:[1,1]
	ds_store_b64 v75, v[46:47]
; %bb.542:                              ;   in Loop: Header=BB51_536 Depth=2
	s_or_b32 exec_lo, exec_lo, s61
	v_cmp_gt_u32_e32 vcc_lo, s60, v69
	s_wait_dscnt 0x0
	s_barrier_signal -1
	s_barrier_wait -1
	s_and_b32 s61, s56, vcc_lo
	s_delay_alu instid0(SALU_CYCLE_1)
	s_and_saveexec_b32 s60, s61
	s_cbranch_execz .LBB51_544
; %bb.543:                              ;   in Loop: Header=BB51_536 Depth=2
	ds_load_b64 v[46:47], v4 offset:1024
	ds_load_b64 v[98:99], v75
	s_wait_dscnt 0x0
	v_pk_mul_f32 v[100:101], v[98:99], v[46:47] op_sel:[1,1] op_sel_hi:[0,1]
	s_delay_alu instid0(VALU_DEP_1) | instskip(SKIP_1) | instid1(VALU_DEP_2)
	v_pk_fma_f32 v[102:103], v[98:99], v[46:47], v[100:101] op_sel_hi:[1,0,1]
	v_pk_fma_f32 v[46:47], v[98:99], v[46:47], v[100:101] neg_lo:[0,0,1] neg_hi:[0,0,1]
	v_mov_b32_e32 v47, v103
	s_delay_alu instid0(VALU_DEP_1)
	v_pk_add_f32 v[44:45], v[44:45], v[46:47] neg_lo:[0,1] neg_hi:[0,1]
.LBB51_544:                             ;   in Loop: Header=BB51_536 Depth=2
	s_or_b32 exec_lo, exec_lo, s60
	s_add_co_i32 s60, s57, -2
	s_delay_alu instid0(SALU_CYCLE_1) | instskip(SKIP_3) | instid1(SALU_CYCLE_1)
	v_cmp_eq_u32_e32 vcc_lo, s60, v69
	s_barrier_signal -1
	s_barrier_wait -1
	s_and_b32 s80, s56, vcc_lo
	s_and_saveexec_b32 s61, s80
; %bb.545:                              ;   in Loop: Header=BB51_536 Depth=2
	v_pk_add_f32 v[46:47], v[44:45], 0 neg_lo:[1,1] neg_hi:[1,1]
	ds_store_b64 v75, v[46:47]
; %bb.546:                              ;   in Loop: Header=BB51_536 Depth=2
	s_or_b32 exec_lo, exec_lo, s61
	v_cmp_gt_u32_e32 vcc_lo, s60, v69
	s_wait_dscnt 0x0
	;; [unrolled: 33-line block ×3, first 2 shown]
	s_barrier_signal -1
	s_barrier_wait -1
	s_and_b32 s80, s56, vcc_lo
	s_delay_alu instid0(SALU_CYCLE_1)
	s_and_saveexec_b32 s60, s80
	s_cbranch_execz .LBB51_535
; %bb.551:                              ;   in Loop: Header=BB51_536 Depth=2
	ds_load_b64 v[46:47], v4
	ds_load_b64 v[98:99], v75
	s_wait_dscnt 0x0
	v_pk_mul_f32 v[100:101], v[98:99], v[46:47] op_sel:[1,1] op_sel_hi:[0,1]
	s_delay_alu instid0(VALU_DEP_1) | instskip(SKIP_1) | instid1(VALU_DEP_2)
	v_pk_fma_f32 v[102:103], v[98:99], v[46:47], v[100:101] op_sel_hi:[1,0,1]
	v_pk_fma_f32 v[46:47], v[98:99], v[46:47], v[100:101] neg_lo:[0,0,1] neg_hi:[0,0,1]
	v_mov_b32_e32 v47, v103
	s_delay_alu instid0(VALU_DEP_1)
	v_pk_add_f32 v[44:45], v[44:45], v[46:47] neg_lo:[0,1] neg_hi:[0,1]
	s_branch .LBB51_535
.LBB51_552:                             ;   in Loop: Header=BB51_3 Depth=1
	s_and_saveexec_b32 s57, s34
; %bb.553:                              ;   in Loop: Header=BB51_3 Depth=1
	ds_store_b64 v77, v[44:45] offset:32256
; %bb.554:                              ;   in Loop: Header=BB51_3 Depth=1
	s_or_b32 exec_lo, exec_lo, s57
	v_readlane_b32 s11, v111, 11
	s_wait_dscnt 0x0
	s_barrier_signal -1
	s_barrier_wait -1
	s_barrier_signal -1
	s_barrier_wait -1
	s_and_saveexec_b32 s57, s11
	s_cbranch_execz .LBB51_556
; %bb.555:                              ;   in Loop: Header=BB51_3 Depth=1
	ds_load_b64 v[44:45], v86 offset:16384
	v_add_nc_u32_e32 v3, v86, v89
	s_wait_dscnt 0x0
	ds_store_b64 v3, v[44:45] offset:256
	ds_load_b64 v[44:45], v86 offset:16392
	s_wait_dscnt 0x0
	ds_store_b64 v3, v[44:45] offset:768
	ds_load_b64 v[44:45], v86 offset:16400
	;; [unrolled: 3-line block ×31, first 2 shown]
	s_wait_dscnt 0x0
	ds_store_b64 v3, v[44:45] offset:16128
.LBB51_556:                             ;   in Loop: Header=BB51_3 Depth=1
	s_or_b32 exec_lo, exec_lo, s57
	s_wait_dscnt 0x0
	s_barrier_signal -1
	s_barrier_wait -1
	s_and_saveexec_b32 s57, s10
	s_cbranch_execz .LBB51_558
; %bb.557:                              ;   in Loop: Header=BB51_3 Depth=1
	ds_load_b64 v[44:45], v5 offset:16112
	v_add_nc_u32_e64 v3, 0x3800, 0
	ds_store_b64 v5, v[30:31] offset:16120
	s_wait_dscnt 0x1
	ds_store_2addr_b64 v3, v[30:31], v[44:45] offset0:158 offset1:159
.LBB51_558:                             ;   in Loop: Header=BB51_3 Depth=1
	s_or_b32 exec_lo, exec_lo, s57
	v_dual_mov_b32 v44, 0 :: v_dual_mov_b32 v45, 0
	s_wait_dscnt 0x0
	s_barrier_signal -1
	s_barrier_wait -1
	global_wb scope:SCOPE_DEV
	s_wait_storecnt 0x0
	global_inv scope:SCOPE_DEV
	s_and_saveexec_b32 s57, s0
	s_cbranch_execz .LBB51_562
; %bb.559:                              ;   in Loop: Header=BB51_3 Depth=1
	ds_load_b64 v[44:45], v52 offset:15584
	ds_load_b64 v[46:47], v55 offset:16112
	s_wait_dscnt 0x0
	v_pk_mul_f32 v[98:99], v[46:47], v[44:45] op_sel:[1,1] op_sel_hi:[0,1]
	s_delay_alu instid0(VALU_DEP_1) | instskip(SKIP_1) | instid1(VALU_DEP_2)
	v_pk_fma_f32 v[100:101], v[46:47], v[44:45], v[98:99] op_sel_hi:[1,0,1]
	v_pk_fma_f32 v[44:45], v[46:47], v[44:45], v[98:99] neg_lo:[0,0,1] neg_hi:[0,0,1]
	v_mov_b32_e32 v45, v101
	s_delay_alu instid0(VALU_DEP_1)
	v_pk_add_f32 v[44:45], v[44:45], 0 op_sel_hi:[1,0]
	s_and_saveexec_b32 s60, s14
	s_cbranch_execz .LBB51_561
; %bb.560:                              ;   in Loop: Header=BB51_3 Depth=1
	ds_load_b64 v[46:47], v9 offset:16096
	ds_load_b64 v[98:99], v5 offset:16120
	s_wait_dscnt 0x0
	v_pk_mul_f32 v[100:101], v[98:99], v[46:47] op_sel:[1,1] op_sel_hi:[0,1]
	s_delay_alu instid0(VALU_DEP_1) | instskip(SKIP_1) | instid1(VALU_DEP_2)
	v_pk_fma_f32 v[102:103], v[98:99], v[46:47], v[100:101] op_sel_hi:[1,0,1]
	v_pk_fma_f32 v[46:47], v[98:99], v[46:47], v[100:101] neg_lo:[0,0,1] neg_hi:[0,0,1]
	v_mov_b32_e32 v47, v103
	s_delay_alu instid0(VALU_DEP_1)
	v_pk_add_f32 v[44:45], v[44:45], v[46:47]
.LBB51_561:                             ;   in Loop: Header=BB51_3 Depth=1
	s_or_b32 exec_lo, exec_lo, s60
.LBB51_562:                             ;   in Loop: Header=BB51_3 Depth=1
	s_delay_alu instid0(SALU_CYCLE_1)
	s_or_b32 exec_lo, exec_lo, s57
	s_and_saveexec_b32 s57, s90
; %bb.563:                              ;   in Loop: Header=BB51_3 Depth=1
	s_delay_alu instid0(VALU_DEP_1)
	v_pk_add_f32 v[46:47], v[44:45], 0 neg_lo:[1,1] neg_hi:[1,1]
	ds_store_b64 v54, v[46:47]
; %bb.564:                              ;   in Loop: Header=BB51_3 Depth=1
	s_or_b32 exec_lo, exec_lo, s57
	s_wait_loadcnt_dscnt 0x0
	s_barrier_signal -1
	s_barrier_wait -1
	s_and_saveexec_b32 s57, s91
	s_cbranch_execz .LBB51_566
; %bb.565:                              ;   in Loop: Header=BB51_3 Depth=1
	ds_load_b64 v[46:47], v5 offset:15072
	ds_load_b64 v[98:99], v54
	s_wait_dscnt 0x0
	v_pk_mul_f32 v[100:101], v[98:99], v[46:47] op_sel_hi:[1,0]
	s_delay_alu instid0(VALU_DEP_1) | instskip(SKIP_1) | instid1(VALU_DEP_2)
	v_pk_fma_f32 v[102:103], v[98:99], v[46:47], v[100:101] op_sel:[1,1,0] op_sel_hi:[0,1,1]
	v_pk_fma_f32 v[46:47], v[98:99], v[46:47], v[100:101] op_sel:[1,1,0] op_sel_hi:[0,1,1] neg_lo:[0,0,1] neg_hi:[0,0,1]
	v_pk_add_f32 v[98:99], v[44:45], v[102:103] neg_lo:[0,1] neg_hi:[0,1]
	s_delay_alu instid0(VALU_DEP_2) | instskip(NEXT) | instid1(VALU_DEP_2)
	v_pk_add_f32 v[44:45], v[44:45], v[46:47]
	v_mov_b32_e32 v45, v99
.LBB51_566:                             ;   in Loop: Header=BB51_3 Depth=1
	s_or_b32 exec_lo, exec_lo, s57
	s_barrier_signal -1
	s_barrier_wait -1
	s_and_saveexec_b32 s57, s91
; %bb.567:                              ;   in Loop: Header=BB51_3 Depth=1
	v_pk_add_f32 v[46:47], v[44:45], 0 neg_lo:[1,1] neg_hi:[1,1]
	ds_store_b64 v54, v[46:47]
; %bb.568:                              ;   in Loop: Header=BB51_3 Depth=1
	s_or_b32 exec_lo, exec_lo, s57
	s_wait_dscnt 0x0
	s_barrier_signal -1
	s_barrier_wait -1
	s_barrier_signal -1
	s_barrier_wait -1
	s_and_saveexec_b32 s57, s0
; %bb.569:                              ;   in Loop: Header=BB51_3 Depth=1
	ds_store_b64 v56, v[44:45] offset:16096
; %bb.570:                              ;   in Loop: Header=BB51_3 Depth=1
	s_or_b32 exec_lo, exec_lo, s57
	s_wait_dscnt 0x0
	s_barrier_signal -1
	s_barrier_wait -1
	s_barrier_signal -1
	s_barrier_wait -1
	s_and_saveexec_b32 s57, s92
	s_cbranch_execz .LBB51_572
; %bb.571:                              ;   in Loop: Header=BB51_3 Depth=1
	ds_load_b64 v[44:45], v49 offset:15584
	s_wait_dscnt 0x0
	ds_store_b64 v9, v[44:45] offset:14576
	ds_load_b64 v[44:45], v49 offset:15592
	s_wait_dscnt 0x0
	ds_store_b64 v9, v[44:45] offset:15088
.LBB51_572:                             ;   in Loop: Header=BB51_3 Depth=1
	s_or_b32 exec_lo, exec_lo, s57
	s_wait_dscnt 0x0
	s_barrier_signal -1
	s_barrier_wait -1
	s_and_saveexec_b32 s57, s10
	s_cbranch_execz .LBB51_574
; %bb.573:                              ;   in Loop: Header=BB51_3 Depth=1
	ds_load_b64 v[44:45], v5 offset:15072
	v_add_nc_u32_e64 v3, 0x3800, 0
	ds_store_b64 v5, v[30:31] offset:15080
	s_wait_dscnt 0x1
	ds_store_2addr_b64 v3, v[30:31], v[44:45] offset0:28 offset1:29
.LBB51_574:                             ;   in Loop: Header=BB51_3 Depth=1
	s_or_b32 exec_lo, exec_lo, s57
	v_mov_b64_e32 v[44:45], 0
	s_wait_dscnt 0x0
	s_barrier_signal -1
	s_barrier_wait -1
	global_wb scope:SCOPE_DEV
	s_wait_storecnt 0x0
	global_inv scope:SCOPE_DEV
	s_and_saveexec_b32 s57, s2
	s_cbranch_execz .LBB51_580
; %bb.575:                              ;   in Loop: Header=BB51_3 Depth=1
	ds_load_b64 v[44:45], v59 offset:14528
	ds_load_b64 v[46:47], v60 offset:16096
	s_wait_dscnt 0x0
	v_dual_mul_f32 v3, v47, v45 :: v_dual_mul_f32 v4, v46, v45
	s_delay_alu instid0(VALU_DEP_1) | instskip(NEXT) | instid1(VALU_DEP_1)
	v_dual_fma_f32 v3, v46, v44, -v3 :: v_dual_fmac_f32 v4, v47, v44
	v_dual_add_f32 v44, 0, v3 :: v_dual_add_f32 v45, 0, v4
	s_and_saveexec_b32 s60, s15
	s_cbranch_execnz .LBB51_1102
; %bb.576:                              ;   in Loop: Header=BB51_3 Depth=1
	s_or_b32 exec_lo, exec_lo, s60
	s_and_saveexec_b32 s60, s16
	s_cbranch_execnz .LBB51_1103
.LBB51_577:                             ;   in Loop: Header=BB51_3 Depth=1
	s_or_b32 exec_lo, exec_lo, s60
	s_and_saveexec_b32 s60, s0
	s_cbranch_execz .LBB51_579
.LBB51_578:                             ;   in Loop: Header=BB51_3 Depth=1
	ds_load_b64 v[46:47], v50 offset:16064
	ds_load_b64 v[98:99], v5 offset:16120
	s_wait_dscnt 0x0
	v_pk_mul_f32 v[100:101], v[98:99], v[46:47] op_sel:[1,1] op_sel_hi:[0,1]
	s_delay_alu instid0(VALU_DEP_1) | instskip(SKIP_1) | instid1(VALU_DEP_2)
	v_pk_fma_f32 v[102:103], v[98:99], v[46:47], v[100:101] op_sel_hi:[1,0,1]
	v_pk_fma_f32 v[46:47], v[98:99], v[46:47], v[100:101] neg_lo:[0,0,1] neg_hi:[0,0,1]
	v_mov_b32_e32 v47, v103
	s_delay_alu instid0(VALU_DEP_1)
	v_pk_add_f32 v[44:45], v[44:45], v[46:47]
.LBB51_579:                             ;   in Loop: Header=BB51_3 Depth=1
	s_or_b32 exec_lo, exec_lo, s60
.LBB51_580:                             ;   in Loop: Header=BB51_3 Depth=1
	s_delay_alu instid0(SALU_CYCLE_1)
	s_or_b32 exec_lo, exec_lo, s57
	s_and_saveexec_b32 s57, s93
; %bb.581:                              ;   in Loop: Header=BB51_3 Depth=1
	s_delay_alu instid0(VALU_DEP_1)
	v_pk_add_f32 v[46:47], v[44:45], 0 neg_lo:[1,1] neg_hi:[1,1]
	ds_store_b64 v58, v[46:47]
; %bb.582:                              ;   in Loop: Header=BB51_3 Depth=1
	s_or_b32 exec_lo, exec_lo, s57
	s_wait_loadcnt_dscnt 0x0
	s_barrier_signal -1
	s_barrier_wait -1
	s_and_saveexec_b32 s57, s94
	s_cbranch_execz .LBB51_584
; %bb.583:                              ;   in Loop: Header=BB51_3 Depth=1
	ds_load_b64 v[46:47], v59 offset:14016
	ds_load_b64 v[98:99], v58
	s_wait_dscnt 0x0
	v_pk_mul_f32 v[100:101], v[98:99], v[46:47] op_sel:[1,1] op_sel_hi:[0,1]
	s_delay_alu instid0(VALU_DEP_1) | instskip(SKIP_1) | instid1(VALU_DEP_2)
	v_pk_fma_f32 v[102:103], v[98:99], v[46:47], v[100:101] op_sel_hi:[1,0,1]
	v_pk_fma_f32 v[46:47], v[98:99], v[46:47], v[100:101] neg_lo:[0,0,1] neg_hi:[0,0,1]
	v_mov_b32_e32 v47, v103
	s_delay_alu instid0(VALU_DEP_1)
	v_pk_add_f32 v[44:45], v[44:45], v[46:47] neg_lo:[0,1] neg_hi:[0,1]
.LBB51_584:                             ;   in Loop: Header=BB51_3 Depth=1
	s_or_b32 exec_lo, exec_lo, s57
	s_barrier_signal -1
	s_barrier_wait -1
	s_and_saveexec_b32 s57, s95
; %bb.585:                              ;   in Loop: Header=BB51_3 Depth=1
	v_pk_add_f32 v[46:47], v[44:45], 0 neg_lo:[1,1] neg_hi:[1,1]
	ds_store_b64 v58, v[46:47]
; %bb.586:                              ;   in Loop: Header=BB51_3 Depth=1
	s_or_b32 exec_lo, exec_lo, s57
	s_wait_dscnt 0x0
	s_barrier_signal -1
	s_barrier_wait -1
	s_and_saveexec_b32 s57, s96
	s_cbranch_execz .LBB51_588
; %bb.587:                              ;   in Loop: Header=BB51_3 Depth=1
	ds_load_b64 v[46:47], v59 offset:13504
	ds_load_b64 v[98:99], v58
	s_wait_dscnt 0x0
	v_pk_mul_f32 v[100:101], v[98:99], v[46:47] op_sel:[1,1] op_sel_hi:[0,1]
	s_delay_alu instid0(VALU_DEP_1) | instskip(SKIP_1) | instid1(VALU_DEP_2)
	v_pk_fma_f32 v[102:103], v[98:99], v[46:47], v[100:101] op_sel_hi:[1,0,1]
	v_pk_fma_f32 v[46:47], v[98:99], v[46:47], v[100:101] neg_lo:[0,0,1] neg_hi:[0,0,1]
	v_mov_b32_e32 v47, v103
	s_delay_alu instid0(VALU_DEP_1)
	v_pk_add_f32 v[44:45], v[44:45], v[46:47] neg_lo:[0,1] neg_hi:[0,1]
.LBB51_588:                             ;   in Loop: Header=BB51_3 Depth=1
	s_or_b32 exec_lo, exec_lo, s57
	s_barrier_signal -1
	s_barrier_wait -1
	s_and_saveexec_b32 s57, s97
; %bb.589:                              ;   in Loop: Header=BB51_3 Depth=1
	v_pk_add_f32 v[46:47], v[44:45], 0 neg_lo:[1,1] neg_hi:[1,1]
	ds_store_b64 v58, v[46:47]
; %bb.590:                              ;   in Loop: Header=BB51_3 Depth=1
	s_or_b32 exec_lo, exec_lo, s57
	s_wait_dscnt 0x0
	;; [unrolled: 26-line block ×3, first 2 shown]
	s_barrier_signal -1
	s_barrier_wait -1
	s_barrier_signal -1
	s_barrier_wait -1
	s_and_saveexec_b32 s57, s2
; %bb.595:                              ;   in Loop: Header=BB51_3 Depth=1
	ds_store_b64 v62, v[44:45] offset:16064
; %bb.596:                              ;   in Loop: Header=BB51_3 Depth=1
	s_or_b32 exec_lo, exec_lo, s57
	s_wait_dscnt 0x0
	s_barrier_signal -1
	s_barrier_wait -1
	s_barrier_signal -1
	s_barrier_wait -1
	s_and_saveexec_b32 s57, s99
	s_cbranch_execz .LBB51_598
; %bb.597:                              ;   in Loop: Header=BB51_3 Depth=1
	ds_load_b64 v[44:45], v51 offset:14528
	s_wait_dscnt 0x0
	ds_store_b64 v53, v[44:45] offset:12512
	ds_load_b64 v[44:45], v51 offset:14536
	s_wait_dscnt 0x0
	ds_store_b64 v53, v[44:45] offset:13024
	;; [unrolled: 3-line block ×4, first 2 shown]
.LBB51_598:                             ;   in Loop: Header=BB51_3 Depth=1
	s_or_b32 exec_lo, exec_lo, s57
	s_wait_dscnt 0x0
	s_barrier_signal -1
	s_barrier_wait -1
	s_and_saveexec_b32 s57, s10
	s_cbranch_execz .LBB51_600
; %bb.599:                              ;   in Loop: Header=BB51_3 Depth=1
	ds_load_b64 v[44:45], v5 offset:14032
	v_add_nc_u32_e64 v3, 0x3000, 0
	ds_store_b64 v5, v[30:31] offset:14040
	s_wait_dscnt 0x1
	ds_store_2addr_b64 v3, v[30:31], v[44:45] offset0:154 offset1:155
.LBB51_600:                             ;   in Loop: Header=BB51_3 Depth=1
	s_or_b32 exec_lo, exec_lo, s57
	v_dual_mov_b32 v44, 0 :: v_dual_mov_b32 v45, 0
	s_wait_dscnt 0x0
	s_barrier_signal -1
	s_barrier_wait -1
	global_wb scope:SCOPE_DEV
	s_wait_storecnt 0x0
	global_inv scope:SCOPE_DEV
	s_and_saveexec_b32 s57, s0
	s_cbranch_execz .LBB51_604
; %bb.601:                              ;   in Loop: Header=BB51_3 Depth=1
	ds_load_b64 v[44:45], v52 offset:13504
	ds_load_b64 v[46:47], v55 offset:14032
	s_wait_dscnt 0x0
	v_pk_mul_f32 v[98:99], v[46:47], v[44:45] op_sel:[1,1] op_sel_hi:[0,1]
	s_delay_alu instid0(VALU_DEP_1) | instskip(SKIP_1) | instid1(VALU_DEP_2)
	v_pk_fma_f32 v[100:101], v[46:47], v[44:45], v[98:99] op_sel_hi:[1,0,1]
	v_pk_fma_f32 v[44:45], v[46:47], v[44:45], v[98:99] neg_lo:[0,0,1] neg_hi:[0,0,1]
	v_mov_b32_e32 v45, v101
	s_delay_alu instid0(VALU_DEP_1)
	v_pk_add_f32 v[44:45], v[44:45], 0 op_sel_hi:[1,0]
	s_and_saveexec_b32 s60, s14
	s_cbranch_execz .LBB51_603
; %bb.602:                              ;   in Loop: Header=BB51_3 Depth=1
	ds_load_b64 v[46:47], v53 offset:14016
	ds_load_b64 v[98:99], v5 offset:14040
	s_wait_dscnt 0x0
	v_pk_mul_f32 v[100:101], v[98:99], v[46:47] op_sel:[1,1] op_sel_hi:[0,1]
	s_delay_alu instid0(VALU_DEP_1) | instskip(SKIP_1) | instid1(VALU_DEP_2)
	v_pk_fma_f32 v[102:103], v[98:99], v[46:47], v[100:101] op_sel_hi:[1,0,1]
	v_pk_fma_f32 v[46:47], v[98:99], v[46:47], v[100:101] neg_lo:[0,0,1] neg_hi:[0,0,1]
	v_mov_b32_e32 v47, v103
	s_delay_alu instid0(VALU_DEP_1)
	v_pk_add_f32 v[44:45], v[44:45], v[46:47]
.LBB51_603:                             ;   in Loop: Header=BB51_3 Depth=1
	s_or_b32 exec_lo, exec_lo, s60
.LBB51_604:                             ;   in Loop: Header=BB51_3 Depth=1
	s_delay_alu instid0(SALU_CYCLE_1)
	s_or_b32 exec_lo, exec_lo, s57
	s_and_saveexec_b32 s57, s90
; %bb.605:                              ;   in Loop: Header=BB51_3 Depth=1
	s_delay_alu instid0(VALU_DEP_1)
	v_pk_add_f32 v[46:47], v[44:45], 0 neg_lo:[1,1] neg_hi:[1,1]
	ds_store_b64 v54, v[46:47]
; %bb.606:                              ;   in Loop: Header=BB51_3 Depth=1
	s_or_b32 exec_lo, exec_lo, s57
	s_wait_loadcnt_dscnt 0x0
	s_barrier_signal -1
	s_barrier_wait -1
	s_and_saveexec_b32 s57, s91
	s_cbranch_execz .LBB51_608
; %bb.607:                              ;   in Loop: Header=BB51_3 Depth=1
	ds_load_b64 v[46:47], v5 offset:12992
	ds_load_b64 v[98:99], v54
	s_wait_dscnt 0x0
	v_pk_mul_f32 v[100:101], v[98:99], v[46:47] op_sel_hi:[1,0]
	s_delay_alu instid0(VALU_DEP_1) | instskip(SKIP_1) | instid1(VALU_DEP_2)
	v_pk_fma_f32 v[102:103], v[98:99], v[46:47], v[100:101] op_sel:[1,1,0] op_sel_hi:[0,1,1]
	v_pk_fma_f32 v[46:47], v[98:99], v[46:47], v[100:101] op_sel:[1,1,0] op_sel_hi:[0,1,1] neg_lo:[0,0,1] neg_hi:[0,0,1]
	v_pk_add_f32 v[98:99], v[44:45], v[102:103] neg_lo:[0,1] neg_hi:[0,1]
	s_delay_alu instid0(VALU_DEP_2) | instskip(NEXT) | instid1(VALU_DEP_2)
	v_pk_add_f32 v[44:45], v[44:45], v[46:47]
	v_mov_b32_e32 v45, v99
.LBB51_608:                             ;   in Loop: Header=BB51_3 Depth=1
	s_or_b32 exec_lo, exec_lo, s57
	s_barrier_signal -1
	s_barrier_wait -1
	s_and_saveexec_b32 s57, s91
; %bb.609:                              ;   in Loop: Header=BB51_3 Depth=1
	v_pk_add_f32 v[46:47], v[44:45], 0 neg_lo:[1,1] neg_hi:[1,1]
	ds_store_b64 v54, v[46:47]
; %bb.610:                              ;   in Loop: Header=BB51_3 Depth=1
	s_or_b32 exec_lo, exec_lo, s57
	s_wait_dscnt 0x0
	s_barrier_signal -1
	s_barrier_wait -1
	s_barrier_signal -1
	s_barrier_wait -1
	s_and_saveexec_b32 s57, s0
; %bb.611:                              ;   in Loop: Header=BB51_3 Depth=1
	ds_store_b64 v56, v[44:45] offset:14016
; %bb.612:                              ;   in Loop: Header=BB51_3 Depth=1
	s_or_b32 exec_lo, exec_lo, s57
	s_wait_dscnt 0x0
	s_barrier_signal -1
	s_barrier_wait -1
	s_barrier_signal -1
	s_barrier_wait -1
	s_and_saveexec_b32 s57, s92
	s_cbranch_execz .LBB51_614
; %bb.613:                              ;   in Loop: Header=BB51_3 Depth=1
	ds_load_b64 v[44:45], v57 offset:13504
	s_wait_dscnt 0x0
	ds_store_b64 v53, v[44:45] offset:12496
	ds_load_b64 v[44:45], v57 offset:13512
	s_wait_dscnt 0x0
	ds_store_b64 v53, v[44:45] offset:13008
.LBB51_614:                             ;   in Loop: Header=BB51_3 Depth=1
	s_or_b32 exec_lo, exec_lo, s57
	s_wait_dscnt 0x0
	s_barrier_signal -1
	s_barrier_wait -1
	s_and_saveexec_b32 s57, s10
	s_cbranch_execz .LBB51_616
; %bb.615:                              ;   in Loop: Header=BB51_3 Depth=1
	ds_load_b64 v[44:45], v5 offset:12992
	v_add_nc_u32_e64 v3, 0x3000, 0
	ds_store_b64 v5, v[30:31] offset:13000
	s_wait_dscnt 0x1
	ds_store_2addr_b64 v3, v[30:31], v[44:45] offset0:24 offset1:25
.LBB51_616:                             ;   in Loop: Header=BB51_3 Depth=1
	s_or_b32 exec_lo, exec_lo, s57
	v_mov_b64_e32 v[44:45], 0
	s_wait_dscnt 0x0
	s_barrier_signal -1
	s_barrier_wait -1
	global_wb scope:SCOPE_DEV
	s_wait_storecnt 0x0
	global_inv scope:SCOPE_DEV
	s_and_saveexec_b32 s57, s3
	s_cbranch_execz .LBB51_626
; %bb.617:                              ;   in Loop: Header=BB51_3 Depth=1
	ds_load_b64 v[44:45], v63 offset:12416
	ds_load_b64 v[46:47], v66 offset:16064
	s_wait_dscnt 0x0
	v_dual_mul_f32 v3, v47, v45 :: v_dual_mul_f32 v4, v46, v45
	s_delay_alu instid0(VALU_DEP_1) | instskip(NEXT) | instid1(VALU_DEP_1)
	v_dual_fma_f32 v3, v46, v44, -v3 :: v_dual_fmac_f32 v4, v47, v44
	v_dual_add_f32 v44, 0, v3 :: v_dual_add_f32 v45, 0, v4
	s_and_saveexec_b32 s60, s17
	s_cbranch_execnz .LBB51_1104
; %bb.618:                              ;   in Loop: Header=BB51_3 Depth=1
	s_or_b32 exec_lo, exec_lo, s60
	s_and_saveexec_b32 s60, s18
	s_cbranch_execnz .LBB51_1105
.LBB51_619:                             ;   in Loop: Header=BB51_3 Depth=1
	s_or_b32 exec_lo, exec_lo, s60
	s_and_saveexec_b32 s60, s19
	s_cbranch_execnz .LBB51_1106
.LBB51_620:                             ;   in Loop: Header=BB51_3 Depth=1
	s_or_b32 exec_lo, exec_lo, s60
	s_and_saveexec_b32 s60, s20
	s_cbranch_execnz .LBB51_1107
.LBB51_621:                             ;   in Loop: Header=BB51_3 Depth=1
	s_or_b32 exec_lo, exec_lo, s60
	s_and_saveexec_b32 s60, s21
	s_cbranch_execnz .LBB51_1108
.LBB51_622:                             ;   in Loop: Header=BB51_3 Depth=1
	s_or_b32 exec_lo, exec_lo, s60
	s_and_saveexec_b32 s60, s2
	s_cbranch_execnz .LBB51_1109
.LBB51_623:                             ;   in Loop: Header=BB51_3 Depth=1
	s_or_b32 exec_lo, exec_lo, s60
	s_and_saveexec_b32 s60, s16
	s_cbranch_execz .LBB51_625
.LBB51_624:                             ;   in Loop: Header=BB51_3 Depth=1
	ds_load_b64 v[46:47], v61 offset:16000
	ds_load_b64 v[98:99], v5 offset:16120
	s_wait_dscnt 0x0
	v_pk_mul_f32 v[100:101], v[98:99], v[46:47] op_sel:[1,1] op_sel_hi:[0,1]
	s_delay_alu instid0(VALU_DEP_1) | instskip(SKIP_1) | instid1(VALU_DEP_2)
	v_pk_fma_f32 v[102:103], v[98:99], v[46:47], v[100:101] op_sel_hi:[1,0,1]
	v_pk_fma_f32 v[46:47], v[98:99], v[46:47], v[100:101] neg_lo:[0,0,1] neg_hi:[0,0,1]
	v_mov_b32_e32 v47, v103
	s_delay_alu instid0(VALU_DEP_1)
	v_pk_add_f32 v[44:45], v[44:45], v[46:47]
.LBB51_625:                             ;   in Loop: Header=BB51_3 Depth=1
	s_or_b32 exec_lo, exec_lo, s60
.LBB51_626:                             ;   in Loop: Header=BB51_3 Depth=1
	s_delay_alu instid0(SALU_CYCLE_1)
	s_or_b32 exec_lo, exec_lo, s57
	s_and_saveexec_b32 s57, s100
; %bb.627:                              ;   in Loop: Header=BB51_3 Depth=1
	s_delay_alu instid0(VALU_DEP_1)
	v_pk_add_f32 v[46:47], v[44:45], 0 neg_lo:[1,1] neg_hi:[1,1]
	ds_store_b64 v65, v[46:47]
; %bb.628:                              ;   in Loop: Header=BB51_3 Depth=1
	s_or_b32 exec_lo, exec_lo, s57
	s_wait_loadcnt_dscnt 0x0
	s_barrier_signal -1
	s_barrier_wait -1
	s_and_saveexec_b32 s57, s101
	s_cbranch_execz .LBB51_630
; %bb.629:                              ;   in Loop: Header=BB51_3 Depth=1
	ds_load_b64 v[46:47], v63 offset:11904
	ds_load_b64 v[98:99], v65
	s_wait_dscnt 0x0
	v_pk_mul_f32 v[100:101], v[98:99], v[46:47] op_sel:[1,1] op_sel_hi:[0,1]
	s_delay_alu instid0(VALU_DEP_1) | instskip(SKIP_1) | instid1(VALU_DEP_2)
	v_pk_fma_f32 v[102:103], v[98:99], v[46:47], v[100:101] op_sel_hi:[1,0,1]
	v_pk_fma_f32 v[46:47], v[98:99], v[46:47], v[100:101] neg_lo:[0,0,1] neg_hi:[0,0,1]
	v_mov_b32_e32 v47, v103
	s_delay_alu instid0(VALU_DEP_1)
	v_pk_add_f32 v[44:45], v[44:45], v[46:47] neg_lo:[0,1] neg_hi:[0,1]
.LBB51_630:                             ;   in Loop: Header=BB51_3 Depth=1
	s_or_b32 exec_lo, exec_lo, s57
	s_barrier_signal -1
	s_barrier_wait -1
	s_and_saveexec_b32 s57, s102
; %bb.631:                              ;   in Loop: Header=BB51_3 Depth=1
	v_pk_add_f32 v[46:47], v[44:45], 0 neg_lo:[1,1] neg_hi:[1,1]
	ds_store_b64 v65, v[46:47]
; %bb.632:                              ;   in Loop: Header=BB51_3 Depth=1
	s_or_b32 exec_lo, exec_lo, s57
	s_wait_dscnt 0x0
	s_barrier_signal -1
	s_barrier_wait -1
	s_and_saveexec_b32 s57, s103
	s_cbranch_execz .LBB51_634
; %bb.633:                              ;   in Loop: Header=BB51_3 Depth=1
	ds_load_b64 v[46:47], v63 offset:11392
	ds_load_b64 v[98:99], v65
	s_wait_dscnt 0x0
	v_dual_mul_f32 v3, v99, v47 :: v_dual_mul_f32 v4, v98, v47
	s_delay_alu instid0(VALU_DEP_1) | instskip(NEXT) | instid1(VALU_DEP_1)
	v_dual_fma_f32 v3, v98, v46, -v3 :: v_dual_fmac_f32 v4, v99, v46
	v_dual_sub_f32 v44, v44, v3 :: v_dual_sub_f32 v45, v45, v4
.LBB51_634:                             ;   in Loop: Header=BB51_3 Depth=1
	s_or_b32 exec_lo, exec_lo, s57
	s_barrier_signal -1
	s_barrier_wait -1
	s_and_saveexec_b32 s57, s104
; %bb.635:                              ;   in Loop: Header=BB51_3 Depth=1
	v_pk_add_f32 v[46:47], v[44:45], 0 neg_lo:[1,1] neg_hi:[1,1]
	ds_store_b64 v65, v[46:47]
; %bb.636:                              ;   in Loop: Header=BB51_3 Depth=1
	s_or_b32 exec_lo, exec_lo, s57
	s_wait_dscnt 0x0
	s_barrier_signal -1
	s_barrier_wait -1
	s_and_saveexec_b32 s57, vcc_hi
	s_cbranch_execz .LBB51_638
; %bb.637:                              ;   in Loop: Header=BB51_3 Depth=1
	ds_load_b64 v[46:47], v63 offset:10880
	ds_load_b64 v[98:99], v65
	s_wait_dscnt 0x0
	v_dual_mul_f32 v3, v99, v47 :: v_dual_mul_f32 v101, v98, v47
	s_delay_alu instid0(VALU_DEP_1) | instskip(NEXT) | instid1(VALU_DEP_1)
	v_dual_fma_f32 v100, v98, v46, -v3 :: v_dual_fmac_f32 v101, v99, v46
	v_pk_add_f32 v[44:45], v[44:45], v[100:101] neg_lo:[0,1] neg_hi:[0,1]
.LBB51_638:                             ;   in Loop: Header=BB51_3 Depth=1
	s_or_b32 exec_lo, exec_lo, s57
	s_barrier_signal -1
	s_barrier_wait -1
	s_and_saveexec_b32 s57, s38
; %bb.639:                              ;   in Loop: Header=BB51_3 Depth=1
	v_pk_add_f32 v[46:47], v[44:45], 0 neg_lo:[1,1] neg_hi:[1,1]
	ds_store_b64 v65, v[46:47]
; %bb.640:                              ;   in Loop: Header=BB51_3 Depth=1
	s_or_b32 exec_lo, exec_lo, s57
	s_wait_dscnt 0x0
	s_barrier_signal -1
	s_barrier_wait -1
	s_and_saveexec_b32 s57, s39
	s_cbranch_execz .LBB51_642
; %bb.641:                              ;   in Loop: Header=BB51_3 Depth=1
	ds_load_b64 v[46:47], v63 offset:10368
	ds_load_b64 v[98:99], v65
	s_wait_dscnt 0x0
	v_pk_mul_f32 v[100:101], v[98:99], v[46:47] op_sel:[1,1] op_sel_hi:[0,1]
	s_delay_alu instid0(VALU_DEP_1) | instskip(SKIP_1) | instid1(VALU_DEP_2)
	v_pk_fma_f32 v[102:103], v[98:99], v[46:47], v[100:101] op_sel_hi:[1,0,1]
	v_pk_fma_f32 v[46:47], v[98:99], v[46:47], v[100:101] neg_lo:[0,0,1] neg_hi:[0,0,1]
	v_mov_b32_e32 v47, v103
	s_delay_alu instid0(VALU_DEP_1)
	v_pk_add_f32 v[44:45], v[44:45], v[46:47] neg_lo:[0,1] neg_hi:[0,1]
.LBB51_642:                             ;   in Loop: Header=BB51_3 Depth=1
	s_or_b32 exec_lo, exec_lo, s57
	s_barrier_signal -1
	s_barrier_wait -1
	s_and_saveexec_b32 s57, s40
; %bb.643:                              ;   in Loop: Header=BB51_3 Depth=1
	v_pk_add_f32 v[46:47], v[44:45], 0 neg_lo:[1,1] neg_hi:[1,1]
	ds_store_b64 v65, v[46:47]
; %bb.644:                              ;   in Loop: Header=BB51_3 Depth=1
	s_or_b32 exec_lo, exec_lo, s57
	s_wait_dscnt 0x0
	s_barrier_signal -1
	s_barrier_wait -1
	s_and_saveexec_b32 s57, s41
	s_cbranch_execz .LBB51_646
; %bb.645:                              ;   in Loop: Header=BB51_3 Depth=1
	ds_load_b64 v[46:47], v63 offset:9856
	ds_load_b64 v[98:99], v65
	s_wait_dscnt 0x0
	v_pk_mul_f32 v[100:101], v[98:99], v[46:47] op_sel:[1,1] op_sel_hi:[0,1]
	s_delay_alu instid0(VALU_DEP_1) | instskip(SKIP_1) | instid1(VALU_DEP_2)
	v_pk_fma_f32 v[102:103], v[98:99], v[46:47], v[100:101] op_sel_hi:[1,0,1]
	v_pk_fma_f32 v[46:47], v[98:99], v[46:47], v[100:101] neg_lo:[0,0,1] neg_hi:[0,0,1]
	v_mov_b32_e32 v47, v103
	s_delay_alu instid0(VALU_DEP_1)
	v_pk_add_f32 v[44:45], v[44:45], v[46:47] neg_lo:[0,1] neg_hi:[0,1]
.LBB51_646:                             ;   in Loop: Header=BB51_3 Depth=1
	s_or_b32 exec_lo, exec_lo, s57
	s_barrier_signal -1
	s_barrier_wait -1
	s_and_saveexec_b32 s57, s42
; %bb.647:                              ;   in Loop: Header=BB51_3 Depth=1
	v_pk_add_f32 v[46:47], v[44:45], 0 neg_lo:[1,1] neg_hi:[1,1]
	ds_store_b64 v65, v[46:47]
; %bb.648:                              ;   in Loop: Header=BB51_3 Depth=1
	s_or_b32 exec_lo, exec_lo, s57
	s_wait_dscnt 0x0
	s_barrier_signal -1
	s_barrier_wait -1
	s_and_saveexec_b32 s57, s43
	s_cbranch_execz .LBB51_650
; %bb.649:                              ;   in Loop: Header=BB51_3 Depth=1
	ds_load_b64 v[46:47], v63 offset:9344
	ds_load_b64 v[98:99], v65
	s_wait_dscnt 0x0
	v_pk_mul_f32 v[100:101], v[98:99], v[46:47] op_sel:[1,1] op_sel_hi:[0,1]
	s_delay_alu instid0(VALU_DEP_1) | instskip(SKIP_1) | instid1(VALU_DEP_2)
	v_pk_fma_f32 v[102:103], v[98:99], v[46:47], v[100:101] op_sel_hi:[1,0,1]
	v_pk_fma_f32 v[46:47], v[98:99], v[46:47], v[100:101] neg_lo:[0,0,1] neg_hi:[0,0,1]
	v_mov_b32_e32 v47, v103
	s_delay_alu instid0(VALU_DEP_1)
	v_pk_add_f32 v[44:45], v[44:45], v[46:47] neg_lo:[0,1] neg_hi:[0,1]
.LBB51_650:                             ;   in Loop: Header=BB51_3 Depth=1
	s_or_b32 exec_lo, exec_lo, s57
	s_barrier_signal -1
	s_barrier_wait -1
	s_and_saveexec_b32 s57, s44
; %bb.651:                              ;   in Loop: Header=BB51_3 Depth=1
	v_pk_add_f32 v[46:47], v[44:45], 0 neg_lo:[1,1] neg_hi:[1,1]
	ds_store_b64 v65, v[46:47]
; %bb.652:                              ;   in Loop: Header=BB51_3 Depth=1
	s_or_b32 exec_lo, exec_lo, s57
	s_wait_dscnt 0x0
	s_barrier_signal -1
	s_barrier_wait -1
	s_and_saveexec_b32 s57, s45
	s_cbranch_execz .LBB51_654
; %bb.653:                              ;   in Loop: Header=BB51_3 Depth=1
	ds_load_b64 v[46:47], v5 offset:8832
	ds_load_b64 v[98:99], v65
	s_wait_dscnt 0x0
	v_pk_mul_f32 v[100:101], v[98:99], v[46:47] op_sel:[1,1] op_sel_hi:[0,1]
	s_delay_alu instid0(VALU_DEP_1) | instskip(SKIP_1) | instid1(VALU_DEP_2)
	v_pk_fma_f32 v[102:103], v[98:99], v[46:47], v[100:101] op_sel_hi:[1,0,1]
	v_pk_fma_f32 v[46:47], v[98:99], v[46:47], v[100:101] neg_lo:[0,0,1] neg_hi:[0,0,1]
	v_mov_b32_e32 v47, v103
	s_delay_alu instid0(VALU_DEP_1)
	v_pk_add_f32 v[44:45], v[44:45], v[46:47] neg_lo:[0,1] neg_hi:[0,1]
.LBB51_654:                             ;   in Loop: Header=BB51_3 Depth=1
	s_or_b32 exec_lo, exec_lo, s57
	s_barrier_signal -1
	s_barrier_wait -1
	s_and_saveexec_b32 s57, s45
; %bb.655:                              ;   in Loop: Header=BB51_3 Depth=1
	v_pk_add_f32 v[46:47], v[44:45], 0 neg_lo:[1,1] neg_hi:[1,1]
	ds_store_b64 v65, v[46:47]
; %bb.656:                              ;   in Loop: Header=BB51_3 Depth=1
	s_or_b32 exec_lo, exec_lo, s57
	s_wait_dscnt 0x0
	s_barrier_signal -1
	s_barrier_wait -1
	s_barrier_signal -1
	s_barrier_wait -1
	s_and_saveexec_b32 s57, s3
; %bb.657:                              ;   in Loop: Header=BB51_3 Depth=1
	ds_store_b64 v67, v[44:45] offset:16000
; %bb.658:                              ;   in Loop: Header=BB51_3 Depth=1
	s_or_b32 exec_lo, exec_lo, s57
	s_wait_dscnt 0x0
	s_barrier_signal -1
	s_barrier_wait -1
	s_barrier_signal -1
	s_barrier_wait -1
	s_and_saveexec_b32 s57, s46
	s_cbranch_execz .LBB51_660
; %bb.659:                              ;   in Loop: Header=BB51_3 Depth=1
	ds_load_b64 v[44:45], v64 offset:12416
	s_wait_dscnt 0x0
	ds_store_b64 v68, v[44:45] offset:8384
	ds_load_b64 v[44:45], v64 offset:12424
	s_wait_dscnt 0x0
	ds_store_b64 v68, v[44:45] offset:8896
	ds_load_b64 v[44:45], v64 offset:12432
	s_wait_dscnt 0x0
	ds_store_b64 v68, v[44:45] offset:9408
	ds_load_b64 v[44:45], v64 offset:12440
	s_wait_dscnt 0x0
	ds_store_b64 v68, v[44:45] offset:9920
	ds_load_b64 v[44:45], v64 offset:12448
	s_wait_dscnt 0x0
	ds_store_b64 v68, v[44:45] offset:10432
	ds_load_b64 v[44:45], v64 offset:12456
	s_wait_dscnt 0x0
	ds_store_b64 v68, v[44:45] offset:10944
	ds_load_b64 v[44:45], v64 offset:12464
	s_wait_dscnt 0x0
	ds_store_b64 v68, v[44:45] offset:11456
	ds_load_b64 v[44:45], v64 offset:12472
	s_wait_dscnt 0x0
	ds_store_b64 v68, v[44:45] offset:11968
.LBB51_660:                             ;   in Loop: Header=BB51_3 Depth=1
	s_or_b32 exec_lo, exec_lo, s57
	s_wait_dscnt 0x0
	s_barrier_signal -1
	s_barrier_wait -1
	s_and_saveexec_b32 s57, s10
	s_cbranch_execz .LBB51_662
; %bb.661:                              ;   in Loop: Header=BB51_3 Depth=1
	ds_load_b64 v[44:45], v5 offset:11952
	v_add_nc_u32_e64 v3, 0x2800, 0
	ds_store_b64 v5, v[30:31] offset:11960
	s_wait_dscnt 0x1
	ds_store_2addr_b64 v3, v[30:31], v[44:45] offset0:150 offset1:151
.LBB51_662:                             ;   in Loop: Header=BB51_3 Depth=1
	s_or_b32 exec_lo, exec_lo, s57
	v_dual_mov_b32 v44, 0 :: v_dual_mov_b32 v45, 0
	s_wait_dscnt 0x0
	s_barrier_signal -1
	s_barrier_wait -1
	global_wb scope:SCOPE_DEV
	s_wait_storecnt 0x0
	global_inv scope:SCOPE_DEV
	s_and_saveexec_b32 s57, s0
	s_cbranch_execz .LBB51_666
; %bb.663:                              ;   in Loop: Header=BB51_3 Depth=1
	ds_load_b64 v[44:45], v52 offset:11424
	ds_load_b64 v[46:47], v55 offset:11952
	s_wait_dscnt 0x0
	v_pk_mul_f32 v[98:99], v[46:47], v[44:45] op_sel:[1,1] op_sel_hi:[0,1]
	s_delay_alu instid0(VALU_DEP_1) | instskip(SKIP_1) | instid1(VALU_DEP_2)
	v_pk_fma_f32 v[100:101], v[46:47], v[44:45], v[98:99] op_sel_hi:[1,0,1]
	v_pk_fma_f32 v[44:45], v[46:47], v[44:45], v[98:99] neg_lo:[0,0,1] neg_hi:[0,0,1]
	v_mov_b32_e32 v45, v101
	s_delay_alu instid0(VALU_DEP_1)
	v_pk_add_f32 v[44:45], v[44:45], 0 op_sel_hi:[1,0]
	s_and_saveexec_b32 s60, s14
	s_cbranch_execz .LBB51_665
; %bb.664:                              ;   in Loop: Header=BB51_3 Depth=1
	ds_load_b64 v[46:47], v68 offset:11936
	ds_load_b64 v[98:99], v5 offset:11960
	s_wait_dscnt 0x0
	v_pk_mul_f32 v[100:101], v[98:99], v[46:47] op_sel:[1,1] op_sel_hi:[0,1]
	s_delay_alu instid0(VALU_DEP_1) | instskip(SKIP_1) | instid1(VALU_DEP_2)
	v_pk_fma_f32 v[102:103], v[98:99], v[46:47], v[100:101] op_sel_hi:[1,0,1]
	v_pk_fma_f32 v[46:47], v[98:99], v[46:47], v[100:101] neg_lo:[0,0,1] neg_hi:[0,0,1]
	v_mov_b32_e32 v47, v103
	s_delay_alu instid0(VALU_DEP_1)
	v_pk_add_f32 v[44:45], v[44:45], v[46:47]
.LBB51_665:                             ;   in Loop: Header=BB51_3 Depth=1
	s_or_b32 exec_lo, exec_lo, s60
.LBB51_666:                             ;   in Loop: Header=BB51_3 Depth=1
	s_delay_alu instid0(SALU_CYCLE_1)
	s_or_b32 exec_lo, exec_lo, s57
	s_and_saveexec_b32 s57, s90
; %bb.667:                              ;   in Loop: Header=BB51_3 Depth=1
	s_delay_alu instid0(VALU_DEP_1)
	v_pk_add_f32 v[46:47], v[44:45], 0 neg_lo:[1,1] neg_hi:[1,1]
	ds_store_b64 v54, v[46:47]
; %bb.668:                              ;   in Loop: Header=BB51_3 Depth=1
	s_or_b32 exec_lo, exec_lo, s57
	s_wait_loadcnt_dscnt 0x0
	s_barrier_signal -1
	s_barrier_wait -1
	s_and_saveexec_b32 s57, s91
	s_cbranch_execz .LBB51_670
; %bb.669:                              ;   in Loop: Header=BB51_3 Depth=1
	ds_load_b64 v[46:47], v5 offset:10912
	ds_load_b64 v[98:99], v54
	s_wait_dscnt 0x0
	v_pk_mul_f32 v[100:101], v[98:99], v[46:47] op_sel_hi:[1,0]
	s_delay_alu instid0(VALU_DEP_1) | instskip(SKIP_1) | instid1(VALU_DEP_2)
	v_pk_fma_f32 v[102:103], v[98:99], v[46:47], v[100:101] op_sel:[1,1,0] op_sel_hi:[0,1,1]
	v_pk_fma_f32 v[46:47], v[98:99], v[46:47], v[100:101] op_sel:[1,1,0] op_sel_hi:[0,1,1] neg_lo:[0,0,1] neg_hi:[0,0,1]
	v_pk_add_f32 v[98:99], v[44:45], v[102:103] neg_lo:[0,1] neg_hi:[0,1]
	s_delay_alu instid0(VALU_DEP_2) | instskip(NEXT) | instid1(VALU_DEP_2)
	v_pk_add_f32 v[44:45], v[44:45], v[46:47]
	v_mov_b32_e32 v45, v99
.LBB51_670:                             ;   in Loop: Header=BB51_3 Depth=1
	s_or_b32 exec_lo, exec_lo, s57
	s_barrier_signal -1
	s_barrier_wait -1
	s_and_saveexec_b32 s57, s91
; %bb.671:                              ;   in Loop: Header=BB51_3 Depth=1
	v_pk_add_f32 v[46:47], v[44:45], 0 neg_lo:[1,1] neg_hi:[1,1]
	ds_store_b64 v54, v[46:47]
; %bb.672:                              ;   in Loop: Header=BB51_3 Depth=1
	s_or_b32 exec_lo, exec_lo, s57
	s_wait_dscnt 0x0
	s_barrier_signal -1
	s_barrier_wait -1
	s_barrier_signal -1
	s_barrier_wait -1
	s_and_saveexec_b32 s57, s0
; %bb.673:                              ;   in Loop: Header=BB51_3 Depth=1
	ds_store_b64 v56, v[44:45] offset:11936
; %bb.674:                              ;   in Loop: Header=BB51_3 Depth=1
	s_or_b32 exec_lo, exec_lo, s57
	s_wait_dscnt 0x0
	s_barrier_signal -1
	s_barrier_wait -1
	s_barrier_signal -1
	s_barrier_wait -1
	s_and_saveexec_b32 s57, s92
	s_cbranch_execz .LBB51_676
; %bb.675:                              ;   in Loop: Header=BB51_3 Depth=1
	ds_load_b64 v[44:45], v78 offset:11424
	s_wait_dscnt 0x0
	ds_store_b64 v68, v[44:45] offset:10416
	ds_load_b64 v[44:45], v78 offset:11432
	s_wait_dscnt 0x0
	ds_store_b64 v68, v[44:45] offset:10928
.LBB51_676:                             ;   in Loop: Header=BB51_3 Depth=1
	s_or_b32 exec_lo, exec_lo, s57
	s_wait_dscnt 0x0
	s_barrier_signal -1
	s_barrier_wait -1
	s_and_saveexec_b32 s57, s10
	s_cbranch_execz .LBB51_678
; %bb.677:                              ;   in Loop: Header=BB51_3 Depth=1
	ds_load_b64 v[44:45], v5 offset:10912
	v_add_nc_u32_e64 v3, 0x2800, 0
	ds_store_b64 v5, v[30:31] offset:10920
	s_wait_dscnt 0x1
	ds_store_2addr_b64 v3, v[30:31], v[44:45] offset0:20 offset1:21
.LBB51_678:                             ;   in Loop: Header=BB51_3 Depth=1
	s_or_b32 exec_lo, exec_lo, s57
	v_mov_b64_e32 v[44:45], 0
	s_wait_dscnt 0x0
	s_barrier_signal -1
	s_barrier_wait -1
	global_wb scope:SCOPE_DEV
	s_wait_storecnt 0x0
	global_inv scope:SCOPE_DEV
	s_and_saveexec_b32 s57, s2
	s_cbranch_execz .LBB51_684
; %bb.679:                              ;   in Loop: Header=BB51_3 Depth=1
	ds_load_b64 v[44:45], v59 offset:10368
	ds_load_b64 v[46:47], v60 offset:11936
	s_wait_dscnt 0x0
	v_dual_mul_f32 v3, v47, v45 :: v_dual_mul_f32 v4, v46, v45
	s_delay_alu instid0(VALU_DEP_1) | instskip(NEXT) | instid1(VALU_DEP_1)
	v_dual_fma_f32 v3, v46, v44, -v3 :: v_dual_fmac_f32 v4, v47, v44
	v_dual_add_f32 v44, 0, v3 :: v_dual_add_f32 v45, 0, v4
	s_and_saveexec_b32 s60, s15
	s_cbranch_execnz .LBB51_1110
; %bb.680:                              ;   in Loop: Header=BB51_3 Depth=1
	s_or_b32 exec_lo, exec_lo, s60
	s_and_saveexec_b32 s60, s16
	s_cbranch_execnz .LBB51_1111
.LBB51_681:                             ;   in Loop: Header=BB51_3 Depth=1
	s_or_b32 exec_lo, exec_lo, s60
	s_and_saveexec_b32 s60, s0
	s_cbranch_execz .LBB51_683
.LBB51_682:                             ;   in Loop: Header=BB51_3 Depth=1
	ds_load_b64 v[46:47], v79 offset:11904
	ds_load_b64 v[98:99], v5 offset:11960
	s_wait_dscnt 0x0
	v_pk_mul_f32 v[100:101], v[98:99], v[46:47] op_sel:[1,1] op_sel_hi:[0,1]
	s_delay_alu instid0(VALU_DEP_1) | instskip(SKIP_1) | instid1(VALU_DEP_2)
	v_pk_fma_f32 v[102:103], v[98:99], v[46:47], v[100:101] op_sel_hi:[1,0,1]
	v_pk_fma_f32 v[46:47], v[98:99], v[46:47], v[100:101] neg_lo:[0,0,1] neg_hi:[0,0,1]
	v_mov_b32_e32 v47, v103
	s_delay_alu instid0(VALU_DEP_1)
	v_pk_add_f32 v[44:45], v[44:45], v[46:47]
.LBB51_683:                             ;   in Loop: Header=BB51_3 Depth=1
	s_or_b32 exec_lo, exec_lo, s60
.LBB51_684:                             ;   in Loop: Header=BB51_3 Depth=1
	s_delay_alu instid0(SALU_CYCLE_1)
	s_or_b32 exec_lo, exec_lo, s57
	s_and_saveexec_b32 s57, s93
; %bb.685:                              ;   in Loop: Header=BB51_3 Depth=1
	s_delay_alu instid0(VALU_DEP_1)
	v_pk_add_f32 v[46:47], v[44:45], 0 neg_lo:[1,1] neg_hi:[1,1]
	ds_store_b64 v58, v[46:47]
; %bb.686:                              ;   in Loop: Header=BB51_3 Depth=1
	s_or_b32 exec_lo, exec_lo, s57
	s_wait_loadcnt_dscnt 0x0
	s_barrier_signal -1
	s_barrier_wait -1
	s_and_saveexec_b32 s57, s94
	s_cbranch_execz .LBB51_688
; %bb.687:                              ;   in Loop: Header=BB51_3 Depth=1
	ds_load_b64 v[46:47], v59 offset:9856
	ds_load_b64 v[98:99], v58
	s_wait_dscnt 0x0
	v_pk_mul_f32 v[100:101], v[98:99], v[46:47] op_sel:[1,1] op_sel_hi:[0,1]
	s_delay_alu instid0(VALU_DEP_1) | instskip(SKIP_1) | instid1(VALU_DEP_2)
	v_pk_fma_f32 v[102:103], v[98:99], v[46:47], v[100:101] op_sel_hi:[1,0,1]
	v_pk_fma_f32 v[46:47], v[98:99], v[46:47], v[100:101] neg_lo:[0,0,1] neg_hi:[0,0,1]
	v_mov_b32_e32 v47, v103
	s_delay_alu instid0(VALU_DEP_1)
	v_pk_add_f32 v[44:45], v[44:45], v[46:47] neg_lo:[0,1] neg_hi:[0,1]
.LBB51_688:                             ;   in Loop: Header=BB51_3 Depth=1
	s_or_b32 exec_lo, exec_lo, s57
	s_barrier_signal -1
	s_barrier_wait -1
	s_and_saveexec_b32 s57, s95
; %bb.689:                              ;   in Loop: Header=BB51_3 Depth=1
	v_pk_add_f32 v[46:47], v[44:45], 0 neg_lo:[1,1] neg_hi:[1,1]
	ds_store_b64 v58, v[46:47]
; %bb.690:                              ;   in Loop: Header=BB51_3 Depth=1
	s_or_b32 exec_lo, exec_lo, s57
	s_wait_dscnt 0x0
	s_barrier_signal -1
	s_barrier_wait -1
	s_and_saveexec_b32 s57, s96
	s_cbranch_execz .LBB51_692
; %bb.691:                              ;   in Loop: Header=BB51_3 Depth=1
	ds_load_b64 v[46:47], v59 offset:9344
	ds_load_b64 v[98:99], v58
	s_wait_dscnt 0x0
	v_pk_mul_f32 v[100:101], v[98:99], v[46:47] op_sel:[1,1] op_sel_hi:[0,1]
	s_delay_alu instid0(VALU_DEP_1) | instskip(SKIP_1) | instid1(VALU_DEP_2)
	v_pk_fma_f32 v[102:103], v[98:99], v[46:47], v[100:101] op_sel_hi:[1,0,1]
	v_pk_fma_f32 v[46:47], v[98:99], v[46:47], v[100:101] neg_lo:[0,0,1] neg_hi:[0,0,1]
	v_mov_b32_e32 v47, v103
	s_delay_alu instid0(VALU_DEP_1)
	v_pk_add_f32 v[44:45], v[44:45], v[46:47] neg_lo:[0,1] neg_hi:[0,1]
.LBB51_692:                             ;   in Loop: Header=BB51_3 Depth=1
	s_or_b32 exec_lo, exec_lo, s57
	s_barrier_signal -1
	s_barrier_wait -1
	s_and_saveexec_b32 s57, s97
; %bb.693:                              ;   in Loop: Header=BB51_3 Depth=1
	v_pk_add_f32 v[46:47], v[44:45], 0 neg_lo:[1,1] neg_hi:[1,1]
	ds_store_b64 v58, v[46:47]
; %bb.694:                              ;   in Loop: Header=BB51_3 Depth=1
	s_or_b32 exec_lo, exec_lo, s57
	s_wait_dscnt 0x0
	;; [unrolled: 26-line block ×3, first 2 shown]
	s_barrier_signal -1
	s_barrier_wait -1
	s_barrier_signal -1
	s_barrier_wait -1
	s_and_saveexec_b32 s57, s2
; %bb.699:                              ;   in Loop: Header=BB51_3 Depth=1
	ds_store_b64 v62, v[44:45] offset:11904
; %bb.700:                              ;   in Loop: Header=BB51_3 Depth=1
	s_or_b32 exec_lo, exec_lo, s57
	s_wait_dscnt 0x0
	s_barrier_signal -1
	s_barrier_wait -1
	s_barrier_signal -1
	s_barrier_wait -1
	s_and_saveexec_b32 s57, s99
	s_cbranch_execz .LBB51_702
; %bb.701:                              ;   in Loop: Header=BB51_3 Depth=1
	ds_load_b64 v[44:45], v80 offset:10368
	s_wait_dscnt 0x0
	ds_store_b64 v84, v[44:45] offset:8352
	ds_load_b64 v[44:45], v80 offset:10376
	s_wait_dscnt 0x0
	ds_store_b64 v84, v[44:45] offset:8864
	;; [unrolled: 3-line block ×4, first 2 shown]
.LBB51_702:                             ;   in Loop: Header=BB51_3 Depth=1
	s_or_b32 exec_lo, exec_lo, s57
	s_wait_dscnt 0x0
	s_barrier_signal -1
	s_barrier_wait -1
	s_and_saveexec_b32 s57, s10
	s_cbranch_execz .LBB51_704
; %bb.703:                              ;   in Loop: Header=BB51_3 Depth=1
	ds_load_b64 v[44:45], v5 offset:9872
	v_add_nc_u32_e64 v3, 0x2000, 0
	ds_store_b64 v5, v[30:31] offset:9880
	s_wait_dscnt 0x1
	ds_store_2addr_b64 v3, v[30:31], v[44:45] offset0:146 offset1:147
.LBB51_704:                             ;   in Loop: Header=BB51_3 Depth=1
	s_or_b32 exec_lo, exec_lo, s57
	v_dual_mov_b32 v44, 0 :: v_dual_mov_b32 v45, 0
	s_wait_dscnt 0x0
	s_barrier_signal -1
	s_barrier_wait -1
	global_wb scope:SCOPE_DEV
	s_wait_storecnt 0x0
	global_inv scope:SCOPE_DEV
	s_and_saveexec_b32 s57, s0
	s_cbranch_execz .LBB51_708
; %bb.705:                              ;   in Loop: Header=BB51_3 Depth=1
	ds_load_b64 v[44:45], v52 offset:9344
	ds_load_b64 v[46:47], v55 offset:9872
	s_wait_dscnt 0x0
	v_pk_mul_f32 v[98:99], v[46:47], v[44:45] op_sel:[1,1] op_sel_hi:[0,1]
	s_delay_alu instid0(VALU_DEP_1) | instskip(SKIP_1) | instid1(VALU_DEP_2)
	v_pk_fma_f32 v[100:101], v[46:47], v[44:45], v[98:99] op_sel_hi:[1,0,1]
	v_pk_fma_f32 v[44:45], v[46:47], v[44:45], v[98:99] neg_lo:[0,0,1] neg_hi:[0,0,1]
	v_mov_b32_e32 v45, v101
	s_delay_alu instid0(VALU_DEP_1)
	v_pk_add_f32 v[44:45], v[44:45], 0 op_sel_hi:[1,0]
	s_and_saveexec_b32 s60, s14
	s_cbranch_execz .LBB51_707
; %bb.706:                              ;   in Loop: Header=BB51_3 Depth=1
	ds_load_b64 v[46:47], v84 offset:9856
	ds_load_b64 v[98:99], v5 offset:9880
	s_wait_dscnt 0x0
	v_pk_mul_f32 v[100:101], v[98:99], v[46:47] op_sel:[1,1] op_sel_hi:[0,1]
	s_delay_alu instid0(VALU_DEP_1) | instskip(SKIP_1) | instid1(VALU_DEP_2)
	v_pk_fma_f32 v[102:103], v[98:99], v[46:47], v[100:101] op_sel_hi:[1,0,1]
	v_pk_fma_f32 v[46:47], v[98:99], v[46:47], v[100:101] neg_lo:[0,0,1] neg_hi:[0,0,1]
	v_mov_b32_e32 v47, v103
	s_delay_alu instid0(VALU_DEP_1)
	v_pk_add_f32 v[44:45], v[44:45], v[46:47]
.LBB51_707:                             ;   in Loop: Header=BB51_3 Depth=1
	s_or_b32 exec_lo, exec_lo, s60
.LBB51_708:                             ;   in Loop: Header=BB51_3 Depth=1
	s_delay_alu instid0(SALU_CYCLE_1)
	s_or_b32 exec_lo, exec_lo, s57
	s_and_saveexec_b32 s57, s90
; %bb.709:                              ;   in Loop: Header=BB51_3 Depth=1
	s_delay_alu instid0(VALU_DEP_1)
	v_pk_add_f32 v[46:47], v[44:45], 0 neg_lo:[1,1] neg_hi:[1,1]
	ds_store_b64 v54, v[46:47]
; %bb.710:                              ;   in Loop: Header=BB51_3 Depth=1
	s_or_b32 exec_lo, exec_lo, s57
	s_wait_loadcnt_dscnt 0x0
	s_barrier_signal -1
	s_barrier_wait -1
	s_and_saveexec_b32 s57, s91
	s_cbranch_execz .LBB51_712
; %bb.711:                              ;   in Loop: Header=BB51_3 Depth=1
	ds_load_b64 v[46:47], v5 offset:8832
	ds_load_b64 v[98:99], v54
	s_wait_dscnt 0x0
	v_pk_mul_f32 v[100:101], v[98:99], v[46:47] op_sel_hi:[1,0]
	s_delay_alu instid0(VALU_DEP_1) | instskip(SKIP_1) | instid1(VALU_DEP_2)
	v_pk_fma_f32 v[102:103], v[98:99], v[46:47], v[100:101] op_sel:[1,1,0] op_sel_hi:[0,1,1]
	v_pk_fma_f32 v[46:47], v[98:99], v[46:47], v[100:101] op_sel:[1,1,0] op_sel_hi:[0,1,1] neg_lo:[0,0,1] neg_hi:[0,0,1]
	v_pk_add_f32 v[98:99], v[44:45], v[102:103] neg_lo:[0,1] neg_hi:[0,1]
	s_delay_alu instid0(VALU_DEP_2) | instskip(NEXT) | instid1(VALU_DEP_2)
	v_pk_add_f32 v[44:45], v[44:45], v[46:47]
	v_mov_b32_e32 v45, v99
.LBB51_712:                             ;   in Loop: Header=BB51_3 Depth=1
	s_or_b32 exec_lo, exec_lo, s57
	s_barrier_signal -1
	s_barrier_wait -1
	s_and_saveexec_b32 s57, s91
; %bb.713:                              ;   in Loop: Header=BB51_3 Depth=1
	v_pk_add_f32 v[46:47], v[44:45], 0 neg_lo:[1,1] neg_hi:[1,1]
	ds_store_b64 v54, v[46:47]
; %bb.714:                              ;   in Loop: Header=BB51_3 Depth=1
	s_or_b32 exec_lo, exec_lo, s57
	s_wait_dscnt 0x0
	s_barrier_signal -1
	s_barrier_wait -1
	s_barrier_signal -1
	s_barrier_wait -1
	s_and_saveexec_b32 s57, s0
; %bb.715:                              ;   in Loop: Header=BB51_3 Depth=1
	ds_store_b64 v56, v[44:45] offset:9856
; %bb.716:                              ;   in Loop: Header=BB51_3 Depth=1
	s_or_b32 exec_lo, exec_lo, s57
	s_wait_dscnt 0x0
	s_barrier_signal -1
	s_barrier_wait -1
	s_barrier_signal -1
	s_barrier_wait -1
	s_and_saveexec_b32 s57, s92
	s_cbranch_execz .LBB51_718
; %bb.717:                              ;   in Loop: Header=BB51_3 Depth=1
	ds_load_b64 v[44:45], v86 offset:9344
	s_wait_dscnt 0x0
	ds_store_b64 v84, v[44:45] offset:8336
	ds_load_b64 v[44:45], v86 offset:9352
	s_wait_dscnt 0x0
	ds_store_b64 v84, v[44:45] offset:8848
.LBB51_718:                             ;   in Loop: Header=BB51_3 Depth=1
	s_or_b32 exec_lo, exec_lo, s57
	s_wait_dscnt 0x0
	s_barrier_signal -1
	s_barrier_wait -1
	s_and_saveexec_b32 s57, s10
	s_cbranch_execz .LBB51_720
; %bb.719:                              ;   in Loop: Header=BB51_3 Depth=1
	ds_load_b64 v[44:45], v5 offset:8832
	v_add_nc_u32_e64 v3, 0x2000, 0
	ds_store_b64 v5, v[30:31] offset:8840
	s_wait_dscnt 0x1
	ds_store_2addr_b64 v3, v[30:31], v[44:45] offset0:16 offset1:17
.LBB51_720:                             ;   in Loop: Header=BB51_3 Depth=1
	s_or_b32 exec_lo, exec_lo, s57
	v_mov_b64_e32 v[44:45], 0
	s_wait_dscnt 0x0
	s_barrier_signal -1
	s_barrier_wait -1
	global_wb scope:SCOPE_DEV
	s_wait_storecnt 0x0
	global_inv scope:SCOPE_DEV
	s_and_saveexec_b32 s61, s4
	s_cbranch_execz .LBB51_748
; %bb.721:                              ;   in Loop: Header=BB51_3 Depth=1
	ds_load_b64 v[44:45], v70 offset:8192
	ds_load_b64 v[46:47], v73 offset:16000
	v_readlane_b32 s11, v111, 24
	s_wait_dscnt 0x0
	v_dual_mul_f32 v3, v47, v45 :: v_dual_mul_f32 v4, v46, v45
	s_delay_alu instid0(VALU_DEP_1) | instskip(NEXT) | instid1(VALU_DEP_1)
	v_dual_fma_f32 v3, v46, v44, -v3 :: v_dual_fmac_f32 v4, v47, v44
	v_dual_add_f32 v44, 0, v3 :: v_dual_add_f32 v45, 0, v4
	s_and_saveexec_b32 s57, s11
	s_cbranch_execz .LBB51_723
; %bb.722:                              ;   in Loop: Header=BB51_3 Depth=1
	ds_load_b64 v[46:47], v70 offset:8704
	ds_load_b64 v[98:99], v73 offset:16008
	s_wait_dscnt 0x0
	v_dual_mul_f32 v3, v99, v47 :: v_dual_mul_f32 v4, v98, v47
	s_delay_alu instid0(VALU_DEP_1) | instskip(NEXT) | instid1(VALU_DEP_1)
	v_dual_fma_f32 v3, v98, v46, -v3 :: v_dual_fmac_f32 v4, v99, v46
	v_dual_add_f32 v44, v44, v3 :: v_dual_add_f32 v45, v45, v4
.LBB51_723:                             ;   in Loop: Header=BB51_3 Depth=1
	s_or_b32 exec_lo, exec_lo, s57
	v_readlane_b32 s11, v111, 25
	s_and_saveexec_b32 s57, s11
	s_cbranch_execz .LBB51_725
; %bb.724:                              ;   in Loop: Header=BB51_3 Depth=1
	ds_load_b64 v[46:47], v70 offset:9216
	ds_load_b64 v[98:99], v73 offset:16016
	s_wait_dscnt 0x0
	v_dual_mul_f32 v3, v99, v47 :: v_dual_mul_f32 v4, v98, v47
	s_delay_alu instid0(VALU_DEP_1) | instskip(NEXT) | instid1(VALU_DEP_1)
	v_dual_fma_f32 v3, v98, v46, -v3 :: v_dual_fmac_f32 v4, v99, v46
	v_dual_add_f32 v44, v44, v3 :: v_dual_add_f32 v45, v45, v4
.LBB51_725:                             ;   in Loop: Header=BB51_3 Depth=1
	s_or_b32 exec_lo, exec_lo, s57
	v_readlane_b32 s11, v111, 26
	;; [unrolled: 13-line block ×8, first 2 shown]
	s_and_saveexec_b32 s57, s11
	s_cbranch_execz .LBB51_739
; %bb.738:                              ;   in Loop: Header=BB51_3 Depth=1
	ds_load_b64 v[46:47], v70 offset:12800
	ds_load_b64 v[98:99], v73 offset:16072
	s_wait_dscnt 0x0
	v_dual_mul_f32 v3, v99, v47 :: v_dual_mul_f32 v4, v98, v47
	s_delay_alu instid0(VALU_DEP_1) | instskip(NEXT) | instid1(VALU_DEP_1)
	v_dual_fma_f32 v3, v98, v46, -v3 :: v_dual_fmac_f32 v4, v99, v46
	v_dual_add_f32 v44, v44, v3 :: v_dual_add_f32 v45, v45, v4
.LBB51_739:                             ;   in Loop: Header=BB51_3 Depth=1
	s_or_b32 exec_lo, exec_lo, s57
	s_and_saveexec_b32 s57, s13
	s_cbranch_execz .LBB51_741
; %bb.740:                              ;   in Loop: Header=BB51_3 Depth=1
	ds_load_b64 v[46:47], v70 offset:13312
	ds_load_b64 v[98:99], v73 offset:16080
	s_wait_dscnt 0x0
	v_dual_mul_f32 v3, v99, v47 :: v_dual_mul_f32 v4, v98, v47
	s_delay_alu instid0(VALU_DEP_1) | instskip(NEXT) | instid1(VALU_DEP_1)
	v_dual_fma_f32 v3, v98, v46, -v3 :: v_dual_fmac_f32 v4, v99, v46
	v_dual_add_f32 v44, v44, v3 :: v_dual_add_f32 v45, v45, v4
.LBB51_741:                             ;   in Loop: Header=BB51_3 Depth=1
	s_or_b32 exec_lo, exec_lo, s57
	v_readlane_b32 s11, v110, 1
	s_and_saveexec_b32 s57, s11
	s_cbranch_execnz .LBB51_1112
; %bb.742:                              ;   in Loop: Header=BB51_3 Depth=1
	s_or_b32 exec_lo, exec_lo, s57
	s_and_saveexec_b32 s57, s3
	s_cbranch_execnz .LBB51_1113
.LBB51_743:                             ;   in Loop: Header=BB51_3 Depth=1
	s_or_b32 exec_lo, exec_lo, s57
	s_and_saveexec_b32 s57, s18
	s_cbranch_execnz .LBB51_1114
.LBB51_744:                             ;   in Loop: Header=BB51_3 Depth=1
	s_or_b32 exec_lo, exec_lo, s57
	s_and_saveexec_b32 s57, s20
	s_cbranch_execnz .LBB51_1115
.LBB51_745:                             ;   in Loop: Header=BB51_3 Depth=1
	s_or_b32 exec_lo, exec_lo, s57
	s_and_saveexec_b32 s57, s2
	s_cbranch_execz .LBB51_747
.LBB51_746:                             ;   in Loop: Header=BB51_3 Depth=1
	ds_load_b64 v[46:47], v9 offset:15872
	ds_load_b64 v[98:99], v5 offset:16120
	s_wait_dscnt 0x0
	v_pk_mul_f32 v[100:101], v[98:99], v[46:47] op_sel:[1,1] op_sel_hi:[0,1]
	s_delay_alu instid0(VALU_DEP_1) | instskip(SKIP_1) | instid1(VALU_DEP_2)
	v_pk_fma_f32 v[102:103], v[98:99], v[46:47], v[100:101] op_sel_hi:[1,0,1]
	v_pk_fma_f32 v[46:47], v[98:99], v[46:47], v[100:101] neg_lo:[0,0,1] neg_hi:[0,0,1]
	v_mov_b32_e32 v47, v103
	s_delay_alu instid0(VALU_DEP_1)
	v_pk_add_f32 v[44:45], v[44:45], v[46:47]
.LBB51_747:                             ;   in Loop: Header=BB51_3 Depth=1
	s_or_b32 exec_lo, exec_lo, s57
.LBB51_748:                             ;   in Loop: Header=BB51_3 Depth=1
	s_delay_alu instid0(SALU_CYCLE_1)
	s_or_b32 exec_lo, exec_lo, s61
	v_readlane_b32 s11, v111, 1
	s_and_saveexec_b32 s57, s11
; %bb.749:                              ;   in Loop: Header=BB51_3 Depth=1
	v_pk_add_f32 v[46:47], v[44:45], 0 neg_lo:[1,1] neg_hi:[1,1]
	ds_store_b64 v71, v[46:47]
; %bb.750:                              ;   in Loop: Header=BB51_3 Depth=1
	s_or_b32 exec_lo, exec_lo, s57
	v_readlane_b32 s11, v111, 2
	s_wait_loadcnt_dscnt 0x0
	s_barrier_signal -1
	s_barrier_wait -1
	s_and_saveexec_b32 s57, s11
	s_cbranch_execz .LBB51_752
; %bb.751:                              ;   in Loop: Header=BB51_3 Depth=1
	ds_load_b64 v[46:47], v70 offset:7680
	ds_load_b64 v[98:99], v71
	s_wait_dscnt 0x0
	v_pk_mul_f32 v[100:101], v[98:99], v[46:47] op_sel:[1,1] op_sel_hi:[0,1]
	s_delay_alu instid0(VALU_DEP_1) | instskip(SKIP_1) | instid1(VALU_DEP_2)
	v_pk_fma_f32 v[102:103], v[98:99], v[46:47], v[100:101] op_sel_hi:[1,0,1]
	v_pk_fma_f32 v[46:47], v[98:99], v[46:47], v[100:101] neg_lo:[0,0,1] neg_hi:[0,0,1]
	v_mov_b32_e32 v47, v103
	s_delay_alu instid0(VALU_DEP_1)
	v_pk_add_f32 v[44:45], v[44:45], v[46:47] neg_lo:[0,1] neg_hi:[0,1]
.LBB51_752:                             ;   in Loop: Header=BB51_3 Depth=1
	s_or_b32 exec_lo, exec_lo, s57
	v_readlane_b32 s11, v111, 3
	s_barrier_signal -1
	s_barrier_wait -1
	s_and_saveexec_b32 s57, s11
; %bb.753:                              ;   in Loop: Header=BB51_3 Depth=1
	v_pk_add_f32 v[46:47], v[44:45], 0 neg_lo:[1,1] neg_hi:[1,1]
	ds_store_b64 v71, v[46:47]
; %bb.754:                              ;   in Loop: Header=BB51_3 Depth=1
	s_or_b32 exec_lo, exec_lo, s57
	v_readlane_b32 s11, v111, 4
	s_wait_dscnt 0x0
	s_barrier_signal -1
	s_barrier_wait -1
	s_and_saveexec_b32 s57, s11
	s_cbranch_execz .LBB51_756
; %bb.755:                              ;   in Loop: Header=BB51_3 Depth=1
	ds_load_b64 v[46:47], v70 offset:7168
	ds_load_b64 v[98:99], v71
	s_wait_dscnt 0x0
	v_pk_mul_f32 v[100:101], v[98:99], v[46:47] op_sel:[1,1] op_sel_hi:[0,1]
	s_delay_alu instid0(VALU_DEP_1) | instskip(SKIP_1) | instid1(VALU_DEP_2)
	v_pk_fma_f32 v[102:103], v[98:99], v[46:47], v[100:101] op_sel_hi:[1,0,1]
	v_pk_fma_f32 v[46:47], v[98:99], v[46:47], v[100:101] neg_lo:[0,0,1] neg_hi:[0,0,1]
	v_mov_b32_e32 v47, v103
	s_delay_alu instid0(VALU_DEP_1)
	v_pk_add_f32 v[44:45], v[44:45], v[46:47] neg_lo:[0,1] neg_hi:[0,1]
.LBB51_756:                             ;   in Loop: Header=BB51_3 Depth=1
	s_or_b32 exec_lo, exec_lo, s57
	v_readlane_b32 s11, v111, 5
	s_barrier_signal -1
	s_barrier_wait -1
	s_and_saveexec_b32 s57, s11
; %bb.757:                              ;   in Loop: Header=BB51_3 Depth=1
	v_pk_add_f32 v[46:47], v[44:45], 0 neg_lo:[1,1] neg_hi:[1,1]
	ds_store_b64 v71, v[46:47]
; %bb.758:                              ;   in Loop: Header=BB51_3 Depth=1
	s_or_b32 exec_lo, exec_lo, s57
	v_readlane_b32 s11, v111, 6
	s_wait_dscnt 0x0
	s_barrier_signal -1
	s_barrier_wait -1
	s_and_saveexec_b32 s57, s11
	s_cbranch_execz .LBB51_760
; %bb.759:                              ;   in Loop: Header=BB51_3 Depth=1
	ds_load_b64 v[46:47], v70 offset:6656
	ds_load_b64 v[98:99], v71
	s_wait_dscnt 0x0
	v_pk_mul_f32 v[100:101], v[98:99], v[46:47] op_sel:[1,1] op_sel_hi:[0,1]
	s_delay_alu instid0(VALU_DEP_1) | instskip(SKIP_1) | instid1(VALU_DEP_2)
	v_pk_fma_f32 v[102:103], v[98:99], v[46:47], v[100:101] op_sel_hi:[1,0,1]
	v_pk_fma_f32 v[46:47], v[98:99], v[46:47], v[100:101] neg_lo:[0,0,1] neg_hi:[0,0,1]
	v_mov_b32_e32 v47, v103
	s_delay_alu instid0(VALU_DEP_1)
	v_pk_add_f32 v[44:45], v[44:45], v[46:47] neg_lo:[0,1] neg_hi:[0,1]
.LBB51_760:                             ;   in Loop: Header=BB51_3 Depth=1
	s_or_b32 exec_lo, exec_lo, s57
	v_readlane_b32 s11, v111, 7
	s_barrier_signal -1
	s_barrier_wait -1
	s_and_saveexec_b32 s57, s11
; %bb.761:                              ;   in Loop: Header=BB51_3 Depth=1
	v_pk_add_f32 v[46:47], v[44:45], 0 neg_lo:[1,1] neg_hi:[1,1]
	ds_store_b64 v71, v[46:47]
; %bb.762:                              ;   in Loop: Header=BB51_3 Depth=1
	s_or_b32 exec_lo, exec_lo, s57
	v_readlane_b32 s11, v111, 8
	s_wait_dscnt 0x0
	s_barrier_signal -1
	s_barrier_wait -1
	s_and_saveexec_b32 s57, s11
	s_cbranch_execz .LBB51_764
; %bb.763:                              ;   in Loop: Header=BB51_3 Depth=1
	ds_load_b64 v[46:47], v70 offset:6144
	ds_load_b64 v[98:99], v71
	s_wait_dscnt 0x0
	v_dual_mul_f32 v3, v99, v47 :: v_dual_mul_f32 v4, v98, v47
	s_delay_alu instid0(VALU_DEP_1) | instskip(NEXT) | instid1(VALU_DEP_1)
	v_dual_fma_f32 v3, v98, v46, -v3 :: v_dual_fmac_f32 v4, v99, v46
	v_dual_sub_f32 v44, v44, v3 :: v_dual_sub_f32 v45, v45, v4
.LBB51_764:                             ;   in Loop: Header=BB51_3 Depth=1
	s_or_b32 exec_lo, exec_lo, s57
	v_readlane_b32 s11, v111, 9
	s_barrier_signal -1
	s_barrier_wait -1
	s_and_saveexec_b32 s57, s11
; %bb.765:                              ;   in Loop: Header=BB51_3 Depth=1
	v_pk_add_f32 v[46:47], v[44:45], 0 neg_lo:[1,1] neg_hi:[1,1]
	ds_store_b64 v71, v[46:47]
; %bb.766:                              ;   in Loop: Header=BB51_3 Depth=1
	s_or_b32 exec_lo, exec_lo, s57
	v_readlane_b32 s11, v111, 10
	s_wait_dscnt 0x0
	s_barrier_signal -1
	s_barrier_wait -1
	s_and_saveexec_b32 s57, s11
	s_cbranch_execz .LBB51_768
; %bb.767:                              ;   in Loop: Header=BB51_3 Depth=1
	ds_load_b64 v[46:47], v70 offset:5632
	ds_load_b64 v[98:99], v71
	s_wait_dscnt 0x0
	v_dual_mul_f32 v3, v99, v47 :: v_dual_mul_f32 v101, v98, v47
	s_delay_alu instid0(VALU_DEP_1) | instskip(NEXT) | instid1(VALU_DEP_1)
	v_dual_fma_f32 v100, v98, v46, -v3 :: v_dual_fmac_f32 v101, v99, v46
	v_pk_add_f32 v[44:45], v[44:45], v[100:101] neg_lo:[0,1] neg_hi:[0,1]
.LBB51_768:                             ;   in Loop: Header=BB51_3 Depth=1
	s_or_b32 exec_lo, exec_lo, s57
	s_barrier_signal -1
	s_barrier_wait -1
	s_and_saveexec_b32 s57, s59
; %bb.769:                              ;   in Loop: Header=BB51_3 Depth=1
	v_pk_add_f32 v[46:47], v[44:45], 0 neg_lo:[1,1] neg_hi:[1,1]
	ds_store_b64 v71, v[46:47]
; %bb.770:                              ;   in Loop: Header=BB51_3 Depth=1
	s_or_b32 exec_lo, exec_lo, s57
	s_wait_dscnt 0x0
	s_barrier_signal -1
	s_barrier_wait -1
	s_and_saveexec_b32 s57, s22
	s_cbranch_execz .LBB51_772
; %bb.771:                              ;   in Loop: Header=BB51_3 Depth=1
	ds_load_b64 v[46:47], v70 offset:5120
	ds_load_b64 v[98:99], v71
	s_wait_dscnt 0x0
	v_pk_mul_f32 v[100:101], v[98:99], v[46:47] op_sel:[1,1] op_sel_hi:[0,1]
	s_delay_alu instid0(VALU_DEP_1) | instskip(SKIP_1) | instid1(VALU_DEP_2)
	v_pk_fma_f32 v[102:103], v[98:99], v[46:47], v[100:101] op_sel_hi:[1,0,1]
	v_pk_fma_f32 v[46:47], v[98:99], v[46:47], v[100:101] neg_lo:[0,0,1] neg_hi:[0,0,1]
	v_mov_b32_e32 v47, v103
	s_delay_alu instid0(VALU_DEP_1)
	v_pk_add_f32 v[44:45], v[44:45], v[46:47] neg_lo:[0,1] neg_hi:[0,1]
.LBB51_772:                             ;   in Loop: Header=BB51_3 Depth=1
	s_or_b32 exec_lo, exec_lo, s57
	s_barrier_signal -1
	s_barrier_wait -1
	s_and_saveexec_b32 s57, s24
; %bb.773:                              ;   in Loop: Header=BB51_3 Depth=1
	v_pk_add_f32 v[46:47], v[44:45], 0 neg_lo:[1,1] neg_hi:[1,1]
	ds_store_b64 v71, v[46:47]
; %bb.774:                              ;   in Loop: Header=BB51_3 Depth=1
	s_or_b32 exec_lo, exec_lo, s57
	s_wait_dscnt 0x0
	s_barrier_signal -1
	s_barrier_wait -1
	s_and_saveexec_b32 s57, s26
	s_cbranch_execz .LBB51_776
; %bb.775:                              ;   in Loop: Header=BB51_3 Depth=1
	ds_load_b64 v[46:47], v70 offset:4608
	ds_load_b64 v[98:99], v71
	s_wait_dscnt 0x0
	v_pk_mul_f32 v[100:101], v[98:99], v[46:47] op_sel:[1,1] op_sel_hi:[0,1]
	s_delay_alu instid0(VALU_DEP_1) | instskip(SKIP_1) | instid1(VALU_DEP_2)
	v_pk_fma_f32 v[102:103], v[98:99], v[46:47], v[100:101] op_sel_hi:[1,0,1]
	v_pk_fma_f32 v[46:47], v[98:99], v[46:47], v[100:101] neg_lo:[0,0,1] neg_hi:[0,0,1]
	v_mov_b32_e32 v47, v103
	s_delay_alu instid0(VALU_DEP_1)
	v_pk_add_f32 v[44:45], v[44:45], v[46:47] neg_lo:[0,1] neg_hi:[0,1]
.LBB51_776:                             ;   in Loop: Header=BB51_3 Depth=1
	;; [unrolled: 26-line block ×4, first 2 shown]
	s_or_b32 exec_lo, exec_lo, s57
	s_barrier_signal -1
	s_barrier_wait -1
	s_and_saveexec_b32 s57, s23
; %bb.785:                              ;   in Loop: Header=BB51_3 Depth=1
	v_pk_add_f32 v[46:47], v[44:45], 0 neg_lo:[1,1] neg_hi:[1,1]
	ds_store_b64 v71, v[46:47]
; %bb.786:                              ;   in Loop: Header=BB51_3 Depth=1
	s_or_b32 exec_lo, exec_lo, s57
	s_wait_dscnt 0x0
	s_barrier_signal -1
	s_barrier_wait -1
	s_and_saveexec_b32 s57, s25
	s_cbranch_execz .LBB51_788
; %bb.787:                              ;   in Loop: Header=BB51_3 Depth=1
	ds_load_b64 v[46:47], v70 offset:3072
	ds_load_b64 v[98:99], v71
	s_wait_dscnt 0x0
	v_dual_mul_f32 v3, v99, v47 :: v_dual_mul_f32 v4, v98, v47
	s_delay_alu instid0(VALU_DEP_1) | instskip(NEXT) | instid1(VALU_DEP_1)
	v_dual_fma_f32 v3, v98, v46, -v3 :: v_dual_fmac_f32 v4, v99, v46
	v_dual_sub_f32 v44, v44, v3 :: v_dual_sub_f32 v45, v45, v4
.LBB51_788:                             ;   in Loop: Header=BB51_3 Depth=1
	s_or_b32 exec_lo, exec_lo, s57
	s_barrier_signal -1
	s_barrier_wait -1
	s_and_saveexec_b32 s57, s27
; %bb.789:                              ;   in Loop: Header=BB51_3 Depth=1
	v_pk_add_f32 v[46:47], v[44:45], 0 neg_lo:[1,1] neg_hi:[1,1]
	ds_store_b64 v71, v[46:47]
; %bb.790:                              ;   in Loop: Header=BB51_3 Depth=1
	s_or_b32 exec_lo, exec_lo, s57
	s_wait_dscnt 0x0
	s_barrier_signal -1
	s_barrier_wait -1
	s_and_saveexec_b32 s57, s29
	s_cbranch_execz .LBB51_792
; %bb.791:                              ;   in Loop: Header=BB51_3 Depth=1
	ds_load_b64 v[46:47], v70 offset:2560
	ds_load_b64 v[98:99], v71
	s_wait_dscnt 0x0
	v_dual_mul_f32 v3, v99, v47 :: v_dual_mul_f32 v101, v98, v47
	s_delay_alu instid0(VALU_DEP_1) | instskip(NEXT) | instid1(VALU_DEP_1)
	v_dual_fma_f32 v100, v98, v46, -v3 :: v_dual_fmac_f32 v101, v99, v46
	v_pk_add_f32 v[44:45], v[44:45], v[100:101] neg_lo:[0,1] neg_hi:[0,1]
.LBB51_792:                             ;   in Loop: Header=BB51_3 Depth=1
	s_or_b32 exec_lo, exec_lo, s57
	s_barrier_signal -1
	s_barrier_wait -1
	s_and_saveexec_b32 s57, s31
; %bb.793:                              ;   in Loop: Header=BB51_3 Depth=1
	v_pk_add_f32 v[46:47], v[44:45], 0 neg_lo:[1,1] neg_hi:[1,1]
	ds_store_b64 v71, v[46:47]
; %bb.794:                              ;   in Loop: Header=BB51_3 Depth=1
	s_or_b32 exec_lo, exec_lo, s57
	s_wait_dscnt 0x0
	s_barrier_signal -1
	s_barrier_wait -1
	s_and_saveexec_b32 s57, s87
	s_cbranch_execz .LBB51_796
; %bb.795:                              ;   in Loop: Header=BB51_3 Depth=1
	ds_load_b64 v[46:47], v70 offset:2048
	ds_load_b64 v[98:99], v71
	s_wait_dscnt 0x0
	v_pk_mul_f32 v[100:101], v[98:99], v[46:47] op_sel:[1,1] op_sel_hi:[0,1]
	s_delay_alu instid0(VALU_DEP_1) | instskip(SKIP_1) | instid1(VALU_DEP_2)
	v_pk_fma_f32 v[102:103], v[98:99], v[46:47], v[100:101] op_sel_hi:[1,0,1]
	v_pk_fma_f32 v[46:47], v[98:99], v[46:47], v[100:101] neg_lo:[0,0,1] neg_hi:[0,0,1]
	v_mov_b32_e32 v47, v103
	s_delay_alu instid0(VALU_DEP_1)
	v_pk_add_f32 v[44:45], v[44:45], v[46:47] neg_lo:[0,1] neg_hi:[0,1]
.LBB51_796:                             ;   in Loop: Header=BB51_3 Depth=1
	s_or_b32 exec_lo, exec_lo, s57
	s_barrier_signal -1
	s_barrier_wait -1
	s_and_saveexec_b32 s57, s47
; %bb.797:                              ;   in Loop: Header=BB51_3 Depth=1
	v_pk_add_f32 v[46:47], v[44:45], 0 neg_lo:[1,1] neg_hi:[1,1]
	ds_store_b64 v71, v[46:47]
; %bb.798:                              ;   in Loop: Header=BB51_3 Depth=1
	s_or_b32 exec_lo, exec_lo, s57
	s_wait_dscnt 0x0
	s_barrier_signal -1
	s_barrier_wait -1
	s_and_saveexec_b32 s57, s48
	s_cbranch_execz .LBB51_800
; %bb.799:                              ;   in Loop: Header=BB51_3 Depth=1
	ds_load_b64 v[46:47], v70 offset:1536
	ds_load_b64 v[98:99], v71
	s_wait_dscnt 0x0
	v_pk_mul_f32 v[100:101], v[98:99], v[46:47] op_sel:[1,1] op_sel_hi:[0,1]
	s_delay_alu instid0(VALU_DEP_1) | instskip(SKIP_1) | instid1(VALU_DEP_2)
	v_pk_fma_f32 v[102:103], v[98:99], v[46:47], v[100:101] op_sel_hi:[1,0,1]
	v_pk_fma_f32 v[46:47], v[98:99], v[46:47], v[100:101] neg_lo:[0,0,1] neg_hi:[0,0,1]
	v_mov_b32_e32 v47, v103
	s_delay_alu instid0(VALU_DEP_1)
	v_pk_add_f32 v[44:45], v[44:45], v[46:47] neg_lo:[0,1] neg_hi:[0,1]
.LBB51_800:                             ;   in Loop: Header=BB51_3 Depth=1
	;; [unrolled: 26-line block ×4, first 2 shown]
	s_or_b32 exec_lo, exec_lo, s57
	s_barrier_signal -1
	s_barrier_wait -1
	s_and_saveexec_b32 s57, s52
; %bb.809:                              ;   in Loop: Header=BB51_3 Depth=1
	v_pk_add_f32 v[46:47], v[44:45], 0 neg_lo:[1,1] neg_hi:[1,1]
	ds_store_b64 v71, v[46:47]
; %bb.810:                              ;   in Loop: Header=BB51_3 Depth=1
	s_or_b32 exec_lo, exec_lo, s57
	s_wait_dscnt 0x0
	s_barrier_signal -1
	s_barrier_wait -1
	s_barrier_signal -1
	s_barrier_wait -1
	s_and_saveexec_b32 s57, s4
; %bb.811:                              ;   in Loop: Header=BB51_3 Depth=1
	ds_store_b64 v74, v[44:45] offset:15872
; %bb.812:                              ;   in Loop: Header=BB51_3 Depth=1
	s_or_b32 exec_lo, exec_lo, s57
	s_wait_dscnt 0x0
	s_barrier_signal -1
	s_barrier_wait -1
	s_barrier_signal -1
	s_barrier_wait -1
	s_and_saveexec_b32 s57, s54
	s_cbranch_execz .LBB51_814
; %bb.813:                              ;   in Loop: Header=BB51_3 Depth=1
	ds_load_b64 v[44:45], v49 offset:8192
	s_wait_dscnt 0x0
	ds_store_b64 v50, v[44:45] offset:128
	ds_load_b64 v[44:45], v49 offset:8200
	s_wait_dscnt 0x0
	ds_store_b64 v50, v[44:45] offset:640
	;; [unrolled: 3-line block ×16, first 2 shown]
.LBB51_814:                             ;   in Loop: Header=BB51_3 Depth=1
	s_or_b32 exec_lo, exec_lo, s57
	s_wait_dscnt 0x0
	s_barrier_signal -1
	s_barrier_wait -1
	s_and_saveexec_b32 s57, s10
	s_cbranch_execz .LBB51_816
; %bb.815:                              ;   in Loop: Header=BB51_3 Depth=1
	ds_load_b64 v[44:45], v5 offset:7792
	v_add_nc_u32_e64 v3, 0x1800, 0
	ds_store_b64 v5, v[30:31] offset:7800
	s_wait_dscnt 0x1
	ds_store_2addr_b64 v3, v[30:31], v[44:45] offset0:142 offset1:143
.LBB51_816:                             ;   in Loop: Header=BB51_3 Depth=1
	s_or_b32 exec_lo, exec_lo, s57
	v_dual_mov_b32 v44, 0 :: v_dual_mov_b32 v45, 0
	s_wait_dscnt 0x0
	s_barrier_signal -1
	s_barrier_wait -1
	global_wb scope:SCOPE_DEV
	s_wait_storecnt 0x0
	global_inv scope:SCOPE_DEV
	s_and_saveexec_b32 s57, s0
	s_cbranch_execz .LBB51_820
; %bb.817:                              ;   in Loop: Header=BB51_3 Depth=1
	ds_load_b64 v[44:45], v52 offset:7264
	ds_load_b64 v[46:47], v55 offset:7792
	s_wait_dscnt 0x0
	v_pk_mul_f32 v[98:99], v[46:47], v[44:45] op_sel:[1,1] op_sel_hi:[0,1]
	s_delay_alu instid0(VALU_DEP_1) | instskip(SKIP_1) | instid1(VALU_DEP_2)
	v_pk_fma_f32 v[100:101], v[46:47], v[44:45], v[98:99] op_sel_hi:[1,0,1]
	v_pk_fma_f32 v[44:45], v[46:47], v[44:45], v[98:99] neg_lo:[0,0,1] neg_hi:[0,0,1]
	v_mov_b32_e32 v45, v101
	s_delay_alu instid0(VALU_DEP_1)
	v_pk_add_f32 v[44:45], v[44:45], 0 op_sel_hi:[1,0]
	s_and_saveexec_b32 s60, s14
	s_cbranch_execz .LBB51_819
; %bb.818:                              ;   in Loop: Header=BB51_3 Depth=1
	ds_load_b64 v[46:47], v9 offset:7776
	ds_load_b64 v[98:99], v5 offset:7800
	s_wait_dscnt 0x0
	v_pk_mul_f32 v[100:101], v[98:99], v[46:47] op_sel:[1,1] op_sel_hi:[0,1]
	s_delay_alu instid0(VALU_DEP_1) | instskip(SKIP_1) | instid1(VALU_DEP_2)
	v_pk_fma_f32 v[102:103], v[98:99], v[46:47], v[100:101] op_sel_hi:[1,0,1]
	v_pk_fma_f32 v[46:47], v[98:99], v[46:47], v[100:101] neg_lo:[0,0,1] neg_hi:[0,0,1]
	v_mov_b32_e32 v47, v103
	s_delay_alu instid0(VALU_DEP_1)
	v_pk_add_f32 v[44:45], v[44:45], v[46:47]
.LBB51_819:                             ;   in Loop: Header=BB51_3 Depth=1
	s_or_b32 exec_lo, exec_lo, s60
.LBB51_820:                             ;   in Loop: Header=BB51_3 Depth=1
	s_delay_alu instid0(SALU_CYCLE_1)
	s_or_b32 exec_lo, exec_lo, s57
	s_and_saveexec_b32 s57, s90
; %bb.821:                              ;   in Loop: Header=BB51_3 Depth=1
	s_delay_alu instid0(VALU_DEP_1)
	v_pk_add_f32 v[46:47], v[44:45], 0 neg_lo:[1,1] neg_hi:[1,1]
	ds_store_b64 v54, v[46:47]
; %bb.822:                              ;   in Loop: Header=BB51_3 Depth=1
	s_or_b32 exec_lo, exec_lo, s57
	s_wait_loadcnt_dscnt 0x0
	s_barrier_signal -1
	s_barrier_wait -1
	s_and_saveexec_b32 s57, s91
	s_cbranch_execz .LBB51_824
; %bb.823:                              ;   in Loop: Header=BB51_3 Depth=1
	ds_load_b64 v[46:47], v5 offset:6752
	ds_load_b64 v[98:99], v54
	s_wait_dscnt 0x0
	v_pk_mul_f32 v[100:101], v[98:99], v[46:47] op_sel_hi:[1,0]
	s_delay_alu instid0(VALU_DEP_1) | instskip(SKIP_1) | instid1(VALU_DEP_2)
	v_pk_fma_f32 v[102:103], v[98:99], v[46:47], v[100:101] op_sel:[1,1,0] op_sel_hi:[0,1,1]
	v_pk_fma_f32 v[46:47], v[98:99], v[46:47], v[100:101] op_sel:[1,1,0] op_sel_hi:[0,1,1] neg_lo:[0,0,1] neg_hi:[0,0,1]
	v_pk_add_f32 v[98:99], v[44:45], v[102:103] neg_lo:[0,1] neg_hi:[0,1]
	s_delay_alu instid0(VALU_DEP_2) | instskip(NEXT) | instid1(VALU_DEP_2)
	v_pk_add_f32 v[44:45], v[44:45], v[46:47]
	v_mov_b32_e32 v45, v99
.LBB51_824:                             ;   in Loop: Header=BB51_3 Depth=1
	s_or_b32 exec_lo, exec_lo, s57
	s_barrier_signal -1
	s_barrier_wait -1
	s_and_saveexec_b32 s57, s91
; %bb.825:                              ;   in Loop: Header=BB51_3 Depth=1
	v_pk_add_f32 v[46:47], v[44:45], 0 neg_lo:[1,1] neg_hi:[1,1]
	ds_store_b64 v54, v[46:47]
; %bb.826:                              ;   in Loop: Header=BB51_3 Depth=1
	s_or_b32 exec_lo, exec_lo, s57
	s_wait_dscnt 0x0
	s_barrier_signal -1
	s_barrier_wait -1
	s_barrier_signal -1
	s_barrier_wait -1
	s_and_saveexec_b32 s57, s0
; %bb.827:                              ;   in Loop: Header=BB51_3 Depth=1
	ds_store_b64 v56, v[44:45] offset:7776
; %bb.828:                              ;   in Loop: Header=BB51_3 Depth=1
	s_or_b32 exec_lo, exec_lo, s57
	s_wait_dscnt 0x0
	s_barrier_signal -1
	s_barrier_wait -1
	s_barrier_signal -1
	s_barrier_wait -1
	s_and_saveexec_b32 s57, s92
	s_cbranch_execz .LBB51_830
; %bb.829:                              ;   in Loop: Header=BB51_3 Depth=1
	ds_load_b64 v[44:45], v49 offset:7264
	s_wait_dscnt 0x0
	ds_store_b64 v9, v[44:45] offset:6256
	ds_load_b64 v[44:45], v49 offset:7272
	s_wait_dscnt 0x0
	ds_store_b64 v9, v[44:45] offset:6768
.LBB51_830:                             ;   in Loop: Header=BB51_3 Depth=1
	s_or_b32 exec_lo, exec_lo, s57
	s_wait_dscnt 0x0
	s_barrier_signal -1
	s_barrier_wait -1
	s_and_saveexec_b32 s57, s10
	s_cbranch_execz .LBB51_832
; %bb.831:                              ;   in Loop: Header=BB51_3 Depth=1
	ds_load_b64 v[44:45], v5 offset:6752
	v_add_nc_u32_e64 v3, 0x1800, 0
	ds_store_b64 v5, v[30:31] offset:6760
	s_wait_dscnt 0x1
	ds_store_2addr_b64 v3, v[30:31], v[44:45] offset0:12 offset1:13
.LBB51_832:                             ;   in Loop: Header=BB51_3 Depth=1
	s_or_b32 exec_lo, exec_lo, s57
	v_mov_b64_e32 v[44:45], 0
	s_wait_dscnt 0x0
	s_barrier_signal -1
	s_barrier_wait -1
	global_wb scope:SCOPE_DEV
	s_wait_storecnt 0x0
	global_inv scope:SCOPE_DEV
	s_and_saveexec_b32 s57, s2
	s_cbranch_execz .LBB51_838
; %bb.833:                              ;   in Loop: Header=BB51_3 Depth=1
	ds_load_b64 v[44:45], v59 offset:6208
	ds_load_b64 v[46:47], v60 offset:7776
	s_wait_dscnt 0x0
	v_dual_mul_f32 v3, v47, v45 :: v_dual_mul_f32 v4, v46, v45
	s_delay_alu instid0(VALU_DEP_1) | instskip(NEXT) | instid1(VALU_DEP_1)
	v_dual_fma_f32 v3, v46, v44, -v3 :: v_dual_fmac_f32 v4, v47, v44
	v_dual_add_f32 v44, 0, v3 :: v_dual_add_f32 v45, 0, v4
	s_and_saveexec_b32 s60, s15
	s_cbranch_execnz .LBB51_1116
; %bb.834:                              ;   in Loop: Header=BB51_3 Depth=1
	s_or_b32 exec_lo, exec_lo, s60
	s_and_saveexec_b32 s60, s16
	s_cbranch_execnz .LBB51_1117
.LBB51_835:                             ;   in Loop: Header=BB51_3 Depth=1
	s_or_b32 exec_lo, exec_lo, s60
	s_and_saveexec_b32 s60, s0
	s_cbranch_execz .LBB51_837
.LBB51_836:                             ;   in Loop: Header=BB51_3 Depth=1
	ds_load_b64 v[46:47], v50 offset:7744
	ds_load_b64 v[98:99], v5 offset:7800
	s_wait_dscnt 0x0
	v_pk_mul_f32 v[100:101], v[98:99], v[46:47] op_sel:[1,1] op_sel_hi:[0,1]
	s_delay_alu instid0(VALU_DEP_1) | instskip(SKIP_1) | instid1(VALU_DEP_2)
	v_pk_fma_f32 v[102:103], v[98:99], v[46:47], v[100:101] op_sel_hi:[1,0,1]
	v_pk_fma_f32 v[46:47], v[98:99], v[46:47], v[100:101] neg_lo:[0,0,1] neg_hi:[0,0,1]
	v_mov_b32_e32 v47, v103
	s_delay_alu instid0(VALU_DEP_1)
	v_pk_add_f32 v[44:45], v[44:45], v[46:47]
.LBB51_837:                             ;   in Loop: Header=BB51_3 Depth=1
	s_or_b32 exec_lo, exec_lo, s60
.LBB51_838:                             ;   in Loop: Header=BB51_3 Depth=1
	s_delay_alu instid0(SALU_CYCLE_1)
	s_or_b32 exec_lo, exec_lo, s57
	s_and_saveexec_b32 s57, s93
; %bb.839:                              ;   in Loop: Header=BB51_3 Depth=1
	s_delay_alu instid0(VALU_DEP_1)
	v_pk_add_f32 v[46:47], v[44:45], 0 neg_lo:[1,1] neg_hi:[1,1]
	ds_store_b64 v58, v[46:47]
; %bb.840:                              ;   in Loop: Header=BB51_3 Depth=1
	s_or_b32 exec_lo, exec_lo, s57
	s_wait_loadcnt_dscnt 0x0
	s_barrier_signal -1
	s_barrier_wait -1
	s_and_saveexec_b32 s57, s94
	s_cbranch_execz .LBB51_842
; %bb.841:                              ;   in Loop: Header=BB51_3 Depth=1
	ds_load_b64 v[46:47], v59 offset:5696
	ds_load_b64 v[98:99], v58
	s_wait_dscnt 0x0
	v_pk_mul_f32 v[100:101], v[98:99], v[46:47] op_sel:[1,1] op_sel_hi:[0,1]
	s_delay_alu instid0(VALU_DEP_1) | instskip(SKIP_1) | instid1(VALU_DEP_2)
	v_pk_fma_f32 v[102:103], v[98:99], v[46:47], v[100:101] op_sel_hi:[1,0,1]
	v_pk_fma_f32 v[46:47], v[98:99], v[46:47], v[100:101] neg_lo:[0,0,1] neg_hi:[0,0,1]
	v_mov_b32_e32 v47, v103
	s_delay_alu instid0(VALU_DEP_1)
	v_pk_add_f32 v[44:45], v[44:45], v[46:47] neg_lo:[0,1] neg_hi:[0,1]
.LBB51_842:                             ;   in Loop: Header=BB51_3 Depth=1
	s_or_b32 exec_lo, exec_lo, s57
	s_barrier_signal -1
	s_barrier_wait -1
	s_and_saveexec_b32 s57, s95
; %bb.843:                              ;   in Loop: Header=BB51_3 Depth=1
	v_pk_add_f32 v[46:47], v[44:45], 0 neg_lo:[1,1] neg_hi:[1,1]
	ds_store_b64 v58, v[46:47]
; %bb.844:                              ;   in Loop: Header=BB51_3 Depth=1
	s_or_b32 exec_lo, exec_lo, s57
	s_wait_dscnt 0x0
	s_barrier_signal -1
	s_barrier_wait -1
	s_and_saveexec_b32 s57, s96
	s_cbranch_execz .LBB51_846
; %bb.845:                              ;   in Loop: Header=BB51_3 Depth=1
	ds_load_b64 v[46:47], v59 offset:5184
	ds_load_b64 v[98:99], v58
	s_wait_dscnt 0x0
	v_pk_mul_f32 v[100:101], v[98:99], v[46:47] op_sel:[1,1] op_sel_hi:[0,1]
	s_delay_alu instid0(VALU_DEP_1) | instskip(SKIP_1) | instid1(VALU_DEP_2)
	v_pk_fma_f32 v[102:103], v[98:99], v[46:47], v[100:101] op_sel_hi:[1,0,1]
	v_pk_fma_f32 v[46:47], v[98:99], v[46:47], v[100:101] neg_lo:[0,0,1] neg_hi:[0,0,1]
	v_mov_b32_e32 v47, v103
	s_delay_alu instid0(VALU_DEP_1)
	v_pk_add_f32 v[44:45], v[44:45], v[46:47] neg_lo:[0,1] neg_hi:[0,1]
.LBB51_846:                             ;   in Loop: Header=BB51_3 Depth=1
	s_or_b32 exec_lo, exec_lo, s57
	s_barrier_signal -1
	s_barrier_wait -1
	s_and_saveexec_b32 s57, s97
; %bb.847:                              ;   in Loop: Header=BB51_3 Depth=1
	v_pk_add_f32 v[46:47], v[44:45], 0 neg_lo:[1,1] neg_hi:[1,1]
	ds_store_b64 v58, v[46:47]
; %bb.848:                              ;   in Loop: Header=BB51_3 Depth=1
	s_or_b32 exec_lo, exec_lo, s57
	s_wait_dscnt 0x0
	;; [unrolled: 26-line block ×3, first 2 shown]
	s_barrier_signal -1
	s_barrier_wait -1
	s_barrier_signal -1
	s_barrier_wait -1
	s_and_saveexec_b32 s57, s2
; %bb.853:                              ;   in Loop: Header=BB51_3 Depth=1
	ds_store_b64 v62, v[44:45] offset:7744
; %bb.854:                              ;   in Loop: Header=BB51_3 Depth=1
	s_or_b32 exec_lo, exec_lo, s57
	s_wait_dscnt 0x0
	s_barrier_signal -1
	s_barrier_wait -1
	s_barrier_signal -1
	s_barrier_wait -1
	s_and_saveexec_b32 s57, s99
	s_cbranch_execz .LBB51_856
; %bb.855:                              ;   in Loop: Header=BB51_3 Depth=1
	ds_load_b64 v[44:45], v51 offset:6208
	s_wait_dscnt 0x0
	ds_store_b64 v53, v[44:45] offset:4192
	ds_load_b64 v[44:45], v51 offset:6216
	s_wait_dscnt 0x0
	ds_store_b64 v53, v[44:45] offset:4704
	;; [unrolled: 3-line block ×4, first 2 shown]
.LBB51_856:                             ;   in Loop: Header=BB51_3 Depth=1
	s_or_b32 exec_lo, exec_lo, s57
	s_wait_dscnt 0x0
	s_barrier_signal -1
	s_barrier_wait -1
	s_and_saveexec_b32 s57, s10
	s_cbranch_execz .LBB51_858
; %bb.857:                              ;   in Loop: Header=BB51_3 Depth=1
	ds_load_b64 v[44:45], v5 offset:5712
	v_add_nc_u32_e64 v3, 0x1000, 0
	ds_store_b64 v5, v[30:31] offset:5720
	s_wait_dscnt 0x1
	ds_store_2addr_b64 v3, v[30:31], v[44:45] offset0:138 offset1:139
.LBB51_858:                             ;   in Loop: Header=BB51_3 Depth=1
	s_or_b32 exec_lo, exec_lo, s57
	v_dual_mov_b32 v44, 0 :: v_dual_mov_b32 v45, 0
	s_wait_dscnt 0x0
	s_barrier_signal -1
	s_barrier_wait -1
	global_wb scope:SCOPE_DEV
	s_wait_storecnt 0x0
	global_inv scope:SCOPE_DEV
	s_and_saveexec_b32 s57, s0
	s_cbranch_execz .LBB51_862
; %bb.859:                              ;   in Loop: Header=BB51_3 Depth=1
	ds_load_b64 v[44:45], v52 offset:5184
	ds_load_b64 v[46:47], v55 offset:5712
	s_wait_dscnt 0x0
	v_pk_mul_f32 v[98:99], v[46:47], v[44:45] op_sel:[1,1] op_sel_hi:[0,1]
	s_delay_alu instid0(VALU_DEP_1) | instskip(SKIP_1) | instid1(VALU_DEP_2)
	v_pk_fma_f32 v[100:101], v[46:47], v[44:45], v[98:99] op_sel_hi:[1,0,1]
	v_pk_fma_f32 v[44:45], v[46:47], v[44:45], v[98:99] neg_lo:[0,0,1] neg_hi:[0,0,1]
	v_mov_b32_e32 v45, v101
	s_delay_alu instid0(VALU_DEP_1)
	v_pk_add_f32 v[44:45], v[44:45], 0 op_sel_hi:[1,0]
	s_and_saveexec_b32 s60, s14
	s_cbranch_execz .LBB51_861
; %bb.860:                              ;   in Loop: Header=BB51_3 Depth=1
	ds_load_b64 v[46:47], v53 offset:5696
	ds_load_b64 v[98:99], v5 offset:5720
	s_wait_dscnt 0x0
	v_pk_mul_f32 v[100:101], v[98:99], v[46:47] op_sel:[1,1] op_sel_hi:[0,1]
	s_delay_alu instid0(VALU_DEP_1) | instskip(SKIP_1) | instid1(VALU_DEP_2)
	v_pk_fma_f32 v[102:103], v[98:99], v[46:47], v[100:101] op_sel_hi:[1,0,1]
	v_pk_fma_f32 v[46:47], v[98:99], v[46:47], v[100:101] neg_lo:[0,0,1] neg_hi:[0,0,1]
	v_mov_b32_e32 v47, v103
	s_delay_alu instid0(VALU_DEP_1)
	v_pk_add_f32 v[44:45], v[44:45], v[46:47]
.LBB51_861:                             ;   in Loop: Header=BB51_3 Depth=1
	s_or_b32 exec_lo, exec_lo, s60
.LBB51_862:                             ;   in Loop: Header=BB51_3 Depth=1
	s_delay_alu instid0(SALU_CYCLE_1)
	s_or_b32 exec_lo, exec_lo, s57
	s_and_saveexec_b32 s57, s90
; %bb.863:                              ;   in Loop: Header=BB51_3 Depth=1
	s_delay_alu instid0(VALU_DEP_1)
	v_pk_add_f32 v[46:47], v[44:45], 0 neg_lo:[1,1] neg_hi:[1,1]
	ds_store_b64 v54, v[46:47]
; %bb.864:                              ;   in Loop: Header=BB51_3 Depth=1
	s_or_b32 exec_lo, exec_lo, s57
	s_wait_loadcnt_dscnt 0x0
	s_barrier_signal -1
	s_barrier_wait -1
	s_and_saveexec_b32 s57, s91
	s_cbranch_execz .LBB51_866
; %bb.865:                              ;   in Loop: Header=BB51_3 Depth=1
	ds_load_b64 v[46:47], v5 offset:4672
	ds_load_b64 v[98:99], v54
	s_wait_dscnt 0x0
	v_pk_mul_f32 v[100:101], v[98:99], v[46:47] op_sel_hi:[1,0]
	s_delay_alu instid0(VALU_DEP_1) | instskip(SKIP_1) | instid1(VALU_DEP_2)
	v_pk_fma_f32 v[102:103], v[98:99], v[46:47], v[100:101] op_sel:[1,1,0] op_sel_hi:[0,1,1]
	v_pk_fma_f32 v[46:47], v[98:99], v[46:47], v[100:101] op_sel:[1,1,0] op_sel_hi:[0,1,1] neg_lo:[0,0,1] neg_hi:[0,0,1]
	v_pk_add_f32 v[98:99], v[44:45], v[102:103] neg_lo:[0,1] neg_hi:[0,1]
	s_delay_alu instid0(VALU_DEP_2) | instskip(NEXT) | instid1(VALU_DEP_2)
	v_pk_add_f32 v[44:45], v[44:45], v[46:47]
	v_mov_b32_e32 v45, v99
.LBB51_866:                             ;   in Loop: Header=BB51_3 Depth=1
	s_or_b32 exec_lo, exec_lo, s57
	s_barrier_signal -1
	s_barrier_wait -1
	s_and_saveexec_b32 s57, s91
; %bb.867:                              ;   in Loop: Header=BB51_3 Depth=1
	v_pk_add_f32 v[46:47], v[44:45], 0 neg_lo:[1,1] neg_hi:[1,1]
	ds_store_b64 v54, v[46:47]
; %bb.868:                              ;   in Loop: Header=BB51_3 Depth=1
	s_or_b32 exec_lo, exec_lo, s57
	s_wait_dscnt 0x0
	s_barrier_signal -1
	s_barrier_wait -1
	s_barrier_signal -1
	s_barrier_wait -1
	s_and_saveexec_b32 s57, s0
; %bb.869:                              ;   in Loop: Header=BB51_3 Depth=1
	ds_store_b64 v56, v[44:45] offset:5696
; %bb.870:                              ;   in Loop: Header=BB51_3 Depth=1
	s_or_b32 exec_lo, exec_lo, s57
	s_wait_dscnt 0x0
	s_barrier_signal -1
	s_barrier_wait -1
	s_barrier_signal -1
	s_barrier_wait -1
	s_and_saveexec_b32 s57, s92
	s_cbranch_execz .LBB51_872
; %bb.871:                              ;   in Loop: Header=BB51_3 Depth=1
	ds_load_b64 v[44:45], v57 offset:5184
	s_wait_dscnt 0x0
	ds_store_b64 v53, v[44:45] offset:4176
	ds_load_b64 v[44:45], v57 offset:5192
	s_wait_dscnt 0x0
	ds_store_b64 v53, v[44:45] offset:4688
.LBB51_872:                             ;   in Loop: Header=BB51_3 Depth=1
	s_or_b32 exec_lo, exec_lo, s57
	s_wait_dscnt 0x0
	s_barrier_signal -1
	s_barrier_wait -1
	s_and_saveexec_b32 s57, s10
	s_cbranch_execz .LBB51_874
; %bb.873:                              ;   in Loop: Header=BB51_3 Depth=1
	ds_load_b64 v[44:45], v5 offset:4672
	v_add_nc_u32_e64 v3, 0x1000, 0
	ds_store_b64 v5, v[30:31] offset:4680
	s_wait_dscnt 0x1
	ds_store_2addr_b64 v3, v[30:31], v[44:45] offset0:8 offset1:9
.LBB51_874:                             ;   in Loop: Header=BB51_3 Depth=1
	s_or_b32 exec_lo, exec_lo, s57
	v_mov_b64_e32 v[44:45], 0
	s_wait_dscnt 0x0
	s_barrier_signal -1
	s_barrier_wait -1
	global_wb scope:SCOPE_DEV
	s_wait_storecnt 0x0
	global_inv scope:SCOPE_DEV
	s_and_saveexec_b32 s57, s3
	s_cbranch_execz .LBB51_884
; %bb.875:                              ;   in Loop: Header=BB51_3 Depth=1
	ds_load_b64 v[44:45], v63 offset:4096
	ds_load_b64 v[46:47], v66 offset:7744
	s_wait_dscnt 0x0
	v_dual_mul_f32 v3, v47, v45 :: v_dual_mul_f32 v4, v46, v45
	s_delay_alu instid0(VALU_DEP_1) | instskip(NEXT) | instid1(VALU_DEP_1)
	v_dual_fma_f32 v3, v46, v44, -v3 :: v_dual_fmac_f32 v4, v47, v44
	v_dual_add_f32 v44, 0, v3 :: v_dual_add_f32 v45, 0, v4
	s_and_saveexec_b32 s60, s17
	s_cbranch_execnz .LBB51_1118
; %bb.876:                              ;   in Loop: Header=BB51_3 Depth=1
	s_or_b32 exec_lo, exec_lo, s60
	s_and_saveexec_b32 s60, s18
	s_cbranch_execnz .LBB51_1119
.LBB51_877:                             ;   in Loop: Header=BB51_3 Depth=1
	s_or_b32 exec_lo, exec_lo, s60
	s_and_saveexec_b32 s60, s19
	s_cbranch_execnz .LBB51_1120
.LBB51_878:                             ;   in Loop: Header=BB51_3 Depth=1
	s_or_b32 exec_lo, exec_lo, s60
	s_and_saveexec_b32 s60, s20
	s_cbranch_execnz .LBB51_1121
.LBB51_879:                             ;   in Loop: Header=BB51_3 Depth=1
	s_or_b32 exec_lo, exec_lo, s60
	s_and_saveexec_b32 s60, s21
	s_cbranch_execnz .LBB51_1122
.LBB51_880:                             ;   in Loop: Header=BB51_3 Depth=1
	s_or_b32 exec_lo, exec_lo, s60
	s_and_saveexec_b32 s60, s2
	s_cbranch_execnz .LBB51_1123
.LBB51_881:                             ;   in Loop: Header=BB51_3 Depth=1
	s_or_b32 exec_lo, exec_lo, s60
	s_and_saveexec_b32 s60, s16
	s_cbranch_execz .LBB51_883
.LBB51_882:                             ;   in Loop: Header=BB51_3 Depth=1
	ds_load_b64 v[46:47], v61 offset:7680
	ds_load_b64 v[98:99], v5 offset:7800
	s_wait_dscnt 0x0
	v_pk_mul_f32 v[100:101], v[98:99], v[46:47] op_sel:[1,1] op_sel_hi:[0,1]
	s_delay_alu instid0(VALU_DEP_1) | instskip(SKIP_1) | instid1(VALU_DEP_2)
	v_pk_fma_f32 v[102:103], v[98:99], v[46:47], v[100:101] op_sel_hi:[1,0,1]
	v_pk_fma_f32 v[46:47], v[98:99], v[46:47], v[100:101] neg_lo:[0,0,1] neg_hi:[0,0,1]
	v_mov_b32_e32 v47, v103
	s_delay_alu instid0(VALU_DEP_1)
	v_pk_add_f32 v[44:45], v[44:45], v[46:47]
.LBB51_883:                             ;   in Loop: Header=BB51_3 Depth=1
	s_or_b32 exec_lo, exec_lo, s60
.LBB51_884:                             ;   in Loop: Header=BB51_3 Depth=1
	s_delay_alu instid0(SALU_CYCLE_1)
	s_or_b32 exec_lo, exec_lo, s57
	s_and_saveexec_b32 s57, s100
; %bb.885:                              ;   in Loop: Header=BB51_3 Depth=1
	s_delay_alu instid0(VALU_DEP_1)
	v_pk_add_f32 v[46:47], v[44:45], 0 neg_lo:[1,1] neg_hi:[1,1]
	ds_store_b64 v65, v[46:47]
; %bb.886:                              ;   in Loop: Header=BB51_3 Depth=1
	s_or_b32 exec_lo, exec_lo, s57
	s_wait_loadcnt_dscnt 0x0
	s_barrier_signal -1
	s_barrier_wait -1
	s_and_saveexec_b32 s57, s101
	s_cbranch_execz .LBB51_888
; %bb.887:                              ;   in Loop: Header=BB51_3 Depth=1
	ds_load_b64 v[46:47], v63 offset:3584
	ds_load_b64 v[98:99], v65
	s_wait_dscnt 0x0
	v_pk_mul_f32 v[100:101], v[98:99], v[46:47] op_sel:[1,1] op_sel_hi:[0,1]
	s_delay_alu instid0(VALU_DEP_1) | instskip(SKIP_1) | instid1(VALU_DEP_2)
	v_pk_fma_f32 v[102:103], v[98:99], v[46:47], v[100:101] op_sel_hi:[1,0,1]
	v_pk_fma_f32 v[46:47], v[98:99], v[46:47], v[100:101] neg_lo:[0,0,1] neg_hi:[0,0,1]
	v_mov_b32_e32 v47, v103
	s_delay_alu instid0(VALU_DEP_1)
	v_pk_add_f32 v[44:45], v[44:45], v[46:47] neg_lo:[0,1] neg_hi:[0,1]
.LBB51_888:                             ;   in Loop: Header=BB51_3 Depth=1
	s_or_b32 exec_lo, exec_lo, s57
	s_barrier_signal -1
	s_barrier_wait -1
	s_and_saveexec_b32 s57, s102
; %bb.889:                              ;   in Loop: Header=BB51_3 Depth=1
	v_pk_add_f32 v[46:47], v[44:45], 0 neg_lo:[1,1] neg_hi:[1,1]
	ds_store_b64 v65, v[46:47]
; %bb.890:                              ;   in Loop: Header=BB51_3 Depth=1
	s_or_b32 exec_lo, exec_lo, s57
	s_wait_dscnt 0x0
	s_barrier_signal -1
	s_barrier_wait -1
	s_and_saveexec_b32 s57, s103
	s_cbranch_execz .LBB51_892
; %bb.891:                              ;   in Loop: Header=BB51_3 Depth=1
	ds_load_b64 v[46:47], v63 offset:3072
	ds_load_b64 v[98:99], v65
	s_wait_dscnt 0x0
	v_dual_mul_f32 v3, v99, v47 :: v_dual_mul_f32 v4, v98, v47
	s_delay_alu instid0(VALU_DEP_1) | instskip(NEXT) | instid1(VALU_DEP_1)
	v_dual_fma_f32 v3, v98, v46, -v3 :: v_dual_fmac_f32 v4, v99, v46
	v_dual_sub_f32 v44, v44, v3 :: v_dual_sub_f32 v45, v45, v4
.LBB51_892:                             ;   in Loop: Header=BB51_3 Depth=1
	s_or_b32 exec_lo, exec_lo, s57
	s_barrier_signal -1
	s_barrier_wait -1
	s_and_saveexec_b32 s57, s104
; %bb.893:                              ;   in Loop: Header=BB51_3 Depth=1
	v_pk_add_f32 v[46:47], v[44:45], 0 neg_lo:[1,1] neg_hi:[1,1]
	ds_store_b64 v65, v[46:47]
; %bb.894:                              ;   in Loop: Header=BB51_3 Depth=1
	s_or_b32 exec_lo, exec_lo, s57
	s_wait_dscnt 0x0
	s_barrier_signal -1
	s_barrier_wait -1
	s_and_saveexec_b32 s57, vcc_hi
	s_cbranch_execz .LBB51_896
; %bb.895:                              ;   in Loop: Header=BB51_3 Depth=1
	ds_load_b64 v[46:47], v63 offset:2560
	ds_load_b64 v[98:99], v65
	s_wait_dscnt 0x0
	v_dual_mul_f32 v3, v99, v47 :: v_dual_mul_f32 v101, v98, v47
	s_delay_alu instid0(VALU_DEP_1) | instskip(NEXT) | instid1(VALU_DEP_1)
	v_dual_fma_f32 v100, v98, v46, -v3 :: v_dual_fmac_f32 v101, v99, v46
	v_pk_add_f32 v[44:45], v[44:45], v[100:101] neg_lo:[0,1] neg_hi:[0,1]
.LBB51_896:                             ;   in Loop: Header=BB51_3 Depth=1
	s_or_b32 exec_lo, exec_lo, s57
	s_barrier_signal -1
	s_barrier_wait -1
	s_and_saveexec_b32 s57, s38
; %bb.897:                              ;   in Loop: Header=BB51_3 Depth=1
	v_pk_add_f32 v[46:47], v[44:45], 0 neg_lo:[1,1] neg_hi:[1,1]
	ds_store_b64 v65, v[46:47]
; %bb.898:                              ;   in Loop: Header=BB51_3 Depth=1
	s_or_b32 exec_lo, exec_lo, s57
	s_wait_dscnt 0x0
	s_barrier_signal -1
	s_barrier_wait -1
	s_and_saveexec_b32 s57, s39
	s_cbranch_execz .LBB51_900
; %bb.899:                              ;   in Loop: Header=BB51_3 Depth=1
	ds_load_b64 v[46:47], v63 offset:2048
	ds_load_b64 v[98:99], v65
	s_wait_dscnt 0x0
	v_pk_mul_f32 v[100:101], v[98:99], v[46:47] op_sel:[1,1] op_sel_hi:[0,1]
	s_delay_alu instid0(VALU_DEP_1) | instskip(SKIP_1) | instid1(VALU_DEP_2)
	v_pk_fma_f32 v[102:103], v[98:99], v[46:47], v[100:101] op_sel_hi:[1,0,1]
	v_pk_fma_f32 v[46:47], v[98:99], v[46:47], v[100:101] neg_lo:[0,0,1] neg_hi:[0,0,1]
	v_mov_b32_e32 v47, v103
	s_delay_alu instid0(VALU_DEP_1)
	v_pk_add_f32 v[44:45], v[44:45], v[46:47] neg_lo:[0,1] neg_hi:[0,1]
.LBB51_900:                             ;   in Loop: Header=BB51_3 Depth=1
	s_or_b32 exec_lo, exec_lo, s57
	s_barrier_signal -1
	s_barrier_wait -1
	s_and_saveexec_b32 s57, s40
; %bb.901:                              ;   in Loop: Header=BB51_3 Depth=1
	v_pk_add_f32 v[46:47], v[44:45], 0 neg_lo:[1,1] neg_hi:[1,1]
	ds_store_b64 v65, v[46:47]
; %bb.902:                              ;   in Loop: Header=BB51_3 Depth=1
	s_or_b32 exec_lo, exec_lo, s57
	s_wait_dscnt 0x0
	s_barrier_signal -1
	s_barrier_wait -1
	s_and_saveexec_b32 s57, s41
	s_cbranch_execz .LBB51_904
; %bb.903:                              ;   in Loop: Header=BB51_3 Depth=1
	ds_load_b64 v[46:47], v63 offset:1536
	ds_load_b64 v[98:99], v65
	s_wait_dscnt 0x0
	v_pk_mul_f32 v[100:101], v[98:99], v[46:47] op_sel:[1,1] op_sel_hi:[0,1]
	s_delay_alu instid0(VALU_DEP_1) | instskip(SKIP_1) | instid1(VALU_DEP_2)
	v_pk_fma_f32 v[102:103], v[98:99], v[46:47], v[100:101] op_sel_hi:[1,0,1]
	v_pk_fma_f32 v[46:47], v[98:99], v[46:47], v[100:101] neg_lo:[0,0,1] neg_hi:[0,0,1]
	v_mov_b32_e32 v47, v103
	s_delay_alu instid0(VALU_DEP_1)
	v_pk_add_f32 v[44:45], v[44:45], v[46:47] neg_lo:[0,1] neg_hi:[0,1]
.LBB51_904:                             ;   in Loop: Header=BB51_3 Depth=1
	;; [unrolled: 26-line block ×4, first 2 shown]
	s_or_b32 exec_lo, exec_lo, s57
	s_barrier_signal -1
	s_barrier_wait -1
	s_and_saveexec_b32 s57, s45
; %bb.913:                              ;   in Loop: Header=BB51_3 Depth=1
	v_pk_add_f32 v[46:47], v[44:45], 0 neg_lo:[1,1] neg_hi:[1,1]
	ds_store_b64 v65, v[46:47]
; %bb.914:                              ;   in Loop: Header=BB51_3 Depth=1
	s_or_b32 exec_lo, exec_lo, s57
	s_wait_dscnt 0x0
	s_barrier_signal -1
	s_barrier_wait -1
	s_barrier_signal -1
	s_barrier_wait -1
	s_and_saveexec_b32 s57, s3
; %bb.915:                              ;   in Loop: Header=BB51_3 Depth=1
	ds_store_b64 v67, v[44:45] offset:7680
; %bb.916:                              ;   in Loop: Header=BB51_3 Depth=1
	s_or_b32 exec_lo, exec_lo, s57
	s_wait_dscnt 0x0
	s_barrier_signal -1
	s_barrier_wait -1
	s_barrier_signal -1
	s_barrier_wait -1
	s_and_saveexec_b32 s57, s46
	s_cbranch_execz .LBB51_918
; %bb.917:                              ;   in Loop: Header=BB51_3 Depth=1
	ds_load_b64 v[44:45], v64 offset:4096
	s_wait_dscnt 0x0
	ds_store_b64 v68, v[44:45] offset:64
	ds_load_b64 v[44:45], v64 offset:4104
	s_wait_dscnt 0x0
	ds_store_b64 v68, v[44:45] offset:576
	;; [unrolled: 3-line block ×8, first 2 shown]
.LBB51_918:                             ;   in Loop: Header=BB51_3 Depth=1
	s_or_b32 exec_lo, exec_lo, s57
	s_wait_dscnt 0x0
	s_barrier_signal -1
	s_barrier_wait -1
	s_and_saveexec_b32 s57, s10
	s_cbranch_execz .LBB51_920
; %bb.919:                              ;   in Loop: Header=BB51_3 Depth=1
	ds_load_b64 v[44:45], v5 offset:3632
	v_add_nc_u32_e64 v3, 0x800, 0
	ds_store_b64 v5, v[30:31] offset:3640
	s_wait_dscnt 0x1
	ds_store_2addr_b64 v3, v[30:31], v[44:45] offset0:134 offset1:135
.LBB51_920:                             ;   in Loop: Header=BB51_3 Depth=1
	s_or_b32 exec_lo, exec_lo, s57
	v_dual_mov_b32 v44, 0 :: v_dual_mov_b32 v45, 0
	s_wait_dscnt 0x0
	s_barrier_signal -1
	s_barrier_wait -1
	global_wb scope:SCOPE_DEV
	s_wait_storecnt 0x0
	global_inv scope:SCOPE_DEV
	s_and_saveexec_b32 s57, s0
	s_cbranch_execz .LBB51_924
; %bb.921:                              ;   in Loop: Header=BB51_3 Depth=1
	ds_load_b64 v[44:45], v52 offset:3104
	ds_load_b64 v[46:47], v55 offset:3632
	s_wait_dscnt 0x0
	v_pk_mul_f32 v[98:99], v[46:47], v[44:45] op_sel:[1,1] op_sel_hi:[0,1]
	s_delay_alu instid0(VALU_DEP_1) | instskip(SKIP_1) | instid1(VALU_DEP_2)
	v_pk_fma_f32 v[100:101], v[46:47], v[44:45], v[98:99] op_sel_hi:[1,0,1]
	v_pk_fma_f32 v[44:45], v[46:47], v[44:45], v[98:99] neg_lo:[0,0,1] neg_hi:[0,0,1]
	v_mov_b32_e32 v45, v101
	s_delay_alu instid0(VALU_DEP_1)
	v_pk_add_f32 v[44:45], v[44:45], 0 op_sel_hi:[1,0]
	s_and_saveexec_b32 s60, s14
	s_cbranch_execz .LBB51_923
; %bb.922:                              ;   in Loop: Header=BB51_3 Depth=1
	ds_load_b64 v[46:47], v68 offset:3616
	ds_load_b64 v[98:99], v5 offset:3640
	s_wait_dscnt 0x0
	v_pk_mul_f32 v[100:101], v[98:99], v[46:47] op_sel:[1,1] op_sel_hi:[0,1]
	s_delay_alu instid0(VALU_DEP_1) | instskip(SKIP_1) | instid1(VALU_DEP_2)
	v_pk_fma_f32 v[102:103], v[98:99], v[46:47], v[100:101] op_sel_hi:[1,0,1]
	v_pk_fma_f32 v[46:47], v[98:99], v[46:47], v[100:101] neg_lo:[0,0,1] neg_hi:[0,0,1]
	v_mov_b32_e32 v47, v103
	s_delay_alu instid0(VALU_DEP_1)
	v_pk_add_f32 v[44:45], v[44:45], v[46:47]
.LBB51_923:                             ;   in Loop: Header=BB51_3 Depth=1
	s_or_b32 exec_lo, exec_lo, s60
.LBB51_924:                             ;   in Loop: Header=BB51_3 Depth=1
	s_delay_alu instid0(SALU_CYCLE_1)
	s_or_b32 exec_lo, exec_lo, s57
	s_and_saveexec_b32 s57, s90
; %bb.925:                              ;   in Loop: Header=BB51_3 Depth=1
	s_delay_alu instid0(VALU_DEP_1)
	v_pk_add_f32 v[46:47], v[44:45], 0 neg_lo:[1,1] neg_hi:[1,1]
	ds_store_b64 v54, v[46:47]
; %bb.926:                              ;   in Loop: Header=BB51_3 Depth=1
	s_or_b32 exec_lo, exec_lo, s57
	s_wait_loadcnt_dscnt 0x0
	s_barrier_signal -1
	s_barrier_wait -1
	s_and_saveexec_b32 s57, s91
	s_cbranch_execz .LBB51_928
; %bb.927:                              ;   in Loop: Header=BB51_3 Depth=1
	ds_load_b64 v[46:47], v5 offset:2592
	ds_load_b64 v[98:99], v54
	s_wait_dscnt 0x0
	v_pk_mul_f32 v[100:101], v[98:99], v[46:47] op_sel_hi:[1,0]
	s_delay_alu instid0(VALU_DEP_1) | instskip(SKIP_1) | instid1(VALU_DEP_2)
	v_pk_fma_f32 v[102:103], v[98:99], v[46:47], v[100:101] op_sel:[1,1,0] op_sel_hi:[0,1,1]
	v_pk_fma_f32 v[46:47], v[98:99], v[46:47], v[100:101] op_sel:[1,1,0] op_sel_hi:[0,1,1] neg_lo:[0,0,1] neg_hi:[0,0,1]
	v_pk_add_f32 v[98:99], v[44:45], v[102:103] neg_lo:[0,1] neg_hi:[0,1]
	s_delay_alu instid0(VALU_DEP_2) | instskip(NEXT) | instid1(VALU_DEP_2)
	v_pk_add_f32 v[44:45], v[44:45], v[46:47]
	v_mov_b32_e32 v45, v99
.LBB51_928:                             ;   in Loop: Header=BB51_3 Depth=1
	s_or_b32 exec_lo, exec_lo, s57
	s_barrier_signal -1
	s_barrier_wait -1
	s_and_saveexec_b32 s57, s91
; %bb.929:                              ;   in Loop: Header=BB51_3 Depth=1
	v_pk_add_f32 v[46:47], v[44:45], 0 neg_lo:[1,1] neg_hi:[1,1]
	ds_store_b64 v54, v[46:47]
; %bb.930:                              ;   in Loop: Header=BB51_3 Depth=1
	s_or_b32 exec_lo, exec_lo, s57
	s_wait_dscnt 0x0
	s_barrier_signal -1
	s_barrier_wait -1
	s_barrier_signal -1
	s_barrier_wait -1
	s_and_saveexec_b32 s57, s0
; %bb.931:                              ;   in Loop: Header=BB51_3 Depth=1
	ds_store_b64 v56, v[44:45] offset:3616
; %bb.932:                              ;   in Loop: Header=BB51_3 Depth=1
	s_or_b32 exec_lo, exec_lo, s57
	s_wait_dscnt 0x0
	s_barrier_signal -1
	s_barrier_wait -1
	s_barrier_signal -1
	s_barrier_wait -1
	s_and_saveexec_b32 s57, s92
	s_cbranch_execz .LBB51_934
; %bb.933:                              ;   in Loop: Header=BB51_3 Depth=1
	ds_load_b64 v[44:45], v78 offset:3104
	s_wait_dscnt 0x0
	ds_store_b64 v68, v[44:45] offset:2096
	ds_load_b64 v[44:45], v78 offset:3112
	s_wait_dscnt 0x0
	ds_store_b64 v68, v[44:45] offset:2608
.LBB51_934:                             ;   in Loop: Header=BB51_3 Depth=1
	s_or_b32 exec_lo, exec_lo, s57
	s_wait_dscnt 0x0
	s_barrier_signal -1
	s_barrier_wait -1
	s_and_saveexec_b32 s57, s10
	s_cbranch_execz .LBB51_936
; %bb.935:                              ;   in Loop: Header=BB51_3 Depth=1
	ds_load_b64 v[44:45], v5 offset:2592
	v_add_nc_u32_e64 v3, 0x800, 0
	ds_store_b64 v5, v[30:31] offset:2600
	s_wait_dscnt 0x1
	ds_store_2addr_b64 v3, v[30:31], v[44:45] offset0:4 offset1:5
.LBB51_936:                             ;   in Loop: Header=BB51_3 Depth=1
	s_or_b32 exec_lo, exec_lo, s57
	v_mov_b64_e32 v[44:45], 0
	s_wait_dscnt 0x0
	s_barrier_signal -1
	s_barrier_wait -1
	global_wb scope:SCOPE_DEV
	s_wait_storecnt 0x0
	global_inv scope:SCOPE_DEV
	s_and_saveexec_b32 s57, s2
	s_cbranch_execz .LBB51_942
; %bb.937:                              ;   in Loop: Header=BB51_3 Depth=1
	ds_load_b64 v[44:45], v59 offset:2048
	ds_load_b64 v[46:47], v60 offset:3616
	s_wait_dscnt 0x0
	v_dual_mul_f32 v3, v47, v45 :: v_dual_mul_f32 v4, v46, v45
	s_delay_alu instid0(VALU_DEP_1) | instskip(NEXT) | instid1(VALU_DEP_1)
	v_dual_fma_f32 v3, v46, v44, -v3 :: v_dual_fmac_f32 v4, v47, v44
	v_dual_add_f32 v44, 0, v3 :: v_dual_add_f32 v45, 0, v4
	s_and_saveexec_b32 s60, s15
	s_cbranch_execnz .LBB51_1124
; %bb.938:                              ;   in Loop: Header=BB51_3 Depth=1
	s_or_b32 exec_lo, exec_lo, s60
	s_and_saveexec_b32 s60, s16
	s_cbranch_execnz .LBB51_1125
.LBB51_939:                             ;   in Loop: Header=BB51_3 Depth=1
	s_or_b32 exec_lo, exec_lo, s60
	s_and_saveexec_b32 s60, s0
	s_cbranch_execz .LBB51_941
.LBB51_940:                             ;   in Loop: Header=BB51_3 Depth=1
	ds_load_b64 v[46:47], v79 offset:3584
	ds_load_b64 v[98:99], v5 offset:3640
	s_wait_dscnt 0x0
	v_pk_mul_f32 v[100:101], v[98:99], v[46:47] op_sel:[1,1] op_sel_hi:[0,1]
	s_delay_alu instid0(VALU_DEP_1) | instskip(SKIP_1) | instid1(VALU_DEP_2)
	v_pk_fma_f32 v[102:103], v[98:99], v[46:47], v[100:101] op_sel_hi:[1,0,1]
	v_pk_fma_f32 v[46:47], v[98:99], v[46:47], v[100:101] neg_lo:[0,0,1] neg_hi:[0,0,1]
	v_mov_b32_e32 v47, v103
	s_delay_alu instid0(VALU_DEP_1)
	v_pk_add_f32 v[44:45], v[44:45], v[46:47]
.LBB51_941:                             ;   in Loop: Header=BB51_3 Depth=1
	s_or_b32 exec_lo, exec_lo, s60
.LBB51_942:                             ;   in Loop: Header=BB51_3 Depth=1
	s_delay_alu instid0(SALU_CYCLE_1)
	s_or_b32 exec_lo, exec_lo, s57
	s_and_saveexec_b32 s57, s93
; %bb.943:                              ;   in Loop: Header=BB51_3 Depth=1
	s_delay_alu instid0(VALU_DEP_1)
	v_pk_add_f32 v[46:47], v[44:45], 0 neg_lo:[1,1] neg_hi:[1,1]
	ds_store_b64 v58, v[46:47]
; %bb.944:                              ;   in Loop: Header=BB51_3 Depth=1
	s_or_b32 exec_lo, exec_lo, s57
	s_wait_loadcnt_dscnt 0x0
	s_barrier_signal -1
	s_barrier_wait -1
	s_and_saveexec_b32 s57, s94
	s_cbranch_execz .LBB51_946
; %bb.945:                              ;   in Loop: Header=BB51_3 Depth=1
	ds_load_b64 v[46:47], v59 offset:1536
	ds_load_b64 v[98:99], v58
	s_wait_dscnt 0x0
	v_pk_mul_f32 v[100:101], v[98:99], v[46:47] op_sel:[1,1] op_sel_hi:[0,1]
	s_delay_alu instid0(VALU_DEP_1) | instskip(SKIP_1) | instid1(VALU_DEP_2)
	v_pk_fma_f32 v[102:103], v[98:99], v[46:47], v[100:101] op_sel_hi:[1,0,1]
	v_pk_fma_f32 v[46:47], v[98:99], v[46:47], v[100:101] neg_lo:[0,0,1] neg_hi:[0,0,1]
	v_mov_b32_e32 v47, v103
	s_delay_alu instid0(VALU_DEP_1)
	v_pk_add_f32 v[44:45], v[44:45], v[46:47] neg_lo:[0,1] neg_hi:[0,1]
.LBB51_946:                             ;   in Loop: Header=BB51_3 Depth=1
	s_or_b32 exec_lo, exec_lo, s57
	s_barrier_signal -1
	s_barrier_wait -1
	s_and_saveexec_b32 s57, s95
; %bb.947:                              ;   in Loop: Header=BB51_3 Depth=1
	v_pk_add_f32 v[46:47], v[44:45], 0 neg_lo:[1,1] neg_hi:[1,1]
	ds_store_b64 v58, v[46:47]
; %bb.948:                              ;   in Loop: Header=BB51_3 Depth=1
	s_or_b32 exec_lo, exec_lo, s57
	s_wait_dscnt 0x0
	s_barrier_signal -1
	s_barrier_wait -1
	s_and_saveexec_b32 s57, s96
	s_cbranch_execz .LBB51_950
; %bb.949:                              ;   in Loop: Header=BB51_3 Depth=1
	ds_load_b64 v[46:47], v59 offset:1024
	ds_load_b64 v[98:99], v58
	s_wait_dscnt 0x0
	v_pk_mul_f32 v[100:101], v[98:99], v[46:47] op_sel:[1,1] op_sel_hi:[0,1]
	s_delay_alu instid0(VALU_DEP_1) | instskip(SKIP_1) | instid1(VALU_DEP_2)
	v_pk_fma_f32 v[102:103], v[98:99], v[46:47], v[100:101] op_sel_hi:[1,0,1]
	v_pk_fma_f32 v[46:47], v[98:99], v[46:47], v[100:101] neg_lo:[0,0,1] neg_hi:[0,0,1]
	v_mov_b32_e32 v47, v103
	s_delay_alu instid0(VALU_DEP_1)
	v_pk_add_f32 v[44:45], v[44:45], v[46:47] neg_lo:[0,1] neg_hi:[0,1]
.LBB51_950:                             ;   in Loop: Header=BB51_3 Depth=1
	s_or_b32 exec_lo, exec_lo, s57
	s_barrier_signal -1
	s_barrier_wait -1
	s_and_saveexec_b32 s57, s97
; %bb.951:                              ;   in Loop: Header=BB51_3 Depth=1
	v_pk_add_f32 v[46:47], v[44:45], 0 neg_lo:[1,1] neg_hi:[1,1]
	ds_store_b64 v58, v[46:47]
; %bb.952:                              ;   in Loop: Header=BB51_3 Depth=1
	s_or_b32 exec_lo, exec_lo, s57
	s_wait_dscnt 0x0
	;; [unrolled: 26-line block ×3, first 2 shown]
	s_barrier_signal -1
	s_barrier_wait -1
	s_barrier_signal -1
	s_barrier_wait -1
	s_and_saveexec_b32 s57, s2
; %bb.957:                              ;   in Loop: Header=BB51_3 Depth=1
	ds_store_b64 v62, v[44:45] offset:3584
; %bb.958:                              ;   in Loop: Header=BB51_3 Depth=1
	s_or_b32 exec_lo, exec_lo, s57
	s_wait_dscnt 0x0
	s_barrier_signal -1
	s_barrier_wait -1
	s_barrier_signal -1
	s_barrier_wait -1
	s_and_saveexec_b32 s57, s99
	s_cbranch_execz .LBB51_960
; %bb.959:                              ;   in Loop: Header=BB51_3 Depth=1
	ds_load_b64 v[44:45], v80 offset:2048
	s_wait_dscnt 0x0
	ds_store_b64 v84, v[44:45] offset:32
	ds_load_b64 v[44:45], v80 offset:2056
	s_wait_dscnt 0x0
	ds_store_b64 v84, v[44:45] offset:544
	;; [unrolled: 3-line block ×4, first 2 shown]
.LBB51_960:                             ;   in Loop: Header=BB51_3 Depth=1
	s_or_b32 exec_lo, exec_lo, s57
	s_wait_dscnt 0x0
	s_barrier_signal -1
	s_barrier_wait -1
	s_and_saveexec_b32 s57, s10
	s_cbranch_execz .LBB51_962
; %bb.961:                              ;   in Loop: Header=BB51_3 Depth=1
	ds_load_b64 v[44:45], v5 offset:1552
	ds_store_b64 v5, v[30:31] offset:1560
	s_wait_dscnt 0x1
	ds_store_2addr_b64 v5, v[30:31], v[44:45] offset0:130 offset1:131
.LBB51_962:                             ;   in Loop: Header=BB51_3 Depth=1
	s_or_b32 exec_lo, exec_lo, s57
	v_dual_mov_b32 v44, 0 :: v_dual_mov_b32 v45, 0
	s_wait_dscnt 0x0
	s_barrier_signal -1
	s_barrier_wait -1
	global_wb scope:SCOPE_DEV
	s_wait_storecnt 0x0
	global_inv scope:SCOPE_DEV
	s_and_saveexec_b32 s57, s0
	s_cbranch_execz .LBB51_966
; %bb.963:                              ;   in Loop: Header=BB51_3 Depth=1
	ds_load_b64 v[44:45], v52 offset:1024
	ds_load_b64 v[46:47], v55 offset:1552
	s_wait_dscnt 0x0
	v_pk_mul_f32 v[98:99], v[46:47], v[44:45] op_sel:[1,1] op_sel_hi:[0,1]
	s_delay_alu instid0(VALU_DEP_1) | instskip(SKIP_1) | instid1(VALU_DEP_2)
	v_pk_fma_f32 v[100:101], v[46:47], v[44:45], v[98:99] op_sel_hi:[1,0,1]
	v_pk_fma_f32 v[44:45], v[46:47], v[44:45], v[98:99] neg_lo:[0,0,1] neg_hi:[0,0,1]
	v_mov_b32_e32 v45, v101
	s_delay_alu instid0(VALU_DEP_1)
	v_pk_add_f32 v[44:45], v[44:45], 0 op_sel_hi:[1,0]
	s_and_saveexec_b32 s60, s14
	s_cbranch_execz .LBB51_965
; %bb.964:                              ;   in Loop: Header=BB51_3 Depth=1
	ds_load_b64 v[46:47], v84 offset:1536
	ds_load_b64 v[98:99], v5 offset:1560
	s_wait_dscnt 0x0
	v_pk_mul_f32 v[100:101], v[98:99], v[46:47] op_sel:[1,1] op_sel_hi:[0,1]
	s_delay_alu instid0(VALU_DEP_1) | instskip(SKIP_1) | instid1(VALU_DEP_2)
	v_pk_fma_f32 v[102:103], v[98:99], v[46:47], v[100:101] op_sel_hi:[1,0,1]
	v_pk_fma_f32 v[46:47], v[98:99], v[46:47], v[100:101] neg_lo:[0,0,1] neg_hi:[0,0,1]
	v_mov_b32_e32 v47, v103
	s_delay_alu instid0(VALU_DEP_1)
	v_pk_add_f32 v[44:45], v[44:45], v[46:47]
.LBB51_965:                             ;   in Loop: Header=BB51_3 Depth=1
	s_or_b32 exec_lo, exec_lo, s60
.LBB51_966:                             ;   in Loop: Header=BB51_3 Depth=1
	s_delay_alu instid0(SALU_CYCLE_1)
	s_or_b32 exec_lo, exec_lo, s57
	s_and_saveexec_b32 s57, s90
; %bb.967:                              ;   in Loop: Header=BB51_3 Depth=1
	s_delay_alu instid0(VALU_DEP_1)
	v_pk_add_f32 v[46:47], v[44:45], 0 neg_lo:[1,1] neg_hi:[1,1]
	ds_store_b64 v54, v[46:47]
; %bb.968:                              ;   in Loop: Header=BB51_3 Depth=1
	s_or_b32 exec_lo, exec_lo, s57
	s_wait_loadcnt_dscnt 0x0
	s_barrier_signal -1
	s_barrier_wait -1
	s_and_saveexec_b32 s57, s91
	s_cbranch_execz .LBB51_970
; %bb.969:                              ;   in Loop: Header=BB51_3 Depth=1
	ds_load_b64 v[46:47], v5 offset:512
	ds_load_b64 v[98:99], v54
	s_wait_dscnt 0x0
	v_pk_mul_f32 v[100:101], v[98:99], v[46:47] op_sel_hi:[1,0]
	s_delay_alu instid0(VALU_DEP_1) | instskip(SKIP_1) | instid1(VALU_DEP_2)
	v_pk_fma_f32 v[102:103], v[98:99], v[46:47], v[100:101] op_sel:[1,1,0] op_sel_hi:[0,1,1]
	v_pk_fma_f32 v[46:47], v[98:99], v[46:47], v[100:101] op_sel:[1,1,0] op_sel_hi:[0,1,1] neg_lo:[0,0,1] neg_hi:[0,0,1]
	v_pk_add_f32 v[98:99], v[44:45], v[102:103] neg_lo:[0,1] neg_hi:[0,1]
	s_delay_alu instid0(VALU_DEP_2) | instskip(NEXT) | instid1(VALU_DEP_2)
	v_pk_add_f32 v[44:45], v[44:45], v[46:47]
	v_mov_b32_e32 v45, v99
.LBB51_970:                             ;   in Loop: Header=BB51_3 Depth=1
	s_or_b32 exec_lo, exec_lo, s57
	s_barrier_signal -1
	s_barrier_wait -1
	s_and_saveexec_b32 s57, s91
; %bb.971:                              ;   in Loop: Header=BB51_3 Depth=1
	v_pk_add_f32 v[46:47], v[44:45], 0 neg_lo:[1,1] neg_hi:[1,1]
	ds_store_b64 v54, v[46:47]
; %bb.972:                              ;   in Loop: Header=BB51_3 Depth=1
	s_or_b32 exec_lo, exec_lo, s57
	s_wait_dscnt 0x0
	s_barrier_signal -1
	s_barrier_wait -1
	s_barrier_signal -1
	s_barrier_wait -1
	s_and_saveexec_b32 s57, s0
; %bb.973:                              ;   in Loop: Header=BB51_3 Depth=1
	ds_store_b64 v56, v[44:45] offset:1536
; %bb.974:                              ;   in Loop: Header=BB51_3 Depth=1
	s_or_b32 exec_lo, exec_lo, s57
	s_wait_dscnt 0x0
	s_barrier_signal -1
	s_barrier_wait -1
	s_barrier_signal -1
	s_barrier_wait -1
	s_and_saveexec_b32 s57, s92
	s_cbranch_execz .LBB51_976
; %bb.975:                              ;   in Loop: Header=BB51_3 Depth=1
	ds_load_b64 v[44:45], v86 offset:1024
	s_wait_dscnt 0x0
	ds_store_b64 v84, v[44:45] offset:16
	ds_load_b64 v[44:45], v86 offset:1032
	s_wait_dscnt 0x0
	ds_store_b64 v84, v[44:45] offset:528
.LBB51_976:                             ;   in Loop: Header=BB51_3 Depth=1
	s_or_b32 exec_lo, exec_lo, s57
	s_wait_dscnt 0x0
	s_barrier_signal -1
	s_barrier_wait -1
	s_and_saveexec_b32 s57, s10
	s_cbranch_execz .LBB51_978
; %bb.977:                              ;   in Loop: Header=BB51_3 Depth=1
	ds_load_b64 v[44:45], v5 offset:512
	ds_store_b64 v5, v[30:31] offset:520
	s_wait_dscnt 0x1
	ds_store_2addr_b64 v5, v[30:31], v[44:45] offset1:1
.LBB51_978:                             ;   in Loop: Header=BB51_3 Depth=1
	s_or_b32 exec_lo, exec_lo, s57
.LBB51_979:                             ;   in Loop: Header=BB51_3 Depth=1
	v_mov_b64_e32 v[44:45], 0
	s_mul_u64 s[60:61], s[72:73], s[76:77]
	s_wait_dscnt 0x0
	s_lshl_b64 s[60:61], s[60:61], 3
	s_barrier_signal -1
	s_add_nc_u64 s[80:81], s[66:67], s[60:61]
	s_barrier_wait -1
	s_and_saveexec_b32 s57, s55
	s_cbranch_execz .LBB51_981
; %bb.980:                              ;   in Loop: Header=BB51_3 Depth=1
	v_lshl_add_u64 v[44:45], v[0:1], 3, s[80:81]
	global_load_b64 v[44:45], v[44:45], off
	s_wait_loadcnt 0x0
	v_pk_mul_f32 v[46:47], v[42:43], v[44:45] op_sel:[1,0] neg_lo:[1,0]
	s_delay_alu instid0(VALU_DEP_1)
	v_pk_fma_f32 v[44:45], v[42:43], v[44:45], v[46:47] op_sel:[0,0,1] op_sel_hi:[0,1,0] neg_lo:[1,0,0] neg_hi:[1,0,0]
.LBB51_981:                             ;   in Loop: Header=BB51_3 Depth=1
	s_or_b32 exec_lo, exec_lo, s57
	s_delay_alu instid0(SALU_CYCLE_1)
	s_and_not1_b32 vcc_lo, exec_lo, s58
	s_cbranch_vccnz .LBB51_1016
; %bb.982:                              ;   in Loop: Header=BB51_3 Depth=1
	v_mov_b32_e32 v3, -1
	s_lshl_b64 s[60:61], s[76:77], 2
	s_mov_b32 s57, 0
	s_add_nc_u64 s[82:83], s[74:75], s[60:61]
	s_branch .LBB51_985
.LBB51_983:                             ;   in Loop: Header=BB51_985 Depth=2
	s_wait_xcnt 0x0
	ds_load_b64 v[42:43], v87 offset:384
	s_wait_loadcnt_dscnt 0x0
	v_pk_mul_f32 v[46:47], v[46:47], v[42:43] op_sel:[0,1] op_sel_hi:[0,0]
	s_delay_alu instid0(VALU_DEP_1) | instskip(SKIP_1) | instid1(VALU_DEP_2)
	v_pk_fma_f32 v[98:99], v[4:5], v[42:43], v[46:47] op_sel_hi:[0,1,1] neg_lo:[0,0,1] neg_hi:[0,0,1]
	v_pk_fma_f32 v[42:43], v[4:5], v[42:43], v[46:47]
	v_mov_b32_e32 v43, v99
	s_delay_alu instid0(VALU_DEP_1)
	v_pk_add_f32 v[44:45], v[44:45], v[42:43]
.LBB51_984:                             ;   in Loop: Header=BB51_985 Depth=2
	s_or_b32 exec_lo, exec_lo, s61
	s_add_co_i32 s57, s57, 1
	s_delay_alu instid0(SALU_CYCLE_1)
	s_cmp_eq_u32 s57, s86
	s_cbranch_scc1 .LBB51_1016
.LBB51_985:                             ;   Parent Loop BB51_3 Depth=1
                                        ; =>  This Loop Header: Depth=2
                                        ;       Child Loop BB51_987 Depth 3
	v_cmp_gt_i32_e32 vcc_lo, s57, v3
	s_and_b32 s61, s35, vcc_lo
	s_delay_alu instid0(SALU_CYCLE_1)
	s_and_saveexec_b32 s60, s61
	s_cbranch_execz .LBB51_988
; %bb.986:                              ;   in Loop: Header=BB51_985 Depth=2
	global_load_b32 v3, v5, s[82:83]
	s_wait_loadcnt 0x0
	v_cmp_le_i32_e32 vcc_lo, s57, v3
	s_cbranch_vccnz .LBB51_988
.LBB51_987:                             ;   Parent Loop BB51_3 Depth=1
                                        ;     Parent Loop BB51_985 Depth=2
                                        ; =>    This Inner Loop Header: Depth=3
	global_wb scope:SCOPE_DEV
	s_wait_storecnt 0x0
	global_inv scope:SCOPE_DEV
	global_load_b32 v3, v5, s[82:83]
	s_wait_loadcnt 0x0
	v_cmp_gt_i32_e32 vcc_lo, s57, v3
	s_cbranch_vccnz .LBB51_987
.LBB51_988:                             ;   in Loop: Header=BB51_985 Depth=2
	s_or_b32 exec_lo, exec_lo, s60
	s_lshl_b32 s61, s57, 6
	global_wb scope:SCOPE_DEV
	s_wait_storecnt 0x0
	global_inv scope:SCOPE_DEV
	s_wait_loadcnt 0x0
	s_barrier_signal -1
	s_barrier_wait -1
	s_and_saveexec_b32 s60, s36
	s_cbranch_execz .LBB51_993
; %bb.989:                              ;   in Loop: Header=BB51_985 Depth=2
	v_or_b32_e32 v4, s61, v8
	s_delay_alu instid0(VALU_DEP_1) | instskip(SKIP_1) | instid1(SALU_CYCLE_1)
	v_cmp_le_i32_e32 vcc_lo, s85, v4
	s_and_saveexec_b32 s11, vcc_lo
	s_xor_b32 vcc_lo, exec_lo, s11
; %bb.990:                              ;   in Loop: Header=BB51_985 Depth=2
	ds_store_b64 v91, v[28:29]
; %bb.991:                              ;   in Loop: Header=BB51_985 Depth=2
	s_and_not1_saveexec_b32 s11, vcc_lo
	s_cbranch_execz .LBB51_993
; %bb.992:                              ;   in Loop: Header=BB51_985 Depth=2
	v_mul_u64_e32 v[42:43], s[70:71], v[4:5]
	s_delay_alu instid0(VALU_DEP_1)
	v_lshl_add_u64 v[42:43], v[42:43], 3, s[80:81]
	global_load_b64 v[42:43], v[42:43], off
	s_wait_loadcnt 0x0
	ds_store_b64 v91, v[42:43]
.LBB51_993:                             ;   in Loop: Header=BB51_985 Depth=2
	s_or_b32 exec_lo, exec_lo, s60
	v_add_nc_u32_e32 v4, s61, v2
	v_cmp_ne_u32_e32 vcc_lo, s57, v7
	s_wait_dscnt 0x0
	s_barrier_signal -1
	s_barrier_wait -1
	v_cmp_gt_i32_e64 s61, s85, v4
	v_lshl_add_u64 v[42:43], v[4:5], 3, v[40:41]
	v_cndmask_b32_e64 v27, 0, 1, vcc_lo
	s_and_b32 s11, s61, s5
	s_delay_alu instid0(SALU_CYCLE_1)
	s_and_saveexec_b32 s61, s11
	s_cbranch_execz .LBB51_999
; %bb.994:                              ;   in Loop: Header=BB51_985 Depth=2
	v_mov_b32_e32 v46, v32
	s_and_not1_b32 vcc_lo, exec_lo, vcc_lo
	s_cbranch_vccnz .LBB51_996
; %bb.995:                              ;   in Loop: Header=BB51_985 Depth=2
	global_load_b32 v46, v[42:43], off
.LBB51_996:                             ;   in Loop: Header=BB51_985 Depth=2
	v_cmp_ne_u32_e32 vcc_lo, 1, v27
	v_mov_b32_e32 v48, v33
	s_cbranch_vccnz .LBB51_998
; %bb.997:                              ;   in Loop: Header=BB51_985 Depth=2
	global_load_b32 v48, v[42:43], off offset:4
.LBB51_998:                             ;   in Loop: Header=BB51_985 Depth=2
	ds_load_b64 v[98:99], v87
	s_wait_loadcnt_dscnt 0x0
	v_pk_mul_f32 v[100:101], v[48:49], v[98:99] op_sel:[0,1] op_sel_hi:[0,0]
	s_delay_alu instid0(VALU_DEP_1) | instskip(SKIP_1) | instid1(VALU_DEP_2)
	v_pk_fma_f32 v[102:103], v[46:47], v[98:99], v[100:101] op_sel_hi:[0,1,1] neg_lo:[0,0,1] neg_hi:[0,0,1]
	v_pk_fma_f32 v[46:47], v[46:47], v[98:99], v[100:101]
	v_mov_b32_e32 v47, v103
	s_delay_alu instid0(VALU_DEP_1)
	v_pk_add_f32 v[44:45], v[44:45], v[46:47]
.LBB51_999:                             ;   in Loop: Header=BB51_985 Depth=2
	s_or_b32 exec_lo, exec_lo, s61
	v_add_nc_u32_e32 v46, 16, v4
	s_delay_alu instid0(VALU_DEP_1) | instskip(SKIP_1) | instid1(SALU_CYCLE_1)
	v_cmp_gt_i32_e32 vcc_lo, s85, v46
	s_and_b32 s11, vcc_lo, s5
	s_and_saveexec_b32 s61, s11
	s_cbranch_execz .LBB51_1005
; %bb.1000:                             ;   in Loop: Header=BB51_985 Depth=2
	v_cmp_ne_u32_e32 vcc_lo, 1, v27
	v_mov_b32_e32 v46, v34
	s_cbranch_vccnz .LBB51_1002
; %bb.1001:                             ;   in Loop: Header=BB51_985 Depth=2
	global_load_b32 v46, v[42:43], off offset:128
.LBB51_1002:                            ;   in Loop: Header=BB51_985 Depth=2
	v_cmp_ne_u32_e32 vcc_lo, 1, v27
	v_mov_b32_e32 v47, v35
	s_cbranch_vccnz .LBB51_1004
; %bb.1003:                             ;   in Loop: Header=BB51_985 Depth=2
	global_load_b32 v47, v[42:43], off offset:132
.LBB51_1004:                            ;   in Loop: Header=BB51_985 Depth=2
	ds_load_b64 v[98:99], v87 offset:128
	s_wait_loadcnt 0x0
	v_dual_mov_b32 v100, v47 :: v_dual_mov_b32 v101, v46
	s_wait_dscnt 0x0
	v_dual_mul_f32 v48, v47, v98 :: v_dual_mul_f32 v102, v47, v99
	s_delay_alu instid0(VALU_DEP_1) | instskip(NEXT) | instid1(VALU_DEP_2)
	v_pk_fma_f32 v[100:101], v[100:101], v[98:99], v[48:49] op_sel_hi:[1,1,0] neg_lo:[0,0,1] neg_hi:[0,0,1]
	v_pk_fma_f32 v[46:47], v[46:47], v[98:99], v[102:103] op_sel_hi:[1,1,0]
	s_delay_alu instid0(VALU_DEP_2) | instskip(NEXT) | instid1(VALU_DEP_1)
	v_mov_b32_e32 v47, v101
	v_pk_add_f32 v[44:45], v[44:45], v[46:47]
.LBB51_1005:                            ;   in Loop: Header=BB51_985 Depth=2
	s_or_b32 exec_lo, exec_lo, s61
	v_add_nc_u32_e32 v46, 32, v4
	s_delay_alu instid0(VALU_DEP_1) | instskip(SKIP_1) | instid1(SALU_CYCLE_1)
	v_cmp_gt_i32_e32 vcc_lo, s85, v46
	s_and_b32 s11, vcc_lo, s5
	s_and_saveexec_b32 s61, s11
	s_cbranch_execz .LBB51_1011
; %bb.1006:                             ;   in Loop: Header=BB51_985 Depth=2
	v_cmp_ne_u32_e32 vcc_lo, 1, v27
	v_mov_b32_e32 v46, v36
	s_cbranch_vccnz .LBB51_1008
; %bb.1007:                             ;   in Loop: Header=BB51_985 Depth=2
	global_load_b32 v46, v[42:43], off offset:256
.LBB51_1008:                            ;   in Loop: Header=BB51_985 Depth=2
	v_cmp_ne_u32_e32 vcc_lo, 1, v27
	v_mov_b32_e32 v48, v37
	s_cbranch_vccnz .LBB51_1010
; %bb.1009:                             ;   in Loop: Header=BB51_985 Depth=2
	global_load_b32 v48, v[42:43], off offset:260
.LBB51_1010:                            ;   in Loop: Header=BB51_985 Depth=2
	ds_load_b64 v[98:99], v87 offset:256
	s_wait_loadcnt_dscnt 0x0
	v_pk_mul_f32 v[100:101], v[48:49], v[98:99] op_sel:[0,1] op_sel_hi:[0,0]
	s_delay_alu instid0(VALU_DEP_1) | instskip(SKIP_1) | instid1(VALU_DEP_2)
	v_pk_fma_f32 v[102:103], v[46:47], v[98:99], v[100:101] op_sel_hi:[0,1,1] neg_lo:[0,0,1] neg_hi:[0,0,1]
	v_pk_fma_f32 v[46:47], v[46:47], v[98:99], v[100:101]
	v_mov_b32_e32 v47, v103
	s_delay_alu instid0(VALU_DEP_1)
	v_pk_add_f32 v[44:45], v[44:45], v[46:47]
.LBB51_1011:                            ;   in Loop: Header=BB51_985 Depth=2
	s_or_b32 exec_lo, exec_lo, s61
	v_add_nc_u32_e32 v4, 48, v4
	s_delay_alu instid0(VALU_DEP_1) | instskip(SKIP_1) | instid1(SALU_CYCLE_1)
	v_cmp_gt_i32_e32 vcc_lo, s85, v4
	s_and_b32 s11, vcc_lo, s5
	s_and_saveexec_b32 s61, s11
	s_cbranch_execz .LBB51_984
; %bb.1012:                             ;   in Loop: Header=BB51_985 Depth=2
	v_cmp_ne_u32_e32 vcc_lo, 1, v27
	v_mov_b32_e32 v4, v38
	s_cbranch_vccnz .LBB51_1014
; %bb.1013:                             ;   in Loop: Header=BB51_985 Depth=2
	global_load_b32 v4, v[42:43], off offset:384
.LBB51_1014:                            ;   in Loop: Header=BB51_985 Depth=2
	v_cmp_ne_u32_e32 vcc_lo, 1, v27
	v_mov_b32_e32 v46, v39
	s_cbranch_vccnz .LBB51_983
; %bb.1015:                             ;   in Loop: Header=BB51_985 Depth=2
	global_load_b32 v46, v[42:43], off offset:388
	s_branch .LBB51_983
.LBB51_1016:                            ;   in Loop: Header=BB51_3 Depth=1
	ds_store_b64 v92, v[44:45]
	s_wait_dscnt 0x0
	s_barrier_signal -1
	s_barrier_wait -1
	s_and_saveexec_b32 s57, s1
	s_cbranch_execz .LBB51_1018
; %bb.1017:                             ;   in Loop: Header=BB51_3 Depth=1
	ds_load_2addr_stride64_b64 v[40:43], v93 offset0:1 offset1:2
	ds_load_2addr_stride64_b64 v[98:101], v93 offset0:3 offset1:4
	;; [unrolled: 1-line block ×3, first 2 shown]
	s_wait_dscnt 0x2
	v_pk_add_f32 v[40:41], v[44:45], v[40:41]
	s_delay_alu instid0(VALU_DEP_1) | instskip(SKIP_3) | instid1(VALU_DEP_1)
	v_pk_add_f32 v[44:45], v[40:41], v[42:43]
	ds_load_2addr_stride64_b64 v[40:43], v93 offset0:7 offset1:8
	s_wait_dscnt 0x2
	v_pk_add_f32 v[44:45], v[44:45], v[98:99]
	v_pk_add_f32 v[98:99], v[44:45], v[100:101]
	ds_load_2addr_stride64_b64 v[44:47], v93 offset0:9 offset1:10
	s_wait_dscnt 0x2
	v_pk_add_f32 v[98:99], v[98:99], v[102:103]
	s_delay_alu instid0(VALU_DEP_1) | instskip(SKIP_3) | instid1(VALU_DEP_1)
	v_pk_add_f32 v[102:103], v[98:99], v[104:105]
	ds_load_2addr_stride64_b64 v[98:101], v93 offset0:11 offset1:12
	s_wait_dscnt 0x2
	v_pk_add_f32 v[40:41], v[102:103], v[40:41]
	v_pk_add_f32 v[102:103], v[40:41], v[42:43]
	ds_load_2addr_stride64_b64 v[40:43], v93 offset0:13 offset1:14
	s_wait_dscnt 0x2
	v_pk_add_f32 v[44:45], v[102:103], v[44:45]
	s_delay_alu instid0(VALU_DEP_1) | instskip(SKIP_3) | instid1(VALU_DEP_1)
	v_pk_add_f32 v[44:45], v[44:45], v[46:47]
	ds_load_b64 v[46:47], v93 offset:7680
	s_wait_dscnt 0x2
	v_pk_add_f32 v[44:45], v[44:45], v[98:99]
	v_pk_add_f32 v[44:45], v[44:45], v[100:101]
	s_wait_dscnt 0x1
	s_delay_alu instid0(VALU_DEP_1) | instskip(NEXT) | instid1(VALU_DEP_1)
	v_pk_add_f32 v[40:41], v[44:45], v[40:41]
	v_pk_add_f32 v[40:41], v[40:41], v[42:43]
	s_wait_dscnt 0x0
	s_delay_alu instid0(VALU_DEP_1) | instskip(NEXT) | instid1(VALU_DEP_1)
	v_pk_add_f32 v[40:41], v[40:41], v[46:47]
	v_cndmask_b32_e64 v45, -v41, 0, s53
	s_delay_alu instid0(VALU_DEP_2)
	v_cndmask_b32_e64 v44, -v40, 0, s53
.LBB51_1018:                            ;   in Loop: Header=BB51_3 Depth=1
	s_or_b32 exec_lo, exec_lo, s57
	s_delay_alu instid0(SALU_CYCLE_1)
	s_and_not1_b32 vcc_lo, exec_lo, s89
	s_cbranch_vccnz .LBB51_1028
; %bb.1019:                             ;   in Loop: Header=BB51_3 Depth=1
	s_and_saveexec_b32 s57, s1
; %bb.1020:                             ;   in Loop: Header=BB51_3 Depth=1
	ds_store_b64 v95, v[44:45]
; %bb.1021:                             ;   in Loop: Header=BB51_3 Depth=1
	s_or_b32 exec_lo, exec_lo, s57
	v_mov_b64_e32 v[40:41], 0
	s_wait_dscnt 0x0
	s_barrier_signal -1
	s_barrier_wait -1
	s_and_saveexec_b32 s57, s6
	s_cbranch_execnz .LBB51_1067
; %bb.1022:                             ;   in Loop: Header=BB51_3 Depth=1
	s_or_b32 exec_lo, exec_lo, s57
	s_and_saveexec_b32 s57, s7
	s_cbranch_execnz .LBB51_1068
.LBB51_1023:                            ;   in Loop: Header=BB51_3 Depth=1
	s_or_b32 exec_lo, exec_lo, s57
	s_and_saveexec_b32 s57, s8
	s_cbranch_execnz .LBB51_1069
.LBB51_1024:                            ;   in Loop: Header=BB51_3 Depth=1
	s_or_b32 exec_lo, exec_lo, s57
	s_and_saveexec_b32 s57, s9
	s_cbranch_execz .LBB51_1026
.LBB51_1025:                            ;   in Loop: Header=BB51_3 Depth=1
	ds_load_b64 v[42:43], v94 offset:24576
	ds_load_b64 v[46:47], v87 offset:384
	s_wait_dscnt 0x0
	v_pk_mul_f32 v[98:99], v[46:47], v[42:43] op_sel:[1,1] op_sel_hi:[0,1]
	s_delay_alu instid0(VALU_DEP_1) | instskip(SKIP_1) | instid1(VALU_DEP_2)
	v_pk_fma_f32 v[100:101], v[46:47], v[42:43], v[98:99] op_sel_hi:[1,0,1]
	v_pk_fma_f32 v[42:43], v[46:47], v[42:43], v[98:99] neg_lo:[0,0,1] neg_hi:[0,0,1]
	v_mov_b32_e32 v43, v101
	s_delay_alu instid0(VALU_DEP_1)
	v_pk_add_f32 v[40:41], v[40:41], v[42:43]
.LBB51_1026:                            ;   in Loop: Header=BB51_3 Depth=1
	s_or_b32 exec_lo, exec_lo, s57
	s_mov_b32 s57, 0
	s_mov_b32 s61, 0
	ds_store_b64 v92, v[40:41]
	s_wait_dscnt 0x0
	s_barrier_signal -1
	s_barrier_wait -1
                                        ; implicit-def: $vgpr42_vgpr43
	s_and_saveexec_b32 s82, s1
	s_cbranch_execz .LBB51_1070
; %bb.1027:                             ;   in Loop: Header=BB51_3 Depth=1
	ds_load_2addr_stride64_b64 v[98:101], v93 offset0:1 offset1:2
	ds_load_2addr_stride64_b64 v[102:105], v93 offset0:3 offset1:4
	;; [unrolled: 1-line block ×3, first 2 shown]
	s_mov_b32 s61, exec_lo
	s_wait_dscnt 0x2
	v_pk_add_f32 v[40:41], v[40:41], v[98:99]
	s_delay_alu instid0(VALU_DEP_1) | instskip(SKIP_4) | instid1(VALU_DEP_1)
	v_pk_add_f32 v[46:47], v[40:41], v[100:101]
	ds_load_2addr_stride64_b64 v[40:43], v93 offset0:7 offset1:8
	ds_load_2addr_stride64_b64 v[98:101], v93 offset0:9 offset1:10
	s_wait_dscnt 0x3
	v_pk_add_f32 v[46:47], v[46:47], v[102:103]
	v_pk_add_f32 v[46:47], v[46:47], v[104:105]
	ds_load_2addr_stride64_b64 v[102:105], v93 offset0:11 offset1:12
	s_wait_dscnt 0x3
	v_pk_add_f32 v[46:47], v[46:47], v[106:107]
	s_delay_alu instid0(VALU_DEP_1) | instskip(SKIP_1) | instid1(VALU_DEP_1)
	v_pk_add_f32 v[46:47], v[46:47], v[108:109]
	s_wait_dscnt 0x2
	v_pk_add_f32 v[40:41], v[46:47], v[40:41]
	s_delay_alu instid0(VALU_DEP_1) | instskip(SKIP_1) | instid1(VALU_DEP_1)
	v_pk_add_f32 v[40:41], v[40:41], v[42:43]
	s_wait_dscnt 0x1
	v_pk_add_f32 v[46:47], v[40:41], v[98:99]
	ds_load_2addr_stride64_b64 v[40:43], v93 offset0:13 offset1:14
	ds_load_b64 v[98:99], v93 offset:7680
	v_pk_add_f32 v[46:47], v[46:47], v[100:101]
	s_wait_dscnt 0x2
	s_delay_alu instid0(VALU_DEP_1) | instskip(NEXT) | instid1(VALU_DEP_1)
	v_pk_add_f32 v[46:47], v[46:47], v[102:103]
	v_pk_add_f32 v[46:47], v[46:47], v[104:105]
	s_wait_dscnt 0x1
	s_delay_alu instid0(VALU_DEP_1) | instskip(NEXT) | instid1(VALU_DEP_1)
	v_pk_add_f32 v[40:41], v[46:47], v[40:41]
	v_pk_add_f32 v[40:41], v[40:41], v[42:43]
	s_wait_dscnt 0x0
	s_delay_alu instid0(VALU_DEP_1) | instskip(SKIP_1) | instid1(SALU_CYCLE_1)
	v_pk_add_f32 v[42:43], v[40:41], v[98:99]
	s_or_b32 exec_lo, exec_lo, s82
	s_and_b32 vcc_lo, exec_lo, s57
	s_cbranch_vccnz .LBB51_1029
	s_branch .LBB51_1071
.LBB51_1028:                            ;   in Loop: Header=BB51_3 Depth=1
	s_mov_b32 s61, 0
                                        ; implicit-def: $vgpr42_vgpr43
	s_cbranch_execz .LBB51_1071
.LBB51_1029:                            ;   in Loop: Header=BB51_3 Depth=1
	v_dual_mov_b32 v3, v6 :: v_dual_mov_b32 v4, v90
	s_mov_b32 s57, 0
	s_branch .LBB51_1031
.LBB51_1030:                            ;   in Loop: Header=BB51_1031 Depth=2
	s_or_b32 exec_lo, exec_lo, s60
	v_add_nc_u32_e32 v4, 0x800, v4
	v_add_nc_u32_e32 v3, -4, v3
	s_add_co_i32 s57, s57, 4
	s_delay_alu instid0(SALU_CYCLE_1)
	s_cmp_lg_u32 s57, 64
	s_barrier_signal -1
	s_barrier_wait -1
	s_cbranch_scc0 .LBB51_1047
.LBB51_1031:                            ;   Parent Loop BB51_3 Depth=1
                                        ; =>  This Inner Loop Header: Depth=2
	s_delay_alu instid0(VALU_DEP_1) | instskip(SKIP_1) | instid1(SALU_CYCLE_1)
	v_cmp_eq_u32_e32 vcc_lo, 0, v3
	s_and_b32 s11, s1, vcc_lo
	s_and_saveexec_b32 s60, s11
; %bb.1032:                             ;   in Loop: Header=BB51_1031 Depth=2
	ds_store_b64 v5, v[44:45] offset:41472
; %bb.1033:                             ;   in Loop: Header=BB51_1031 Depth=2
	s_or_b32 exec_lo, exec_lo, s60
	v_cmp_lt_u32_e32 vcc_lo, s57, v6
	s_wait_dscnt 0x0
	s_barrier_signal -1
	s_barrier_wait -1
	s_and_b32 s11, s1, vcc_lo
	s_delay_alu instid0(SALU_CYCLE_1)
	s_and_saveexec_b32 s60, s11
	s_cbranch_execz .LBB51_1035
; %bb.1034:                             ;   in Loop: Header=BB51_1031 Depth=2
	ds_load_b64 v[40:41], v4
	ds_load_b64 v[42:43], v5 offset:41472
	s_wait_dscnt 0x0
	v_pk_mul_f32 v[46:47], v[42:43], v[40:41] op_sel:[1,1] op_sel_hi:[0,1]
	s_delay_alu instid0(VALU_DEP_1) | instskip(SKIP_1) | instid1(VALU_DEP_2)
	v_pk_fma_f32 v[98:99], v[42:43], v[40:41], v[46:47] op_sel_hi:[1,0,1]
	v_pk_fma_f32 v[40:41], v[42:43], v[40:41], v[46:47] neg_lo:[0,0,1] neg_hi:[0,0,1]
	v_mov_b32_e32 v41, v99
	s_delay_alu instid0(VALU_DEP_1)
	v_pk_add_f32 v[44:45], v[44:45], v[40:41]
.LBB51_1035:                            ;   in Loop: Header=BB51_1031 Depth=2
	s_or_b32 exec_lo, exec_lo, s60
	s_or_b32 s60, s57, 1
	s_delay_alu instid0(SALU_CYCLE_1) | instskip(SKIP_3) | instid1(SALU_CYCLE_1)
	v_cmp_eq_u32_e32 vcc_lo, s60, v6
	s_barrier_signal -1
	s_barrier_wait -1
	s_and_b32 s11, s1, vcc_lo
	s_and_saveexec_b32 s82, s11
; %bb.1036:                             ;   in Loop: Header=BB51_1031 Depth=2
	ds_store_b64 v5, v[44:45] offset:41472
; %bb.1037:                             ;   in Loop: Header=BB51_1031 Depth=2
	s_or_b32 exec_lo, exec_lo, s82
	v_cmp_lt_u32_e32 vcc_lo, s60, v6
	s_wait_dscnt 0x0
	s_barrier_signal -1
	s_barrier_wait -1
	s_and_b32 s11, s1, vcc_lo
	s_delay_alu instid0(SALU_CYCLE_1)
	s_and_saveexec_b32 s60, s11
	s_cbranch_execz .LBB51_1039
; %bb.1038:                             ;   in Loop: Header=BB51_1031 Depth=2
	ds_load_b64 v[40:41], v4 offset:512
	ds_load_b64 v[42:43], v5 offset:41472
	s_wait_dscnt 0x0
	v_pk_mul_f32 v[46:47], v[42:43], v[40:41] op_sel:[1,1] op_sel_hi:[0,1]
	s_delay_alu instid0(VALU_DEP_1) | instskip(SKIP_1) | instid1(VALU_DEP_2)
	v_pk_fma_f32 v[98:99], v[42:43], v[40:41], v[46:47] op_sel_hi:[1,0,1]
	v_pk_fma_f32 v[40:41], v[42:43], v[40:41], v[46:47] neg_lo:[0,0,1] neg_hi:[0,0,1]
	v_mov_b32_e32 v41, v99
	s_delay_alu instid0(VALU_DEP_1)
	v_pk_add_f32 v[44:45], v[44:45], v[40:41]
.LBB51_1039:                            ;   in Loop: Header=BB51_1031 Depth=2
	s_or_b32 exec_lo, exec_lo, s60
	s_or_b32 s60, s57, 2
	s_delay_alu instid0(SALU_CYCLE_1) | instskip(SKIP_3) | instid1(SALU_CYCLE_1)
	v_cmp_eq_u32_e32 vcc_lo, s60, v6
	s_barrier_signal -1
	s_barrier_wait -1
	s_and_b32 s11, s1, vcc_lo
	s_and_saveexec_b32 s82, s11
; %bb.1040:                             ;   in Loop: Header=BB51_1031 Depth=2
	ds_store_b64 v5, v[44:45] offset:41472
; %bb.1041:                             ;   in Loop: Header=BB51_1031 Depth=2
	s_or_b32 exec_lo, exec_lo, s82
	v_cmp_lt_u32_e32 vcc_lo, s60, v6
	s_wait_dscnt 0x0
	s_barrier_signal -1
	s_barrier_wait -1
	s_and_b32 s11, s1, vcc_lo
	s_delay_alu instid0(SALU_CYCLE_1)
	s_and_saveexec_b32 s60, s11
	s_cbranch_execz .LBB51_1043
; %bb.1042:                             ;   in Loop: Header=BB51_1031 Depth=2
	ds_load_b64 v[40:41], v4 offset:1024
	ds_load_b64 v[42:43], v5 offset:41472
	s_wait_dscnt 0x0
	v_pk_mul_f32 v[46:47], v[42:43], v[40:41] op_sel:[1,1] op_sel_hi:[0,1]
	s_delay_alu instid0(VALU_DEP_1) | instskip(SKIP_1) | instid1(VALU_DEP_2)
	v_pk_fma_f32 v[98:99], v[42:43], v[40:41], v[46:47] op_sel_hi:[1,0,1]
	v_pk_fma_f32 v[40:41], v[42:43], v[40:41], v[46:47] neg_lo:[0,0,1] neg_hi:[0,0,1]
	v_mov_b32_e32 v41, v99
	s_delay_alu instid0(VALU_DEP_1)
	v_pk_add_f32 v[44:45], v[44:45], v[40:41]
.LBB51_1043:                            ;   in Loop: Header=BB51_1031 Depth=2
	s_or_b32 exec_lo, exec_lo, s60
	s_or_b32 s60, s57, 3
	s_delay_alu instid0(SALU_CYCLE_1) | instskip(SKIP_3) | instid1(SALU_CYCLE_1)
	v_cmp_eq_u32_e32 vcc_lo, s60, v6
	s_barrier_signal -1
	s_barrier_wait -1
	s_and_b32 s11, s1, vcc_lo
	s_and_saveexec_b32 s82, s11
; %bb.1044:                             ;   in Loop: Header=BB51_1031 Depth=2
	ds_store_b64 v5, v[44:45] offset:41472
; %bb.1045:                             ;   in Loop: Header=BB51_1031 Depth=2
	s_or_b32 exec_lo, exec_lo, s82
	v_cmp_lt_u32_e32 vcc_lo, s60, v6
	s_wait_dscnt 0x0
	s_barrier_signal -1
	s_barrier_wait -1
	s_and_b32 s11, s1, vcc_lo
	s_delay_alu instid0(SALU_CYCLE_1)
	s_and_saveexec_b32 s60, s11
	s_cbranch_execz .LBB51_1030
; %bb.1046:                             ;   in Loop: Header=BB51_1031 Depth=2
	ds_load_b64 v[40:41], v4 offset:1536
	ds_load_b64 v[42:43], v5 offset:41472
	s_wait_dscnt 0x0
	v_pk_mul_f32 v[46:47], v[42:43], v[40:41] op_sel:[1,1] op_sel_hi:[0,1]
	s_delay_alu instid0(VALU_DEP_1) | instskip(SKIP_1) | instid1(VALU_DEP_2)
	v_pk_fma_f32 v[98:99], v[42:43], v[40:41], v[46:47] op_sel_hi:[1,0,1]
	v_pk_fma_f32 v[40:41], v[42:43], v[40:41], v[46:47] neg_lo:[0,0,1] neg_hi:[0,0,1]
	v_mov_b32_e32 v41, v99
	s_delay_alu instid0(VALU_DEP_1)
	v_pk_add_f32 v[44:45], v[44:45], v[40:41]
	s_branch .LBB51_1030
.LBB51_1047:                            ;   in Loop: Header=BB51_3 Depth=1
	s_and_b32 vcc_lo, exec_lo, s88
	s_mov_b32 s57, -1
	s_cbranch_vccz .LBB51_1049
; %bb.1048:                             ;   in Loop: Header=BB51_3 Depth=1
	s_and_not1_b32 s11, s61, exec_lo
	s_and_b32 s12, s1, exec_lo
	s_mov_b32 s57, 0
	s_or_b32 s61, s11, s12
.LBB51_1049:                            ;   in Loop: Header=BB51_3 Depth=1
	s_and_not1_b32 vcc_lo, exec_lo, s57
	s_cbranch_vccnz .LBB51_1051
; %bb.1050:                             ;   in Loop: Header=BB51_3 Depth=1
	v_readlane_b32 s12, v111, 12
	s_and_not1_b32 s11, s61, exec_lo
	s_and_b32 s12, s12, exec_lo
	s_delay_alu instid0(SALU_CYCLE_1)
	s_or_b32 s61, s11, s12
.LBB51_1051:                            ;   in Loop: Header=BB51_3 Depth=1
	v_mov_b64_e32 v[40:41], v[14:15]
	s_and_saveexec_b32 s57, s61
	s_cbranch_execnz .LBB51_1072
	s_branch .LBB51_1073
.LBB51_1052:                            ;   in Loop: Header=BB51_3 Depth=1
	v_readlane_b32 s11, v111, 21
	s_and_saveexec_b32 s60, s11
; %bb.1053:                             ;   in Loop: Header=BB51_3 Depth=1
	ds_store_b64 v81, v[28:29]
; %bb.1054:                             ;   in Loop: Header=BB51_3 Depth=1
	s_or_b32 exec_lo, exec_lo, s60
	s_and_not1_saveexec_b32 s57, s57
	s_cbranch_execz .LBB51_16
.LBB51_1055:                            ;   in Loop: Header=BB51_3 Depth=1
	v_lshl_add_u64 v[46:47], v[24:25], 3, v[44:45]
	global_load_b64 v[46:47], v[46:47], off
	s_wait_loadcnt 0x0
	v_xor_b32_e32 v46, 0x80000000, v46
	ds_store_b64 v81, v[46:47]
	s_or_b32 exec_lo, exec_lo, s57
	s_and_saveexec_b32 s57, s7
	s_delay_alu instid0(SALU_CYCLE_1)
	s_xor_b32 s57, exec_lo, s57
	s_cbranch_execz .LBB51_17
.LBB51_1056:                            ;   in Loop: Header=BB51_3 Depth=1
	v_readlane_b32 s11, v111, 22
	s_and_saveexec_b32 s60, s11
; %bb.1057:                             ;   in Loop: Header=BB51_3 Depth=1
	ds_store_b64 v82, v[28:29]
; %bb.1058:                             ;   in Loop: Header=BB51_3 Depth=1
	s_or_b32 exec_lo, exec_lo, s60
	s_and_not1_saveexec_b32 s57, s57
	s_cbranch_execz .LBB51_18
.LBB51_1059:                            ;   in Loop: Header=BB51_3 Depth=1
	v_lshl_add_u64 v[46:47], v[16:17], 3, v[44:45]
	global_load_b64 v[46:47], v[46:47], off
	s_wait_loadcnt 0x0
	v_xor_b32_e32 v46, 0x80000000, v46
	ds_store_b64 v82, v[46:47]
	s_or_b32 exec_lo, exec_lo, s57
	s_and_saveexec_b32 s57, s8
	s_delay_alu instid0(SALU_CYCLE_1)
	s_xor_b32 s57, exec_lo, s57
	s_cbranch_execz .LBB51_19
.LBB51_1060:                            ;   in Loop: Header=BB51_3 Depth=1
	v_readlane_b32 s11, v111, 23
	s_and_saveexec_b32 s60, s11
; %bb.1061:                             ;   in Loop: Header=BB51_3 Depth=1
	ds_store_b64 v83, v[28:29]
; %bb.1062:                             ;   in Loop: Header=BB51_3 Depth=1
	s_or_b32 exec_lo, exec_lo, s60
	s_and_not1_saveexec_b32 s57, s57
	s_cbranch_execz .LBB51_20
.LBB51_1063:                            ;   in Loop: Header=BB51_3 Depth=1
	v_lshl_add_u64 v[46:47], v[18:19], 3, v[44:45]
	global_load_b64 v[46:47], v[46:47], off
	s_wait_loadcnt 0x0
	v_xor_b32_e32 v46, 0x80000000, v46
	ds_store_b64 v83, v[46:47]
	s_or_b32 exec_lo, exec_lo, s57
	s_and_saveexec_b32 s57, s9
	s_delay_alu instid0(SALU_CYCLE_1)
	s_xor_b32 s57, exec_lo, s57
	s_cbranch_execz .LBB51_21
.LBB51_1064:                            ;   in Loop: Header=BB51_3 Depth=1
	v_readlane_b32 s11, v110, 2
	s_and_saveexec_b32 s60, s11
; %bb.1065:                             ;   in Loop: Header=BB51_3 Depth=1
	ds_store_b64 v85, v[28:29]
; %bb.1066:                             ;   in Loop: Header=BB51_3 Depth=1
	s_or_b32 exec_lo, exec_lo, s60
	s_and_not1_saveexec_b32 s57, s57
	s_cbranch_execnz .LBB51_22
	s_branch .LBB51_23
.LBB51_1067:                            ;   in Loop: Header=BB51_3 Depth=1
	ds_load_b64 v[40:41], v94
	ds_load_b64 v[42:43], v87
	s_wait_dscnt 0x0
	v_dual_mul_f32 v3, v43, v41 :: v_dual_mul_f32 v4, v42, v41
	s_delay_alu instid0(VALU_DEP_1) | instskip(NEXT) | instid1(VALU_DEP_1)
	v_dual_fma_f32 v3, v42, v40, -v3 :: v_dual_fmac_f32 v4, v43, v40
	v_dual_add_f32 v40, 0, v3 :: v_dual_add_f32 v41, 0, v4
	s_or_b32 exec_lo, exec_lo, s57
	s_and_saveexec_b32 s57, s7
	s_cbranch_execz .LBB51_1023
.LBB51_1068:                            ;   in Loop: Header=BB51_3 Depth=1
	ds_load_b64 v[42:43], v94 offset:8192
	ds_load_b64 v[46:47], v87 offset:128
	s_wait_dscnt 0x0
	v_dual_mul_f32 v3, v47, v43 :: v_dual_mul_f32 v99, v46, v43
	s_delay_alu instid0(VALU_DEP_1) | instskip(NEXT) | instid1(VALU_DEP_2)
	v_fma_f32 v98, v46, v42, -v3
	v_fmac_f32_e32 v99, v47, v42
	s_delay_alu instid0(VALU_DEP_1)
	v_pk_add_f32 v[40:41], v[40:41], v[98:99]
	s_or_b32 exec_lo, exec_lo, s57
	s_and_saveexec_b32 s57, s8
	s_cbranch_execz .LBB51_1024
.LBB51_1069:                            ;   in Loop: Header=BB51_3 Depth=1
	ds_load_b64 v[42:43], v94 offset:16384
	ds_load_b64 v[46:47], v87 offset:256
	s_wait_dscnt 0x0
	v_pk_mul_f32 v[98:99], v[46:47], v[42:43] op_sel:[1,1] op_sel_hi:[0,1]
	s_delay_alu instid0(VALU_DEP_1) | instskip(SKIP_1) | instid1(VALU_DEP_2)
	v_pk_fma_f32 v[100:101], v[46:47], v[42:43], v[98:99] op_sel_hi:[1,0,1]
	v_pk_fma_f32 v[42:43], v[46:47], v[42:43], v[98:99] neg_lo:[0,0,1] neg_hi:[0,0,1]
	v_mov_b32_e32 v43, v101
	s_delay_alu instid0(VALU_DEP_1)
	v_pk_add_f32 v[40:41], v[40:41], v[42:43]
	s_or_b32 exec_lo, exec_lo, s57
	s_and_saveexec_b32 s57, s9
	s_cbranch_execnz .LBB51_1025
	s_branch .LBB51_1026
.LBB51_1070:                            ;   in Loop: Header=BB51_3 Depth=1
	s_or_b32 exec_lo, exec_lo, s82
	s_delay_alu instid0(SALU_CYCLE_1)
	s_and_b32 vcc_lo, exec_lo, s57
	s_cbranch_vccnz .LBB51_1029
.LBB51_1071:                            ;   in Loop: Header=BB51_3 Depth=1
	v_mov_b64_e32 v[44:45], v[42:43]
	v_mov_b64_e32 v[40:41], v[22:23]
	s_and_saveexec_b32 s57, s61
	s_cbranch_execz .LBB51_1073
.LBB51_1072:                            ;   in Loop: Header=BB51_3 Depth=1
	s_delay_alu instid0(VALU_DEP_1)
	v_lshl_add_u64 v[40:41], v[40:41], 3, s[80:81]
	global_store_b64 v[40:41], v[44:45], off
.LBB51_1073:                            ;   in Loop: Header=BB51_3 Depth=1
	s_wait_xcnt 0x0
	s_or_b32 exec_lo, exec_lo, s57
	global_wb scope:SCOPE_DEV
	s_wait_storecnt 0x0
	global_inv scope:SCOPE_DEV
	s_wait_loadcnt 0x0
	s_barrier_signal -1
	s_barrier_wait -1
	s_and_saveexec_b32 s57, s35
	s_cbranch_execz .LBB51_2
; %bb.1074:                             ;   in Loop: Header=BB51_3 Depth=1
	s_lshl_b64 s[60:61], s[76:77], 2
	s_delay_alu instid0(SALU_CYCLE_1)
	s_add_nc_u64 s[60:61], s[74:75], s[60:61]
	global_load_b32 v3, v5, s[60:61]
	s_wait_loadcnt 0x0
	v_add_nc_u32_e32 v3, 1, v3
	global_store_b32 v5, v3, s[60:61]
	s_branch .LBB51_2
.LBB51_1075:                            ;   in Loop: Header=BB51_3 Depth=1
	ds_load_b64 v[46:47], v59 offset:31680
	ds_load_b64 v[98:99], v60 offset:32744
	s_wait_dscnt 0x0
	v_dual_mul_f32 v3, v99, v47 :: v_dual_mul_f32 v4, v98, v47
	s_delay_alu instid0(VALU_DEP_1) | instskip(NEXT) | instid1(VALU_DEP_1)
	v_dual_fma_f32 v3, v98, v46, -v3 :: v_dual_fmac_f32 v4, v99, v46
	v_dual_add_f32 v44, v44, v3 :: v_dual_add_f32 v45, v45, v4
	s_or_b32 exec_lo, exec_lo, s60
	s_and_saveexec_b32 s60, s16
	s_cbranch_execz .LBB51_72
.LBB51_1076:                            ;   in Loop: Header=BB51_3 Depth=1
	ds_load_b64 v[46:47], v59 offset:32192
	ds_load_b64 v[98:99], v60 offset:32752
	s_wait_dscnt 0x0
	v_dual_mul_f32 v3, v99, v47 :: v_dual_mul_f32 v101, v98, v47
	s_delay_alu instid0(VALU_DEP_1) | instskip(NEXT) | instid1(VALU_DEP_1)
	v_dual_fma_f32 v100, v98, v46, -v3 :: v_dual_fmac_f32 v101, v99, v46
	v_pk_add_f32 v[44:45], v[44:45], v[100:101]
	s_or_b32 exec_lo, exec_lo, s60
	s_and_saveexec_b32 s60, s0
	s_cbranch_execnz .LBB51_73
	s_branch .LBB51_74
.LBB51_1077:                            ;   in Loop: Header=BB51_3 Depth=1
	ds_load_b64 v[46:47], v63 offset:29568
	ds_load_b64 v[98:99], v66 offset:32712
	s_wait_dscnt 0x0
	v_dual_mul_f32 v3, v99, v47 :: v_dual_mul_f32 v4, v98, v47
	s_delay_alu instid0(VALU_DEP_1) | instskip(NEXT) | instid1(VALU_DEP_1)
	v_dual_fma_f32 v3, v98, v46, -v3 :: v_dual_fmac_f32 v4, v99, v46
	v_dual_add_f32 v44, v44, v3 :: v_dual_add_f32 v45, v45, v4
	s_or_b32 exec_lo, exec_lo, s60
	s_and_saveexec_b32 s60, s18
	s_cbranch_execz .LBB51_114
.LBB51_1078:                            ;   in Loop: Header=BB51_3 Depth=1
	ds_load_b64 v[46:47], v63 offset:30080
	ds_load_b64 v[98:99], v66 offset:32720
	s_wait_dscnt 0x0
	v_dual_mul_f32 v3, v99, v47 :: v_dual_mul_f32 v4, v98, v47
	s_delay_alu instid0(VALU_DEP_1) | instskip(NEXT) | instid1(VALU_DEP_1)
	v_dual_fma_f32 v3, v98, v46, -v3 :: v_dual_fmac_f32 v4, v99, v46
	v_dual_add_f32 v44, v44, v3 :: v_dual_add_f32 v45, v45, v4
	s_or_b32 exec_lo, exec_lo, s60
	s_and_saveexec_b32 s60, s19
	s_cbranch_execz .LBB51_115
.LBB51_1079:                            ;   in Loop: Header=BB51_3 Depth=1
	ds_load_b64 v[46:47], v63 offset:30592
	ds_load_b64 v[98:99], v66 offset:32728
	s_wait_dscnt 0x0
	v_dual_mul_f32 v3, v99, v47 :: v_dual_mul_f32 v4, v98, v47
	s_delay_alu instid0(VALU_DEP_1) | instskip(NEXT) | instid1(VALU_DEP_1)
	v_dual_fma_f32 v3, v98, v46, -v3 :: v_dual_fmac_f32 v4, v99, v46
	v_dual_add_f32 v44, v44, v3 :: v_dual_add_f32 v45, v45, v4
	s_or_b32 exec_lo, exec_lo, s60
	s_and_saveexec_b32 s60, s20
	s_cbranch_execz .LBB51_116
.LBB51_1080:                            ;   in Loop: Header=BB51_3 Depth=1
	ds_load_b64 v[46:47], v63 offset:31104
	ds_load_b64 v[98:99], v66 offset:32736
	s_wait_dscnt 0x0
	v_dual_mul_f32 v3, v99, v47 :: v_dual_mul_f32 v101, v98, v47
	s_delay_alu instid0(VALU_DEP_1) | instskip(NEXT) | instid1(VALU_DEP_1)
	v_dual_fma_f32 v100, v98, v46, -v3 :: v_dual_fmac_f32 v101, v99, v46
	v_pk_add_f32 v[44:45], v[44:45], v[100:101]
	s_or_b32 exec_lo, exec_lo, s60
	s_and_saveexec_b32 s60, s21
	s_cbranch_execz .LBB51_117
.LBB51_1081:                            ;   in Loop: Header=BB51_3 Depth=1
	ds_load_b64 v[46:47], v63 offset:31616
	ds_load_b64 v[98:99], v66 offset:32744
	s_wait_dscnt 0x0
	v_pk_mul_f32 v[100:101], v[98:99], v[46:47] op_sel:[1,1] op_sel_hi:[0,1]
	s_delay_alu instid0(VALU_DEP_1) | instskip(SKIP_1) | instid1(VALU_DEP_2)
	v_pk_fma_f32 v[102:103], v[98:99], v[46:47], v[100:101] op_sel_hi:[1,0,1]
	v_pk_fma_f32 v[46:47], v[98:99], v[46:47], v[100:101] neg_lo:[0,0,1] neg_hi:[0,0,1]
	v_mov_b32_e32 v47, v103
	s_delay_alu instid0(VALU_DEP_1)
	v_pk_add_f32 v[44:45], v[44:45], v[46:47]
	s_or_b32 exec_lo, exec_lo, s60
	s_and_saveexec_b32 s60, s2
	s_cbranch_execz .LBB51_118
.LBB51_1082:                            ;   in Loop: Header=BB51_3 Depth=1
	ds_load_b64 v[46:47], v63 offset:32128
	ds_load_b64 v[98:99], v66 offset:32752
	s_wait_dscnt 0x0
	v_pk_mul_f32 v[100:101], v[98:99], v[46:47] op_sel:[1,1] op_sel_hi:[0,1]
	s_delay_alu instid0(VALU_DEP_1) | instskip(SKIP_1) | instid1(VALU_DEP_2)
	v_pk_fma_f32 v[102:103], v[98:99], v[46:47], v[100:101] op_sel_hi:[1,0,1]
	v_pk_fma_f32 v[46:47], v[98:99], v[46:47], v[100:101] neg_lo:[0,0,1] neg_hi:[0,0,1]
	v_mov_b32_e32 v47, v103
	s_delay_alu instid0(VALU_DEP_1)
	v_pk_add_f32 v[44:45], v[44:45], v[46:47]
	s_or_b32 exec_lo, exec_lo, s60
	s_and_saveexec_b32 s60, s16
	s_cbranch_execnz .LBB51_119
	s_branch .LBB51_120
.LBB51_1083:                            ;   in Loop: Header=BB51_3 Depth=1
	ds_load_b64 v[46:47], v59 offset:27520
	ds_load_b64 v[98:99], v60 offset:28584
	s_wait_dscnt 0x0
	v_dual_mul_f32 v3, v99, v47 :: v_dual_mul_f32 v4, v98, v47
	s_delay_alu instid0(VALU_DEP_1) | instskip(NEXT) | instid1(VALU_DEP_1)
	v_dual_fma_f32 v3, v98, v46, -v3 :: v_dual_fmac_f32 v4, v99, v46
	v_dual_add_f32 v44, v44, v3 :: v_dual_add_f32 v45, v45, v4
	s_or_b32 exec_lo, exec_lo, s60
	s_and_saveexec_b32 s60, s16
	s_cbranch_execz .LBB51_176
.LBB51_1084:                            ;   in Loop: Header=BB51_3 Depth=1
	ds_load_b64 v[46:47], v59 offset:28032
	ds_load_b64 v[98:99], v60 offset:28592
	s_wait_dscnt 0x0
	v_dual_mul_f32 v3, v99, v47 :: v_dual_mul_f32 v101, v98, v47
	s_delay_alu instid0(VALU_DEP_1) | instskip(NEXT) | instid1(VALU_DEP_1)
	v_dual_fma_f32 v100, v98, v46, -v3 :: v_dual_fmac_f32 v101, v99, v46
	v_pk_add_f32 v[44:45], v[44:45], v[100:101]
	s_or_b32 exec_lo, exec_lo, s60
	s_and_saveexec_b32 s60, s0
	s_cbranch_execnz .LBB51_177
	s_branch .LBB51_178
.LBB51_1085:                            ;   in Loop: Header=BB51_3 Depth=1
	ds_load_b64 v[46:47], v70 offset:30464
	ds_load_b64 v[98:99], v73 offset:32728
	s_wait_dscnt 0x0
	v_dual_mul_f32 v3, v99, v47 :: v_dual_mul_f32 v4, v98, v47
	s_delay_alu instid0(VALU_DEP_1) | instskip(NEXT) | instid1(VALU_DEP_1)
	v_dual_fma_f32 v3, v98, v46, -v3 :: v_dual_fmac_f32 v4, v99, v46
	v_dual_add_f32 v44, v44, v3 :: v_dual_add_f32 v45, v45, v4
	s_or_b32 exec_lo, exec_lo, s57
	s_and_saveexec_b32 s57, s3
	s_cbranch_execz .LBB51_238
.LBB51_1086:                            ;   in Loop: Header=BB51_3 Depth=1
	ds_load_b64 v[46:47], v70 offset:30976
	ds_load_b64 v[98:99], v73 offset:32736
	s_wait_dscnt 0x0
	v_dual_mul_f32 v3, v99, v47 :: v_dual_mul_f32 v4, v98, v47
	s_delay_alu instid0(VALU_DEP_1) | instskip(NEXT) | instid1(VALU_DEP_1)
	v_dual_fma_f32 v3, v98, v46, -v3 :: v_dual_fmac_f32 v4, v99, v46
	v_dual_add_f32 v44, v44, v3 :: v_dual_add_f32 v45, v45, v4
	s_or_b32 exec_lo, exec_lo, s57
	s_and_saveexec_b32 s57, s18
	s_cbranch_execz .LBB51_239
.LBB51_1087:                            ;   in Loop: Header=BB51_3 Depth=1
	ds_load_b64 v[46:47], v70 offset:31488
	ds_load_b64 v[98:99], v73 offset:32744
	s_wait_dscnt 0x0
	v_dual_mul_f32 v3, v99, v47 :: v_dual_mul_f32 v4, v98, v47
	s_delay_alu instid0(VALU_DEP_1) | instskip(NEXT) | instid1(VALU_DEP_1)
	v_dual_fma_f32 v3, v98, v46, -v3 :: v_dual_fmac_f32 v4, v99, v46
	v_dual_add_f32 v44, v44, v3 :: v_dual_add_f32 v45, v45, v4
	s_or_b32 exec_lo, exec_lo, s57
	s_and_saveexec_b32 s57, s20
	s_cbranch_execz .LBB51_240
.LBB51_1088:                            ;   in Loop: Header=BB51_3 Depth=1
	ds_load_b64 v[46:47], v70 offset:32000
	ds_load_b64 v[98:99], v73 offset:32752
	s_wait_dscnt 0x0
	v_dual_mul_f32 v3, v99, v47 :: v_dual_mul_f32 v101, v98, v47
	s_delay_alu instid0(VALU_DEP_1) | instskip(NEXT) | instid1(VALU_DEP_1)
	v_dual_fma_f32 v100, v98, v46, -v3 :: v_dual_fmac_f32 v101, v99, v46
	v_pk_add_f32 v[44:45], v[44:45], v[100:101]
	s_or_b32 exec_lo, exec_lo, s57
	s_and_saveexec_b32 s57, s2
	s_cbranch_execnz .LBB51_241
	s_branch .LBB51_242
.LBB51_1089:                            ;   in Loop: Header=BB51_3 Depth=1
	ds_load_b64 v[46:47], v59 offset:23360
	ds_load_b64 v[98:99], v60 offset:24424
	s_wait_dscnt 0x0
	v_dual_mul_f32 v3, v99, v47 :: v_dual_mul_f32 v4, v98, v47
	s_delay_alu instid0(VALU_DEP_1) | instskip(NEXT) | instid1(VALU_DEP_1)
	v_dual_fma_f32 v3, v98, v46, -v3 :: v_dual_fmac_f32 v4, v99, v46
	v_dual_add_f32 v44, v44, v3 :: v_dual_add_f32 v45, v45, v4
	s_or_b32 exec_lo, exec_lo, s60
	s_and_saveexec_b32 s60, s16
	s_cbranch_execz .LBB51_330
.LBB51_1090:                            ;   in Loop: Header=BB51_3 Depth=1
	ds_load_b64 v[46:47], v59 offset:23872
	ds_load_b64 v[98:99], v60 offset:24432
	s_wait_dscnt 0x0
	v_dual_mul_f32 v3, v99, v47 :: v_dual_mul_f32 v101, v98, v47
	s_delay_alu instid0(VALU_DEP_1) | instskip(NEXT) | instid1(VALU_DEP_1)
	v_dual_fma_f32 v100, v98, v46, -v3 :: v_dual_fmac_f32 v101, v99, v46
	v_pk_add_f32 v[44:45], v[44:45], v[100:101]
	s_or_b32 exec_lo, exec_lo, s60
	s_and_saveexec_b32 s60, s0
	s_cbranch_execnz .LBB51_331
	s_branch .LBB51_332
.LBB51_1091:                            ;   in Loop: Header=BB51_3 Depth=1
	ds_load_b64 v[46:47], v63 offset:21248
	ds_load_b64 v[98:99], v66 offset:24392
	s_wait_dscnt 0x0
	v_dual_mul_f32 v3, v99, v47 :: v_dual_mul_f32 v4, v98, v47
	s_delay_alu instid0(VALU_DEP_1) | instskip(NEXT) | instid1(VALU_DEP_1)
	v_dual_fma_f32 v3, v98, v46, -v3 :: v_dual_fmac_f32 v4, v99, v46
	v_dual_add_f32 v44, v44, v3 :: v_dual_add_f32 v45, v45, v4
	s_or_b32 exec_lo, exec_lo, s60
	s_and_saveexec_b32 s60, s18
	s_cbranch_execz .LBB51_372
.LBB51_1092:                            ;   in Loop: Header=BB51_3 Depth=1
	ds_load_b64 v[46:47], v63 offset:21760
	ds_load_b64 v[98:99], v66 offset:24400
	s_wait_dscnt 0x0
	v_dual_mul_f32 v3, v99, v47 :: v_dual_mul_f32 v4, v98, v47
	s_delay_alu instid0(VALU_DEP_1) | instskip(NEXT) | instid1(VALU_DEP_1)
	v_dual_fma_f32 v3, v98, v46, -v3 :: v_dual_fmac_f32 v4, v99, v46
	v_dual_add_f32 v44, v44, v3 :: v_dual_add_f32 v45, v45, v4
	s_or_b32 exec_lo, exec_lo, s60
	s_and_saveexec_b32 s60, s19
	s_cbranch_execz .LBB51_373
.LBB51_1093:                            ;   in Loop: Header=BB51_3 Depth=1
	ds_load_b64 v[46:47], v63 offset:22272
	ds_load_b64 v[98:99], v66 offset:24408
	s_wait_dscnt 0x0
	v_dual_mul_f32 v3, v99, v47 :: v_dual_mul_f32 v4, v98, v47
	s_delay_alu instid0(VALU_DEP_1) | instskip(NEXT) | instid1(VALU_DEP_1)
	v_dual_fma_f32 v3, v98, v46, -v3 :: v_dual_fmac_f32 v4, v99, v46
	v_dual_add_f32 v44, v44, v3 :: v_dual_add_f32 v45, v45, v4
	s_or_b32 exec_lo, exec_lo, s60
	s_and_saveexec_b32 s60, s20
	s_cbranch_execz .LBB51_374
.LBB51_1094:                            ;   in Loop: Header=BB51_3 Depth=1
	ds_load_b64 v[46:47], v63 offset:22784
	ds_load_b64 v[98:99], v66 offset:24416
	s_wait_dscnt 0x0
	v_dual_mul_f32 v3, v99, v47 :: v_dual_mul_f32 v101, v98, v47
	s_delay_alu instid0(VALU_DEP_1) | instskip(NEXT) | instid1(VALU_DEP_1)
	v_dual_fma_f32 v100, v98, v46, -v3 :: v_dual_fmac_f32 v101, v99, v46
	v_pk_add_f32 v[44:45], v[44:45], v[100:101]
	s_or_b32 exec_lo, exec_lo, s60
	s_and_saveexec_b32 s60, s21
	s_cbranch_execz .LBB51_375
.LBB51_1095:                            ;   in Loop: Header=BB51_3 Depth=1
	ds_load_b64 v[46:47], v63 offset:23296
	ds_load_b64 v[98:99], v66 offset:24424
	s_wait_dscnt 0x0
	v_pk_mul_f32 v[100:101], v[98:99], v[46:47] op_sel:[1,1] op_sel_hi:[0,1]
	s_delay_alu instid0(VALU_DEP_1) | instskip(SKIP_1) | instid1(VALU_DEP_2)
	v_pk_fma_f32 v[102:103], v[98:99], v[46:47], v[100:101] op_sel_hi:[1,0,1]
	v_pk_fma_f32 v[46:47], v[98:99], v[46:47], v[100:101] neg_lo:[0,0,1] neg_hi:[0,0,1]
	v_mov_b32_e32 v47, v103
	s_delay_alu instid0(VALU_DEP_1)
	v_pk_add_f32 v[44:45], v[44:45], v[46:47]
	s_or_b32 exec_lo, exec_lo, s60
	s_and_saveexec_b32 s60, s2
	s_cbranch_execz .LBB51_376
.LBB51_1096:                            ;   in Loop: Header=BB51_3 Depth=1
	ds_load_b64 v[46:47], v63 offset:23808
	ds_load_b64 v[98:99], v66 offset:24432
	s_wait_dscnt 0x0
	v_pk_mul_f32 v[100:101], v[98:99], v[46:47] op_sel:[1,1] op_sel_hi:[0,1]
	s_delay_alu instid0(VALU_DEP_1) | instskip(SKIP_1) | instid1(VALU_DEP_2)
	v_pk_fma_f32 v[102:103], v[98:99], v[46:47], v[100:101] op_sel_hi:[1,0,1]
	v_pk_fma_f32 v[46:47], v[98:99], v[46:47], v[100:101] neg_lo:[0,0,1] neg_hi:[0,0,1]
	v_mov_b32_e32 v47, v103
	s_delay_alu instid0(VALU_DEP_1)
	v_pk_add_f32 v[44:45], v[44:45], v[46:47]
	s_or_b32 exec_lo, exec_lo, s60
	s_and_saveexec_b32 s60, s16
	s_cbranch_execnz .LBB51_377
	s_branch .LBB51_378
.LBB51_1097:                            ;   in Loop: Header=BB51_3 Depth=1
	ds_load_b64 v[46:47], v59 offset:19200
	ds_load_b64 v[98:99], v60 offset:20264
	s_wait_dscnt 0x0
	v_dual_mul_f32 v3, v99, v47 :: v_dual_mul_f32 v4, v98, v47
	s_delay_alu instid0(VALU_DEP_1) | instskip(NEXT) | instid1(VALU_DEP_1)
	v_dual_fma_f32 v3, v98, v46, -v3 :: v_dual_fmac_f32 v4, v99, v46
	v_dual_add_f32 v44, v44, v3 :: v_dual_add_f32 v45, v45, v4
	s_or_b32 exec_lo, exec_lo, s60
	s_and_saveexec_b32 s60, s16
	s_cbranch_execz .LBB51_434
.LBB51_1098:                            ;   in Loop: Header=BB51_3 Depth=1
	ds_load_b64 v[46:47], v59 offset:19712
	ds_load_b64 v[98:99], v60 offset:20272
	s_wait_dscnt 0x0
	v_dual_mul_f32 v3, v99, v47 :: v_dual_mul_f32 v101, v98, v47
	s_delay_alu instid0(VALU_DEP_1) | instskip(NEXT) | instid1(VALU_DEP_1)
	v_dual_fma_f32 v100, v98, v46, -v3 :: v_dual_fmac_f32 v101, v99, v46
	v_pk_add_f32 v[44:45], v[44:45], v[100:101]
	s_or_b32 exec_lo, exec_lo, s60
	s_and_saveexec_b32 s60, s0
	s_cbranch_execnz .LBB51_435
	s_branch .LBB51_436
.LBB51_1099:                            ;   in Loop: Header=BB51_3 Depth=1
	ds_load_b64 v[46:47], v72 offset:30720
	ds_load_b64 v[98:99], v76 offset:32736
	s_wait_dscnt 0x0
	v_dual_mul_f32 v3, v99, v47 :: v_dual_mul_f32 v101, v98, v47
	s_delay_alu instid0(VALU_DEP_1) | instskip(NEXT) | instid1(VALU_DEP_1)
	v_dual_fma_f32 v100, v98, v46, -v3 :: v_dual_fmac_f32 v101, v99, v46
	v_pk_add_f32 v[44:45], v[44:45], v[100:101]
	s_or_b32 exec_lo, exec_lo, s57
	s_and_saveexec_b32 s57, s13
	s_cbranch_execz .LBB51_530
.LBB51_1100:                            ;   in Loop: Header=BB51_3 Depth=1
	ds_load_b64 v[46:47], v72 offset:31232
	ds_load_b64 v[98:99], v76 offset:32744
	s_wait_dscnt 0x0
	v_pk_mul_f32 v[100:101], v[98:99], v[46:47] op_sel:[1,1] op_sel_hi:[0,1]
	s_delay_alu instid0(VALU_DEP_1) | instskip(SKIP_1) | instid1(VALU_DEP_2)
	v_pk_fma_f32 v[102:103], v[98:99], v[46:47], v[100:101] op_sel_hi:[1,0,1]
	v_pk_fma_f32 v[46:47], v[98:99], v[46:47], v[100:101] neg_lo:[0,0,1] neg_hi:[0,0,1]
	v_mov_b32_e32 v47, v103
	s_delay_alu instid0(VALU_DEP_1)
	v_pk_add_f32 v[44:45], v[44:45], v[46:47]
	s_or_b32 exec_lo, exec_lo, s57
	s_and_saveexec_b32 s57, s3
	s_cbranch_execz .LBB51_531
.LBB51_1101:                            ;   in Loop: Header=BB51_3 Depth=1
	ds_load_b64 v[46:47], v72 offset:31744
	ds_load_b64 v[98:99], v76 offset:32752
	s_wait_dscnt 0x0
	v_pk_mul_f32 v[100:101], v[98:99], v[46:47] op_sel:[1,1] op_sel_hi:[0,1]
	s_delay_alu instid0(VALU_DEP_1) | instskip(SKIP_1) | instid1(VALU_DEP_2)
	v_pk_fma_f32 v[102:103], v[98:99], v[46:47], v[100:101] op_sel_hi:[1,0,1]
	v_pk_fma_f32 v[46:47], v[98:99], v[46:47], v[100:101] neg_lo:[0,0,1] neg_hi:[0,0,1]
	v_mov_b32_e32 v47, v103
	s_delay_alu instid0(VALU_DEP_1) | instskip(SKIP_2) | instid1(SALU_CYCLE_1)
	v_pk_add_f32 v[44:45], v[44:45], v[46:47]
	s_or_b32 exec_lo, exec_lo, s57
	s_and_saveexec_b32 s57, s20
	s_xor_b32 s57, exec_lo, s57
	s_cbranch_execnz .LBB51_532
	s_branch .LBB51_533
.LBB51_1102:                            ;   in Loop: Header=BB51_3 Depth=1
	ds_load_b64 v[46:47], v59 offset:15040
	ds_load_b64 v[98:99], v60 offset:16104
	s_wait_dscnt 0x0
	v_dual_mul_f32 v3, v99, v47 :: v_dual_mul_f32 v4, v98, v47
	s_delay_alu instid0(VALU_DEP_1) | instskip(NEXT) | instid1(VALU_DEP_1)
	v_dual_fma_f32 v3, v98, v46, -v3 :: v_dual_fmac_f32 v4, v99, v46
	v_dual_add_f32 v44, v44, v3 :: v_dual_add_f32 v45, v45, v4
	s_or_b32 exec_lo, exec_lo, s60
	s_and_saveexec_b32 s60, s16
	s_cbranch_execz .LBB51_577
.LBB51_1103:                            ;   in Loop: Header=BB51_3 Depth=1
	ds_load_b64 v[46:47], v59 offset:15552
	ds_load_b64 v[98:99], v60 offset:16112
	s_wait_dscnt 0x0
	v_dual_mul_f32 v3, v99, v47 :: v_dual_mul_f32 v101, v98, v47
	s_delay_alu instid0(VALU_DEP_1) | instskip(NEXT) | instid1(VALU_DEP_1)
	v_dual_fma_f32 v100, v98, v46, -v3 :: v_dual_fmac_f32 v101, v99, v46
	v_pk_add_f32 v[44:45], v[44:45], v[100:101]
	s_or_b32 exec_lo, exec_lo, s60
	s_and_saveexec_b32 s60, s0
	s_cbranch_execnz .LBB51_578
	s_branch .LBB51_579
.LBB51_1104:                            ;   in Loop: Header=BB51_3 Depth=1
	ds_load_b64 v[46:47], v63 offset:12928
	ds_load_b64 v[98:99], v66 offset:16072
	s_wait_dscnt 0x0
	v_dual_mul_f32 v3, v99, v47 :: v_dual_mul_f32 v4, v98, v47
	s_delay_alu instid0(VALU_DEP_1) | instskip(NEXT) | instid1(VALU_DEP_1)
	v_dual_fma_f32 v3, v98, v46, -v3 :: v_dual_fmac_f32 v4, v99, v46
	v_dual_add_f32 v44, v44, v3 :: v_dual_add_f32 v45, v45, v4
	s_or_b32 exec_lo, exec_lo, s60
	s_and_saveexec_b32 s60, s18
	s_cbranch_execz .LBB51_619
.LBB51_1105:                            ;   in Loop: Header=BB51_3 Depth=1
	ds_load_b64 v[46:47], v63 offset:13440
	ds_load_b64 v[98:99], v66 offset:16080
	s_wait_dscnt 0x0
	v_dual_mul_f32 v3, v99, v47 :: v_dual_mul_f32 v4, v98, v47
	s_delay_alu instid0(VALU_DEP_1) | instskip(NEXT) | instid1(VALU_DEP_1)
	v_dual_fma_f32 v3, v98, v46, -v3 :: v_dual_fmac_f32 v4, v99, v46
	v_dual_add_f32 v44, v44, v3 :: v_dual_add_f32 v45, v45, v4
	s_or_b32 exec_lo, exec_lo, s60
	s_and_saveexec_b32 s60, s19
	s_cbranch_execz .LBB51_620
.LBB51_1106:                            ;   in Loop: Header=BB51_3 Depth=1
	ds_load_b64 v[46:47], v63 offset:13952
	ds_load_b64 v[98:99], v66 offset:16088
	s_wait_dscnt 0x0
	v_dual_mul_f32 v3, v99, v47 :: v_dual_mul_f32 v4, v98, v47
	s_delay_alu instid0(VALU_DEP_1) | instskip(NEXT) | instid1(VALU_DEP_1)
	v_dual_fma_f32 v3, v98, v46, -v3 :: v_dual_fmac_f32 v4, v99, v46
	v_dual_add_f32 v44, v44, v3 :: v_dual_add_f32 v45, v45, v4
	s_or_b32 exec_lo, exec_lo, s60
	s_and_saveexec_b32 s60, s20
	s_cbranch_execz .LBB51_621
.LBB51_1107:                            ;   in Loop: Header=BB51_3 Depth=1
	ds_load_b64 v[46:47], v63 offset:14464
	ds_load_b64 v[98:99], v66 offset:16096
	s_wait_dscnt 0x0
	v_dual_mul_f32 v3, v99, v47 :: v_dual_mul_f32 v101, v98, v47
	s_delay_alu instid0(VALU_DEP_1) | instskip(NEXT) | instid1(VALU_DEP_1)
	v_dual_fma_f32 v100, v98, v46, -v3 :: v_dual_fmac_f32 v101, v99, v46
	v_pk_add_f32 v[44:45], v[44:45], v[100:101]
	s_or_b32 exec_lo, exec_lo, s60
	s_and_saveexec_b32 s60, s21
	s_cbranch_execz .LBB51_622
.LBB51_1108:                            ;   in Loop: Header=BB51_3 Depth=1
	ds_load_b64 v[46:47], v63 offset:14976
	ds_load_b64 v[98:99], v66 offset:16104
	s_wait_dscnt 0x0
	v_pk_mul_f32 v[100:101], v[98:99], v[46:47] op_sel:[1,1] op_sel_hi:[0,1]
	s_delay_alu instid0(VALU_DEP_1) | instskip(SKIP_1) | instid1(VALU_DEP_2)
	v_pk_fma_f32 v[102:103], v[98:99], v[46:47], v[100:101] op_sel_hi:[1,0,1]
	v_pk_fma_f32 v[46:47], v[98:99], v[46:47], v[100:101] neg_lo:[0,0,1] neg_hi:[0,0,1]
	v_mov_b32_e32 v47, v103
	s_delay_alu instid0(VALU_DEP_1)
	v_pk_add_f32 v[44:45], v[44:45], v[46:47]
	s_or_b32 exec_lo, exec_lo, s60
	s_and_saveexec_b32 s60, s2
	s_cbranch_execz .LBB51_623
.LBB51_1109:                            ;   in Loop: Header=BB51_3 Depth=1
	ds_load_b64 v[46:47], v63 offset:15488
	ds_load_b64 v[98:99], v66 offset:16112
	s_wait_dscnt 0x0
	v_pk_mul_f32 v[100:101], v[98:99], v[46:47] op_sel:[1,1] op_sel_hi:[0,1]
	s_delay_alu instid0(VALU_DEP_1) | instskip(SKIP_1) | instid1(VALU_DEP_2)
	v_pk_fma_f32 v[102:103], v[98:99], v[46:47], v[100:101] op_sel_hi:[1,0,1]
	v_pk_fma_f32 v[46:47], v[98:99], v[46:47], v[100:101] neg_lo:[0,0,1] neg_hi:[0,0,1]
	v_mov_b32_e32 v47, v103
	s_delay_alu instid0(VALU_DEP_1)
	v_pk_add_f32 v[44:45], v[44:45], v[46:47]
	s_or_b32 exec_lo, exec_lo, s60
	s_and_saveexec_b32 s60, s16
	s_cbranch_execnz .LBB51_624
	s_branch .LBB51_625
.LBB51_1110:                            ;   in Loop: Header=BB51_3 Depth=1
	ds_load_b64 v[46:47], v59 offset:10880
	ds_load_b64 v[98:99], v60 offset:11944
	s_wait_dscnt 0x0
	v_dual_mul_f32 v3, v99, v47 :: v_dual_mul_f32 v4, v98, v47
	s_delay_alu instid0(VALU_DEP_1) | instskip(NEXT) | instid1(VALU_DEP_1)
	v_dual_fma_f32 v3, v98, v46, -v3 :: v_dual_fmac_f32 v4, v99, v46
	v_dual_add_f32 v44, v44, v3 :: v_dual_add_f32 v45, v45, v4
	s_or_b32 exec_lo, exec_lo, s60
	s_and_saveexec_b32 s60, s16
	s_cbranch_execz .LBB51_681
.LBB51_1111:                            ;   in Loop: Header=BB51_3 Depth=1
	ds_load_b64 v[46:47], v59 offset:11392
	ds_load_b64 v[98:99], v60 offset:11952
	s_wait_dscnt 0x0
	v_dual_mul_f32 v3, v99, v47 :: v_dual_mul_f32 v101, v98, v47
	s_delay_alu instid0(VALU_DEP_1) | instskip(NEXT) | instid1(VALU_DEP_1)
	v_dual_fma_f32 v100, v98, v46, -v3 :: v_dual_fmac_f32 v101, v99, v46
	v_pk_add_f32 v[44:45], v[44:45], v[100:101]
	s_or_b32 exec_lo, exec_lo, s60
	s_and_saveexec_b32 s60, s0
	s_cbranch_execnz .LBB51_682
	s_branch .LBB51_683
.LBB51_1112:                            ;   in Loop: Header=BB51_3 Depth=1
	ds_load_b64 v[46:47], v70 offset:13824
	ds_load_b64 v[98:99], v73 offset:16088
	s_wait_dscnt 0x0
	v_dual_mul_f32 v3, v99, v47 :: v_dual_mul_f32 v4, v98, v47
	s_delay_alu instid0(VALU_DEP_1) | instskip(NEXT) | instid1(VALU_DEP_1)
	v_dual_fma_f32 v3, v98, v46, -v3 :: v_dual_fmac_f32 v4, v99, v46
	v_dual_add_f32 v44, v44, v3 :: v_dual_add_f32 v45, v45, v4
	s_or_b32 exec_lo, exec_lo, s57
	s_and_saveexec_b32 s57, s3
	s_cbranch_execz .LBB51_743
.LBB51_1113:                            ;   in Loop: Header=BB51_3 Depth=1
	ds_load_b64 v[46:47], v70 offset:14336
	ds_load_b64 v[98:99], v73 offset:16096
	s_wait_dscnt 0x0
	v_dual_mul_f32 v3, v99, v47 :: v_dual_mul_f32 v4, v98, v47
	s_delay_alu instid0(VALU_DEP_1) | instskip(NEXT) | instid1(VALU_DEP_1)
	v_dual_fma_f32 v3, v98, v46, -v3 :: v_dual_fmac_f32 v4, v99, v46
	v_dual_add_f32 v44, v44, v3 :: v_dual_add_f32 v45, v45, v4
	s_or_b32 exec_lo, exec_lo, s57
	s_and_saveexec_b32 s57, s18
	s_cbranch_execz .LBB51_744
.LBB51_1114:                            ;   in Loop: Header=BB51_3 Depth=1
	ds_load_b64 v[46:47], v70 offset:14848
	ds_load_b64 v[98:99], v73 offset:16104
	s_wait_dscnt 0x0
	v_dual_mul_f32 v3, v99, v47 :: v_dual_mul_f32 v4, v98, v47
	s_delay_alu instid0(VALU_DEP_1) | instskip(NEXT) | instid1(VALU_DEP_1)
	v_dual_fma_f32 v3, v98, v46, -v3 :: v_dual_fmac_f32 v4, v99, v46
	v_dual_add_f32 v44, v44, v3 :: v_dual_add_f32 v45, v45, v4
	s_or_b32 exec_lo, exec_lo, s57
	s_and_saveexec_b32 s57, s20
	s_cbranch_execz .LBB51_745
.LBB51_1115:                            ;   in Loop: Header=BB51_3 Depth=1
	ds_load_b64 v[46:47], v70 offset:15360
	ds_load_b64 v[98:99], v73 offset:16112
	s_wait_dscnt 0x0
	v_dual_mul_f32 v3, v99, v47 :: v_dual_mul_f32 v101, v98, v47
	s_delay_alu instid0(VALU_DEP_1) | instskip(NEXT) | instid1(VALU_DEP_1)
	v_dual_fma_f32 v100, v98, v46, -v3 :: v_dual_fmac_f32 v101, v99, v46
	v_pk_add_f32 v[44:45], v[44:45], v[100:101]
	s_or_b32 exec_lo, exec_lo, s57
	s_and_saveexec_b32 s57, s2
	s_cbranch_execnz .LBB51_746
	s_branch .LBB51_747
.LBB51_1116:                            ;   in Loop: Header=BB51_3 Depth=1
	ds_load_b64 v[46:47], v59 offset:6720
	ds_load_b64 v[98:99], v60 offset:7784
	s_wait_dscnt 0x0
	v_dual_mul_f32 v3, v99, v47 :: v_dual_mul_f32 v4, v98, v47
	s_delay_alu instid0(VALU_DEP_1) | instskip(NEXT) | instid1(VALU_DEP_1)
	v_dual_fma_f32 v3, v98, v46, -v3 :: v_dual_fmac_f32 v4, v99, v46
	v_dual_add_f32 v44, v44, v3 :: v_dual_add_f32 v45, v45, v4
	s_or_b32 exec_lo, exec_lo, s60
	s_and_saveexec_b32 s60, s16
	s_cbranch_execz .LBB51_835
.LBB51_1117:                            ;   in Loop: Header=BB51_3 Depth=1
	ds_load_b64 v[46:47], v59 offset:7232
	ds_load_b64 v[98:99], v60 offset:7792
	s_wait_dscnt 0x0
	v_dual_mul_f32 v3, v99, v47 :: v_dual_mul_f32 v101, v98, v47
	s_delay_alu instid0(VALU_DEP_1) | instskip(NEXT) | instid1(VALU_DEP_1)
	v_dual_fma_f32 v100, v98, v46, -v3 :: v_dual_fmac_f32 v101, v99, v46
	v_pk_add_f32 v[44:45], v[44:45], v[100:101]
	s_or_b32 exec_lo, exec_lo, s60
	s_and_saveexec_b32 s60, s0
	s_cbranch_execnz .LBB51_836
	s_branch .LBB51_837
.LBB51_1118:                            ;   in Loop: Header=BB51_3 Depth=1
	ds_load_b64 v[46:47], v63 offset:4608
	ds_load_b64 v[98:99], v66 offset:7752
	s_wait_dscnt 0x0
	v_dual_mul_f32 v3, v99, v47 :: v_dual_mul_f32 v4, v98, v47
	s_delay_alu instid0(VALU_DEP_1) | instskip(NEXT) | instid1(VALU_DEP_1)
	v_dual_fma_f32 v3, v98, v46, -v3 :: v_dual_fmac_f32 v4, v99, v46
	v_dual_add_f32 v44, v44, v3 :: v_dual_add_f32 v45, v45, v4
	s_or_b32 exec_lo, exec_lo, s60
	s_and_saveexec_b32 s60, s18
	s_cbranch_execz .LBB51_877
.LBB51_1119:                            ;   in Loop: Header=BB51_3 Depth=1
	ds_load_b64 v[46:47], v63 offset:5120
	ds_load_b64 v[98:99], v66 offset:7760
	s_wait_dscnt 0x0
	v_dual_mul_f32 v3, v99, v47 :: v_dual_mul_f32 v4, v98, v47
	s_delay_alu instid0(VALU_DEP_1) | instskip(NEXT) | instid1(VALU_DEP_1)
	v_dual_fma_f32 v3, v98, v46, -v3 :: v_dual_fmac_f32 v4, v99, v46
	v_dual_add_f32 v44, v44, v3 :: v_dual_add_f32 v45, v45, v4
	s_or_b32 exec_lo, exec_lo, s60
	s_and_saveexec_b32 s60, s19
	s_cbranch_execz .LBB51_878
.LBB51_1120:                            ;   in Loop: Header=BB51_3 Depth=1
	ds_load_b64 v[46:47], v63 offset:5632
	ds_load_b64 v[98:99], v66 offset:7768
	s_wait_dscnt 0x0
	v_dual_mul_f32 v3, v99, v47 :: v_dual_mul_f32 v4, v98, v47
	s_delay_alu instid0(VALU_DEP_1) | instskip(NEXT) | instid1(VALU_DEP_1)
	v_dual_fma_f32 v3, v98, v46, -v3 :: v_dual_fmac_f32 v4, v99, v46
	v_dual_add_f32 v44, v44, v3 :: v_dual_add_f32 v45, v45, v4
	s_or_b32 exec_lo, exec_lo, s60
	s_and_saveexec_b32 s60, s20
	s_cbranch_execz .LBB51_879
.LBB51_1121:                            ;   in Loop: Header=BB51_3 Depth=1
	ds_load_b64 v[46:47], v63 offset:6144
	ds_load_b64 v[98:99], v66 offset:7776
	s_wait_dscnt 0x0
	v_dual_mul_f32 v3, v99, v47 :: v_dual_mul_f32 v101, v98, v47
	s_delay_alu instid0(VALU_DEP_1) | instskip(NEXT) | instid1(VALU_DEP_1)
	v_dual_fma_f32 v100, v98, v46, -v3 :: v_dual_fmac_f32 v101, v99, v46
	v_pk_add_f32 v[44:45], v[44:45], v[100:101]
	s_or_b32 exec_lo, exec_lo, s60
	s_and_saveexec_b32 s60, s21
	s_cbranch_execz .LBB51_880
.LBB51_1122:                            ;   in Loop: Header=BB51_3 Depth=1
	ds_load_b64 v[46:47], v63 offset:6656
	ds_load_b64 v[98:99], v66 offset:7784
	s_wait_dscnt 0x0
	v_pk_mul_f32 v[100:101], v[98:99], v[46:47] op_sel:[1,1] op_sel_hi:[0,1]
	s_delay_alu instid0(VALU_DEP_1) | instskip(SKIP_1) | instid1(VALU_DEP_2)
	v_pk_fma_f32 v[102:103], v[98:99], v[46:47], v[100:101] op_sel_hi:[1,0,1]
	v_pk_fma_f32 v[46:47], v[98:99], v[46:47], v[100:101] neg_lo:[0,0,1] neg_hi:[0,0,1]
	v_mov_b32_e32 v47, v103
	s_delay_alu instid0(VALU_DEP_1)
	v_pk_add_f32 v[44:45], v[44:45], v[46:47]
	s_or_b32 exec_lo, exec_lo, s60
	s_and_saveexec_b32 s60, s2
	s_cbranch_execz .LBB51_881
.LBB51_1123:                            ;   in Loop: Header=BB51_3 Depth=1
	ds_load_b64 v[46:47], v63 offset:7168
	ds_load_b64 v[98:99], v66 offset:7792
	s_wait_dscnt 0x0
	v_pk_mul_f32 v[100:101], v[98:99], v[46:47] op_sel:[1,1] op_sel_hi:[0,1]
	s_delay_alu instid0(VALU_DEP_1) | instskip(SKIP_1) | instid1(VALU_DEP_2)
	v_pk_fma_f32 v[102:103], v[98:99], v[46:47], v[100:101] op_sel_hi:[1,0,1]
	v_pk_fma_f32 v[46:47], v[98:99], v[46:47], v[100:101] neg_lo:[0,0,1] neg_hi:[0,0,1]
	v_mov_b32_e32 v47, v103
	s_delay_alu instid0(VALU_DEP_1)
	v_pk_add_f32 v[44:45], v[44:45], v[46:47]
	s_or_b32 exec_lo, exec_lo, s60
	s_and_saveexec_b32 s60, s16
	s_cbranch_execnz .LBB51_882
	s_branch .LBB51_883
.LBB51_1124:                            ;   in Loop: Header=BB51_3 Depth=1
	ds_load_b64 v[46:47], v59 offset:2560
	ds_load_b64 v[98:99], v60 offset:3624
	s_wait_dscnt 0x0
	v_dual_mul_f32 v3, v99, v47 :: v_dual_mul_f32 v4, v98, v47
	s_delay_alu instid0(VALU_DEP_1) | instskip(NEXT) | instid1(VALU_DEP_1)
	v_dual_fma_f32 v3, v98, v46, -v3 :: v_dual_fmac_f32 v4, v99, v46
	v_dual_add_f32 v44, v44, v3 :: v_dual_add_f32 v45, v45, v4
	s_or_b32 exec_lo, exec_lo, s60
	s_and_saveexec_b32 s60, s16
	s_cbranch_execz .LBB51_939
.LBB51_1125:                            ;   in Loop: Header=BB51_3 Depth=1
	ds_load_b64 v[46:47], v59 offset:3072
	ds_load_b64 v[98:99], v60 offset:3632
	s_wait_dscnt 0x0
	v_dual_mul_f32 v3, v99, v47 :: v_dual_mul_f32 v101, v98, v47
	s_delay_alu instid0(VALU_DEP_1) | instskip(NEXT) | instid1(VALU_DEP_1)
	v_dual_fma_f32 v100, v98, v46, -v3 :: v_dual_fmac_f32 v101, v99, v46
	v_pk_add_f32 v[44:45], v[44:45], v[100:101]
	s_or_b32 exec_lo, exec_lo, s60
	s_and_saveexec_b32 s60, s0
	s_cbranch_execnz .LBB51_940
	s_branch .LBB51_941
.LBB51_1126:
	s_endpgm
	.section	.rodata,"a",@progbits
	.p2align	6, 0x0
	.amdhsa_kernel _ZL19rocblas_trsv_deviceILi64ELi16ELb0ELb1ELb1ELb1E19rocblas_complex_numIfEPKS1_S3_PS1_EviT7_lllT6_T8_lllPii
		.amdhsa_group_segment_fixed_size 41480
		.amdhsa_private_segment_fixed_size 0
		.amdhsa_kernarg_size 352
		.amdhsa_user_sgpr_count 2
		.amdhsa_user_sgpr_dispatch_ptr 0
		.amdhsa_user_sgpr_queue_ptr 0
		.amdhsa_user_sgpr_kernarg_segment_ptr 1
		.amdhsa_user_sgpr_dispatch_id 0
		.amdhsa_user_sgpr_kernarg_preload_length 0
		.amdhsa_user_sgpr_kernarg_preload_offset 0
		.amdhsa_user_sgpr_private_segment_size 0
		.amdhsa_wavefront_size32 1
		.amdhsa_uses_dynamic_stack 0
		.amdhsa_enable_private_segment 0
		.amdhsa_system_sgpr_workgroup_id_x 1
		.amdhsa_system_sgpr_workgroup_id_y 0
		.amdhsa_system_sgpr_workgroup_id_z 1
		.amdhsa_system_sgpr_workgroup_info 0
		.amdhsa_system_vgpr_workitem_id 1
		.amdhsa_next_free_vgpr 112
		.amdhsa_next_free_sgpr 105
		.amdhsa_named_barrier_count 0
		.amdhsa_reserve_vcc 1
		.amdhsa_float_round_mode_32 0
		.amdhsa_float_round_mode_16_64 0
		.amdhsa_float_denorm_mode_32 3
		.amdhsa_float_denorm_mode_16_64 3
		.amdhsa_fp16_overflow 0
		.amdhsa_memory_ordered 1
		.amdhsa_forward_progress 1
		.amdhsa_inst_pref_size 255
		.amdhsa_round_robin_scheduling 0
		.amdhsa_exception_fp_ieee_invalid_op 0
		.amdhsa_exception_fp_denorm_src 0
		.amdhsa_exception_fp_ieee_div_zero 0
		.amdhsa_exception_fp_ieee_overflow 0
		.amdhsa_exception_fp_ieee_underflow 0
		.amdhsa_exception_fp_ieee_inexact 0
		.amdhsa_exception_int_div_zero 0
	.end_amdhsa_kernel
	.section	.text._ZL19rocblas_trsv_deviceILi64ELi16ELb0ELb1ELb1ELb1E19rocblas_complex_numIfEPKS1_S3_PS1_EviT7_lllT6_T8_lllPii,"axG",@progbits,_ZL19rocblas_trsv_deviceILi64ELi16ELb0ELb1ELb1ELb1E19rocblas_complex_numIfEPKS1_S3_PS1_EviT7_lllT6_T8_lllPii,comdat
.Lfunc_end51:
	.size	_ZL19rocblas_trsv_deviceILi64ELi16ELb0ELb1ELb1ELb1E19rocblas_complex_numIfEPKS1_S3_PS1_EviT7_lllT6_T8_lllPii, .Lfunc_end51-_ZL19rocblas_trsv_deviceILi64ELi16ELb0ELb1ELb1ELb1E19rocblas_complex_numIfEPKS1_S3_PS1_EviT7_lllT6_T8_lllPii
                                        ; -- End function
	.set _ZL19rocblas_trsv_deviceILi64ELi16ELb0ELb1ELb1ELb1E19rocblas_complex_numIfEPKS1_S3_PS1_EviT7_lllT6_T8_lllPii.num_vgpr, 112
	.set _ZL19rocblas_trsv_deviceILi64ELi16ELb0ELb1ELb1ELb1E19rocblas_complex_numIfEPKS1_S3_PS1_EviT7_lllT6_T8_lllPii.num_agpr, 0
	.set _ZL19rocblas_trsv_deviceILi64ELi16ELb0ELb1ELb1ELb1E19rocblas_complex_numIfEPKS1_S3_PS1_EviT7_lllT6_T8_lllPii.numbered_sgpr, 105
	.set _ZL19rocblas_trsv_deviceILi64ELi16ELb0ELb1ELb1ELb1E19rocblas_complex_numIfEPKS1_S3_PS1_EviT7_lllT6_T8_lllPii.num_named_barrier, 0
	.set _ZL19rocblas_trsv_deviceILi64ELi16ELb0ELb1ELb1ELb1E19rocblas_complex_numIfEPKS1_S3_PS1_EviT7_lllT6_T8_lllPii.private_seg_size, 0
	.set _ZL19rocblas_trsv_deviceILi64ELi16ELb0ELb1ELb1ELb1E19rocblas_complex_numIfEPKS1_S3_PS1_EviT7_lllT6_T8_lllPii.uses_vcc, 1
	.set _ZL19rocblas_trsv_deviceILi64ELi16ELb0ELb1ELb1ELb1E19rocblas_complex_numIfEPKS1_S3_PS1_EviT7_lllT6_T8_lllPii.uses_flat_scratch, 0
	.set _ZL19rocblas_trsv_deviceILi64ELi16ELb0ELb1ELb1ELb1E19rocblas_complex_numIfEPKS1_S3_PS1_EviT7_lllT6_T8_lllPii.has_dyn_sized_stack, 0
	.set _ZL19rocblas_trsv_deviceILi64ELi16ELb0ELb1ELb1ELb1E19rocblas_complex_numIfEPKS1_S3_PS1_EviT7_lllT6_T8_lllPii.has_recursion, 0
	.set _ZL19rocblas_trsv_deviceILi64ELi16ELb0ELb1ELb1ELb1E19rocblas_complex_numIfEPKS1_S3_PS1_EviT7_lllT6_T8_lllPii.has_indirect_call, 0
	.section	.AMDGPU.csdata,"",@progbits
; Kernel info:
; codeLenInByte = 41376
; TotalNumSgprs: 107
; NumVgprs: 112
; ScratchSize: 0
; MemoryBound: 0
; FloatMode: 240
; IeeeMode: 1
; LDSByteSize: 41480 bytes/workgroup (compile time only)
; SGPRBlocks: 0
; VGPRBlocks: 6
; NumSGPRsForWavesPerEU: 107
; NumVGPRsForWavesPerEU: 112
; NamedBarCnt: 0
; Occupancy: 9
; WaveLimiterHint : 0
; COMPUTE_PGM_RSRC2:SCRATCH_EN: 0
; COMPUTE_PGM_RSRC2:USER_SGPR: 2
; COMPUTE_PGM_RSRC2:TRAP_HANDLER: 0
; COMPUTE_PGM_RSRC2:TGID_X_EN: 1
; COMPUTE_PGM_RSRC2:TGID_Y_EN: 0
; COMPUTE_PGM_RSRC2:TGID_Z_EN: 1
; COMPUTE_PGM_RSRC2:TIDIG_COMP_CNT: 1
	.section	.text._ZL19rocblas_trsv_deviceILi64ELi16ELb0ELb0ELb0ELb0E19rocblas_complex_numIfEPKS1_S3_PS1_EviT7_lllT6_T8_lllPii,"axG",@progbits,_ZL19rocblas_trsv_deviceILi64ELi16ELb0ELb0ELb0ELb0E19rocblas_complex_numIfEPKS1_S3_PS1_EviT7_lllT6_T8_lllPii,comdat
	.globl	_ZL19rocblas_trsv_deviceILi64ELi16ELb0ELb0ELb0ELb0E19rocblas_complex_numIfEPKS1_S3_PS1_EviT7_lllT6_T8_lllPii ; -- Begin function _ZL19rocblas_trsv_deviceILi64ELi16ELb0ELb0ELb0ELb0E19rocblas_complex_numIfEPKS1_S3_PS1_EviT7_lllT6_T8_lllPii
	.p2align	8
	.type	_ZL19rocblas_trsv_deviceILi64ELi16ELb0ELb0ELb0ELb0E19rocblas_complex_numIfEPKS1_S3_PS1_EviT7_lllT6_T8_lllPii,@function
_ZL19rocblas_trsv_deviceILi64ELi16ELb0ELb0ELb0ELb0E19rocblas_complex_numIfEPKS1_S3_PS1_EviT7_lllT6_T8_lllPii: ; @_ZL19rocblas_trsv_deviceILi64ELi16ELb0ELb0ELb0ELb0E19rocblas_complex_numIfEPKS1_S3_PS1_EviT7_lllT6_T8_lllPii
; %bb.0:
	s_load_b32 s102, s[0:1], 0x58
	s_bfe_u32 s2, ttmp6, 0x40014
	s_lshr_b32 s3, ttmp7, 16
	s_add_co_i32 s2, s2, 1
	s_bfe_u32 s5, ttmp6, 0x40008
	s_mul_i32 s4, s3, s2
	s_getreg_b32 s2, hwreg(HW_REG_IB_STS2, 6, 4)
	s_add_co_i32 s5, s5, s4
	s_cmp_eq_u32 s2, 0
	s_mov_b32 s89, 0
	s_cselect_b32 s88, s3, s5
	s_wait_kmcnt 0x0
	s_cmp_ge_u32 s88, s102
	s_cbranch_scc1 .LBB52_1098
; %bb.1:
	s_clause 0x3
	s_load_b512 s[68:83], s[0:1], 0x8
	s_load_b32 s3, s[0:1], 0x6c
	s_load_b32 s104, s[0:1], 0x60
	;; [unrolled: 1-line block ×3, first 2 shown]
	s_bfe_u32 s5, ttmp6, 0x4000c
	s_and_b32 s4, ttmp6, 15
	s_add_co_i32 s5, s5, 1
	s_load_b128 s[84:87], s[0:1], 0x48
	s_mul_i32 s5, ttmp9, s5
                                        ; implicit-def: $vgpr86 : SGPR spill to VGPR lane
	v_bfe_u32 v38, v0, 10, 10
	s_add_co_i32 s6, s4, s5
	v_and_b32_e32 v2, 0x3ff, v0
	v_dual_mov_b32 v5, 0 :: v_dual_lshrrev_b32 v1, 10, v0
	s_delay_alu instid0(VALU_DEP_3) | instskip(NEXT) | instid1(VALU_DEP_3)
	v_dual_add_nc_u32 v33, 32, v38 :: v_dual_add_nc_u32 v34, 48, v38
	v_lshl_add_u32 v30, v38, 6, v2
	s_delay_alu instid0(VALU_DEP_3) | instskip(NEXT) | instid1(VALU_DEP_4)
	v_mov_b32_e32 v3, v5
	v_bitop3_b32 v31, v0, v1, 0x3ff bitop3:0xa8
                                        ; implicit-def: $vgpr85 : SGPR spill to VGPR lane
	v_lshl_add_u32 v65, v38, 3, 0xa000
	s_wait_kmcnt 0x0
	s_lshl_b64 s[0:1], s[70:71], 3
	s_lshl_b64 s[4:5], s[80:81], 3
	s_cmp_eq_u32 s2, 0
	s_add_nc_u64 s[0:1], s[68:69], s[0:1]
	s_cselect_b32 s103, ttmp9, s6
	s_add_co_i32 s2, s90, -1
	s_ashr_i32 s91, s90, 31
	s_and_b32 s6, s3, 0xffff
	s_ashr_i32 s3, s2, 31
	s_lshr_b32 s7, s91, 26
	s_lshr_b32 s3, s3, 26
	s_add_co_i32 s7, s90, s7
	s_add_co_i32 s104, s104, -1
	s_add_co_i32 s2, s2, s3
	v_writelane_b32 v86, s0, 0
	s_and_not1_b32 s7, s7, 63
	s_sub_co_i32 s12, s104, s103
	s_ashr_i32 s2, s2, 6
	s_sub_co_i32 s15, s90, s7
	s_cmp_eq_u32 s2, s12
	v_writelane_b32 v86, s1, 1
	s_cselect_b32 s7, -1, 0
	s_cmp_lg_u32 s15, 0
	s_add_nc_u64 s[0:1], s[78:79], s[4:5]
	s_cselect_b32 s8, -1, 0
	v_writelane_b32 v86, s0, 2
	s_and_b32 s13, s8, s7
	s_add_nc_u64 s[2:3], s[72:73], 1
	s_xor_b32 vcc_hi, s13, -1
	s_cmp_lg_u32 s103, 0
	v_writelane_b32 v86, s1, 3
	s_cselect_b32 s0, -1, 0
	s_lshl_b32 s10, s12, 6
	v_lshrrev_b32_e32 v10, 1, v30
	v_mad_nc_u64_u32 v[16:17], s2, s10, v[2:3]
	v_dual_add_nc_u32 v18, s10, v38 :: v_dual_bitop2_b32 v11, 1, v0 bitop3:0x40
	s_ashr_i32 s11, s10, 31
	s_delay_alu instid0(VALU_DEP_3) | instskip(SKIP_1) | instid1(VALU_DEP_2)
	v_lshlrev_b32_e32 v1, 9, v10
	s_cmp_gt_i32 s103, 4
	v_add_nc_u32_e32 v14, 64, v18
	s_mul_i32 s1, s3, s10
	s_mul_i32 s2, s2, s11
	s_cselect_b32 s3, -1, 0
	v_dual_add_nc_u32 v6, s10, v2 :: v_dual_lshlrev_b32 v39, 3, v11
	s_and_b32 s44, s3, vcc_hi
	v_add3_u32 v17, s2, s1, v17
	v_cmp_gt_u32_e64 s1, 4, v30
	v_cmp_eq_u32_e64 s2, 1, v11
	v_cmp_eq_u32_e64 s3, 0, v11
	v_dual_sub_nc_u32 v40, 0, v1 :: v_dual_ashrrev_i32 v15, 31, v14
	v_and_b32_e32 v11, 3, v0
	v_lshl_add_u32 v3, v10, 3, 0x8000
	v_lshrrev_b32_e32 v10, 2, v30
	s_and_b32 s45, s2, s1
	s_and_b32 s46, s3, s1
	v_cmp_gt_u32_e64 s2, 16, v30
	v_cmp_eq_u32_e64 s3, 3, v11
	v_cmp_ne_u32_e64 s4, 3, v11
	v_mad_u32_u24 v4, v38, s6, v2
	v_dual_lshlrev_b32 v44, 3, v11 :: v_dual_ashrrev_i32 v7, 31, v6
	v_sub_nc_u32_e32 v42, v39, v1
	v_cmp_eq_u32_e64 s5, 2, v11
	s_and_b32 s47, s3, s2
	v_cmp_gt_u32_e64 s3, 2, v11
	v_cmp_eq_u32_e64 s6, 1, v11
	s_and_b32 s48, s4, s2
	v_cmp_eq_u32_e64 s4, 0, v11
	v_lshlrev_b32_e32 v11, 6, v30
	v_dual_lshlrev_b32 v1, 9, v10 :: v_dual_bitop2_b32 v12, 7, v0 bitop3:0x40
	s_and_b32 s49, s5, s2
	s_and_b32 s50, s3, s2
	;; [unrolled: 1-line block ×3, first 2 shown]
	v_cmp_gt_u32_e64 s3, 64, v30
	v_cmp_eq_u32_e64 s4, 7, v12
	v_cmp_ne_u32_e64 s5, 7, v12
	s_and_b32 s51, s6, s2
	v_cmp_eq_u32_e64 s6, 6, v12
	v_dual_lshlrev_b32 v41, 3, v2 :: v_dual_sub_nc_u32 v45, 0, v1
	s_and_b32 s53, s4, s3
	s_and_b32 s54, s5, s3
	v_cmp_eq_u32_e64 s4, 5, v12
	v_cmp_gt_u32_e64 s5, 5, v12
	v_dual_sub_nc_u32 v46, v44, v1 :: v_dual_lshlrev_b32 v48, 3, v12
	v_and_b32_e32 v1, 0xfffffe00, v11
	s_and_b32 s57, s4, s3
	v_cmp_gt_u32_e64 s4, 4, v12
	s_and_b32 s58, s5, s3
	v_cmp_gt_u32_e64 s5, 3, v12
	v_cmp_gt_u32_e64 s7, 6, v12
	s_and_b32 s55, s6, s3
	v_cmp_eq_u32_e64 s6, 4, v12
	s_and_b32 s60, s4, s3
	v_cmp_eq_u32_e64 s4, 2, v12
	s_and_b32 s62, s5, s3
	v_cmp_eq_u32_e64 s5, 1, v12
	v_dual_sub_nc_u32 v50, v48, v1 :: v_dual_bitop2_b32 v11, 15, v0 bitop3:0x40
	s_and_b32 s56, s7, s3
	v_cmp_eq_u32_e64 s7, 3, v12
	s_and_b32 s59, s6, s3
	v_cmp_gt_u32_e64 s6, 2, v12
	s_and_b32 s63, s4, s3
	s_and_b32 s65, s5, s3
	v_cmp_gt_u32_e64 s4, 0x100, v30
	v_cmp_eq_u32_e64 s5, 15, v11
	v_writelane_b32 v86, s0, 4
	s_and_b32 s61, s7, s3
	v_cmp_eq_u32_e64 s7, 0, v12
	s_and_b32 s64, s6, s3
	v_cmp_ne_u32_e64 s6, 15, v11
	s_and_b32 s5, s5, s4
	v_cmp_gt_u32_e64 s8, 14, v11
	v_writelane_b32 v86, s5, 5
	s_and_b32 s66, s7, s3
	v_cmp_eq_u32_e64 s7, 14, v11
	s_and_b32 s6, s6, s4
	v_cmp_eq_u32_e64 s5, 13, v11
	v_writelane_b32 v86, s6, 6
	v_lshl_add_u32 v43, v10, 3, 0x8000
	s_and_b32 s6, s7, s4
	v_cmp_gt_u32_e64 s7, 12, v11
	s_and_b32 s5, s5, s4
	v_writelane_b32 v86, s6, 7
	s_and_b32 s6, s8, s4
	v_cmp_eq_u32_e64 s8, 11, v11
	s_and_b32 s27, s7, s4
	v_cmp_eq_u32_e64 s7, 9, v11
	v_writelane_b32 v86, s6, 8
	v_cmp_gt_u32_e64 s6, 13, v11
	s_and_b32 s29, s8, s4
	v_cmp_gt_u32_e64 s8, 9, v11
	v_and_b32_e32 v10, 0x1fff8, v30
	v_writelane_b32 v86, s5, 9
	v_cmp_eq_u32_e64 s5, 12, v11
	s_and_b32 s6, s6, s4
	s_and_b32 s39, s7, s4
	;; [unrolled: 1-line block ×3, first 2 shown]
	v_writelane_b32 v86, s6, 10
	v_cmp_gt_u32_e64 s6, 11, v11
	s_and_b32 s5, s5, s4
	v_cmp_gt_u32_e64 s7, 7, v11
	v_cmp_eq_u32_e64 s8, 6, v11
	v_writelane_b32 v86, s5, 11
	v_cmp_eq_u32_e64 s5, 10, v11
	s_and_b32 s31, s6, s4
	v_cmp_gt_u32_e64 s6, 10, v11
	v_dual_mov_b32 v24, 0 :: v_dual_add_nc_u32 v47, 0x8000, v10
	s_and_b32 s34, s5, s4
	v_cmp_eq_u32_e64 s5, 8, v11
	s_and_b32 s38, s6, s4
	v_cmp_gt_u32_e64 s6, 8, v11
	v_dual_sub_nc_u32 v49, 0, v1 :: v_dual_lshrrev_b32 v10, 4, v30
	s_and_b32 s41, s5, s4
	v_cmp_eq_u32_e64 s5, 7, v11
	s_and_b32 s9, s6, s4
	v_cmp_gt_u32_e64 s6, 6, v11
	s_and_b32 s24, s7, s4
	s_and_b32 s26, s8, s4
	;; [unrolled: 1-line block ×3, first 2 shown]
	v_cmp_eq_u32_e64 s5, 5, v11
	s_and_b32 s28, s6, s4
	v_cmp_gt_u32_e64 s6, 5, v11
	v_cmp_eq_u32_e64 s7, 4, v11
	v_cmp_gt_u32_e64 s8, 4, v11
	s_and_b32 s30, s5, s4
	v_cmp_eq_u32_e64 s5, 3, v11
	s_and_b32 s33, s6, s4
	v_cmp_gt_u32_e64 s6, 3, v11
	v_dual_lshlrev_b32 v1, 9, v10 :: v_dual_lshlrev_b32 v52, 3, v11
	s_and_b32 s78, s5, s4
	v_cmp_eq_u32_e64 s5, 2, v11
	s_and_b32 s79, s6, s4
	v_cmp_eq_u32_e64 s6, 0, v11
	v_cmp_le_i32_e64 s14, s15, v2
	s_and_b32 s80, s7, s4
	s_and_b32 s81, s8, s4
	v_cmp_gt_u32_e64 s7, 2, v11
	v_cmp_eq_u32_e64 s8, 1, v11
	s_and_b32 s43, s5, s4
	v_cmp_eq_u32_e64 s5, 0, v38
	v_sub_nc_u32_e32 v53, 0, v1
	s_and_b32 s68, s6, s4
	v_dual_sub_nc_u32 v55, v52, v1 :: v_dual_bitop2_b32 v54, 31, v0 bitop3:0x40
	v_add_nc_u64_e32 v[0:1], s[10:11], v[4:5]
	s_and_b32 s10, s14, s13
	s_movk_i32 s6, 0x7c00
	v_cmp_gt_i32_e32 vcc_lo, s15, v2
	v_mad_u32_u24 v59, 0x208, v2, s6
	s_xor_b32 s6, s10, -1
	s_and_b32 s67, s7, s4
	s_and_b32 s8, s8, s4
	;; [unrolled: 1-line block ×3, first 2 shown]
	s_cmp_gt_i32 s103, 0
	v_cmp_gt_i32_e64 s0, s90, v6
	s_cselect_b32 s69, -1, 0
	v_add_nc_u32_e32 v19, 0x50, v18
	v_cmp_gt_i32_e64 s6, s90, v14
	s_and_b32 s13, s5, vcc_lo
	v_add_nc_u32_e32 v20, 0x60, v18
	v_writelane_b32 v86, s13, 12
	v_cmp_gt_i32_e64 s7, s90, v19
	s_and_b32 s6, s0, s6
	v_mul_u64_e32 v[8:9], s[72:73], v[14:15]
	v_cmp_gt_i32_e32 vcc_lo, s90, v20
	v_writelane_b32 v86, s6, 13
	s_and_b32 s6, s0, s7
	v_lshl_add_u32 v51, v10, 3, 0x8000
	v_lshrrev_b32_e32 v10, 5, v30
	v_mbcnt_lo_u32_b32 v19, -1, 0
	v_lshlrev_b32_e32 v15, 9, v2
	v_writelane_b32 v86, s6, 14
	s_and_b32 s6, s0, vcc_lo
	v_cmp_le_u32_e64 s13, v38, v2
	v_dual_lshlrev_b32 v25, 20, v19 :: v_dual_lshlrev_b32 v11, 9, v10
	v_dual_sub_nc_u32 v62, 0, v15 :: v_dual_lshlrev_b32 v57, 3, v54
	v_writelane_b32 v86, s6, 15
	v_cmp_le_i32_e32 vcc_lo, s15, v38
	s_delay_alu instid0(VALU_DEP_4) | instskip(NEXT) | instid1(VALU_DEP_4)
	v_dual_sub_nc_u32 v58, 0, v11 :: v_dual_add_nc_u32 v32, 16, v38
	v_sub_nc_u32_e32 v60, v57, v11
	v_writelane_b32 v86, s13, 16
	s_or_b32 s7, vcc_lo, s14
	v_cmp_le_i32_e32 vcc_lo, s15, v33
	s_or_b32 s7, s7, s13
	v_cmp_le_i32_e64 s6, s15, v32
	v_writelane_b32 v86, s7, 17
	v_cmp_le_u32_e64 s7, v32, v2
	v_cmp_ne_u32_e64 s13, v2, v33
	v_add_max_i32_e64 v35, 0x70, v18, v6
	s_or_b32 s6, s6, s14
	v_dual_add_nc_u32 v70, v65, v41 :: v_dual_bitop2_b32 v36, v32, v2 bitop3:0x54
	v_writelane_b32 v86, s7, 18
	s_or_b32 s6, s6, s7
	v_cmp_le_u32_e64 s7, v33, v2
	v_or_b32_e32 v37, v33, v2
	v_or_b32_e32 v75, v34, v2
	v_writelane_b32 v86, s6, 19
	s_or_b32 s6, vcc_lo, s14
	v_cmp_le_i32_e32 vcc_lo, s15, v34
	s_or_b32 s6, s6, s7
	v_cmp_ne_u32_e64 s15, v2, v34
	v_writelane_b32 v86, s7, 20
	v_cmp_le_u32_e64 s7, v34, v2
                                        ; implicit-def: $vgpr84 : SGPR spill to VGPR lane
	v_mul_u32_u24_e32 v61, 0x208, v2
	v_add_nc_u64_e32 v[18:19], src_flat_scratch_base_lo, v[24:25]
	v_mov_b32_e32 v24, 8
	v_writelane_b32 v86, s6, 21
	s_or_b32 s6, vcc_lo, s14
	v_sub_nc_u32_e32 v21, v61, v15
	s_or_b32 s6, s6, s7
	v_lshlrev_b32_e32 v26, 9, v54
	v_writelane_b32 v86, s7, 22
	v_cmp_ne_u32_e64 s7, v2, v32
	v_lshl_add_u32 v63, v32, 9, v21
	v_lshl_add_u32 v64, v33, 9, v21
	v_add_nc_u64_e32 v[20:21], src_flat_scratch_base_lo, v[24:25]
	v_writelane_b32 v86, s6, 23
	v_cmp_ne_u32_e64 s6, v2, v38
	v_mov_b32_e32 v24, 16
	v_mul_u64_e32 v[0:1], s[82:83], v[0:1]
	v_lshl_add_u32 v56, v10, 3, 0x8000
	v_mad_nc_u64_u32 v[10:11], s72, v38, v[16:17]
	v_writelane_b32 v86, s6, 24
	s_or_b32 s6, s14, s6
	v_add_nc_u64_e32 v[22:23], src_flat_scratch_base_lo, v[24:25]
	v_dual_mov_b32 v24, 24 :: v_dual_add_nc_u32 v71, v57, v26
	v_writelane_b32 v86, s6, 25
	s_or_b32 s6, s14, s7
	v_mul_u64_e32 v[26:27], s[82:83], v[6:7]
	v_mad_nc_u64_u32 v[12:13], s72, v32, v[16:17]
	v_mad_nc_u64_u32 v[14:15], s72, v33, v[16:17]
	v_writelane_b32 v86, s7, 26
	v_mad_nc_u64_u32 v[16:17], s72, v34, v[16:17]
	v_mad_u32 v11, s73, v38, v11
	v_add_nc_u64_e32 v[24:25], src_flat_scratch_base_lo, v[24:25]
	v_cmp_lt_u32_e32 vcc_lo, 0x3ff, v30
	v_writelane_b32 v86, s6, 27
	s_or_b32 s6, s14, s13
	v_mov_b64_e32 v[28:29], 0
	v_lshl_add_u32 v66, v4, 3, 0xa000
	v_mad_u32 v13, s73, v32, v13
	v_writelane_b32 v86, s13, 28
	v_mad_u32 v15, s73, v33, v15
	v_mad_u32 v17, s73, v34, v17
	v_lshl_add_u32 v67, v30, 3, 0x8000
	v_add_nc_u32_e32 v68, 0x8000, v41
	v_writelane_b32 v86, s6, 29
	s_or_b32 s6, s14, s15
	v_lshl_add_u32 v69, v38, 9, v41
	v_lshl_add_u32 v72, v34, 9, v41
	v_or_b32_e32 v73, 0x3c00, v57
	v_writelane_b32 v86, s15, 30
	v_subrev_nc_u32_e32 v74, 31, v54
	v_cmp_eq_u32_e64 s14, 0, v31
	v_cmp_gt_u32_e64 s15, 2, v30
	v_cmp_gt_u32_e64 s16, 12, v30
	v_writelane_b32 v86, s6, 31
	v_cmp_gt_u32_e64 s6, 0xf0, v30
	v_cmp_gt_u32_e64 s17, 8, v30
	;; [unrolled: 1-line block ×5, first 2 shown]
	v_writelane_b32 v85, s6, 0
	v_cmp_gt_u32_e64 s6, 0xe0, v30
	v_cmp_gt_u32_e64 s21, 32, v30
	v_cmp_gt_u32_e64 s22, 24, v30
	v_cmp_gt_u32_e64 s35, 0x400, v30
	v_cmp_eq_u32_e64 s36, 0, v4
	v_writelane_b32 v85, s6, 1
	v_cmp_gt_u32_e64 s6, 0xd0, v30
	v_cmp_gt_u32_e64 s37, 64, v4
	s_add_co_i32 s12, s12, 1
	s_xor_b32 s7, vcc_lo, -1
	s_lshl_b64 s[92:93], s[72:73], 7
	v_writelane_b32 v85, s6, 2
	v_cmp_gt_u32_e64 s6, 0xc0, v30
	s_lshl_b64 s[94:95], s[72:73], 8
	s_mul_u64 s[96:97], s[72:73], 0x180
	v_writelane_b32 v85, s6, 3
	v_cmp_gt_u32_e64 s6, 0xb0, v30
	s_delay_alu instid0(VALU_DEP_1) | instskip(SKIP_1) | instid1(VALU_DEP_1)
	v_writelane_b32 v85, s6, 4
	v_cmp_gt_u32_e64 s6, 0xa0, v30
	v_writelane_b32 v85, s6, 5
	v_cmp_gt_u32_e64 s6, 0x90, v30
	s_delay_alu instid0(VALU_DEP_1) | instskip(SKIP_1) | instid1(VALU_DEP_1)
	v_writelane_b32 v85, s6, 6
	v_cmp_gt_u32_e64 s6, 0x80, v30
	;; [unrolled: 5-line block ×3, first 2 shown]
	v_writelane_b32 v85, s6, 9
	v_cmp_gt_u32_e64 s6, 0x50, v30
	s_delay_alu instid0(VALU_DEP_1) | instskip(SKIP_1) | instid1(VALU_DEP_1)
	v_writelane_b32 v85, s6, 10
	v_cmp_le_u32_e64 s6, v2, v38
	v_writelane_b32 v85, s6, 11
	v_cmp_le_u32_e64 s6, v2, v32
	s_delay_alu instid0(VALU_DEP_1) | instskip(SKIP_1) | instid1(VALU_DEP_1)
	v_writelane_b32 v85, s6, 12
	v_cmp_le_u32_e64 s6, v2, v33
	v_writelane_b32 v85, s6, 13
	v_cmp_le_u32_e64 s6, v2, v34
	s_delay_alu instid0(VALU_DEP_1) | instskip(SKIP_1) | instid1(VALU_DEP_1)
	v_writelane_b32 v85, s6, 14
	v_cmp_le_i32_e64 s6, s90, v35
	v_writelane_b32 v85, s6, 15
	v_cmp_gt_u32_e64 s6, 64, v31
	s_delay_alu instid0(VALU_DEP_1) | instskip(SKIP_1) | instid1(VALU_DEP_1)
	v_writelane_b32 v85, s6, 16
	v_cmp_gt_u32_e64 s6, 64, v36
	v_writelane_b32 v85, s6, 17
	v_cmp_gt_u32_e64 s6, 64, v37
	s_delay_alu instid0(VALU_DEP_1) | instskip(SKIP_1) | instid1(VALU_DEP_1)
	v_writelane_b32 v85, s6, 18
	v_cmp_gt_u32_e64 s6, 64, v75
	;; [unrolled: 5-line block ×13, first 2 shown]
	v_writelane_b32 v84, s6, 9
	v_cmp_gt_u32_e64 s6, 0x120, v30
	s_delay_alu instid0(VALU_DEP_1)
	v_writelane_b32 v84, s6, 10
	s_branch .LBB52_3
.LBB52_2:                               ;   in Loop: Header=BB52_3 Depth=1
	s_wait_xcnt 0x0
	s_or_b32 exec_lo, exec_lo, s6
	s_add_co_i32 s88, s88, 0x10000
	global_wb scope:SCOPE_DEV
	s_wait_storecnt 0x0
	global_inv scope:SCOPE_DEV
	s_cmp_lt_u32 s88, s102
	s_cbranch_scc0 .LBB52_1098
.LBB52_3:                               ; =>This Loop Header: Depth=1
                                        ;     Child Loop BB52_588 Depth 2
                                        ;     Child Loop BB52_996 Depth 2
                                        ;       Child Loop BB52_998 Depth 3
                                        ;     Child Loop BB52_1030 Depth 2
	global_load_b64 v[30:31], v5, s[76:77]
	v_readlane_b32 s98, v86, 0
	v_readlane_b32 s6, v86, 4
	;; [unrolled: 1-line block ×3, first 2 shown]
	s_mul_u64 s[70:71], s[74:75], s[88:89]
	s_delay_alu instid0(SALU_CYCLE_1)
	s_lshl_b64 s[70:71], s[70:71], 3
	s_and_not1_b32 vcc_lo, exec_lo, s6
	s_add_nc_u64 s[70:71], s[98:99], s[70:71]
	s_cbranch_vccnz .LBB52_15
; %bb.4:                                ;   in Loop: Header=BB52_3 Depth=1
	v_lshl_add_u64 v[32:33], v[8:9], 3, s[70:71]
	v_dual_mov_b32 v34, 0 :: v_dual_mov_b32 v36, 0
	v_mov_b32_e32 v37, 0
	s_wait_loadcnt 0x0
	s_delay_alu instid0(VALU_DEP_3)
	v_lshl_add_u64 v[32:33], v[6:7], 3, v[32:33]
	s_barrier_signal -1
	s_barrier_wait -1
	s_wait_xcnt 0x0
	s_mov_b32 s6, exec_lo
	v_readlane_b32 s13, v86, 13
	s_and_b32 s13, s6, s13
	s_delay_alu instid0(SALU_CYCLE_1)
	s_mov_b32 exec_lo, s13
	s_cbranch_execz .LBB52_6
; %bb.5:                                ;   in Loop: Header=BB52_3 Depth=1
	global_load_b64 v[36:37], v[32:33], off
.LBB52_6:                               ;   in Loop: Header=BB52_3 Depth=1
	s_wait_xcnt 0x0
	s_or_b32 exec_lo, exec_lo, s6
	v_mov_b32_e32 v35, 0
	s_wait_loadcnt 0x0
	scratch_store_b64 off, v[36:37], off
	s_wait_storecnt 0x0
	s_barrier_signal -1
	s_barrier_wait -1
	s_wait_xcnt 0x0
	s_mov_b32 s6, exec_lo
	v_readlane_b32 s13, v86, 14
	s_and_b32 s13, s6, s13
	s_delay_alu instid0(SALU_CYCLE_1)
	s_mov_b32 exec_lo, s13
	s_cbranch_execz .LBB52_8
; %bb.7:                                ;   in Loop: Header=BB52_3 Depth=1
	v_add_nc_u64_e32 v[34:35], s[92:93], v[32:33]
	global_load_b64 v[34:35], v[34:35], off
.LBB52_8:                               ;   in Loop: Header=BB52_3 Depth=1
	s_wait_xcnt 0x0
	s_or_b32 exec_lo, exec_lo, s6
	s_wait_loadcnt 0x0
	scratch_store_b64 off, v[34:35], off offset:8
	s_wait_xcnt 0x0
	v_dual_mov_b32 v34, 0 :: v_dual_mov_b32 v35, 0
	s_wait_storecnt 0x0
	s_barrier_signal -1
	s_barrier_wait -1
	s_mov_b32 s6, exec_lo
	v_readlane_b32 s13, v86, 15
	s_and_b32 s13, s6, s13
	s_delay_alu instid0(SALU_CYCLE_1)
	s_mov_b32 exec_lo, s13
	s_cbranch_execz .LBB52_10
; %bb.9:                                ;   in Loop: Header=BB52_3 Depth=1
	v_add_nc_u64_e32 v[34:35], s[94:95], v[32:33]
	global_load_b64 v[34:35], v[34:35], off
.LBB52_10:                              ;   in Loop: Header=BB52_3 Depth=1
	s_wait_xcnt 0x0
	s_or_b32 exec_lo, exec_lo, s6
	s_wait_loadcnt 0x0
	scratch_store_b64 off, v[34:35], off offset:16
	s_wait_storecnt 0x0
	s_barrier_signal -1
	s_barrier_wait -1
	s_wait_xcnt 0x0
	s_mov_b32 s6, exec_lo
	v_readlane_b32 s13, v85, 15
	s_and_b32 s13, s6, s13
	s_delay_alu instid0(SALU_CYCLE_1)
	s_xor_b32 s6, s13, s6
	s_mov_b32 exec_lo, s13
	s_cbranch_execz .LBB52_12
; %bb.11:                               ;   in Loop: Header=BB52_3 Depth=1
	scratch_store_b64 off, v[28:29], off offset:24
                                        ; implicit-def: $vgpr32_vgpr33
.LBB52_12:                              ;   in Loop: Header=BB52_3 Depth=1
	s_wait_xcnt 0x0
	s_and_not1_saveexec_b32 s6, s6
	s_cbranch_execz .LBB52_14
; %bb.13:                               ;   in Loop: Header=BB52_3 Depth=1
	v_add_nc_u64_e32 v[32:33], s[96:97], v[32:33]
	global_load_b64 v[32:33], v[32:33], off
	s_wait_loadcnt 0x0
	scratch_store_b64 off, v[32:33], off offset:24
.LBB52_14:                              ;   in Loop: Header=BB52_3 Depth=1
	s_wait_xcnt 0x0
	s_or_b32 exec_lo, exec_lo, s6
.LBB52_15:                              ;   in Loop: Header=BB52_3 Depth=1
	s_delay_alu instid0(SALU_CYCLE_1)
	s_and_not1_b32 vcc_lo, exec_lo, vcc_hi
	s_mov_b32 s6, -1
	s_cbranch_vccnz .LBB52_73
; %bb.16:                               ;   in Loop: Header=BB52_3 Depth=1
	s_wait_xcnt 0x0
	s_mov_b32 s6, exec_lo
	v_readlane_b32 s13, v86, 16
	s_and_b32 s13, s6, s13
	s_delay_alu instid0(SALU_CYCLE_1)
	s_xor_b32 s98, s13, s6
	s_mov_b32 exec_lo, s13
	s_cbranch_execz .LBB52_28
; %bb.17:                               ;   in Loop: Header=BB52_3 Depth=1
	s_mov_b32 s6, exec_lo
	v_readlane_b32 s13, v86, 24
	s_and_b32 s13, s6, s13
	s_delay_alu instid0(SALU_CYCLE_1)
	s_xor_b32 s6, s13, s6
	s_mov_b32 exec_lo, s13
	s_cbranch_execz .LBB52_21
; %bb.18:                               ;   in Loop: Header=BB52_3 Depth=1
	v_readlane_b32 s23, v85, 16
	s_and_saveexec_b32 s13, s23
; %bb.19:                               ;   in Loop: Header=BB52_3 Depth=1
	ds_store_b64 v69, v[28:29]
; %bb.20:                               ;   in Loop: Header=BB52_3 Depth=1
	s_or_b32 exec_lo, exec_lo, s13
.LBB52_21:                              ;   in Loop: Header=BB52_3 Depth=1
	s_and_not1_saveexec_b32 s99, s6
	s_cbranch_execz .LBB52_27
; %bb.22:                               ;   in Loop: Header=BB52_3 Depth=1
	v_lshl_add_u64 v[32:33], v[10:11], 3, s[70:71]
                                        ; implicit-def: $vgpr34_vgpr35
	global_load_b64 v[32:33], v[32:33], off
	s_wait_loadcnt 0x0
	v_cmp_ngt_f32_e64 s6, |v32|, |v33|
	s_wait_xcnt 0x0
	s_and_saveexec_b32 s13, s6
	s_delay_alu instid0(SALU_CYCLE_1)
	s_xor_b32 s6, exec_lo, s13
	s_cbranch_execz .LBB52_24
; %bb.23:                               ;   in Loop: Header=BB52_3 Depth=1
	v_div_scale_f32 v34, null, v33, v33, v32
	v_div_scale_f32 v37, vcc_lo, v32, v33, v32
	s_delay_alu instid0(VALU_DEP_2) | instskip(SKIP_1) | instid1(TRANS32_DEP_1)
	v_rcp_f32_e32 v35, v34
	v_nop
	v_fma_f32 v36, -v34, v35, 1.0
	s_delay_alu instid0(VALU_DEP_1) | instskip(NEXT) | instid1(VALU_DEP_1)
	v_fmac_f32_e32 v35, v36, v35
	v_mul_f32_e32 v36, v37, v35
	s_delay_alu instid0(VALU_DEP_1) | instskip(NEXT) | instid1(VALU_DEP_1)
	v_fma_f32 v75, -v34, v36, v37
	v_fmac_f32_e32 v36, v75, v35
	s_delay_alu instid0(VALU_DEP_1) | instskip(NEXT) | instid1(VALU_DEP_1)
	v_fma_f32 v34, -v34, v36, v37
	v_div_fmas_f32 v34, v34, v35, v36
	s_delay_alu instid0(VALU_DEP_1) | instskip(NEXT) | instid1(VALU_DEP_1)
	v_div_fixup_f32 v34, v34, v33, v32
	v_fmac_f32_e32 v33, v32, v34
	s_delay_alu instid0(VALU_DEP_1) | instskip(SKIP_1) | instid1(VALU_DEP_2)
	v_div_scale_f32 v32, null, v33, v33, 1.0
	v_div_scale_f32 v37, vcc_lo, 1.0, v33, 1.0
	v_rcp_f32_e32 v35, v32
	v_nop
	s_delay_alu instid0(TRANS32_DEP_1) | instskip(NEXT) | instid1(VALU_DEP_1)
	v_fma_f32 v36, -v32, v35, 1.0
	v_fmac_f32_e32 v35, v36, v35
	s_delay_alu instid0(VALU_DEP_1) | instskip(NEXT) | instid1(VALU_DEP_1)
	v_mul_f32_e32 v36, v37, v35
	v_fma_f32 v75, -v32, v36, v37
	s_delay_alu instid0(VALU_DEP_1) | instskip(NEXT) | instid1(VALU_DEP_1)
	v_fmac_f32_e32 v36, v75, v35
	v_fma_f32 v32, -v32, v36, v37
	s_delay_alu instid0(VALU_DEP_1) | instskip(NEXT) | instid1(VALU_DEP_1)
	v_div_fmas_f32 v32, v32, v35, v36
	v_div_fixup_f32 v32, v32, v33, 1.0
	s_delay_alu instid0(VALU_DEP_1)
	v_mul_f32_e32 v34, v34, v32
	v_xor_b32_e32 v35, 0x80000000, v32
                                        ; implicit-def: $vgpr32_vgpr33
.LBB52_24:                              ;   in Loop: Header=BB52_3 Depth=1
	s_and_not1_saveexec_b32 s6, s6
	s_cbranch_execz .LBB52_26
; %bb.25:                               ;   in Loop: Header=BB52_3 Depth=1
	v_div_scale_f32 v34, null, v32, v32, v33
	v_div_scale_f32 v37, vcc_lo, v33, v32, v33
	s_delay_alu instid0(VALU_DEP_2) | instskip(SKIP_1) | instid1(TRANS32_DEP_1)
	v_rcp_f32_e32 v35, v34
	v_nop
	v_fma_f32 v36, -v34, v35, 1.0
	s_delay_alu instid0(VALU_DEP_1) | instskip(NEXT) | instid1(VALU_DEP_1)
	v_fmac_f32_e32 v35, v36, v35
	v_mul_f32_e32 v36, v37, v35
	s_delay_alu instid0(VALU_DEP_1) | instskip(NEXT) | instid1(VALU_DEP_1)
	v_fma_f32 v75, -v34, v36, v37
	v_fmac_f32_e32 v36, v75, v35
	s_delay_alu instid0(VALU_DEP_1) | instskip(NEXT) | instid1(VALU_DEP_1)
	v_fma_f32 v34, -v34, v36, v37
	v_div_fmas_f32 v34, v34, v35, v36
	s_delay_alu instid0(VALU_DEP_1) | instskip(NEXT) | instid1(VALU_DEP_1)
	v_div_fixup_f32 v35, v34, v32, v33
	v_fmac_f32_e32 v32, v33, v35
	s_delay_alu instid0(VALU_DEP_1) | instskip(NEXT) | instid1(VALU_DEP_1)
	v_div_scale_f32 v33, null, v32, v32, 1.0
	v_rcp_f32_e32 v34, v33
	v_nop
	s_delay_alu instid0(TRANS32_DEP_1) | instskip(NEXT) | instid1(VALU_DEP_1)
	v_fma_f32 v36, -v33, v34, 1.0
	v_fmac_f32_e32 v34, v36, v34
	v_div_scale_f32 v36, vcc_lo, 1.0, v32, 1.0
	s_delay_alu instid0(VALU_DEP_1) | instskip(NEXT) | instid1(VALU_DEP_1)
	v_mul_f32_e32 v37, v36, v34
	v_fma_f32 v75, -v33, v37, v36
	s_delay_alu instid0(VALU_DEP_1) | instskip(NEXT) | instid1(VALU_DEP_1)
	v_fmac_f32_e32 v37, v75, v34
	v_fma_f32 v33, -v33, v37, v36
	s_delay_alu instid0(VALU_DEP_1) | instskip(NEXT) | instid1(VALU_DEP_1)
	v_div_fmas_f32 v33, v33, v34, v37
	v_div_fixup_f32 v34, v33, v32, 1.0
	s_delay_alu instid0(VALU_DEP_1)
	v_mul_f32_e64 v35, v35, -v34
.LBB52_26:                              ;   in Loop: Header=BB52_3 Depth=1
	s_or_b32 exec_lo, exec_lo, s6
	ds_store_b64 v69, v[34:35]
.LBB52_27:                              ;   in Loop: Header=BB52_3 Depth=1
	s_or_b32 exec_lo, exec_lo, s99
.LBB52_28:                              ;   in Loop: Header=BB52_3 Depth=1
	s_and_not1_saveexec_b32 s6, s98
	s_cbranch_execz .LBB52_30
; %bb.29:                               ;   in Loop: Header=BB52_3 Depth=1
	v_lshl_add_u64 v[32:33], v[10:11], 3, s[70:71]
	global_load_b64 v[32:33], v[32:33], off
	s_wait_loadcnt 0x0
	v_pk_add_f32 v[32:33], v[32:33], 0 neg_lo:[1,1] neg_hi:[1,1]
	ds_store_b64 v69, v[32:33]
.LBB52_30:                              ;   in Loop: Header=BB52_3 Depth=1
	s_or_b32 exec_lo, exec_lo, s6
	s_delay_alu instid0(SALU_CYCLE_1) | instskip(SKIP_2) | instid1(SALU_CYCLE_1)
	s_mov_b32 s6, exec_lo
	v_readlane_b32 s13, v86, 18
	s_and_b32 s13, s6, s13
	s_xor_b32 s98, s13, s6
	s_mov_b32 exec_lo, s13
	s_cbranch_execz .LBB52_42
; %bb.31:                               ;   in Loop: Header=BB52_3 Depth=1
	s_mov_b32 s6, exec_lo
	v_readlane_b32 s13, v86, 26
	s_and_b32 s13, s6, s13
	s_delay_alu instid0(SALU_CYCLE_1)
	s_xor_b32 s6, s13, s6
	s_mov_b32 exec_lo, s13
	s_cbranch_execz .LBB52_35
; %bb.32:                               ;   in Loop: Header=BB52_3 Depth=1
	v_readlane_b32 s23, v85, 17
	s_and_saveexec_b32 s13, s23
; %bb.33:                               ;   in Loop: Header=BB52_3 Depth=1
	ds_store_b64 v63, v[28:29]
; %bb.34:                               ;   in Loop: Header=BB52_3 Depth=1
	s_or_b32 exec_lo, exec_lo, s13
.LBB52_35:                              ;   in Loop: Header=BB52_3 Depth=1
	s_and_not1_saveexec_b32 s99, s6
	s_cbranch_execz .LBB52_41
; %bb.36:                               ;   in Loop: Header=BB52_3 Depth=1
	v_lshl_add_u64 v[32:33], v[12:13], 3, s[70:71]
                                        ; implicit-def: $vgpr34_vgpr35
	global_load_b64 v[32:33], v[32:33], off
	s_wait_loadcnt 0x0
	v_cmp_ngt_f32_e64 s6, |v32|, |v33|
	s_wait_xcnt 0x0
	s_and_saveexec_b32 s13, s6
	s_delay_alu instid0(SALU_CYCLE_1)
	s_xor_b32 s6, exec_lo, s13
	s_cbranch_execz .LBB52_38
; %bb.37:                               ;   in Loop: Header=BB52_3 Depth=1
	v_div_scale_f32 v34, null, v33, v33, v32
	v_div_scale_f32 v37, vcc_lo, v32, v33, v32
	s_delay_alu instid0(VALU_DEP_2) | instskip(SKIP_1) | instid1(TRANS32_DEP_1)
	v_rcp_f32_e32 v35, v34
	v_nop
	v_fma_f32 v36, -v34, v35, 1.0
	s_delay_alu instid0(VALU_DEP_1) | instskip(NEXT) | instid1(VALU_DEP_1)
	v_fmac_f32_e32 v35, v36, v35
	v_mul_f32_e32 v36, v37, v35
	s_delay_alu instid0(VALU_DEP_1) | instskip(NEXT) | instid1(VALU_DEP_1)
	v_fma_f32 v75, -v34, v36, v37
	v_fmac_f32_e32 v36, v75, v35
	s_delay_alu instid0(VALU_DEP_1) | instskip(NEXT) | instid1(VALU_DEP_1)
	v_fma_f32 v34, -v34, v36, v37
	v_div_fmas_f32 v34, v34, v35, v36
	s_delay_alu instid0(VALU_DEP_1) | instskip(NEXT) | instid1(VALU_DEP_1)
	v_div_fixup_f32 v34, v34, v33, v32
	v_fmac_f32_e32 v33, v32, v34
	s_delay_alu instid0(VALU_DEP_1) | instskip(SKIP_1) | instid1(VALU_DEP_2)
	v_div_scale_f32 v32, null, v33, v33, 1.0
	v_div_scale_f32 v37, vcc_lo, 1.0, v33, 1.0
	v_rcp_f32_e32 v35, v32
	v_nop
	s_delay_alu instid0(TRANS32_DEP_1) | instskip(NEXT) | instid1(VALU_DEP_1)
	v_fma_f32 v36, -v32, v35, 1.0
	v_fmac_f32_e32 v35, v36, v35
	s_delay_alu instid0(VALU_DEP_1) | instskip(NEXT) | instid1(VALU_DEP_1)
	v_mul_f32_e32 v36, v37, v35
	v_fma_f32 v75, -v32, v36, v37
	s_delay_alu instid0(VALU_DEP_1) | instskip(NEXT) | instid1(VALU_DEP_1)
	v_fmac_f32_e32 v36, v75, v35
	v_fma_f32 v32, -v32, v36, v37
	s_delay_alu instid0(VALU_DEP_1) | instskip(NEXT) | instid1(VALU_DEP_1)
	v_div_fmas_f32 v32, v32, v35, v36
	v_div_fixup_f32 v32, v32, v33, 1.0
	s_delay_alu instid0(VALU_DEP_1)
	v_mul_f32_e32 v34, v34, v32
	v_xor_b32_e32 v35, 0x80000000, v32
                                        ; implicit-def: $vgpr32_vgpr33
.LBB52_38:                              ;   in Loop: Header=BB52_3 Depth=1
	s_and_not1_saveexec_b32 s6, s6
	s_cbranch_execz .LBB52_40
; %bb.39:                               ;   in Loop: Header=BB52_3 Depth=1
	v_div_scale_f32 v34, null, v32, v32, v33
	v_div_scale_f32 v37, vcc_lo, v33, v32, v33
	s_delay_alu instid0(VALU_DEP_2) | instskip(SKIP_1) | instid1(TRANS32_DEP_1)
	v_rcp_f32_e32 v35, v34
	v_nop
	v_fma_f32 v36, -v34, v35, 1.0
	s_delay_alu instid0(VALU_DEP_1) | instskip(NEXT) | instid1(VALU_DEP_1)
	v_fmac_f32_e32 v35, v36, v35
	v_mul_f32_e32 v36, v37, v35
	s_delay_alu instid0(VALU_DEP_1) | instskip(NEXT) | instid1(VALU_DEP_1)
	v_fma_f32 v75, -v34, v36, v37
	v_fmac_f32_e32 v36, v75, v35
	s_delay_alu instid0(VALU_DEP_1) | instskip(NEXT) | instid1(VALU_DEP_1)
	v_fma_f32 v34, -v34, v36, v37
	v_div_fmas_f32 v34, v34, v35, v36
	s_delay_alu instid0(VALU_DEP_1) | instskip(NEXT) | instid1(VALU_DEP_1)
	v_div_fixup_f32 v35, v34, v32, v33
	v_fmac_f32_e32 v32, v33, v35
	s_delay_alu instid0(VALU_DEP_1) | instskip(NEXT) | instid1(VALU_DEP_1)
	v_div_scale_f32 v33, null, v32, v32, 1.0
	v_rcp_f32_e32 v34, v33
	v_nop
	s_delay_alu instid0(TRANS32_DEP_1) | instskip(NEXT) | instid1(VALU_DEP_1)
	v_fma_f32 v36, -v33, v34, 1.0
	v_fmac_f32_e32 v34, v36, v34
	v_div_scale_f32 v36, vcc_lo, 1.0, v32, 1.0
	s_delay_alu instid0(VALU_DEP_1) | instskip(NEXT) | instid1(VALU_DEP_1)
	v_mul_f32_e32 v37, v36, v34
	v_fma_f32 v75, -v33, v37, v36
	s_delay_alu instid0(VALU_DEP_1) | instskip(NEXT) | instid1(VALU_DEP_1)
	v_fmac_f32_e32 v37, v75, v34
	v_fma_f32 v33, -v33, v37, v36
	s_delay_alu instid0(VALU_DEP_1) | instskip(NEXT) | instid1(VALU_DEP_1)
	v_div_fmas_f32 v33, v33, v34, v37
	v_div_fixup_f32 v34, v33, v32, 1.0
	s_delay_alu instid0(VALU_DEP_1)
	v_mul_f32_e64 v35, v35, -v34
.LBB52_40:                              ;   in Loop: Header=BB52_3 Depth=1
	s_or_b32 exec_lo, exec_lo, s6
	ds_store_b64 v63, v[34:35]
.LBB52_41:                              ;   in Loop: Header=BB52_3 Depth=1
	s_or_b32 exec_lo, exec_lo, s99
.LBB52_42:                              ;   in Loop: Header=BB52_3 Depth=1
	s_and_not1_saveexec_b32 s6, s98
	s_cbranch_execz .LBB52_44
; %bb.43:                               ;   in Loop: Header=BB52_3 Depth=1
	v_lshl_add_u64 v[32:33], v[12:13], 3, s[70:71]
	global_load_b64 v[32:33], v[32:33], off
	s_wait_loadcnt 0x0
	v_pk_add_f32 v[32:33], v[32:33], 0 neg_lo:[1,1] neg_hi:[1,1]
	ds_store_b64 v63, v[32:33]
.LBB52_44:                              ;   in Loop: Header=BB52_3 Depth=1
	s_or_b32 exec_lo, exec_lo, s6
	s_delay_alu instid0(SALU_CYCLE_1) | instskip(SKIP_2) | instid1(SALU_CYCLE_1)
	s_mov_b32 s6, exec_lo
	v_readlane_b32 s13, v86, 20
	s_and_b32 s13, s6, s13
	s_xor_b32 s98, s13, s6
	s_mov_b32 exec_lo, s13
	s_cbranch_execz .LBB52_56
; %bb.45:                               ;   in Loop: Header=BB52_3 Depth=1
	s_mov_b32 s6, exec_lo
	v_readlane_b32 s13, v86, 28
	s_and_b32 s13, s6, s13
	s_delay_alu instid0(SALU_CYCLE_1)
	s_xor_b32 s6, s13, s6
	s_mov_b32 exec_lo, s13
	s_cbranch_execz .LBB52_49
; %bb.46:                               ;   in Loop: Header=BB52_3 Depth=1
	v_readlane_b32 s23, v85, 18
	s_and_saveexec_b32 s13, s23
; %bb.47:                               ;   in Loop: Header=BB52_3 Depth=1
	ds_store_b64 v64, v[28:29]
; %bb.48:                               ;   in Loop: Header=BB52_3 Depth=1
	s_or_b32 exec_lo, exec_lo, s13
.LBB52_49:                              ;   in Loop: Header=BB52_3 Depth=1
	s_and_not1_saveexec_b32 s99, s6
	s_cbranch_execz .LBB52_55
; %bb.50:                               ;   in Loop: Header=BB52_3 Depth=1
	v_lshl_add_u64 v[32:33], v[14:15], 3, s[70:71]
                                        ; implicit-def: $vgpr34_vgpr35
	global_load_b64 v[32:33], v[32:33], off
	s_wait_loadcnt 0x0
	v_cmp_ngt_f32_e64 s6, |v32|, |v33|
	s_wait_xcnt 0x0
	s_and_saveexec_b32 s13, s6
	s_delay_alu instid0(SALU_CYCLE_1)
	s_xor_b32 s6, exec_lo, s13
	s_cbranch_execz .LBB52_52
; %bb.51:                               ;   in Loop: Header=BB52_3 Depth=1
	v_div_scale_f32 v34, null, v33, v33, v32
	v_div_scale_f32 v37, vcc_lo, v32, v33, v32
	s_delay_alu instid0(VALU_DEP_2) | instskip(SKIP_1) | instid1(TRANS32_DEP_1)
	v_rcp_f32_e32 v35, v34
	v_nop
	v_fma_f32 v36, -v34, v35, 1.0
	s_delay_alu instid0(VALU_DEP_1) | instskip(NEXT) | instid1(VALU_DEP_1)
	v_fmac_f32_e32 v35, v36, v35
	v_mul_f32_e32 v36, v37, v35
	s_delay_alu instid0(VALU_DEP_1) | instskip(NEXT) | instid1(VALU_DEP_1)
	v_fma_f32 v75, -v34, v36, v37
	v_fmac_f32_e32 v36, v75, v35
	s_delay_alu instid0(VALU_DEP_1) | instskip(NEXT) | instid1(VALU_DEP_1)
	v_fma_f32 v34, -v34, v36, v37
	v_div_fmas_f32 v34, v34, v35, v36
	s_delay_alu instid0(VALU_DEP_1) | instskip(NEXT) | instid1(VALU_DEP_1)
	v_div_fixup_f32 v34, v34, v33, v32
	v_fmac_f32_e32 v33, v32, v34
	s_delay_alu instid0(VALU_DEP_1) | instskip(SKIP_1) | instid1(VALU_DEP_2)
	v_div_scale_f32 v32, null, v33, v33, 1.0
	v_div_scale_f32 v37, vcc_lo, 1.0, v33, 1.0
	v_rcp_f32_e32 v35, v32
	v_nop
	s_delay_alu instid0(TRANS32_DEP_1) | instskip(NEXT) | instid1(VALU_DEP_1)
	v_fma_f32 v36, -v32, v35, 1.0
	v_fmac_f32_e32 v35, v36, v35
	s_delay_alu instid0(VALU_DEP_1) | instskip(NEXT) | instid1(VALU_DEP_1)
	v_mul_f32_e32 v36, v37, v35
	v_fma_f32 v75, -v32, v36, v37
	s_delay_alu instid0(VALU_DEP_1) | instskip(NEXT) | instid1(VALU_DEP_1)
	v_fmac_f32_e32 v36, v75, v35
	v_fma_f32 v32, -v32, v36, v37
	s_delay_alu instid0(VALU_DEP_1) | instskip(NEXT) | instid1(VALU_DEP_1)
	v_div_fmas_f32 v32, v32, v35, v36
	v_div_fixup_f32 v32, v32, v33, 1.0
	s_delay_alu instid0(VALU_DEP_1)
	v_mul_f32_e32 v34, v34, v32
	v_xor_b32_e32 v35, 0x80000000, v32
                                        ; implicit-def: $vgpr32_vgpr33
.LBB52_52:                              ;   in Loop: Header=BB52_3 Depth=1
	s_and_not1_saveexec_b32 s6, s6
	s_cbranch_execz .LBB52_54
; %bb.53:                               ;   in Loop: Header=BB52_3 Depth=1
	v_div_scale_f32 v34, null, v32, v32, v33
	v_div_scale_f32 v37, vcc_lo, v33, v32, v33
	s_delay_alu instid0(VALU_DEP_2) | instskip(SKIP_1) | instid1(TRANS32_DEP_1)
	v_rcp_f32_e32 v35, v34
	v_nop
	v_fma_f32 v36, -v34, v35, 1.0
	s_delay_alu instid0(VALU_DEP_1) | instskip(NEXT) | instid1(VALU_DEP_1)
	v_fmac_f32_e32 v35, v36, v35
	v_mul_f32_e32 v36, v37, v35
	s_delay_alu instid0(VALU_DEP_1) | instskip(NEXT) | instid1(VALU_DEP_1)
	v_fma_f32 v75, -v34, v36, v37
	v_fmac_f32_e32 v36, v75, v35
	s_delay_alu instid0(VALU_DEP_1) | instskip(NEXT) | instid1(VALU_DEP_1)
	v_fma_f32 v34, -v34, v36, v37
	v_div_fmas_f32 v34, v34, v35, v36
	s_delay_alu instid0(VALU_DEP_1) | instskip(NEXT) | instid1(VALU_DEP_1)
	v_div_fixup_f32 v35, v34, v32, v33
	v_fmac_f32_e32 v32, v33, v35
	s_delay_alu instid0(VALU_DEP_1) | instskip(NEXT) | instid1(VALU_DEP_1)
	v_div_scale_f32 v33, null, v32, v32, 1.0
	v_rcp_f32_e32 v34, v33
	v_nop
	s_delay_alu instid0(TRANS32_DEP_1) | instskip(NEXT) | instid1(VALU_DEP_1)
	v_fma_f32 v36, -v33, v34, 1.0
	v_fmac_f32_e32 v34, v36, v34
	v_div_scale_f32 v36, vcc_lo, 1.0, v32, 1.0
	s_delay_alu instid0(VALU_DEP_1) | instskip(NEXT) | instid1(VALU_DEP_1)
	v_mul_f32_e32 v37, v36, v34
	v_fma_f32 v75, -v33, v37, v36
	s_delay_alu instid0(VALU_DEP_1) | instskip(NEXT) | instid1(VALU_DEP_1)
	v_fmac_f32_e32 v37, v75, v34
	v_fma_f32 v33, -v33, v37, v36
	s_delay_alu instid0(VALU_DEP_1) | instskip(NEXT) | instid1(VALU_DEP_1)
	v_div_fmas_f32 v33, v33, v34, v37
	v_div_fixup_f32 v34, v33, v32, 1.0
	s_delay_alu instid0(VALU_DEP_1)
	v_mul_f32_e64 v35, v35, -v34
.LBB52_54:                              ;   in Loop: Header=BB52_3 Depth=1
	s_or_b32 exec_lo, exec_lo, s6
	ds_store_b64 v64, v[34:35]
.LBB52_55:                              ;   in Loop: Header=BB52_3 Depth=1
	s_or_b32 exec_lo, exec_lo, s99
.LBB52_56:                              ;   in Loop: Header=BB52_3 Depth=1
	s_and_not1_saveexec_b32 s6, s98
	s_cbranch_execz .LBB52_58
; %bb.57:                               ;   in Loop: Header=BB52_3 Depth=1
	v_lshl_add_u64 v[32:33], v[14:15], 3, s[70:71]
	global_load_b64 v[32:33], v[32:33], off
	s_wait_loadcnt 0x0
	v_pk_add_f32 v[32:33], v[32:33], 0 neg_lo:[1,1] neg_hi:[1,1]
	ds_store_b64 v64, v[32:33]
.LBB52_58:                              ;   in Loop: Header=BB52_3 Depth=1
	s_or_b32 exec_lo, exec_lo, s6
	s_delay_alu instid0(SALU_CYCLE_1) | instskip(SKIP_2) | instid1(SALU_CYCLE_1)
	s_mov_b32 s6, exec_lo
	v_readlane_b32 s13, v86, 22
	s_and_b32 s13, s6, s13
	s_xor_b32 s98, s13, s6
	s_mov_b32 exec_lo, s13
	s_cbranch_execz .LBB52_70
; %bb.59:                               ;   in Loop: Header=BB52_3 Depth=1
	s_mov_b32 s6, exec_lo
	v_readlane_b32 s13, v86, 30
	s_and_b32 s13, s6, s13
	s_delay_alu instid0(SALU_CYCLE_1)
	s_xor_b32 s6, s13, s6
	s_mov_b32 exec_lo, s13
	s_cbranch_execz .LBB52_63
; %bb.60:                               ;   in Loop: Header=BB52_3 Depth=1
	v_readlane_b32 s23, v85, 19
	s_and_saveexec_b32 s13, s23
; %bb.61:                               ;   in Loop: Header=BB52_3 Depth=1
	ds_store_b64 v72, v[28:29]
; %bb.62:                               ;   in Loop: Header=BB52_3 Depth=1
	s_or_b32 exec_lo, exec_lo, s13
.LBB52_63:                              ;   in Loop: Header=BB52_3 Depth=1
	s_and_not1_saveexec_b32 s99, s6
	s_cbranch_execz .LBB52_69
; %bb.64:                               ;   in Loop: Header=BB52_3 Depth=1
	v_lshl_add_u64 v[32:33], v[16:17], 3, s[70:71]
                                        ; implicit-def: $vgpr34_vgpr35
	global_load_b64 v[32:33], v[32:33], off
	s_wait_loadcnt 0x0
	v_cmp_ngt_f32_e64 s6, |v32|, |v33|
	s_wait_xcnt 0x0
	s_and_saveexec_b32 s13, s6
	s_delay_alu instid0(SALU_CYCLE_1)
	s_xor_b32 s6, exec_lo, s13
	s_cbranch_execz .LBB52_66
; %bb.65:                               ;   in Loop: Header=BB52_3 Depth=1
	v_div_scale_f32 v34, null, v33, v33, v32
	v_div_scale_f32 v37, vcc_lo, v32, v33, v32
	s_delay_alu instid0(VALU_DEP_2) | instskip(SKIP_1) | instid1(TRANS32_DEP_1)
	v_rcp_f32_e32 v35, v34
	v_nop
	v_fma_f32 v36, -v34, v35, 1.0
	s_delay_alu instid0(VALU_DEP_1) | instskip(NEXT) | instid1(VALU_DEP_1)
	v_fmac_f32_e32 v35, v36, v35
	v_mul_f32_e32 v36, v37, v35
	s_delay_alu instid0(VALU_DEP_1) | instskip(NEXT) | instid1(VALU_DEP_1)
	v_fma_f32 v75, -v34, v36, v37
	v_fmac_f32_e32 v36, v75, v35
	s_delay_alu instid0(VALU_DEP_1) | instskip(NEXT) | instid1(VALU_DEP_1)
	v_fma_f32 v34, -v34, v36, v37
	v_div_fmas_f32 v34, v34, v35, v36
	s_delay_alu instid0(VALU_DEP_1) | instskip(NEXT) | instid1(VALU_DEP_1)
	v_div_fixup_f32 v34, v34, v33, v32
	v_fmac_f32_e32 v33, v32, v34
	s_delay_alu instid0(VALU_DEP_1) | instskip(SKIP_1) | instid1(VALU_DEP_2)
	v_div_scale_f32 v32, null, v33, v33, 1.0
	v_div_scale_f32 v37, vcc_lo, 1.0, v33, 1.0
	v_rcp_f32_e32 v35, v32
	v_nop
	s_delay_alu instid0(TRANS32_DEP_1) | instskip(NEXT) | instid1(VALU_DEP_1)
	v_fma_f32 v36, -v32, v35, 1.0
	v_fmac_f32_e32 v35, v36, v35
	s_delay_alu instid0(VALU_DEP_1) | instskip(NEXT) | instid1(VALU_DEP_1)
	v_mul_f32_e32 v36, v37, v35
	v_fma_f32 v75, -v32, v36, v37
	s_delay_alu instid0(VALU_DEP_1) | instskip(NEXT) | instid1(VALU_DEP_1)
	v_fmac_f32_e32 v36, v75, v35
	v_fma_f32 v32, -v32, v36, v37
	s_delay_alu instid0(VALU_DEP_1) | instskip(NEXT) | instid1(VALU_DEP_1)
	v_div_fmas_f32 v32, v32, v35, v36
	v_div_fixup_f32 v32, v32, v33, 1.0
	s_delay_alu instid0(VALU_DEP_1)
	v_mul_f32_e32 v34, v34, v32
	v_xor_b32_e32 v35, 0x80000000, v32
                                        ; implicit-def: $vgpr32_vgpr33
.LBB52_66:                              ;   in Loop: Header=BB52_3 Depth=1
	s_and_not1_saveexec_b32 s6, s6
	s_cbranch_execz .LBB52_68
; %bb.67:                               ;   in Loop: Header=BB52_3 Depth=1
	v_div_scale_f32 v34, null, v32, v32, v33
	v_div_scale_f32 v37, vcc_lo, v33, v32, v33
	s_delay_alu instid0(VALU_DEP_2) | instskip(SKIP_1) | instid1(TRANS32_DEP_1)
	v_rcp_f32_e32 v35, v34
	v_nop
	v_fma_f32 v36, -v34, v35, 1.0
	s_delay_alu instid0(VALU_DEP_1) | instskip(NEXT) | instid1(VALU_DEP_1)
	v_fmac_f32_e32 v35, v36, v35
	v_mul_f32_e32 v36, v37, v35
	s_delay_alu instid0(VALU_DEP_1) | instskip(NEXT) | instid1(VALU_DEP_1)
	v_fma_f32 v75, -v34, v36, v37
	v_fmac_f32_e32 v36, v75, v35
	s_delay_alu instid0(VALU_DEP_1) | instskip(NEXT) | instid1(VALU_DEP_1)
	v_fma_f32 v34, -v34, v36, v37
	v_div_fmas_f32 v34, v34, v35, v36
	s_delay_alu instid0(VALU_DEP_1) | instskip(NEXT) | instid1(VALU_DEP_1)
	v_div_fixup_f32 v35, v34, v32, v33
	v_fmac_f32_e32 v32, v33, v35
	s_delay_alu instid0(VALU_DEP_1) | instskip(NEXT) | instid1(VALU_DEP_1)
	v_div_scale_f32 v33, null, v32, v32, 1.0
	v_rcp_f32_e32 v34, v33
	v_nop
	s_delay_alu instid0(TRANS32_DEP_1) | instskip(NEXT) | instid1(VALU_DEP_1)
	v_fma_f32 v36, -v33, v34, 1.0
	v_fmac_f32_e32 v34, v36, v34
	v_div_scale_f32 v36, vcc_lo, 1.0, v32, 1.0
	s_delay_alu instid0(VALU_DEP_1) | instskip(NEXT) | instid1(VALU_DEP_1)
	v_mul_f32_e32 v37, v36, v34
	v_fma_f32 v75, -v33, v37, v36
	s_delay_alu instid0(VALU_DEP_1) | instskip(NEXT) | instid1(VALU_DEP_1)
	v_fmac_f32_e32 v37, v75, v34
	v_fma_f32 v33, -v33, v37, v36
	s_delay_alu instid0(VALU_DEP_1) | instskip(NEXT) | instid1(VALU_DEP_1)
	v_div_fmas_f32 v33, v33, v34, v37
	v_div_fixup_f32 v34, v33, v32, 1.0
	s_delay_alu instid0(VALU_DEP_1)
	v_mul_f32_e64 v35, v35, -v34
.LBB52_68:                              ;   in Loop: Header=BB52_3 Depth=1
	s_or_b32 exec_lo, exec_lo, s6
	ds_store_b64 v72, v[34:35]
.LBB52_69:                              ;   in Loop: Header=BB52_3 Depth=1
	s_or_b32 exec_lo, exec_lo, s99
.LBB52_70:                              ;   in Loop: Header=BB52_3 Depth=1
	s_and_not1_saveexec_b32 s6, s98
	s_cbranch_execz .LBB52_72
; %bb.71:                               ;   in Loop: Header=BB52_3 Depth=1
	v_lshl_add_u64 v[32:33], v[16:17], 3, s[70:71]
	global_load_b64 v[32:33], v[32:33], off
	s_wait_loadcnt 0x0
	v_pk_add_f32 v[32:33], v[32:33], 0 neg_lo:[1,1] neg_hi:[1,1]
	ds_store_b64 v72, v[32:33]
.LBB52_72:                              ;   in Loop: Header=BB52_3 Depth=1
	s_or_b32 exec_lo, exec_lo, s6
	s_mov_b32 s6, 0
.LBB52_73:                              ;   in Loop: Header=BB52_3 Depth=1
	s_delay_alu instid0(SALU_CYCLE_1)
	s_and_b32 vcc_lo, exec_lo, s6
	s_cbranch_vccz .LBB52_131
; %bb.74:                               ;   in Loop: Header=BB52_3 Depth=1
	s_wait_xcnt 0x0
	s_mov_b32 s6, exec_lo
	v_readlane_b32 s13, v86, 17
	s_and_b32 s13, s6, s13
	s_delay_alu instid0(SALU_CYCLE_1)
	s_xor_b32 s98, s13, s6
	s_mov_b32 exec_lo, s13
	s_cbranch_execz .LBB52_86
; %bb.75:                               ;   in Loop: Header=BB52_3 Depth=1
	s_mov_b32 s6, exec_lo
	v_readlane_b32 s13, v86, 25
	s_and_b32 s13, s6, s13
	s_delay_alu instid0(SALU_CYCLE_1)
	s_xor_b32 s6, s13, s6
	s_mov_b32 exec_lo, s13
	s_cbranch_execz .LBB52_79
; %bb.76:                               ;   in Loop: Header=BB52_3 Depth=1
	v_readlane_b32 s23, v85, 16
	s_and_saveexec_b32 s13, s23
; %bb.77:                               ;   in Loop: Header=BB52_3 Depth=1
	ds_store_b64 v69, v[28:29]
; %bb.78:                               ;   in Loop: Header=BB52_3 Depth=1
	s_or_b32 exec_lo, exec_lo, s13
.LBB52_79:                              ;   in Loop: Header=BB52_3 Depth=1
	s_and_not1_saveexec_b32 s99, s6
	s_cbranch_execz .LBB52_85
; %bb.80:                               ;   in Loop: Header=BB52_3 Depth=1
	v_lshl_add_u64 v[32:33], v[10:11], 3, s[70:71]
                                        ; implicit-def: $vgpr34_vgpr35
	global_load_b64 v[32:33], v[32:33], off
	s_wait_loadcnt 0x0
	v_cmp_ngt_f32_e64 s6, |v32|, |v33|
	s_wait_xcnt 0x0
	s_and_saveexec_b32 s13, s6
	s_delay_alu instid0(SALU_CYCLE_1)
	s_xor_b32 s6, exec_lo, s13
	s_cbranch_execz .LBB52_82
; %bb.81:                               ;   in Loop: Header=BB52_3 Depth=1
	v_div_scale_f32 v34, null, v33, v33, v32
	v_div_scale_f32 v37, vcc_lo, v32, v33, v32
	s_delay_alu instid0(VALU_DEP_2) | instskip(SKIP_1) | instid1(TRANS32_DEP_1)
	v_rcp_f32_e32 v35, v34
	v_nop
	v_fma_f32 v36, -v34, v35, 1.0
	s_delay_alu instid0(VALU_DEP_1) | instskip(NEXT) | instid1(VALU_DEP_1)
	v_fmac_f32_e32 v35, v36, v35
	v_mul_f32_e32 v36, v37, v35
	s_delay_alu instid0(VALU_DEP_1) | instskip(NEXT) | instid1(VALU_DEP_1)
	v_fma_f32 v75, -v34, v36, v37
	v_fmac_f32_e32 v36, v75, v35
	s_delay_alu instid0(VALU_DEP_1) | instskip(NEXT) | instid1(VALU_DEP_1)
	v_fma_f32 v34, -v34, v36, v37
	v_div_fmas_f32 v34, v34, v35, v36
	s_delay_alu instid0(VALU_DEP_1) | instskip(NEXT) | instid1(VALU_DEP_1)
	v_div_fixup_f32 v34, v34, v33, v32
	v_fmac_f32_e32 v33, v32, v34
	s_delay_alu instid0(VALU_DEP_1) | instskip(SKIP_1) | instid1(VALU_DEP_2)
	v_div_scale_f32 v32, null, v33, v33, 1.0
	v_div_scale_f32 v37, vcc_lo, 1.0, v33, 1.0
	v_rcp_f32_e32 v35, v32
	v_nop
	s_delay_alu instid0(TRANS32_DEP_1) | instskip(NEXT) | instid1(VALU_DEP_1)
	v_fma_f32 v36, -v32, v35, 1.0
	v_fmac_f32_e32 v35, v36, v35
	s_delay_alu instid0(VALU_DEP_1) | instskip(NEXT) | instid1(VALU_DEP_1)
	v_mul_f32_e32 v36, v37, v35
	v_fma_f32 v75, -v32, v36, v37
	s_delay_alu instid0(VALU_DEP_1) | instskip(NEXT) | instid1(VALU_DEP_1)
	v_fmac_f32_e32 v36, v75, v35
	v_fma_f32 v32, -v32, v36, v37
	s_delay_alu instid0(VALU_DEP_1) | instskip(NEXT) | instid1(VALU_DEP_1)
	v_div_fmas_f32 v32, v32, v35, v36
	v_div_fixup_f32 v32, v32, v33, 1.0
	s_delay_alu instid0(VALU_DEP_1)
	v_mul_f32_e32 v34, v34, v32
	v_xor_b32_e32 v35, 0x80000000, v32
                                        ; implicit-def: $vgpr32_vgpr33
.LBB52_82:                              ;   in Loop: Header=BB52_3 Depth=1
	s_and_not1_saveexec_b32 s6, s6
	s_cbranch_execz .LBB52_84
; %bb.83:                               ;   in Loop: Header=BB52_3 Depth=1
	v_div_scale_f32 v34, null, v32, v32, v33
	v_div_scale_f32 v37, vcc_lo, v33, v32, v33
	s_delay_alu instid0(VALU_DEP_2) | instskip(SKIP_1) | instid1(TRANS32_DEP_1)
	v_rcp_f32_e32 v35, v34
	v_nop
	v_fma_f32 v36, -v34, v35, 1.0
	s_delay_alu instid0(VALU_DEP_1) | instskip(NEXT) | instid1(VALU_DEP_1)
	v_fmac_f32_e32 v35, v36, v35
	v_mul_f32_e32 v36, v37, v35
	s_delay_alu instid0(VALU_DEP_1) | instskip(NEXT) | instid1(VALU_DEP_1)
	v_fma_f32 v75, -v34, v36, v37
	v_fmac_f32_e32 v36, v75, v35
	s_delay_alu instid0(VALU_DEP_1) | instskip(NEXT) | instid1(VALU_DEP_1)
	v_fma_f32 v34, -v34, v36, v37
	v_div_fmas_f32 v34, v34, v35, v36
	s_delay_alu instid0(VALU_DEP_1) | instskip(NEXT) | instid1(VALU_DEP_1)
	v_div_fixup_f32 v35, v34, v32, v33
	v_fmac_f32_e32 v32, v33, v35
	s_delay_alu instid0(VALU_DEP_1) | instskip(NEXT) | instid1(VALU_DEP_1)
	v_div_scale_f32 v33, null, v32, v32, 1.0
	v_rcp_f32_e32 v34, v33
	v_nop
	s_delay_alu instid0(TRANS32_DEP_1) | instskip(NEXT) | instid1(VALU_DEP_1)
	v_fma_f32 v36, -v33, v34, 1.0
	v_fmac_f32_e32 v34, v36, v34
	v_div_scale_f32 v36, vcc_lo, 1.0, v32, 1.0
	s_delay_alu instid0(VALU_DEP_1) | instskip(NEXT) | instid1(VALU_DEP_1)
	v_mul_f32_e32 v37, v36, v34
	v_fma_f32 v75, -v33, v37, v36
	s_delay_alu instid0(VALU_DEP_1) | instskip(NEXT) | instid1(VALU_DEP_1)
	v_fmac_f32_e32 v37, v75, v34
	v_fma_f32 v33, -v33, v37, v36
	s_delay_alu instid0(VALU_DEP_1) | instskip(NEXT) | instid1(VALU_DEP_1)
	v_div_fmas_f32 v33, v33, v34, v37
	v_div_fixup_f32 v34, v33, v32, 1.0
	s_delay_alu instid0(VALU_DEP_1)
	v_mul_f32_e64 v35, v35, -v34
.LBB52_84:                              ;   in Loop: Header=BB52_3 Depth=1
	s_or_b32 exec_lo, exec_lo, s6
	ds_store_b64 v69, v[34:35]
.LBB52_85:                              ;   in Loop: Header=BB52_3 Depth=1
	s_or_b32 exec_lo, exec_lo, s99
.LBB52_86:                              ;   in Loop: Header=BB52_3 Depth=1
	s_and_not1_saveexec_b32 s6, s98
	s_cbranch_execz .LBB52_88
; %bb.87:                               ;   in Loop: Header=BB52_3 Depth=1
	v_lshl_add_u64 v[32:33], v[10:11], 3, s[70:71]
	global_load_b64 v[32:33], v[32:33], off
	s_wait_loadcnt 0x0
	v_pk_add_f32 v[32:33], v[32:33], 0 neg_lo:[1,1] neg_hi:[1,1]
	ds_store_b64 v69, v[32:33]
.LBB52_88:                              ;   in Loop: Header=BB52_3 Depth=1
	s_or_b32 exec_lo, exec_lo, s6
	s_delay_alu instid0(SALU_CYCLE_1) | instskip(SKIP_2) | instid1(SALU_CYCLE_1)
	s_mov_b32 s6, exec_lo
	v_readlane_b32 s13, v86, 19
	s_and_b32 s13, s6, s13
	s_xor_b32 s98, s13, s6
	s_mov_b32 exec_lo, s13
	s_cbranch_execz .LBB52_100
; %bb.89:                               ;   in Loop: Header=BB52_3 Depth=1
	s_mov_b32 s6, exec_lo
	v_readlane_b32 s13, v86, 27
	s_and_b32 s13, s6, s13
	s_delay_alu instid0(SALU_CYCLE_1)
	s_xor_b32 s6, s13, s6
	s_mov_b32 exec_lo, s13
	s_cbranch_execz .LBB52_93
; %bb.90:                               ;   in Loop: Header=BB52_3 Depth=1
	v_readlane_b32 s23, v85, 17
	s_and_saveexec_b32 s13, s23
; %bb.91:                               ;   in Loop: Header=BB52_3 Depth=1
	ds_store_b64 v63, v[28:29]
; %bb.92:                               ;   in Loop: Header=BB52_3 Depth=1
	s_or_b32 exec_lo, exec_lo, s13
.LBB52_93:                              ;   in Loop: Header=BB52_3 Depth=1
	s_and_not1_saveexec_b32 s99, s6
	s_cbranch_execz .LBB52_99
; %bb.94:                               ;   in Loop: Header=BB52_3 Depth=1
	v_lshl_add_u64 v[32:33], v[12:13], 3, s[70:71]
                                        ; implicit-def: $vgpr34_vgpr35
	global_load_b64 v[32:33], v[32:33], off
	s_wait_loadcnt 0x0
	v_cmp_ngt_f32_e64 s6, |v32|, |v33|
	s_wait_xcnt 0x0
	s_and_saveexec_b32 s13, s6
	s_delay_alu instid0(SALU_CYCLE_1)
	s_xor_b32 s6, exec_lo, s13
	s_cbranch_execz .LBB52_96
; %bb.95:                               ;   in Loop: Header=BB52_3 Depth=1
	v_div_scale_f32 v34, null, v33, v33, v32
	v_div_scale_f32 v37, vcc_lo, v32, v33, v32
	s_delay_alu instid0(VALU_DEP_2) | instskip(SKIP_1) | instid1(TRANS32_DEP_1)
	v_rcp_f32_e32 v35, v34
	v_nop
	v_fma_f32 v36, -v34, v35, 1.0
	s_delay_alu instid0(VALU_DEP_1) | instskip(NEXT) | instid1(VALU_DEP_1)
	v_fmac_f32_e32 v35, v36, v35
	v_mul_f32_e32 v36, v37, v35
	s_delay_alu instid0(VALU_DEP_1) | instskip(NEXT) | instid1(VALU_DEP_1)
	v_fma_f32 v75, -v34, v36, v37
	v_fmac_f32_e32 v36, v75, v35
	s_delay_alu instid0(VALU_DEP_1) | instskip(NEXT) | instid1(VALU_DEP_1)
	v_fma_f32 v34, -v34, v36, v37
	v_div_fmas_f32 v34, v34, v35, v36
	s_delay_alu instid0(VALU_DEP_1) | instskip(NEXT) | instid1(VALU_DEP_1)
	v_div_fixup_f32 v34, v34, v33, v32
	v_fmac_f32_e32 v33, v32, v34
	s_delay_alu instid0(VALU_DEP_1) | instskip(SKIP_1) | instid1(VALU_DEP_2)
	v_div_scale_f32 v32, null, v33, v33, 1.0
	v_div_scale_f32 v37, vcc_lo, 1.0, v33, 1.0
	v_rcp_f32_e32 v35, v32
	v_nop
	s_delay_alu instid0(TRANS32_DEP_1) | instskip(NEXT) | instid1(VALU_DEP_1)
	v_fma_f32 v36, -v32, v35, 1.0
	v_fmac_f32_e32 v35, v36, v35
	s_delay_alu instid0(VALU_DEP_1) | instskip(NEXT) | instid1(VALU_DEP_1)
	v_mul_f32_e32 v36, v37, v35
	v_fma_f32 v75, -v32, v36, v37
	s_delay_alu instid0(VALU_DEP_1) | instskip(NEXT) | instid1(VALU_DEP_1)
	v_fmac_f32_e32 v36, v75, v35
	v_fma_f32 v32, -v32, v36, v37
	s_delay_alu instid0(VALU_DEP_1) | instskip(NEXT) | instid1(VALU_DEP_1)
	v_div_fmas_f32 v32, v32, v35, v36
	v_div_fixup_f32 v32, v32, v33, 1.0
	s_delay_alu instid0(VALU_DEP_1)
	v_mul_f32_e32 v34, v34, v32
	v_xor_b32_e32 v35, 0x80000000, v32
                                        ; implicit-def: $vgpr32_vgpr33
.LBB52_96:                              ;   in Loop: Header=BB52_3 Depth=1
	s_and_not1_saveexec_b32 s6, s6
	s_cbranch_execz .LBB52_98
; %bb.97:                               ;   in Loop: Header=BB52_3 Depth=1
	v_div_scale_f32 v34, null, v32, v32, v33
	v_div_scale_f32 v37, vcc_lo, v33, v32, v33
	s_delay_alu instid0(VALU_DEP_2) | instskip(SKIP_1) | instid1(TRANS32_DEP_1)
	v_rcp_f32_e32 v35, v34
	v_nop
	v_fma_f32 v36, -v34, v35, 1.0
	s_delay_alu instid0(VALU_DEP_1) | instskip(NEXT) | instid1(VALU_DEP_1)
	v_fmac_f32_e32 v35, v36, v35
	v_mul_f32_e32 v36, v37, v35
	s_delay_alu instid0(VALU_DEP_1) | instskip(NEXT) | instid1(VALU_DEP_1)
	v_fma_f32 v75, -v34, v36, v37
	v_fmac_f32_e32 v36, v75, v35
	s_delay_alu instid0(VALU_DEP_1) | instskip(NEXT) | instid1(VALU_DEP_1)
	v_fma_f32 v34, -v34, v36, v37
	v_div_fmas_f32 v34, v34, v35, v36
	s_delay_alu instid0(VALU_DEP_1) | instskip(NEXT) | instid1(VALU_DEP_1)
	v_div_fixup_f32 v35, v34, v32, v33
	v_fmac_f32_e32 v32, v33, v35
	s_delay_alu instid0(VALU_DEP_1) | instskip(NEXT) | instid1(VALU_DEP_1)
	v_div_scale_f32 v33, null, v32, v32, 1.0
	v_rcp_f32_e32 v34, v33
	v_nop
	s_delay_alu instid0(TRANS32_DEP_1) | instskip(NEXT) | instid1(VALU_DEP_1)
	v_fma_f32 v36, -v33, v34, 1.0
	v_fmac_f32_e32 v34, v36, v34
	v_div_scale_f32 v36, vcc_lo, 1.0, v32, 1.0
	s_delay_alu instid0(VALU_DEP_1) | instskip(NEXT) | instid1(VALU_DEP_1)
	v_mul_f32_e32 v37, v36, v34
	v_fma_f32 v75, -v33, v37, v36
	s_delay_alu instid0(VALU_DEP_1) | instskip(NEXT) | instid1(VALU_DEP_1)
	v_fmac_f32_e32 v37, v75, v34
	v_fma_f32 v33, -v33, v37, v36
	s_delay_alu instid0(VALU_DEP_1) | instskip(NEXT) | instid1(VALU_DEP_1)
	v_div_fmas_f32 v33, v33, v34, v37
	v_div_fixup_f32 v34, v33, v32, 1.0
	s_delay_alu instid0(VALU_DEP_1)
	v_mul_f32_e64 v35, v35, -v34
.LBB52_98:                              ;   in Loop: Header=BB52_3 Depth=1
	s_or_b32 exec_lo, exec_lo, s6
	ds_store_b64 v63, v[34:35]
.LBB52_99:                              ;   in Loop: Header=BB52_3 Depth=1
	s_or_b32 exec_lo, exec_lo, s99
.LBB52_100:                             ;   in Loop: Header=BB52_3 Depth=1
	s_and_not1_saveexec_b32 s6, s98
	s_cbranch_execz .LBB52_102
; %bb.101:                              ;   in Loop: Header=BB52_3 Depth=1
	v_lshl_add_u64 v[32:33], v[12:13], 3, s[70:71]
	global_load_b64 v[32:33], v[32:33], off
	s_wait_loadcnt 0x0
	v_pk_add_f32 v[32:33], v[32:33], 0 neg_lo:[1,1] neg_hi:[1,1]
	ds_store_b64 v63, v[32:33]
.LBB52_102:                             ;   in Loop: Header=BB52_3 Depth=1
	s_or_b32 exec_lo, exec_lo, s6
	s_delay_alu instid0(SALU_CYCLE_1) | instskip(SKIP_2) | instid1(SALU_CYCLE_1)
	s_mov_b32 s6, exec_lo
	v_readlane_b32 s13, v86, 21
	s_and_b32 s13, s6, s13
	s_xor_b32 s98, s13, s6
	s_mov_b32 exec_lo, s13
	s_cbranch_execz .LBB52_114
; %bb.103:                              ;   in Loop: Header=BB52_3 Depth=1
	s_mov_b32 s6, exec_lo
	v_readlane_b32 s13, v86, 29
	s_and_b32 s13, s6, s13
	s_delay_alu instid0(SALU_CYCLE_1)
	s_xor_b32 s6, s13, s6
	s_mov_b32 exec_lo, s13
	s_cbranch_execz .LBB52_107
; %bb.104:                              ;   in Loop: Header=BB52_3 Depth=1
	v_readlane_b32 s23, v85, 18
	s_and_saveexec_b32 s13, s23
; %bb.105:                              ;   in Loop: Header=BB52_3 Depth=1
	ds_store_b64 v64, v[28:29]
; %bb.106:                              ;   in Loop: Header=BB52_3 Depth=1
	s_or_b32 exec_lo, exec_lo, s13
.LBB52_107:                             ;   in Loop: Header=BB52_3 Depth=1
	s_and_not1_saveexec_b32 s99, s6
	s_cbranch_execz .LBB52_113
; %bb.108:                              ;   in Loop: Header=BB52_3 Depth=1
	v_lshl_add_u64 v[32:33], v[14:15], 3, s[70:71]
                                        ; implicit-def: $vgpr34_vgpr35
	global_load_b64 v[32:33], v[32:33], off
	s_wait_loadcnt 0x0
	v_cmp_ngt_f32_e64 s6, |v32|, |v33|
	s_wait_xcnt 0x0
	s_and_saveexec_b32 s13, s6
	s_delay_alu instid0(SALU_CYCLE_1)
	s_xor_b32 s6, exec_lo, s13
	s_cbranch_execz .LBB52_110
; %bb.109:                              ;   in Loop: Header=BB52_3 Depth=1
	v_div_scale_f32 v34, null, v33, v33, v32
	v_div_scale_f32 v37, vcc_lo, v32, v33, v32
	s_delay_alu instid0(VALU_DEP_2) | instskip(SKIP_1) | instid1(TRANS32_DEP_1)
	v_rcp_f32_e32 v35, v34
	v_nop
	v_fma_f32 v36, -v34, v35, 1.0
	s_delay_alu instid0(VALU_DEP_1) | instskip(NEXT) | instid1(VALU_DEP_1)
	v_fmac_f32_e32 v35, v36, v35
	v_mul_f32_e32 v36, v37, v35
	s_delay_alu instid0(VALU_DEP_1) | instskip(NEXT) | instid1(VALU_DEP_1)
	v_fma_f32 v75, -v34, v36, v37
	v_fmac_f32_e32 v36, v75, v35
	s_delay_alu instid0(VALU_DEP_1) | instskip(NEXT) | instid1(VALU_DEP_1)
	v_fma_f32 v34, -v34, v36, v37
	v_div_fmas_f32 v34, v34, v35, v36
	s_delay_alu instid0(VALU_DEP_1) | instskip(NEXT) | instid1(VALU_DEP_1)
	v_div_fixup_f32 v34, v34, v33, v32
	v_fmac_f32_e32 v33, v32, v34
	s_delay_alu instid0(VALU_DEP_1) | instskip(SKIP_1) | instid1(VALU_DEP_2)
	v_div_scale_f32 v32, null, v33, v33, 1.0
	v_div_scale_f32 v37, vcc_lo, 1.0, v33, 1.0
	v_rcp_f32_e32 v35, v32
	v_nop
	s_delay_alu instid0(TRANS32_DEP_1) | instskip(NEXT) | instid1(VALU_DEP_1)
	v_fma_f32 v36, -v32, v35, 1.0
	v_fmac_f32_e32 v35, v36, v35
	s_delay_alu instid0(VALU_DEP_1) | instskip(NEXT) | instid1(VALU_DEP_1)
	v_mul_f32_e32 v36, v37, v35
	v_fma_f32 v75, -v32, v36, v37
	s_delay_alu instid0(VALU_DEP_1) | instskip(NEXT) | instid1(VALU_DEP_1)
	v_fmac_f32_e32 v36, v75, v35
	v_fma_f32 v32, -v32, v36, v37
	s_delay_alu instid0(VALU_DEP_1) | instskip(NEXT) | instid1(VALU_DEP_1)
	v_div_fmas_f32 v32, v32, v35, v36
	v_div_fixup_f32 v32, v32, v33, 1.0
	s_delay_alu instid0(VALU_DEP_1)
	v_mul_f32_e32 v34, v34, v32
	v_xor_b32_e32 v35, 0x80000000, v32
                                        ; implicit-def: $vgpr32_vgpr33
.LBB52_110:                             ;   in Loop: Header=BB52_3 Depth=1
	s_and_not1_saveexec_b32 s6, s6
	s_cbranch_execz .LBB52_112
; %bb.111:                              ;   in Loop: Header=BB52_3 Depth=1
	v_div_scale_f32 v34, null, v32, v32, v33
	v_div_scale_f32 v37, vcc_lo, v33, v32, v33
	s_delay_alu instid0(VALU_DEP_2) | instskip(SKIP_1) | instid1(TRANS32_DEP_1)
	v_rcp_f32_e32 v35, v34
	v_nop
	v_fma_f32 v36, -v34, v35, 1.0
	s_delay_alu instid0(VALU_DEP_1) | instskip(NEXT) | instid1(VALU_DEP_1)
	v_fmac_f32_e32 v35, v36, v35
	v_mul_f32_e32 v36, v37, v35
	s_delay_alu instid0(VALU_DEP_1) | instskip(NEXT) | instid1(VALU_DEP_1)
	v_fma_f32 v75, -v34, v36, v37
	v_fmac_f32_e32 v36, v75, v35
	s_delay_alu instid0(VALU_DEP_1) | instskip(NEXT) | instid1(VALU_DEP_1)
	v_fma_f32 v34, -v34, v36, v37
	v_div_fmas_f32 v34, v34, v35, v36
	s_delay_alu instid0(VALU_DEP_1) | instskip(NEXT) | instid1(VALU_DEP_1)
	v_div_fixup_f32 v35, v34, v32, v33
	v_fmac_f32_e32 v32, v33, v35
	s_delay_alu instid0(VALU_DEP_1) | instskip(NEXT) | instid1(VALU_DEP_1)
	v_div_scale_f32 v33, null, v32, v32, 1.0
	v_rcp_f32_e32 v34, v33
	v_nop
	s_delay_alu instid0(TRANS32_DEP_1) | instskip(NEXT) | instid1(VALU_DEP_1)
	v_fma_f32 v36, -v33, v34, 1.0
	v_fmac_f32_e32 v34, v36, v34
	v_div_scale_f32 v36, vcc_lo, 1.0, v32, 1.0
	s_delay_alu instid0(VALU_DEP_1) | instskip(NEXT) | instid1(VALU_DEP_1)
	v_mul_f32_e32 v37, v36, v34
	v_fma_f32 v75, -v33, v37, v36
	s_delay_alu instid0(VALU_DEP_1) | instskip(NEXT) | instid1(VALU_DEP_1)
	v_fmac_f32_e32 v37, v75, v34
	v_fma_f32 v33, -v33, v37, v36
	s_delay_alu instid0(VALU_DEP_1) | instskip(NEXT) | instid1(VALU_DEP_1)
	v_div_fmas_f32 v33, v33, v34, v37
	v_div_fixup_f32 v34, v33, v32, 1.0
	s_delay_alu instid0(VALU_DEP_1)
	v_mul_f32_e64 v35, v35, -v34
.LBB52_112:                             ;   in Loop: Header=BB52_3 Depth=1
	s_or_b32 exec_lo, exec_lo, s6
	ds_store_b64 v64, v[34:35]
.LBB52_113:                             ;   in Loop: Header=BB52_3 Depth=1
	s_or_b32 exec_lo, exec_lo, s99
.LBB52_114:                             ;   in Loop: Header=BB52_3 Depth=1
	s_and_not1_saveexec_b32 s6, s98
	s_cbranch_execz .LBB52_116
; %bb.115:                              ;   in Loop: Header=BB52_3 Depth=1
	v_lshl_add_u64 v[32:33], v[14:15], 3, s[70:71]
	global_load_b64 v[32:33], v[32:33], off
	s_wait_loadcnt 0x0
	v_pk_add_f32 v[32:33], v[32:33], 0 neg_lo:[1,1] neg_hi:[1,1]
	ds_store_b64 v64, v[32:33]
.LBB52_116:                             ;   in Loop: Header=BB52_3 Depth=1
	s_or_b32 exec_lo, exec_lo, s6
	s_delay_alu instid0(SALU_CYCLE_1) | instskip(SKIP_2) | instid1(SALU_CYCLE_1)
	s_mov_b32 s6, exec_lo
	v_readlane_b32 s13, v86, 23
	s_and_b32 s13, s6, s13
	s_xor_b32 s98, s13, s6
	s_mov_b32 exec_lo, s13
	s_cbranch_execz .LBB52_128
; %bb.117:                              ;   in Loop: Header=BB52_3 Depth=1
	s_mov_b32 s6, exec_lo
	v_readlane_b32 s13, v86, 31
	s_and_b32 s13, s6, s13
	s_delay_alu instid0(SALU_CYCLE_1)
	s_xor_b32 s6, s13, s6
	s_mov_b32 exec_lo, s13
	s_cbranch_execz .LBB52_121
; %bb.118:                              ;   in Loop: Header=BB52_3 Depth=1
	v_readlane_b32 s23, v85, 19
	s_and_saveexec_b32 s13, s23
; %bb.119:                              ;   in Loop: Header=BB52_3 Depth=1
	ds_store_b64 v72, v[28:29]
; %bb.120:                              ;   in Loop: Header=BB52_3 Depth=1
	s_or_b32 exec_lo, exec_lo, s13
.LBB52_121:                             ;   in Loop: Header=BB52_3 Depth=1
	s_and_not1_saveexec_b32 s99, s6
	s_cbranch_execz .LBB52_127
; %bb.122:                              ;   in Loop: Header=BB52_3 Depth=1
	v_lshl_add_u64 v[32:33], v[16:17], 3, s[70:71]
                                        ; implicit-def: $vgpr34_vgpr35
	global_load_b64 v[32:33], v[32:33], off
	s_wait_loadcnt 0x0
	v_cmp_ngt_f32_e64 s6, |v32|, |v33|
	s_wait_xcnt 0x0
	s_and_saveexec_b32 s13, s6
	s_delay_alu instid0(SALU_CYCLE_1)
	s_xor_b32 s6, exec_lo, s13
	s_cbranch_execz .LBB52_124
; %bb.123:                              ;   in Loop: Header=BB52_3 Depth=1
	v_div_scale_f32 v34, null, v33, v33, v32
	v_div_scale_f32 v37, vcc_lo, v32, v33, v32
	s_delay_alu instid0(VALU_DEP_2) | instskip(SKIP_1) | instid1(TRANS32_DEP_1)
	v_rcp_f32_e32 v35, v34
	v_nop
	v_fma_f32 v36, -v34, v35, 1.0
	s_delay_alu instid0(VALU_DEP_1) | instskip(NEXT) | instid1(VALU_DEP_1)
	v_fmac_f32_e32 v35, v36, v35
	v_mul_f32_e32 v36, v37, v35
	s_delay_alu instid0(VALU_DEP_1) | instskip(NEXT) | instid1(VALU_DEP_1)
	v_fma_f32 v75, -v34, v36, v37
	v_fmac_f32_e32 v36, v75, v35
	s_delay_alu instid0(VALU_DEP_1) | instskip(NEXT) | instid1(VALU_DEP_1)
	v_fma_f32 v34, -v34, v36, v37
	v_div_fmas_f32 v34, v34, v35, v36
	s_delay_alu instid0(VALU_DEP_1) | instskip(NEXT) | instid1(VALU_DEP_1)
	v_div_fixup_f32 v34, v34, v33, v32
	v_fmac_f32_e32 v33, v32, v34
	s_delay_alu instid0(VALU_DEP_1) | instskip(SKIP_1) | instid1(VALU_DEP_2)
	v_div_scale_f32 v32, null, v33, v33, 1.0
	v_div_scale_f32 v37, vcc_lo, 1.0, v33, 1.0
	v_rcp_f32_e32 v35, v32
	v_nop
	s_delay_alu instid0(TRANS32_DEP_1) | instskip(NEXT) | instid1(VALU_DEP_1)
	v_fma_f32 v36, -v32, v35, 1.0
	v_fmac_f32_e32 v35, v36, v35
	s_delay_alu instid0(VALU_DEP_1) | instskip(NEXT) | instid1(VALU_DEP_1)
	v_mul_f32_e32 v36, v37, v35
	v_fma_f32 v75, -v32, v36, v37
	s_delay_alu instid0(VALU_DEP_1) | instskip(NEXT) | instid1(VALU_DEP_1)
	v_fmac_f32_e32 v36, v75, v35
	v_fma_f32 v32, -v32, v36, v37
	s_delay_alu instid0(VALU_DEP_1) | instskip(NEXT) | instid1(VALU_DEP_1)
	v_div_fmas_f32 v32, v32, v35, v36
	v_div_fixup_f32 v32, v32, v33, 1.0
	s_delay_alu instid0(VALU_DEP_1)
	v_mul_f32_e32 v34, v34, v32
	v_xor_b32_e32 v35, 0x80000000, v32
                                        ; implicit-def: $vgpr32_vgpr33
.LBB52_124:                             ;   in Loop: Header=BB52_3 Depth=1
	s_and_not1_saveexec_b32 s6, s6
	s_cbranch_execz .LBB52_126
; %bb.125:                              ;   in Loop: Header=BB52_3 Depth=1
	v_div_scale_f32 v34, null, v32, v32, v33
	v_div_scale_f32 v37, vcc_lo, v33, v32, v33
	s_delay_alu instid0(VALU_DEP_2) | instskip(SKIP_1) | instid1(TRANS32_DEP_1)
	v_rcp_f32_e32 v35, v34
	v_nop
	v_fma_f32 v36, -v34, v35, 1.0
	s_delay_alu instid0(VALU_DEP_1) | instskip(NEXT) | instid1(VALU_DEP_1)
	v_fmac_f32_e32 v35, v36, v35
	v_mul_f32_e32 v36, v37, v35
	s_delay_alu instid0(VALU_DEP_1) | instskip(NEXT) | instid1(VALU_DEP_1)
	v_fma_f32 v75, -v34, v36, v37
	v_fmac_f32_e32 v36, v75, v35
	s_delay_alu instid0(VALU_DEP_1) | instskip(NEXT) | instid1(VALU_DEP_1)
	v_fma_f32 v34, -v34, v36, v37
	v_div_fmas_f32 v34, v34, v35, v36
	s_delay_alu instid0(VALU_DEP_1) | instskip(NEXT) | instid1(VALU_DEP_1)
	v_div_fixup_f32 v35, v34, v32, v33
	v_fmac_f32_e32 v32, v33, v35
	s_delay_alu instid0(VALU_DEP_1) | instskip(NEXT) | instid1(VALU_DEP_1)
	v_div_scale_f32 v33, null, v32, v32, 1.0
	v_rcp_f32_e32 v34, v33
	v_nop
	s_delay_alu instid0(TRANS32_DEP_1) | instskip(NEXT) | instid1(VALU_DEP_1)
	v_fma_f32 v36, -v33, v34, 1.0
	v_fmac_f32_e32 v34, v36, v34
	v_div_scale_f32 v36, vcc_lo, 1.0, v32, 1.0
	s_delay_alu instid0(VALU_DEP_1) | instskip(NEXT) | instid1(VALU_DEP_1)
	v_mul_f32_e32 v37, v36, v34
	v_fma_f32 v75, -v33, v37, v36
	s_delay_alu instid0(VALU_DEP_1) | instskip(NEXT) | instid1(VALU_DEP_1)
	v_fmac_f32_e32 v37, v75, v34
	v_fma_f32 v33, -v33, v37, v36
	s_delay_alu instid0(VALU_DEP_1) | instskip(NEXT) | instid1(VALU_DEP_1)
	v_div_fmas_f32 v33, v33, v34, v37
	v_div_fixup_f32 v34, v33, v32, 1.0
	s_delay_alu instid0(VALU_DEP_1)
	v_mul_f32_e64 v35, v35, -v34
.LBB52_126:                             ;   in Loop: Header=BB52_3 Depth=1
	s_or_b32 exec_lo, exec_lo, s6
	ds_store_b64 v72, v[34:35]
.LBB52_127:                             ;   in Loop: Header=BB52_3 Depth=1
	s_or_b32 exec_lo, exec_lo, s99
.LBB52_128:                             ;   in Loop: Header=BB52_3 Depth=1
	s_and_not1_saveexec_b32 s6, s98
	s_cbranch_execz .LBB52_130
; %bb.129:                              ;   in Loop: Header=BB52_3 Depth=1
	v_lshl_add_u64 v[32:33], v[16:17], 3, s[70:71]
	global_load_b64 v[32:33], v[32:33], off
	s_wait_loadcnt 0x0
	v_pk_add_f32 v[32:33], v[32:33], 0 neg_lo:[1,1] neg_hi:[1,1]
	ds_store_b64 v72, v[32:33]
.LBB52_130:                             ;   in Loop: Header=BB52_3 Depth=1
	s_or_b32 exec_lo, exec_lo, s6
.LBB52_131:                             ;   in Loop: Header=BB52_3 Depth=1
	s_delay_alu instid0(SALU_CYCLE_1)
	s_and_not1_b32 vcc_lo, exec_lo, s44
	s_wait_storecnt 0x0
	s_wait_loadcnt_dscnt 0x0
	s_barrier_signal -1
	s_barrier_wait -1
	s_cbranch_vccnz .LBB52_991
; %bb.132:                              ;   in Loop: Header=BB52_3 Depth=1
	s_and_saveexec_b32 s6, s14
	s_cbranch_execz .LBB52_134
; %bb.133:                              ;   in Loop: Header=BB52_3 Depth=1
	v_add_nc_u32_e64 v32, 0x1f0, 0
	ds_load_b64 v[36:37], v5 offset:32760
	ds_load_2addr_stride64_b64 v[32:35], v32 offset0:62 offset1:63
	s_wait_dscnt 0x0
	v_dual_mul_f32 v75, v37, v33 :: v_dual_mul_f32 v76, v36, v33
	s_delay_alu instid0(VALU_DEP_1) | instskip(NEXT) | instid1(VALU_DEP_1)
	v_xor_b32_e32 v78, 0x80000000, v75
	v_dual_fmac_f32 v76, v37, v32 :: v_dual_fmac_f32 v78, v36, v32
	s_delay_alu instid0(VALU_DEP_1) | instskip(NEXT) | instid1(VALU_DEP_1)
	v_pk_mul_f32 v[32:33], v[76:77], v[34:35] op_sel:[0,1] op_sel_hi:[0,0]
	v_pk_fma_f32 v[36:37], v[78:79], v[34:35], v[32:33] op_sel_hi:[0,1,1]
	v_pk_fma_f32 v[32:33], v[78:79], v[34:35], v[32:33] neg_lo:[0,0,1] neg_hi:[0,0,1]
	s_delay_alu instid0(VALU_DEP_2)
	v_mov_b32_e32 v33, v37
	ds_store_b64 v5, v[32:33] offset:32752
.LBB52_134:                             ;   in Loop: Header=BB52_3 Depth=1
	s_or_b32 exec_lo, exec_lo, s6
	v_dual_mov_b32 v32, 0 :: v_dual_mov_b32 v33, 0
	s_wait_dscnt 0x0
	s_barrier_signal -1
	s_barrier_wait -1
	global_wb scope:SCOPE_DEV
	s_wait_storecnt 0x0
	global_inv scope:SCOPE_DEV
	s_and_saveexec_b32 s6, s1
	s_cbranch_execz .LBB52_138
; %bb.135:                              ;   in Loop: Header=BB52_3 Depth=1
	ds_load_b64 v[32:33], v39 offset:32224
	ds_load_b64 v[34:35], v40 offset:32752
	s_wait_dscnt 0x0
	v_pk_mul_f32 v[36:37], v[34:35], v[32:33] op_sel:[1,1] op_sel_hi:[0,1]
	s_delay_alu instid0(VALU_DEP_1) | instskip(SKIP_1) | instid1(VALU_DEP_2)
	v_pk_fma_f32 v[76:77], v[34:35], v[32:33], v[36:37] op_sel_hi:[1,0,1]
	v_pk_fma_f32 v[32:33], v[34:35], v[32:33], v[36:37] neg_lo:[0,0,1] neg_hi:[0,0,1]
	v_mov_b32_e32 v33, v77
	s_delay_alu instid0(VALU_DEP_1)
	v_pk_add_f32 v[32:33], v[32:33], 0 op_sel_hi:[1,0]
	s_and_saveexec_b32 s13, s15
	s_cbranch_execz .LBB52_137
; %bb.136:                              ;   in Loop: Header=BB52_3 Depth=1
	ds_load_b64 v[34:35], v41 offset:32736
	ds_load_b64 v[36:37], v5 offset:32760
	s_wait_dscnt 0x0
	v_pk_mul_f32 v[76:77], v[36:37], v[34:35] op_sel:[1,1] op_sel_hi:[0,1]
	s_delay_alu instid0(VALU_DEP_1) | instskip(SKIP_1) | instid1(VALU_DEP_2)
	v_pk_fma_f32 v[78:79], v[36:37], v[34:35], v[76:77] op_sel_hi:[1,0,1]
	v_pk_fma_f32 v[34:35], v[36:37], v[34:35], v[76:77] neg_lo:[0,0,1] neg_hi:[0,0,1]
	v_mov_b32_e32 v35, v79
	s_delay_alu instid0(VALU_DEP_1)
	v_pk_add_f32 v[32:33], v[32:33], v[34:35]
.LBB52_137:                             ;   in Loop: Header=BB52_3 Depth=1
	s_or_b32 exec_lo, exec_lo, s13
.LBB52_138:                             ;   in Loop: Header=BB52_3 Depth=1
	s_delay_alu instid0(SALU_CYCLE_1)
	s_or_b32 exec_lo, exec_lo, s6
	s_and_saveexec_b32 s6, s45
	s_cbranch_execz .LBB52_140
; %bb.139:                              ;   in Loop: Header=BB52_3 Depth=1
	ds_load_b64 v[34:35], v5 offset:31720
	s_wait_dscnt 0x0
	v_pk_mul_f32 v[36:37], v[32:33], v[34:35] op_sel:[1,1] op_sel_hi:[1,0]
	s_delay_alu instid0(VALU_DEP_1) | instskip(SKIP_1) | instid1(VALU_DEP_2)
	v_pk_fma_f32 v[76:77], v[32:33], v[34:35], v[36:37] op_sel_hi:[0,1,1]
	v_pk_fma_f32 v[32:33], v[32:33], v[34:35], v[36:37] neg_lo:[0,0,1] neg_hi:[0,0,1]
	v_mov_b32_e32 v33, v77
	s_delay_alu instid0(VALU_DEP_1)
	v_pk_add_f32 v[34:35], v[32:33], 0 neg_lo:[1,1] neg_hi:[1,1]
	ds_store_b64 v3, v[34:35]
.LBB52_140:                             ;   in Loop: Header=BB52_3 Depth=1
	s_or_b32 exec_lo, exec_lo, s6
	s_wait_loadcnt_dscnt 0x0
	s_barrier_signal -1
	s_barrier_wait -1
	s_and_saveexec_b32 s6, s46
	s_cbranch_execz .LBB52_142
; %bb.141:                              ;   in Loop: Header=BB52_3 Depth=1
	ds_load_b64 v[34:35], v5 offset:31712
	ds_load_b64 v[36:37], v3
	s_wait_dscnt 0x0
	v_pk_mul_f32 v[76:77], v[36:37], v[34:35] op_sel:[1,1] op_sel_hi:[0,1]
	s_delay_alu instid0(VALU_DEP_1) | instskip(SKIP_1) | instid1(VALU_DEP_2)
	v_pk_fma_f32 v[78:79], v[36:37], v[34:35], v[76:77] op_sel_hi:[1,0,1]
	v_pk_fma_f32 v[34:35], v[36:37], v[34:35], v[76:77] neg_lo:[0,0,1] neg_hi:[0,0,1]
	v_mov_b32_e32 v35, v79
	s_delay_alu instid0(VALU_DEP_1)
	v_pk_add_f32 v[32:33], v[32:33], v[34:35] neg_lo:[0,1] neg_hi:[0,1]
.LBB52_142:                             ;   in Loop: Header=BB52_3 Depth=1
	s_or_b32 exec_lo, exec_lo, s6
	s_barrier_signal -1
	s_barrier_wait -1
	s_and_saveexec_b32 s6, s46
	s_cbranch_execz .LBB52_144
; %bb.143:                              ;   in Loop: Header=BB52_3 Depth=1
	ds_load_b64 v[34:35], v5 offset:31200
	s_wait_dscnt 0x0
	v_pk_mul_f32 v[36:37], v[32:33], v[34:35] op_sel:[1,1] op_sel_hi:[1,0]
	s_delay_alu instid0(VALU_DEP_1) | instskip(SKIP_1) | instid1(VALU_DEP_2)
	v_pk_fma_f32 v[76:77], v[32:33], v[34:35], v[36:37] op_sel_hi:[0,1,1]
	v_pk_fma_f32 v[32:33], v[32:33], v[34:35], v[36:37] neg_lo:[0,0,1] neg_hi:[0,0,1]
	v_mov_b32_e32 v33, v77
	s_delay_alu instid0(VALU_DEP_1)
	v_pk_add_f32 v[34:35], v[32:33], 0 neg_lo:[1,1] neg_hi:[1,1]
	ds_store_b64 v3, v[34:35]
.LBB52_144:                             ;   in Loop: Header=BB52_3 Depth=1
	s_or_b32 exec_lo, exec_lo, s6
	s_wait_dscnt 0x0
	s_barrier_signal -1
	s_barrier_wait -1
	s_barrier_signal -1
	s_barrier_wait -1
	s_and_saveexec_b32 s6, s1
; %bb.145:                              ;   in Loop: Header=BB52_3 Depth=1
	ds_store_b64 v42, v[32:33] offset:32736
; %bb.146:                              ;   in Loop: Header=BB52_3 Depth=1
	s_or_b32 exec_lo, exec_lo, s6
	s_wait_dscnt 0x0
	s_barrier_signal -1
	s_barrier_wait -1
	s_barrier_signal -1
	s_barrier_wait -1
	s_and_saveexec_b32 s6, s14
	s_cbranch_execz .LBB52_148
; %bb.147:                              ;   in Loop: Header=BB52_3 Depth=1
	v_add_nc_u32_e64 v32, 0x1e0, 0
	ds_load_b64 v[36:37], v5 offset:31720
	ds_load_2addr_stride64_b64 v[32:35], v32 offset0:60 offset1:61
	s_wait_dscnt 0x0
	v_dual_mul_f32 v75, v37, v33 :: v_dual_mul_f32 v76, v36, v33
	s_delay_alu instid0(VALU_DEP_1) | instskip(NEXT) | instid1(VALU_DEP_1)
	v_xor_b32_e32 v78, 0x80000000, v75
	v_dual_fmac_f32 v76, v37, v32 :: v_dual_fmac_f32 v78, v36, v32
	s_delay_alu instid0(VALU_DEP_1) | instskip(NEXT) | instid1(VALU_DEP_1)
	v_pk_mul_f32 v[32:33], v[76:77], v[34:35] op_sel:[0,1] op_sel_hi:[0,0]
	v_pk_fma_f32 v[36:37], v[78:79], v[34:35], v[32:33] op_sel_hi:[0,1,1]
	v_pk_fma_f32 v[32:33], v[78:79], v[34:35], v[32:33] neg_lo:[0,0,1] neg_hi:[0,0,1]
	s_delay_alu instid0(VALU_DEP_2)
	v_mov_b32_e32 v33, v37
	ds_store_b64 v5, v[32:33] offset:31712
.LBB52_148:                             ;   in Loop: Header=BB52_3 Depth=1
	s_or_b32 exec_lo, exec_lo, s6
	v_mov_b64_e32 v[32:33], 0
	s_wait_dscnt 0x0
	s_barrier_signal -1
	s_barrier_wait -1
	global_wb scope:SCOPE_DEV
	s_wait_storecnt 0x0
	global_inv scope:SCOPE_DEV
	s_and_saveexec_b32 s98, s2
	s_cbranch_execz .LBB52_154
; %bb.149:                              ;   in Loop: Header=BB52_3 Depth=1
	ds_load_b64 v[32:33], v44 offset:31168
	ds_load_b64 v[34:35], v45 offset:32736
	s_wait_dscnt 0x0
	v_dual_mul_f32 v36, v35, v33 :: v_dual_mul_f32 v33, v34, v33
	s_delay_alu instid0(VALU_DEP_1) | instskip(NEXT) | instid1(VALU_DEP_1)
	v_dual_fma_f32 v34, v34, v32, -v36 :: v_dual_fmac_f32 v33, v35, v32
	v_dual_add_f32 v32, 0, v34 :: v_dual_add_f32 v33, 0, v33
	s_and_saveexec_b32 s6, s16
	s_cbranch_execnz .LBB52_1048
; %bb.150:                              ;   in Loop: Header=BB52_3 Depth=1
	s_or_b32 exec_lo, exec_lo, s6
	s_and_saveexec_b32 s6, s17
	s_cbranch_execnz .LBB52_1049
.LBB52_151:                             ;   in Loop: Header=BB52_3 Depth=1
	s_or_b32 exec_lo, exec_lo, s6
	s_and_saveexec_b32 s6, s1
	s_cbranch_execz .LBB52_153
.LBB52_152:                             ;   in Loop: Header=BB52_3 Depth=1
	ds_load_b64 v[34:35], v41 offset:32704
	ds_load_b64 v[36:37], v5 offset:32760
	s_wait_dscnt 0x0
	v_dual_mul_f32 v75, v37, v35 :: v_dual_mul_f32 v35, v36, v35
	s_delay_alu instid0(VALU_DEP_1) | instskip(NEXT) | instid1(VALU_DEP_1)
	v_fmac_f32_e32 v35, v37, v34
	v_dual_fma_f32 v36, v36, v34, -v75 :: v_dual_add_f32 v33, v33, v35
	s_delay_alu instid0(VALU_DEP_1)
	v_add_f32_e32 v32, v32, v36
.LBB52_153:                             ;   in Loop: Header=BB52_3 Depth=1
	s_or_b32 exec_lo, exec_lo, s6
.LBB52_154:                             ;   in Loop: Header=BB52_3 Depth=1
	s_delay_alu instid0(SALU_CYCLE_1)
	s_or_b32 exec_lo, exec_lo, s98
	s_and_saveexec_b32 s6, s47
	s_cbranch_execz .LBB52_156
; %bb.155:                              ;   in Loop: Header=BB52_3 Depth=1
	ds_load_b64 v[34:35], v5 offset:30680
	s_wait_dscnt 0x0
	v_dual_mul_f32 v36, v33, v34 :: v_dual_mul_f32 v76, v33, v35
	s_delay_alu instid0(VALU_DEP_1) | instskip(NEXT) | instid1(VALU_DEP_2)
	v_pk_fma_f32 v[36:37], v[32:33], v[34:35], v[36:37] op_sel:[1,0,0] op_sel_hi:[0,1,0]
	v_pk_fma_f32 v[32:33], v[32:33], v[34:35], v[76:77] op_sel_hi:[1,1,0] neg_lo:[0,0,1] neg_hi:[0,0,1]
	s_delay_alu instid0(VALU_DEP_2) | instskip(NEXT) | instid1(VALU_DEP_1)
	v_mov_b32_e32 v33, v37
	v_pk_add_f32 v[34:35], v[32:33], 0 neg_lo:[1,1] neg_hi:[1,1]
	ds_store_b64 v43, v[34:35]
.LBB52_156:                             ;   in Loop: Header=BB52_3 Depth=1
	s_or_b32 exec_lo, exec_lo, s6
	s_wait_loadcnt_dscnt 0x0
	s_barrier_signal -1
	s_barrier_wait -1
	s_and_saveexec_b32 s6, s48
	s_cbranch_execz .LBB52_158
; %bb.157:                              ;   in Loop: Header=BB52_3 Depth=1
	ds_load_b64 v[34:35], v44 offset:30656
	ds_load_b64 v[36:37], v43
	s_wait_dscnt 0x0
	v_pk_mul_f32 v[76:77], v[36:37], v[34:35] op_sel:[1,1] op_sel_hi:[0,1]
	s_delay_alu instid0(VALU_DEP_1) | instskip(SKIP_1) | instid1(VALU_DEP_2)
	v_pk_fma_f32 v[78:79], v[36:37], v[34:35], v[76:77] op_sel_hi:[1,0,1]
	v_pk_fma_f32 v[34:35], v[36:37], v[34:35], v[76:77] neg_lo:[0,0,1] neg_hi:[0,0,1]
	v_mov_b32_e32 v35, v79
	s_delay_alu instid0(VALU_DEP_1)
	v_pk_add_f32 v[32:33], v[32:33], v[34:35] neg_lo:[0,1] neg_hi:[0,1]
.LBB52_158:                             ;   in Loop: Header=BB52_3 Depth=1
	s_or_b32 exec_lo, exec_lo, s6
	s_barrier_signal -1
	s_barrier_wait -1
	s_and_saveexec_b32 s6, s49
	s_cbranch_execz .LBB52_160
; %bb.159:                              ;   in Loop: Header=BB52_3 Depth=1
	ds_load_b64 v[34:35], v5 offset:30160
	s_wait_dscnt 0x0
	v_pk_mul_f32 v[36:37], v[32:33], v[34:35] op_sel:[1,1] op_sel_hi:[1,0]
	s_delay_alu instid0(VALU_DEP_1) | instskip(SKIP_1) | instid1(VALU_DEP_2)
	v_pk_fma_f32 v[76:77], v[32:33], v[34:35], v[36:37] op_sel_hi:[0,1,1]
	v_pk_fma_f32 v[32:33], v[32:33], v[34:35], v[36:37] neg_lo:[0,0,1] neg_hi:[0,0,1]
	v_mov_b32_e32 v33, v77
	s_delay_alu instid0(VALU_DEP_1)
	v_pk_add_f32 v[34:35], v[32:33], 0 neg_lo:[1,1] neg_hi:[1,1]
	ds_store_b64 v43, v[34:35]
.LBB52_160:                             ;   in Loop: Header=BB52_3 Depth=1
	s_or_b32 exec_lo, exec_lo, s6
	s_wait_dscnt 0x0
	s_barrier_signal -1
	s_barrier_wait -1
	s_and_saveexec_b32 s6, s50
	s_cbranch_execz .LBB52_162
; %bb.161:                              ;   in Loop: Header=BB52_3 Depth=1
	ds_load_b64 v[34:35], v44 offset:30144
	ds_load_b64 v[36:37], v43
	s_wait_dscnt 0x0
	v_pk_mul_f32 v[76:77], v[36:37], v[34:35] op_sel:[1,1] op_sel_hi:[0,1]
	s_delay_alu instid0(VALU_DEP_1) | instskip(SKIP_1) | instid1(VALU_DEP_2)
	v_pk_fma_f32 v[78:79], v[36:37], v[34:35], v[76:77] op_sel_hi:[1,0,1]
	v_pk_fma_f32 v[34:35], v[36:37], v[34:35], v[76:77] neg_lo:[0,0,1] neg_hi:[0,0,1]
	v_mov_b32_e32 v35, v79
	s_delay_alu instid0(VALU_DEP_1)
	v_pk_add_f32 v[32:33], v[32:33], v[34:35] neg_lo:[0,1] neg_hi:[0,1]
.LBB52_162:                             ;   in Loop: Header=BB52_3 Depth=1
	s_or_b32 exec_lo, exec_lo, s6
	s_barrier_signal -1
	s_barrier_wait -1
	s_and_saveexec_b32 s6, s51
	s_cbranch_execz .LBB52_164
; %bb.163:                              ;   in Loop: Header=BB52_3 Depth=1
	ds_load_b64 v[34:35], v5 offset:29640
	s_wait_dscnt 0x0
	v_pk_mul_f32 v[36:37], v[32:33], v[34:35] op_sel:[1,1] op_sel_hi:[1,0]
	s_delay_alu instid0(VALU_DEP_1) | instskip(SKIP_1) | instid1(VALU_DEP_2)
	v_pk_fma_f32 v[76:77], v[32:33], v[34:35], v[36:37] op_sel_hi:[0,1,1]
	v_pk_fma_f32 v[32:33], v[32:33], v[34:35], v[36:37] neg_lo:[0,0,1] neg_hi:[0,0,1]
	v_mov_b32_e32 v33, v77
	s_delay_alu instid0(VALU_DEP_1)
	v_pk_add_f32 v[34:35], v[32:33], 0 neg_lo:[1,1] neg_hi:[1,1]
	ds_store_b64 v43, v[34:35]
.LBB52_164:                             ;   in Loop: Header=BB52_3 Depth=1
	s_or_b32 exec_lo, exec_lo, s6
	s_wait_dscnt 0x0
	;; [unrolled: 35-line block ×3, first 2 shown]
	s_barrier_signal -1
	s_barrier_wait -1
	s_barrier_signal -1
	s_barrier_wait -1
	s_and_saveexec_b32 s6, s2
; %bb.169:                              ;   in Loop: Header=BB52_3 Depth=1
	ds_store_b64 v46, v[32:33] offset:32704
; %bb.170:                              ;   in Loop: Header=BB52_3 Depth=1
	s_or_b32 exec_lo, exec_lo, s6
	s_wait_dscnt 0x0
	s_barrier_signal -1
	s_barrier_wait -1
	s_barrier_signal -1
	s_barrier_wait -1
	s_and_saveexec_b32 s6, s14
	s_cbranch_execz .LBB52_172
; %bb.171:                              ;   in Loop: Header=BB52_3 Depth=1
	v_add_nc_u32_e64 v32, 0x1d0, 0
	ds_load_b64 v[36:37], v5 offset:30680
	ds_load_2addr_stride64_b64 v[32:35], v32 offset0:58 offset1:59
	s_wait_dscnt 0x0
	v_dual_mul_f32 v75, v37, v33 :: v_dual_mul_f32 v76, v36, v33
	s_delay_alu instid0(VALU_DEP_1) | instskip(NEXT) | instid1(VALU_DEP_1)
	v_xor_b32_e32 v78, 0x80000000, v75
	v_dual_fmac_f32 v76, v37, v32 :: v_dual_fmac_f32 v78, v36, v32
	s_delay_alu instid0(VALU_DEP_1) | instskip(NEXT) | instid1(VALU_DEP_1)
	v_pk_mul_f32 v[32:33], v[76:77], v[34:35] op_sel:[0,1] op_sel_hi:[0,0]
	v_pk_fma_f32 v[36:37], v[78:79], v[34:35], v[32:33] op_sel_hi:[0,1,1]
	v_pk_fma_f32 v[32:33], v[78:79], v[34:35], v[32:33] neg_lo:[0,0,1] neg_hi:[0,0,1]
	s_delay_alu instid0(VALU_DEP_2)
	v_mov_b32_e32 v33, v37
	ds_store_b64 v5, v[32:33] offset:30672
.LBB52_172:                             ;   in Loop: Header=BB52_3 Depth=1
	s_or_b32 exec_lo, exec_lo, s6
	v_dual_mov_b32 v32, 0 :: v_dual_mov_b32 v33, 0
	s_wait_dscnt 0x0
	s_barrier_signal -1
	s_barrier_wait -1
	global_wb scope:SCOPE_DEV
	s_wait_storecnt 0x0
	global_inv scope:SCOPE_DEV
	s_and_saveexec_b32 s6, s1
	s_cbranch_execz .LBB52_176
; %bb.173:                              ;   in Loop: Header=BB52_3 Depth=1
	ds_load_b64 v[32:33], v39 offset:30144
	ds_load_b64 v[34:35], v40 offset:30672
	s_wait_dscnt 0x0
	v_pk_mul_f32 v[36:37], v[34:35], v[32:33] op_sel:[1,1] op_sel_hi:[0,1]
	s_delay_alu instid0(VALU_DEP_1) | instskip(SKIP_1) | instid1(VALU_DEP_2)
	v_pk_fma_f32 v[76:77], v[34:35], v[32:33], v[36:37] op_sel_hi:[1,0,1]
	v_pk_fma_f32 v[32:33], v[34:35], v[32:33], v[36:37] neg_lo:[0,0,1] neg_hi:[0,0,1]
	v_mov_b32_e32 v33, v77
	s_delay_alu instid0(VALU_DEP_1)
	v_pk_add_f32 v[32:33], v[32:33], 0 op_sel_hi:[1,0]
	s_and_saveexec_b32 s13, s15
	s_cbranch_execz .LBB52_175
; %bb.174:                              ;   in Loop: Header=BB52_3 Depth=1
	ds_load_b64 v[34:35], v41 offset:30656
	ds_load_b64 v[36:37], v5 offset:30680
	s_wait_dscnt 0x0
	v_pk_mul_f32 v[76:77], v[36:37], v[34:35] op_sel:[1,1] op_sel_hi:[0,1]
	s_delay_alu instid0(VALU_DEP_1) | instskip(SKIP_1) | instid1(VALU_DEP_2)
	v_pk_fma_f32 v[78:79], v[36:37], v[34:35], v[76:77] op_sel_hi:[1,0,1]
	v_pk_fma_f32 v[34:35], v[36:37], v[34:35], v[76:77] neg_lo:[0,0,1] neg_hi:[0,0,1]
	v_mov_b32_e32 v35, v79
	s_delay_alu instid0(VALU_DEP_1)
	v_pk_add_f32 v[32:33], v[32:33], v[34:35]
.LBB52_175:                             ;   in Loop: Header=BB52_3 Depth=1
	s_or_b32 exec_lo, exec_lo, s13
.LBB52_176:                             ;   in Loop: Header=BB52_3 Depth=1
	s_delay_alu instid0(SALU_CYCLE_1)
	s_or_b32 exec_lo, exec_lo, s6
	s_and_saveexec_b32 s6, s45
	s_cbranch_execz .LBB52_178
; %bb.177:                              ;   in Loop: Header=BB52_3 Depth=1
	ds_load_b64 v[34:35], v5 offset:29640
	s_wait_dscnt 0x0
	v_pk_mul_f32 v[36:37], v[32:33], v[34:35] op_sel:[1,1] op_sel_hi:[1,0]
	s_delay_alu instid0(VALU_DEP_1) | instskip(SKIP_1) | instid1(VALU_DEP_2)
	v_pk_fma_f32 v[76:77], v[32:33], v[34:35], v[36:37] op_sel_hi:[0,1,1]
	v_pk_fma_f32 v[32:33], v[32:33], v[34:35], v[36:37] neg_lo:[0,0,1] neg_hi:[0,0,1]
	v_mov_b32_e32 v33, v77
	s_delay_alu instid0(VALU_DEP_1)
	v_pk_add_f32 v[34:35], v[32:33], 0 neg_lo:[1,1] neg_hi:[1,1]
	ds_store_b64 v3, v[34:35]
.LBB52_178:                             ;   in Loop: Header=BB52_3 Depth=1
	s_or_b32 exec_lo, exec_lo, s6
	s_wait_loadcnt_dscnt 0x0
	s_barrier_signal -1
	s_barrier_wait -1
	s_and_saveexec_b32 s6, s46
	s_cbranch_execz .LBB52_180
; %bb.179:                              ;   in Loop: Header=BB52_3 Depth=1
	ds_load_b64 v[34:35], v5 offset:29632
	ds_load_b64 v[36:37], v3
	s_wait_dscnt 0x0
	v_pk_mul_f32 v[76:77], v[36:37], v[34:35] op_sel:[1,1] op_sel_hi:[0,1]
	s_delay_alu instid0(VALU_DEP_1) | instskip(SKIP_1) | instid1(VALU_DEP_2)
	v_pk_fma_f32 v[78:79], v[36:37], v[34:35], v[76:77] op_sel_hi:[1,0,1]
	v_pk_fma_f32 v[34:35], v[36:37], v[34:35], v[76:77] neg_lo:[0,0,1] neg_hi:[0,0,1]
	v_mov_b32_e32 v35, v79
	s_delay_alu instid0(VALU_DEP_1)
	v_pk_add_f32 v[32:33], v[32:33], v[34:35] neg_lo:[0,1] neg_hi:[0,1]
.LBB52_180:                             ;   in Loop: Header=BB52_3 Depth=1
	s_or_b32 exec_lo, exec_lo, s6
	s_barrier_signal -1
	s_barrier_wait -1
	s_and_saveexec_b32 s6, s46
	s_cbranch_execz .LBB52_182
; %bb.181:                              ;   in Loop: Header=BB52_3 Depth=1
	ds_load_b64 v[34:35], v5 offset:29120
	s_wait_dscnt 0x0
	v_pk_mul_f32 v[36:37], v[32:33], v[34:35] op_sel:[1,1] op_sel_hi:[1,0]
	s_delay_alu instid0(VALU_DEP_1) | instskip(SKIP_1) | instid1(VALU_DEP_2)
	v_pk_fma_f32 v[76:77], v[32:33], v[34:35], v[36:37] op_sel_hi:[0,1,1]
	v_pk_fma_f32 v[32:33], v[32:33], v[34:35], v[36:37] neg_lo:[0,0,1] neg_hi:[0,0,1]
	v_mov_b32_e32 v33, v77
	s_delay_alu instid0(VALU_DEP_1)
	v_pk_add_f32 v[34:35], v[32:33], 0 neg_lo:[1,1] neg_hi:[1,1]
	ds_store_b64 v3, v[34:35]
.LBB52_182:                             ;   in Loop: Header=BB52_3 Depth=1
	s_or_b32 exec_lo, exec_lo, s6
	s_wait_dscnt 0x0
	s_barrier_signal -1
	s_barrier_wait -1
	s_barrier_signal -1
	s_barrier_wait -1
	s_and_saveexec_b32 s6, s1
; %bb.183:                              ;   in Loop: Header=BB52_3 Depth=1
	ds_store_b64 v42, v[32:33] offset:30656
; %bb.184:                              ;   in Loop: Header=BB52_3 Depth=1
	s_or_b32 exec_lo, exec_lo, s6
	s_wait_dscnt 0x0
	s_barrier_signal -1
	s_barrier_wait -1
	s_barrier_signal -1
	s_barrier_wait -1
	s_and_saveexec_b32 s6, s14
	s_cbranch_execz .LBB52_186
; %bb.185:                              ;   in Loop: Header=BB52_3 Depth=1
	v_add_nc_u32_e64 v32, 0x1c0, 0
	ds_load_b64 v[36:37], v5 offset:29640
	ds_load_2addr_stride64_b64 v[32:35], v32 offset0:56 offset1:57
	s_wait_dscnt 0x0
	v_dual_mul_f32 v75, v37, v33 :: v_dual_mul_f32 v76, v36, v33
	s_delay_alu instid0(VALU_DEP_1) | instskip(NEXT) | instid1(VALU_DEP_1)
	v_xor_b32_e32 v78, 0x80000000, v75
	v_dual_fmac_f32 v76, v37, v32 :: v_dual_fmac_f32 v78, v36, v32
	s_delay_alu instid0(VALU_DEP_1) | instskip(NEXT) | instid1(VALU_DEP_1)
	v_pk_mul_f32 v[32:33], v[76:77], v[34:35] op_sel:[0,1] op_sel_hi:[0,0]
	v_pk_fma_f32 v[36:37], v[78:79], v[34:35], v[32:33] op_sel_hi:[0,1,1]
	v_pk_fma_f32 v[32:33], v[78:79], v[34:35], v[32:33] neg_lo:[0,0,1] neg_hi:[0,0,1]
	s_delay_alu instid0(VALU_DEP_2)
	v_mov_b32_e32 v33, v37
	ds_store_b64 v5, v[32:33] offset:29632
.LBB52_186:                             ;   in Loop: Header=BB52_3 Depth=1
	s_or_b32 exec_lo, exec_lo, s6
	v_mov_b64_e32 v[32:33], 0
	s_wait_dscnt 0x0
	s_barrier_signal -1
	s_barrier_wait -1
	global_wb scope:SCOPE_DEV
	s_wait_storecnt 0x0
	global_inv scope:SCOPE_DEV
	s_and_saveexec_b32 s98, s3
	s_cbranch_execz .LBB52_196
; %bb.187:                              ;   in Loop: Header=BB52_3 Depth=1
	ds_load_b64 v[32:33], v48 offset:29056
	ds_load_b64 v[34:35], v49 offset:32704
	s_wait_dscnt 0x0
	v_dual_mul_f32 v36, v35, v33 :: v_dual_mul_f32 v33, v34, v33
	s_delay_alu instid0(VALU_DEP_1) | instskip(NEXT) | instid1(VALU_DEP_1)
	v_dual_fma_f32 v34, v34, v32, -v36 :: v_dual_fmac_f32 v33, v35, v32
	v_dual_add_f32 v32, 0, v34 :: v_dual_add_f32 v33, 0, v33
	s_and_saveexec_b32 s6, s18
	s_cbranch_execnz .LBB52_1050
; %bb.188:                              ;   in Loop: Header=BB52_3 Depth=1
	s_or_b32 exec_lo, exec_lo, s6
	s_and_saveexec_b32 s6, s19
	s_cbranch_execnz .LBB52_1051
.LBB52_189:                             ;   in Loop: Header=BB52_3 Depth=1
	s_or_b32 exec_lo, exec_lo, s6
	s_and_saveexec_b32 s6, s20
	s_cbranch_execnz .LBB52_1052
.LBB52_190:                             ;   in Loop: Header=BB52_3 Depth=1
	s_or_b32 exec_lo, exec_lo, s6
	s_and_saveexec_b32 s6, s21
	s_cbranch_execnz .LBB52_1053
.LBB52_191:                             ;   in Loop: Header=BB52_3 Depth=1
	s_or_b32 exec_lo, exec_lo, s6
	s_and_saveexec_b32 s6, s22
	s_cbranch_execnz .LBB52_1054
.LBB52_192:                             ;   in Loop: Header=BB52_3 Depth=1
	s_or_b32 exec_lo, exec_lo, s6
	s_and_saveexec_b32 s6, s2
	s_cbranch_execnz .LBB52_1055
.LBB52_193:                             ;   in Loop: Header=BB52_3 Depth=1
	s_or_b32 exec_lo, exec_lo, s6
	s_and_saveexec_b32 s6, s17
	s_cbranch_execz .LBB52_195
.LBB52_194:                             ;   in Loop: Header=BB52_3 Depth=1
	ds_load_b64 v[34:35], v41 offset:32640
	ds_load_b64 v[36:37], v5 offset:32760
	s_wait_dscnt 0x0
	v_dual_mul_f32 v75, v37, v35 :: v_dual_mul_f32 v77, v36, v35
	s_delay_alu instid0(VALU_DEP_1) | instskip(NEXT) | instid1(VALU_DEP_1)
	v_dual_fma_f32 v76, v36, v34, -v75 :: v_dual_fmac_f32 v77, v37, v34
	v_pk_add_f32 v[32:33], v[32:33], v[76:77]
.LBB52_195:                             ;   in Loop: Header=BB52_3 Depth=1
	s_or_b32 exec_lo, exec_lo, s6
.LBB52_196:                             ;   in Loop: Header=BB52_3 Depth=1
	s_delay_alu instid0(SALU_CYCLE_1)
	s_or_b32 exec_lo, exec_lo, s98
	s_and_saveexec_b32 s6, s53
	s_cbranch_execz .LBB52_198
; %bb.197:                              ;   in Loop: Header=BB52_3 Depth=1
	ds_load_b64 v[34:35], v5 offset:28600
	s_wait_dscnt 0x0
	v_pk_mul_f32 v[36:37], v[32:33], v[34:35] op_sel:[1,1] op_sel_hi:[1,0]
	s_delay_alu instid0(VALU_DEP_1) | instskip(SKIP_1) | instid1(VALU_DEP_2)
	v_pk_fma_f32 v[76:77], v[32:33], v[34:35], v[36:37] op_sel_hi:[0,1,1]
	v_pk_fma_f32 v[32:33], v[32:33], v[34:35], v[36:37] neg_lo:[0,0,1] neg_hi:[0,0,1]
	v_mov_b32_e32 v33, v77
	s_delay_alu instid0(VALU_DEP_1)
	v_pk_add_f32 v[34:35], v[32:33], 0 neg_lo:[1,1] neg_hi:[1,1]
	ds_store_b64 v47, v[34:35]
.LBB52_198:                             ;   in Loop: Header=BB52_3 Depth=1
	s_or_b32 exec_lo, exec_lo, s6
	s_wait_loadcnt_dscnt 0x0
	s_barrier_signal -1
	s_barrier_wait -1
	s_and_saveexec_b32 s6, s54
	s_cbranch_execz .LBB52_200
; %bb.199:                              ;   in Loop: Header=BB52_3 Depth=1
	ds_load_b64 v[34:35], v48 offset:28544
	ds_load_b64 v[36:37], v47
	s_wait_dscnt 0x0
	v_pk_mul_f32 v[76:77], v[36:37], v[34:35] op_sel:[1,1] op_sel_hi:[0,1]
	s_delay_alu instid0(VALU_DEP_1) | instskip(SKIP_1) | instid1(VALU_DEP_2)
	v_pk_fma_f32 v[78:79], v[36:37], v[34:35], v[76:77] op_sel_hi:[1,0,1]
	v_pk_fma_f32 v[34:35], v[36:37], v[34:35], v[76:77] neg_lo:[0,0,1] neg_hi:[0,0,1]
	v_mov_b32_e32 v35, v79
	s_delay_alu instid0(VALU_DEP_1)
	v_pk_add_f32 v[32:33], v[32:33], v[34:35] neg_lo:[0,1] neg_hi:[0,1]
.LBB52_200:                             ;   in Loop: Header=BB52_3 Depth=1
	s_or_b32 exec_lo, exec_lo, s6
	s_barrier_signal -1
	s_barrier_wait -1
	s_and_saveexec_b32 s6, s55
	s_cbranch_execz .LBB52_202
; %bb.201:                              ;   in Loop: Header=BB52_3 Depth=1
	ds_load_b64 v[34:35], v5 offset:28080
	s_wait_dscnt 0x0
	v_pk_mul_f32 v[36:37], v[32:33], v[34:35] op_sel:[1,1] op_sel_hi:[1,0]
	s_delay_alu instid0(VALU_DEP_1) | instskip(SKIP_1) | instid1(VALU_DEP_2)
	v_pk_fma_f32 v[76:77], v[32:33], v[34:35], v[36:37] op_sel_hi:[0,1,1]
	v_pk_fma_f32 v[32:33], v[32:33], v[34:35], v[36:37] neg_lo:[0,0,1] neg_hi:[0,0,1]
	v_mov_b32_e32 v33, v77
	s_delay_alu instid0(VALU_DEP_1)
	v_pk_add_f32 v[34:35], v[32:33], 0 neg_lo:[1,1] neg_hi:[1,1]
	ds_store_b64 v47, v[34:35]
.LBB52_202:                             ;   in Loop: Header=BB52_3 Depth=1
	s_or_b32 exec_lo, exec_lo, s6
	s_wait_dscnt 0x0
	s_barrier_signal -1
	s_barrier_wait -1
	s_and_saveexec_b32 s6, s56
	s_cbranch_execz .LBB52_204
; %bb.203:                              ;   in Loop: Header=BB52_3 Depth=1
	ds_load_b64 v[34:35], v48 offset:28032
	ds_load_b64 v[36:37], v47
	s_wait_dscnt 0x0
	v_pk_mul_f32 v[76:77], v[36:37], v[34:35] op_sel:[1,1] op_sel_hi:[0,1]
	s_delay_alu instid0(VALU_DEP_1) | instskip(SKIP_1) | instid1(VALU_DEP_2)
	v_pk_fma_f32 v[78:79], v[36:37], v[34:35], v[76:77] op_sel_hi:[1,0,1]
	v_pk_fma_f32 v[34:35], v[36:37], v[34:35], v[76:77] neg_lo:[0,0,1] neg_hi:[0,0,1]
	v_mov_b32_e32 v35, v79
	s_delay_alu instid0(VALU_DEP_1)
	v_pk_add_f32 v[32:33], v[32:33], v[34:35] neg_lo:[0,1] neg_hi:[0,1]
.LBB52_204:                             ;   in Loop: Header=BB52_3 Depth=1
	s_or_b32 exec_lo, exec_lo, s6
	s_barrier_signal -1
	s_barrier_wait -1
	s_and_saveexec_b32 s6, s57
	s_cbranch_execz .LBB52_206
; %bb.205:                              ;   in Loop: Header=BB52_3 Depth=1
	ds_load_b64 v[34:35], v5 offset:27560
	s_wait_dscnt 0x0
	v_pk_mul_f32 v[36:37], v[32:33], v[34:35] op_sel:[1,1] op_sel_hi:[1,0]
	s_delay_alu instid0(VALU_DEP_1) | instskip(SKIP_1) | instid1(VALU_DEP_2)
	v_pk_fma_f32 v[76:77], v[32:33], v[34:35], v[36:37] op_sel_hi:[0,1,1]
	v_pk_fma_f32 v[32:33], v[32:33], v[34:35], v[36:37] neg_lo:[0,0,1] neg_hi:[0,0,1]
	v_mov_b32_e32 v33, v77
	s_delay_alu instid0(VALU_DEP_1)
	v_pk_add_f32 v[34:35], v[32:33], 0 neg_lo:[1,1] neg_hi:[1,1]
	ds_store_b64 v47, v[34:35]
.LBB52_206:                             ;   in Loop: Header=BB52_3 Depth=1
	s_or_b32 exec_lo, exec_lo, s6
	s_wait_dscnt 0x0
	s_barrier_signal -1
	s_barrier_wait -1
	s_and_saveexec_b32 s6, s58
	s_cbranch_execz .LBB52_208
; %bb.207:                              ;   in Loop: Header=BB52_3 Depth=1
	ds_load_b64 v[34:35], v48 offset:27520
	ds_load_b64 v[36:37], v47
	s_wait_dscnt 0x0
	v_pk_mul_f32 v[76:77], v[36:37], v[34:35] op_sel:[1,1] op_sel_hi:[0,1]
	s_delay_alu instid0(VALU_DEP_1) | instskip(SKIP_1) | instid1(VALU_DEP_2)
	v_pk_fma_f32 v[78:79], v[36:37], v[34:35], v[76:77] op_sel_hi:[1,0,1]
	v_pk_fma_f32 v[34:35], v[36:37], v[34:35], v[76:77] neg_lo:[0,0,1] neg_hi:[0,0,1]
	v_mov_b32_e32 v35, v79
	s_delay_alu instid0(VALU_DEP_1)
	v_pk_add_f32 v[32:33], v[32:33], v[34:35] neg_lo:[0,1] neg_hi:[0,1]
.LBB52_208:                             ;   in Loop: Header=BB52_3 Depth=1
	s_or_b32 exec_lo, exec_lo, s6
	s_barrier_signal -1
	s_barrier_wait -1
	s_and_saveexec_b32 s6, s59
	s_cbranch_execz .LBB52_210
; %bb.209:                              ;   in Loop: Header=BB52_3 Depth=1
	ds_load_b64 v[34:35], v5 offset:27040
	s_wait_dscnt 0x0
	v_pk_mul_f32 v[36:37], v[32:33], v[34:35]
	v_pk_mul_f32 v[32:33], v[32:33], v[34:35] op_sel:[1,0] op_sel_hi:[0,1]
	s_delay_alu instid0(VALU_DEP_1) | instskip(NEXT) | instid1(VALU_DEP_3)
	v_dual_mov_b32 v34, v36 :: v_dual_mov_b32 v35, v32
	v_mov_b32_e32 v32, v37
	s_delay_alu instid0(VALU_DEP_1) | instskip(SKIP_1) | instid1(VALU_DEP_2)
	v_pk_add_f32 v[36:37], v[34:35], v[32:33]
	v_pk_add_f32 v[32:33], v[34:35], v[32:33] neg_lo:[0,1] neg_hi:[0,1]
	v_mov_b32_e32 v33, v37
	s_delay_alu instid0(VALU_DEP_1)
	v_pk_add_f32 v[34:35], v[32:33], 0 neg_lo:[1,1] neg_hi:[1,1]
	ds_store_b64 v47, v[34:35]
.LBB52_210:                             ;   in Loop: Header=BB52_3 Depth=1
	s_or_b32 exec_lo, exec_lo, s6
	s_wait_dscnt 0x0
	s_barrier_signal -1
	s_barrier_wait -1
	s_and_saveexec_b32 s6, s60
	s_cbranch_execz .LBB52_212
; %bb.211:                              ;   in Loop: Header=BB52_3 Depth=1
	ds_load_b64 v[34:35], v48 offset:27008
	ds_load_b64 v[36:37], v47
	s_wait_dscnt 0x0
	v_dual_mul_f32 v75, v37, v35 :: v_dual_mul_f32 v35, v36, v35
	s_delay_alu instid0(VALU_DEP_1) | instskip(NEXT) | instid1(VALU_DEP_1)
	v_fmac_f32_e32 v35, v37, v34
	v_dual_fma_f32 v36, v36, v34, -v75 :: v_dual_sub_f32 v33, v33, v35
	s_delay_alu instid0(VALU_DEP_1)
	v_sub_f32_e32 v32, v32, v36
.LBB52_212:                             ;   in Loop: Header=BB52_3 Depth=1
	s_or_b32 exec_lo, exec_lo, s6
	s_barrier_signal -1
	s_barrier_wait -1
	s_and_saveexec_b32 s6, s61
	s_cbranch_execz .LBB52_214
; %bb.213:                              ;   in Loop: Header=BB52_3 Depth=1
	ds_load_b64 v[34:35], v5 offset:26520
	s_wait_dscnt 0x0
	v_dual_mul_f32 v36, v33, v34 :: v_dual_mul_f32 v76, v33, v35
	s_delay_alu instid0(VALU_DEP_1) | instskip(NEXT) | instid1(VALU_DEP_2)
	v_pk_fma_f32 v[36:37], v[32:33], v[34:35], v[36:37] op_sel:[1,0,0] op_sel_hi:[0,1,0]
	v_pk_fma_f32 v[32:33], v[32:33], v[34:35], v[76:77] op_sel_hi:[1,1,0] neg_lo:[0,0,1] neg_hi:[0,0,1]
	s_delay_alu instid0(VALU_DEP_2) | instskip(NEXT) | instid1(VALU_DEP_1)
	v_mov_b32_e32 v33, v37
	v_pk_add_f32 v[34:35], v[32:33], 0 neg_lo:[1,1] neg_hi:[1,1]
	ds_store_b64 v47, v[34:35]
.LBB52_214:                             ;   in Loop: Header=BB52_3 Depth=1
	s_or_b32 exec_lo, exec_lo, s6
	s_wait_dscnt 0x0
	s_barrier_signal -1
	s_barrier_wait -1
	s_and_saveexec_b32 s6, s62
	s_cbranch_execz .LBB52_216
; %bb.215:                              ;   in Loop: Header=BB52_3 Depth=1
	ds_load_b64 v[34:35], v48 offset:26496
	ds_load_b64 v[36:37], v47
	s_wait_dscnt 0x0
	v_pk_mul_f32 v[76:77], v[36:37], v[34:35] op_sel:[1,1] op_sel_hi:[0,1]
	s_delay_alu instid0(VALU_DEP_1) | instskip(SKIP_1) | instid1(VALU_DEP_2)
	v_pk_fma_f32 v[78:79], v[36:37], v[34:35], v[76:77] op_sel_hi:[1,0,1]
	v_pk_fma_f32 v[34:35], v[36:37], v[34:35], v[76:77] neg_lo:[0,0,1] neg_hi:[0,0,1]
	v_mov_b32_e32 v35, v79
	s_delay_alu instid0(VALU_DEP_1)
	v_pk_add_f32 v[32:33], v[32:33], v[34:35] neg_lo:[0,1] neg_hi:[0,1]
.LBB52_216:                             ;   in Loop: Header=BB52_3 Depth=1
	s_or_b32 exec_lo, exec_lo, s6
	s_barrier_signal -1
	s_barrier_wait -1
	s_and_saveexec_b32 s6, s63
	s_cbranch_execz .LBB52_218
; %bb.217:                              ;   in Loop: Header=BB52_3 Depth=1
	ds_load_b64 v[34:35], v5 offset:26000
	s_wait_dscnt 0x0
	v_pk_mul_f32 v[36:37], v[32:33], v[34:35] op_sel:[1,1] op_sel_hi:[1,0]
	s_delay_alu instid0(VALU_DEP_1) | instskip(SKIP_1) | instid1(VALU_DEP_2)
	v_pk_fma_f32 v[76:77], v[32:33], v[34:35], v[36:37] op_sel_hi:[0,1,1]
	v_pk_fma_f32 v[32:33], v[32:33], v[34:35], v[36:37] neg_lo:[0,0,1] neg_hi:[0,0,1]
	v_mov_b32_e32 v33, v77
	s_delay_alu instid0(VALU_DEP_1)
	v_pk_add_f32 v[34:35], v[32:33], 0 neg_lo:[1,1] neg_hi:[1,1]
	ds_store_b64 v47, v[34:35]
.LBB52_218:                             ;   in Loop: Header=BB52_3 Depth=1
	s_or_b32 exec_lo, exec_lo, s6
	s_wait_dscnt 0x0
	s_barrier_signal -1
	s_barrier_wait -1
	s_and_saveexec_b32 s6, s64
	s_cbranch_execz .LBB52_220
; %bb.219:                              ;   in Loop: Header=BB52_3 Depth=1
	ds_load_b64 v[34:35], v48 offset:25984
	ds_load_b64 v[36:37], v47
	s_wait_dscnt 0x0
	v_pk_mul_f32 v[76:77], v[36:37], v[34:35] op_sel:[1,1] op_sel_hi:[0,1]
	s_delay_alu instid0(VALU_DEP_1) | instskip(SKIP_1) | instid1(VALU_DEP_2)
	v_pk_fma_f32 v[78:79], v[36:37], v[34:35], v[76:77] op_sel_hi:[1,0,1]
	v_pk_fma_f32 v[34:35], v[36:37], v[34:35], v[76:77] neg_lo:[0,0,1] neg_hi:[0,0,1]
	v_mov_b32_e32 v35, v79
	s_delay_alu instid0(VALU_DEP_1)
	v_pk_add_f32 v[32:33], v[32:33], v[34:35] neg_lo:[0,1] neg_hi:[0,1]
.LBB52_220:                             ;   in Loop: Header=BB52_3 Depth=1
	s_or_b32 exec_lo, exec_lo, s6
	s_barrier_signal -1
	s_barrier_wait -1
	s_and_saveexec_b32 s6, s65
	s_cbranch_execz .LBB52_222
; %bb.221:                              ;   in Loop: Header=BB52_3 Depth=1
	ds_load_b64 v[34:35], v5 offset:25480
	s_wait_dscnt 0x0
	v_pk_mul_f32 v[36:37], v[32:33], v[34:35] op_sel:[1,1] op_sel_hi:[1,0]
	s_delay_alu instid0(VALU_DEP_1) | instskip(SKIP_1) | instid1(VALU_DEP_2)
	v_pk_fma_f32 v[76:77], v[32:33], v[34:35], v[36:37] op_sel_hi:[0,1,1]
	v_pk_fma_f32 v[32:33], v[32:33], v[34:35], v[36:37] neg_lo:[0,0,1] neg_hi:[0,0,1]
	v_mov_b32_e32 v33, v77
	s_delay_alu instid0(VALU_DEP_1)
	v_pk_add_f32 v[34:35], v[32:33], 0 neg_lo:[1,1] neg_hi:[1,1]
	ds_store_b64 v47, v[34:35]
.LBB52_222:                             ;   in Loop: Header=BB52_3 Depth=1
	;; [unrolled: 35-line block ×3, first 2 shown]
	s_or_b32 exec_lo, exec_lo, s6
	s_wait_dscnt 0x0
	s_barrier_signal -1
	s_barrier_wait -1
	s_barrier_signal -1
	s_barrier_wait -1
	s_and_saveexec_b32 s6, s3
; %bb.227:                              ;   in Loop: Header=BB52_3 Depth=1
	ds_store_b64 v50, v[32:33] offset:32640
; %bb.228:                              ;   in Loop: Header=BB52_3 Depth=1
	s_or_b32 exec_lo, exec_lo, s6
	s_wait_dscnt 0x0
	s_barrier_signal -1
	s_barrier_wait -1
	s_barrier_signal -1
	s_barrier_wait -1
	s_and_saveexec_b32 s6, s14
	s_cbranch_execz .LBB52_230
; %bb.229:                              ;   in Loop: Header=BB52_3 Depth=1
	v_add_nc_u32_e64 v32, 0x1b0, 0
	ds_load_b64 v[36:37], v5 offset:28600
	ds_load_2addr_stride64_b64 v[32:35], v32 offset0:54 offset1:55
	s_wait_dscnt 0x0
	v_dual_mul_f32 v75, v37, v33 :: v_dual_mul_f32 v76, v36, v33
	s_delay_alu instid0(VALU_DEP_1) | instskip(NEXT) | instid1(VALU_DEP_1)
	v_xor_b32_e32 v78, 0x80000000, v75
	v_dual_fmac_f32 v76, v37, v32 :: v_dual_fmac_f32 v78, v36, v32
	s_delay_alu instid0(VALU_DEP_1) | instskip(NEXT) | instid1(VALU_DEP_1)
	v_pk_mul_f32 v[32:33], v[76:77], v[34:35] op_sel:[0,1] op_sel_hi:[0,0]
	v_pk_fma_f32 v[36:37], v[78:79], v[34:35], v[32:33] op_sel_hi:[0,1,1]
	v_pk_fma_f32 v[32:33], v[78:79], v[34:35], v[32:33] neg_lo:[0,0,1] neg_hi:[0,0,1]
	s_delay_alu instid0(VALU_DEP_2)
	v_mov_b32_e32 v33, v37
	ds_store_b64 v5, v[32:33] offset:28592
.LBB52_230:                             ;   in Loop: Header=BB52_3 Depth=1
	s_or_b32 exec_lo, exec_lo, s6
	v_dual_mov_b32 v32, 0 :: v_dual_mov_b32 v33, 0
	s_wait_dscnt 0x0
	s_barrier_signal -1
	s_barrier_wait -1
	global_wb scope:SCOPE_DEV
	s_wait_storecnt 0x0
	global_inv scope:SCOPE_DEV
	s_and_saveexec_b32 s6, s1
	s_cbranch_execz .LBB52_234
; %bb.231:                              ;   in Loop: Header=BB52_3 Depth=1
	ds_load_b64 v[32:33], v39 offset:28064
	ds_load_b64 v[34:35], v40 offset:28592
	s_wait_dscnt 0x0
	v_pk_mul_f32 v[36:37], v[34:35], v[32:33] op_sel:[1,1] op_sel_hi:[0,1]
	s_delay_alu instid0(VALU_DEP_1) | instskip(SKIP_1) | instid1(VALU_DEP_2)
	v_pk_fma_f32 v[76:77], v[34:35], v[32:33], v[36:37] op_sel_hi:[1,0,1]
	v_pk_fma_f32 v[32:33], v[34:35], v[32:33], v[36:37] neg_lo:[0,0,1] neg_hi:[0,0,1]
	v_mov_b32_e32 v33, v77
	s_delay_alu instid0(VALU_DEP_1)
	v_pk_add_f32 v[32:33], v[32:33], 0 op_sel_hi:[1,0]
	s_and_saveexec_b32 s13, s15
	s_cbranch_execz .LBB52_233
; %bb.232:                              ;   in Loop: Header=BB52_3 Depth=1
	ds_load_b64 v[34:35], v41 offset:28576
	ds_load_b64 v[36:37], v5 offset:28600
	s_wait_dscnt 0x0
	v_pk_mul_f32 v[76:77], v[36:37], v[34:35] op_sel:[1,1] op_sel_hi:[0,1]
	s_delay_alu instid0(VALU_DEP_1) | instskip(SKIP_1) | instid1(VALU_DEP_2)
	v_pk_fma_f32 v[78:79], v[36:37], v[34:35], v[76:77] op_sel_hi:[1,0,1]
	v_pk_fma_f32 v[34:35], v[36:37], v[34:35], v[76:77] neg_lo:[0,0,1] neg_hi:[0,0,1]
	v_mov_b32_e32 v35, v79
	s_delay_alu instid0(VALU_DEP_1)
	v_pk_add_f32 v[32:33], v[32:33], v[34:35]
.LBB52_233:                             ;   in Loop: Header=BB52_3 Depth=1
	s_or_b32 exec_lo, exec_lo, s13
.LBB52_234:                             ;   in Loop: Header=BB52_3 Depth=1
	s_delay_alu instid0(SALU_CYCLE_1)
	s_or_b32 exec_lo, exec_lo, s6
	s_and_saveexec_b32 s6, s45
	s_cbranch_execz .LBB52_236
; %bb.235:                              ;   in Loop: Header=BB52_3 Depth=1
	ds_load_b64 v[34:35], v5 offset:27560
	s_wait_dscnt 0x0
	v_pk_mul_f32 v[36:37], v[32:33], v[34:35] op_sel:[1,1] op_sel_hi:[1,0]
	s_delay_alu instid0(VALU_DEP_1) | instskip(SKIP_1) | instid1(VALU_DEP_2)
	v_pk_fma_f32 v[76:77], v[32:33], v[34:35], v[36:37] op_sel_hi:[0,1,1]
	v_pk_fma_f32 v[32:33], v[32:33], v[34:35], v[36:37] neg_lo:[0,0,1] neg_hi:[0,0,1]
	v_mov_b32_e32 v33, v77
	s_delay_alu instid0(VALU_DEP_1)
	v_pk_add_f32 v[34:35], v[32:33], 0 neg_lo:[1,1] neg_hi:[1,1]
	ds_store_b64 v3, v[34:35]
.LBB52_236:                             ;   in Loop: Header=BB52_3 Depth=1
	s_or_b32 exec_lo, exec_lo, s6
	s_wait_loadcnt_dscnt 0x0
	s_barrier_signal -1
	s_barrier_wait -1
	s_and_saveexec_b32 s6, s46
	s_cbranch_execz .LBB52_238
; %bb.237:                              ;   in Loop: Header=BB52_3 Depth=1
	ds_load_b64 v[34:35], v5 offset:27552
	ds_load_b64 v[36:37], v3
	s_wait_dscnt 0x0
	v_pk_mul_f32 v[76:77], v[36:37], v[34:35] op_sel:[1,1] op_sel_hi:[0,1]
	s_delay_alu instid0(VALU_DEP_1) | instskip(SKIP_1) | instid1(VALU_DEP_2)
	v_pk_fma_f32 v[78:79], v[36:37], v[34:35], v[76:77] op_sel_hi:[1,0,1]
	v_pk_fma_f32 v[34:35], v[36:37], v[34:35], v[76:77] neg_lo:[0,0,1] neg_hi:[0,0,1]
	v_mov_b32_e32 v35, v79
	s_delay_alu instid0(VALU_DEP_1)
	v_pk_add_f32 v[32:33], v[32:33], v[34:35] neg_lo:[0,1] neg_hi:[0,1]
.LBB52_238:                             ;   in Loop: Header=BB52_3 Depth=1
	s_or_b32 exec_lo, exec_lo, s6
	s_barrier_signal -1
	s_barrier_wait -1
	s_and_saveexec_b32 s6, s46
	s_cbranch_execz .LBB52_240
; %bb.239:                              ;   in Loop: Header=BB52_3 Depth=1
	ds_load_b64 v[34:35], v5 offset:27040
	s_wait_dscnt 0x0
	v_pk_mul_f32 v[36:37], v[32:33], v[34:35] op_sel:[1,1] op_sel_hi:[1,0]
	s_delay_alu instid0(VALU_DEP_1) | instskip(SKIP_1) | instid1(VALU_DEP_2)
	v_pk_fma_f32 v[76:77], v[32:33], v[34:35], v[36:37] op_sel_hi:[0,1,1]
	v_pk_fma_f32 v[32:33], v[32:33], v[34:35], v[36:37] neg_lo:[0,0,1] neg_hi:[0,0,1]
	v_mov_b32_e32 v33, v77
	s_delay_alu instid0(VALU_DEP_1)
	v_pk_add_f32 v[34:35], v[32:33], 0 neg_lo:[1,1] neg_hi:[1,1]
	ds_store_b64 v3, v[34:35]
.LBB52_240:                             ;   in Loop: Header=BB52_3 Depth=1
	s_or_b32 exec_lo, exec_lo, s6
	s_wait_dscnt 0x0
	s_barrier_signal -1
	s_barrier_wait -1
	s_barrier_signal -1
	s_barrier_wait -1
	s_and_saveexec_b32 s6, s1
; %bb.241:                              ;   in Loop: Header=BB52_3 Depth=1
	ds_store_b64 v42, v[32:33] offset:28576
; %bb.242:                              ;   in Loop: Header=BB52_3 Depth=1
	s_or_b32 exec_lo, exec_lo, s6
	s_wait_dscnt 0x0
	s_barrier_signal -1
	s_barrier_wait -1
	s_barrier_signal -1
	s_barrier_wait -1
	s_and_saveexec_b32 s6, s14
	s_cbranch_execz .LBB52_244
; %bb.243:                              ;   in Loop: Header=BB52_3 Depth=1
	v_add_nc_u32_e64 v32, 0x1a0, 0
	ds_load_b64 v[36:37], v5 offset:27560
	ds_load_2addr_stride64_b64 v[32:35], v32 offset0:52 offset1:53
	s_wait_dscnt 0x0
	v_dual_mul_f32 v75, v37, v33 :: v_dual_mul_f32 v76, v36, v33
	s_delay_alu instid0(VALU_DEP_1) | instskip(NEXT) | instid1(VALU_DEP_1)
	v_xor_b32_e32 v78, 0x80000000, v75
	v_dual_fmac_f32 v76, v37, v32 :: v_dual_fmac_f32 v78, v36, v32
	s_delay_alu instid0(VALU_DEP_1) | instskip(NEXT) | instid1(VALU_DEP_1)
	v_pk_mul_f32 v[32:33], v[76:77], v[34:35] op_sel:[0,1] op_sel_hi:[0,0]
	v_pk_fma_f32 v[36:37], v[78:79], v[34:35], v[32:33] op_sel_hi:[0,1,1]
	v_pk_fma_f32 v[32:33], v[78:79], v[34:35], v[32:33] neg_lo:[0,0,1] neg_hi:[0,0,1]
	s_delay_alu instid0(VALU_DEP_2)
	v_mov_b32_e32 v33, v37
	ds_store_b64 v5, v[32:33] offset:27552
.LBB52_244:                             ;   in Loop: Header=BB52_3 Depth=1
	s_or_b32 exec_lo, exec_lo, s6
	v_mov_b64_e32 v[32:33], 0
	s_wait_dscnt 0x0
	s_barrier_signal -1
	s_barrier_wait -1
	global_wb scope:SCOPE_DEV
	s_wait_storecnt 0x0
	global_inv scope:SCOPE_DEV
	s_and_saveexec_b32 s98, s2
	s_cbranch_execz .LBB52_250
; %bb.245:                              ;   in Loop: Header=BB52_3 Depth=1
	ds_load_b64 v[32:33], v44 offset:27008
	ds_load_b64 v[34:35], v45 offset:28576
	s_wait_dscnt 0x0
	v_dual_mul_f32 v36, v35, v33 :: v_dual_mul_f32 v33, v34, v33
	s_delay_alu instid0(VALU_DEP_1) | instskip(NEXT) | instid1(VALU_DEP_1)
	v_dual_fma_f32 v34, v34, v32, -v36 :: v_dual_fmac_f32 v33, v35, v32
	v_dual_add_f32 v32, 0, v34 :: v_dual_add_f32 v33, 0, v33
	s_and_saveexec_b32 s6, s16
	s_cbranch_execnz .LBB52_1056
; %bb.246:                              ;   in Loop: Header=BB52_3 Depth=1
	s_or_b32 exec_lo, exec_lo, s6
	s_and_saveexec_b32 s6, s17
	s_cbranch_execnz .LBB52_1057
.LBB52_247:                             ;   in Loop: Header=BB52_3 Depth=1
	s_or_b32 exec_lo, exec_lo, s6
	s_and_saveexec_b32 s6, s1
	s_cbranch_execz .LBB52_249
.LBB52_248:                             ;   in Loop: Header=BB52_3 Depth=1
	ds_load_b64 v[34:35], v41 offset:28544
	ds_load_b64 v[36:37], v5 offset:28600
	s_wait_dscnt 0x0
	v_dual_mul_f32 v75, v37, v35 :: v_dual_mul_f32 v35, v36, v35
	s_delay_alu instid0(VALU_DEP_1) | instskip(NEXT) | instid1(VALU_DEP_1)
	v_fmac_f32_e32 v35, v37, v34
	v_dual_fma_f32 v36, v36, v34, -v75 :: v_dual_add_f32 v33, v33, v35
	s_delay_alu instid0(VALU_DEP_1)
	v_add_f32_e32 v32, v32, v36
.LBB52_249:                             ;   in Loop: Header=BB52_3 Depth=1
	s_or_b32 exec_lo, exec_lo, s6
.LBB52_250:                             ;   in Loop: Header=BB52_3 Depth=1
	s_delay_alu instid0(SALU_CYCLE_1)
	s_or_b32 exec_lo, exec_lo, s98
	s_and_saveexec_b32 s6, s47
	s_cbranch_execz .LBB52_252
; %bb.251:                              ;   in Loop: Header=BB52_3 Depth=1
	ds_load_b64 v[34:35], v5 offset:26520
	s_wait_dscnt 0x0
	v_dual_mul_f32 v36, v33, v34 :: v_dual_mul_f32 v76, v33, v35
	s_delay_alu instid0(VALU_DEP_1) | instskip(NEXT) | instid1(VALU_DEP_2)
	v_pk_fma_f32 v[36:37], v[32:33], v[34:35], v[36:37] op_sel:[1,0,0] op_sel_hi:[0,1,0]
	v_pk_fma_f32 v[32:33], v[32:33], v[34:35], v[76:77] op_sel_hi:[1,1,0] neg_lo:[0,0,1] neg_hi:[0,0,1]
	s_delay_alu instid0(VALU_DEP_2) | instskip(NEXT) | instid1(VALU_DEP_1)
	v_mov_b32_e32 v33, v37
	v_pk_add_f32 v[34:35], v[32:33], 0 neg_lo:[1,1] neg_hi:[1,1]
	ds_store_b64 v43, v[34:35]
.LBB52_252:                             ;   in Loop: Header=BB52_3 Depth=1
	s_or_b32 exec_lo, exec_lo, s6
	s_wait_loadcnt_dscnt 0x0
	s_barrier_signal -1
	s_barrier_wait -1
	s_and_saveexec_b32 s6, s48
	s_cbranch_execz .LBB52_254
; %bb.253:                              ;   in Loop: Header=BB52_3 Depth=1
	ds_load_b64 v[34:35], v44 offset:26496
	ds_load_b64 v[36:37], v43
	s_wait_dscnt 0x0
	v_pk_mul_f32 v[76:77], v[36:37], v[34:35] op_sel:[1,1] op_sel_hi:[0,1]
	s_delay_alu instid0(VALU_DEP_1) | instskip(SKIP_1) | instid1(VALU_DEP_2)
	v_pk_fma_f32 v[78:79], v[36:37], v[34:35], v[76:77] op_sel_hi:[1,0,1]
	v_pk_fma_f32 v[34:35], v[36:37], v[34:35], v[76:77] neg_lo:[0,0,1] neg_hi:[0,0,1]
	v_mov_b32_e32 v35, v79
	s_delay_alu instid0(VALU_DEP_1)
	v_pk_add_f32 v[32:33], v[32:33], v[34:35] neg_lo:[0,1] neg_hi:[0,1]
.LBB52_254:                             ;   in Loop: Header=BB52_3 Depth=1
	s_or_b32 exec_lo, exec_lo, s6
	s_barrier_signal -1
	s_barrier_wait -1
	s_and_saveexec_b32 s6, s49
	s_cbranch_execz .LBB52_256
; %bb.255:                              ;   in Loop: Header=BB52_3 Depth=1
	ds_load_b64 v[34:35], v5 offset:26000
	s_wait_dscnt 0x0
	v_pk_mul_f32 v[36:37], v[32:33], v[34:35] op_sel:[1,1] op_sel_hi:[1,0]
	s_delay_alu instid0(VALU_DEP_1) | instskip(SKIP_1) | instid1(VALU_DEP_2)
	v_pk_fma_f32 v[76:77], v[32:33], v[34:35], v[36:37] op_sel_hi:[0,1,1]
	v_pk_fma_f32 v[32:33], v[32:33], v[34:35], v[36:37] neg_lo:[0,0,1] neg_hi:[0,0,1]
	v_mov_b32_e32 v33, v77
	s_delay_alu instid0(VALU_DEP_1)
	v_pk_add_f32 v[34:35], v[32:33], 0 neg_lo:[1,1] neg_hi:[1,1]
	ds_store_b64 v43, v[34:35]
.LBB52_256:                             ;   in Loop: Header=BB52_3 Depth=1
	s_or_b32 exec_lo, exec_lo, s6
	s_wait_dscnt 0x0
	s_barrier_signal -1
	s_barrier_wait -1
	s_and_saveexec_b32 s6, s50
	s_cbranch_execz .LBB52_258
; %bb.257:                              ;   in Loop: Header=BB52_3 Depth=1
	ds_load_b64 v[34:35], v44 offset:25984
	ds_load_b64 v[36:37], v43
	s_wait_dscnt 0x0
	v_pk_mul_f32 v[76:77], v[36:37], v[34:35] op_sel:[1,1] op_sel_hi:[0,1]
	s_delay_alu instid0(VALU_DEP_1) | instskip(SKIP_1) | instid1(VALU_DEP_2)
	v_pk_fma_f32 v[78:79], v[36:37], v[34:35], v[76:77] op_sel_hi:[1,0,1]
	v_pk_fma_f32 v[34:35], v[36:37], v[34:35], v[76:77] neg_lo:[0,0,1] neg_hi:[0,0,1]
	v_mov_b32_e32 v35, v79
	s_delay_alu instid0(VALU_DEP_1)
	v_pk_add_f32 v[32:33], v[32:33], v[34:35] neg_lo:[0,1] neg_hi:[0,1]
.LBB52_258:                             ;   in Loop: Header=BB52_3 Depth=1
	s_or_b32 exec_lo, exec_lo, s6
	s_barrier_signal -1
	s_barrier_wait -1
	s_and_saveexec_b32 s6, s51
	s_cbranch_execz .LBB52_260
; %bb.259:                              ;   in Loop: Header=BB52_3 Depth=1
	ds_load_b64 v[34:35], v5 offset:25480
	s_wait_dscnt 0x0
	v_pk_mul_f32 v[36:37], v[32:33], v[34:35] op_sel:[1,1] op_sel_hi:[1,0]
	s_delay_alu instid0(VALU_DEP_1) | instskip(SKIP_1) | instid1(VALU_DEP_2)
	v_pk_fma_f32 v[76:77], v[32:33], v[34:35], v[36:37] op_sel_hi:[0,1,1]
	v_pk_fma_f32 v[32:33], v[32:33], v[34:35], v[36:37] neg_lo:[0,0,1] neg_hi:[0,0,1]
	v_mov_b32_e32 v33, v77
	s_delay_alu instid0(VALU_DEP_1)
	v_pk_add_f32 v[34:35], v[32:33], 0 neg_lo:[1,1] neg_hi:[1,1]
	ds_store_b64 v43, v[34:35]
.LBB52_260:                             ;   in Loop: Header=BB52_3 Depth=1
	s_or_b32 exec_lo, exec_lo, s6
	s_wait_dscnt 0x0
	;; [unrolled: 35-line block ×3, first 2 shown]
	s_barrier_signal -1
	s_barrier_wait -1
	s_barrier_signal -1
	s_barrier_wait -1
	s_and_saveexec_b32 s6, s2
; %bb.265:                              ;   in Loop: Header=BB52_3 Depth=1
	ds_store_b64 v46, v[32:33] offset:28544
; %bb.266:                              ;   in Loop: Header=BB52_3 Depth=1
	s_or_b32 exec_lo, exec_lo, s6
	s_wait_dscnt 0x0
	s_barrier_signal -1
	s_barrier_wait -1
	s_barrier_signal -1
	s_barrier_wait -1
	s_and_saveexec_b32 s6, s14
	s_cbranch_execz .LBB52_268
; %bb.267:                              ;   in Loop: Header=BB52_3 Depth=1
	v_add_nc_u32_e64 v32, 0x190, 0
	ds_load_b64 v[36:37], v5 offset:26520
	ds_load_2addr_stride64_b64 v[32:35], v32 offset0:50 offset1:51
	s_wait_dscnt 0x0
	v_dual_mul_f32 v75, v37, v33 :: v_dual_mul_f32 v76, v36, v33
	s_delay_alu instid0(VALU_DEP_1) | instskip(NEXT) | instid1(VALU_DEP_1)
	v_xor_b32_e32 v78, 0x80000000, v75
	v_dual_fmac_f32 v76, v37, v32 :: v_dual_fmac_f32 v78, v36, v32
	s_delay_alu instid0(VALU_DEP_1) | instskip(NEXT) | instid1(VALU_DEP_1)
	v_pk_mul_f32 v[32:33], v[76:77], v[34:35] op_sel:[0,1] op_sel_hi:[0,0]
	v_pk_fma_f32 v[36:37], v[78:79], v[34:35], v[32:33] op_sel_hi:[0,1,1]
	v_pk_fma_f32 v[32:33], v[78:79], v[34:35], v[32:33] neg_lo:[0,0,1] neg_hi:[0,0,1]
	s_delay_alu instid0(VALU_DEP_2)
	v_mov_b32_e32 v33, v37
	ds_store_b64 v5, v[32:33] offset:26512
.LBB52_268:                             ;   in Loop: Header=BB52_3 Depth=1
	s_or_b32 exec_lo, exec_lo, s6
	v_dual_mov_b32 v32, 0 :: v_dual_mov_b32 v33, 0
	s_wait_dscnt 0x0
	s_barrier_signal -1
	s_barrier_wait -1
	global_wb scope:SCOPE_DEV
	s_wait_storecnt 0x0
	global_inv scope:SCOPE_DEV
	s_and_saveexec_b32 s6, s1
	s_cbranch_execz .LBB52_272
; %bb.269:                              ;   in Loop: Header=BB52_3 Depth=1
	ds_load_b64 v[32:33], v39 offset:25984
	ds_load_b64 v[34:35], v40 offset:26512
	s_wait_dscnt 0x0
	v_pk_mul_f32 v[36:37], v[34:35], v[32:33] op_sel:[1,1] op_sel_hi:[0,1]
	s_delay_alu instid0(VALU_DEP_1) | instskip(SKIP_1) | instid1(VALU_DEP_2)
	v_pk_fma_f32 v[76:77], v[34:35], v[32:33], v[36:37] op_sel_hi:[1,0,1]
	v_pk_fma_f32 v[32:33], v[34:35], v[32:33], v[36:37] neg_lo:[0,0,1] neg_hi:[0,0,1]
	v_mov_b32_e32 v33, v77
	s_delay_alu instid0(VALU_DEP_1)
	v_pk_add_f32 v[32:33], v[32:33], 0 op_sel_hi:[1,0]
	s_and_saveexec_b32 s13, s15
	s_cbranch_execz .LBB52_271
; %bb.270:                              ;   in Loop: Header=BB52_3 Depth=1
	ds_load_b64 v[34:35], v41 offset:26496
	ds_load_b64 v[36:37], v5 offset:26520
	s_wait_dscnt 0x0
	v_pk_mul_f32 v[76:77], v[36:37], v[34:35] op_sel:[1,1] op_sel_hi:[0,1]
	s_delay_alu instid0(VALU_DEP_1) | instskip(SKIP_1) | instid1(VALU_DEP_2)
	v_pk_fma_f32 v[78:79], v[36:37], v[34:35], v[76:77] op_sel_hi:[1,0,1]
	v_pk_fma_f32 v[34:35], v[36:37], v[34:35], v[76:77] neg_lo:[0,0,1] neg_hi:[0,0,1]
	v_mov_b32_e32 v35, v79
	s_delay_alu instid0(VALU_DEP_1)
	v_pk_add_f32 v[32:33], v[32:33], v[34:35]
.LBB52_271:                             ;   in Loop: Header=BB52_3 Depth=1
	s_or_b32 exec_lo, exec_lo, s13
.LBB52_272:                             ;   in Loop: Header=BB52_3 Depth=1
	s_delay_alu instid0(SALU_CYCLE_1)
	s_or_b32 exec_lo, exec_lo, s6
	s_and_saveexec_b32 s6, s45
	s_cbranch_execz .LBB52_274
; %bb.273:                              ;   in Loop: Header=BB52_3 Depth=1
	ds_load_b64 v[34:35], v5 offset:25480
	s_wait_dscnt 0x0
	v_pk_mul_f32 v[36:37], v[32:33], v[34:35] op_sel:[1,1] op_sel_hi:[1,0]
	s_delay_alu instid0(VALU_DEP_1) | instskip(SKIP_1) | instid1(VALU_DEP_2)
	v_pk_fma_f32 v[76:77], v[32:33], v[34:35], v[36:37] op_sel_hi:[0,1,1]
	v_pk_fma_f32 v[32:33], v[32:33], v[34:35], v[36:37] neg_lo:[0,0,1] neg_hi:[0,0,1]
	v_mov_b32_e32 v33, v77
	s_delay_alu instid0(VALU_DEP_1)
	v_pk_add_f32 v[34:35], v[32:33], 0 neg_lo:[1,1] neg_hi:[1,1]
	ds_store_b64 v3, v[34:35]
.LBB52_274:                             ;   in Loop: Header=BB52_3 Depth=1
	s_or_b32 exec_lo, exec_lo, s6
	s_wait_loadcnt_dscnt 0x0
	s_barrier_signal -1
	s_barrier_wait -1
	s_and_saveexec_b32 s6, s46
	s_cbranch_execz .LBB52_276
; %bb.275:                              ;   in Loop: Header=BB52_3 Depth=1
	ds_load_b64 v[34:35], v5 offset:25472
	ds_load_b64 v[36:37], v3
	s_wait_dscnt 0x0
	v_pk_mul_f32 v[76:77], v[36:37], v[34:35] op_sel:[1,1] op_sel_hi:[0,1]
	s_delay_alu instid0(VALU_DEP_1) | instskip(SKIP_1) | instid1(VALU_DEP_2)
	v_pk_fma_f32 v[78:79], v[36:37], v[34:35], v[76:77] op_sel_hi:[1,0,1]
	v_pk_fma_f32 v[34:35], v[36:37], v[34:35], v[76:77] neg_lo:[0,0,1] neg_hi:[0,0,1]
	v_mov_b32_e32 v35, v79
	s_delay_alu instid0(VALU_DEP_1)
	v_pk_add_f32 v[32:33], v[32:33], v[34:35] neg_lo:[0,1] neg_hi:[0,1]
.LBB52_276:                             ;   in Loop: Header=BB52_3 Depth=1
	s_or_b32 exec_lo, exec_lo, s6
	s_barrier_signal -1
	s_barrier_wait -1
	s_and_saveexec_b32 s6, s46
	s_cbranch_execz .LBB52_278
; %bb.277:                              ;   in Loop: Header=BB52_3 Depth=1
	ds_load_b64 v[34:35], v5 offset:24960
	s_wait_dscnt 0x0
	v_pk_mul_f32 v[36:37], v[32:33], v[34:35] op_sel:[1,1] op_sel_hi:[1,0]
	s_delay_alu instid0(VALU_DEP_1) | instskip(SKIP_1) | instid1(VALU_DEP_2)
	v_pk_fma_f32 v[76:77], v[32:33], v[34:35], v[36:37] op_sel_hi:[0,1,1]
	v_pk_fma_f32 v[32:33], v[32:33], v[34:35], v[36:37] neg_lo:[0,0,1] neg_hi:[0,0,1]
	v_mov_b32_e32 v33, v77
	s_delay_alu instid0(VALU_DEP_1)
	v_pk_add_f32 v[34:35], v[32:33], 0 neg_lo:[1,1] neg_hi:[1,1]
	ds_store_b64 v3, v[34:35]
.LBB52_278:                             ;   in Loop: Header=BB52_3 Depth=1
	s_or_b32 exec_lo, exec_lo, s6
	s_wait_dscnt 0x0
	s_barrier_signal -1
	s_barrier_wait -1
	s_barrier_signal -1
	s_barrier_wait -1
	s_and_saveexec_b32 s6, s1
; %bb.279:                              ;   in Loop: Header=BB52_3 Depth=1
	ds_store_b64 v42, v[32:33] offset:26496
; %bb.280:                              ;   in Loop: Header=BB52_3 Depth=1
	s_or_b32 exec_lo, exec_lo, s6
	s_wait_dscnt 0x0
	s_barrier_signal -1
	s_barrier_wait -1
	s_barrier_signal -1
	s_barrier_wait -1
	s_and_saveexec_b32 s6, s14
	s_cbranch_execz .LBB52_282
; %bb.281:                              ;   in Loop: Header=BB52_3 Depth=1
	v_add_nc_u32_e64 v32, 0x180, 0
	ds_load_b64 v[36:37], v5 offset:25480
	ds_load_2addr_stride64_b64 v[32:35], v32 offset0:48 offset1:49
	s_wait_dscnt 0x0
	v_dual_mul_f32 v75, v37, v33 :: v_dual_mul_f32 v76, v36, v33
	s_delay_alu instid0(VALU_DEP_1) | instskip(NEXT) | instid1(VALU_DEP_1)
	v_xor_b32_e32 v78, 0x80000000, v75
	v_dual_fmac_f32 v76, v37, v32 :: v_dual_fmac_f32 v78, v36, v32
	s_delay_alu instid0(VALU_DEP_1) | instskip(NEXT) | instid1(VALU_DEP_1)
	v_pk_mul_f32 v[32:33], v[76:77], v[34:35] op_sel:[0,1] op_sel_hi:[0,0]
	v_pk_fma_f32 v[36:37], v[78:79], v[34:35], v[32:33] op_sel_hi:[0,1,1]
	v_pk_fma_f32 v[32:33], v[78:79], v[34:35], v[32:33] neg_lo:[0,0,1] neg_hi:[0,0,1]
	s_delay_alu instid0(VALU_DEP_2)
	v_mov_b32_e32 v33, v37
	ds_store_b64 v5, v[32:33] offset:25472
.LBB52_282:                             ;   in Loop: Header=BB52_3 Depth=1
	s_or_b32 exec_lo, exec_lo, s6
	v_mov_b64_e32 v[32:33], 0
	s_wait_dscnt 0x0
	s_barrier_signal -1
	s_barrier_wait -1
	global_wb scope:SCOPE_DEV
	s_wait_storecnt 0x0
	global_inv scope:SCOPE_DEV
	s_and_saveexec_b32 s98, s4
	s_cbranch_execz .LBB52_310
; %bb.283:                              ;   in Loop: Header=BB52_3 Depth=1
	ds_load_b64 v[32:33], v52 offset:24832
	ds_load_b64 v[34:35], v53 offset:32640
	s_wait_dscnt 0x0
	v_dual_mul_f32 v36, v35, v33 :: v_dual_mul_f32 v33, v34, v33
	s_delay_alu instid0(VALU_DEP_1) | instskip(NEXT) | instid1(VALU_DEP_1)
	v_dual_fma_f32 v34, v34, v32, -v36 :: v_dual_fmac_f32 v33, v35, v32
	v_dual_add_f32 v32, 0, v34 :: v_dual_add_f32 v33, 0, v33
	s_mov_b32 s6, exec_lo
	v_readlane_b32 s13, v85, 0
	s_and_b32 s13, s6, s13
	s_delay_alu instid0(SALU_CYCLE_1)
	s_mov_b32 exec_lo, s13
	s_cbranch_execz .LBB52_285
; %bb.284:                              ;   in Loop: Header=BB52_3 Depth=1
	ds_load_b64 v[34:35], v52 offset:25344
	ds_load_b64 v[36:37], v53 offset:32648
	s_wait_dscnt 0x0
	v_dual_mul_f32 v75, v37, v35 :: v_dual_mul_f32 v35, v36, v35
	s_delay_alu instid0(VALU_DEP_1) | instskip(NEXT) | instid1(VALU_DEP_1)
	v_fmac_f32_e32 v35, v37, v34
	v_dual_fma_f32 v36, v36, v34, -v75 :: v_dual_add_f32 v33, v33, v35
	s_delay_alu instid0(VALU_DEP_1)
	v_add_f32_e32 v32, v32, v36
.LBB52_285:                             ;   in Loop: Header=BB52_3 Depth=1
	s_or_b32 exec_lo, exec_lo, s6
	s_delay_alu instid0(SALU_CYCLE_1) | instskip(SKIP_2) | instid1(SALU_CYCLE_1)
	s_mov_b32 s6, exec_lo
	v_readlane_b32 s13, v85, 1
	s_and_b32 s13, s6, s13
	s_mov_b32 exec_lo, s13
	s_cbranch_execz .LBB52_287
; %bb.286:                              ;   in Loop: Header=BB52_3 Depth=1
	ds_load_b64 v[34:35], v52 offset:25856
	ds_load_b64 v[36:37], v53 offset:32656
	s_wait_dscnt 0x0
	v_dual_mul_f32 v75, v37, v35 :: v_dual_mul_f32 v35, v36, v35
	s_delay_alu instid0(VALU_DEP_1) | instskip(NEXT) | instid1(VALU_DEP_1)
	v_fmac_f32_e32 v35, v37, v34
	v_dual_fma_f32 v36, v36, v34, -v75 :: v_dual_add_f32 v33, v33, v35
	s_delay_alu instid0(VALU_DEP_1)
	v_add_f32_e32 v32, v32, v36
.LBB52_287:                             ;   in Loop: Header=BB52_3 Depth=1
	s_or_b32 exec_lo, exec_lo, s6
	s_delay_alu instid0(SALU_CYCLE_1) | instskip(SKIP_2) | instid1(SALU_CYCLE_1)
	s_mov_b32 s6, exec_lo
	v_readlane_b32 s13, v85, 2
	s_and_b32 s13, s6, s13
	;; [unrolled: 18-line block ×10, first 2 shown]
	s_mov_b32 exec_lo, s13
	s_cbranch_execnz .LBB52_1058
; %bb.304:                              ;   in Loop: Header=BB52_3 Depth=1
	s_or_b32 exec_lo, exec_lo, s6
	s_and_saveexec_b32 s6, s3
	s_cbranch_execnz .LBB52_1059
.LBB52_305:                             ;   in Loop: Header=BB52_3 Depth=1
	s_or_b32 exec_lo, exec_lo, s6
	s_and_saveexec_b32 s6, s19
	s_cbranch_execnz .LBB52_1060
.LBB52_306:                             ;   in Loop: Header=BB52_3 Depth=1
	s_or_b32 exec_lo, exec_lo, s6
	s_and_saveexec_b32 s6, s21
	s_cbranch_execnz .LBB52_1061
.LBB52_307:                             ;   in Loop: Header=BB52_3 Depth=1
	s_or_b32 exec_lo, exec_lo, s6
	s_and_saveexec_b32 s6, s2
	s_cbranch_execz .LBB52_309
.LBB52_308:                             ;   in Loop: Header=BB52_3 Depth=1
	ds_load_b64 v[34:35], v41 offset:32512
	ds_load_b64 v[36:37], v5 offset:32760
	s_wait_dscnt 0x0
	v_dual_mul_f32 v75, v37, v35 :: v_dual_mul_f32 v77, v36, v35
	s_delay_alu instid0(VALU_DEP_1) | instskip(NEXT) | instid1(VALU_DEP_1)
	v_dual_fma_f32 v76, v36, v34, -v75 :: v_dual_fmac_f32 v77, v37, v34
	v_pk_add_f32 v[32:33], v[32:33], v[76:77]
.LBB52_309:                             ;   in Loop: Header=BB52_3 Depth=1
	s_or_b32 exec_lo, exec_lo, s6
.LBB52_310:                             ;   in Loop: Header=BB52_3 Depth=1
	s_delay_alu instid0(SALU_CYCLE_1) | instskip(NEXT) | instid1(SALU_CYCLE_1)
	s_or_b32 exec_lo, exec_lo, s98
	s_mov_b32 s6, exec_lo
	v_readlane_b32 s13, v86, 5
	s_and_b32 s13, s6, s13
	s_delay_alu instid0(SALU_CYCLE_1)
	s_mov_b32 exec_lo, s13
	s_cbranch_execz .LBB52_312
; %bb.311:                              ;   in Loop: Header=BB52_3 Depth=1
	ds_load_b64 v[34:35], v5 offset:24440
	s_wait_dscnt 0x0
	v_pk_mul_f32 v[36:37], v[32:33], v[34:35] op_sel:[1,1] op_sel_hi:[1,0]
	s_delay_alu instid0(VALU_DEP_1) | instskip(SKIP_1) | instid1(VALU_DEP_2)
	v_pk_fma_f32 v[76:77], v[32:33], v[34:35], v[36:37] op_sel_hi:[0,1,1]
	v_pk_fma_f32 v[32:33], v[32:33], v[34:35], v[36:37] neg_lo:[0,0,1] neg_hi:[0,0,1]
	v_mov_b32_e32 v33, v77
	s_delay_alu instid0(VALU_DEP_1)
	v_pk_add_f32 v[34:35], v[32:33], 0 neg_lo:[1,1] neg_hi:[1,1]
	ds_store_b64 v51, v[34:35]
.LBB52_312:                             ;   in Loop: Header=BB52_3 Depth=1
	s_or_b32 exec_lo, exec_lo, s6
	s_wait_loadcnt_dscnt 0x0
	s_barrier_signal -1
	s_barrier_wait -1
	s_mov_b32 s6, exec_lo
	v_readlane_b32 s13, v86, 6
	s_and_b32 s13, s6, s13
	s_delay_alu instid0(SALU_CYCLE_1)
	s_mov_b32 exec_lo, s13
	s_cbranch_execz .LBB52_314
; %bb.313:                              ;   in Loop: Header=BB52_3 Depth=1
	ds_load_b64 v[34:35], v52 offset:24320
	ds_load_b64 v[36:37], v51
	s_wait_dscnt 0x0
	v_pk_mul_f32 v[76:77], v[36:37], v[34:35] op_sel:[1,1] op_sel_hi:[0,1]
	s_delay_alu instid0(VALU_DEP_1) | instskip(SKIP_1) | instid1(VALU_DEP_2)
	v_pk_fma_f32 v[78:79], v[36:37], v[34:35], v[76:77] op_sel_hi:[1,0,1]
	v_pk_fma_f32 v[34:35], v[36:37], v[34:35], v[76:77] neg_lo:[0,0,1] neg_hi:[0,0,1]
	v_mov_b32_e32 v35, v79
	s_delay_alu instid0(VALU_DEP_1)
	v_pk_add_f32 v[32:33], v[32:33], v[34:35] neg_lo:[0,1] neg_hi:[0,1]
.LBB52_314:                             ;   in Loop: Header=BB52_3 Depth=1
	s_or_b32 exec_lo, exec_lo, s6
	s_barrier_signal -1
	s_barrier_wait -1
	s_mov_b32 s6, exec_lo
	v_readlane_b32 s13, v86, 7
	s_and_b32 s13, s6, s13
	s_delay_alu instid0(SALU_CYCLE_1)
	s_mov_b32 exec_lo, s13
	s_cbranch_execz .LBB52_316
; %bb.315:                              ;   in Loop: Header=BB52_3 Depth=1
	ds_load_b64 v[34:35], v5 offset:23920
	s_wait_dscnt 0x0
	v_pk_mul_f32 v[36:37], v[32:33], v[34:35] op_sel:[1,1] op_sel_hi:[1,0]
	s_delay_alu instid0(VALU_DEP_1) | instskip(SKIP_1) | instid1(VALU_DEP_2)
	v_pk_fma_f32 v[76:77], v[32:33], v[34:35], v[36:37] op_sel_hi:[0,1,1]
	v_pk_fma_f32 v[32:33], v[32:33], v[34:35], v[36:37] neg_lo:[0,0,1] neg_hi:[0,0,1]
	v_mov_b32_e32 v33, v77
	s_delay_alu instid0(VALU_DEP_1)
	v_pk_add_f32 v[34:35], v[32:33], 0 neg_lo:[1,1] neg_hi:[1,1]
	ds_store_b64 v51, v[34:35]
.LBB52_316:                             ;   in Loop: Header=BB52_3 Depth=1
	s_or_b32 exec_lo, exec_lo, s6
	s_wait_dscnt 0x0
	s_barrier_signal -1
	s_barrier_wait -1
	s_mov_b32 s6, exec_lo
	v_readlane_b32 s13, v86, 8
	s_and_b32 s13, s6, s13
	s_delay_alu instid0(SALU_CYCLE_1)
	s_mov_b32 exec_lo, s13
	s_cbranch_execz .LBB52_318
; %bb.317:                              ;   in Loop: Header=BB52_3 Depth=1
	ds_load_b64 v[34:35], v52 offset:23808
	ds_load_b64 v[36:37], v51
	s_wait_dscnt 0x0
	v_pk_mul_f32 v[76:77], v[36:37], v[34:35] op_sel:[1,1] op_sel_hi:[0,1]
	s_delay_alu instid0(VALU_DEP_1) | instskip(SKIP_1) | instid1(VALU_DEP_2)
	v_pk_fma_f32 v[78:79], v[36:37], v[34:35], v[76:77] op_sel_hi:[1,0,1]
	v_pk_fma_f32 v[34:35], v[36:37], v[34:35], v[76:77] neg_lo:[0,0,1] neg_hi:[0,0,1]
	v_mov_b32_e32 v35, v79
	s_delay_alu instid0(VALU_DEP_1)
	v_pk_add_f32 v[32:33], v[32:33], v[34:35] neg_lo:[0,1] neg_hi:[0,1]
.LBB52_318:                             ;   in Loop: Header=BB52_3 Depth=1
	s_or_b32 exec_lo, exec_lo, s6
	s_barrier_signal -1
	s_barrier_wait -1
	s_mov_b32 s6, exec_lo
	v_readlane_b32 s13, v86, 9
	s_and_b32 s13, s6, s13
	s_delay_alu instid0(SALU_CYCLE_1)
	s_mov_b32 exec_lo, s13
	s_cbranch_execz .LBB52_320
; %bb.319:                              ;   in Loop: Header=BB52_3 Depth=1
	ds_load_b64 v[34:35], v5 offset:23400
	s_wait_dscnt 0x0
	v_pk_mul_f32 v[36:37], v[32:33], v[34:35] op_sel:[1,1] op_sel_hi:[1,0]
	s_delay_alu instid0(VALU_DEP_1) | instskip(SKIP_1) | instid1(VALU_DEP_2)
	v_pk_fma_f32 v[76:77], v[32:33], v[34:35], v[36:37] op_sel_hi:[0,1,1]
	v_pk_fma_f32 v[32:33], v[32:33], v[34:35], v[36:37] neg_lo:[0,0,1] neg_hi:[0,0,1]
	v_mov_b32_e32 v33, v77
	s_delay_alu instid0(VALU_DEP_1)
	v_pk_add_f32 v[34:35], v[32:33], 0 neg_lo:[1,1] neg_hi:[1,1]
	ds_store_b64 v51, v[34:35]
.LBB52_320:                             ;   in Loop: Header=BB52_3 Depth=1
	s_or_b32 exec_lo, exec_lo, s6
	s_wait_dscnt 0x0
	s_barrier_signal -1
	s_barrier_wait -1
	s_mov_b32 s6, exec_lo
	v_readlane_b32 s13, v86, 10
	s_and_b32 s13, s6, s13
	s_delay_alu instid0(SALU_CYCLE_1)
	s_mov_b32 exec_lo, s13
	s_cbranch_execz .LBB52_322
; %bb.321:                              ;   in Loop: Header=BB52_3 Depth=1
	ds_load_b64 v[34:35], v52 offset:23296
	ds_load_b64 v[36:37], v51
	s_wait_dscnt 0x0
	v_pk_mul_f32 v[76:77], v[36:37], v[34:35] op_sel:[1,1] op_sel_hi:[0,1]
	s_delay_alu instid0(VALU_DEP_1) | instskip(SKIP_1) | instid1(VALU_DEP_2)
	v_pk_fma_f32 v[78:79], v[36:37], v[34:35], v[76:77] op_sel_hi:[1,0,1]
	v_pk_fma_f32 v[34:35], v[36:37], v[34:35], v[76:77] neg_lo:[0,0,1] neg_hi:[0,0,1]
	v_mov_b32_e32 v35, v79
	s_delay_alu instid0(VALU_DEP_1)
	v_pk_add_f32 v[32:33], v[32:33], v[34:35] neg_lo:[0,1] neg_hi:[0,1]
.LBB52_322:                             ;   in Loop: Header=BB52_3 Depth=1
	s_or_b32 exec_lo, exec_lo, s6
	s_delay_alu instid0(VALU_DEP_1)
	v_dual_mov_b32 v34, v33 :: v_dual_mov_b32 v35, v32
	s_barrier_signal -1
	s_barrier_wait -1
	s_mov_b32 s6, exec_lo
	v_readlane_b32 s13, v86, 11
	s_and_b32 s13, s6, s13
	s_delay_alu instid0(SALU_CYCLE_1)
	s_mov_b32 exec_lo, s13
	s_cbranch_execz .LBB52_324
; %bb.323:                              ;   in Loop: Header=BB52_3 Depth=1
	ds_load_b64 v[36:37], v5 offset:22880
	s_wait_dscnt 0x0
	v_dual_mul_f32 v76, v35, v37 :: v_dual_mul_f32 v78, v33, v37
	s_delay_alu instid0(VALU_DEP_1) | instskip(NEXT) | instid1(VALU_DEP_2)
	v_pk_fma_f32 v[34:35], v[34:35], v[36:37], v[76:77] op_sel_hi:[1,1,0]
	v_pk_fma_f32 v[32:33], v[32:33], v[36:37], v[78:79] op_sel_hi:[1,1,0] neg_lo:[0,0,1] neg_hi:[0,0,1]
	s_delay_alu instid0(VALU_DEP_1) | instskip(NEXT) | instid1(VALU_DEP_1)
	v_dual_mov_b32 v33, v34 :: v_dual_mov_b32 v35, v32
	v_pk_add_f32 v[36:37], v[32:33], 0 neg_lo:[1,1] neg_hi:[1,1]
	ds_store_b64 v51, v[36:37]
.LBB52_324:                             ;   in Loop: Header=BB52_3 Depth=1
	s_or_b32 exec_lo, exec_lo, s6
	s_wait_dscnt 0x0
	s_barrier_signal -1
	s_barrier_wait -1
	s_and_saveexec_b32 s6, s27
	s_cbranch_execz .LBB52_326
; %bb.325:                              ;   in Loop: Header=BB52_3 Depth=1
	ds_load_b64 v[32:33], v52 offset:22784
	ds_load_b64 v[36:37], v51
	s_wait_dscnt 0x0
	v_dual_mul_f32 v75, v37, v33 :: v_dual_mul_f32 v76, v36, v33
	s_delay_alu instid0(VALU_DEP_1) | instskip(NEXT) | instid1(VALU_DEP_1)
	v_dual_fma_f32 v77, v36, v32, -v75 :: v_dual_fmac_f32 v76, v37, v32
	v_pk_add_f32 v[34:35], v[34:35], v[76:77] neg_lo:[0,1] neg_hi:[0,1]
.LBB52_326:                             ;   in Loop: Header=BB52_3 Depth=1
	s_or_b32 exec_lo, exec_lo, s6
	s_barrier_signal -1
	s_barrier_wait -1
	s_and_saveexec_b32 s6, s29
	s_cbranch_execz .LBB52_328
; %bb.327:                              ;   in Loop: Header=BB52_3 Depth=1
	ds_load_b64 v[32:33], v5 offset:22360
	s_wait_dscnt 0x0
	v_pk_mul_f32 v[36:37], v[34:35], v[32:33] op_sel_hi:[0,1]
	s_delay_alu instid0(VALU_DEP_1) | instskip(SKIP_1) | instid1(VALU_DEP_2)
	v_pk_fma_f32 v[76:77], v[34:35], v[32:33], v[36:37] op_sel:[1,1,0] op_sel_hi:[1,0,1] neg_lo:[0,0,1] neg_hi:[0,0,1]
	v_pk_fma_f32 v[34:35], v[34:35], v[32:33], v[36:37] op_sel:[1,1,0] op_sel_hi:[1,0,1]
	v_mov_b32_e32 v35, v77
	s_delay_alu instid0(VALU_DEP_2)
	v_xor_b32_e32 v33, 0x80000000, v34
	v_xor_b32_e32 v32, 0x80000000, v77
	ds_store_b64 v51, v[32:33]
.LBB52_328:                             ;   in Loop: Header=BB52_3 Depth=1
	s_or_b32 exec_lo, exec_lo, s6
	s_wait_dscnt 0x0
	s_barrier_signal -1
	s_barrier_wait -1
	s_and_saveexec_b32 s6, s31
	s_cbranch_execz .LBB52_330
; %bb.329:                              ;   in Loop: Header=BB52_3 Depth=1
	ds_load_b64 v[32:33], v52 offset:22272
	ds_load_b64 v[36:37], v51
	s_wait_dscnt 0x0
	v_pk_mul_f32 v[76:77], v[36:37], v[32:33] op_sel:[0,1]
	s_delay_alu instid0(VALU_DEP_1) | instskip(SKIP_1) | instid1(VALU_DEP_2)
	v_pk_fma_f32 v[78:79], v[36:37], v[32:33], v[76:77] op_sel:[1,0,0] op_sel_hi:[0,0,1] neg_lo:[0,0,1] neg_hi:[0,0,1]
	v_pk_fma_f32 v[32:33], v[36:37], v[32:33], v[76:77] op_sel:[1,0,0] op_sel_hi:[0,1,1]
	v_mov_b32_e32 v33, v79
	s_delay_alu instid0(VALU_DEP_1)
	v_pk_add_f32 v[34:35], v[34:35], v[32:33] neg_lo:[0,1] neg_hi:[0,1]
.LBB52_330:                             ;   in Loop: Header=BB52_3 Depth=1
	s_or_b32 exec_lo, exec_lo, s6
	s_barrier_signal -1
	s_barrier_wait -1
	s_and_saveexec_b32 s6, s34
	s_cbranch_execz .LBB52_332
; %bb.331:                              ;   in Loop: Header=BB52_3 Depth=1
	ds_load_b64 v[32:33], v5 offset:21840
	s_wait_dscnt 0x0
	v_pk_mul_f32 v[36:37], v[34:35], v[32:33] op_sel_hi:[0,1]
	s_delay_alu instid0(VALU_DEP_1) | instskip(SKIP_1) | instid1(VALU_DEP_2)
	v_pk_fma_f32 v[76:77], v[34:35], v[32:33], v[36:37] op_sel:[1,1,0] op_sel_hi:[1,0,1] neg_lo:[0,0,1] neg_hi:[0,0,1]
	v_pk_fma_f32 v[34:35], v[34:35], v[32:33], v[36:37] op_sel:[1,1,0] op_sel_hi:[1,0,1]
	v_mov_b32_e32 v35, v77
	s_delay_alu instid0(VALU_DEP_2)
	v_xor_b32_e32 v33, 0x80000000, v34
	v_xor_b32_e32 v32, 0x80000000, v77
	ds_store_b64 v51, v[32:33]
.LBB52_332:                             ;   in Loop: Header=BB52_3 Depth=1
	s_or_b32 exec_lo, exec_lo, s6
	s_wait_dscnt 0x0
	s_barrier_signal -1
	s_barrier_wait -1
	s_and_saveexec_b32 s6, s38
	s_cbranch_execz .LBB52_334
; %bb.333:                              ;   in Loop: Header=BB52_3 Depth=1
	ds_load_b64 v[32:33], v52 offset:21760
	ds_load_b64 v[36:37], v51
	s_wait_dscnt 0x0
	v_pk_mul_f32 v[76:77], v[36:37], v[32:33] op_sel:[0,1]
	s_delay_alu instid0(VALU_DEP_1) | instskip(SKIP_1) | instid1(VALU_DEP_2)
	v_pk_fma_f32 v[78:79], v[36:37], v[32:33], v[76:77] op_sel:[1,0,0] op_sel_hi:[0,0,1] neg_lo:[0,0,1] neg_hi:[0,0,1]
	v_pk_fma_f32 v[32:33], v[36:37], v[32:33], v[76:77] op_sel:[1,0,0] op_sel_hi:[0,1,1]
	v_mov_b32_e32 v33, v79
	s_delay_alu instid0(VALU_DEP_1)
	v_pk_add_f32 v[34:35], v[34:35], v[32:33] neg_lo:[0,1] neg_hi:[0,1]
.LBB52_334:                             ;   in Loop: Header=BB52_3 Depth=1
	;; [unrolled: 36-line block ×3, first 2 shown]
	s_or_b32 exec_lo, exec_lo, s6
	s_delay_alu instid0(VALU_DEP_1)
	v_dual_mov_b32 v32, v35 :: v_dual_mov_b32 v33, v34
	s_barrier_signal -1
	s_barrier_wait -1
	s_and_saveexec_b32 s6, s41
	s_cbranch_execz .LBB52_340
; %bb.339:                              ;   in Loop: Header=BB52_3 Depth=1
	ds_load_b64 v[36:37], v5 offset:20800
	s_wait_dscnt 0x0
	v_dual_mul_f32 v76, v34, v36 :: v_dual_mul_f32 v78, v33, v37
	s_delay_alu instid0(VALU_DEP_1) | instskip(NEXT) | instid1(VALU_DEP_2)
	v_pk_fma_f32 v[34:35], v[34:35], v[36:37], v[76:77] op_sel_hi:[1,1,0]
	v_pk_fma_f32 v[32:33], v[32:33], v[36:37], v[78:79] op_sel_hi:[1,1,0] neg_lo:[0,0,1] neg_hi:[0,0,1]
	s_delay_alu instid0(VALU_DEP_2) | instskip(NEXT) | instid1(VALU_DEP_1)
	v_mov_b32_e32 v33, v35
	v_pk_add_f32 v[34:35], v[32:33], 0 neg_lo:[1,1] neg_hi:[1,1]
	ds_store_b64 v51, v[34:35]
.LBB52_340:                             ;   in Loop: Header=BB52_3 Depth=1
	s_or_b32 exec_lo, exec_lo, s6
	s_wait_dscnt 0x0
	s_barrier_signal -1
	s_barrier_wait -1
	s_and_saveexec_b32 s6, s9
	s_cbranch_execz .LBB52_342
; %bb.341:                              ;   in Loop: Header=BB52_3 Depth=1
	ds_load_b64 v[34:35], v52 offset:20736
	ds_load_b64 v[36:37], v51
	s_wait_dscnt 0x0
	v_dual_mul_f32 v75, v37, v35 :: v_dual_mul_f32 v77, v36, v35
	s_delay_alu instid0(VALU_DEP_1) | instskip(NEXT) | instid1(VALU_DEP_1)
	v_dual_fma_f32 v76, v36, v34, -v75 :: v_dual_fmac_f32 v77, v37, v34
	v_pk_add_f32 v[32:33], v[32:33], v[76:77] neg_lo:[0,1] neg_hi:[0,1]
.LBB52_342:                             ;   in Loop: Header=BB52_3 Depth=1
	s_or_b32 exec_lo, exec_lo, s6
	s_barrier_signal -1
	s_barrier_wait -1
	s_and_saveexec_b32 s6, s42
	s_cbranch_execz .LBB52_344
; %bb.343:                              ;   in Loop: Header=BB52_3 Depth=1
	ds_load_b64 v[34:35], v5 offset:20280
	s_wait_dscnt 0x0
	v_pk_mul_f32 v[36:37], v[32:33], v[34:35] op_sel:[1,1] op_sel_hi:[1,0]
	s_delay_alu instid0(VALU_DEP_1) | instskip(SKIP_1) | instid1(VALU_DEP_2)
	v_pk_fma_f32 v[76:77], v[32:33], v[34:35], v[36:37] op_sel_hi:[0,1,1]
	v_pk_fma_f32 v[32:33], v[32:33], v[34:35], v[36:37] neg_lo:[0,0,1] neg_hi:[0,0,1]
	v_mov_b32_e32 v33, v77
	s_delay_alu instid0(VALU_DEP_1)
	v_pk_add_f32 v[34:35], v[32:33], 0 neg_lo:[1,1] neg_hi:[1,1]
	ds_store_b64 v51, v[34:35]
.LBB52_344:                             ;   in Loop: Header=BB52_3 Depth=1
	s_or_b32 exec_lo, exec_lo, s6
	s_wait_dscnt 0x0
	s_barrier_signal -1
	s_barrier_wait -1
	s_and_saveexec_b32 s6, s24
	s_cbranch_execz .LBB52_346
; %bb.345:                              ;   in Loop: Header=BB52_3 Depth=1
	ds_load_b64 v[34:35], v52 offset:20224
	ds_load_b64 v[36:37], v51
	s_wait_dscnt 0x0
	v_pk_mul_f32 v[76:77], v[36:37], v[34:35] op_sel:[1,1] op_sel_hi:[0,1]
	s_delay_alu instid0(VALU_DEP_1) | instskip(SKIP_1) | instid1(VALU_DEP_2)
	v_pk_fma_f32 v[78:79], v[36:37], v[34:35], v[76:77] op_sel_hi:[1,0,1]
	v_pk_fma_f32 v[34:35], v[36:37], v[34:35], v[76:77] neg_lo:[0,0,1] neg_hi:[0,0,1]
	v_mov_b32_e32 v35, v79
	s_delay_alu instid0(VALU_DEP_1)
	v_pk_add_f32 v[32:33], v[32:33], v[34:35] neg_lo:[0,1] neg_hi:[0,1]
.LBB52_346:                             ;   in Loop: Header=BB52_3 Depth=1
	s_or_b32 exec_lo, exec_lo, s6
	s_barrier_signal -1
	s_barrier_wait -1
	s_and_saveexec_b32 s6, s26
	s_cbranch_execz .LBB52_348
; %bb.347:                              ;   in Loop: Header=BB52_3 Depth=1
	ds_load_b64 v[34:35], v5 offset:19760
	s_wait_dscnt 0x0
	v_pk_mul_f32 v[36:37], v[32:33], v[34:35] op_sel:[1,1] op_sel_hi:[1,0]
	s_delay_alu instid0(VALU_DEP_1) | instskip(SKIP_1) | instid1(VALU_DEP_2)
	v_pk_fma_f32 v[76:77], v[32:33], v[34:35], v[36:37] op_sel_hi:[0,1,1]
	v_pk_fma_f32 v[32:33], v[32:33], v[34:35], v[36:37] neg_lo:[0,0,1] neg_hi:[0,0,1]
	v_mov_b32_e32 v33, v77
	s_delay_alu instid0(VALU_DEP_1)
	v_pk_add_f32 v[34:35], v[32:33], 0 neg_lo:[1,1] neg_hi:[1,1]
	ds_store_b64 v51, v[34:35]
.LBB52_348:                             ;   in Loop: Header=BB52_3 Depth=1
	s_or_b32 exec_lo, exec_lo, s6
	s_wait_dscnt 0x0
	s_barrier_signal -1
	s_barrier_wait -1
	s_and_saveexec_b32 s6, s28
	s_cbranch_execz .LBB52_350
; %bb.349:                              ;   in Loop: Header=BB52_3 Depth=1
	ds_load_b64 v[34:35], v52 offset:19712
	ds_load_b64 v[36:37], v51
	s_wait_dscnt 0x0
	v_pk_mul_f32 v[76:77], v[36:37], v[34:35] op_sel:[1,1] op_sel_hi:[0,1]
	s_delay_alu instid0(VALU_DEP_1) | instskip(SKIP_1) | instid1(VALU_DEP_2)
	v_pk_fma_f32 v[78:79], v[36:37], v[34:35], v[76:77] op_sel_hi:[1,0,1]
	v_pk_fma_f32 v[34:35], v[36:37], v[34:35], v[76:77] neg_lo:[0,0,1] neg_hi:[0,0,1]
	v_mov_b32_e32 v35, v79
	s_delay_alu instid0(VALU_DEP_1)
	v_pk_add_f32 v[32:33], v[32:33], v[34:35] neg_lo:[0,1] neg_hi:[0,1]
.LBB52_350:                             ;   in Loop: Header=BB52_3 Depth=1
	;; [unrolled: 35-line block ×3, first 2 shown]
	s_or_b32 exec_lo, exec_lo, s6
	s_barrier_signal -1
	s_barrier_wait -1
	s_and_saveexec_b32 s6, s80
	s_cbranch_execz .LBB52_356
; %bb.355:                              ;   in Loop: Header=BB52_3 Depth=1
	ds_load_b64 v[34:35], v5 offset:18720
	s_wait_dscnt 0x0
	v_pk_mul_f32 v[36:37], v[32:33], v[34:35]
	v_pk_mul_f32 v[32:33], v[32:33], v[34:35] op_sel:[1,0] op_sel_hi:[0,1]
	s_delay_alu instid0(VALU_DEP_1) | instskip(NEXT) | instid1(VALU_DEP_3)
	v_dual_mov_b32 v34, v36 :: v_dual_mov_b32 v35, v32
	v_mov_b32_e32 v32, v37
	s_delay_alu instid0(VALU_DEP_1) | instskip(SKIP_1) | instid1(VALU_DEP_2)
	v_pk_add_f32 v[36:37], v[34:35], v[32:33]
	v_pk_add_f32 v[32:33], v[34:35], v[32:33] neg_lo:[0,1] neg_hi:[0,1]
	v_mov_b32_e32 v33, v37
	s_delay_alu instid0(VALU_DEP_1)
	v_pk_add_f32 v[34:35], v[32:33], 0 neg_lo:[1,1] neg_hi:[1,1]
	ds_store_b64 v51, v[34:35]
.LBB52_356:                             ;   in Loop: Header=BB52_3 Depth=1
	s_or_b32 exec_lo, exec_lo, s6
	s_wait_dscnt 0x0
	s_barrier_signal -1
	s_barrier_wait -1
	s_and_saveexec_b32 s6, s81
	s_cbranch_execz .LBB52_358
; %bb.357:                              ;   in Loop: Header=BB52_3 Depth=1
	ds_load_b64 v[34:35], v52 offset:18688
	ds_load_b64 v[36:37], v51
	s_wait_dscnt 0x0
	v_dual_mul_f32 v75, v37, v35 :: v_dual_mul_f32 v35, v36, v35
	s_delay_alu instid0(VALU_DEP_1) | instskip(NEXT) | instid1(VALU_DEP_1)
	v_fmac_f32_e32 v35, v37, v34
	v_dual_fma_f32 v36, v36, v34, -v75 :: v_dual_sub_f32 v33, v33, v35
	s_delay_alu instid0(VALU_DEP_1)
	v_sub_f32_e32 v32, v32, v36
.LBB52_358:                             ;   in Loop: Header=BB52_3 Depth=1
	s_or_b32 exec_lo, exec_lo, s6
	s_barrier_signal -1
	s_barrier_wait -1
	s_and_saveexec_b32 s6, s78
	s_cbranch_execz .LBB52_360
; %bb.359:                              ;   in Loop: Header=BB52_3 Depth=1
	ds_load_b64 v[34:35], v5 offset:18200
	s_wait_dscnt 0x0
	v_dual_mul_f32 v36, v33, v34 :: v_dual_mul_f32 v76, v33, v35
	s_delay_alu instid0(VALU_DEP_1) | instskip(NEXT) | instid1(VALU_DEP_2)
	v_pk_fma_f32 v[36:37], v[32:33], v[34:35], v[36:37] op_sel:[1,0,0] op_sel_hi:[0,1,0]
	v_pk_fma_f32 v[32:33], v[32:33], v[34:35], v[76:77] op_sel_hi:[1,1,0] neg_lo:[0,0,1] neg_hi:[0,0,1]
	s_delay_alu instid0(VALU_DEP_2) | instskip(NEXT) | instid1(VALU_DEP_1)
	v_mov_b32_e32 v33, v37
	v_pk_add_f32 v[34:35], v[32:33], 0 neg_lo:[1,1] neg_hi:[1,1]
	ds_store_b64 v51, v[34:35]
.LBB52_360:                             ;   in Loop: Header=BB52_3 Depth=1
	s_or_b32 exec_lo, exec_lo, s6
	s_wait_dscnt 0x0
	s_barrier_signal -1
	s_barrier_wait -1
	s_and_saveexec_b32 s6, s79
	s_cbranch_execz .LBB52_362
; %bb.361:                              ;   in Loop: Header=BB52_3 Depth=1
	ds_load_b64 v[34:35], v52 offset:18176
	ds_load_b64 v[36:37], v51
	s_wait_dscnt 0x0
	v_pk_mul_f32 v[76:77], v[36:37], v[34:35] op_sel:[1,1] op_sel_hi:[0,1]
	s_delay_alu instid0(VALU_DEP_1) | instskip(SKIP_1) | instid1(VALU_DEP_2)
	v_pk_fma_f32 v[78:79], v[36:37], v[34:35], v[76:77] op_sel_hi:[1,0,1]
	v_pk_fma_f32 v[34:35], v[36:37], v[34:35], v[76:77] neg_lo:[0,0,1] neg_hi:[0,0,1]
	v_mov_b32_e32 v35, v79
	s_delay_alu instid0(VALU_DEP_1)
	v_pk_add_f32 v[32:33], v[32:33], v[34:35] neg_lo:[0,1] neg_hi:[0,1]
.LBB52_362:                             ;   in Loop: Header=BB52_3 Depth=1
	s_or_b32 exec_lo, exec_lo, s6
	s_barrier_signal -1
	s_barrier_wait -1
	s_and_saveexec_b32 s6, s43
	s_cbranch_execz .LBB52_364
; %bb.363:                              ;   in Loop: Header=BB52_3 Depth=1
	ds_load_b64 v[34:35], v5 offset:17680
	s_wait_dscnt 0x0
	v_pk_mul_f32 v[36:37], v[32:33], v[34:35] op_sel:[1,1] op_sel_hi:[1,0]
	s_delay_alu instid0(VALU_DEP_1) | instskip(SKIP_1) | instid1(VALU_DEP_2)
	v_pk_fma_f32 v[76:77], v[32:33], v[34:35], v[36:37] op_sel_hi:[0,1,1]
	v_pk_fma_f32 v[32:33], v[32:33], v[34:35], v[36:37] neg_lo:[0,0,1] neg_hi:[0,0,1]
	v_mov_b32_e32 v33, v77
	s_delay_alu instid0(VALU_DEP_1)
	v_pk_add_f32 v[34:35], v[32:33], 0 neg_lo:[1,1] neg_hi:[1,1]
	ds_store_b64 v51, v[34:35]
.LBB52_364:                             ;   in Loop: Header=BB52_3 Depth=1
	s_or_b32 exec_lo, exec_lo, s6
	s_wait_dscnt 0x0
	s_barrier_signal -1
	s_barrier_wait -1
	s_and_saveexec_b32 s6, s67
	s_cbranch_execz .LBB52_366
; %bb.365:                              ;   in Loop: Header=BB52_3 Depth=1
	ds_load_b64 v[34:35], v52 offset:17664
	ds_load_b64 v[36:37], v51
	s_wait_dscnt 0x0
	v_pk_mul_f32 v[76:77], v[36:37], v[34:35] op_sel:[1,1] op_sel_hi:[0,1]
	s_delay_alu instid0(VALU_DEP_1) | instskip(SKIP_1) | instid1(VALU_DEP_2)
	v_pk_fma_f32 v[78:79], v[36:37], v[34:35], v[76:77] op_sel_hi:[1,0,1]
	v_pk_fma_f32 v[34:35], v[36:37], v[34:35], v[76:77] neg_lo:[0,0,1] neg_hi:[0,0,1]
	v_mov_b32_e32 v35, v79
	s_delay_alu instid0(VALU_DEP_1)
	v_pk_add_f32 v[32:33], v[32:33], v[34:35] neg_lo:[0,1] neg_hi:[0,1]
.LBB52_366:                             ;   in Loop: Header=BB52_3 Depth=1
	s_or_b32 exec_lo, exec_lo, s6
	s_barrier_signal -1
	s_barrier_wait -1
	s_and_saveexec_b32 s6, s8
	s_cbranch_execz .LBB52_368
; %bb.367:                              ;   in Loop: Header=BB52_3 Depth=1
	ds_load_b64 v[34:35], v5 offset:17160
	s_wait_dscnt 0x0
	v_pk_mul_f32 v[36:37], v[32:33], v[34:35] op_sel:[1,1] op_sel_hi:[1,0]
	s_delay_alu instid0(VALU_DEP_1) | instskip(SKIP_1) | instid1(VALU_DEP_2)
	v_pk_fma_f32 v[76:77], v[32:33], v[34:35], v[36:37] op_sel_hi:[0,1,1]
	v_pk_fma_f32 v[32:33], v[32:33], v[34:35], v[36:37] neg_lo:[0,0,1] neg_hi:[0,0,1]
	v_mov_b32_e32 v33, v77
	s_delay_alu instid0(VALU_DEP_1)
	v_pk_add_f32 v[34:35], v[32:33], 0 neg_lo:[1,1] neg_hi:[1,1]
	ds_store_b64 v51, v[34:35]
.LBB52_368:                             ;   in Loop: Header=BB52_3 Depth=1
	;; [unrolled: 35-line block ×3, first 2 shown]
	s_or_b32 exec_lo, exec_lo, s6
	s_wait_dscnt 0x0
	s_barrier_signal -1
	s_barrier_wait -1
	s_barrier_signal -1
	s_barrier_wait -1
	s_and_saveexec_b32 s6, s4
; %bb.373:                              ;   in Loop: Header=BB52_3 Depth=1
	ds_store_b64 v55, v[32:33] offset:32512
; %bb.374:                              ;   in Loop: Header=BB52_3 Depth=1
	s_or_b32 exec_lo, exec_lo, s6
	s_wait_dscnt 0x0
	s_barrier_signal -1
	s_barrier_wait -1
	s_barrier_signal -1
	s_barrier_wait -1
	s_and_saveexec_b32 s6, s14
	s_cbranch_execz .LBB52_376
; %bb.375:                              ;   in Loop: Header=BB52_3 Depth=1
	v_add_nc_u32_e64 v32, 0x170, 0
	ds_load_b64 v[36:37], v5 offset:24440
	ds_load_2addr_stride64_b64 v[32:35], v32 offset0:46 offset1:47
	s_wait_dscnt 0x0
	v_dual_mul_f32 v75, v37, v33 :: v_dual_mul_f32 v76, v36, v33
	s_delay_alu instid0(VALU_DEP_1) | instskip(NEXT) | instid1(VALU_DEP_1)
	v_xor_b32_e32 v78, 0x80000000, v75
	v_dual_fmac_f32 v76, v37, v32 :: v_dual_fmac_f32 v78, v36, v32
	s_delay_alu instid0(VALU_DEP_1) | instskip(NEXT) | instid1(VALU_DEP_1)
	v_pk_mul_f32 v[32:33], v[76:77], v[34:35] op_sel:[0,1] op_sel_hi:[0,0]
	v_pk_fma_f32 v[36:37], v[78:79], v[34:35], v[32:33] op_sel_hi:[0,1,1]
	v_pk_fma_f32 v[32:33], v[78:79], v[34:35], v[32:33] neg_lo:[0,0,1] neg_hi:[0,0,1]
	s_delay_alu instid0(VALU_DEP_2)
	v_mov_b32_e32 v33, v37
	ds_store_b64 v5, v[32:33] offset:24432
.LBB52_376:                             ;   in Loop: Header=BB52_3 Depth=1
	s_or_b32 exec_lo, exec_lo, s6
	v_dual_mov_b32 v32, 0 :: v_dual_mov_b32 v33, 0
	s_wait_dscnt 0x0
	s_barrier_signal -1
	s_barrier_wait -1
	global_wb scope:SCOPE_DEV
	s_wait_storecnt 0x0
	global_inv scope:SCOPE_DEV
	s_and_saveexec_b32 s6, s1
	s_cbranch_execz .LBB52_380
; %bb.377:                              ;   in Loop: Header=BB52_3 Depth=1
	ds_load_b64 v[32:33], v39 offset:23904
	ds_load_b64 v[34:35], v40 offset:24432
	s_wait_dscnt 0x0
	v_pk_mul_f32 v[36:37], v[34:35], v[32:33] op_sel:[1,1] op_sel_hi:[0,1]
	s_delay_alu instid0(VALU_DEP_1) | instskip(SKIP_1) | instid1(VALU_DEP_2)
	v_pk_fma_f32 v[76:77], v[34:35], v[32:33], v[36:37] op_sel_hi:[1,0,1]
	v_pk_fma_f32 v[32:33], v[34:35], v[32:33], v[36:37] neg_lo:[0,0,1] neg_hi:[0,0,1]
	v_mov_b32_e32 v33, v77
	s_delay_alu instid0(VALU_DEP_1)
	v_pk_add_f32 v[32:33], v[32:33], 0 op_sel_hi:[1,0]
	s_and_saveexec_b32 s13, s15
	s_cbranch_execz .LBB52_379
; %bb.378:                              ;   in Loop: Header=BB52_3 Depth=1
	ds_load_b64 v[34:35], v41 offset:24416
	ds_load_b64 v[36:37], v5 offset:24440
	s_wait_dscnt 0x0
	v_pk_mul_f32 v[76:77], v[36:37], v[34:35] op_sel:[1,1] op_sel_hi:[0,1]
	s_delay_alu instid0(VALU_DEP_1) | instskip(SKIP_1) | instid1(VALU_DEP_2)
	v_pk_fma_f32 v[78:79], v[36:37], v[34:35], v[76:77] op_sel_hi:[1,0,1]
	v_pk_fma_f32 v[34:35], v[36:37], v[34:35], v[76:77] neg_lo:[0,0,1] neg_hi:[0,0,1]
	v_mov_b32_e32 v35, v79
	s_delay_alu instid0(VALU_DEP_1)
	v_pk_add_f32 v[32:33], v[32:33], v[34:35]
.LBB52_379:                             ;   in Loop: Header=BB52_3 Depth=1
	s_or_b32 exec_lo, exec_lo, s13
.LBB52_380:                             ;   in Loop: Header=BB52_3 Depth=1
	s_delay_alu instid0(SALU_CYCLE_1)
	s_or_b32 exec_lo, exec_lo, s6
	s_and_saveexec_b32 s6, s45
	s_cbranch_execz .LBB52_382
; %bb.381:                              ;   in Loop: Header=BB52_3 Depth=1
	ds_load_b64 v[34:35], v5 offset:23400
	s_wait_dscnt 0x0
	v_pk_mul_f32 v[36:37], v[32:33], v[34:35] op_sel:[1,1] op_sel_hi:[1,0]
	s_delay_alu instid0(VALU_DEP_1) | instskip(SKIP_1) | instid1(VALU_DEP_2)
	v_pk_fma_f32 v[76:77], v[32:33], v[34:35], v[36:37] op_sel_hi:[0,1,1]
	v_pk_fma_f32 v[32:33], v[32:33], v[34:35], v[36:37] neg_lo:[0,0,1] neg_hi:[0,0,1]
	v_mov_b32_e32 v33, v77
	s_delay_alu instid0(VALU_DEP_1)
	v_pk_add_f32 v[34:35], v[32:33], 0 neg_lo:[1,1] neg_hi:[1,1]
	ds_store_b64 v3, v[34:35]
.LBB52_382:                             ;   in Loop: Header=BB52_3 Depth=1
	s_or_b32 exec_lo, exec_lo, s6
	s_wait_loadcnt_dscnt 0x0
	s_barrier_signal -1
	s_barrier_wait -1
	s_and_saveexec_b32 s6, s46
	s_cbranch_execz .LBB52_384
; %bb.383:                              ;   in Loop: Header=BB52_3 Depth=1
	ds_load_b64 v[34:35], v5 offset:23392
	ds_load_b64 v[36:37], v3
	s_wait_dscnt 0x0
	v_pk_mul_f32 v[76:77], v[36:37], v[34:35] op_sel:[1,1] op_sel_hi:[0,1]
	s_delay_alu instid0(VALU_DEP_1) | instskip(SKIP_1) | instid1(VALU_DEP_2)
	v_pk_fma_f32 v[78:79], v[36:37], v[34:35], v[76:77] op_sel_hi:[1,0,1]
	v_pk_fma_f32 v[34:35], v[36:37], v[34:35], v[76:77] neg_lo:[0,0,1] neg_hi:[0,0,1]
	v_mov_b32_e32 v35, v79
	s_delay_alu instid0(VALU_DEP_1)
	v_pk_add_f32 v[32:33], v[32:33], v[34:35] neg_lo:[0,1] neg_hi:[0,1]
.LBB52_384:                             ;   in Loop: Header=BB52_3 Depth=1
	s_or_b32 exec_lo, exec_lo, s6
	s_barrier_signal -1
	s_barrier_wait -1
	s_and_saveexec_b32 s6, s46
	s_cbranch_execz .LBB52_386
; %bb.385:                              ;   in Loop: Header=BB52_3 Depth=1
	ds_load_b64 v[34:35], v5 offset:22880
	s_wait_dscnt 0x0
	v_pk_mul_f32 v[36:37], v[32:33], v[34:35] op_sel:[1,1] op_sel_hi:[1,0]
	s_delay_alu instid0(VALU_DEP_1) | instskip(SKIP_1) | instid1(VALU_DEP_2)
	v_pk_fma_f32 v[76:77], v[32:33], v[34:35], v[36:37] op_sel_hi:[0,1,1]
	v_pk_fma_f32 v[32:33], v[32:33], v[34:35], v[36:37] neg_lo:[0,0,1] neg_hi:[0,0,1]
	v_mov_b32_e32 v33, v77
	s_delay_alu instid0(VALU_DEP_1)
	v_pk_add_f32 v[34:35], v[32:33], 0 neg_lo:[1,1] neg_hi:[1,1]
	ds_store_b64 v3, v[34:35]
.LBB52_386:                             ;   in Loop: Header=BB52_3 Depth=1
	s_or_b32 exec_lo, exec_lo, s6
	s_wait_dscnt 0x0
	s_barrier_signal -1
	s_barrier_wait -1
	s_barrier_signal -1
	s_barrier_wait -1
	s_and_saveexec_b32 s6, s1
; %bb.387:                              ;   in Loop: Header=BB52_3 Depth=1
	ds_store_b64 v42, v[32:33] offset:24416
; %bb.388:                              ;   in Loop: Header=BB52_3 Depth=1
	s_or_b32 exec_lo, exec_lo, s6
	s_wait_dscnt 0x0
	s_barrier_signal -1
	s_barrier_wait -1
	s_barrier_signal -1
	s_barrier_wait -1
	s_and_saveexec_b32 s6, s14
	s_cbranch_execz .LBB52_390
; %bb.389:                              ;   in Loop: Header=BB52_3 Depth=1
	v_add_nc_u32_e64 v32, 0x160, 0
	ds_load_b64 v[36:37], v5 offset:23400
	ds_load_2addr_stride64_b64 v[32:35], v32 offset0:44 offset1:45
	s_wait_dscnt 0x0
	v_dual_mul_f32 v75, v37, v33 :: v_dual_mul_f32 v76, v36, v33
	s_delay_alu instid0(VALU_DEP_1) | instskip(NEXT) | instid1(VALU_DEP_1)
	v_xor_b32_e32 v78, 0x80000000, v75
	v_dual_fmac_f32 v76, v37, v32 :: v_dual_fmac_f32 v78, v36, v32
	s_delay_alu instid0(VALU_DEP_1) | instskip(NEXT) | instid1(VALU_DEP_1)
	v_pk_mul_f32 v[32:33], v[76:77], v[34:35] op_sel:[0,1] op_sel_hi:[0,0]
	v_pk_fma_f32 v[36:37], v[78:79], v[34:35], v[32:33] op_sel_hi:[0,1,1]
	v_pk_fma_f32 v[32:33], v[78:79], v[34:35], v[32:33] neg_lo:[0,0,1] neg_hi:[0,0,1]
	s_delay_alu instid0(VALU_DEP_2)
	v_mov_b32_e32 v33, v37
	ds_store_b64 v5, v[32:33] offset:23392
.LBB52_390:                             ;   in Loop: Header=BB52_3 Depth=1
	s_or_b32 exec_lo, exec_lo, s6
	v_mov_b64_e32 v[32:33], 0
	s_wait_dscnt 0x0
	s_barrier_signal -1
	s_barrier_wait -1
	global_wb scope:SCOPE_DEV
	s_wait_storecnt 0x0
	global_inv scope:SCOPE_DEV
	s_and_saveexec_b32 s98, s2
	s_cbranch_execz .LBB52_396
; %bb.391:                              ;   in Loop: Header=BB52_3 Depth=1
	ds_load_b64 v[32:33], v44 offset:22848
	ds_load_b64 v[34:35], v45 offset:24416
	s_wait_dscnt 0x0
	v_dual_mul_f32 v36, v35, v33 :: v_dual_mul_f32 v33, v34, v33
	s_delay_alu instid0(VALU_DEP_1) | instskip(NEXT) | instid1(VALU_DEP_1)
	v_dual_fma_f32 v34, v34, v32, -v36 :: v_dual_fmac_f32 v33, v35, v32
	v_dual_add_f32 v32, 0, v34 :: v_dual_add_f32 v33, 0, v33
	s_and_saveexec_b32 s6, s16
	s_cbranch_execnz .LBB52_1062
; %bb.392:                              ;   in Loop: Header=BB52_3 Depth=1
	s_or_b32 exec_lo, exec_lo, s6
	s_and_saveexec_b32 s6, s17
	s_cbranch_execnz .LBB52_1063
.LBB52_393:                             ;   in Loop: Header=BB52_3 Depth=1
	s_or_b32 exec_lo, exec_lo, s6
	s_and_saveexec_b32 s6, s1
	s_cbranch_execz .LBB52_395
.LBB52_394:                             ;   in Loop: Header=BB52_3 Depth=1
	ds_load_b64 v[34:35], v41 offset:24384
	ds_load_b64 v[36:37], v5 offset:24440
	s_wait_dscnt 0x0
	v_dual_mul_f32 v75, v37, v35 :: v_dual_mul_f32 v35, v36, v35
	s_delay_alu instid0(VALU_DEP_1) | instskip(NEXT) | instid1(VALU_DEP_1)
	v_fmac_f32_e32 v35, v37, v34
	v_dual_fma_f32 v36, v36, v34, -v75 :: v_dual_add_f32 v33, v33, v35
	s_delay_alu instid0(VALU_DEP_1)
	v_add_f32_e32 v32, v32, v36
.LBB52_395:                             ;   in Loop: Header=BB52_3 Depth=1
	s_or_b32 exec_lo, exec_lo, s6
.LBB52_396:                             ;   in Loop: Header=BB52_3 Depth=1
	s_delay_alu instid0(SALU_CYCLE_1)
	s_or_b32 exec_lo, exec_lo, s98
	s_and_saveexec_b32 s6, s47
	s_cbranch_execz .LBB52_398
; %bb.397:                              ;   in Loop: Header=BB52_3 Depth=1
	ds_load_b64 v[34:35], v5 offset:22360
	s_wait_dscnt 0x0
	v_dual_mul_f32 v36, v33, v34 :: v_dual_mul_f32 v76, v33, v35
	s_delay_alu instid0(VALU_DEP_1) | instskip(NEXT) | instid1(VALU_DEP_2)
	v_pk_fma_f32 v[36:37], v[32:33], v[34:35], v[36:37] op_sel:[1,0,0] op_sel_hi:[0,1,0]
	v_pk_fma_f32 v[32:33], v[32:33], v[34:35], v[76:77] op_sel_hi:[1,1,0] neg_lo:[0,0,1] neg_hi:[0,0,1]
	s_delay_alu instid0(VALU_DEP_2) | instskip(NEXT) | instid1(VALU_DEP_1)
	v_mov_b32_e32 v33, v37
	v_pk_add_f32 v[34:35], v[32:33], 0 neg_lo:[1,1] neg_hi:[1,1]
	ds_store_b64 v43, v[34:35]
.LBB52_398:                             ;   in Loop: Header=BB52_3 Depth=1
	s_or_b32 exec_lo, exec_lo, s6
	s_wait_loadcnt_dscnt 0x0
	s_barrier_signal -1
	s_barrier_wait -1
	s_and_saveexec_b32 s6, s48
	s_cbranch_execz .LBB52_400
; %bb.399:                              ;   in Loop: Header=BB52_3 Depth=1
	ds_load_b64 v[34:35], v44 offset:22336
	ds_load_b64 v[36:37], v43
	s_wait_dscnt 0x0
	v_pk_mul_f32 v[76:77], v[36:37], v[34:35] op_sel:[1,1] op_sel_hi:[0,1]
	s_delay_alu instid0(VALU_DEP_1) | instskip(SKIP_1) | instid1(VALU_DEP_2)
	v_pk_fma_f32 v[78:79], v[36:37], v[34:35], v[76:77] op_sel_hi:[1,0,1]
	v_pk_fma_f32 v[34:35], v[36:37], v[34:35], v[76:77] neg_lo:[0,0,1] neg_hi:[0,0,1]
	v_mov_b32_e32 v35, v79
	s_delay_alu instid0(VALU_DEP_1)
	v_pk_add_f32 v[32:33], v[32:33], v[34:35] neg_lo:[0,1] neg_hi:[0,1]
.LBB52_400:                             ;   in Loop: Header=BB52_3 Depth=1
	s_or_b32 exec_lo, exec_lo, s6
	s_barrier_signal -1
	s_barrier_wait -1
	s_and_saveexec_b32 s6, s49
	s_cbranch_execz .LBB52_402
; %bb.401:                              ;   in Loop: Header=BB52_3 Depth=1
	ds_load_b64 v[34:35], v5 offset:21840
	s_wait_dscnt 0x0
	v_pk_mul_f32 v[36:37], v[32:33], v[34:35] op_sel:[1,1] op_sel_hi:[1,0]
	s_delay_alu instid0(VALU_DEP_1) | instskip(SKIP_1) | instid1(VALU_DEP_2)
	v_pk_fma_f32 v[76:77], v[32:33], v[34:35], v[36:37] op_sel_hi:[0,1,1]
	v_pk_fma_f32 v[32:33], v[32:33], v[34:35], v[36:37] neg_lo:[0,0,1] neg_hi:[0,0,1]
	v_mov_b32_e32 v33, v77
	s_delay_alu instid0(VALU_DEP_1)
	v_pk_add_f32 v[34:35], v[32:33], 0 neg_lo:[1,1] neg_hi:[1,1]
	ds_store_b64 v43, v[34:35]
.LBB52_402:                             ;   in Loop: Header=BB52_3 Depth=1
	s_or_b32 exec_lo, exec_lo, s6
	s_wait_dscnt 0x0
	s_barrier_signal -1
	s_barrier_wait -1
	s_and_saveexec_b32 s6, s50
	s_cbranch_execz .LBB52_404
; %bb.403:                              ;   in Loop: Header=BB52_3 Depth=1
	ds_load_b64 v[34:35], v44 offset:21824
	ds_load_b64 v[36:37], v43
	s_wait_dscnt 0x0
	v_pk_mul_f32 v[76:77], v[36:37], v[34:35] op_sel:[1,1] op_sel_hi:[0,1]
	s_delay_alu instid0(VALU_DEP_1) | instskip(SKIP_1) | instid1(VALU_DEP_2)
	v_pk_fma_f32 v[78:79], v[36:37], v[34:35], v[76:77] op_sel_hi:[1,0,1]
	v_pk_fma_f32 v[34:35], v[36:37], v[34:35], v[76:77] neg_lo:[0,0,1] neg_hi:[0,0,1]
	v_mov_b32_e32 v35, v79
	s_delay_alu instid0(VALU_DEP_1)
	v_pk_add_f32 v[32:33], v[32:33], v[34:35] neg_lo:[0,1] neg_hi:[0,1]
.LBB52_404:                             ;   in Loop: Header=BB52_3 Depth=1
	s_or_b32 exec_lo, exec_lo, s6
	s_barrier_signal -1
	s_barrier_wait -1
	s_and_saveexec_b32 s6, s51
	s_cbranch_execz .LBB52_406
; %bb.405:                              ;   in Loop: Header=BB52_3 Depth=1
	ds_load_b64 v[34:35], v5 offset:21320
	s_wait_dscnt 0x0
	v_pk_mul_f32 v[36:37], v[32:33], v[34:35] op_sel:[1,1] op_sel_hi:[1,0]
	s_delay_alu instid0(VALU_DEP_1) | instskip(SKIP_1) | instid1(VALU_DEP_2)
	v_pk_fma_f32 v[76:77], v[32:33], v[34:35], v[36:37] op_sel_hi:[0,1,1]
	v_pk_fma_f32 v[32:33], v[32:33], v[34:35], v[36:37] neg_lo:[0,0,1] neg_hi:[0,0,1]
	v_mov_b32_e32 v33, v77
	s_delay_alu instid0(VALU_DEP_1)
	v_pk_add_f32 v[34:35], v[32:33], 0 neg_lo:[1,1] neg_hi:[1,1]
	ds_store_b64 v43, v[34:35]
.LBB52_406:                             ;   in Loop: Header=BB52_3 Depth=1
	s_or_b32 exec_lo, exec_lo, s6
	s_wait_dscnt 0x0
	;; [unrolled: 35-line block ×3, first 2 shown]
	s_barrier_signal -1
	s_barrier_wait -1
	s_barrier_signal -1
	s_barrier_wait -1
	s_and_saveexec_b32 s6, s2
; %bb.411:                              ;   in Loop: Header=BB52_3 Depth=1
	ds_store_b64 v46, v[32:33] offset:24384
; %bb.412:                              ;   in Loop: Header=BB52_3 Depth=1
	s_or_b32 exec_lo, exec_lo, s6
	s_wait_dscnt 0x0
	s_barrier_signal -1
	s_barrier_wait -1
	s_barrier_signal -1
	s_barrier_wait -1
	s_and_saveexec_b32 s6, s14
	s_cbranch_execz .LBB52_414
; %bb.413:                              ;   in Loop: Header=BB52_3 Depth=1
	v_add_nc_u32_e64 v32, 0x150, 0
	ds_load_b64 v[36:37], v5 offset:22360
	ds_load_2addr_stride64_b64 v[32:35], v32 offset0:42 offset1:43
	s_wait_dscnt 0x0
	v_dual_mul_f32 v75, v37, v33 :: v_dual_mul_f32 v76, v36, v33
	s_delay_alu instid0(VALU_DEP_1) | instskip(NEXT) | instid1(VALU_DEP_1)
	v_xor_b32_e32 v78, 0x80000000, v75
	v_dual_fmac_f32 v76, v37, v32 :: v_dual_fmac_f32 v78, v36, v32
	s_delay_alu instid0(VALU_DEP_1) | instskip(NEXT) | instid1(VALU_DEP_1)
	v_pk_mul_f32 v[32:33], v[76:77], v[34:35] op_sel:[0,1] op_sel_hi:[0,0]
	v_pk_fma_f32 v[36:37], v[78:79], v[34:35], v[32:33] op_sel_hi:[0,1,1]
	v_pk_fma_f32 v[32:33], v[78:79], v[34:35], v[32:33] neg_lo:[0,0,1] neg_hi:[0,0,1]
	s_delay_alu instid0(VALU_DEP_2)
	v_mov_b32_e32 v33, v37
	ds_store_b64 v5, v[32:33] offset:22352
.LBB52_414:                             ;   in Loop: Header=BB52_3 Depth=1
	s_or_b32 exec_lo, exec_lo, s6
	v_dual_mov_b32 v32, 0 :: v_dual_mov_b32 v33, 0
	s_wait_dscnt 0x0
	s_barrier_signal -1
	s_barrier_wait -1
	global_wb scope:SCOPE_DEV
	s_wait_storecnt 0x0
	global_inv scope:SCOPE_DEV
	s_and_saveexec_b32 s6, s1
	s_cbranch_execz .LBB52_418
; %bb.415:                              ;   in Loop: Header=BB52_3 Depth=1
	ds_load_b64 v[32:33], v39 offset:21824
	ds_load_b64 v[34:35], v40 offset:22352
	s_wait_dscnt 0x0
	v_pk_mul_f32 v[36:37], v[34:35], v[32:33] op_sel:[1,1] op_sel_hi:[0,1]
	s_delay_alu instid0(VALU_DEP_1) | instskip(SKIP_1) | instid1(VALU_DEP_2)
	v_pk_fma_f32 v[76:77], v[34:35], v[32:33], v[36:37] op_sel_hi:[1,0,1]
	v_pk_fma_f32 v[32:33], v[34:35], v[32:33], v[36:37] neg_lo:[0,0,1] neg_hi:[0,0,1]
	v_mov_b32_e32 v33, v77
	s_delay_alu instid0(VALU_DEP_1)
	v_pk_add_f32 v[32:33], v[32:33], 0 op_sel_hi:[1,0]
	s_and_saveexec_b32 s13, s15
	s_cbranch_execz .LBB52_417
; %bb.416:                              ;   in Loop: Header=BB52_3 Depth=1
	ds_load_b64 v[34:35], v41 offset:22336
	ds_load_b64 v[36:37], v5 offset:22360
	s_wait_dscnt 0x0
	v_pk_mul_f32 v[76:77], v[36:37], v[34:35] op_sel:[1,1] op_sel_hi:[0,1]
	s_delay_alu instid0(VALU_DEP_1) | instskip(SKIP_1) | instid1(VALU_DEP_2)
	v_pk_fma_f32 v[78:79], v[36:37], v[34:35], v[76:77] op_sel_hi:[1,0,1]
	v_pk_fma_f32 v[34:35], v[36:37], v[34:35], v[76:77] neg_lo:[0,0,1] neg_hi:[0,0,1]
	v_mov_b32_e32 v35, v79
	s_delay_alu instid0(VALU_DEP_1)
	v_pk_add_f32 v[32:33], v[32:33], v[34:35]
.LBB52_417:                             ;   in Loop: Header=BB52_3 Depth=1
	s_or_b32 exec_lo, exec_lo, s13
.LBB52_418:                             ;   in Loop: Header=BB52_3 Depth=1
	s_delay_alu instid0(SALU_CYCLE_1)
	s_or_b32 exec_lo, exec_lo, s6
	s_and_saveexec_b32 s6, s45
	s_cbranch_execz .LBB52_420
; %bb.419:                              ;   in Loop: Header=BB52_3 Depth=1
	ds_load_b64 v[34:35], v5 offset:21320
	s_wait_dscnt 0x0
	v_pk_mul_f32 v[36:37], v[32:33], v[34:35] op_sel:[1,1] op_sel_hi:[1,0]
	s_delay_alu instid0(VALU_DEP_1) | instskip(SKIP_1) | instid1(VALU_DEP_2)
	v_pk_fma_f32 v[76:77], v[32:33], v[34:35], v[36:37] op_sel_hi:[0,1,1]
	v_pk_fma_f32 v[32:33], v[32:33], v[34:35], v[36:37] neg_lo:[0,0,1] neg_hi:[0,0,1]
	v_mov_b32_e32 v33, v77
	s_delay_alu instid0(VALU_DEP_1)
	v_pk_add_f32 v[34:35], v[32:33], 0 neg_lo:[1,1] neg_hi:[1,1]
	ds_store_b64 v3, v[34:35]
.LBB52_420:                             ;   in Loop: Header=BB52_3 Depth=1
	s_or_b32 exec_lo, exec_lo, s6
	s_wait_loadcnt_dscnt 0x0
	s_barrier_signal -1
	s_barrier_wait -1
	s_and_saveexec_b32 s6, s46
	s_cbranch_execz .LBB52_422
; %bb.421:                              ;   in Loop: Header=BB52_3 Depth=1
	ds_load_b64 v[34:35], v5 offset:21312
	ds_load_b64 v[36:37], v3
	s_wait_dscnt 0x0
	v_pk_mul_f32 v[76:77], v[36:37], v[34:35] op_sel:[1,1] op_sel_hi:[0,1]
	s_delay_alu instid0(VALU_DEP_1) | instskip(SKIP_1) | instid1(VALU_DEP_2)
	v_pk_fma_f32 v[78:79], v[36:37], v[34:35], v[76:77] op_sel_hi:[1,0,1]
	v_pk_fma_f32 v[34:35], v[36:37], v[34:35], v[76:77] neg_lo:[0,0,1] neg_hi:[0,0,1]
	v_mov_b32_e32 v35, v79
	s_delay_alu instid0(VALU_DEP_1)
	v_pk_add_f32 v[32:33], v[32:33], v[34:35] neg_lo:[0,1] neg_hi:[0,1]
.LBB52_422:                             ;   in Loop: Header=BB52_3 Depth=1
	s_or_b32 exec_lo, exec_lo, s6
	s_barrier_signal -1
	s_barrier_wait -1
	s_and_saveexec_b32 s6, s46
	s_cbranch_execz .LBB52_424
; %bb.423:                              ;   in Loop: Header=BB52_3 Depth=1
	ds_load_b64 v[34:35], v5 offset:20800
	s_wait_dscnt 0x0
	v_pk_mul_f32 v[36:37], v[32:33], v[34:35] op_sel:[1,1] op_sel_hi:[1,0]
	s_delay_alu instid0(VALU_DEP_1) | instskip(SKIP_1) | instid1(VALU_DEP_2)
	v_pk_fma_f32 v[76:77], v[32:33], v[34:35], v[36:37] op_sel_hi:[0,1,1]
	v_pk_fma_f32 v[32:33], v[32:33], v[34:35], v[36:37] neg_lo:[0,0,1] neg_hi:[0,0,1]
	v_mov_b32_e32 v33, v77
	s_delay_alu instid0(VALU_DEP_1)
	v_pk_add_f32 v[34:35], v[32:33], 0 neg_lo:[1,1] neg_hi:[1,1]
	ds_store_b64 v3, v[34:35]
.LBB52_424:                             ;   in Loop: Header=BB52_3 Depth=1
	s_or_b32 exec_lo, exec_lo, s6
	s_wait_dscnt 0x0
	s_barrier_signal -1
	s_barrier_wait -1
	s_barrier_signal -1
	s_barrier_wait -1
	s_and_saveexec_b32 s6, s1
; %bb.425:                              ;   in Loop: Header=BB52_3 Depth=1
	ds_store_b64 v42, v[32:33] offset:22336
; %bb.426:                              ;   in Loop: Header=BB52_3 Depth=1
	s_or_b32 exec_lo, exec_lo, s6
	s_wait_dscnt 0x0
	s_barrier_signal -1
	s_barrier_wait -1
	s_barrier_signal -1
	s_barrier_wait -1
	s_and_saveexec_b32 s6, s14
	s_cbranch_execz .LBB52_428
; %bb.427:                              ;   in Loop: Header=BB52_3 Depth=1
	v_add_nc_u32_e64 v32, 0x140, 0
	ds_load_b64 v[36:37], v5 offset:21320
	ds_load_2addr_stride64_b64 v[32:35], v32 offset0:40 offset1:41
	s_wait_dscnt 0x0
	v_dual_mul_f32 v75, v37, v33 :: v_dual_mul_f32 v76, v36, v33
	s_delay_alu instid0(VALU_DEP_1) | instskip(NEXT) | instid1(VALU_DEP_1)
	v_xor_b32_e32 v78, 0x80000000, v75
	v_dual_fmac_f32 v76, v37, v32 :: v_dual_fmac_f32 v78, v36, v32
	s_delay_alu instid0(VALU_DEP_1) | instskip(NEXT) | instid1(VALU_DEP_1)
	v_pk_mul_f32 v[32:33], v[76:77], v[34:35] op_sel:[0,1] op_sel_hi:[0,0]
	v_pk_fma_f32 v[36:37], v[78:79], v[34:35], v[32:33] op_sel_hi:[0,1,1]
	v_pk_fma_f32 v[32:33], v[78:79], v[34:35], v[32:33] neg_lo:[0,0,1] neg_hi:[0,0,1]
	s_delay_alu instid0(VALU_DEP_2)
	v_mov_b32_e32 v33, v37
	ds_store_b64 v5, v[32:33] offset:21312
.LBB52_428:                             ;   in Loop: Header=BB52_3 Depth=1
	s_or_b32 exec_lo, exec_lo, s6
	v_mov_b64_e32 v[32:33], 0
	s_wait_dscnt 0x0
	s_barrier_signal -1
	s_barrier_wait -1
	global_wb scope:SCOPE_DEV
	s_wait_storecnt 0x0
	global_inv scope:SCOPE_DEV
	s_and_saveexec_b32 s98, s3
	s_cbranch_execz .LBB52_438
; %bb.429:                              ;   in Loop: Header=BB52_3 Depth=1
	ds_load_b64 v[32:33], v48 offset:20736
	ds_load_b64 v[34:35], v49 offset:24384
	s_wait_dscnt 0x0
	v_dual_mul_f32 v36, v35, v33 :: v_dual_mul_f32 v33, v34, v33
	s_delay_alu instid0(VALU_DEP_1) | instskip(NEXT) | instid1(VALU_DEP_1)
	v_dual_fma_f32 v34, v34, v32, -v36 :: v_dual_fmac_f32 v33, v35, v32
	v_dual_add_f32 v32, 0, v34 :: v_dual_add_f32 v33, 0, v33
	s_and_saveexec_b32 s6, s18
	s_cbranch_execnz .LBB52_1064
; %bb.430:                              ;   in Loop: Header=BB52_3 Depth=1
	s_or_b32 exec_lo, exec_lo, s6
	s_and_saveexec_b32 s6, s19
	s_cbranch_execnz .LBB52_1065
.LBB52_431:                             ;   in Loop: Header=BB52_3 Depth=1
	s_or_b32 exec_lo, exec_lo, s6
	s_and_saveexec_b32 s6, s20
	s_cbranch_execnz .LBB52_1066
.LBB52_432:                             ;   in Loop: Header=BB52_3 Depth=1
	s_or_b32 exec_lo, exec_lo, s6
	s_and_saveexec_b32 s6, s21
	s_cbranch_execnz .LBB52_1067
.LBB52_433:                             ;   in Loop: Header=BB52_3 Depth=1
	s_or_b32 exec_lo, exec_lo, s6
	s_and_saveexec_b32 s6, s22
	s_cbranch_execnz .LBB52_1068
.LBB52_434:                             ;   in Loop: Header=BB52_3 Depth=1
	s_or_b32 exec_lo, exec_lo, s6
	s_and_saveexec_b32 s6, s2
	s_cbranch_execnz .LBB52_1069
.LBB52_435:                             ;   in Loop: Header=BB52_3 Depth=1
	s_or_b32 exec_lo, exec_lo, s6
	s_and_saveexec_b32 s6, s17
	s_cbranch_execz .LBB52_437
.LBB52_436:                             ;   in Loop: Header=BB52_3 Depth=1
	ds_load_b64 v[34:35], v41 offset:24320
	ds_load_b64 v[36:37], v5 offset:24440
	s_wait_dscnt 0x0
	v_dual_mul_f32 v75, v37, v35 :: v_dual_mul_f32 v77, v36, v35
	s_delay_alu instid0(VALU_DEP_1) | instskip(NEXT) | instid1(VALU_DEP_1)
	v_dual_fma_f32 v76, v36, v34, -v75 :: v_dual_fmac_f32 v77, v37, v34
	v_pk_add_f32 v[32:33], v[32:33], v[76:77]
.LBB52_437:                             ;   in Loop: Header=BB52_3 Depth=1
	s_or_b32 exec_lo, exec_lo, s6
.LBB52_438:                             ;   in Loop: Header=BB52_3 Depth=1
	s_delay_alu instid0(SALU_CYCLE_1)
	s_or_b32 exec_lo, exec_lo, s98
	s_and_saveexec_b32 s6, s53
	s_cbranch_execz .LBB52_440
; %bb.439:                              ;   in Loop: Header=BB52_3 Depth=1
	ds_load_b64 v[34:35], v5 offset:20280
	s_wait_dscnt 0x0
	v_pk_mul_f32 v[36:37], v[32:33], v[34:35] op_sel:[1,1] op_sel_hi:[1,0]
	s_delay_alu instid0(VALU_DEP_1) | instskip(SKIP_1) | instid1(VALU_DEP_2)
	v_pk_fma_f32 v[76:77], v[32:33], v[34:35], v[36:37] op_sel_hi:[0,1,1]
	v_pk_fma_f32 v[32:33], v[32:33], v[34:35], v[36:37] neg_lo:[0,0,1] neg_hi:[0,0,1]
	v_mov_b32_e32 v33, v77
	s_delay_alu instid0(VALU_DEP_1)
	v_pk_add_f32 v[34:35], v[32:33], 0 neg_lo:[1,1] neg_hi:[1,1]
	ds_store_b64 v47, v[34:35]
.LBB52_440:                             ;   in Loop: Header=BB52_3 Depth=1
	s_or_b32 exec_lo, exec_lo, s6
	s_wait_loadcnt_dscnt 0x0
	s_barrier_signal -1
	s_barrier_wait -1
	s_and_saveexec_b32 s6, s54
	s_cbranch_execz .LBB52_442
; %bb.441:                              ;   in Loop: Header=BB52_3 Depth=1
	ds_load_b64 v[34:35], v48 offset:20224
	ds_load_b64 v[36:37], v47
	s_wait_dscnt 0x0
	v_pk_mul_f32 v[76:77], v[36:37], v[34:35] op_sel:[1,1] op_sel_hi:[0,1]
	s_delay_alu instid0(VALU_DEP_1) | instskip(SKIP_1) | instid1(VALU_DEP_2)
	v_pk_fma_f32 v[78:79], v[36:37], v[34:35], v[76:77] op_sel_hi:[1,0,1]
	v_pk_fma_f32 v[34:35], v[36:37], v[34:35], v[76:77] neg_lo:[0,0,1] neg_hi:[0,0,1]
	v_mov_b32_e32 v35, v79
	s_delay_alu instid0(VALU_DEP_1)
	v_pk_add_f32 v[32:33], v[32:33], v[34:35] neg_lo:[0,1] neg_hi:[0,1]
.LBB52_442:                             ;   in Loop: Header=BB52_3 Depth=1
	s_or_b32 exec_lo, exec_lo, s6
	s_barrier_signal -1
	s_barrier_wait -1
	s_and_saveexec_b32 s6, s55
	s_cbranch_execz .LBB52_444
; %bb.443:                              ;   in Loop: Header=BB52_3 Depth=1
	ds_load_b64 v[34:35], v5 offset:19760
	s_wait_dscnt 0x0
	v_pk_mul_f32 v[36:37], v[32:33], v[34:35] op_sel:[1,1] op_sel_hi:[1,0]
	s_delay_alu instid0(VALU_DEP_1) | instskip(SKIP_1) | instid1(VALU_DEP_2)
	v_pk_fma_f32 v[76:77], v[32:33], v[34:35], v[36:37] op_sel_hi:[0,1,1]
	v_pk_fma_f32 v[32:33], v[32:33], v[34:35], v[36:37] neg_lo:[0,0,1] neg_hi:[0,0,1]
	v_mov_b32_e32 v33, v77
	s_delay_alu instid0(VALU_DEP_1)
	v_pk_add_f32 v[34:35], v[32:33], 0 neg_lo:[1,1] neg_hi:[1,1]
	ds_store_b64 v47, v[34:35]
.LBB52_444:                             ;   in Loop: Header=BB52_3 Depth=1
	s_or_b32 exec_lo, exec_lo, s6
	s_wait_dscnt 0x0
	s_barrier_signal -1
	s_barrier_wait -1
	s_and_saveexec_b32 s6, s56
	s_cbranch_execz .LBB52_446
; %bb.445:                              ;   in Loop: Header=BB52_3 Depth=1
	ds_load_b64 v[34:35], v48 offset:19712
	ds_load_b64 v[36:37], v47
	s_wait_dscnt 0x0
	v_pk_mul_f32 v[76:77], v[36:37], v[34:35] op_sel:[1,1] op_sel_hi:[0,1]
	s_delay_alu instid0(VALU_DEP_1) | instskip(SKIP_1) | instid1(VALU_DEP_2)
	v_pk_fma_f32 v[78:79], v[36:37], v[34:35], v[76:77] op_sel_hi:[1,0,1]
	v_pk_fma_f32 v[34:35], v[36:37], v[34:35], v[76:77] neg_lo:[0,0,1] neg_hi:[0,0,1]
	v_mov_b32_e32 v35, v79
	s_delay_alu instid0(VALU_DEP_1)
	v_pk_add_f32 v[32:33], v[32:33], v[34:35] neg_lo:[0,1] neg_hi:[0,1]
.LBB52_446:                             ;   in Loop: Header=BB52_3 Depth=1
	s_or_b32 exec_lo, exec_lo, s6
	s_barrier_signal -1
	s_barrier_wait -1
	s_and_saveexec_b32 s6, s57
	s_cbranch_execz .LBB52_448
; %bb.447:                              ;   in Loop: Header=BB52_3 Depth=1
	ds_load_b64 v[34:35], v5 offset:19240
	s_wait_dscnt 0x0
	v_pk_mul_f32 v[36:37], v[32:33], v[34:35] op_sel:[1,1] op_sel_hi:[1,0]
	s_delay_alu instid0(VALU_DEP_1) | instskip(SKIP_1) | instid1(VALU_DEP_2)
	v_pk_fma_f32 v[76:77], v[32:33], v[34:35], v[36:37] op_sel_hi:[0,1,1]
	v_pk_fma_f32 v[32:33], v[32:33], v[34:35], v[36:37] neg_lo:[0,0,1] neg_hi:[0,0,1]
	v_mov_b32_e32 v33, v77
	s_delay_alu instid0(VALU_DEP_1)
	v_pk_add_f32 v[34:35], v[32:33], 0 neg_lo:[1,1] neg_hi:[1,1]
	ds_store_b64 v47, v[34:35]
.LBB52_448:                             ;   in Loop: Header=BB52_3 Depth=1
	s_or_b32 exec_lo, exec_lo, s6
	s_wait_dscnt 0x0
	s_barrier_signal -1
	s_barrier_wait -1
	s_and_saveexec_b32 s6, s58
	s_cbranch_execz .LBB52_450
; %bb.449:                              ;   in Loop: Header=BB52_3 Depth=1
	ds_load_b64 v[34:35], v48 offset:19200
	ds_load_b64 v[36:37], v47
	s_wait_dscnt 0x0
	v_pk_mul_f32 v[76:77], v[36:37], v[34:35] op_sel:[1,1] op_sel_hi:[0,1]
	s_delay_alu instid0(VALU_DEP_1) | instskip(SKIP_1) | instid1(VALU_DEP_2)
	v_pk_fma_f32 v[78:79], v[36:37], v[34:35], v[76:77] op_sel_hi:[1,0,1]
	v_pk_fma_f32 v[34:35], v[36:37], v[34:35], v[76:77] neg_lo:[0,0,1] neg_hi:[0,0,1]
	v_mov_b32_e32 v35, v79
	s_delay_alu instid0(VALU_DEP_1)
	v_pk_add_f32 v[32:33], v[32:33], v[34:35] neg_lo:[0,1] neg_hi:[0,1]
.LBB52_450:                             ;   in Loop: Header=BB52_3 Depth=1
	s_or_b32 exec_lo, exec_lo, s6
	s_barrier_signal -1
	s_barrier_wait -1
	s_and_saveexec_b32 s6, s59
	s_cbranch_execz .LBB52_452
; %bb.451:                              ;   in Loop: Header=BB52_3 Depth=1
	ds_load_b64 v[34:35], v5 offset:18720
	s_wait_dscnt 0x0
	v_pk_mul_f32 v[36:37], v[32:33], v[34:35]
	v_pk_mul_f32 v[32:33], v[32:33], v[34:35] op_sel:[1,0] op_sel_hi:[0,1]
	s_delay_alu instid0(VALU_DEP_1) | instskip(NEXT) | instid1(VALU_DEP_3)
	v_dual_mov_b32 v34, v36 :: v_dual_mov_b32 v35, v32
	v_mov_b32_e32 v32, v37
	s_delay_alu instid0(VALU_DEP_1) | instskip(SKIP_1) | instid1(VALU_DEP_2)
	v_pk_add_f32 v[36:37], v[34:35], v[32:33]
	v_pk_add_f32 v[32:33], v[34:35], v[32:33] neg_lo:[0,1] neg_hi:[0,1]
	v_mov_b32_e32 v33, v37
	s_delay_alu instid0(VALU_DEP_1)
	v_pk_add_f32 v[34:35], v[32:33], 0 neg_lo:[1,1] neg_hi:[1,1]
	ds_store_b64 v47, v[34:35]
.LBB52_452:                             ;   in Loop: Header=BB52_3 Depth=1
	s_or_b32 exec_lo, exec_lo, s6
	s_wait_dscnt 0x0
	s_barrier_signal -1
	s_barrier_wait -1
	s_and_saveexec_b32 s6, s60
	s_cbranch_execz .LBB52_454
; %bb.453:                              ;   in Loop: Header=BB52_3 Depth=1
	ds_load_b64 v[34:35], v48 offset:18688
	ds_load_b64 v[36:37], v47
	s_wait_dscnt 0x0
	v_dual_mul_f32 v75, v37, v35 :: v_dual_mul_f32 v35, v36, v35
	s_delay_alu instid0(VALU_DEP_1) | instskip(NEXT) | instid1(VALU_DEP_1)
	v_fmac_f32_e32 v35, v37, v34
	v_dual_fma_f32 v36, v36, v34, -v75 :: v_dual_sub_f32 v33, v33, v35
	s_delay_alu instid0(VALU_DEP_1)
	v_sub_f32_e32 v32, v32, v36
.LBB52_454:                             ;   in Loop: Header=BB52_3 Depth=1
	s_or_b32 exec_lo, exec_lo, s6
	s_barrier_signal -1
	s_barrier_wait -1
	s_and_saveexec_b32 s6, s61
	s_cbranch_execz .LBB52_456
; %bb.455:                              ;   in Loop: Header=BB52_3 Depth=1
	ds_load_b64 v[34:35], v5 offset:18200
	s_wait_dscnt 0x0
	v_dual_mul_f32 v36, v33, v34 :: v_dual_mul_f32 v76, v33, v35
	s_delay_alu instid0(VALU_DEP_1) | instskip(NEXT) | instid1(VALU_DEP_2)
	v_pk_fma_f32 v[36:37], v[32:33], v[34:35], v[36:37] op_sel:[1,0,0] op_sel_hi:[0,1,0]
	v_pk_fma_f32 v[32:33], v[32:33], v[34:35], v[76:77] op_sel_hi:[1,1,0] neg_lo:[0,0,1] neg_hi:[0,0,1]
	s_delay_alu instid0(VALU_DEP_2) | instskip(NEXT) | instid1(VALU_DEP_1)
	v_mov_b32_e32 v33, v37
	v_pk_add_f32 v[34:35], v[32:33], 0 neg_lo:[1,1] neg_hi:[1,1]
	ds_store_b64 v47, v[34:35]
.LBB52_456:                             ;   in Loop: Header=BB52_3 Depth=1
	s_or_b32 exec_lo, exec_lo, s6
	s_wait_dscnt 0x0
	s_barrier_signal -1
	s_barrier_wait -1
	s_and_saveexec_b32 s6, s62
	s_cbranch_execz .LBB52_458
; %bb.457:                              ;   in Loop: Header=BB52_3 Depth=1
	ds_load_b64 v[34:35], v48 offset:18176
	ds_load_b64 v[36:37], v47
	s_wait_dscnt 0x0
	v_pk_mul_f32 v[76:77], v[36:37], v[34:35] op_sel:[1,1] op_sel_hi:[0,1]
	s_delay_alu instid0(VALU_DEP_1) | instskip(SKIP_1) | instid1(VALU_DEP_2)
	v_pk_fma_f32 v[78:79], v[36:37], v[34:35], v[76:77] op_sel_hi:[1,0,1]
	v_pk_fma_f32 v[34:35], v[36:37], v[34:35], v[76:77] neg_lo:[0,0,1] neg_hi:[0,0,1]
	v_mov_b32_e32 v35, v79
	s_delay_alu instid0(VALU_DEP_1)
	v_pk_add_f32 v[32:33], v[32:33], v[34:35] neg_lo:[0,1] neg_hi:[0,1]
.LBB52_458:                             ;   in Loop: Header=BB52_3 Depth=1
	s_or_b32 exec_lo, exec_lo, s6
	s_barrier_signal -1
	s_barrier_wait -1
	s_and_saveexec_b32 s6, s63
	s_cbranch_execz .LBB52_460
; %bb.459:                              ;   in Loop: Header=BB52_3 Depth=1
	ds_load_b64 v[34:35], v5 offset:17680
	s_wait_dscnt 0x0
	v_pk_mul_f32 v[36:37], v[32:33], v[34:35] op_sel:[1,1] op_sel_hi:[1,0]
	s_delay_alu instid0(VALU_DEP_1) | instskip(SKIP_1) | instid1(VALU_DEP_2)
	v_pk_fma_f32 v[76:77], v[32:33], v[34:35], v[36:37] op_sel_hi:[0,1,1]
	v_pk_fma_f32 v[32:33], v[32:33], v[34:35], v[36:37] neg_lo:[0,0,1] neg_hi:[0,0,1]
	v_mov_b32_e32 v33, v77
	s_delay_alu instid0(VALU_DEP_1)
	v_pk_add_f32 v[34:35], v[32:33], 0 neg_lo:[1,1] neg_hi:[1,1]
	ds_store_b64 v47, v[34:35]
.LBB52_460:                             ;   in Loop: Header=BB52_3 Depth=1
	s_or_b32 exec_lo, exec_lo, s6
	s_wait_dscnt 0x0
	s_barrier_signal -1
	s_barrier_wait -1
	s_and_saveexec_b32 s6, s64
	s_cbranch_execz .LBB52_462
; %bb.461:                              ;   in Loop: Header=BB52_3 Depth=1
	ds_load_b64 v[34:35], v48 offset:17664
	ds_load_b64 v[36:37], v47
	s_wait_dscnt 0x0
	v_pk_mul_f32 v[76:77], v[36:37], v[34:35] op_sel:[1,1] op_sel_hi:[0,1]
	s_delay_alu instid0(VALU_DEP_1) | instskip(SKIP_1) | instid1(VALU_DEP_2)
	v_pk_fma_f32 v[78:79], v[36:37], v[34:35], v[76:77] op_sel_hi:[1,0,1]
	v_pk_fma_f32 v[34:35], v[36:37], v[34:35], v[76:77] neg_lo:[0,0,1] neg_hi:[0,0,1]
	v_mov_b32_e32 v35, v79
	s_delay_alu instid0(VALU_DEP_1)
	v_pk_add_f32 v[32:33], v[32:33], v[34:35] neg_lo:[0,1] neg_hi:[0,1]
.LBB52_462:                             ;   in Loop: Header=BB52_3 Depth=1
	s_or_b32 exec_lo, exec_lo, s6
	s_barrier_signal -1
	s_barrier_wait -1
	s_and_saveexec_b32 s6, s65
	s_cbranch_execz .LBB52_464
; %bb.463:                              ;   in Loop: Header=BB52_3 Depth=1
	ds_load_b64 v[34:35], v5 offset:17160
	s_wait_dscnt 0x0
	v_pk_mul_f32 v[36:37], v[32:33], v[34:35] op_sel:[1,1] op_sel_hi:[1,0]
	s_delay_alu instid0(VALU_DEP_1) | instskip(SKIP_1) | instid1(VALU_DEP_2)
	v_pk_fma_f32 v[76:77], v[32:33], v[34:35], v[36:37] op_sel_hi:[0,1,1]
	v_pk_fma_f32 v[32:33], v[32:33], v[34:35], v[36:37] neg_lo:[0,0,1] neg_hi:[0,0,1]
	v_mov_b32_e32 v33, v77
	s_delay_alu instid0(VALU_DEP_1)
	v_pk_add_f32 v[34:35], v[32:33], 0 neg_lo:[1,1] neg_hi:[1,1]
	ds_store_b64 v47, v[34:35]
.LBB52_464:                             ;   in Loop: Header=BB52_3 Depth=1
	;; [unrolled: 35-line block ×3, first 2 shown]
	s_or_b32 exec_lo, exec_lo, s6
	s_wait_dscnt 0x0
	s_barrier_signal -1
	s_barrier_wait -1
	s_barrier_signal -1
	s_barrier_wait -1
	s_and_saveexec_b32 s6, s3
; %bb.469:                              ;   in Loop: Header=BB52_3 Depth=1
	ds_store_b64 v50, v[32:33] offset:24320
; %bb.470:                              ;   in Loop: Header=BB52_3 Depth=1
	s_or_b32 exec_lo, exec_lo, s6
	s_wait_dscnt 0x0
	s_barrier_signal -1
	s_barrier_wait -1
	s_barrier_signal -1
	s_barrier_wait -1
	s_and_saveexec_b32 s6, s14
	s_cbranch_execz .LBB52_472
; %bb.471:                              ;   in Loop: Header=BB52_3 Depth=1
	v_add_nc_u32_e64 v32, 0x130, 0
	ds_load_b64 v[36:37], v5 offset:20280
	ds_load_2addr_stride64_b64 v[32:35], v32 offset0:38 offset1:39
	s_wait_dscnt 0x0
	v_dual_mul_f32 v75, v37, v33 :: v_dual_mul_f32 v76, v36, v33
	s_delay_alu instid0(VALU_DEP_1) | instskip(NEXT) | instid1(VALU_DEP_1)
	v_xor_b32_e32 v78, 0x80000000, v75
	v_dual_fmac_f32 v76, v37, v32 :: v_dual_fmac_f32 v78, v36, v32
	s_delay_alu instid0(VALU_DEP_1) | instskip(NEXT) | instid1(VALU_DEP_1)
	v_pk_mul_f32 v[32:33], v[76:77], v[34:35] op_sel:[0,1] op_sel_hi:[0,0]
	v_pk_fma_f32 v[36:37], v[78:79], v[34:35], v[32:33] op_sel_hi:[0,1,1]
	v_pk_fma_f32 v[32:33], v[78:79], v[34:35], v[32:33] neg_lo:[0,0,1] neg_hi:[0,0,1]
	s_delay_alu instid0(VALU_DEP_2)
	v_mov_b32_e32 v33, v37
	ds_store_b64 v5, v[32:33] offset:20272
.LBB52_472:                             ;   in Loop: Header=BB52_3 Depth=1
	s_or_b32 exec_lo, exec_lo, s6
	v_dual_mov_b32 v32, 0 :: v_dual_mov_b32 v33, 0
	s_wait_dscnt 0x0
	s_barrier_signal -1
	s_barrier_wait -1
	global_wb scope:SCOPE_DEV
	s_wait_storecnt 0x0
	global_inv scope:SCOPE_DEV
	s_and_saveexec_b32 s6, s1
	s_cbranch_execz .LBB52_476
; %bb.473:                              ;   in Loop: Header=BB52_3 Depth=1
	ds_load_b64 v[32:33], v39 offset:19744
	ds_load_b64 v[34:35], v40 offset:20272
	s_wait_dscnt 0x0
	v_pk_mul_f32 v[36:37], v[34:35], v[32:33] op_sel:[1,1] op_sel_hi:[0,1]
	s_delay_alu instid0(VALU_DEP_1) | instskip(SKIP_1) | instid1(VALU_DEP_2)
	v_pk_fma_f32 v[76:77], v[34:35], v[32:33], v[36:37] op_sel_hi:[1,0,1]
	v_pk_fma_f32 v[32:33], v[34:35], v[32:33], v[36:37] neg_lo:[0,0,1] neg_hi:[0,0,1]
	v_mov_b32_e32 v33, v77
	s_delay_alu instid0(VALU_DEP_1)
	v_pk_add_f32 v[32:33], v[32:33], 0 op_sel_hi:[1,0]
	s_and_saveexec_b32 s13, s15
	s_cbranch_execz .LBB52_475
; %bb.474:                              ;   in Loop: Header=BB52_3 Depth=1
	ds_load_b64 v[34:35], v41 offset:20256
	ds_load_b64 v[36:37], v5 offset:20280
	s_wait_dscnt 0x0
	v_pk_mul_f32 v[76:77], v[36:37], v[34:35] op_sel:[1,1] op_sel_hi:[0,1]
	s_delay_alu instid0(VALU_DEP_1) | instskip(SKIP_1) | instid1(VALU_DEP_2)
	v_pk_fma_f32 v[78:79], v[36:37], v[34:35], v[76:77] op_sel_hi:[1,0,1]
	v_pk_fma_f32 v[34:35], v[36:37], v[34:35], v[76:77] neg_lo:[0,0,1] neg_hi:[0,0,1]
	v_mov_b32_e32 v35, v79
	s_delay_alu instid0(VALU_DEP_1)
	v_pk_add_f32 v[32:33], v[32:33], v[34:35]
.LBB52_475:                             ;   in Loop: Header=BB52_3 Depth=1
	s_or_b32 exec_lo, exec_lo, s13
.LBB52_476:                             ;   in Loop: Header=BB52_3 Depth=1
	s_delay_alu instid0(SALU_CYCLE_1)
	s_or_b32 exec_lo, exec_lo, s6
	s_and_saveexec_b32 s6, s45
	s_cbranch_execz .LBB52_478
; %bb.477:                              ;   in Loop: Header=BB52_3 Depth=1
	ds_load_b64 v[34:35], v5 offset:19240
	s_wait_dscnt 0x0
	v_pk_mul_f32 v[36:37], v[32:33], v[34:35] op_sel:[1,1] op_sel_hi:[1,0]
	s_delay_alu instid0(VALU_DEP_1) | instskip(SKIP_1) | instid1(VALU_DEP_2)
	v_pk_fma_f32 v[76:77], v[32:33], v[34:35], v[36:37] op_sel_hi:[0,1,1]
	v_pk_fma_f32 v[32:33], v[32:33], v[34:35], v[36:37] neg_lo:[0,0,1] neg_hi:[0,0,1]
	v_mov_b32_e32 v33, v77
	s_delay_alu instid0(VALU_DEP_1)
	v_pk_add_f32 v[34:35], v[32:33], 0 neg_lo:[1,1] neg_hi:[1,1]
	ds_store_b64 v3, v[34:35]
.LBB52_478:                             ;   in Loop: Header=BB52_3 Depth=1
	s_or_b32 exec_lo, exec_lo, s6
	s_wait_loadcnt_dscnt 0x0
	s_barrier_signal -1
	s_barrier_wait -1
	s_and_saveexec_b32 s6, s46
	s_cbranch_execz .LBB52_480
; %bb.479:                              ;   in Loop: Header=BB52_3 Depth=1
	ds_load_b64 v[34:35], v5 offset:19232
	ds_load_b64 v[36:37], v3
	s_wait_dscnt 0x0
	v_pk_mul_f32 v[76:77], v[36:37], v[34:35] op_sel:[1,1] op_sel_hi:[0,1]
	s_delay_alu instid0(VALU_DEP_1) | instskip(SKIP_1) | instid1(VALU_DEP_2)
	v_pk_fma_f32 v[78:79], v[36:37], v[34:35], v[76:77] op_sel_hi:[1,0,1]
	v_pk_fma_f32 v[34:35], v[36:37], v[34:35], v[76:77] neg_lo:[0,0,1] neg_hi:[0,0,1]
	v_mov_b32_e32 v35, v79
	s_delay_alu instid0(VALU_DEP_1)
	v_pk_add_f32 v[32:33], v[32:33], v[34:35] neg_lo:[0,1] neg_hi:[0,1]
.LBB52_480:                             ;   in Loop: Header=BB52_3 Depth=1
	s_or_b32 exec_lo, exec_lo, s6
	s_barrier_signal -1
	s_barrier_wait -1
	s_and_saveexec_b32 s6, s46
	s_cbranch_execz .LBB52_482
; %bb.481:                              ;   in Loop: Header=BB52_3 Depth=1
	ds_load_b64 v[34:35], v5 offset:18720
	s_wait_dscnt 0x0
	v_pk_mul_f32 v[36:37], v[32:33], v[34:35] op_sel:[1,1] op_sel_hi:[1,0]
	s_delay_alu instid0(VALU_DEP_1) | instskip(SKIP_1) | instid1(VALU_DEP_2)
	v_pk_fma_f32 v[76:77], v[32:33], v[34:35], v[36:37] op_sel_hi:[0,1,1]
	v_pk_fma_f32 v[32:33], v[32:33], v[34:35], v[36:37] neg_lo:[0,0,1] neg_hi:[0,0,1]
	v_mov_b32_e32 v33, v77
	s_delay_alu instid0(VALU_DEP_1)
	v_pk_add_f32 v[34:35], v[32:33], 0 neg_lo:[1,1] neg_hi:[1,1]
	ds_store_b64 v3, v[34:35]
.LBB52_482:                             ;   in Loop: Header=BB52_3 Depth=1
	s_or_b32 exec_lo, exec_lo, s6
	s_wait_dscnt 0x0
	s_barrier_signal -1
	s_barrier_wait -1
	s_barrier_signal -1
	s_barrier_wait -1
	s_and_saveexec_b32 s6, s1
; %bb.483:                              ;   in Loop: Header=BB52_3 Depth=1
	ds_store_b64 v42, v[32:33] offset:20256
; %bb.484:                              ;   in Loop: Header=BB52_3 Depth=1
	s_or_b32 exec_lo, exec_lo, s6
	s_wait_dscnt 0x0
	s_barrier_signal -1
	s_barrier_wait -1
	s_barrier_signal -1
	s_barrier_wait -1
	s_and_saveexec_b32 s6, s14
	s_cbranch_execz .LBB52_486
; %bb.485:                              ;   in Loop: Header=BB52_3 Depth=1
	v_add_nc_u32_e64 v32, 0x120, 0
	ds_load_b64 v[36:37], v5 offset:19240
	ds_load_2addr_stride64_b64 v[32:35], v32 offset0:36 offset1:37
	s_wait_dscnt 0x0
	v_dual_mul_f32 v75, v37, v33 :: v_dual_mul_f32 v76, v36, v33
	s_delay_alu instid0(VALU_DEP_1) | instskip(NEXT) | instid1(VALU_DEP_1)
	v_xor_b32_e32 v78, 0x80000000, v75
	v_dual_fmac_f32 v76, v37, v32 :: v_dual_fmac_f32 v78, v36, v32
	s_delay_alu instid0(VALU_DEP_1) | instskip(NEXT) | instid1(VALU_DEP_1)
	v_pk_mul_f32 v[32:33], v[76:77], v[34:35] op_sel:[0,1] op_sel_hi:[0,0]
	v_pk_fma_f32 v[36:37], v[78:79], v[34:35], v[32:33] op_sel_hi:[0,1,1]
	v_pk_fma_f32 v[32:33], v[78:79], v[34:35], v[32:33] neg_lo:[0,0,1] neg_hi:[0,0,1]
	s_delay_alu instid0(VALU_DEP_2)
	v_mov_b32_e32 v33, v37
	ds_store_b64 v5, v[32:33] offset:19232
.LBB52_486:                             ;   in Loop: Header=BB52_3 Depth=1
	s_or_b32 exec_lo, exec_lo, s6
	v_mov_b64_e32 v[32:33], 0
	s_wait_dscnt 0x0
	s_barrier_signal -1
	s_barrier_wait -1
	global_wb scope:SCOPE_DEV
	s_wait_storecnt 0x0
	global_inv scope:SCOPE_DEV
	s_and_saveexec_b32 s98, s2
	s_cbranch_execz .LBB52_492
; %bb.487:                              ;   in Loop: Header=BB52_3 Depth=1
	ds_load_b64 v[32:33], v44 offset:18688
	ds_load_b64 v[34:35], v45 offset:20256
	s_wait_dscnt 0x0
	v_dual_mul_f32 v36, v35, v33 :: v_dual_mul_f32 v33, v34, v33
	s_delay_alu instid0(VALU_DEP_1) | instskip(NEXT) | instid1(VALU_DEP_1)
	v_dual_fma_f32 v34, v34, v32, -v36 :: v_dual_fmac_f32 v33, v35, v32
	v_dual_add_f32 v32, 0, v34 :: v_dual_add_f32 v33, 0, v33
	s_and_saveexec_b32 s6, s16
	s_cbranch_execnz .LBB52_1070
; %bb.488:                              ;   in Loop: Header=BB52_3 Depth=1
	s_or_b32 exec_lo, exec_lo, s6
	s_and_saveexec_b32 s6, s17
	s_cbranch_execnz .LBB52_1071
.LBB52_489:                             ;   in Loop: Header=BB52_3 Depth=1
	s_or_b32 exec_lo, exec_lo, s6
	s_and_saveexec_b32 s6, s1
	s_cbranch_execz .LBB52_491
.LBB52_490:                             ;   in Loop: Header=BB52_3 Depth=1
	ds_load_b64 v[34:35], v41 offset:20224
	ds_load_b64 v[36:37], v5 offset:20280
	s_wait_dscnt 0x0
	v_dual_mul_f32 v75, v37, v35 :: v_dual_mul_f32 v35, v36, v35
	s_delay_alu instid0(VALU_DEP_1) | instskip(NEXT) | instid1(VALU_DEP_1)
	v_fmac_f32_e32 v35, v37, v34
	v_dual_fma_f32 v36, v36, v34, -v75 :: v_dual_add_f32 v33, v33, v35
	s_delay_alu instid0(VALU_DEP_1)
	v_add_f32_e32 v32, v32, v36
.LBB52_491:                             ;   in Loop: Header=BB52_3 Depth=1
	s_or_b32 exec_lo, exec_lo, s6
.LBB52_492:                             ;   in Loop: Header=BB52_3 Depth=1
	s_delay_alu instid0(SALU_CYCLE_1)
	s_or_b32 exec_lo, exec_lo, s98
	s_and_saveexec_b32 s6, s47
	s_cbranch_execz .LBB52_494
; %bb.493:                              ;   in Loop: Header=BB52_3 Depth=1
	ds_load_b64 v[34:35], v5 offset:18200
	s_wait_dscnt 0x0
	v_dual_mul_f32 v36, v33, v34 :: v_dual_mul_f32 v76, v33, v35
	s_delay_alu instid0(VALU_DEP_1) | instskip(NEXT) | instid1(VALU_DEP_2)
	v_pk_fma_f32 v[36:37], v[32:33], v[34:35], v[36:37] op_sel:[1,0,0] op_sel_hi:[0,1,0]
	v_pk_fma_f32 v[32:33], v[32:33], v[34:35], v[76:77] op_sel_hi:[1,1,0] neg_lo:[0,0,1] neg_hi:[0,0,1]
	s_delay_alu instid0(VALU_DEP_2) | instskip(NEXT) | instid1(VALU_DEP_1)
	v_mov_b32_e32 v33, v37
	v_pk_add_f32 v[34:35], v[32:33], 0 neg_lo:[1,1] neg_hi:[1,1]
	ds_store_b64 v43, v[34:35]
.LBB52_494:                             ;   in Loop: Header=BB52_3 Depth=1
	s_or_b32 exec_lo, exec_lo, s6
	s_wait_loadcnt_dscnt 0x0
	s_barrier_signal -1
	s_barrier_wait -1
	s_and_saveexec_b32 s6, s48
	s_cbranch_execz .LBB52_496
; %bb.495:                              ;   in Loop: Header=BB52_3 Depth=1
	ds_load_b64 v[34:35], v44 offset:18176
	ds_load_b64 v[36:37], v43
	s_wait_dscnt 0x0
	v_pk_mul_f32 v[76:77], v[36:37], v[34:35] op_sel:[1,1] op_sel_hi:[0,1]
	s_delay_alu instid0(VALU_DEP_1) | instskip(SKIP_1) | instid1(VALU_DEP_2)
	v_pk_fma_f32 v[78:79], v[36:37], v[34:35], v[76:77] op_sel_hi:[1,0,1]
	v_pk_fma_f32 v[34:35], v[36:37], v[34:35], v[76:77] neg_lo:[0,0,1] neg_hi:[0,0,1]
	v_mov_b32_e32 v35, v79
	s_delay_alu instid0(VALU_DEP_1)
	v_pk_add_f32 v[32:33], v[32:33], v[34:35] neg_lo:[0,1] neg_hi:[0,1]
.LBB52_496:                             ;   in Loop: Header=BB52_3 Depth=1
	s_or_b32 exec_lo, exec_lo, s6
	s_barrier_signal -1
	s_barrier_wait -1
	s_and_saveexec_b32 s6, s49
	s_cbranch_execz .LBB52_498
; %bb.497:                              ;   in Loop: Header=BB52_3 Depth=1
	ds_load_b64 v[34:35], v5 offset:17680
	s_wait_dscnt 0x0
	v_pk_mul_f32 v[36:37], v[32:33], v[34:35] op_sel:[1,1] op_sel_hi:[1,0]
	s_delay_alu instid0(VALU_DEP_1) | instskip(SKIP_1) | instid1(VALU_DEP_2)
	v_pk_fma_f32 v[76:77], v[32:33], v[34:35], v[36:37] op_sel_hi:[0,1,1]
	v_pk_fma_f32 v[32:33], v[32:33], v[34:35], v[36:37] neg_lo:[0,0,1] neg_hi:[0,0,1]
	v_mov_b32_e32 v33, v77
	s_delay_alu instid0(VALU_DEP_1)
	v_pk_add_f32 v[34:35], v[32:33], 0 neg_lo:[1,1] neg_hi:[1,1]
	ds_store_b64 v43, v[34:35]
.LBB52_498:                             ;   in Loop: Header=BB52_3 Depth=1
	s_or_b32 exec_lo, exec_lo, s6
	s_wait_dscnt 0x0
	s_barrier_signal -1
	s_barrier_wait -1
	s_and_saveexec_b32 s6, s50
	s_cbranch_execz .LBB52_500
; %bb.499:                              ;   in Loop: Header=BB52_3 Depth=1
	ds_load_b64 v[34:35], v44 offset:17664
	ds_load_b64 v[36:37], v43
	s_wait_dscnt 0x0
	v_pk_mul_f32 v[76:77], v[36:37], v[34:35] op_sel:[1,1] op_sel_hi:[0,1]
	s_delay_alu instid0(VALU_DEP_1) | instskip(SKIP_1) | instid1(VALU_DEP_2)
	v_pk_fma_f32 v[78:79], v[36:37], v[34:35], v[76:77] op_sel_hi:[1,0,1]
	v_pk_fma_f32 v[34:35], v[36:37], v[34:35], v[76:77] neg_lo:[0,0,1] neg_hi:[0,0,1]
	v_mov_b32_e32 v35, v79
	s_delay_alu instid0(VALU_DEP_1)
	v_pk_add_f32 v[32:33], v[32:33], v[34:35] neg_lo:[0,1] neg_hi:[0,1]
.LBB52_500:                             ;   in Loop: Header=BB52_3 Depth=1
	s_or_b32 exec_lo, exec_lo, s6
	s_barrier_signal -1
	s_barrier_wait -1
	s_and_saveexec_b32 s6, s51
	s_cbranch_execz .LBB52_502
; %bb.501:                              ;   in Loop: Header=BB52_3 Depth=1
	ds_load_b64 v[34:35], v5 offset:17160
	s_wait_dscnt 0x0
	v_pk_mul_f32 v[36:37], v[32:33], v[34:35] op_sel:[1,1] op_sel_hi:[1,0]
	s_delay_alu instid0(VALU_DEP_1) | instskip(SKIP_1) | instid1(VALU_DEP_2)
	v_pk_fma_f32 v[76:77], v[32:33], v[34:35], v[36:37] op_sel_hi:[0,1,1]
	v_pk_fma_f32 v[32:33], v[32:33], v[34:35], v[36:37] neg_lo:[0,0,1] neg_hi:[0,0,1]
	v_mov_b32_e32 v33, v77
	s_delay_alu instid0(VALU_DEP_1)
	v_pk_add_f32 v[34:35], v[32:33], 0 neg_lo:[1,1] neg_hi:[1,1]
	ds_store_b64 v43, v[34:35]
.LBB52_502:                             ;   in Loop: Header=BB52_3 Depth=1
	s_or_b32 exec_lo, exec_lo, s6
	s_wait_dscnt 0x0
	;; [unrolled: 35-line block ×3, first 2 shown]
	s_barrier_signal -1
	s_barrier_wait -1
	s_barrier_signal -1
	s_barrier_wait -1
	s_and_saveexec_b32 s6, s2
; %bb.507:                              ;   in Loop: Header=BB52_3 Depth=1
	ds_store_b64 v46, v[32:33] offset:20224
; %bb.508:                              ;   in Loop: Header=BB52_3 Depth=1
	s_or_b32 exec_lo, exec_lo, s6
	s_wait_dscnt 0x0
	s_barrier_signal -1
	s_barrier_wait -1
	s_barrier_signal -1
	s_barrier_wait -1
	s_and_saveexec_b32 s6, s14
	s_cbranch_execz .LBB52_510
; %bb.509:                              ;   in Loop: Header=BB52_3 Depth=1
	v_add_nc_u32_e64 v32, 0x110, 0
	ds_load_b64 v[36:37], v5 offset:18200
	ds_load_2addr_stride64_b64 v[32:35], v32 offset0:34 offset1:35
	s_wait_dscnt 0x0
	v_dual_mul_f32 v75, v37, v33 :: v_dual_mul_f32 v76, v36, v33
	s_delay_alu instid0(VALU_DEP_1) | instskip(NEXT) | instid1(VALU_DEP_1)
	v_xor_b32_e32 v78, 0x80000000, v75
	v_dual_fmac_f32 v76, v37, v32 :: v_dual_fmac_f32 v78, v36, v32
	s_delay_alu instid0(VALU_DEP_1) | instskip(NEXT) | instid1(VALU_DEP_1)
	v_pk_mul_f32 v[32:33], v[76:77], v[34:35] op_sel:[0,1] op_sel_hi:[0,0]
	v_pk_fma_f32 v[36:37], v[78:79], v[34:35], v[32:33] op_sel_hi:[0,1,1]
	v_pk_fma_f32 v[32:33], v[78:79], v[34:35], v[32:33] neg_lo:[0,0,1] neg_hi:[0,0,1]
	s_delay_alu instid0(VALU_DEP_2)
	v_mov_b32_e32 v33, v37
	ds_store_b64 v5, v[32:33] offset:18192
.LBB52_510:                             ;   in Loop: Header=BB52_3 Depth=1
	s_or_b32 exec_lo, exec_lo, s6
	v_dual_mov_b32 v32, 0 :: v_dual_mov_b32 v33, 0
	s_wait_dscnt 0x0
	s_barrier_signal -1
	s_barrier_wait -1
	global_wb scope:SCOPE_DEV
	s_wait_storecnt 0x0
	global_inv scope:SCOPE_DEV
	s_and_saveexec_b32 s6, s1
	s_cbranch_execz .LBB52_514
; %bb.511:                              ;   in Loop: Header=BB52_3 Depth=1
	ds_load_b64 v[32:33], v39 offset:17664
	ds_load_b64 v[34:35], v40 offset:18192
	s_wait_dscnt 0x0
	v_pk_mul_f32 v[36:37], v[34:35], v[32:33] op_sel:[1,1] op_sel_hi:[0,1]
	s_delay_alu instid0(VALU_DEP_1) | instskip(SKIP_1) | instid1(VALU_DEP_2)
	v_pk_fma_f32 v[76:77], v[34:35], v[32:33], v[36:37] op_sel_hi:[1,0,1]
	v_pk_fma_f32 v[32:33], v[34:35], v[32:33], v[36:37] neg_lo:[0,0,1] neg_hi:[0,0,1]
	v_mov_b32_e32 v33, v77
	s_delay_alu instid0(VALU_DEP_1)
	v_pk_add_f32 v[32:33], v[32:33], 0 op_sel_hi:[1,0]
	s_and_saveexec_b32 s13, s15
	s_cbranch_execz .LBB52_513
; %bb.512:                              ;   in Loop: Header=BB52_3 Depth=1
	ds_load_b64 v[34:35], v41 offset:18176
	ds_load_b64 v[36:37], v5 offset:18200
	s_wait_dscnt 0x0
	v_pk_mul_f32 v[76:77], v[36:37], v[34:35] op_sel:[1,1] op_sel_hi:[0,1]
	s_delay_alu instid0(VALU_DEP_1) | instskip(SKIP_1) | instid1(VALU_DEP_2)
	v_pk_fma_f32 v[78:79], v[36:37], v[34:35], v[76:77] op_sel_hi:[1,0,1]
	v_pk_fma_f32 v[34:35], v[36:37], v[34:35], v[76:77] neg_lo:[0,0,1] neg_hi:[0,0,1]
	v_mov_b32_e32 v35, v79
	s_delay_alu instid0(VALU_DEP_1)
	v_pk_add_f32 v[32:33], v[32:33], v[34:35]
.LBB52_513:                             ;   in Loop: Header=BB52_3 Depth=1
	s_or_b32 exec_lo, exec_lo, s13
.LBB52_514:                             ;   in Loop: Header=BB52_3 Depth=1
	s_delay_alu instid0(SALU_CYCLE_1)
	s_or_b32 exec_lo, exec_lo, s6
	s_and_saveexec_b32 s6, s45
	s_cbranch_execz .LBB52_516
; %bb.515:                              ;   in Loop: Header=BB52_3 Depth=1
	ds_load_b64 v[34:35], v5 offset:17160
	s_wait_dscnt 0x0
	v_pk_mul_f32 v[36:37], v[32:33], v[34:35] op_sel:[1,1] op_sel_hi:[1,0]
	s_delay_alu instid0(VALU_DEP_1) | instskip(SKIP_1) | instid1(VALU_DEP_2)
	v_pk_fma_f32 v[76:77], v[32:33], v[34:35], v[36:37] op_sel_hi:[0,1,1]
	v_pk_fma_f32 v[32:33], v[32:33], v[34:35], v[36:37] neg_lo:[0,0,1] neg_hi:[0,0,1]
	v_mov_b32_e32 v33, v77
	s_delay_alu instid0(VALU_DEP_1)
	v_pk_add_f32 v[34:35], v[32:33], 0 neg_lo:[1,1] neg_hi:[1,1]
	ds_store_b64 v3, v[34:35]
.LBB52_516:                             ;   in Loop: Header=BB52_3 Depth=1
	s_or_b32 exec_lo, exec_lo, s6
	s_wait_loadcnt_dscnt 0x0
	s_barrier_signal -1
	s_barrier_wait -1
	s_and_saveexec_b32 s6, s46
	s_cbranch_execz .LBB52_518
; %bb.517:                              ;   in Loop: Header=BB52_3 Depth=1
	ds_load_b64 v[34:35], v5 offset:17152
	ds_load_b64 v[36:37], v3
	s_wait_dscnt 0x0
	v_pk_mul_f32 v[76:77], v[36:37], v[34:35] op_sel:[1,1] op_sel_hi:[0,1]
	s_delay_alu instid0(VALU_DEP_1) | instskip(SKIP_1) | instid1(VALU_DEP_2)
	v_pk_fma_f32 v[78:79], v[36:37], v[34:35], v[76:77] op_sel_hi:[1,0,1]
	v_pk_fma_f32 v[34:35], v[36:37], v[34:35], v[76:77] neg_lo:[0,0,1] neg_hi:[0,0,1]
	v_mov_b32_e32 v35, v79
	s_delay_alu instid0(VALU_DEP_1)
	v_pk_add_f32 v[32:33], v[32:33], v[34:35] neg_lo:[0,1] neg_hi:[0,1]
.LBB52_518:                             ;   in Loop: Header=BB52_3 Depth=1
	s_or_b32 exec_lo, exec_lo, s6
	s_barrier_signal -1
	s_barrier_wait -1
	s_and_saveexec_b32 s6, s46
	s_cbranch_execz .LBB52_520
; %bb.519:                              ;   in Loop: Header=BB52_3 Depth=1
	ds_load_b64 v[34:35], v5 offset:16640
	s_wait_dscnt 0x0
	v_pk_mul_f32 v[36:37], v[32:33], v[34:35] op_sel:[1,1] op_sel_hi:[1,0]
	s_delay_alu instid0(VALU_DEP_1) | instskip(SKIP_1) | instid1(VALU_DEP_2)
	v_pk_fma_f32 v[76:77], v[32:33], v[34:35], v[36:37] op_sel_hi:[0,1,1]
	v_pk_fma_f32 v[32:33], v[32:33], v[34:35], v[36:37] neg_lo:[0,0,1] neg_hi:[0,0,1]
	v_mov_b32_e32 v33, v77
	s_delay_alu instid0(VALU_DEP_1)
	v_pk_add_f32 v[34:35], v[32:33], 0 neg_lo:[1,1] neg_hi:[1,1]
	ds_store_b64 v3, v[34:35]
.LBB52_520:                             ;   in Loop: Header=BB52_3 Depth=1
	s_or_b32 exec_lo, exec_lo, s6
	s_wait_dscnt 0x0
	s_barrier_signal -1
	s_barrier_wait -1
	s_barrier_signal -1
	s_barrier_wait -1
	s_and_saveexec_b32 s6, s1
; %bb.521:                              ;   in Loop: Header=BB52_3 Depth=1
	ds_store_b64 v42, v[32:33] offset:18176
; %bb.522:                              ;   in Loop: Header=BB52_3 Depth=1
	s_or_b32 exec_lo, exec_lo, s6
	s_wait_dscnt 0x0
	s_barrier_signal -1
	s_barrier_wait -1
	s_barrier_signal -1
	s_barrier_wait -1
	s_and_saveexec_b32 s6, s14
	s_cbranch_execz .LBB52_524
; %bb.523:                              ;   in Loop: Header=BB52_3 Depth=1
	v_add_nc_u32_e64 v32, 0x100, 0
	ds_load_b64 v[36:37], v5 offset:17160
	ds_load_2addr_stride64_b64 v[32:35], v32 offset0:32 offset1:33
	s_wait_dscnt 0x0
	v_dual_mul_f32 v75, v37, v33 :: v_dual_mul_f32 v76, v36, v33
	s_delay_alu instid0(VALU_DEP_1) | instskip(NEXT) | instid1(VALU_DEP_1)
	v_xor_b32_e32 v78, 0x80000000, v75
	v_dual_fmac_f32 v76, v37, v32 :: v_dual_fmac_f32 v78, v36, v32
	s_delay_alu instid0(VALU_DEP_1) | instskip(NEXT) | instid1(VALU_DEP_1)
	v_pk_mul_f32 v[32:33], v[76:77], v[34:35] op_sel:[0,1] op_sel_hi:[0,0]
	v_pk_fma_f32 v[36:37], v[78:79], v[34:35], v[32:33] op_sel_hi:[0,1,1]
	v_pk_fma_f32 v[32:33], v[78:79], v[34:35], v[32:33] neg_lo:[0,0,1] neg_hi:[0,0,1]
	s_delay_alu instid0(VALU_DEP_2)
	v_mov_b32_e32 v33, v37
	ds_store_b64 v5, v[32:33] offset:17152
.LBB52_524:                             ;   in Loop: Header=BB52_3 Depth=1
	s_or_b32 exec_lo, exec_lo, s6
	v_mov_b64_e32 v[32:33], 0
	s_wait_dscnt 0x0
	s_barrier_signal -1
	s_barrier_wait -1
	global_wb scope:SCOPE_DEV
	s_wait_storecnt 0x0
	global_inv scope:SCOPE_DEV
	s_and_saveexec_b32 s98, s35
	s_cbranch_execz .LBB52_586
; %bb.525:                              ;   in Loop: Header=BB52_3 Depth=1
	ds_load_b64 v[32:33], v57 offset:16384
	ds_load_b64 v[34:35], v58 offset:32512
	s_wait_dscnt 0x0
	v_dual_mul_f32 v36, v35, v33 :: v_dual_mul_f32 v33, v34, v33
	s_delay_alu instid0(VALU_DEP_1) | instskip(NEXT) | instid1(VALU_DEP_1)
	v_dual_fma_f32 v34, v34, v32, -v36 :: v_dual_fmac_f32 v33, v35, v32
	v_dual_add_f32 v32, 0, v34 :: v_dual_add_f32 v33, 0, v33
	s_mov_b32 s6, exec_lo
	v_readlane_b32 s13, v85, 20
	s_and_b32 s13, s6, s13
	s_delay_alu instid0(SALU_CYCLE_1)
	s_mov_b32 exec_lo, s13
	s_cbranch_execz .LBB52_527
; %bb.526:                              ;   in Loop: Header=BB52_3 Depth=1
	ds_load_b64 v[34:35], v57 offset:16896
	ds_load_b64 v[36:37], v58 offset:32520
	s_wait_dscnt 0x0
	v_dual_mul_f32 v75, v37, v35 :: v_dual_mul_f32 v35, v36, v35
	s_delay_alu instid0(VALU_DEP_1) | instskip(NEXT) | instid1(VALU_DEP_1)
	v_fmac_f32_e32 v35, v37, v34
	v_dual_fma_f32 v36, v36, v34, -v75 :: v_dual_add_f32 v33, v33, v35
	s_delay_alu instid0(VALU_DEP_1)
	v_add_f32_e32 v32, v32, v36
.LBB52_527:                             ;   in Loop: Header=BB52_3 Depth=1
	s_or_b32 exec_lo, exec_lo, s6
	s_delay_alu instid0(SALU_CYCLE_1) | instskip(SKIP_2) | instid1(SALU_CYCLE_1)
	s_mov_b32 s6, exec_lo
	v_readlane_b32 s13, v85, 21
	s_and_b32 s13, s6, s13
	s_mov_b32 exec_lo, s13
	s_cbranch_execz .LBB52_529
; %bb.528:                              ;   in Loop: Header=BB52_3 Depth=1
	ds_load_b64 v[34:35], v57 offset:17408
	ds_load_b64 v[36:37], v58 offset:32528
	s_wait_dscnt 0x0
	v_dual_mul_f32 v75, v37, v35 :: v_dual_mul_f32 v35, v36, v35
	s_delay_alu instid0(VALU_DEP_1) | instskip(NEXT) | instid1(VALU_DEP_1)
	v_fmac_f32_e32 v35, v37, v34
	v_dual_fma_f32 v36, v36, v34, -v75 :: v_dual_add_f32 v33, v33, v35
	s_delay_alu instid0(VALU_DEP_1)
	v_add_f32_e32 v32, v32, v36
.LBB52_529:                             ;   in Loop: Header=BB52_3 Depth=1
	s_or_b32 exec_lo, exec_lo, s6
	s_delay_alu instid0(SALU_CYCLE_1) | instskip(SKIP_2) | instid1(SALU_CYCLE_1)
	s_mov_b32 s6, exec_lo
	v_readlane_b32 s13, v85, 22
	s_and_b32 s13, s6, s13
	;; [unrolled: 18-line block ×22, first 2 shown]
	s_mov_b32 exec_lo, s13
	s_cbranch_execz .LBB52_571
; %bb.570:                              ;   in Loop: Header=BB52_3 Depth=1
	ds_load_b64 v[34:35], v57 offset:28160
	ds_load_b64 v[36:37], v58 offset:32696
	s_wait_dscnt 0x0
	v_dual_mul_f32 v75, v37, v35 :: v_dual_mul_f32 v35, v36, v35
	s_delay_alu instid0(VALU_DEP_1) | instskip(NEXT) | instid1(VALU_DEP_1)
	v_fmac_f32_e32 v35, v37, v34
	v_dual_fma_f32 v36, v36, v34, -v75 :: v_dual_add_f32 v33, v33, v35
	s_delay_alu instid0(VALU_DEP_1)
	v_add_f32_e32 v32, v32, v36
.LBB52_571:                             ;   in Loop: Header=BB52_3 Depth=1
	s_or_b32 exec_lo, exec_lo, s6
	s_and_saveexec_b32 s6, s4
	s_cbranch_execz .LBB52_573
; %bb.572:                              ;   in Loop: Header=BB52_3 Depth=1
	ds_load_b64 v[34:35], v57 offset:28672
	ds_load_b64 v[36:37], v58 offset:32704
	s_wait_dscnt 0x0
	v_dual_mul_f32 v75, v37, v35 :: v_dual_mul_f32 v35, v36, v35
	s_delay_alu instid0(VALU_DEP_1) | instskip(NEXT) | instid1(VALU_DEP_1)
	v_fmac_f32_e32 v35, v37, v34
	v_dual_fma_f32 v36, v36, v34, -v75 :: v_dual_add_f32 v33, v33, v35
	s_delay_alu instid0(VALU_DEP_1)
	v_add_f32_e32 v32, v32, v36
.LBB52_573:                             ;   in Loop: Header=BB52_3 Depth=1
	s_or_b32 exec_lo, exec_lo, s6
	s_delay_alu instid0(SALU_CYCLE_1) | instskip(SKIP_2) | instid1(SALU_CYCLE_1)
	s_mov_b32 s6, exec_lo
	v_readlane_b32 s13, v85, 1
	s_and_b32 s13, s6, s13
	s_mov_b32 exec_lo, s13
	s_cbranch_execz .LBB52_575
; %bb.574:                              ;   in Loop: Header=BB52_3 Depth=1
	ds_load_b64 v[34:35], v57 offset:29184
	ds_load_b64 v[36:37], v58 offset:32712
	s_wait_dscnt 0x0
	v_dual_mul_f32 v75, v37, v35 :: v_dual_mul_f32 v35, v36, v35
	s_delay_alu instid0(VALU_DEP_1) | instskip(NEXT) | instid1(VALU_DEP_1)
	v_fmac_f32_e32 v35, v37, v34
	v_dual_fma_f32 v36, v36, v34, -v75 :: v_dual_add_f32 v33, v33, v35
	s_delay_alu instid0(VALU_DEP_1)
	v_add_f32_e32 v32, v32, v36
.LBB52_575:                             ;   in Loop: Header=BB52_3 Depth=1
	s_or_b32 exec_lo, exec_lo, s6
	s_delay_alu instid0(SALU_CYCLE_1) | instskip(SKIP_2) | instid1(SALU_CYCLE_1)
	s_mov_b32 s6, exec_lo
	v_readlane_b32 s13, v85, 3
	s_and_b32 s13, s6, s13
	s_mov_b32 exec_lo, s13
	;; [unrolled: 18-line block ×4, first 2 shown]
	s_cbranch_execz .LBB52_581
; %bb.580:                              ;   in Loop: Header=BB52_3 Depth=1
	ds_load_b64 v[34:35], v57 offset:30720
	ds_load_b64 v[36:37], v58 offset:32736
	s_wait_dscnt 0x0
	v_dual_mul_f32 v75, v37, v35 :: v_dual_mul_f32 v77, v36, v35
	s_delay_alu instid0(VALU_DEP_1) | instskip(NEXT) | instid1(VALU_DEP_1)
	v_dual_fma_f32 v76, v36, v34, -v75 :: v_dual_fmac_f32 v77, v37, v34
	v_pk_add_f32 v[32:33], v[32:33], v[76:77]
.LBB52_581:                             ;   in Loop: Header=BB52_3 Depth=1
	s_or_b32 exec_lo, exec_lo, s6
	s_delay_alu instid0(SALU_CYCLE_1) | instskip(SKIP_2) | instid1(SALU_CYCLE_1)
	s_mov_b32 s6, exec_lo
	v_readlane_b32 s13, v85, 9
	s_and_b32 s13, s6, s13
	s_mov_b32 exec_lo, s13
	s_cbranch_execnz .LBB52_1072
; %bb.582:                              ;   in Loop: Header=BB52_3 Depth=1
	s_or_b32 exec_lo, exec_lo, s6
	s_and_saveexec_b32 s6, s3
	s_cbranch_execnz .LBB52_1073
.LBB52_583:                             ;   in Loop: Header=BB52_3 Depth=1
	s_or_b32 exec_lo, exec_lo, s6
	s_and_saveexec_b32 s6, s21
	s_delay_alu instid0(SALU_CYCLE_1)
	s_xor_b32 s6, exec_lo, s6
	s_cbranch_execz .LBB52_585
.LBB52_584:                             ;   in Loop: Header=BB52_3 Depth=1
	ds_load_b64 v[34:35], v57 offset:32256
	ds_load_b64 v[36:37], v58 offset:32760
	s_wait_dscnt 0x0
	v_pk_mul_f32 v[76:77], v[36:37], v[34:35] op_sel:[1,1] op_sel_hi:[0,1]
	s_delay_alu instid0(VALU_DEP_1) | instskip(SKIP_1) | instid1(VALU_DEP_2)
	v_pk_fma_f32 v[78:79], v[36:37], v[34:35], v[76:77] op_sel_hi:[1,0,1]
	v_pk_fma_f32 v[34:35], v[36:37], v[34:35], v[76:77] neg_lo:[0,0,1] neg_hi:[0,0,1]
	v_mov_b32_e32 v35, v79
	s_delay_alu instid0(VALU_DEP_1)
	v_pk_add_f32 v[32:33], v[32:33], v[34:35]
.LBB52_585:                             ;   in Loop: Header=BB52_3 Depth=1
	s_or_b32 exec_lo, exec_lo, s6
.LBB52_586:                             ;   in Loop: Header=BB52_3 Depth=1
	s_delay_alu instid0(SALU_CYCLE_1)
	s_or_b32 exec_lo, exec_lo, s98
	v_dual_mov_b32 v34, v74 :: v_dual_mov_b32 v35, v73
	s_mov_b32 s98, 31
	s_branch .LBB52_588
.LBB52_587:                             ;   in Loop: Header=BB52_588 Depth=2
	s_or_b32 exec_lo, exec_lo, s6
	v_add_nc_u32_e32 v35, 0xfffffc00, v35
	v_add_nc_u32_e32 v34, 2, v34
	s_add_co_i32 s98, s98, -2
	s_cmp_eq_u32 s99, 0
	s_barrier_signal -1
	s_barrier_wait -1
	s_cbranch_scc1 .LBB52_596
.LBB52_588:                             ;   Parent Loop BB52_3 Depth=1
                                        ; =>  This Inner Loop Header: Depth=2
	s_delay_alu instid0(VALU_DEP_1) | instskip(SKIP_1) | instid1(SALU_CYCLE_1)
	v_cmp_eq_u32_e32 vcc_lo, 0, v34
	s_and_b32 s13, s7, vcc_lo
	s_and_saveexec_b32 s6, s13
	s_cbranch_execz .LBB52_590
; %bb.589:                              ;   in Loop: Header=BB52_588 Depth=2
	ds_load_b64 v[36:37], v71
	s_wait_dscnt 0x0
	v_pk_mul_f32 v[76:77], v[32:33], v[36:37] op_sel:[1,1] op_sel_hi:[1,0]
	s_delay_alu instid0(VALU_DEP_1) | instskip(SKIP_1) | instid1(VALU_DEP_2)
	v_pk_fma_f32 v[78:79], v[32:33], v[36:37], v[76:77] op_sel_hi:[0,1,1]
	v_pk_fma_f32 v[32:33], v[32:33], v[36:37], v[76:77] neg_lo:[0,0,1] neg_hi:[0,0,1]
	v_mov_b32_e32 v33, v79
	s_delay_alu instid0(VALU_DEP_1)
	v_pk_add_f32 v[36:37], v[32:33], 0 neg_lo:[1,1] neg_hi:[1,1]
	ds_store_b64 v56, v[36:37]
.LBB52_590:                             ;   in Loop: Header=BB52_588 Depth=2
	s_or_b32 exec_lo, exec_lo, s6
	v_cmp_gt_u32_e32 vcc_lo, s98, v54
	s_wait_loadcnt_dscnt 0x0
	s_barrier_signal -1
	s_barrier_wait -1
	s_and_b32 s13, s7, vcc_lo
	s_delay_alu instid0(SALU_CYCLE_1)
	s_and_saveexec_b32 s6, s13
	s_cbranch_execz .LBB52_592
; %bb.591:                              ;   in Loop: Header=BB52_588 Depth=2
	ds_load_b64 v[36:37], v35 offset:512
	ds_load_b64 v[76:77], v56
	s_wait_dscnt 0x0
	v_pk_mul_f32 v[78:79], v[76:77], v[36:37] op_sel:[1,1] op_sel_hi:[0,1]
	s_delay_alu instid0(VALU_DEP_1) | instskip(SKIP_1) | instid1(VALU_DEP_2)
	v_pk_fma_f32 v[80:81], v[76:77], v[36:37], v[78:79] op_sel_hi:[1,0,1]
	v_pk_fma_f32 v[36:37], v[76:77], v[36:37], v[78:79] neg_lo:[0,0,1] neg_hi:[0,0,1]
	v_mov_b32_e32 v37, v81
	s_delay_alu instid0(VALU_DEP_1)
	v_pk_add_f32 v[32:33], v[32:33], v[36:37] neg_lo:[0,1] neg_hi:[0,1]
.LBB52_592:                             ;   in Loop: Header=BB52_588 Depth=2
	s_or_b32 exec_lo, exec_lo, s6
	s_add_co_i32 s99, s98, -1
	s_delay_alu instid0(SALU_CYCLE_1) | instskip(SKIP_3) | instid1(SALU_CYCLE_1)
	v_cmp_eq_u32_e32 vcc_lo, s99, v54
	s_barrier_signal -1
	s_barrier_wait -1
	s_and_b32 s13, s7, vcc_lo
	s_and_saveexec_b32 s6, s13
	s_cbranch_execz .LBB52_594
; %bb.593:                              ;   in Loop: Header=BB52_588 Depth=2
	ds_load_b64 v[36:37], v71
	s_wait_dscnt 0x0
	v_pk_mul_f32 v[76:77], v[32:33], v[36:37] op_sel:[1,1] op_sel_hi:[1,0]
	s_delay_alu instid0(VALU_DEP_1) | instskip(SKIP_1) | instid1(VALU_DEP_2)
	v_pk_fma_f32 v[78:79], v[32:33], v[36:37], v[76:77] op_sel_hi:[0,1,1]
	v_pk_fma_f32 v[32:33], v[32:33], v[36:37], v[76:77] neg_lo:[0,0,1] neg_hi:[0,0,1]
	v_mov_b32_e32 v33, v79
	s_delay_alu instid0(VALU_DEP_1)
	v_pk_add_f32 v[36:37], v[32:33], 0 neg_lo:[1,1] neg_hi:[1,1]
	ds_store_b64 v56, v[36:37]
.LBB52_594:                             ;   in Loop: Header=BB52_588 Depth=2
	s_or_b32 exec_lo, exec_lo, s6
	v_cmp_gt_u32_e32 vcc_lo, s99, v54
	s_wait_dscnt 0x0
	s_barrier_signal -1
	s_barrier_wait -1
	s_and_b32 s13, s7, vcc_lo
	s_delay_alu instid0(SALU_CYCLE_1)
	s_and_saveexec_b32 s6, s13
	s_cbranch_execz .LBB52_587
; %bb.595:                              ;   in Loop: Header=BB52_588 Depth=2
	ds_load_b64 v[36:37], v35
	ds_load_b64 v[76:77], v56
	s_wait_dscnt 0x0
	v_pk_mul_f32 v[78:79], v[76:77], v[36:37] op_sel:[1,1] op_sel_hi:[0,1]
	s_delay_alu instid0(VALU_DEP_1) | instskip(SKIP_1) | instid1(VALU_DEP_2)
	v_pk_fma_f32 v[80:81], v[76:77], v[36:37], v[78:79] op_sel_hi:[1,0,1]
	v_pk_fma_f32 v[36:37], v[76:77], v[36:37], v[78:79] neg_lo:[0,0,1] neg_hi:[0,0,1]
	v_mov_b32_e32 v37, v81
	s_delay_alu instid0(VALU_DEP_1)
	v_pk_add_f32 v[32:33], v[32:33], v[36:37] neg_lo:[0,1] neg_hi:[0,1]
	s_branch .LBB52_587
.LBB52_596:                             ;   in Loop: Header=BB52_3 Depth=1
	s_and_saveexec_b32 s6, s35
; %bb.597:                              ;   in Loop: Header=BB52_3 Depth=1
	ds_store_b64 v60, v[32:33] offset:32256
; %bb.598:                              ;   in Loop: Header=BB52_3 Depth=1
	s_or_b32 exec_lo, exec_lo, s6
	s_wait_dscnt 0x0
	s_barrier_signal -1
	s_barrier_wait -1
	s_barrier_signal -1
	s_barrier_wait -1
	s_and_saveexec_b32 s6, s14
	s_cbranch_execz .LBB52_600
; %bb.599:                              ;   in Loop: Header=BB52_3 Depth=1
	v_add_nc_u32_e64 v32, 0xf0, 0
	ds_load_b64 v[36:37], v5 offset:16120
	ds_load_2addr_stride64_b64 v[32:35], v32 offset0:30 offset1:31
	s_wait_dscnt 0x0
	v_dual_mul_f32 v75, v37, v33 :: v_dual_mul_f32 v76, v36, v33
	s_delay_alu instid0(VALU_DEP_1) | instskip(NEXT) | instid1(VALU_DEP_1)
	v_xor_b32_e32 v78, 0x80000000, v75
	v_dual_fmac_f32 v76, v37, v32 :: v_dual_fmac_f32 v78, v36, v32
	s_delay_alu instid0(VALU_DEP_1) | instskip(NEXT) | instid1(VALU_DEP_1)
	v_pk_mul_f32 v[32:33], v[76:77], v[34:35] op_sel:[0,1] op_sel_hi:[0,0]
	v_pk_fma_f32 v[36:37], v[78:79], v[34:35], v[32:33] op_sel_hi:[0,1,1]
	v_pk_fma_f32 v[32:33], v[78:79], v[34:35], v[32:33] neg_lo:[0,0,1] neg_hi:[0,0,1]
	s_delay_alu instid0(VALU_DEP_2)
	v_mov_b32_e32 v33, v37
	ds_store_b64 v5, v[32:33] offset:16112
.LBB52_600:                             ;   in Loop: Header=BB52_3 Depth=1
	s_or_b32 exec_lo, exec_lo, s6
	v_dual_mov_b32 v32, 0 :: v_dual_mov_b32 v33, 0
	s_wait_dscnt 0x0
	s_barrier_signal -1
	s_barrier_wait -1
	global_wb scope:SCOPE_DEV
	s_wait_storecnt 0x0
	global_inv scope:SCOPE_DEV
	s_and_saveexec_b32 s6, s1
	s_cbranch_execz .LBB52_604
; %bb.601:                              ;   in Loop: Header=BB52_3 Depth=1
	ds_load_b64 v[32:33], v39 offset:15584
	ds_load_b64 v[34:35], v40 offset:16112
	s_wait_dscnt 0x0
	v_pk_mul_f32 v[36:37], v[34:35], v[32:33] op_sel:[1,1] op_sel_hi:[0,1]
	s_delay_alu instid0(VALU_DEP_1) | instskip(SKIP_1) | instid1(VALU_DEP_2)
	v_pk_fma_f32 v[76:77], v[34:35], v[32:33], v[36:37] op_sel_hi:[1,0,1]
	v_pk_fma_f32 v[32:33], v[34:35], v[32:33], v[36:37] neg_lo:[0,0,1] neg_hi:[0,0,1]
	v_mov_b32_e32 v33, v77
	s_delay_alu instid0(VALU_DEP_1)
	v_pk_add_f32 v[32:33], v[32:33], 0 op_sel_hi:[1,0]
	s_and_saveexec_b32 s13, s15
	s_cbranch_execz .LBB52_603
; %bb.602:                              ;   in Loop: Header=BB52_3 Depth=1
	ds_load_b64 v[34:35], v41 offset:16096
	ds_load_b64 v[36:37], v5 offset:16120
	s_wait_dscnt 0x0
	v_pk_mul_f32 v[76:77], v[36:37], v[34:35] op_sel:[1,1] op_sel_hi:[0,1]
	s_delay_alu instid0(VALU_DEP_1) | instskip(SKIP_1) | instid1(VALU_DEP_2)
	v_pk_fma_f32 v[78:79], v[36:37], v[34:35], v[76:77] op_sel_hi:[1,0,1]
	v_pk_fma_f32 v[34:35], v[36:37], v[34:35], v[76:77] neg_lo:[0,0,1] neg_hi:[0,0,1]
	v_mov_b32_e32 v35, v79
	s_delay_alu instid0(VALU_DEP_1)
	v_pk_add_f32 v[32:33], v[32:33], v[34:35]
.LBB52_603:                             ;   in Loop: Header=BB52_3 Depth=1
	s_or_b32 exec_lo, exec_lo, s13
.LBB52_604:                             ;   in Loop: Header=BB52_3 Depth=1
	s_delay_alu instid0(SALU_CYCLE_1)
	s_or_b32 exec_lo, exec_lo, s6
	s_and_saveexec_b32 s6, s45
	s_cbranch_execz .LBB52_606
; %bb.605:                              ;   in Loop: Header=BB52_3 Depth=1
	ds_load_b64 v[34:35], v5 offset:15080
	s_wait_dscnt 0x0
	v_pk_mul_f32 v[36:37], v[32:33], v[34:35] op_sel:[1,1] op_sel_hi:[1,0]
	s_delay_alu instid0(VALU_DEP_1) | instskip(SKIP_1) | instid1(VALU_DEP_2)
	v_pk_fma_f32 v[76:77], v[32:33], v[34:35], v[36:37] op_sel_hi:[0,1,1]
	v_pk_fma_f32 v[32:33], v[32:33], v[34:35], v[36:37] neg_lo:[0,0,1] neg_hi:[0,0,1]
	v_mov_b32_e32 v33, v77
	s_delay_alu instid0(VALU_DEP_1)
	v_pk_add_f32 v[34:35], v[32:33], 0 neg_lo:[1,1] neg_hi:[1,1]
	ds_store_b64 v3, v[34:35]
.LBB52_606:                             ;   in Loop: Header=BB52_3 Depth=1
	s_or_b32 exec_lo, exec_lo, s6
	s_wait_loadcnt_dscnt 0x0
	s_barrier_signal -1
	s_barrier_wait -1
	s_and_saveexec_b32 s6, s46
	s_cbranch_execz .LBB52_608
; %bb.607:                              ;   in Loop: Header=BB52_3 Depth=1
	ds_load_b64 v[34:35], v5 offset:15072
	ds_load_b64 v[36:37], v3
	s_wait_dscnt 0x0
	v_pk_mul_f32 v[76:77], v[36:37], v[34:35] op_sel:[1,1] op_sel_hi:[0,1]
	s_delay_alu instid0(VALU_DEP_1) | instskip(SKIP_1) | instid1(VALU_DEP_2)
	v_pk_fma_f32 v[78:79], v[36:37], v[34:35], v[76:77] op_sel_hi:[1,0,1]
	v_pk_fma_f32 v[34:35], v[36:37], v[34:35], v[76:77] neg_lo:[0,0,1] neg_hi:[0,0,1]
	v_mov_b32_e32 v35, v79
	s_delay_alu instid0(VALU_DEP_1)
	v_pk_add_f32 v[32:33], v[32:33], v[34:35] neg_lo:[0,1] neg_hi:[0,1]
.LBB52_608:                             ;   in Loop: Header=BB52_3 Depth=1
	s_or_b32 exec_lo, exec_lo, s6
	s_barrier_signal -1
	s_barrier_wait -1
	s_and_saveexec_b32 s6, s46
	s_cbranch_execz .LBB52_610
; %bb.609:                              ;   in Loop: Header=BB52_3 Depth=1
	ds_load_b64 v[34:35], v5 offset:14560
	s_wait_dscnt 0x0
	v_pk_mul_f32 v[36:37], v[32:33], v[34:35] op_sel:[1,1] op_sel_hi:[1,0]
	s_delay_alu instid0(VALU_DEP_1) | instskip(SKIP_1) | instid1(VALU_DEP_2)
	v_pk_fma_f32 v[76:77], v[32:33], v[34:35], v[36:37] op_sel_hi:[0,1,1]
	v_pk_fma_f32 v[32:33], v[32:33], v[34:35], v[36:37] neg_lo:[0,0,1] neg_hi:[0,0,1]
	v_mov_b32_e32 v33, v77
	s_delay_alu instid0(VALU_DEP_1)
	v_pk_add_f32 v[34:35], v[32:33], 0 neg_lo:[1,1] neg_hi:[1,1]
	ds_store_b64 v3, v[34:35]
.LBB52_610:                             ;   in Loop: Header=BB52_3 Depth=1
	s_or_b32 exec_lo, exec_lo, s6
	s_wait_dscnt 0x0
	s_barrier_signal -1
	s_barrier_wait -1
	s_barrier_signal -1
	s_barrier_wait -1
	s_and_saveexec_b32 s6, s1
; %bb.611:                              ;   in Loop: Header=BB52_3 Depth=1
	ds_store_b64 v42, v[32:33] offset:16096
; %bb.612:                              ;   in Loop: Header=BB52_3 Depth=1
	s_or_b32 exec_lo, exec_lo, s6
	s_wait_dscnt 0x0
	s_barrier_signal -1
	s_barrier_wait -1
	s_barrier_signal -1
	s_barrier_wait -1
	s_and_saveexec_b32 s6, s14
	s_cbranch_execz .LBB52_614
; %bb.613:                              ;   in Loop: Header=BB52_3 Depth=1
	v_add_nc_u32_e64 v32, 0xe0, 0
	ds_load_b64 v[36:37], v5 offset:15080
	ds_load_2addr_stride64_b64 v[32:35], v32 offset0:28 offset1:29
	s_wait_dscnt 0x0
	v_dual_mul_f32 v75, v37, v33 :: v_dual_mul_f32 v76, v36, v33
	s_delay_alu instid0(VALU_DEP_1) | instskip(NEXT) | instid1(VALU_DEP_1)
	v_xor_b32_e32 v78, 0x80000000, v75
	v_dual_fmac_f32 v76, v37, v32 :: v_dual_fmac_f32 v78, v36, v32
	s_delay_alu instid0(VALU_DEP_1) | instskip(NEXT) | instid1(VALU_DEP_1)
	v_pk_mul_f32 v[32:33], v[76:77], v[34:35] op_sel:[0,1] op_sel_hi:[0,0]
	v_pk_fma_f32 v[36:37], v[78:79], v[34:35], v[32:33] op_sel_hi:[0,1,1]
	v_pk_fma_f32 v[32:33], v[78:79], v[34:35], v[32:33] neg_lo:[0,0,1] neg_hi:[0,0,1]
	s_delay_alu instid0(VALU_DEP_2)
	v_mov_b32_e32 v33, v37
	ds_store_b64 v5, v[32:33] offset:15072
.LBB52_614:                             ;   in Loop: Header=BB52_3 Depth=1
	s_or_b32 exec_lo, exec_lo, s6
	v_mov_b64_e32 v[32:33], 0
	s_wait_dscnt 0x0
	s_barrier_signal -1
	s_barrier_wait -1
	global_wb scope:SCOPE_DEV
	s_wait_storecnt 0x0
	global_inv scope:SCOPE_DEV
	s_and_saveexec_b32 s98, s2
	s_cbranch_execz .LBB52_620
; %bb.615:                              ;   in Loop: Header=BB52_3 Depth=1
	ds_load_b64 v[32:33], v44 offset:14528
	ds_load_b64 v[34:35], v45 offset:16096
	s_wait_dscnt 0x0
	v_dual_mul_f32 v36, v35, v33 :: v_dual_mul_f32 v33, v34, v33
	s_delay_alu instid0(VALU_DEP_1) | instskip(NEXT) | instid1(VALU_DEP_1)
	v_dual_fma_f32 v34, v34, v32, -v36 :: v_dual_fmac_f32 v33, v35, v32
	v_dual_add_f32 v32, 0, v34 :: v_dual_add_f32 v33, 0, v33
	s_and_saveexec_b32 s6, s16
	s_cbranch_execnz .LBB52_1074
; %bb.616:                              ;   in Loop: Header=BB52_3 Depth=1
	s_or_b32 exec_lo, exec_lo, s6
	s_and_saveexec_b32 s6, s17
	s_cbranch_execnz .LBB52_1075
.LBB52_617:                             ;   in Loop: Header=BB52_3 Depth=1
	s_or_b32 exec_lo, exec_lo, s6
	s_and_saveexec_b32 s6, s1
	s_cbranch_execz .LBB52_619
.LBB52_618:                             ;   in Loop: Header=BB52_3 Depth=1
	ds_load_b64 v[34:35], v41 offset:16064
	ds_load_b64 v[36:37], v5 offset:16120
	s_wait_dscnt 0x0
	v_dual_mul_f32 v75, v37, v35 :: v_dual_mul_f32 v35, v36, v35
	s_delay_alu instid0(VALU_DEP_1) | instskip(NEXT) | instid1(VALU_DEP_1)
	v_fmac_f32_e32 v35, v37, v34
	v_dual_fma_f32 v36, v36, v34, -v75 :: v_dual_add_f32 v33, v33, v35
	s_delay_alu instid0(VALU_DEP_1)
	v_add_f32_e32 v32, v32, v36
.LBB52_619:                             ;   in Loop: Header=BB52_3 Depth=1
	s_or_b32 exec_lo, exec_lo, s6
.LBB52_620:                             ;   in Loop: Header=BB52_3 Depth=1
	s_delay_alu instid0(SALU_CYCLE_1)
	s_or_b32 exec_lo, exec_lo, s98
	s_and_saveexec_b32 s6, s47
	s_cbranch_execz .LBB52_622
; %bb.621:                              ;   in Loop: Header=BB52_3 Depth=1
	ds_load_b64 v[34:35], v5 offset:14040
	s_wait_dscnt 0x0
	v_dual_mul_f32 v36, v33, v34 :: v_dual_mul_f32 v76, v33, v35
	s_delay_alu instid0(VALU_DEP_1) | instskip(NEXT) | instid1(VALU_DEP_2)
	v_pk_fma_f32 v[36:37], v[32:33], v[34:35], v[36:37] op_sel:[1,0,0] op_sel_hi:[0,1,0]
	v_pk_fma_f32 v[32:33], v[32:33], v[34:35], v[76:77] op_sel_hi:[1,1,0] neg_lo:[0,0,1] neg_hi:[0,0,1]
	s_delay_alu instid0(VALU_DEP_2) | instskip(NEXT) | instid1(VALU_DEP_1)
	v_mov_b32_e32 v33, v37
	v_pk_add_f32 v[34:35], v[32:33], 0 neg_lo:[1,1] neg_hi:[1,1]
	ds_store_b64 v43, v[34:35]
.LBB52_622:                             ;   in Loop: Header=BB52_3 Depth=1
	s_or_b32 exec_lo, exec_lo, s6
	s_wait_loadcnt_dscnt 0x0
	s_barrier_signal -1
	s_barrier_wait -1
	s_and_saveexec_b32 s6, s48
	s_cbranch_execz .LBB52_624
; %bb.623:                              ;   in Loop: Header=BB52_3 Depth=1
	ds_load_b64 v[34:35], v44 offset:14016
	ds_load_b64 v[36:37], v43
	s_wait_dscnt 0x0
	v_pk_mul_f32 v[76:77], v[36:37], v[34:35] op_sel:[1,1] op_sel_hi:[0,1]
	s_delay_alu instid0(VALU_DEP_1) | instskip(SKIP_1) | instid1(VALU_DEP_2)
	v_pk_fma_f32 v[78:79], v[36:37], v[34:35], v[76:77] op_sel_hi:[1,0,1]
	v_pk_fma_f32 v[34:35], v[36:37], v[34:35], v[76:77] neg_lo:[0,0,1] neg_hi:[0,0,1]
	v_mov_b32_e32 v35, v79
	s_delay_alu instid0(VALU_DEP_1)
	v_pk_add_f32 v[32:33], v[32:33], v[34:35] neg_lo:[0,1] neg_hi:[0,1]
.LBB52_624:                             ;   in Loop: Header=BB52_3 Depth=1
	s_or_b32 exec_lo, exec_lo, s6
	s_barrier_signal -1
	s_barrier_wait -1
	s_and_saveexec_b32 s6, s49
	s_cbranch_execz .LBB52_626
; %bb.625:                              ;   in Loop: Header=BB52_3 Depth=1
	ds_load_b64 v[34:35], v5 offset:13520
	s_wait_dscnt 0x0
	v_pk_mul_f32 v[36:37], v[32:33], v[34:35] op_sel:[1,1] op_sel_hi:[1,0]
	s_delay_alu instid0(VALU_DEP_1) | instskip(SKIP_1) | instid1(VALU_DEP_2)
	v_pk_fma_f32 v[76:77], v[32:33], v[34:35], v[36:37] op_sel_hi:[0,1,1]
	v_pk_fma_f32 v[32:33], v[32:33], v[34:35], v[36:37] neg_lo:[0,0,1] neg_hi:[0,0,1]
	v_mov_b32_e32 v33, v77
	s_delay_alu instid0(VALU_DEP_1)
	v_pk_add_f32 v[34:35], v[32:33], 0 neg_lo:[1,1] neg_hi:[1,1]
	ds_store_b64 v43, v[34:35]
.LBB52_626:                             ;   in Loop: Header=BB52_3 Depth=1
	s_or_b32 exec_lo, exec_lo, s6
	s_wait_dscnt 0x0
	s_barrier_signal -1
	s_barrier_wait -1
	s_and_saveexec_b32 s6, s50
	s_cbranch_execz .LBB52_628
; %bb.627:                              ;   in Loop: Header=BB52_3 Depth=1
	ds_load_b64 v[34:35], v44 offset:13504
	ds_load_b64 v[36:37], v43
	s_wait_dscnt 0x0
	v_pk_mul_f32 v[76:77], v[36:37], v[34:35] op_sel:[1,1] op_sel_hi:[0,1]
	s_delay_alu instid0(VALU_DEP_1) | instskip(SKIP_1) | instid1(VALU_DEP_2)
	v_pk_fma_f32 v[78:79], v[36:37], v[34:35], v[76:77] op_sel_hi:[1,0,1]
	v_pk_fma_f32 v[34:35], v[36:37], v[34:35], v[76:77] neg_lo:[0,0,1] neg_hi:[0,0,1]
	v_mov_b32_e32 v35, v79
	s_delay_alu instid0(VALU_DEP_1)
	v_pk_add_f32 v[32:33], v[32:33], v[34:35] neg_lo:[0,1] neg_hi:[0,1]
.LBB52_628:                             ;   in Loop: Header=BB52_3 Depth=1
	s_or_b32 exec_lo, exec_lo, s6
	s_barrier_signal -1
	s_barrier_wait -1
	s_and_saveexec_b32 s6, s51
	s_cbranch_execz .LBB52_630
; %bb.629:                              ;   in Loop: Header=BB52_3 Depth=1
	ds_load_b64 v[34:35], v5 offset:13000
	s_wait_dscnt 0x0
	v_pk_mul_f32 v[36:37], v[32:33], v[34:35] op_sel:[1,1] op_sel_hi:[1,0]
	s_delay_alu instid0(VALU_DEP_1) | instskip(SKIP_1) | instid1(VALU_DEP_2)
	v_pk_fma_f32 v[76:77], v[32:33], v[34:35], v[36:37] op_sel_hi:[0,1,1]
	v_pk_fma_f32 v[32:33], v[32:33], v[34:35], v[36:37] neg_lo:[0,0,1] neg_hi:[0,0,1]
	v_mov_b32_e32 v33, v77
	s_delay_alu instid0(VALU_DEP_1)
	v_pk_add_f32 v[34:35], v[32:33], 0 neg_lo:[1,1] neg_hi:[1,1]
	ds_store_b64 v43, v[34:35]
.LBB52_630:                             ;   in Loop: Header=BB52_3 Depth=1
	s_or_b32 exec_lo, exec_lo, s6
	s_wait_dscnt 0x0
	;; [unrolled: 35-line block ×3, first 2 shown]
	s_barrier_signal -1
	s_barrier_wait -1
	s_barrier_signal -1
	s_barrier_wait -1
	s_and_saveexec_b32 s6, s2
; %bb.635:                              ;   in Loop: Header=BB52_3 Depth=1
	ds_store_b64 v46, v[32:33] offset:16064
; %bb.636:                              ;   in Loop: Header=BB52_3 Depth=1
	s_or_b32 exec_lo, exec_lo, s6
	s_wait_dscnt 0x0
	s_barrier_signal -1
	s_barrier_wait -1
	s_barrier_signal -1
	s_barrier_wait -1
	s_and_saveexec_b32 s6, s14
	s_cbranch_execz .LBB52_638
; %bb.637:                              ;   in Loop: Header=BB52_3 Depth=1
	v_add_nc_u32_e64 v32, 0xd0, 0
	ds_load_b64 v[36:37], v5 offset:14040
	ds_load_2addr_stride64_b64 v[32:35], v32 offset0:26 offset1:27
	s_wait_dscnt 0x0
	v_dual_mul_f32 v75, v37, v33 :: v_dual_mul_f32 v76, v36, v33
	s_delay_alu instid0(VALU_DEP_1) | instskip(NEXT) | instid1(VALU_DEP_1)
	v_xor_b32_e32 v78, 0x80000000, v75
	v_dual_fmac_f32 v76, v37, v32 :: v_dual_fmac_f32 v78, v36, v32
	s_delay_alu instid0(VALU_DEP_1) | instskip(NEXT) | instid1(VALU_DEP_1)
	v_pk_mul_f32 v[32:33], v[76:77], v[34:35] op_sel:[0,1] op_sel_hi:[0,0]
	v_pk_fma_f32 v[36:37], v[78:79], v[34:35], v[32:33] op_sel_hi:[0,1,1]
	v_pk_fma_f32 v[32:33], v[78:79], v[34:35], v[32:33] neg_lo:[0,0,1] neg_hi:[0,0,1]
	s_delay_alu instid0(VALU_DEP_2)
	v_mov_b32_e32 v33, v37
	ds_store_b64 v5, v[32:33] offset:14032
.LBB52_638:                             ;   in Loop: Header=BB52_3 Depth=1
	s_or_b32 exec_lo, exec_lo, s6
	v_dual_mov_b32 v32, 0 :: v_dual_mov_b32 v33, 0
	s_wait_dscnt 0x0
	s_barrier_signal -1
	s_barrier_wait -1
	global_wb scope:SCOPE_DEV
	s_wait_storecnt 0x0
	global_inv scope:SCOPE_DEV
	s_and_saveexec_b32 s6, s1
	s_cbranch_execz .LBB52_642
; %bb.639:                              ;   in Loop: Header=BB52_3 Depth=1
	ds_load_b64 v[32:33], v39 offset:13504
	ds_load_b64 v[34:35], v40 offset:14032
	s_wait_dscnt 0x0
	v_pk_mul_f32 v[36:37], v[34:35], v[32:33] op_sel:[1,1] op_sel_hi:[0,1]
	s_delay_alu instid0(VALU_DEP_1) | instskip(SKIP_1) | instid1(VALU_DEP_2)
	v_pk_fma_f32 v[76:77], v[34:35], v[32:33], v[36:37] op_sel_hi:[1,0,1]
	v_pk_fma_f32 v[32:33], v[34:35], v[32:33], v[36:37] neg_lo:[0,0,1] neg_hi:[0,0,1]
	v_mov_b32_e32 v33, v77
	s_delay_alu instid0(VALU_DEP_1)
	v_pk_add_f32 v[32:33], v[32:33], 0 op_sel_hi:[1,0]
	s_and_saveexec_b32 s13, s15
	s_cbranch_execz .LBB52_641
; %bb.640:                              ;   in Loop: Header=BB52_3 Depth=1
	ds_load_b64 v[34:35], v41 offset:14016
	ds_load_b64 v[36:37], v5 offset:14040
	s_wait_dscnt 0x0
	v_pk_mul_f32 v[76:77], v[36:37], v[34:35] op_sel:[1,1] op_sel_hi:[0,1]
	s_delay_alu instid0(VALU_DEP_1) | instskip(SKIP_1) | instid1(VALU_DEP_2)
	v_pk_fma_f32 v[78:79], v[36:37], v[34:35], v[76:77] op_sel_hi:[1,0,1]
	v_pk_fma_f32 v[34:35], v[36:37], v[34:35], v[76:77] neg_lo:[0,0,1] neg_hi:[0,0,1]
	v_mov_b32_e32 v35, v79
	s_delay_alu instid0(VALU_DEP_1)
	v_pk_add_f32 v[32:33], v[32:33], v[34:35]
.LBB52_641:                             ;   in Loop: Header=BB52_3 Depth=1
	s_or_b32 exec_lo, exec_lo, s13
.LBB52_642:                             ;   in Loop: Header=BB52_3 Depth=1
	s_delay_alu instid0(SALU_CYCLE_1)
	s_or_b32 exec_lo, exec_lo, s6
	s_and_saveexec_b32 s6, s45
	s_cbranch_execz .LBB52_644
; %bb.643:                              ;   in Loop: Header=BB52_3 Depth=1
	ds_load_b64 v[34:35], v5 offset:13000
	s_wait_dscnt 0x0
	v_pk_mul_f32 v[36:37], v[32:33], v[34:35] op_sel:[1,1] op_sel_hi:[1,0]
	s_delay_alu instid0(VALU_DEP_1) | instskip(SKIP_1) | instid1(VALU_DEP_2)
	v_pk_fma_f32 v[76:77], v[32:33], v[34:35], v[36:37] op_sel_hi:[0,1,1]
	v_pk_fma_f32 v[32:33], v[32:33], v[34:35], v[36:37] neg_lo:[0,0,1] neg_hi:[0,0,1]
	v_mov_b32_e32 v33, v77
	s_delay_alu instid0(VALU_DEP_1)
	v_pk_add_f32 v[34:35], v[32:33], 0 neg_lo:[1,1] neg_hi:[1,1]
	ds_store_b64 v3, v[34:35]
.LBB52_644:                             ;   in Loop: Header=BB52_3 Depth=1
	s_or_b32 exec_lo, exec_lo, s6
	s_wait_loadcnt_dscnt 0x0
	s_barrier_signal -1
	s_barrier_wait -1
	s_and_saveexec_b32 s6, s46
	s_cbranch_execz .LBB52_646
; %bb.645:                              ;   in Loop: Header=BB52_3 Depth=1
	ds_load_b64 v[34:35], v5 offset:12992
	ds_load_b64 v[36:37], v3
	s_wait_dscnt 0x0
	v_pk_mul_f32 v[76:77], v[36:37], v[34:35] op_sel:[1,1] op_sel_hi:[0,1]
	s_delay_alu instid0(VALU_DEP_1) | instskip(SKIP_1) | instid1(VALU_DEP_2)
	v_pk_fma_f32 v[78:79], v[36:37], v[34:35], v[76:77] op_sel_hi:[1,0,1]
	v_pk_fma_f32 v[34:35], v[36:37], v[34:35], v[76:77] neg_lo:[0,0,1] neg_hi:[0,0,1]
	v_mov_b32_e32 v35, v79
	s_delay_alu instid0(VALU_DEP_1)
	v_pk_add_f32 v[32:33], v[32:33], v[34:35] neg_lo:[0,1] neg_hi:[0,1]
.LBB52_646:                             ;   in Loop: Header=BB52_3 Depth=1
	s_or_b32 exec_lo, exec_lo, s6
	s_barrier_signal -1
	s_barrier_wait -1
	s_and_saveexec_b32 s6, s46
	s_cbranch_execz .LBB52_648
; %bb.647:                              ;   in Loop: Header=BB52_3 Depth=1
	ds_load_b64 v[34:35], v5 offset:12480
	s_wait_dscnt 0x0
	v_pk_mul_f32 v[36:37], v[32:33], v[34:35] op_sel:[1,1] op_sel_hi:[1,0]
	s_delay_alu instid0(VALU_DEP_1) | instskip(SKIP_1) | instid1(VALU_DEP_2)
	v_pk_fma_f32 v[76:77], v[32:33], v[34:35], v[36:37] op_sel_hi:[0,1,1]
	v_pk_fma_f32 v[32:33], v[32:33], v[34:35], v[36:37] neg_lo:[0,0,1] neg_hi:[0,0,1]
	v_mov_b32_e32 v33, v77
	s_delay_alu instid0(VALU_DEP_1)
	v_pk_add_f32 v[34:35], v[32:33], 0 neg_lo:[1,1] neg_hi:[1,1]
	ds_store_b64 v3, v[34:35]
.LBB52_648:                             ;   in Loop: Header=BB52_3 Depth=1
	s_or_b32 exec_lo, exec_lo, s6
	s_wait_dscnt 0x0
	s_barrier_signal -1
	s_barrier_wait -1
	s_barrier_signal -1
	s_barrier_wait -1
	s_and_saveexec_b32 s6, s1
; %bb.649:                              ;   in Loop: Header=BB52_3 Depth=1
	ds_store_b64 v42, v[32:33] offset:14016
; %bb.650:                              ;   in Loop: Header=BB52_3 Depth=1
	s_or_b32 exec_lo, exec_lo, s6
	s_wait_dscnt 0x0
	s_barrier_signal -1
	s_barrier_wait -1
	s_barrier_signal -1
	s_barrier_wait -1
	s_and_saveexec_b32 s6, s14
	s_cbranch_execz .LBB52_652
; %bb.651:                              ;   in Loop: Header=BB52_3 Depth=1
	v_add_nc_u32_e64 v32, 0xc0, 0
	ds_load_b64 v[36:37], v5 offset:13000
	ds_load_2addr_stride64_b64 v[32:35], v32 offset0:24 offset1:25
	s_wait_dscnt 0x0
	v_dual_mul_f32 v75, v37, v33 :: v_dual_mul_f32 v76, v36, v33
	s_delay_alu instid0(VALU_DEP_1) | instskip(NEXT) | instid1(VALU_DEP_1)
	v_xor_b32_e32 v78, 0x80000000, v75
	v_dual_fmac_f32 v76, v37, v32 :: v_dual_fmac_f32 v78, v36, v32
	s_delay_alu instid0(VALU_DEP_1) | instskip(NEXT) | instid1(VALU_DEP_1)
	v_pk_mul_f32 v[32:33], v[76:77], v[34:35] op_sel:[0,1] op_sel_hi:[0,0]
	v_pk_fma_f32 v[36:37], v[78:79], v[34:35], v[32:33] op_sel_hi:[0,1,1]
	v_pk_fma_f32 v[32:33], v[78:79], v[34:35], v[32:33] neg_lo:[0,0,1] neg_hi:[0,0,1]
	s_delay_alu instid0(VALU_DEP_2)
	v_mov_b32_e32 v33, v37
	ds_store_b64 v5, v[32:33] offset:12992
.LBB52_652:                             ;   in Loop: Header=BB52_3 Depth=1
	s_or_b32 exec_lo, exec_lo, s6
	v_mov_b64_e32 v[32:33], 0
	s_wait_dscnt 0x0
	s_barrier_signal -1
	s_barrier_wait -1
	global_wb scope:SCOPE_DEV
	s_wait_storecnt 0x0
	global_inv scope:SCOPE_DEV
	s_and_saveexec_b32 s98, s3
	s_cbranch_execz .LBB52_662
; %bb.653:                              ;   in Loop: Header=BB52_3 Depth=1
	ds_load_b64 v[32:33], v48 offset:12416
	ds_load_b64 v[34:35], v49 offset:16064
	s_wait_dscnt 0x0
	v_dual_mul_f32 v36, v35, v33 :: v_dual_mul_f32 v33, v34, v33
	s_delay_alu instid0(VALU_DEP_1) | instskip(NEXT) | instid1(VALU_DEP_1)
	v_dual_fma_f32 v34, v34, v32, -v36 :: v_dual_fmac_f32 v33, v35, v32
	v_dual_add_f32 v32, 0, v34 :: v_dual_add_f32 v33, 0, v33
	s_and_saveexec_b32 s6, s18
	s_cbranch_execnz .LBB52_1076
; %bb.654:                              ;   in Loop: Header=BB52_3 Depth=1
	s_or_b32 exec_lo, exec_lo, s6
	s_and_saveexec_b32 s6, s19
	s_cbranch_execnz .LBB52_1077
.LBB52_655:                             ;   in Loop: Header=BB52_3 Depth=1
	s_or_b32 exec_lo, exec_lo, s6
	s_and_saveexec_b32 s6, s20
	s_cbranch_execnz .LBB52_1078
.LBB52_656:                             ;   in Loop: Header=BB52_3 Depth=1
	s_or_b32 exec_lo, exec_lo, s6
	s_and_saveexec_b32 s6, s21
	s_cbranch_execnz .LBB52_1079
.LBB52_657:                             ;   in Loop: Header=BB52_3 Depth=1
	s_or_b32 exec_lo, exec_lo, s6
	s_and_saveexec_b32 s6, s22
	s_cbranch_execnz .LBB52_1080
.LBB52_658:                             ;   in Loop: Header=BB52_3 Depth=1
	s_or_b32 exec_lo, exec_lo, s6
	s_and_saveexec_b32 s6, s2
	s_cbranch_execnz .LBB52_1081
.LBB52_659:                             ;   in Loop: Header=BB52_3 Depth=1
	s_or_b32 exec_lo, exec_lo, s6
	s_and_saveexec_b32 s6, s17
	s_cbranch_execz .LBB52_661
.LBB52_660:                             ;   in Loop: Header=BB52_3 Depth=1
	ds_load_b64 v[34:35], v41 offset:16000
	ds_load_b64 v[36:37], v5 offset:16120
	s_wait_dscnt 0x0
	v_dual_mul_f32 v75, v37, v35 :: v_dual_mul_f32 v77, v36, v35
	s_delay_alu instid0(VALU_DEP_1) | instskip(NEXT) | instid1(VALU_DEP_1)
	v_dual_fma_f32 v76, v36, v34, -v75 :: v_dual_fmac_f32 v77, v37, v34
	v_pk_add_f32 v[32:33], v[32:33], v[76:77]
.LBB52_661:                             ;   in Loop: Header=BB52_3 Depth=1
	s_or_b32 exec_lo, exec_lo, s6
.LBB52_662:                             ;   in Loop: Header=BB52_3 Depth=1
	s_delay_alu instid0(SALU_CYCLE_1)
	s_or_b32 exec_lo, exec_lo, s98
	s_and_saveexec_b32 s6, s53
	s_cbranch_execz .LBB52_664
; %bb.663:                              ;   in Loop: Header=BB52_3 Depth=1
	ds_load_b64 v[34:35], v5 offset:11960
	s_wait_dscnt 0x0
	v_pk_mul_f32 v[36:37], v[32:33], v[34:35] op_sel:[1,1] op_sel_hi:[1,0]
	s_delay_alu instid0(VALU_DEP_1) | instskip(SKIP_1) | instid1(VALU_DEP_2)
	v_pk_fma_f32 v[76:77], v[32:33], v[34:35], v[36:37] op_sel_hi:[0,1,1]
	v_pk_fma_f32 v[32:33], v[32:33], v[34:35], v[36:37] neg_lo:[0,0,1] neg_hi:[0,0,1]
	v_mov_b32_e32 v33, v77
	s_delay_alu instid0(VALU_DEP_1)
	v_pk_add_f32 v[34:35], v[32:33], 0 neg_lo:[1,1] neg_hi:[1,1]
	ds_store_b64 v47, v[34:35]
.LBB52_664:                             ;   in Loop: Header=BB52_3 Depth=1
	s_or_b32 exec_lo, exec_lo, s6
	s_wait_loadcnt_dscnt 0x0
	s_barrier_signal -1
	s_barrier_wait -1
	s_and_saveexec_b32 s6, s54
	s_cbranch_execz .LBB52_666
; %bb.665:                              ;   in Loop: Header=BB52_3 Depth=1
	ds_load_b64 v[34:35], v48 offset:11904
	ds_load_b64 v[36:37], v47
	s_wait_dscnt 0x0
	v_pk_mul_f32 v[76:77], v[36:37], v[34:35] op_sel:[1,1] op_sel_hi:[0,1]
	s_delay_alu instid0(VALU_DEP_1) | instskip(SKIP_1) | instid1(VALU_DEP_2)
	v_pk_fma_f32 v[78:79], v[36:37], v[34:35], v[76:77] op_sel_hi:[1,0,1]
	v_pk_fma_f32 v[34:35], v[36:37], v[34:35], v[76:77] neg_lo:[0,0,1] neg_hi:[0,0,1]
	v_mov_b32_e32 v35, v79
	s_delay_alu instid0(VALU_DEP_1)
	v_pk_add_f32 v[32:33], v[32:33], v[34:35] neg_lo:[0,1] neg_hi:[0,1]
.LBB52_666:                             ;   in Loop: Header=BB52_3 Depth=1
	s_or_b32 exec_lo, exec_lo, s6
	s_barrier_signal -1
	s_barrier_wait -1
	s_and_saveexec_b32 s6, s55
	s_cbranch_execz .LBB52_668
; %bb.667:                              ;   in Loop: Header=BB52_3 Depth=1
	ds_load_b64 v[34:35], v5 offset:11440
	s_wait_dscnt 0x0
	v_pk_mul_f32 v[36:37], v[32:33], v[34:35] op_sel:[1,1] op_sel_hi:[1,0]
	s_delay_alu instid0(VALU_DEP_1) | instskip(SKIP_1) | instid1(VALU_DEP_2)
	v_pk_fma_f32 v[76:77], v[32:33], v[34:35], v[36:37] op_sel_hi:[0,1,1]
	v_pk_fma_f32 v[32:33], v[32:33], v[34:35], v[36:37] neg_lo:[0,0,1] neg_hi:[0,0,1]
	v_mov_b32_e32 v33, v77
	s_delay_alu instid0(VALU_DEP_1)
	v_pk_add_f32 v[34:35], v[32:33], 0 neg_lo:[1,1] neg_hi:[1,1]
	ds_store_b64 v47, v[34:35]
.LBB52_668:                             ;   in Loop: Header=BB52_3 Depth=1
	s_or_b32 exec_lo, exec_lo, s6
	s_wait_dscnt 0x0
	s_barrier_signal -1
	s_barrier_wait -1
	s_and_saveexec_b32 s6, s56
	s_cbranch_execz .LBB52_670
; %bb.669:                              ;   in Loop: Header=BB52_3 Depth=1
	ds_load_b64 v[34:35], v48 offset:11392
	ds_load_b64 v[36:37], v47
	s_wait_dscnt 0x0
	v_pk_mul_f32 v[76:77], v[36:37], v[34:35] op_sel:[1,1] op_sel_hi:[0,1]
	s_delay_alu instid0(VALU_DEP_1) | instskip(SKIP_1) | instid1(VALU_DEP_2)
	v_pk_fma_f32 v[78:79], v[36:37], v[34:35], v[76:77] op_sel_hi:[1,0,1]
	v_pk_fma_f32 v[34:35], v[36:37], v[34:35], v[76:77] neg_lo:[0,0,1] neg_hi:[0,0,1]
	v_mov_b32_e32 v35, v79
	s_delay_alu instid0(VALU_DEP_1)
	v_pk_add_f32 v[32:33], v[32:33], v[34:35] neg_lo:[0,1] neg_hi:[0,1]
.LBB52_670:                             ;   in Loop: Header=BB52_3 Depth=1
	s_or_b32 exec_lo, exec_lo, s6
	s_barrier_signal -1
	s_barrier_wait -1
	s_and_saveexec_b32 s6, s57
	s_cbranch_execz .LBB52_672
; %bb.671:                              ;   in Loop: Header=BB52_3 Depth=1
	ds_load_b64 v[34:35], v5 offset:10920
	s_wait_dscnt 0x0
	v_pk_mul_f32 v[36:37], v[32:33], v[34:35] op_sel:[1,1] op_sel_hi:[1,0]
	s_delay_alu instid0(VALU_DEP_1) | instskip(SKIP_1) | instid1(VALU_DEP_2)
	v_pk_fma_f32 v[76:77], v[32:33], v[34:35], v[36:37] op_sel_hi:[0,1,1]
	v_pk_fma_f32 v[32:33], v[32:33], v[34:35], v[36:37] neg_lo:[0,0,1] neg_hi:[0,0,1]
	v_mov_b32_e32 v33, v77
	s_delay_alu instid0(VALU_DEP_1)
	v_pk_add_f32 v[34:35], v[32:33], 0 neg_lo:[1,1] neg_hi:[1,1]
	ds_store_b64 v47, v[34:35]
.LBB52_672:                             ;   in Loop: Header=BB52_3 Depth=1
	s_or_b32 exec_lo, exec_lo, s6
	s_wait_dscnt 0x0
	s_barrier_signal -1
	s_barrier_wait -1
	s_and_saveexec_b32 s6, s58
	s_cbranch_execz .LBB52_674
; %bb.673:                              ;   in Loop: Header=BB52_3 Depth=1
	ds_load_b64 v[34:35], v48 offset:10880
	ds_load_b64 v[36:37], v47
	s_wait_dscnt 0x0
	v_pk_mul_f32 v[76:77], v[36:37], v[34:35] op_sel:[1,1] op_sel_hi:[0,1]
	s_delay_alu instid0(VALU_DEP_1) | instskip(SKIP_1) | instid1(VALU_DEP_2)
	v_pk_fma_f32 v[78:79], v[36:37], v[34:35], v[76:77] op_sel_hi:[1,0,1]
	v_pk_fma_f32 v[34:35], v[36:37], v[34:35], v[76:77] neg_lo:[0,0,1] neg_hi:[0,0,1]
	v_mov_b32_e32 v35, v79
	s_delay_alu instid0(VALU_DEP_1)
	v_pk_add_f32 v[32:33], v[32:33], v[34:35] neg_lo:[0,1] neg_hi:[0,1]
.LBB52_674:                             ;   in Loop: Header=BB52_3 Depth=1
	s_or_b32 exec_lo, exec_lo, s6
	s_barrier_signal -1
	s_barrier_wait -1
	s_and_saveexec_b32 s6, s59
	s_cbranch_execz .LBB52_676
; %bb.675:                              ;   in Loop: Header=BB52_3 Depth=1
	ds_load_b64 v[34:35], v5 offset:10400
	s_wait_dscnt 0x0
	v_pk_mul_f32 v[36:37], v[32:33], v[34:35]
	v_pk_mul_f32 v[32:33], v[32:33], v[34:35] op_sel:[1,0] op_sel_hi:[0,1]
	s_delay_alu instid0(VALU_DEP_1) | instskip(NEXT) | instid1(VALU_DEP_3)
	v_dual_mov_b32 v34, v36 :: v_dual_mov_b32 v35, v32
	v_mov_b32_e32 v32, v37
	s_delay_alu instid0(VALU_DEP_1) | instskip(SKIP_1) | instid1(VALU_DEP_2)
	v_pk_add_f32 v[36:37], v[34:35], v[32:33]
	v_pk_add_f32 v[32:33], v[34:35], v[32:33] neg_lo:[0,1] neg_hi:[0,1]
	v_mov_b32_e32 v33, v37
	s_delay_alu instid0(VALU_DEP_1)
	v_pk_add_f32 v[34:35], v[32:33], 0 neg_lo:[1,1] neg_hi:[1,1]
	ds_store_b64 v47, v[34:35]
.LBB52_676:                             ;   in Loop: Header=BB52_3 Depth=1
	s_or_b32 exec_lo, exec_lo, s6
	s_wait_dscnt 0x0
	s_barrier_signal -1
	s_barrier_wait -1
	s_and_saveexec_b32 s6, s60
	s_cbranch_execz .LBB52_678
; %bb.677:                              ;   in Loop: Header=BB52_3 Depth=1
	ds_load_b64 v[34:35], v48 offset:10368
	ds_load_b64 v[36:37], v47
	s_wait_dscnt 0x0
	v_dual_mul_f32 v75, v37, v35 :: v_dual_mul_f32 v35, v36, v35
	s_delay_alu instid0(VALU_DEP_1) | instskip(NEXT) | instid1(VALU_DEP_1)
	v_fmac_f32_e32 v35, v37, v34
	v_dual_fma_f32 v36, v36, v34, -v75 :: v_dual_sub_f32 v33, v33, v35
	s_delay_alu instid0(VALU_DEP_1)
	v_sub_f32_e32 v32, v32, v36
.LBB52_678:                             ;   in Loop: Header=BB52_3 Depth=1
	s_or_b32 exec_lo, exec_lo, s6
	s_barrier_signal -1
	s_barrier_wait -1
	s_and_saveexec_b32 s6, s61
	s_cbranch_execz .LBB52_680
; %bb.679:                              ;   in Loop: Header=BB52_3 Depth=1
	ds_load_b64 v[34:35], v5 offset:9880
	s_wait_dscnt 0x0
	v_dual_mul_f32 v36, v33, v34 :: v_dual_mul_f32 v76, v33, v35
	s_delay_alu instid0(VALU_DEP_1) | instskip(NEXT) | instid1(VALU_DEP_2)
	v_pk_fma_f32 v[36:37], v[32:33], v[34:35], v[36:37] op_sel:[1,0,0] op_sel_hi:[0,1,0]
	v_pk_fma_f32 v[32:33], v[32:33], v[34:35], v[76:77] op_sel_hi:[1,1,0] neg_lo:[0,0,1] neg_hi:[0,0,1]
	s_delay_alu instid0(VALU_DEP_2) | instskip(NEXT) | instid1(VALU_DEP_1)
	v_mov_b32_e32 v33, v37
	v_pk_add_f32 v[34:35], v[32:33], 0 neg_lo:[1,1] neg_hi:[1,1]
	ds_store_b64 v47, v[34:35]
.LBB52_680:                             ;   in Loop: Header=BB52_3 Depth=1
	s_or_b32 exec_lo, exec_lo, s6
	s_wait_dscnt 0x0
	s_barrier_signal -1
	s_barrier_wait -1
	s_and_saveexec_b32 s6, s62
	s_cbranch_execz .LBB52_682
; %bb.681:                              ;   in Loop: Header=BB52_3 Depth=1
	ds_load_b64 v[34:35], v48 offset:9856
	ds_load_b64 v[36:37], v47
	s_wait_dscnt 0x0
	v_pk_mul_f32 v[76:77], v[36:37], v[34:35] op_sel:[1,1] op_sel_hi:[0,1]
	s_delay_alu instid0(VALU_DEP_1) | instskip(SKIP_1) | instid1(VALU_DEP_2)
	v_pk_fma_f32 v[78:79], v[36:37], v[34:35], v[76:77] op_sel_hi:[1,0,1]
	v_pk_fma_f32 v[34:35], v[36:37], v[34:35], v[76:77] neg_lo:[0,0,1] neg_hi:[0,0,1]
	v_mov_b32_e32 v35, v79
	s_delay_alu instid0(VALU_DEP_1)
	v_pk_add_f32 v[32:33], v[32:33], v[34:35] neg_lo:[0,1] neg_hi:[0,1]
.LBB52_682:                             ;   in Loop: Header=BB52_3 Depth=1
	s_or_b32 exec_lo, exec_lo, s6
	s_barrier_signal -1
	s_barrier_wait -1
	s_and_saveexec_b32 s6, s63
	s_cbranch_execz .LBB52_684
; %bb.683:                              ;   in Loop: Header=BB52_3 Depth=1
	ds_load_b64 v[34:35], v5 offset:9360
	s_wait_dscnt 0x0
	v_pk_mul_f32 v[36:37], v[32:33], v[34:35] op_sel:[1,1] op_sel_hi:[1,0]
	s_delay_alu instid0(VALU_DEP_1) | instskip(SKIP_1) | instid1(VALU_DEP_2)
	v_pk_fma_f32 v[76:77], v[32:33], v[34:35], v[36:37] op_sel_hi:[0,1,1]
	v_pk_fma_f32 v[32:33], v[32:33], v[34:35], v[36:37] neg_lo:[0,0,1] neg_hi:[0,0,1]
	v_mov_b32_e32 v33, v77
	s_delay_alu instid0(VALU_DEP_1)
	v_pk_add_f32 v[34:35], v[32:33], 0 neg_lo:[1,1] neg_hi:[1,1]
	ds_store_b64 v47, v[34:35]
.LBB52_684:                             ;   in Loop: Header=BB52_3 Depth=1
	s_or_b32 exec_lo, exec_lo, s6
	s_wait_dscnt 0x0
	s_barrier_signal -1
	s_barrier_wait -1
	s_and_saveexec_b32 s6, s64
	s_cbranch_execz .LBB52_686
; %bb.685:                              ;   in Loop: Header=BB52_3 Depth=1
	ds_load_b64 v[34:35], v48 offset:9344
	ds_load_b64 v[36:37], v47
	s_wait_dscnt 0x0
	v_pk_mul_f32 v[76:77], v[36:37], v[34:35] op_sel:[1,1] op_sel_hi:[0,1]
	s_delay_alu instid0(VALU_DEP_1) | instskip(SKIP_1) | instid1(VALU_DEP_2)
	v_pk_fma_f32 v[78:79], v[36:37], v[34:35], v[76:77] op_sel_hi:[1,0,1]
	v_pk_fma_f32 v[34:35], v[36:37], v[34:35], v[76:77] neg_lo:[0,0,1] neg_hi:[0,0,1]
	v_mov_b32_e32 v35, v79
	s_delay_alu instid0(VALU_DEP_1)
	v_pk_add_f32 v[32:33], v[32:33], v[34:35] neg_lo:[0,1] neg_hi:[0,1]
.LBB52_686:                             ;   in Loop: Header=BB52_3 Depth=1
	s_or_b32 exec_lo, exec_lo, s6
	s_barrier_signal -1
	s_barrier_wait -1
	s_and_saveexec_b32 s6, s65
	s_cbranch_execz .LBB52_688
; %bb.687:                              ;   in Loop: Header=BB52_3 Depth=1
	ds_load_b64 v[34:35], v5 offset:8840
	s_wait_dscnt 0x0
	v_pk_mul_f32 v[36:37], v[32:33], v[34:35] op_sel:[1,1] op_sel_hi:[1,0]
	s_delay_alu instid0(VALU_DEP_1) | instskip(SKIP_1) | instid1(VALU_DEP_2)
	v_pk_fma_f32 v[76:77], v[32:33], v[34:35], v[36:37] op_sel_hi:[0,1,1]
	v_pk_fma_f32 v[32:33], v[32:33], v[34:35], v[36:37] neg_lo:[0,0,1] neg_hi:[0,0,1]
	v_mov_b32_e32 v33, v77
	s_delay_alu instid0(VALU_DEP_1)
	v_pk_add_f32 v[34:35], v[32:33], 0 neg_lo:[1,1] neg_hi:[1,1]
	ds_store_b64 v47, v[34:35]
.LBB52_688:                             ;   in Loop: Header=BB52_3 Depth=1
	;; [unrolled: 35-line block ×3, first 2 shown]
	s_or_b32 exec_lo, exec_lo, s6
	s_wait_dscnt 0x0
	s_barrier_signal -1
	s_barrier_wait -1
	s_barrier_signal -1
	s_barrier_wait -1
	s_and_saveexec_b32 s6, s3
; %bb.693:                              ;   in Loop: Header=BB52_3 Depth=1
	ds_store_b64 v50, v[32:33] offset:16000
; %bb.694:                              ;   in Loop: Header=BB52_3 Depth=1
	s_or_b32 exec_lo, exec_lo, s6
	s_wait_dscnt 0x0
	s_barrier_signal -1
	s_barrier_wait -1
	s_barrier_signal -1
	s_barrier_wait -1
	s_and_saveexec_b32 s6, s14
	s_cbranch_execz .LBB52_696
; %bb.695:                              ;   in Loop: Header=BB52_3 Depth=1
	v_add_nc_u32_e64 v32, 0xb0, 0
	ds_load_b64 v[36:37], v5 offset:11960
	ds_load_2addr_stride64_b64 v[32:35], v32 offset0:22 offset1:23
	s_wait_dscnt 0x0
	v_dual_mul_f32 v75, v37, v33 :: v_dual_mul_f32 v76, v36, v33
	s_delay_alu instid0(VALU_DEP_1) | instskip(NEXT) | instid1(VALU_DEP_1)
	v_xor_b32_e32 v78, 0x80000000, v75
	v_dual_fmac_f32 v76, v37, v32 :: v_dual_fmac_f32 v78, v36, v32
	s_delay_alu instid0(VALU_DEP_1) | instskip(NEXT) | instid1(VALU_DEP_1)
	v_pk_mul_f32 v[32:33], v[76:77], v[34:35] op_sel:[0,1] op_sel_hi:[0,0]
	v_pk_fma_f32 v[36:37], v[78:79], v[34:35], v[32:33] op_sel_hi:[0,1,1]
	v_pk_fma_f32 v[32:33], v[78:79], v[34:35], v[32:33] neg_lo:[0,0,1] neg_hi:[0,0,1]
	s_delay_alu instid0(VALU_DEP_2)
	v_mov_b32_e32 v33, v37
	ds_store_b64 v5, v[32:33] offset:11952
.LBB52_696:                             ;   in Loop: Header=BB52_3 Depth=1
	s_or_b32 exec_lo, exec_lo, s6
	v_dual_mov_b32 v32, 0 :: v_dual_mov_b32 v33, 0
	s_wait_dscnt 0x0
	s_barrier_signal -1
	s_barrier_wait -1
	global_wb scope:SCOPE_DEV
	s_wait_storecnt 0x0
	global_inv scope:SCOPE_DEV
	s_and_saveexec_b32 s6, s1
	s_cbranch_execz .LBB52_700
; %bb.697:                              ;   in Loop: Header=BB52_3 Depth=1
	ds_load_b64 v[32:33], v39 offset:11424
	ds_load_b64 v[34:35], v40 offset:11952
	s_wait_dscnt 0x0
	v_pk_mul_f32 v[36:37], v[34:35], v[32:33] op_sel:[1,1] op_sel_hi:[0,1]
	s_delay_alu instid0(VALU_DEP_1) | instskip(SKIP_1) | instid1(VALU_DEP_2)
	v_pk_fma_f32 v[76:77], v[34:35], v[32:33], v[36:37] op_sel_hi:[1,0,1]
	v_pk_fma_f32 v[32:33], v[34:35], v[32:33], v[36:37] neg_lo:[0,0,1] neg_hi:[0,0,1]
	v_mov_b32_e32 v33, v77
	s_delay_alu instid0(VALU_DEP_1)
	v_pk_add_f32 v[32:33], v[32:33], 0 op_sel_hi:[1,0]
	s_and_saveexec_b32 s13, s15
	s_cbranch_execz .LBB52_699
; %bb.698:                              ;   in Loop: Header=BB52_3 Depth=1
	ds_load_b64 v[34:35], v41 offset:11936
	ds_load_b64 v[36:37], v5 offset:11960
	s_wait_dscnt 0x0
	v_pk_mul_f32 v[76:77], v[36:37], v[34:35] op_sel:[1,1] op_sel_hi:[0,1]
	s_delay_alu instid0(VALU_DEP_1) | instskip(SKIP_1) | instid1(VALU_DEP_2)
	v_pk_fma_f32 v[78:79], v[36:37], v[34:35], v[76:77] op_sel_hi:[1,0,1]
	v_pk_fma_f32 v[34:35], v[36:37], v[34:35], v[76:77] neg_lo:[0,0,1] neg_hi:[0,0,1]
	v_mov_b32_e32 v35, v79
	s_delay_alu instid0(VALU_DEP_1)
	v_pk_add_f32 v[32:33], v[32:33], v[34:35]
.LBB52_699:                             ;   in Loop: Header=BB52_3 Depth=1
	s_or_b32 exec_lo, exec_lo, s13
.LBB52_700:                             ;   in Loop: Header=BB52_3 Depth=1
	s_delay_alu instid0(SALU_CYCLE_1)
	s_or_b32 exec_lo, exec_lo, s6
	s_and_saveexec_b32 s6, s45
	s_cbranch_execz .LBB52_702
; %bb.701:                              ;   in Loop: Header=BB52_3 Depth=1
	ds_load_b64 v[34:35], v5 offset:10920
	s_wait_dscnt 0x0
	v_pk_mul_f32 v[36:37], v[32:33], v[34:35] op_sel:[1,1] op_sel_hi:[1,0]
	s_delay_alu instid0(VALU_DEP_1) | instskip(SKIP_1) | instid1(VALU_DEP_2)
	v_pk_fma_f32 v[76:77], v[32:33], v[34:35], v[36:37] op_sel_hi:[0,1,1]
	v_pk_fma_f32 v[32:33], v[32:33], v[34:35], v[36:37] neg_lo:[0,0,1] neg_hi:[0,0,1]
	v_mov_b32_e32 v33, v77
	s_delay_alu instid0(VALU_DEP_1)
	v_pk_add_f32 v[34:35], v[32:33], 0 neg_lo:[1,1] neg_hi:[1,1]
	ds_store_b64 v3, v[34:35]
.LBB52_702:                             ;   in Loop: Header=BB52_3 Depth=1
	s_or_b32 exec_lo, exec_lo, s6
	s_wait_loadcnt_dscnt 0x0
	s_barrier_signal -1
	s_barrier_wait -1
	s_and_saveexec_b32 s6, s46
	s_cbranch_execz .LBB52_704
; %bb.703:                              ;   in Loop: Header=BB52_3 Depth=1
	ds_load_b64 v[34:35], v5 offset:10912
	ds_load_b64 v[36:37], v3
	s_wait_dscnt 0x0
	v_pk_mul_f32 v[76:77], v[36:37], v[34:35] op_sel:[1,1] op_sel_hi:[0,1]
	s_delay_alu instid0(VALU_DEP_1) | instskip(SKIP_1) | instid1(VALU_DEP_2)
	v_pk_fma_f32 v[78:79], v[36:37], v[34:35], v[76:77] op_sel_hi:[1,0,1]
	v_pk_fma_f32 v[34:35], v[36:37], v[34:35], v[76:77] neg_lo:[0,0,1] neg_hi:[0,0,1]
	v_mov_b32_e32 v35, v79
	s_delay_alu instid0(VALU_DEP_1)
	v_pk_add_f32 v[32:33], v[32:33], v[34:35] neg_lo:[0,1] neg_hi:[0,1]
.LBB52_704:                             ;   in Loop: Header=BB52_3 Depth=1
	s_or_b32 exec_lo, exec_lo, s6
	s_barrier_signal -1
	s_barrier_wait -1
	s_and_saveexec_b32 s6, s46
	s_cbranch_execz .LBB52_706
; %bb.705:                              ;   in Loop: Header=BB52_3 Depth=1
	ds_load_b64 v[34:35], v5 offset:10400
	s_wait_dscnt 0x0
	v_pk_mul_f32 v[36:37], v[32:33], v[34:35] op_sel:[1,1] op_sel_hi:[1,0]
	s_delay_alu instid0(VALU_DEP_1) | instskip(SKIP_1) | instid1(VALU_DEP_2)
	v_pk_fma_f32 v[76:77], v[32:33], v[34:35], v[36:37] op_sel_hi:[0,1,1]
	v_pk_fma_f32 v[32:33], v[32:33], v[34:35], v[36:37] neg_lo:[0,0,1] neg_hi:[0,0,1]
	v_mov_b32_e32 v33, v77
	s_delay_alu instid0(VALU_DEP_1)
	v_pk_add_f32 v[34:35], v[32:33], 0 neg_lo:[1,1] neg_hi:[1,1]
	ds_store_b64 v3, v[34:35]
.LBB52_706:                             ;   in Loop: Header=BB52_3 Depth=1
	s_or_b32 exec_lo, exec_lo, s6
	s_wait_dscnt 0x0
	s_barrier_signal -1
	s_barrier_wait -1
	s_barrier_signal -1
	s_barrier_wait -1
	s_and_saveexec_b32 s6, s1
; %bb.707:                              ;   in Loop: Header=BB52_3 Depth=1
	ds_store_b64 v42, v[32:33] offset:11936
; %bb.708:                              ;   in Loop: Header=BB52_3 Depth=1
	s_or_b32 exec_lo, exec_lo, s6
	s_wait_dscnt 0x0
	s_barrier_signal -1
	s_barrier_wait -1
	s_barrier_signal -1
	s_barrier_wait -1
	s_and_saveexec_b32 s6, s14
	s_cbranch_execz .LBB52_710
; %bb.709:                              ;   in Loop: Header=BB52_3 Depth=1
	v_add_nc_u32_e64 v32, 0xa0, 0
	ds_load_b64 v[36:37], v5 offset:10920
	ds_load_2addr_stride64_b64 v[32:35], v32 offset0:20 offset1:21
	s_wait_dscnt 0x0
	v_dual_mul_f32 v75, v37, v33 :: v_dual_mul_f32 v76, v36, v33
	s_delay_alu instid0(VALU_DEP_1) | instskip(NEXT) | instid1(VALU_DEP_1)
	v_xor_b32_e32 v78, 0x80000000, v75
	v_dual_fmac_f32 v76, v37, v32 :: v_dual_fmac_f32 v78, v36, v32
	s_delay_alu instid0(VALU_DEP_1) | instskip(NEXT) | instid1(VALU_DEP_1)
	v_pk_mul_f32 v[32:33], v[76:77], v[34:35] op_sel:[0,1] op_sel_hi:[0,0]
	v_pk_fma_f32 v[36:37], v[78:79], v[34:35], v[32:33] op_sel_hi:[0,1,1]
	v_pk_fma_f32 v[32:33], v[78:79], v[34:35], v[32:33] neg_lo:[0,0,1] neg_hi:[0,0,1]
	s_delay_alu instid0(VALU_DEP_2)
	v_mov_b32_e32 v33, v37
	ds_store_b64 v5, v[32:33] offset:10912
.LBB52_710:                             ;   in Loop: Header=BB52_3 Depth=1
	s_or_b32 exec_lo, exec_lo, s6
	v_mov_b64_e32 v[32:33], 0
	s_wait_dscnt 0x0
	s_barrier_signal -1
	s_barrier_wait -1
	global_wb scope:SCOPE_DEV
	s_wait_storecnt 0x0
	global_inv scope:SCOPE_DEV
	s_and_saveexec_b32 s98, s2
	s_cbranch_execz .LBB52_716
; %bb.711:                              ;   in Loop: Header=BB52_3 Depth=1
	ds_load_b64 v[32:33], v44 offset:10368
	ds_load_b64 v[34:35], v45 offset:11936
	s_wait_dscnt 0x0
	v_dual_mul_f32 v36, v35, v33 :: v_dual_mul_f32 v33, v34, v33
	s_delay_alu instid0(VALU_DEP_1) | instskip(NEXT) | instid1(VALU_DEP_1)
	v_dual_fma_f32 v34, v34, v32, -v36 :: v_dual_fmac_f32 v33, v35, v32
	v_dual_add_f32 v32, 0, v34 :: v_dual_add_f32 v33, 0, v33
	s_and_saveexec_b32 s6, s16
	s_cbranch_execnz .LBB52_1082
; %bb.712:                              ;   in Loop: Header=BB52_3 Depth=1
	s_or_b32 exec_lo, exec_lo, s6
	s_and_saveexec_b32 s6, s17
	s_cbranch_execnz .LBB52_1083
.LBB52_713:                             ;   in Loop: Header=BB52_3 Depth=1
	s_or_b32 exec_lo, exec_lo, s6
	s_and_saveexec_b32 s6, s1
	s_cbranch_execz .LBB52_715
.LBB52_714:                             ;   in Loop: Header=BB52_3 Depth=1
	ds_load_b64 v[34:35], v41 offset:11904
	ds_load_b64 v[36:37], v5 offset:11960
	s_wait_dscnt 0x0
	v_dual_mul_f32 v75, v37, v35 :: v_dual_mul_f32 v35, v36, v35
	s_delay_alu instid0(VALU_DEP_1) | instskip(NEXT) | instid1(VALU_DEP_1)
	v_fmac_f32_e32 v35, v37, v34
	v_dual_fma_f32 v36, v36, v34, -v75 :: v_dual_add_f32 v33, v33, v35
	s_delay_alu instid0(VALU_DEP_1)
	v_add_f32_e32 v32, v32, v36
.LBB52_715:                             ;   in Loop: Header=BB52_3 Depth=1
	s_or_b32 exec_lo, exec_lo, s6
.LBB52_716:                             ;   in Loop: Header=BB52_3 Depth=1
	s_delay_alu instid0(SALU_CYCLE_1)
	s_or_b32 exec_lo, exec_lo, s98
	s_and_saveexec_b32 s6, s47
	s_cbranch_execz .LBB52_718
; %bb.717:                              ;   in Loop: Header=BB52_3 Depth=1
	ds_load_b64 v[34:35], v5 offset:9880
	s_wait_dscnt 0x0
	v_dual_mul_f32 v36, v33, v34 :: v_dual_mul_f32 v76, v33, v35
	s_delay_alu instid0(VALU_DEP_1) | instskip(NEXT) | instid1(VALU_DEP_2)
	v_pk_fma_f32 v[36:37], v[32:33], v[34:35], v[36:37] op_sel:[1,0,0] op_sel_hi:[0,1,0]
	v_pk_fma_f32 v[32:33], v[32:33], v[34:35], v[76:77] op_sel_hi:[1,1,0] neg_lo:[0,0,1] neg_hi:[0,0,1]
	s_delay_alu instid0(VALU_DEP_2) | instskip(NEXT) | instid1(VALU_DEP_1)
	v_mov_b32_e32 v33, v37
	v_pk_add_f32 v[34:35], v[32:33], 0 neg_lo:[1,1] neg_hi:[1,1]
	ds_store_b64 v43, v[34:35]
.LBB52_718:                             ;   in Loop: Header=BB52_3 Depth=1
	s_or_b32 exec_lo, exec_lo, s6
	s_wait_loadcnt_dscnt 0x0
	s_barrier_signal -1
	s_barrier_wait -1
	s_and_saveexec_b32 s6, s48
	s_cbranch_execz .LBB52_720
; %bb.719:                              ;   in Loop: Header=BB52_3 Depth=1
	ds_load_b64 v[34:35], v44 offset:9856
	ds_load_b64 v[36:37], v43
	s_wait_dscnt 0x0
	v_pk_mul_f32 v[76:77], v[36:37], v[34:35] op_sel:[1,1] op_sel_hi:[0,1]
	s_delay_alu instid0(VALU_DEP_1) | instskip(SKIP_1) | instid1(VALU_DEP_2)
	v_pk_fma_f32 v[78:79], v[36:37], v[34:35], v[76:77] op_sel_hi:[1,0,1]
	v_pk_fma_f32 v[34:35], v[36:37], v[34:35], v[76:77] neg_lo:[0,0,1] neg_hi:[0,0,1]
	v_mov_b32_e32 v35, v79
	s_delay_alu instid0(VALU_DEP_1)
	v_pk_add_f32 v[32:33], v[32:33], v[34:35] neg_lo:[0,1] neg_hi:[0,1]
.LBB52_720:                             ;   in Loop: Header=BB52_3 Depth=1
	s_or_b32 exec_lo, exec_lo, s6
	s_barrier_signal -1
	s_barrier_wait -1
	s_and_saveexec_b32 s6, s49
	s_cbranch_execz .LBB52_722
; %bb.721:                              ;   in Loop: Header=BB52_3 Depth=1
	ds_load_b64 v[34:35], v5 offset:9360
	s_wait_dscnt 0x0
	v_pk_mul_f32 v[36:37], v[32:33], v[34:35] op_sel:[1,1] op_sel_hi:[1,0]
	s_delay_alu instid0(VALU_DEP_1) | instskip(SKIP_1) | instid1(VALU_DEP_2)
	v_pk_fma_f32 v[76:77], v[32:33], v[34:35], v[36:37] op_sel_hi:[0,1,1]
	v_pk_fma_f32 v[32:33], v[32:33], v[34:35], v[36:37] neg_lo:[0,0,1] neg_hi:[0,0,1]
	v_mov_b32_e32 v33, v77
	s_delay_alu instid0(VALU_DEP_1)
	v_pk_add_f32 v[34:35], v[32:33], 0 neg_lo:[1,1] neg_hi:[1,1]
	ds_store_b64 v43, v[34:35]
.LBB52_722:                             ;   in Loop: Header=BB52_3 Depth=1
	s_or_b32 exec_lo, exec_lo, s6
	s_wait_dscnt 0x0
	s_barrier_signal -1
	s_barrier_wait -1
	s_and_saveexec_b32 s6, s50
	s_cbranch_execz .LBB52_724
; %bb.723:                              ;   in Loop: Header=BB52_3 Depth=1
	ds_load_b64 v[34:35], v44 offset:9344
	ds_load_b64 v[36:37], v43
	s_wait_dscnt 0x0
	v_pk_mul_f32 v[76:77], v[36:37], v[34:35] op_sel:[1,1] op_sel_hi:[0,1]
	s_delay_alu instid0(VALU_DEP_1) | instskip(SKIP_1) | instid1(VALU_DEP_2)
	v_pk_fma_f32 v[78:79], v[36:37], v[34:35], v[76:77] op_sel_hi:[1,0,1]
	v_pk_fma_f32 v[34:35], v[36:37], v[34:35], v[76:77] neg_lo:[0,0,1] neg_hi:[0,0,1]
	v_mov_b32_e32 v35, v79
	s_delay_alu instid0(VALU_DEP_1)
	v_pk_add_f32 v[32:33], v[32:33], v[34:35] neg_lo:[0,1] neg_hi:[0,1]
.LBB52_724:                             ;   in Loop: Header=BB52_3 Depth=1
	s_or_b32 exec_lo, exec_lo, s6
	s_barrier_signal -1
	s_barrier_wait -1
	s_and_saveexec_b32 s6, s51
	s_cbranch_execz .LBB52_726
; %bb.725:                              ;   in Loop: Header=BB52_3 Depth=1
	ds_load_b64 v[34:35], v5 offset:8840
	s_wait_dscnt 0x0
	v_pk_mul_f32 v[36:37], v[32:33], v[34:35] op_sel:[1,1] op_sel_hi:[1,0]
	s_delay_alu instid0(VALU_DEP_1) | instskip(SKIP_1) | instid1(VALU_DEP_2)
	v_pk_fma_f32 v[76:77], v[32:33], v[34:35], v[36:37] op_sel_hi:[0,1,1]
	v_pk_fma_f32 v[32:33], v[32:33], v[34:35], v[36:37] neg_lo:[0,0,1] neg_hi:[0,0,1]
	v_mov_b32_e32 v33, v77
	s_delay_alu instid0(VALU_DEP_1)
	v_pk_add_f32 v[34:35], v[32:33], 0 neg_lo:[1,1] neg_hi:[1,1]
	ds_store_b64 v43, v[34:35]
.LBB52_726:                             ;   in Loop: Header=BB52_3 Depth=1
	s_or_b32 exec_lo, exec_lo, s6
	s_wait_dscnt 0x0
	;; [unrolled: 35-line block ×3, first 2 shown]
	s_barrier_signal -1
	s_barrier_wait -1
	s_barrier_signal -1
	s_barrier_wait -1
	s_and_saveexec_b32 s6, s2
; %bb.731:                              ;   in Loop: Header=BB52_3 Depth=1
	ds_store_b64 v46, v[32:33] offset:11904
; %bb.732:                              ;   in Loop: Header=BB52_3 Depth=1
	s_or_b32 exec_lo, exec_lo, s6
	s_wait_dscnt 0x0
	s_barrier_signal -1
	s_barrier_wait -1
	s_barrier_signal -1
	s_barrier_wait -1
	s_and_saveexec_b32 s6, s14
	s_cbranch_execz .LBB52_734
; %bb.733:                              ;   in Loop: Header=BB52_3 Depth=1
	v_add_nc_u32_e64 v32, 0x90, 0
	ds_load_b64 v[36:37], v5 offset:9880
	ds_load_2addr_stride64_b64 v[32:35], v32 offset0:18 offset1:19
	s_wait_dscnt 0x0
	v_dual_mul_f32 v75, v37, v33 :: v_dual_mul_f32 v76, v36, v33
	s_delay_alu instid0(VALU_DEP_1) | instskip(NEXT) | instid1(VALU_DEP_1)
	v_xor_b32_e32 v78, 0x80000000, v75
	v_dual_fmac_f32 v76, v37, v32 :: v_dual_fmac_f32 v78, v36, v32
	s_delay_alu instid0(VALU_DEP_1) | instskip(NEXT) | instid1(VALU_DEP_1)
	v_pk_mul_f32 v[32:33], v[76:77], v[34:35] op_sel:[0,1] op_sel_hi:[0,0]
	v_pk_fma_f32 v[36:37], v[78:79], v[34:35], v[32:33] op_sel_hi:[0,1,1]
	v_pk_fma_f32 v[32:33], v[78:79], v[34:35], v[32:33] neg_lo:[0,0,1] neg_hi:[0,0,1]
	s_delay_alu instid0(VALU_DEP_2)
	v_mov_b32_e32 v33, v37
	ds_store_b64 v5, v[32:33] offset:9872
.LBB52_734:                             ;   in Loop: Header=BB52_3 Depth=1
	s_or_b32 exec_lo, exec_lo, s6
	v_dual_mov_b32 v32, 0 :: v_dual_mov_b32 v33, 0
	s_wait_dscnt 0x0
	s_barrier_signal -1
	s_barrier_wait -1
	global_wb scope:SCOPE_DEV
	s_wait_storecnt 0x0
	global_inv scope:SCOPE_DEV
	s_and_saveexec_b32 s6, s1
	s_cbranch_execz .LBB52_738
; %bb.735:                              ;   in Loop: Header=BB52_3 Depth=1
	ds_load_b64 v[32:33], v39 offset:9344
	ds_load_b64 v[34:35], v40 offset:9872
	s_wait_dscnt 0x0
	v_pk_mul_f32 v[36:37], v[34:35], v[32:33] op_sel:[1,1] op_sel_hi:[0,1]
	s_delay_alu instid0(VALU_DEP_1) | instskip(SKIP_1) | instid1(VALU_DEP_2)
	v_pk_fma_f32 v[76:77], v[34:35], v[32:33], v[36:37] op_sel_hi:[1,0,1]
	v_pk_fma_f32 v[32:33], v[34:35], v[32:33], v[36:37] neg_lo:[0,0,1] neg_hi:[0,0,1]
	v_mov_b32_e32 v33, v77
	s_delay_alu instid0(VALU_DEP_1)
	v_pk_add_f32 v[32:33], v[32:33], 0 op_sel_hi:[1,0]
	s_and_saveexec_b32 s13, s15
	s_cbranch_execz .LBB52_737
; %bb.736:                              ;   in Loop: Header=BB52_3 Depth=1
	ds_load_b64 v[34:35], v41 offset:9856
	ds_load_b64 v[36:37], v5 offset:9880
	s_wait_dscnt 0x0
	v_pk_mul_f32 v[76:77], v[36:37], v[34:35] op_sel:[1,1] op_sel_hi:[0,1]
	s_delay_alu instid0(VALU_DEP_1) | instskip(SKIP_1) | instid1(VALU_DEP_2)
	v_pk_fma_f32 v[78:79], v[36:37], v[34:35], v[76:77] op_sel_hi:[1,0,1]
	v_pk_fma_f32 v[34:35], v[36:37], v[34:35], v[76:77] neg_lo:[0,0,1] neg_hi:[0,0,1]
	v_mov_b32_e32 v35, v79
	s_delay_alu instid0(VALU_DEP_1)
	v_pk_add_f32 v[32:33], v[32:33], v[34:35]
.LBB52_737:                             ;   in Loop: Header=BB52_3 Depth=1
	s_or_b32 exec_lo, exec_lo, s13
.LBB52_738:                             ;   in Loop: Header=BB52_3 Depth=1
	s_delay_alu instid0(SALU_CYCLE_1)
	s_or_b32 exec_lo, exec_lo, s6
	s_and_saveexec_b32 s6, s45
	s_cbranch_execz .LBB52_740
; %bb.739:                              ;   in Loop: Header=BB52_3 Depth=1
	ds_load_b64 v[34:35], v5 offset:8840
	s_wait_dscnt 0x0
	v_pk_mul_f32 v[36:37], v[32:33], v[34:35] op_sel:[1,1] op_sel_hi:[1,0]
	s_delay_alu instid0(VALU_DEP_1) | instskip(SKIP_1) | instid1(VALU_DEP_2)
	v_pk_fma_f32 v[76:77], v[32:33], v[34:35], v[36:37] op_sel_hi:[0,1,1]
	v_pk_fma_f32 v[32:33], v[32:33], v[34:35], v[36:37] neg_lo:[0,0,1] neg_hi:[0,0,1]
	v_mov_b32_e32 v33, v77
	s_delay_alu instid0(VALU_DEP_1)
	v_pk_add_f32 v[34:35], v[32:33], 0 neg_lo:[1,1] neg_hi:[1,1]
	ds_store_b64 v3, v[34:35]
.LBB52_740:                             ;   in Loop: Header=BB52_3 Depth=1
	s_or_b32 exec_lo, exec_lo, s6
	s_wait_loadcnt_dscnt 0x0
	s_barrier_signal -1
	s_barrier_wait -1
	s_and_saveexec_b32 s6, s46
	s_cbranch_execz .LBB52_742
; %bb.741:                              ;   in Loop: Header=BB52_3 Depth=1
	ds_load_b64 v[34:35], v5 offset:8832
	ds_load_b64 v[36:37], v3
	s_wait_dscnt 0x0
	v_pk_mul_f32 v[76:77], v[36:37], v[34:35] op_sel:[1,1] op_sel_hi:[0,1]
	s_delay_alu instid0(VALU_DEP_1) | instskip(SKIP_1) | instid1(VALU_DEP_2)
	v_pk_fma_f32 v[78:79], v[36:37], v[34:35], v[76:77] op_sel_hi:[1,0,1]
	v_pk_fma_f32 v[34:35], v[36:37], v[34:35], v[76:77] neg_lo:[0,0,1] neg_hi:[0,0,1]
	v_mov_b32_e32 v35, v79
	s_delay_alu instid0(VALU_DEP_1)
	v_pk_add_f32 v[32:33], v[32:33], v[34:35] neg_lo:[0,1] neg_hi:[0,1]
.LBB52_742:                             ;   in Loop: Header=BB52_3 Depth=1
	s_or_b32 exec_lo, exec_lo, s6
	s_barrier_signal -1
	s_barrier_wait -1
	s_and_saveexec_b32 s6, s46
	s_cbranch_execz .LBB52_744
; %bb.743:                              ;   in Loop: Header=BB52_3 Depth=1
	ds_load_b64 v[34:35], v5 offset:8320
	s_wait_dscnt 0x0
	v_pk_mul_f32 v[36:37], v[32:33], v[34:35] op_sel:[1,1] op_sel_hi:[1,0]
	s_delay_alu instid0(VALU_DEP_1) | instskip(SKIP_1) | instid1(VALU_DEP_2)
	v_pk_fma_f32 v[76:77], v[32:33], v[34:35], v[36:37] op_sel_hi:[0,1,1]
	v_pk_fma_f32 v[32:33], v[32:33], v[34:35], v[36:37] neg_lo:[0,0,1] neg_hi:[0,0,1]
	v_mov_b32_e32 v33, v77
	s_delay_alu instid0(VALU_DEP_1)
	v_pk_add_f32 v[34:35], v[32:33], 0 neg_lo:[1,1] neg_hi:[1,1]
	ds_store_b64 v3, v[34:35]
.LBB52_744:                             ;   in Loop: Header=BB52_3 Depth=1
	s_or_b32 exec_lo, exec_lo, s6
	s_wait_dscnt 0x0
	s_barrier_signal -1
	s_barrier_wait -1
	s_barrier_signal -1
	s_barrier_wait -1
	s_and_saveexec_b32 s6, s1
; %bb.745:                              ;   in Loop: Header=BB52_3 Depth=1
	ds_store_b64 v42, v[32:33] offset:9856
; %bb.746:                              ;   in Loop: Header=BB52_3 Depth=1
	s_or_b32 exec_lo, exec_lo, s6
	s_wait_dscnt 0x0
	s_barrier_signal -1
	s_barrier_wait -1
	s_barrier_signal -1
	s_barrier_wait -1
	s_and_saveexec_b32 s6, s14
	s_cbranch_execz .LBB52_748
; %bb.747:                              ;   in Loop: Header=BB52_3 Depth=1
	v_add_nc_u32_e64 v32, 0x80, 0
	ds_load_b64 v[36:37], v5 offset:8840
	ds_load_2addr_stride64_b64 v[32:35], v32 offset0:16 offset1:17
	s_wait_dscnt 0x0
	v_dual_mul_f32 v75, v37, v33 :: v_dual_mul_f32 v76, v36, v33
	s_delay_alu instid0(VALU_DEP_1) | instskip(NEXT) | instid1(VALU_DEP_1)
	v_xor_b32_e32 v78, 0x80000000, v75
	v_dual_fmac_f32 v76, v37, v32 :: v_dual_fmac_f32 v78, v36, v32
	s_delay_alu instid0(VALU_DEP_1) | instskip(NEXT) | instid1(VALU_DEP_1)
	v_pk_mul_f32 v[32:33], v[76:77], v[34:35] op_sel:[0,1] op_sel_hi:[0,0]
	v_pk_fma_f32 v[36:37], v[78:79], v[34:35], v[32:33] op_sel_hi:[0,1,1]
	v_pk_fma_f32 v[32:33], v[78:79], v[34:35], v[32:33] neg_lo:[0,0,1] neg_hi:[0,0,1]
	s_delay_alu instid0(VALU_DEP_2)
	v_mov_b32_e32 v33, v37
	ds_store_b64 v5, v[32:33] offset:8832
.LBB52_748:                             ;   in Loop: Header=BB52_3 Depth=1
	s_or_b32 exec_lo, exec_lo, s6
	v_mov_b64_e32 v[32:33], 0
	s_wait_dscnt 0x0
	s_barrier_signal -1
	s_barrier_wait -1
	global_wb scope:SCOPE_DEV
	s_wait_storecnt 0x0
	global_inv scope:SCOPE_DEV
	s_and_saveexec_b32 s98, s4
	s_cbranch_execz .LBB52_776
; %bb.749:                              ;   in Loop: Header=BB52_3 Depth=1
	ds_load_b64 v[32:33], v52 offset:8192
	ds_load_b64 v[34:35], v53 offset:16000
	s_wait_dscnt 0x0
	v_dual_mul_f32 v36, v35, v33 :: v_dual_mul_f32 v33, v34, v33
	s_delay_alu instid0(VALU_DEP_1) | instskip(NEXT) | instid1(VALU_DEP_1)
	v_dual_fma_f32 v34, v34, v32, -v36 :: v_dual_fmac_f32 v33, v35, v32
	v_dual_add_f32 v32, 0, v34 :: v_dual_add_f32 v33, 0, v33
	s_mov_b32 s6, exec_lo
	v_readlane_b32 s13, v85, 0
	s_and_b32 s13, s6, s13
	s_delay_alu instid0(SALU_CYCLE_1)
	s_mov_b32 exec_lo, s13
	s_cbranch_execz .LBB52_751
; %bb.750:                              ;   in Loop: Header=BB52_3 Depth=1
	ds_load_b64 v[34:35], v52 offset:8704
	ds_load_b64 v[36:37], v53 offset:16008
	s_wait_dscnt 0x0
	v_dual_mul_f32 v75, v37, v35 :: v_dual_mul_f32 v35, v36, v35
	s_delay_alu instid0(VALU_DEP_1) | instskip(NEXT) | instid1(VALU_DEP_1)
	v_fmac_f32_e32 v35, v37, v34
	v_dual_fma_f32 v36, v36, v34, -v75 :: v_dual_add_f32 v33, v33, v35
	s_delay_alu instid0(VALU_DEP_1)
	v_add_f32_e32 v32, v32, v36
.LBB52_751:                             ;   in Loop: Header=BB52_3 Depth=1
	s_or_b32 exec_lo, exec_lo, s6
	s_delay_alu instid0(SALU_CYCLE_1) | instskip(SKIP_2) | instid1(SALU_CYCLE_1)
	s_mov_b32 s6, exec_lo
	v_readlane_b32 s13, v85, 1
	s_and_b32 s13, s6, s13
	s_mov_b32 exec_lo, s13
	s_cbranch_execz .LBB52_753
; %bb.752:                              ;   in Loop: Header=BB52_3 Depth=1
	ds_load_b64 v[34:35], v52 offset:9216
	ds_load_b64 v[36:37], v53 offset:16016
	s_wait_dscnt 0x0
	v_dual_mul_f32 v75, v37, v35 :: v_dual_mul_f32 v35, v36, v35
	s_delay_alu instid0(VALU_DEP_1) | instskip(NEXT) | instid1(VALU_DEP_1)
	v_fmac_f32_e32 v35, v37, v34
	v_dual_fma_f32 v36, v36, v34, -v75 :: v_dual_add_f32 v33, v33, v35
	s_delay_alu instid0(VALU_DEP_1)
	v_add_f32_e32 v32, v32, v36
.LBB52_753:                             ;   in Loop: Header=BB52_3 Depth=1
	s_or_b32 exec_lo, exec_lo, s6
	s_delay_alu instid0(SALU_CYCLE_1) | instskip(SKIP_2) | instid1(SALU_CYCLE_1)
	s_mov_b32 s6, exec_lo
	v_readlane_b32 s13, v85, 2
	s_and_b32 s13, s6, s13
	;; [unrolled: 18-line block ×10, first 2 shown]
	s_mov_b32 exec_lo, s13
	s_cbranch_execnz .LBB52_1084
; %bb.770:                              ;   in Loop: Header=BB52_3 Depth=1
	s_or_b32 exec_lo, exec_lo, s6
	s_and_saveexec_b32 s6, s3
	s_cbranch_execnz .LBB52_1085
.LBB52_771:                             ;   in Loop: Header=BB52_3 Depth=1
	s_or_b32 exec_lo, exec_lo, s6
	s_and_saveexec_b32 s6, s19
	s_cbranch_execnz .LBB52_1086
.LBB52_772:                             ;   in Loop: Header=BB52_3 Depth=1
	s_or_b32 exec_lo, exec_lo, s6
	s_and_saveexec_b32 s6, s21
	s_cbranch_execnz .LBB52_1087
.LBB52_773:                             ;   in Loop: Header=BB52_3 Depth=1
	s_or_b32 exec_lo, exec_lo, s6
	s_and_saveexec_b32 s6, s2
	s_cbranch_execz .LBB52_775
.LBB52_774:                             ;   in Loop: Header=BB52_3 Depth=1
	ds_load_b64 v[34:35], v41 offset:15872
	ds_load_b64 v[36:37], v5 offset:16120
	s_wait_dscnt 0x0
	v_dual_mul_f32 v75, v37, v35 :: v_dual_mul_f32 v77, v36, v35
	s_delay_alu instid0(VALU_DEP_1) | instskip(NEXT) | instid1(VALU_DEP_1)
	v_dual_fma_f32 v76, v36, v34, -v75 :: v_dual_fmac_f32 v77, v37, v34
	v_pk_add_f32 v[32:33], v[32:33], v[76:77]
.LBB52_775:                             ;   in Loop: Header=BB52_3 Depth=1
	s_or_b32 exec_lo, exec_lo, s6
.LBB52_776:                             ;   in Loop: Header=BB52_3 Depth=1
	s_delay_alu instid0(SALU_CYCLE_1) | instskip(NEXT) | instid1(SALU_CYCLE_1)
	s_or_b32 exec_lo, exec_lo, s98
	s_mov_b32 s6, exec_lo
	v_readlane_b32 s13, v86, 5
	s_and_b32 s13, s6, s13
	s_delay_alu instid0(SALU_CYCLE_1)
	s_mov_b32 exec_lo, s13
	s_cbranch_execz .LBB52_778
; %bb.777:                              ;   in Loop: Header=BB52_3 Depth=1
	ds_load_b64 v[34:35], v5 offset:7800
	s_wait_dscnt 0x0
	v_pk_mul_f32 v[36:37], v[32:33], v[34:35] op_sel:[1,1] op_sel_hi:[1,0]
	s_delay_alu instid0(VALU_DEP_1) | instskip(SKIP_1) | instid1(VALU_DEP_2)
	v_pk_fma_f32 v[76:77], v[32:33], v[34:35], v[36:37] op_sel_hi:[0,1,1]
	v_pk_fma_f32 v[32:33], v[32:33], v[34:35], v[36:37] neg_lo:[0,0,1] neg_hi:[0,0,1]
	v_mov_b32_e32 v33, v77
	s_delay_alu instid0(VALU_DEP_1)
	v_pk_add_f32 v[34:35], v[32:33], 0 neg_lo:[1,1] neg_hi:[1,1]
	ds_store_b64 v51, v[34:35]
.LBB52_778:                             ;   in Loop: Header=BB52_3 Depth=1
	s_or_b32 exec_lo, exec_lo, s6
	s_wait_loadcnt_dscnt 0x0
	s_barrier_signal -1
	s_barrier_wait -1
	s_mov_b32 s6, exec_lo
	v_readlane_b32 s13, v86, 6
	s_and_b32 s13, s6, s13
	s_delay_alu instid0(SALU_CYCLE_1)
	s_mov_b32 exec_lo, s13
	s_cbranch_execz .LBB52_780
; %bb.779:                              ;   in Loop: Header=BB52_3 Depth=1
	ds_load_b64 v[34:35], v52 offset:7680
	ds_load_b64 v[36:37], v51
	s_wait_dscnt 0x0
	v_pk_mul_f32 v[76:77], v[36:37], v[34:35] op_sel:[1,1] op_sel_hi:[0,1]
	s_delay_alu instid0(VALU_DEP_1) | instskip(SKIP_1) | instid1(VALU_DEP_2)
	v_pk_fma_f32 v[78:79], v[36:37], v[34:35], v[76:77] op_sel_hi:[1,0,1]
	v_pk_fma_f32 v[34:35], v[36:37], v[34:35], v[76:77] neg_lo:[0,0,1] neg_hi:[0,0,1]
	v_mov_b32_e32 v35, v79
	s_delay_alu instid0(VALU_DEP_1)
	v_pk_add_f32 v[32:33], v[32:33], v[34:35] neg_lo:[0,1] neg_hi:[0,1]
.LBB52_780:                             ;   in Loop: Header=BB52_3 Depth=1
	s_or_b32 exec_lo, exec_lo, s6
	s_barrier_signal -1
	s_barrier_wait -1
	s_mov_b32 s6, exec_lo
	v_readlane_b32 s13, v86, 7
	s_and_b32 s13, s6, s13
	s_delay_alu instid0(SALU_CYCLE_1)
	s_mov_b32 exec_lo, s13
	s_cbranch_execz .LBB52_782
; %bb.781:                              ;   in Loop: Header=BB52_3 Depth=1
	ds_load_b64 v[34:35], v5 offset:7280
	s_wait_dscnt 0x0
	v_pk_mul_f32 v[36:37], v[32:33], v[34:35] op_sel:[1,1] op_sel_hi:[1,0]
	s_delay_alu instid0(VALU_DEP_1) | instskip(SKIP_1) | instid1(VALU_DEP_2)
	v_pk_fma_f32 v[76:77], v[32:33], v[34:35], v[36:37] op_sel_hi:[0,1,1]
	v_pk_fma_f32 v[32:33], v[32:33], v[34:35], v[36:37] neg_lo:[0,0,1] neg_hi:[0,0,1]
	v_mov_b32_e32 v33, v77
	s_delay_alu instid0(VALU_DEP_1)
	v_pk_add_f32 v[34:35], v[32:33], 0 neg_lo:[1,1] neg_hi:[1,1]
	ds_store_b64 v51, v[34:35]
.LBB52_782:                             ;   in Loop: Header=BB52_3 Depth=1
	s_or_b32 exec_lo, exec_lo, s6
	s_wait_dscnt 0x0
	s_barrier_signal -1
	s_barrier_wait -1
	s_mov_b32 s6, exec_lo
	v_readlane_b32 s13, v86, 8
	s_and_b32 s13, s6, s13
	s_delay_alu instid0(SALU_CYCLE_1)
	s_mov_b32 exec_lo, s13
	s_cbranch_execz .LBB52_784
; %bb.783:                              ;   in Loop: Header=BB52_3 Depth=1
	ds_load_b64 v[34:35], v52 offset:7168
	ds_load_b64 v[36:37], v51
	s_wait_dscnt 0x0
	v_pk_mul_f32 v[76:77], v[36:37], v[34:35] op_sel:[1,1] op_sel_hi:[0,1]
	s_delay_alu instid0(VALU_DEP_1) | instskip(SKIP_1) | instid1(VALU_DEP_2)
	v_pk_fma_f32 v[78:79], v[36:37], v[34:35], v[76:77] op_sel_hi:[1,0,1]
	v_pk_fma_f32 v[34:35], v[36:37], v[34:35], v[76:77] neg_lo:[0,0,1] neg_hi:[0,0,1]
	v_mov_b32_e32 v35, v79
	s_delay_alu instid0(VALU_DEP_1)
	v_pk_add_f32 v[32:33], v[32:33], v[34:35] neg_lo:[0,1] neg_hi:[0,1]
.LBB52_784:                             ;   in Loop: Header=BB52_3 Depth=1
	s_or_b32 exec_lo, exec_lo, s6
	s_barrier_signal -1
	s_barrier_wait -1
	s_mov_b32 s6, exec_lo
	v_readlane_b32 s13, v86, 9
	s_and_b32 s13, s6, s13
	s_delay_alu instid0(SALU_CYCLE_1)
	s_mov_b32 exec_lo, s13
	s_cbranch_execz .LBB52_786
; %bb.785:                              ;   in Loop: Header=BB52_3 Depth=1
	ds_load_b64 v[34:35], v5 offset:6760
	s_wait_dscnt 0x0
	v_pk_mul_f32 v[36:37], v[32:33], v[34:35] op_sel:[1,1] op_sel_hi:[1,0]
	s_delay_alu instid0(VALU_DEP_1) | instskip(SKIP_1) | instid1(VALU_DEP_2)
	v_pk_fma_f32 v[76:77], v[32:33], v[34:35], v[36:37] op_sel_hi:[0,1,1]
	v_pk_fma_f32 v[32:33], v[32:33], v[34:35], v[36:37] neg_lo:[0,0,1] neg_hi:[0,0,1]
	v_mov_b32_e32 v33, v77
	s_delay_alu instid0(VALU_DEP_1)
	v_pk_add_f32 v[34:35], v[32:33], 0 neg_lo:[1,1] neg_hi:[1,1]
	ds_store_b64 v51, v[34:35]
.LBB52_786:                             ;   in Loop: Header=BB52_3 Depth=1
	s_or_b32 exec_lo, exec_lo, s6
	s_wait_dscnt 0x0
	s_barrier_signal -1
	s_barrier_wait -1
	s_mov_b32 s6, exec_lo
	v_readlane_b32 s13, v86, 10
	s_and_b32 s13, s6, s13
	s_delay_alu instid0(SALU_CYCLE_1)
	s_mov_b32 exec_lo, s13
	s_cbranch_execz .LBB52_788
; %bb.787:                              ;   in Loop: Header=BB52_3 Depth=1
	ds_load_b64 v[34:35], v52 offset:6656
	ds_load_b64 v[36:37], v51
	s_wait_dscnt 0x0
	v_pk_mul_f32 v[76:77], v[36:37], v[34:35] op_sel:[1,1] op_sel_hi:[0,1]
	s_delay_alu instid0(VALU_DEP_1) | instskip(SKIP_1) | instid1(VALU_DEP_2)
	v_pk_fma_f32 v[78:79], v[36:37], v[34:35], v[76:77] op_sel_hi:[1,0,1]
	v_pk_fma_f32 v[34:35], v[36:37], v[34:35], v[76:77] neg_lo:[0,0,1] neg_hi:[0,0,1]
	v_mov_b32_e32 v35, v79
	s_delay_alu instid0(VALU_DEP_1)
	v_pk_add_f32 v[32:33], v[32:33], v[34:35] neg_lo:[0,1] neg_hi:[0,1]
.LBB52_788:                             ;   in Loop: Header=BB52_3 Depth=1
	s_or_b32 exec_lo, exec_lo, s6
	s_delay_alu instid0(VALU_DEP_1)
	v_dual_mov_b32 v34, v33 :: v_dual_mov_b32 v35, v32
	s_barrier_signal -1
	s_barrier_wait -1
	s_mov_b32 s6, exec_lo
	v_readlane_b32 s13, v86, 11
	s_and_b32 s13, s6, s13
	s_delay_alu instid0(SALU_CYCLE_1)
	s_mov_b32 exec_lo, s13
	s_cbranch_execz .LBB52_790
; %bb.789:                              ;   in Loop: Header=BB52_3 Depth=1
	ds_load_b64 v[36:37], v5 offset:6240
	s_wait_dscnt 0x0
	v_dual_mul_f32 v76, v35, v37 :: v_dual_mul_f32 v78, v33, v37
	s_delay_alu instid0(VALU_DEP_1) | instskip(NEXT) | instid1(VALU_DEP_2)
	v_pk_fma_f32 v[34:35], v[34:35], v[36:37], v[76:77] op_sel_hi:[1,1,0]
	v_pk_fma_f32 v[32:33], v[32:33], v[36:37], v[78:79] op_sel_hi:[1,1,0] neg_lo:[0,0,1] neg_hi:[0,0,1]
	s_delay_alu instid0(VALU_DEP_1) | instskip(NEXT) | instid1(VALU_DEP_1)
	v_dual_mov_b32 v33, v34 :: v_dual_mov_b32 v35, v32
	v_pk_add_f32 v[36:37], v[32:33], 0 neg_lo:[1,1] neg_hi:[1,1]
	ds_store_b64 v51, v[36:37]
.LBB52_790:                             ;   in Loop: Header=BB52_3 Depth=1
	s_or_b32 exec_lo, exec_lo, s6
	s_wait_dscnt 0x0
	s_barrier_signal -1
	s_barrier_wait -1
	s_and_saveexec_b32 s6, s27
	s_cbranch_execz .LBB52_792
; %bb.791:                              ;   in Loop: Header=BB52_3 Depth=1
	ds_load_b64 v[32:33], v52 offset:6144
	ds_load_b64 v[36:37], v51
	s_wait_dscnt 0x0
	v_dual_mul_f32 v75, v37, v33 :: v_dual_mul_f32 v76, v36, v33
	s_delay_alu instid0(VALU_DEP_1) | instskip(NEXT) | instid1(VALU_DEP_1)
	v_dual_fma_f32 v77, v36, v32, -v75 :: v_dual_fmac_f32 v76, v37, v32
	v_pk_add_f32 v[34:35], v[34:35], v[76:77] neg_lo:[0,1] neg_hi:[0,1]
.LBB52_792:                             ;   in Loop: Header=BB52_3 Depth=1
	s_or_b32 exec_lo, exec_lo, s6
	s_barrier_signal -1
	s_barrier_wait -1
	s_and_saveexec_b32 s6, s29
	s_cbranch_execz .LBB52_794
; %bb.793:                              ;   in Loop: Header=BB52_3 Depth=1
	ds_load_b64 v[32:33], v5 offset:5720
	s_wait_dscnt 0x0
	v_pk_mul_f32 v[36:37], v[34:35], v[32:33] op_sel_hi:[0,1]
	s_delay_alu instid0(VALU_DEP_1) | instskip(SKIP_1) | instid1(VALU_DEP_2)
	v_pk_fma_f32 v[76:77], v[34:35], v[32:33], v[36:37] op_sel:[1,1,0] op_sel_hi:[1,0,1] neg_lo:[0,0,1] neg_hi:[0,0,1]
	v_pk_fma_f32 v[34:35], v[34:35], v[32:33], v[36:37] op_sel:[1,1,0] op_sel_hi:[1,0,1]
	v_mov_b32_e32 v35, v77
	s_delay_alu instid0(VALU_DEP_2)
	v_xor_b32_e32 v33, 0x80000000, v34
	v_xor_b32_e32 v32, 0x80000000, v77
	ds_store_b64 v51, v[32:33]
.LBB52_794:                             ;   in Loop: Header=BB52_3 Depth=1
	s_or_b32 exec_lo, exec_lo, s6
	s_wait_dscnt 0x0
	s_barrier_signal -1
	s_barrier_wait -1
	s_and_saveexec_b32 s6, s31
	s_cbranch_execz .LBB52_796
; %bb.795:                              ;   in Loop: Header=BB52_3 Depth=1
	ds_load_b64 v[32:33], v52 offset:5632
	ds_load_b64 v[36:37], v51
	s_wait_dscnt 0x0
	v_pk_mul_f32 v[76:77], v[36:37], v[32:33] op_sel:[0,1]
	s_delay_alu instid0(VALU_DEP_1) | instskip(SKIP_1) | instid1(VALU_DEP_2)
	v_pk_fma_f32 v[78:79], v[36:37], v[32:33], v[76:77] op_sel:[1,0,0] op_sel_hi:[0,0,1] neg_lo:[0,0,1] neg_hi:[0,0,1]
	v_pk_fma_f32 v[32:33], v[36:37], v[32:33], v[76:77] op_sel:[1,0,0] op_sel_hi:[0,1,1]
	v_mov_b32_e32 v33, v79
	s_delay_alu instid0(VALU_DEP_1)
	v_pk_add_f32 v[34:35], v[34:35], v[32:33] neg_lo:[0,1] neg_hi:[0,1]
.LBB52_796:                             ;   in Loop: Header=BB52_3 Depth=1
	s_or_b32 exec_lo, exec_lo, s6
	s_barrier_signal -1
	s_barrier_wait -1
	s_and_saveexec_b32 s6, s34
	s_cbranch_execz .LBB52_798
; %bb.797:                              ;   in Loop: Header=BB52_3 Depth=1
	ds_load_b64 v[32:33], v5 offset:5200
	s_wait_dscnt 0x0
	v_pk_mul_f32 v[36:37], v[34:35], v[32:33] op_sel_hi:[0,1]
	s_delay_alu instid0(VALU_DEP_1) | instskip(SKIP_1) | instid1(VALU_DEP_2)
	v_pk_fma_f32 v[76:77], v[34:35], v[32:33], v[36:37] op_sel:[1,1,0] op_sel_hi:[1,0,1] neg_lo:[0,0,1] neg_hi:[0,0,1]
	v_pk_fma_f32 v[34:35], v[34:35], v[32:33], v[36:37] op_sel:[1,1,0] op_sel_hi:[1,0,1]
	v_mov_b32_e32 v35, v77
	s_delay_alu instid0(VALU_DEP_2)
	v_xor_b32_e32 v33, 0x80000000, v34
	v_xor_b32_e32 v32, 0x80000000, v77
	ds_store_b64 v51, v[32:33]
.LBB52_798:                             ;   in Loop: Header=BB52_3 Depth=1
	s_or_b32 exec_lo, exec_lo, s6
	s_wait_dscnt 0x0
	s_barrier_signal -1
	s_barrier_wait -1
	s_and_saveexec_b32 s6, s38
	s_cbranch_execz .LBB52_800
; %bb.799:                              ;   in Loop: Header=BB52_3 Depth=1
	ds_load_b64 v[32:33], v52 offset:5120
	ds_load_b64 v[36:37], v51
	s_wait_dscnt 0x0
	v_pk_mul_f32 v[76:77], v[36:37], v[32:33] op_sel:[0,1]
	s_delay_alu instid0(VALU_DEP_1) | instskip(SKIP_1) | instid1(VALU_DEP_2)
	v_pk_fma_f32 v[78:79], v[36:37], v[32:33], v[76:77] op_sel:[1,0,0] op_sel_hi:[0,0,1] neg_lo:[0,0,1] neg_hi:[0,0,1]
	v_pk_fma_f32 v[32:33], v[36:37], v[32:33], v[76:77] op_sel:[1,0,0] op_sel_hi:[0,1,1]
	v_mov_b32_e32 v33, v79
	s_delay_alu instid0(VALU_DEP_1)
	v_pk_add_f32 v[34:35], v[34:35], v[32:33] neg_lo:[0,1] neg_hi:[0,1]
.LBB52_800:                             ;   in Loop: Header=BB52_3 Depth=1
	;; [unrolled: 36-line block ×3, first 2 shown]
	s_or_b32 exec_lo, exec_lo, s6
	s_delay_alu instid0(VALU_DEP_1)
	v_dual_mov_b32 v32, v35 :: v_dual_mov_b32 v33, v34
	s_barrier_signal -1
	s_barrier_wait -1
	s_and_saveexec_b32 s6, s41
	s_cbranch_execz .LBB52_806
; %bb.805:                              ;   in Loop: Header=BB52_3 Depth=1
	ds_load_b64 v[36:37], v5 offset:4160
	s_wait_dscnt 0x0
	v_dual_mul_f32 v76, v34, v36 :: v_dual_mul_f32 v78, v33, v37
	s_delay_alu instid0(VALU_DEP_1) | instskip(NEXT) | instid1(VALU_DEP_2)
	v_pk_fma_f32 v[34:35], v[34:35], v[36:37], v[76:77] op_sel_hi:[1,1,0]
	v_pk_fma_f32 v[32:33], v[32:33], v[36:37], v[78:79] op_sel_hi:[1,1,0] neg_lo:[0,0,1] neg_hi:[0,0,1]
	s_delay_alu instid0(VALU_DEP_2) | instskip(NEXT) | instid1(VALU_DEP_1)
	v_mov_b32_e32 v33, v35
	v_pk_add_f32 v[34:35], v[32:33], 0 neg_lo:[1,1] neg_hi:[1,1]
	ds_store_b64 v51, v[34:35]
.LBB52_806:                             ;   in Loop: Header=BB52_3 Depth=1
	s_or_b32 exec_lo, exec_lo, s6
	s_wait_dscnt 0x0
	s_barrier_signal -1
	s_barrier_wait -1
	s_and_saveexec_b32 s6, s9
	s_cbranch_execz .LBB52_808
; %bb.807:                              ;   in Loop: Header=BB52_3 Depth=1
	ds_load_b64 v[34:35], v52 offset:4096
	ds_load_b64 v[36:37], v51
	s_wait_dscnt 0x0
	v_dual_mul_f32 v75, v37, v35 :: v_dual_mul_f32 v77, v36, v35
	s_delay_alu instid0(VALU_DEP_1) | instskip(NEXT) | instid1(VALU_DEP_1)
	v_dual_fma_f32 v76, v36, v34, -v75 :: v_dual_fmac_f32 v77, v37, v34
	v_pk_add_f32 v[32:33], v[32:33], v[76:77] neg_lo:[0,1] neg_hi:[0,1]
.LBB52_808:                             ;   in Loop: Header=BB52_3 Depth=1
	s_or_b32 exec_lo, exec_lo, s6
	s_barrier_signal -1
	s_barrier_wait -1
	s_and_saveexec_b32 s6, s42
	s_cbranch_execz .LBB52_810
; %bb.809:                              ;   in Loop: Header=BB52_3 Depth=1
	ds_load_b64 v[34:35], v5 offset:3640
	s_wait_dscnt 0x0
	v_pk_mul_f32 v[36:37], v[32:33], v[34:35] op_sel:[1,1] op_sel_hi:[1,0]
	s_delay_alu instid0(VALU_DEP_1) | instskip(SKIP_1) | instid1(VALU_DEP_2)
	v_pk_fma_f32 v[76:77], v[32:33], v[34:35], v[36:37] op_sel_hi:[0,1,1]
	v_pk_fma_f32 v[32:33], v[32:33], v[34:35], v[36:37] neg_lo:[0,0,1] neg_hi:[0,0,1]
	v_mov_b32_e32 v33, v77
	s_delay_alu instid0(VALU_DEP_1)
	v_pk_add_f32 v[34:35], v[32:33], 0 neg_lo:[1,1] neg_hi:[1,1]
	ds_store_b64 v51, v[34:35]
.LBB52_810:                             ;   in Loop: Header=BB52_3 Depth=1
	s_or_b32 exec_lo, exec_lo, s6
	s_wait_dscnt 0x0
	s_barrier_signal -1
	s_barrier_wait -1
	s_and_saveexec_b32 s6, s24
	s_cbranch_execz .LBB52_812
; %bb.811:                              ;   in Loop: Header=BB52_3 Depth=1
	ds_load_b64 v[34:35], v52 offset:3584
	ds_load_b64 v[36:37], v51
	s_wait_dscnt 0x0
	v_pk_mul_f32 v[76:77], v[36:37], v[34:35] op_sel:[1,1] op_sel_hi:[0,1]
	s_delay_alu instid0(VALU_DEP_1) | instskip(SKIP_1) | instid1(VALU_DEP_2)
	v_pk_fma_f32 v[78:79], v[36:37], v[34:35], v[76:77] op_sel_hi:[1,0,1]
	v_pk_fma_f32 v[34:35], v[36:37], v[34:35], v[76:77] neg_lo:[0,0,1] neg_hi:[0,0,1]
	v_mov_b32_e32 v35, v79
	s_delay_alu instid0(VALU_DEP_1)
	v_pk_add_f32 v[32:33], v[32:33], v[34:35] neg_lo:[0,1] neg_hi:[0,1]
.LBB52_812:                             ;   in Loop: Header=BB52_3 Depth=1
	s_or_b32 exec_lo, exec_lo, s6
	s_barrier_signal -1
	s_barrier_wait -1
	s_and_saveexec_b32 s6, s26
	s_cbranch_execz .LBB52_814
; %bb.813:                              ;   in Loop: Header=BB52_3 Depth=1
	ds_load_b64 v[34:35], v5 offset:3120
	s_wait_dscnt 0x0
	v_pk_mul_f32 v[36:37], v[32:33], v[34:35] op_sel:[1,1] op_sel_hi:[1,0]
	s_delay_alu instid0(VALU_DEP_1) | instskip(SKIP_1) | instid1(VALU_DEP_2)
	v_pk_fma_f32 v[76:77], v[32:33], v[34:35], v[36:37] op_sel_hi:[0,1,1]
	v_pk_fma_f32 v[32:33], v[32:33], v[34:35], v[36:37] neg_lo:[0,0,1] neg_hi:[0,0,1]
	v_mov_b32_e32 v33, v77
	s_delay_alu instid0(VALU_DEP_1)
	v_pk_add_f32 v[34:35], v[32:33], 0 neg_lo:[1,1] neg_hi:[1,1]
	ds_store_b64 v51, v[34:35]
.LBB52_814:                             ;   in Loop: Header=BB52_3 Depth=1
	s_or_b32 exec_lo, exec_lo, s6
	s_wait_dscnt 0x0
	s_barrier_signal -1
	s_barrier_wait -1
	s_and_saveexec_b32 s6, s28
	s_cbranch_execz .LBB52_816
; %bb.815:                              ;   in Loop: Header=BB52_3 Depth=1
	ds_load_b64 v[34:35], v52 offset:3072
	ds_load_b64 v[36:37], v51
	s_wait_dscnt 0x0
	v_pk_mul_f32 v[76:77], v[36:37], v[34:35] op_sel:[1,1] op_sel_hi:[0,1]
	s_delay_alu instid0(VALU_DEP_1) | instskip(SKIP_1) | instid1(VALU_DEP_2)
	v_pk_fma_f32 v[78:79], v[36:37], v[34:35], v[76:77] op_sel_hi:[1,0,1]
	v_pk_fma_f32 v[34:35], v[36:37], v[34:35], v[76:77] neg_lo:[0,0,1] neg_hi:[0,0,1]
	v_mov_b32_e32 v35, v79
	s_delay_alu instid0(VALU_DEP_1)
	v_pk_add_f32 v[32:33], v[32:33], v[34:35] neg_lo:[0,1] neg_hi:[0,1]
.LBB52_816:                             ;   in Loop: Header=BB52_3 Depth=1
	;; [unrolled: 35-line block ×3, first 2 shown]
	s_or_b32 exec_lo, exec_lo, s6
	s_barrier_signal -1
	s_barrier_wait -1
	s_and_saveexec_b32 s6, s80
	s_cbranch_execz .LBB52_822
; %bb.821:                              ;   in Loop: Header=BB52_3 Depth=1
	ds_load_b64 v[34:35], v5 offset:2080
	s_wait_dscnt 0x0
	v_pk_mul_f32 v[36:37], v[32:33], v[34:35]
	v_pk_mul_f32 v[32:33], v[32:33], v[34:35] op_sel:[1,0] op_sel_hi:[0,1]
	s_delay_alu instid0(VALU_DEP_1) | instskip(NEXT) | instid1(VALU_DEP_3)
	v_dual_mov_b32 v34, v36 :: v_dual_mov_b32 v35, v32
	v_mov_b32_e32 v32, v37
	s_delay_alu instid0(VALU_DEP_1) | instskip(SKIP_1) | instid1(VALU_DEP_2)
	v_pk_add_f32 v[36:37], v[34:35], v[32:33]
	v_pk_add_f32 v[32:33], v[34:35], v[32:33] neg_lo:[0,1] neg_hi:[0,1]
	v_mov_b32_e32 v33, v37
	s_delay_alu instid0(VALU_DEP_1)
	v_pk_add_f32 v[34:35], v[32:33], 0 neg_lo:[1,1] neg_hi:[1,1]
	ds_store_b64 v51, v[34:35]
.LBB52_822:                             ;   in Loop: Header=BB52_3 Depth=1
	s_or_b32 exec_lo, exec_lo, s6
	s_wait_dscnt 0x0
	s_barrier_signal -1
	s_barrier_wait -1
	s_and_saveexec_b32 s6, s81
	s_cbranch_execz .LBB52_824
; %bb.823:                              ;   in Loop: Header=BB52_3 Depth=1
	ds_load_b64 v[34:35], v52 offset:2048
	ds_load_b64 v[36:37], v51
	s_wait_dscnt 0x0
	v_dual_mul_f32 v75, v37, v35 :: v_dual_mul_f32 v35, v36, v35
	s_delay_alu instid0(VALU_DEP_1) | instskip(NEXT) | instid1(VALU_DEP_1)
	v_fmac_f32_e32 v35, v37, v34
	v_dual_fma_f32 v36, v36, v34, -v75 :: v_dual_sub_f32 v33, v33, v35
	s_delay_alu instid0(VALU_DEP_1)
	v_sub_f32_e32 v32, v32, v36
.LBB52_824:                             ;   in Loop: Header=BB52_3 Depth=1
	s_or_b32 exec_lo, exec_lo, s6
	s_barrier_signal -1
	s_barrier_wait -1
	s_and_saveexec_b32 s6, s78
	s_cbranch_execz .LBB52_826
; %bb.825:                              ;   in Loop: Header=BB52_3 Depth=1
	ds_load_b64 v[34:35], v5 offset:1560
	s_wait_dscnt 0x0
	v_dual_mul_f32 v36, v33, v34 :: v_dual_mul_f32 v76, v33, v35
	s_delay_alu instid0(VALU_DEP_1) | instskip(NEXT) | instid1(VALU_DEP_2)
	v_pk_fma_f32 v[36:37], v[32:33], v[34:35], v[36:37] op_sel:[1,0,0] op_sel_hi:[0,1,0]
	v_pk_fma_f32 v[32:33], v[32:33], v[34:35], v[76:77] op_sel_hi:[1,1,0] neg_lo:[0,0,1] neg_hi:[0,0,1]
	s_delay_alu instid0(VALU_DEP_2) | instskip(NEXT) | instid1(VALU_DEP_1)
	v_mov_b32_e32 v33, v37
	v_pk_add_f32 v[34:35], v[32:33], 0 neg_lo:[1,1] neg_hi:[1,1]
	ds_store_b64 v51, v[34:35]
.LBB52_826:                             ;   in Loop: Header=BB52_3 Depth=1
	s_or_b32 exec_lo, exec_lo, s6
	s_wait_dscnt 0x0
	s_barrier_signal -1
	s_barrier_wait -1
	s_and_saveexec_b32 s6, s79
	s_cbranch_execz .LBB52_828
; %bb.827:                              ;   in Loop: Header=BB52_3 Depth=1
	ds_load_b64 v[34:35], v52 offset:1536
	ds_load_b64 v[36:37], v51
	s_wait_dscnt 0x0
	v_pk_mul_f32 v[76:77], v[36:37], v[34:35] op_sel:[1,1] op_sel_hi:[0,1]
	s_delay_alu instid0(VALU_DEP_1) | instskip(SKIP_1) | instid1(VALU_DEP_2)
	v_pk_fma_f32 v[78:79], v[36:37], v[34:35], v[76:77] op_sel_hi:[1,0,1]
	v_pk_fma_f32 v[34:35], v[36:37], v[34:35], v[76:77] neg_lo:[0,0,1] neg_hi:[0,0,1]
	v_mov_b32_e32 v35, v79
	s_delay_alu instid0(VALU_DEP_1)
	v_pk_add_f32 v[32:33], v[32:33], v[34:35] neg_lo:[0,1] neg_hi:[0,1]
.LBB52_828:                             ;   in Loop: Header=BB52_3 Depth=1
	s_or_b32 exec_lo, exec_lo, s6
	s_barrier_signal -1
	s_barrier_wait -1
	s_and_saveexec_b32 s6, s43
	s_cbranch_execz .LBB52_830
; %bb.829:                              ;   in Loop: Header=BB52_3 Depth=1
	ds_load_b64 v[34:35], v5 offset:1040
	s_wait_dscnt 0x0
	v_pk_mul_f32 v[36:37], v[32:33], v[34:35] op_sel:[1,1] op_sel_hi:[1,0]
	s_delay_alu instid0(VALU_DEP_1) | instskip(SKIP_1) | instid1(VALU_DEP_2)
	v_pk_fma_f32 v[76:77], v[32:33], v[34:35], v[36:37] op_sel_hi:[0,1,1]
	v_pk_fma_f32 v[32:33], v[32:33], v[34:35], v[36:37] neg_lo:[0,0,1] neg_hi:[0,0,1]
	v_mov_b32_e32 v33, v77
	s_delay_alu instid0(VALU_DEP_1)
	v_pk_add_f32 v[34:35], v[32:33], 0 neg_lo:[1,1] neg_hi:[1,1]
	ds_store_b64 v51, v[34:35]
.LBB52_830:                             ;   in Loop: Header=BB52_3 Depth=1
	s_or_b32 exec_lo, exec_lo, s6
	s_wait_dscnt 0x0
	s_barrier_signal -1
	s_barrier_wait -1
	s_and_saveexec_b32 s6, s67
	s_cbranch_execz .LBB52_832
; %bb.831:                              ;   in Loop: Header=BB52_3 Depth=1
	ds_load_b64 v[34:35], v52 offset:1024
	ds_load_b64 v[36:37], v51
	s_wait_dscnt 0x0
	v_pk_mul_f32 v[76:77], v[36:37], v[34:35] op_sel:[1,1] op_sel_hi:[0,1]
	s_delay_alu instid0(VALU_DEP_1) | instskip(SKIP_1) | instid1(VALU_DEP_2)
	v_pk_fma_f32 v[78:79], v[36:37], v[34:35], v[76:77] op_sel_hi:[1,0,1]
	v_pk_fma_f32 v[34:35], v[36:37], v[34:35], v[76:77] neg_lo:[0,0,1] neg_hi:[0,0,1]
	v_mov_b32_e32 v35, v79
	s_delay_alu instid0(VALU_DEP_1)
	v_pk_add_f32 v[32:33], v[32:33], v[34:35] neg_lo:[0,1] neg_hi:[0,1]
.LBB52_832:                             ;   in Loop: Header=BB52_3 Depth=1
	s_or_b32 exec_lo, exec_lo, s6
	s_barrier_signal -1
	s_barrier_wait -1
	s_and_saveexec_b32 s6, s8
	s_cbranch_execz .LBB52_834
; %bb.833:                              ;   in Loop: Header=BB52_3 Depth=1
	ds_load_b64 v[34:35], v5 offset:520
	s_wait_dscnt 0x0
	v_pk_mul_f32 v[36:37], v[32:33], v[34:35] op_sel:[1,1] op_sel_hi:[1,0]
	s_delay_alu instid0(VALU_DEP_1) | instskip(SKIP_1) | instid1(VALU_DEP_2)
	v_pk_fma_f32 v[76:77], v[32:33], v[34:35], v[36:37] op_sel_hi:[0,1,1]
	v_pk_fma_f32 v[32:33], v[32:33], v[34:35], v[36:37] neg_lo:[0,0,1] neg_hi:[0,0,1]
	v_mov_b32_e32 v33, v77
	s_delay_alu instid0(VALU_DEP_1)
	v_pk_add_f32 v[34:35], v[32:33], 0 neg_lo:[1,1] neg_hi:[1,1]
	ds_store_b64 v51, v[34:35]
.LBB52_834:                             ;   in Loop: Header=BB52_3 Depth=1
	s_or_b32 exec_lo, exec_lo, s6
	s_wait_dscnt 0x0
	s_barrier_signal -1
	s_barrier_wait -1
	s_and_saveexec_b32 s6, s68
	s_cbranch_execz .LBB52_836
; %bb.835:                              ;   in Loop: Header=BB52_3 Depth=1
	ds_load_b64 v[34:35], v5 offset:512
	ds_load_b64 v[36:37], v51
	s_wait_dscnt 0x0
	v_pk_mul_f32 v[76:77], v[36:37], v[34:35] op_sel:[1,1] op_sel_hi:[0,1]
	s_delay_alu instid0(VALU_DEP_1) | instskip(SKIP_1) | instid1(VALU_DEP_2)
	v_pk_fma_f32 v[78:79], v[36:37], v[34:35], v[76:77] op_sel_hi:[1,0,1]
	v_pk_fma_f32 v[34:35], v[36:37], v[34:35], v[76:77] neg_lo:[0,0,1] neg_hi:[0,0,1]
	v_mov_b32_e32 v35, v79
	s_delay_alu instid0(VALU_DEP_1)
	v_pk_add_f32 v[32:33], v[32:33], v[34:35] neg_lo:[0,1] neg_hi:[0,1]
.LBB52_836:                             ;   in Loop: Header=BB52_3 Depth=1
	s_or_b32 exec_lo, exec_lo, s6
	s_barrier_signal -1
	s_barrier_wait -1
	s_and_saveexec_b32 s6, s68
	s_cbranch_execz .LBB52_838
; %bb.837:                              ;   in Loop: Header=BB52_3 Depth=1
	ds_load_b64 v[34:35], v5
	s_wait_dscnt 0x0
	v_pk_mul_f32 v[36:37], v[32:33], v[34:35] op_sel:[1,1] op_sel_hi:[1,0]
	s_delay_alu instid0(VALU_DEP_1) | instskip(SKIP_1) | instid1(VALU_DEP_2)
	v_pk_fma_f32 v[76:77], v[32:33], v[34:35], v[36:37] op_sel_hi:[0,1,1]
	v_pk_fma_f32 v[32:33], v[32:33], v[34:35], v[36:37] neg_lo:[0,0,1] neg_hi:[0,0,1]
	v_mov_b32_e32 v33, v77
	s_delay_alu instid0(VALU_DEP_1)
	v_pk_add_f32 v[34:35], v[32:33], 0 neg_lo:[1,1] neg_hi:[1,1]
	ds_store_b64 v51, v[34:35]
.LBB52_838:                             ;   in Loop: Header=BB52_3 Depth=1
	s_or_b32 exec_lo, exec_lo, s6
	s_wait_dscnt 0x0
	s_barrier_signal -1
	s_barrier_wait -1
	s_barrier_signal -1
	s_barrier_wait -1
	s_and_saveexec_b32 s6, s4
; %bb.839:                              ;   in Loop: Header=BB52_3 Depth=1
	ds_store_b64 v55, v[32:33] offset:15872
; %bb.840:                              ;   in Loop: Header=BB52_3 Depth=1
	s_or_b32 exec_lo, exec_lo, s6
	s_wait_dscnt 0x0
	s_barrier_signal -1
	s_barrier_wait -1
	s_barrier_signal -1
	s_barrier_wait -1
	s_and_saveexec_b32 s6, s14
	s_cbranch_execz .LBB52_842
; %bb.841:                              ;   in Loop: Header=BB52_3 Depth=1
	v_add_nc_u32_e64 v32, 0x70, 0
	ds_load_b64 v[36:37], v5 offset:7800
	ds_load_2addr_stride64_b64 v[32:35], v32 offset0:14 offset1:15
	s_wait_dscnt 0x0
	v_dual_mul_f32 v75, v37, v33 :: v_dual_mul_f32 v76, v36, v33
	s_delay_alu instid0(VALU_DEP_1) | instskip(NEXT) | instid1(VALU_DEP_1)
	v_xor_b32_e32 v78, 0x80000000, v75
	v_dual_fmac_f32 v76, v37, v32 :: v_dual_fmac_f32 v78, v36, v32
	s_delay_alu instid0(VALU_DEP_1) | instskip(NEXT) | instid1(VALU_DEP_1)
	v_pk_mul_f32 v[32:33], v[76:77], v[34:35] op_sel:[0,1] op_sel_hi:[0,0]
	v_pk_fma_f32 v[36:37], v[78:79], v[34:35], v[32:33] op_sel_hi:[0,1,1]
	v_pk_fma_f32 v[32:33], v[78:79], v[34:35], v[32:33] neg_lo:[0,0,1] neg_hi:[0,0,1]
	s_delay_alu instid0(VALU_DEP_2)
	v_mov_b32_e32 v33, v37
	ds_store_b64 v5, v[32:33] offset:7792
.LBB52_842:                             ;   in Loop: Header=BB52_3 Depth=1
	s_or_b32 exec_lo, exec_lo, s6
	v_dual_mov_b32 v32, 0 :: v_dual_mov_b32 v33, 0
	s_wait_dscnt 0x0
	s_barrier_signal -1
	s_barrier_wait -1
	global_wb scope:SCOPE_DEV
	s_wait_storecnt 0x0
	global_inv scope:SCOPE_DEV
	s_and_saveexec_b32 s6, s1
	s_cbranch_execz .LBB52_846
; %bb.843:                              ;   in Loop: Header=BB52_3 Depth=1
	ds_load_b64 v[32:33], v39 offset:7264
	ds_load_b64 v[34:35], v40 offset:7792
	s_wait_dscnt 0x0
	v_pk_mul_f32 v[36:37], v[34:35], v[32:33] op_sel:[1,1] op_sel_hi:[0,1]
	s_delay_alu instid0(VALU_DEP_1) | instskip(SKIP_1) | instid1(VALU_DEP_2)
	v_pk_fma_f32 v[76:77], v[34:35], v[32:33], v[36:37] op_sel_hi:[1,0,1]
	v_pk_fma_f32 v[32:33], v[34:35], v[32:33], v[36:37] neg_lo:[0,0,1] neg_hi:[0,0,1]
	v_mov_b32_e32 v33, v77
	s_delay_alu instid0(VALU_DEP_1)
	v_pk_add_f32 v[32:33], v[32:33], 0 op_sel_hi:[1,0]
	s_and_saveexec_b32 s13, s15
	s_cbranch_execz .LBB52_845
; %bb.844:                              ;   in Loop: Header=BB52_3 Depth=1
	ds_load_b64 v[34:35], v41 offset:7776
	ds_load_b64 v[36:37], v5 offset:7800
	s_wait_dscnt 0x0
	v_pk_mul_f32 v[76:77], v[36:37], v[34:35] op_sel:[1,1] op_sel_hi:[0,1]
	s_delay_alu instid0(VALU_DEP_1) | instskip(SKIP_1) | instid1(VALU_DEP_2)
	v_pk_fma_f32 v[78:79], v[36:37], v[34:35], v[76:77] op_sel_hi:[1,0,1]
	v_pk_fma_f32 v[34:35], v[36:37], v[34:35], v[76:77] neg_lo:[0,0,1] neg_hi:[0,0,1]
	v_mov_b32_e32 v35, v79
	s_delay_alu instid0(VALU_DEP_1)
	v_pk_add_f32 v[32:33], v[32:33], v[34:35]
.LBB52_845:                             ;   in Loop: Header=BB52_3 Depth=1
	s_or_b32 exec_lo, exec_lo, s13
.LBB52_846:                             ;   in Loop: Header=BB52_3 Depth=1
	s_delay_alu instid0(SALU_CYCLE_1)
	s_or_b32 exec_lo, exec_lo, s6
	s_and_saveexec_b32 s6, s45
	s_cbranch_execz .LBB52_848
; %bb.847:                              ;   in Loop: Header=BB52_3 Depth=1
	ds_load_b64 v[34:35], v5 offset:6760
	s_wait_dscnt 0x0
	v_pk_mul_f32 v[36:37], v[32:33], v[34:35] op_sel:[1,1] op_sel_hi:[1,0]
	s_delay_alu instid0(VALU_DEP_1) | instskip(SKIP_1) | instid1(VALU_DEP_2)
	v_pk_fma_f32 v[76:77], v[32:33], v[34:35], v[36:37] op_sel_hi:[0,1,1]
	v_pk_fma_f32 v[32:33], v[32:33], v[34:35], v[36:37] neg_lo:[0,0,1] neg_hi:[0,0,1]
	v_mov_b32_e32 v33, v77
	s_delay_alu instid0(VALU_DEP_1)
	v_pk_add_f32 v[34:35], v[32:33], 0 neg_lo:[1,1] neg_hi:[1,1]
	ds_store_b64 v3, v[34:35]
.LBB52_848:                             ;   in Loop: Header=BB52_3 Depth=1
	s_or_b32 exec_lo, exec_lo, s6
	s_wait_loadcnt_dscnt 0x0
	s_barrier_signal -1
	s_barrier_wait -1
	s_and_saveexec_b32 s6, s46
	s_cbranch_execz .LBB52_850
; %bb.849:                              ;   in Loop: Header=BB52_3 Depth=1
	ds_load_b64 v[34:35], v5 offset:6752
	ds_load_b64 v[36:37], v3
	s_wait_dscnt 0x0
	v_pk_mul_f32 v[76:77], v[36:37], v[34:35] op_sel:[1,1] op_sel_hi:[0,1]
	s_delay_alu instid0(VALU_DEP_1) | instskip(SKIP_1) | instid1(VALU_DEP_2)
	v_pk_fma_f32 v[78:79], v[36:37], v[34:35], v[76:77] op_sel_hi:[1,0,1]
	v_pk_fma_f32 v[34:35], v[36:37], v[34:35], v[76:77] neg_lo:[0,0,1] neg_hi:[0,0,1]
	v_mov_b32_e32 v35, v79
	s_delay_alu instid0(VALU_DEP_1)
	v_pk_add_f32 v[32:33], v[32:33], v[34:35] neg_lo:[0,1] neg_hi:[0,1]
.LBB52_850:                             ;   in Loop: Header=BB52_3 Depth=1
	s_or_b32 exec_lo, exec_lo, s6
	s_barrier_signal -1
	s_barrier_wait -1
	s_and_saveexec_b32 s6, s46
	s_cbranch_execz .LBB52_852
; %bb.851:                              ;   in Loop: Header=BB52_3 Depth=1
	ds_load_b64 v[34:35], v5 offset:6240
	s_wait_dscnt 0x0
	v_pk_mul_f32 v[36:37], v[32:33], v[34:35] op_sel:[1,1] op_sel_hi:[1,0]
	s_delay_alu instid0(VALU_DEP_1) | instskip(SKIP_1) | instid1(VALU_DEP_2)
	v_pk_fma_f32 v[76:77], v[32:33], v[34:35], v[36:37] op_sel_hi:[0,1,1]
	v_pk_fma_f32 v[32:33], v[32:33], v[34:35], v[36:37] neg_lo:[0,0,1] neg_hi:[0,0,1]
	v_mov_b32_e32 v33, v77
	s_delay_alu instid0(VALU_DEP_1)
	v_pk_add_f32 v[34:35], v[32:33], 0 neg_lo:[1,1] neg_hi:[1,1]
	ds_store_b64 v3, v[34:35]
.LBB52_852:                             ;   in Loop: Header=BB52_3 Depth=1
	s_or_b32 exec_lo, exec_lo, s6
	s_wait_dscnt 0x0
	s_barrier_signal -1
	s_barrier_wait -1
	s_barrier_signal -1
	s_barrier_wait -1
	s_and_saveexec_b32 s6, s1
; %bb.853:                              ;   in Loop: Header=BB52_3 Depth=1
	ds_store_b64 v42, v[32:33] offset:7776
; %bb.854:                              ;   in Loop: Header=BB52_3 Depth=1
	s_or_b32 exec_lo, exec_lo, s6
	s_wait_dscnt 0x0
	s_barrier_signal -1
	s_barrier_wait -1
	s_barrier_signal -1
	s_barrier_wait -1
	s_and_saveexec_b32 s6, s14
	s_cbranch_execz .LBB52_856
; %bb.855:                              ;   in Loop: Header=BB52_3 Depth=1
	v_add_nc_u32_e64 v32, 0x60, 0
	ds_load_b64 v[36:37], v5 offset:6760
	ds_load_2addr_stride64_b64 v[32:35], v32 offset0:12 offset1:13
	s_wait_dscnt 0x0
	v_dual_mul_f32 v75, v37, v33 :: v_dual_mul_f32 v76, v36, v33
	s_delay_alu instid0(VALU_DEP_1) | instskip(NEXT) | instid1(VALU_DEP_1)
	v_xor_b32_e32 v78, 0x80000000, v75
	v_dual_fmac_f32 v76, v37, v32 :: v_dual_fmac_f32 v78, v36, v32
	s_delay_alu instid0(VALU_DEP_1) | instskip(NEXT) | instid1(VALU_DEP_1)
	v_pk_mul_f32 v[32:33], v[76:77], v[34:35] op_sel:[0,1] op_sel_hi:[0,0]
	v_pk_fma_f32 v[36:37], v[78:79], v[34:35], v[32:33] op_sel_hi:[0,1,1]
	v_pk_fma_f32 v[32:33], v[78:79], v[34:35], v[32:33] neg_lo:[0,0,1] neg_hi:[0,0,1]
	s_delay_alu instid0(VALU_DEP_2)
	v_mov_b32_e32 v33, v37
	ds_store_b64 v5, v[32:33] offset:6752
.LBB52_856:                             ;   in Loop: Header=BB52_3 Depth=1
	s_or_b32 exec_lo, exec_lo, s6
	v_mov_b64_e32 v[32:33], 0
	s_wait_dscnt 0x0
	s_barrier_signal -1
	s_barrier_wait -1
	global_wb scope:SCOPE_DEV
	s_wait_storecnt 0x0
	global_inv scope:SCOPE_DEV
	s_and_saveexec_b32 s98, s2
	s_cbranch_execz .LBB52_862
; %bb.857:                              ;   in Loop: Header=BB52_3 Depth=1
	ds_load_b64 v[32:33], v44 offset:6208
	ds_load_b64 v[34:35], v45 offset:7776
	s_wait_dscnt 0x0
	v_dual_mul_f32 v36, v35, v33 :: v_dual_mul_f32 v33, v34, v33
	s_delay_alu instid0(VALU_DEP_1) | instskip(NEXT) | instid1(VALU_DEP_1)
	v_dual_fma_f32 v34, v34, v32, -v36 :: v_dual_fmac_f32 v33, v35, v32
	v_dual_add_f32 v32, 0, v34 :: v_dual_add_f32 v33, 0, v33
	s_and_saveexec_b32 s6, s16
	s_cbranch_execnz .LBB52_1088
; %bb.858:                              ;   in Loop: Header=BB52_3 Depth=1
	s_or_b32 exec_lo, exec_lo, s6
	s_and_saveexec_b32 s6, s17
	s_cbranch_execnz .LBB52_1089
.LBB52_859:                             ;   in Loop: Header=BB52_3 Depth=1
	s_or_b32 exec_lo, exec_lo, s6
	s_and_saveexec_b32 s6, s1
	s_cbranch_execz .LBB52_861
.LBB52_860:                             ;   in Loop: Header=BB52_3 Depth=1
	ds_load_b64 v[34:35], v41 offset:7744
	ds_load_b64 v[36:37], v5 offset:7800
	s_wait_dscnt 0x0
	v_dual_mul_f32 v75, v37, v35 :: v_dual_mul_f32 v35, v36, v35
	s_delay_alu instid0(VALU_DEP_1) | instskip(NEXT) | instid1(VALU_DEP_1)
	v_fmac_f32_e32 v35, v37, v34
	v_dual_fma_f32 v36, v36, v34, -v75 :: v_dual_add_f32 v33, v33, v35
	s_delay_alu instid0(VALU_DEP_1)
	v_add_f32_e32 v32, v32, v36
.LBB52_861:                             ;   in Loop: Header=BB52_3 Depth=1
	s_or_b32 exec_lo, exec_lo, s6
.LBB52_862:                             ;   in Loop: Header=BB52_3 Depth=1
	s_delay_alu instid0(SALU_CYCLE_1)
	s_or_b32 exec_lo, exec_lo, s98
	s_and_saveexec_b32 s6, s47
	s_cbranch_execz .LBB52_864
; %bb.863:                              ;   in Loop: Header=BB52_3 Depth=1
	ds_load_b64 v[34:35], v5 offset:5720
	s_wait_dscnt 0x0
	v_dual_mul_f32 v36, v33, v34 :: v_dual_mul_f32 v76, v33, v35
	s_delay_alu instid0(VALU_DEP_1) | instskip(NEXT) | instid1(VALU_DEP_2)
	v_pk_fma_f32 v[36:37], v[32:33], v[34:35], v[36:37] op_sel:[1,0,0] op_sel_hi:[0,1,0]
	v_pk_fma_f32 v[32:33], v[32:33], v[34:35], v[76:77] op_sel_hi:[1,1,0] neg_lo:[0,0,1] neg_hi:[0,0,1]
	s_delay_alu instid0(VALU_DEP_2) | instskip(NEXT) | instid1(VALU_DEP_1)
	v_mov_b32_e32 v33, v37
	v_pk_add_f32 v[34:35], v[32:33], 0 neg_lo:[1,1] neg_hi:[1,1]
	ds_store_b64 v43, v[34:35]
.LBB52_864:                             ;   in Loop: Header=BB52_3 Depth=1
	s_or_b32 exec_lo, exec_lo, s6
	s_wait_loadcnt_dscnt 0x0
	s_barrier_signal -1
	s_barrier_wait -1
	s_and_saveexec_b32 s6, s48
	s_cbranch_execz .LBB52_866
; %bb.865:                              ;   in Loop: Header=BB52_3 Depth=1
	ds_load_b64 v[34:35], v44 offset:5696
	ds_load_b64 v[36:37], v43
	s_wait_dscnt 0x0
	v_pk_mul_f32 v[76:77], v[36:37], v[34:35] op_sel:[1,1] op_sel_hi:[0,1]
	s_delay_alu instid0(VALU_DEP_1) | instskip(SKIP_1) | instid1(VALU_DEP_2)
	v_pk_fma_f32 v[78:79], v[36:37], v[34:35], v[76:77] op_sel_hi:[1,0,1]
	v_pk_fma_f32 v[34:35], v[36:37], v[34:35], v[76:77] neg_lo:[0,0,1] neg_hi:[0,0,1]
	v_mov_b32_e32 v35, v79
	s_delay_alu instid0(VALU_DEP_1)
	v_pk_add_f32 v[32:33], v[32:33], v[34:35] neg_lo:[0,1] neg_hi:[0,1]
.LBB52_866:                             ;   in Loop: Header=BB52_3 Depth=1
	s_or_b32 exec_lo, exec_lo, s6
	s_barrier_signal -1
	s_barrier_wait -1
	s_and_saveexec_b32 s6, s49
	s_cbranch_execz .LBB52_868
; %bb.867:                              ;   in Loop: Header=BB52_3 Depth=1
	ds_load_b64 v[34:35], v5 offset:5200
	s_wait_dscnt 0x0
	v_pk_mul_f32 v[36:37], v[32:33], v[34:35] op_sel:[1,1] op_sel_hi:[1,0]
	s_delay_alu instid0(VALU_DEP_1) | instskip(SKIP_1) | instid1(VALU_DEP_2)
	v_pk_fma_f32 v[76:77], v[32:33], v[34:35], v[36:37] op_sel_hi:[0,1,1]
	v_pk_fma_f32 v[32:33], v[32:33], v[34:35], v[36:37] neg_lo:[0,0,1] neg_hi:[0,0,1]
	v_mov_b32_e32 v33, v77
	s_delay_alu instid0(VALU_DEP_1)
	v_pk_add_f32 v[34:35], v[32:33], 0 neg_lo:[1,1] neg_hi:[1,1]
	ds_store_b64 v43, v[34:35]
.LBB52_868:                             ;   in Loop: Header=BB52_3 Depth=1
	s_or_b32 exec_lo, exec_lo, s6
	s_wait_dscnt 0x0
	s_barrier_signal -1
	s_barrier_wait -1
	s_and_saveexec_b32 s6, s50
	s_cbranch_execz .LBB52_870
; %bb.869:                              ;   in Loop: Header=BB52_3 Depth=1
	ds_load_b64 v[34:35], v44 offset:5184
	ds_load_b64 v[36:37], v43
	s_wait_dscnt 0x0
	v_pk_mul_f32 v[76:77], v[36:37], v[34:35] op_sel:[1,1] op_sel_hi:[0,1]
	s_delay_alu instid0(VALU_DEP_1) | instskip(SKIP_1) | instid1(VALU_DEP_2)
	v_pk_fma_f32 v[78:79], v[36:37], v[34:35], v[76:77] op_sel_hi:[1,0,1]
	v_pk_fma_f32 v[34:35], v[36:37], v[34:35], v[76:77] neg_lo:[0,0,1] neg_hi:[0,0,1]
	v_mov_b32_e32 v35, v79
	s_delay_alu instid0(VALU_DEP_1)
	v_pk_add_f32 v[32:33], v[32:33], v[34:35] neg_lo:[0,1] neg_hi:[0,1]
.LBB52_870:                             ;   in Loop: Header=BB52_3 Depth=1
	s_or_b32 exec_lo, exec_lo, s6
	s_barrier_signal -1
	s_barrier_wait -1
	s_and_saveexec_b32 s6, s51
	s_cbranch_execz .LBB52_872
; %bb.871:                              ;   in Loop: Header=BB52_3 Depth=1
	ds_load_b64 v[34:35], v5 offset:4680
	s_wait_dscnt 0x0
	v_pk_mul_f32 v[36:37], v[32:33], v[34:35] op_sel:[1,1] op_sel_hi:[1,0]
	s_delay_alu instid0(VALU_DEP_1) | instskip(SKIP_1) | instid1(VALU_DEP_2)
	v_pk_fma_f32 v[76:77], v[32:33], v[34:35], v[36:37] op_sel_hi:[0,1,1]
	v_pk_fma_f32 v[32:33], v[32:33], v[34:35], v[36:37] neg_lo:[0,0,1] neg_hi:[0,0,1]
	v_mov_b32_e32 v33, v77
	s_delay_alu instid0(VALU_DEP_1)
	v_pk_add_f32 v[34:35], v[32:33], 0 neg_lo:[1,1] neg_hi:[1,1]
	ds_store_b64 v43, v[34:35]
.LBB52_872:                             ;   in Loop: Header=BB52_3 Depth=1
	s_or_b32 exec_lo, exec_lo, s6
	s_wait_dscnt 0x0
	;; [unrolled: 35-line block ×3, first 2 shown]
	s_barrier_signal -1
	s_barrier_wait -1
	s_barrier_signal -1
	s_barrier_wait -1
	s_and_saveexec_b32 s6, s2
; %bb.877:                              ;   in Loop: Header=BB52_3 Depth=1
	ds_store_b64 v46, v[32:33] offset:7744
; %bb.878:                              ;   in Loop: Header=BB52_3 Depth=1
	s_or_b32 exec_lo, exec_lo, s6
	s_wait_dscnt 0x0
	s_barrier_signal -1
	s_barrier_wait -1
	s_barrier_signal -1
	s_barrier_wait -1
	s_and_saveexec_b32 s6, s14
	s_cbranch_execz .LBB52_880
; %bb.879:                              ;   in Loop: Header=BB52_3 Depth=1
	v_add_nc_u32_e64 v32, 0x50, 0
	ds_load_b64 v[36:37], v5 offset:5720
	ds_load_2addr_stride64_b64 v[32:35], v32 offset0:10 offset1:11
	s_wait_dscnt 0x0
	v_dual_mul_f32 v75, v37, v33 :: v_dual_mul_f32 v76, v36, v33
	s_delay_alu instid0(VALU_DEP_1) | instskip(NEXT) | instid1(VALU_DEP_1)
	v_xor_b32_e32 v78, 0x80000000, v75
	v_dual_fmac_f32 v76, v37, v32 :: v_dual_fmac_f32 v78, v36, v32
	s_delay_alu instid0(VALU_DEP_1) | instskip(NEXT) | instid1(VALU_DEP_1)
	v_pk_mul_f32 v[32:33], v[76:77], v[34:35] op_sel:[0,1] op_sel_hi:[0,0]
	v_pk_fma_f32 v[36:37], v[78:79], v[34:35], v[32:33] op_sel_hi:[0,1,1]
	v_pk_fma_f32 v[32:33], v[78:79], v[34:35], v[32:33] neg_lo:[0,0,1] neg_hi:[0,0,1]
	s_delay_alu instid0(VALU_DEP_2)
	v_mov_b32_e32 v33, v37
	ds_store_b64 v5, v[32:33] offset:5712
.LBB52_880:                             ;   in Loop: Header=BB52_3 Depth=1
	s_or_b32 exec_lo, exec_lo, s6
	v_dual_mov_b32 v32, 0 :: v_dual_mov_b32 v33, 0
	s_wait_dscnt 0x0
	s_barrier_signal -1
	s_barrier_wait -1
	global_wb scope:SCOPE_DEV
	s_wait_storecnt 0x0
	global_inv scope:SCOPE_DEV
	s_and_saveexec_b32 s6, s1
	s_cbranch_execz .LBB52_884
; %bb.881:                              ;   in Loop: Header=BB52_3 Depth=1
	ds_load_b64 v[32:33], v39 offset:5184
	ds_load_b64 v[34:35], v40 offset:5712
	s_wait_dscnt 0x0
	v_pk_mul_f32 v[36:37], v[34:35], v[32:33] op_sel:[1,1] op_sel_hi:[0,1]
	s_delay_alu instid0(VALU_DEP_1) | instskip(SKIP_1) | instid1(VALU_DEP_2)
	v_pk_fma_f32 v[76:77], v[34:35], v[32:33], v[36:37] op_sel_hi:[1,0,1]
	v_pk_fma_f32 v[32:33], v[34:35], v[32:33], v[36:37] neg_lo:[0,0,1] neg_hi:[0,0,1]
	v_mov_b32_e32 v33, v77
	s_delay_alu instid0(VALU_DEP_1)
	v_pk_add_f32 v[32:33], v[32:33], 0 op_sel_hi:[1,0]
	s_and_saveexec_b32 s13, s15
	s_cbranch_execz .LBB52_883
; %bb.882:                              ;   in Loop: Header=BB52_3 Depth=1
	ds_load_b64 v[34:35], v41 offset:5696
	ds_load_b64 v[36:37], v5 offset:5720
	s_wait_dscnt 0x0
	v_pk_mul_f32 v[76:77], v[36:37], v[34:35] op_sel:[1,1] op_sel_hi:[0,1]
	s_delay_alu instid0(VALU_DEP_1) | instskip(SKIP_1) | instid1(VALU_DEP_2)
	v_pk_fma_f32 v[78:79], v[36:37], v[34:35], v[76:77] op_sel_hi:[1,0,1]
	v_pk_fma_f32 v[34:35], v[36:37], v[34:35], v[76:77] neg_lo:[0,0,1] neg_hi:[0,0,1]
	v_mov_b32_e32 v35, v79
	s_delay_alu instid0(VALU_DEP_1)
	v_pk_add_f32 v[32:33], v[32:33], v[34:35]
.LBB52_883:                             ;   in Loop: Header=BB52_3 Depth=1
	s_or_b32 exec_lo, exec_lo, s13
.LBB52_884:                             ;   in Loop: Header=BB52_3 Depth=1
	s_delay_alu instid0(SALU_CYCLE_1)
	s_or_b32 exec_lo, exec_lo, s6
	s_and_saveexec_b32 s6, s45
	s_cbranch_execz .LBB52_886
; %bb.885:                              ;   in Loop: Header=BB52_3 Depth=1
	ds_load_b64 v[34:35], v5 offset:4680
	s_wait_dscnt 0x0
	v_pk_mul_f32 v[36:37], v[32:33], v[34:35] op_sel:[1,1] op_sel_hi:[1,0]
	s_delay_alu instid0(VALU_DEP_1) | instskip(SKIP_1) | instid1(VALU_DEP_2)
	v_pk_fma_f32 v[76:77], v[32:33], v[34:35], v[36:37] op_sel_hi:[0,1,1]
	v_pk_fma_f32 v[32:33], v[32:33], v[34:35], v[36:37] neg_lo:[0,0,1] neg_hi:[0,0,1]
	v_mov_b32_e32 v33, v77
	s_delay_alu instid0(VALU_DEP_1)
	v_pk_add_f32 v[34:35], v[32:33], 0 neg_lo:[1,1] neg_hi:[1,1]
	ds_store_b64 v3, v[34:35]
.LBB52_886:                             ;   in Loop: Header=BB52_3 Depth=1
	s_or_b32 exec_lo, exec_lo, s6
	s_wait_loadcnt_dscnt 0x0
	s_barrier_signal -1
	s_barrier_wait -1
	s_and_saveexec_b32 s6, s46
	s_cbranch_execz .LBB52_888
; %bb.887:                              ;   in Loop: Header=BB52_3 Depth=1
	ds_load_b64 v[34:35], v5 offset:4672
	ds_load_b64 v[36:37], v3
	s_wait_dscnt 0x0
	v_pk_mul_f32 v[76:77], v[36:37], v[34:35] op_sel:[1,1] op_sel_hi:[0,1]
	s_delay_alu instid0(VALU_DEP_1) | instskip(SKIP_1) | instid1(VALU_DEP_2)
	v_pk_fma_f32 v[78:79], v[36:37], v[34:35], v[76:77] op_sel_hi:[1,0,1]
	v_pk_fma_f32 v[34:35], v[36:37], v[34:35], v[76:77] neg_lo:[0,0,1] neg_hi:[0,0,1]
	v_mov_b32_e32 v35, v79
	s_delay_alu instid0(VALU_DEP_1)
	v_pk_add_f32 v[32:33], v[32:33], v[34:35] neg_lo:[0,1] neg_hi:[0,1]
.LBB52_888:                             ;   in Loop: Header=BB52_3 Depth=1
	s_or_b32 exec_lo, exec_lo, s6
	s_barrier_signal -1
	s_barrier_wait -1
	s_and_saveexec_b32 s6, s46
	s_cbranch_execz .LBB52_890
; %bb.889:                              ;   in Loop: Header=BB52_3 Depth=1
	ds_load_b64 v[34:35], v5 offset:4160
	s_wait_dscnt 0x0
	v_pk_mul_f32 v[36:37], v[32:33], v[34:35] op_sel:[1,1] op_sel_hi:[1,0]
	s_delay_alu instid0(VALU_DEP_1) | instskip(SKIP_1) | instid1(VALU_DEP_2)
	v_pk_fma_f32 v[76:77], v[32:33], v[34:35], v[36:37] op_sel_hi:[0,1,1]
	v_pk_fma_f32 v[32:33], v[32:33], v[34:35], v[36:37] neg_lo:[0,0,1] neg_hi:[0,0,1]
	v_mov_b32_e32 v33, v77
	s_delay_alu instid0(VALU_DEP_1)
	v_pk_add_f32 v[34:35], v[32:33], 0 neg_lo:[1,1] neg_hi:[1,1]
	ds_store_b64 v3, v[34:35]
.LBB52_890:                             ;   in Loop: Header=BB52_3 Depth=1
	s_or_b32 exec_lo, exec_lo, s6
	s_wait_dscnt 0x0
	s_barrier_signal -1
	s_barrier_wait -1
	s_barrier_signal -1
	s_barrier_wait -1
	s_and_saveexec_b32 s6, s1
; %bb.891:                              ;   in Loop: Header=BB52_3 Depth=1
	ds_store_b64 v42, v[32:33] offset:5696
; %bb.892:                              ;   in Loop: Header=BB52_3 Depth=1
	s_or_b32 exec_lo, exec_lo, s6
	s_wait_dscnt 0x0
	s_barrier_signal -1
	s_barrier_wait -1
	s_barrier_signal -1
	s_barrier_wait -1
	s_and_saveexec_b32 s6, s14
	s_cbranch_execz .LBB52_894
; %bb.893:                              ;   in Loop: Header=BB52_3 Depth=1
	v_add_nc_u32_e64 v32, 64, 0
	ds_load_b64 v[36:37], v5 offset:4680
	ds_load_2addr_stride64_b64 v[32:35], v32 offset0:8 offset1:9
	s_wait_dscnt 0x0
	v_dual_mul_f32 v75, v37, v33 :: v_dual_mul_f32 v76, v36, v33
	s_delay_alu instid0(VALU_DEP_1) | instskip(NEXT) | instid1(VALU_DEP_1)
	v_xor_b32_e32 v78, 0x80000000, v75
	v_dual_fmac_f32 v76, v37, v32 :: v_dual_fmac_f32 v78, v36, v32
	s_delay_alu instid0(VALU_DEP_1) | instskip(NEXT) | instid1(VALU_DEP_1)
	v_pk_mul_f32 v[32:33], v[76:77], v[34:35] op_sel:[0,1] op_sel_hi:[0,0]
	v_pk_fma_f32 v[36:37], v[78:79], v[34:35], v[32:33] op_sel_hi:[0,1,1]
	v_pk_fma_f32 v[32:33], v[78:79], v[34:35], v[32:33] neg_lo:[0,0,1] neg_hi:[0,0,1]
	s_delay_alu instid0(VALU_DEP_2)
	v_mov_b32_e32 v33, v37
	ds_store_b64 v5, v[32:33] offset:4672
.LBB52_894:                             ;   in Loop: Header=BB52_3 Depth=1
	s_or_b32 exec_lo, exec_lo, s6
	v_mov_b64_e32 v[32:33], 0
	s_wait_dscnt 0x0
	s_barrier_signal -1
	s_barrier_wait -1
	global_wb scope:SCOPE_DEV
	s_wait_storecnt 0x0
	global_inv scope:SCOPE_DEV
	s_and_saveexec_b32 s98, s3
	s_cbranch_execz .LBB52_904
; %bb.895:                              ;   in Loop: Header=BB52_3 Depth=1
	ds_load_b64 v[32:33], v48 offset:4096
	ds_load_b64 v[34:35], v49 offset:7744
	s_wait_dscnt 0x0
	v_dual_mul_f32 v36, v35, v33 :: v_dual_mul_f32 v33, v34, v33
	s_delay_alu instid0(VALU_DEP_1) | instskip(NEXT) | instid1(VALU_DEP_1)
	v_dual_fma_f32 v34, v34, v32, -v36 :: v_dual_fmac_f32 v33, v35, v32
	v_dual_add_f32 v32, 0, v34 :: v_dual_add_f32 v33, 0, v33
	s_and_saveexec_b32 s6, s18
	s_cbranch_execnz .LBB52_1090
; %bb.896:                              ;   in Loop: Header=BB52_3 Depth=1
	s_or_b32 exec_lo, exec_lo, s6
	s_and_saveexec_b32 s6, s19
	s_cbranch_execnz .LBB52_1091
.LBB52_897:                             ;   in Loop: Header=BB52_3 Depth=1
	s_or_b32 exec_lo, exec_lo, s6
	s_and_saveexec_b32 s6, s20
	s_cbranch_execnz .LBB52_1092
.LBB52_898:                             ;   in Loop: Header=BB52_3 Depth=1
	s_or_b32 exec_lo, exec_lo, s6
	s_and_saveexec_b32 s6, s21
	s_cbranch_execnz .LBB52_1093
.LBB52_899:                             ;   in Loop: Header=BB52_3 Depth=1
	s_or_b32 exec_lo, exec_lo, s6
	s_and_saveexec_b32 s6, s22
	s_cbranch_execnz .LBB52_1094
.LBB52_900:                             ;   in Loop: Header=BB52_3 Depth=1
	s_or_b32 exec_lo, exec_lo, s6
	s_and_saveexec_b32 s6, s2
	s_cbranch_execnz .LBB52_1095
.LBB52_901:                             ;   in Loop: Header=BB52_3 Depth=1
	s_or_b32 exec_lo, exec_lo, s6
	s_and_saveexec_b32 s6, s17
	s_cbranch_execz .LBB52_903
.LBB52_902:                             ;   in Loop: Header=BB52_3 Depth=1
	ds_load_b64 v[34:35], v41 offset:7680
	ds_load_b64 v[36:37], v5 offset:7800
	s_wait_dscnt 0x0
	v_dual_mul_f32 v75, v37, v35 :: v_dual_mul_f32 v77, v36, v35
	s_delay_alu instid0(VALU_DEP_1) | instskip(NEXT) | instid1(VALU_DEP_1)
	v_dual_fma_f32 v76, v36, v34, -v75 :: v_dual_fmac_f32 v77, v37, v34
	v_pk_add_f32 v[32:33], v[32:33], v[76:77]
.LBB52_903:                             ;   in Loop: Header=BB52_3 Depth=1
	s_or_b32 exec_lo, exec_lo, s6
.LBB52_904:                             ;   in Loop: Header=BB52_3 Depth=1
	s_delay_alu instid0(SALU_CYCLE_1)
	s_or_b32 exec_lo, exec_lo, s98
	s_and_saveexec_b32 s6, s53
	s_cbranch_execz .LBB52_906
; %bb.905:                              ;   in Loop: Header=BB52_3 Depth=1
	ds_load_b64 v[34:35], v5 offset:3640
	s_wait_dscnt 0x0
	v_pk_mul_f32 v[36:37], v[32:33], v[34:35] op_sel:[1,1] op_sel_hi:[1,0]
	s_delay_alu instid0(VALU_DEP_1) | instskip(SKIP_1) | instid1(VALU_DEP_2)
	v_pk_fma_f32 v[76:77], v[32:33], v[34:35], v[36:37] op_sel_hi:[0,1,1]
	v_pk_fma_f32 v[32:33], v[32:33], v[34:35], v[36:37] neg_lo:[0,0,1] neg_hi:[0,0,1]
	v_mov_b32_e32 v33, v77
	s_delay_alu instid0(VALU_DEP_1)
	v_pk_add_f32 v[34:35], v[32:33], 0 neg_lo:[1,1] neg_hi:[1,1]
	ds_store_b64 v47, v[34:35]
.LBB52_906:                             ;   in Loop: Header=BB52_3 Depth=1
	s_or_b32 exec_lo, exec_lo, s6
	s_wait_loadcnt_dscnt 0x0
	s_barrier_signal -1
	s_barrier_wait -1
	s_and_saveexec_b32 s6, s54
	s_cbranch_execz .LBB52_908
; %bb.907:                              ;   in Loop: Header=BB52_3 Depth=1
	ds_load_b64 v[34:35], v48 offset:3584
	ds_load_b64 v[36:37], v47
	s_wait_dscnt 0x0
	v_pk_mul_f32 v[76:77], v[36:37], v[34:35] op_sel:[1,1] op_sel_hi:[0,1]
	s_delay_alu instid0(VALU_DEP_1) | instskip(SKIP_1) | instid1(VALU_DEP_2)
	v_pk_fma_f32 v[78:79], v[36:37], v[34:35], v[76:77] op_sel_hi:[1,0,1]
	v_pk_fma_f32 v[34:35], v[36:37], v[34:35], v[76:77] neg_lo:[0,0,1] neg_hi:[0,0,1]
	v_mov_b32_e32 v35, v79
	s_delay_alu instid0(VALU_DEP_1)
	v_pk_add_f32 v[32:33], v[32:33], v[34:35] neg_lo:[0,1] neg_hi:[0,1]
.LBB52_908:                             ;   in Loop: Header=BB52_3 Depth=1
	s_or_b32 exec_lo, exec_lo, s6
	s_barrier_signal -1
	s_barrier_wait -1
	s_and_saveexec_b32 s6, s55
	s_cbranch_execz .LBB52_910
; %bb.909:                              ;   in Loop: Header=BB52_3 Depth=1
	ds_load_b64 v[34:35], v5 offset:3120
	s_wait_dscnt 0x0
	v_pk_mul_f32 v[36:37], v[32:33], v[34:35] op_sel:[1,1] op_sel_hi:[1,0]
	s_delay_alu instid0(VALU_DEP_1) | instskip(SKIP_1) | instid1(VALU_DEP_2)
	v_pk_fma_f32 v[76:77], v[32:33], v[34:35], v[36:37] op_sel_hi:[0,1,1]
	v_pk_fma_f32 v[32:33], v[32:33], v[34:35], v[36:37] neg_lo:[0,0,1] neg_hi:[0,0,1]
	v_mov_b32_e32 v33, v77
	s_delay_alu instid0(VALU_DEP_1)
	v_pk_add_f32 v[34:35], v[32:33], 0 neg_lo:[1,1] neg_hi:[1,1]
	ds_store_b64 v47, v[34:35]
.LBB52_910:                             ;   in Loop: Header=BB52_3 Depth=1
	s_or_b32 exec_lo, exec_lo, s6
	s_wait_dscnt 0x0
	s_barrier_signal -1
	s_barrier_wait -1
	s_and_saveexec_b32 s6, s56
	s_cbranch_execz .LBB52_912
; %bb.911:                              ;   in Loop: Header=BB52_3 Depth=1
	ds_load_b64 v[34:35], v48 offset:3072
	ds_load_b64 v[36:37], v47
	s_wait_dscnt 0x0
	v_pk_mul_f32 v[76:77], v[36:37], v[34:35] op_sel:[1,1] op_sel_hi:[0,1]
	s_delay_alu instid0(VALU_DEP_1) | instskip(SKIP_1) | instid1(VALU_DEP_2)
	v_pk_fma_f32 v[78:79], v[36:37], v[34:35], v[76:77] op_sel_hi:[1,0,1]
	v_pk_fma_f32 v[34:35], v[36:37], v[34:35], v[76:77] neg_lo:[0,0,1] neg_hi:[0,0,1]
	v_mov_b32_e32 v35, v79
	s_delay_alu instid0(VALU_DEP_1)
	v_pk_add_f32 v[32:33], v[32:33], v[34:35] neg_lo:[0,1] neg_hi:[0,1]
.LBB52_912:                             ;   in Loop: Header=BB52_3 Depth=1
	s_or_b32 exec_lo, exec_lo, s6
	s_barrier_signal -1
	s_barrier_wait -1
	s_and_saveexec_b32 s6, s57
	s_cbranch_execz .LBB52_914
; %bb.913:                              ;   in Loop: Header=BB52_3 Depth=1
	ds_load_b64 v[34:35], v5 offset:2600
	s_wait_dscnt 0x0
	v_pk_mul_f32 v[36:37], v[32:33], v[34:35] op_sel:[1,1] op_sel_hi:[1,0]
	s_delay_alu instid0(VALU_DEP_1) | instskip(SKIP_1) | instid1(VALU_DEP_2)
	v_pk_fma_f32 v[76:77], v[32:33], v[34:35], v[36:37] op_sel_hi:[0,1,1]
	v_pk_fma_f32 v[32:33], v[32:33], v[34:35], v[36:37] neg_lo:[0,0,1] neg_hi:[0,0,1]
	v_mov_b32_e32 v33, v77
	s_delay_alu instid0(VALU_DEP_1)
	v_pk_add_f32 v[34:35], v[32:33], 0 neg_lo:[1,1] neg_hi:[1,1]
	ds_store_b64 v47, v[34:35]
.LBB52_914:                             ;   in Loop: Header=BB52_3 Depth=1
	s_or_b32 exec_lo, exec_lo, s6
	s_wait_dscnt 0x0
	s_barrier_signal -1
	s_barrier_wait -1
	s_and_saveexec_b32 s6, s58
	s_cbranch_execz .LBB52_916
; %bb.915:                              ;   in Loop: Header=BB52_3 Depth=1
	ds_load_b64 v[34:35], v48 offset:2560
	ds_load_b64 v[36:37], v47
	s_wait_dscnt 0x0
	v_pk_mul_f32 v[76:77], v[36:37], v[34:35] op_sel:[1,1] op_sel_hi:[0,1]
	s_delay_alu instid0(VALU_DEP_1) | instskip(SKIP_1) | instid1(VALU_DEP_2)
	v_pk_fma_f32 v[78:79], v[36:37], v[34:35], v[76:77] op_sel_hi:[1,0,1]
	v_pk_fma_f32 v[34:35], v[36:37], v[34:35], v[76:77] neg_lo:[0,0,1] neg_hi:[0,0,1]
	v_mov_b32_e32 v35, v79
	s_delay_alu instid0(VALU_DEP_1)
	v_pk_add_f32 v[32:33], v[32:33], v[34:35] neg_lo:[0,1] neg_hi:[0,1]
.LBB52_916:                             ;   in Loop: Header=BB52_3 Depth=1
	s_or_b32 exec_lo, exec_lo, s6
	s_barrier_signal -1
	s_barrier_wait -1
	s_and_saveexec_b32 s6, s59
	s_cbranch_execz .LBB52_918
; %bb.917:                              ;   in Loop: Header=BB52_3 Depth=1
	ds_load_b64 v[34:35], v5 offset:2080
	s_wait_dscnt 0x0
	v_pk_mul_f32 v[36:37], v[32:33], v[34:35]
	v_pk_mul_f32 v[32:33], v[32:33], v[34:35] op_sel:[1,0] op_sel_hi:[0,1]
	s_delay_alu instid0(VALU_DEP_1) | instskip(NEXT) | instid1(VALU_DEP_3)
	v_dual_mov_b32 v34, v36 :: v_dual_mov_b32 v35, v32
	v_mov_b32_e32 v32, v37
	s_delay_alu instid0(VALU_DEP_1) | instskip(SKIP_1) | instid1(VALU_DEP_2)
	v_pk_add_f32 v[36:37], v[34:35], v[32:33]
	v_pk_add_f32 v[32:33], v[34:35], v[32:33] neg_lo:[0,1] neg_hi:[0,1]
	v_mov_b32_e32 v33, v37
	s_delay_alu instid0(VALU_DEP_1)
	v_pk_add_f32 v[34:35], v[32:33], 0 neg_lo:[1,1] neg_hi:[1,1]
	ds_store_b64 v47, v[34:35]
.LBB52_918:                             ;   in Loop: Header=BB52_3 Depth=1
	s_or_b32 exec_lo, exec_lo, s6
	s_wait_dscnt 0x0
	s_barrier_signal -1
	s_barrier_wait -1
	s_and_saveexec_b32 s6, s60
	s_cbranch_execz .LBB52_920
; %bb.919:                              ;   in Loop: Header=BB52_3 Depth=1
	ds_load_b64 v[34:35], v48 offset:2048
	ds_load_b64 v[36:37], v47
	s_wait_dscnt 0x0
	v_dual_mul_f32 v75, v37, v35 :: v_dual_mul_f32 v35, v36, v35
	s_delay_alu instid0(VALU_DEP_1) | instskip(NEXT) | instid1(VALU_DEP_1)
	v_fmac_f32_e32 v35, v37, v34
	v_dual_fma_f32 v36, v36, v34, -v75 :: v_dual_sub_f32 v33, v33, v35
	s_delay_alu instid0(VALU_DEP_1)
	v_sub_f32_e32 v32, v32, v36
.LBB52_920:                             ;   in Loop: Header=BB52_3 Depth=1
	s_or_b32 exec_lo, exec_lo, s6
	s_barrier_signal -1
	s_barrier_wait -1
	s_and_saveexec_b32 s6, s61
	s_cbranch_execz .LBB52_922
; %bb.921:                              ;   in Loop: Header=BB52_3 Depth=1
	ds_load_b64 v[34:35], v5 offset:1560
	s_wait_dscnt 0x0
	v_dual_mul_f32 v36, v33, v34 :: v_dual_mul_f32 v76, v33, v35
	s_delay_alu instid0(VALU_DEP_1) | instskip(NEXT) | instid1(VALU_DEP_2)
	v_pk_fma_f32 v[36:37], v[32:33], v[34:35], v[36:37] op_sel:[1,0,0] op_sel_hi:[0,1,0]
	v_pk_fma_f32 v[32:33], v[32:33], v[34:35], v[76:77] op_sel_hi:[1,1,0] neg_lo:[0,0,1] neg_hi:[0,0,1]
	s_delay_alu instid0(VALU_DEP_2) | instskip(NEXT) | instid1(VALU_DEP_1)
	v_mov_b32_e32 v33, v37
	v_pk_add_f32 v[34:35], v[32:33], 0 neg_lo:[1,1] neg_hi:[1,1]
	ds_store_b64 v47, v[34:35]
.LBB52_922:                             ;   in Loop: Header=BB52_3 Depth=1
	s_or_b32 exec_lo, exec_lo, s6
	s_wait_dscnt 0x0
	s_barrier_signal -1
	s_barrier_wait -1
	s_and_saveexec_b32 s6, s62
	s_cbranch_execz .LBB52_924
; %bb.923:                              ;   in Loop: Header=BB52_3 Depth=1
	ds_load_b64 v[34:35], v48 offset:1536
	ds_load_b64 v[36:37], v47
	s_wait_dscnt 0x0
	v_pk_mul_f32 v[76:77], v[36:37], v[34:35] op_sel:[1,1] op_sel_hi:[0,1]
	s_delay_alu instid0(VALU_DEP_1) | instskip(SKIP_1) | instid1(VALU_DEP_2)
	v_pk_fma_f32 v[78:79], v[36:37], v[34:35], v[76:77] op_sel_hi:[1,0,1]
	v_pk_fma_f32 v[34:35], v[36:37], v[34:35], v[76:77] neg_lo:[0,0,1] neg_hi:[0,0,1]
	v_mov_b32_e32 v35, v79
	s_delay_alu instid0(VALU_DEP_1)
	v_pk_add_f32 v[32:33], v[32:33], v[34:35] neg_lo:[0,1] neg_hi:[0,1]
.LBB52_924:                             ;   in Loop: Header=BB52_3 Depth=1
	s_or_b32 exec_lo, exec_lo, s6
	s_barrier_signal -1
	s_barrier_wait -1
	s_and_saveexec_b32 s6, s63
	s_cbranch_execz .LBB52_926
; %bb.925:                              ;   in Loop: Header=BB52_3 Depth=1
	ds_load_b64 v[34:35], v5 offset:1040
	s_wait_dscnt 0x0
	v_pk_mul_f32 v[36:37], v[32:33], v[34:35] op_sel:[1,1] op_sel_hi:[1,0]
	s_delay_alu instid0(VALU_DEP_1) | instskip(SKIP_1) | instid1(VALU_DEP_2)
	v_pk_fma_f32 v[76:77], v[32:33], v[34:35], v[36:37] op_sel_hi:[0,1,1]
	v_pk_fma_f32 v[32:33], v[32:33], v[34:35], v[36:37] neg_lo:[0,0,1] neg_hi:[0,0,1]
	v_mov_b32_e32 v33, v77
	s_delay_alu instid0(VALU_DEP_1)
	v_pk_add_f32 v[34:35], v[32:33], 0 neg_lo:[1,1] neg_hi:[1,1]
	ds_store_b64 v47, v[34:35]
.LBB52_926:                             ;   in Loop: Header=BB52_3 Depth=1
	s_or_b32 exec_lo, exec_lo, s6
	s_wait_dscnt 0x0
	s_barrier_signal -1
	s_barrier_wait -1
	s_and_saveexec_b32 s6, s64
	s_cbranch_execz .LBB52_928
; %bb.927:                              ;   in Loop: Header=BB52_3 Depth=1
	ds_load_b64 v[34:35], v48 offset:1024
	ds_load_b64 v[36:37], v47
	s_wait_dscnt 0x0
	v_pk_mul_f32 v[76:77], v[36:37], v[34:35] op_sel:[1,1] op_sel_hi:[0,1]
	s_delay_alu instid0(VALU_DEP_1) | instskip(SKIP_1) | instid1(VALU_DEP_2)
	v_pk_fma_f32 v[78:79], v[36:37], v[34:35], v[76:77] op_sel_hi:[1,0,1]
	v_pk_fma_f32 v[34:35], v[36:37], v[34:35], v[76:77] neg_lo:[0,0,1] neg_hi:[0,0,1]
	v_mov_b32_e32 v35, v79
	s_delay_alu instid0(VALU_DEP_1)
	v_pk_add_f32 v[32:33], v[32:33], v[34:35] neg_lo:[0,1] neg_hi:[0,1]
.LBB52_928:                             ;   in Loop: Header=BB52_3 Depth=1
	s_or_b32 exec_lo, exec_lo, s6
	s_barrier_signal -1
	s_barrier_wait -1
	s_and_saveexec_b32 s6, s65
	s_cbranch_execz .LBB52_930
; %bb.929:                              ;   in Loop: Header=BB52_3 Depth=1
	ds_load_b64 v[34:35], v5 offset:520
	s_wait_dscnt 0x0
	v_pk_mul_f32 v[36:37], v[32:33], v[34:35] op_sel:[1,1] op_sel_hi:[1,0]
	s_delay_alu instid0(VALU_DEP_1) | instskip(SKIP_1) | instid1(VALU_DEP_2)
	v_pk_fma_f32 v[76:77], v[32:33], v[34:35], v[36:37] op_sel_hi:[0,1,1]
	v_pk_fma_f32 v[32:33], v[32:33], v[34:35], v[36:37] neg_lo:[0,0,1] neg_hi:[0,0,1]
	v_mov_b32_e32 v33, v77
	s_delay_alu instid0(VALU_DEP_1)
	v_pk_add_f32 v[34:35], v[32:33], 0 neg_lo:[1,1] neg_hi:[1,1]
	ds_store_b64 v47, v[34:35]
.LBB52_930:                             ;   in Loop: Header=BB52_3 Depth=1
	s_or_b32 exec_lo, exec_lo, s6
	s_wait_dscnt 0x0
	s_barrier_signal -1
	s_barrier_wait -1
	s_and_saveexec_b32 s6, s66
	s_cbranch_execz .LBB52_932
; %bb.931:                              ;   in Loop: Header=BB52_3 Depth=1
	ds_load_b64 v[34:35], v5 offset:512
	ds_load_b64 v[36:37], v47
	s_wait_dscnt 0x0
	v_pk_mul_f32 v[76:77], v[36:37], v[34:35] op_sel:[1,1] op_sel_hi:[0,1]
	s_delay_alu instid0(VALU_DEP_1) | instskip(SKIP_1) | instid1(VALU_DEP_2)
	v_pk_fma_f32 v[78:79], v[36:37], v[34:35], v[76:77] op_sel_hi:[1,0,1]
	v_pk_fma_f32 v[34:35], v[36:37], v[34:35], v[76:77] neg_lo:[0,0,1] neg_hi:[0,0,1]
	v_mov_b32_e32 v35, v79
	s_delay_alu instid0(VALU_DEP_1)
	v_pk_add_f32 v[32:33], v[32:33], v[34:35] neg_lo:[0,1] neg_hi:[0,1]
.LBB52_932:                             ;   in Loop: Header=BB52_3 Depth=1
	s_or_b32 exec_lo, exec_lo, s6
	s_barrier_signal -1
	s_barrier_wait -1
	s_and_saveexec_b32 s6, s66
	s_cbranch_execz .LBB52_934
; %bb.933:                              ;   in Loop: Header=BB52_3 Depth=1
	ds_load_b64 v[34:35], v5
	s_wait_dscnt 0x0
	v_pk_mul_f32 v[36:37], v[32:33], v[34:35] op_sel:[1,1] op_sel_hi:[1,0]
	s_delay_alu instid0(VALU_DEP_1) | instskip(SKIP_1) | instid1(VALU_DEP_2)
	v_pk_fma_f32 v[76:77], v[32:33], v[34:35], v[36:37] op_sel_hi:[0,1,1]
	v_pk_fma_f32 v[32:33], v[32:33], v[34:35], v[36:37] neg_lo:[0,0,1] neg_hi:[0,0,1]
	v_mov_b32_e32 v33, v77
	s_delay_alu instid0(VALU_DEP_1)
	v_pk_add_f32 v[34:35], v[32:33], 0 neg_lo:[1,1] neg_hi:[1,1]
	ds_store_b64 v47, v[34:35]
.LBB52_934:                             ;   in Loop: Header=BB52_3 Depth=1
	s_or_b32 exec_lo, exec_lo, s6
	s_wait_dscnt 0x0
	s_barrier_signal -1
	s_barrier_wait -1
	s_barrier_signal -1
	s_barrier_wait -1
	s_and_saveexec_b32 s6, s3
; %bb.935:                              ;   in Loop: Header=BB52_3 Depth=1
	ds_store_b64 v50, v[32:33] offset:7680
; %bb.936:                              ;   in Loop: Header=BB52_3 Depth=1
	s_or_b32 exec_lo, exec_lo, s6
	s_wait_dscnt 0x0
	s_barrier_signal -1
	s_barrier_wait -1
	s_barrier_signal -1
	s_barrier_wait -1
	s_and_saveexec_b32 s6, s14
	s_cbranch_execz .LBB52_938
; %bb.937:                              ;   in Loop: Header=BB52_3 Depth=1
	v_add_nc_u32_e64 v32, 48, 0
	ds_load_b64 v[36:37], v5 offset:3640
	ds_load_2addr_stride64_b64 v[32:35], v32 offset0:6 offset1:7
	s_wait_dscnt 0x0
	v_dual_mul_f32 v75, v37, v33 :: v_dual_mul_f32 v76, v36, v33
	s_delay_alu instid0(VALU_DEP_1) | instskip(NEXT) | instid1(VALU_DEP_1)
	v_xor_b32_e32 v78, 0x80000000, v75
	v_dual_fmac_f32 v76, v37, v32 :: v_dual_fmac_f32 v78, v36, v32
	s_delay_alu instid0(VALU_DEP_1) | instskip(NEXT) | instid1(VALU_DEP_1)
	v_pk_mul_f32 v[32:33], v[76:77], v[34:35] op_sel:[0,1] op_sel_hi:[0,0]
	v_pk_fma_f32 v[36:37], v[78:79], v[34:35], v[32:33] op_sel_hi:[0,1,1]
	v_pk_fma_f32 v[32:33], v[78:79], v[34:35], v[32:33] neg_lo:[0,0,1] neg_hi:[0,0,1]
	s_delay_alu instid0(VALU_DEP_2)
	v_mov_b32_e32 v33, v37
	ds_store_b64 v5, v[32:33] offset:3632
.LBB52_938:                             ;   in Loop: Header=BB52_3 Depth=1
	s_or_b32 exec_lo, exec_lo, s6
	v_dual_mov_b32 v32, 0 :: v_dual_mov_b32 v33, 0
	s_wait_dscnt 0x0
	s_barrier_signal -1
	s_barrier_wait -1
	global_wb scope:SCOPE_DEV
	s_wait_storecnt 0x0
	global_inv scope:SCOPE_DEV
	s_and_saveexec_b32 s6, s1
	s_cbranch_execz .LBB52_942
; %bb.939:                              ;   in Loop: Header=BB52_3 Depth=1
	ds_load_b64 v[32:33], v39 offset:3104
	ds_load_b64 v[34:35], v40 offset:3632
	s_wait_dscnt 0x0
	v_pk_mul_f32 v[36:37], v[34:35], v[32:33] op_sel:[1,1] op_sel_hi:[0,1]
	s_delay_alu instid0(VALU_DEP_1) | instskip(SKIP_1) | instid1(VALU_DEP_2)
	v_pk_fma_f32 v[76:77], v[34:35], v[32:33], v[36:37] op_sel_hi:[1,0,1]
	v_pk_fma_f32 v[32:33], v[34:35], v[32:33], v[36:37] neg_lo:[0,0,1] neg_hi:[0,0,1]
	v_mov_b32_e32 v33, v77
	s_delay_alu instid0(VALU_DEP_1)
	v_pk_add_f32 v[32:33], v[32:33], 0 op_sel_hi:[1,0]
	s_and_saveexec_b32 s13, s15
	s_cbranch_execz .LBB52_941
; %bb.940:                              ;   in Loop: Header=BB52_3 Depth=1
	ds_load_b64 v[34:35], v41 offset:3616
	ds_load_b64 v[36:37], v5 offset:3640
	s_wait_dscnt 0x0
	v_pk_mul_f32 v[76:77], v[36:37], v[34:35] op_sel:[1,1] op_sel_hi:[0,1]
	s_delay_alu instid0(VALU_DEP_1) | instskip(SKIP_1) | instid1(VALU_DEP_2)
	v_pk_fma_f32 v[78:79], v[36:37], v[34:35], v[76:77] op_sel_hi:[1,0,1]
	v_pk_fma_f32 v[34:35], v[36:37], v[34:35], v[76:77] neg_lo:[0,0,1] neg_hi:[0,0,1]
	v_mov_b32_e32 v35, v79
	s_delay_alu instid0(VALU_DEP_1)
	v_pk_add_f32 v[32:33], v[32:33], v[34:35]
.LBB52_941:                             ;   in Loop: Header=BB52_3 Depth=1
	s_or_b32 exec_lo, exec_lo, s13
.LBB52_942:                             ;   in Loop: Header=BB52_3 Depth=1
	s_delay_alu instid0(SALU_CYCLE_1)
	s_or_b32 exec_lo, exec_lo, s6
	s_and_saveexec_b32 s6, s45
	s_cbranch_execz .LBB52_944
; %bb.943:                              ;   in Loop: Header=BB52_3 Depth=1
	ds_load_b64 v[34:35], v5 offset:2600
	s_wait_dscnt 0x0
	v_pk_mul_f32 v[36:37], v[32:33], v[34:35] op_sel:[1,1] op_sel_hi:[1,0]
	s_delay_alu instid0(VALU_DEP_1) | instskip(SKIP_1) | instid1(VALU_DEP_2)
	v_pk_fma_f32 v[76:77], v[32:33], v[34:35], v[36:37] op_sel_hi:[0,1,1]
	v_pk_fma_f32 v[32:33], v[32:33], v[34:35], v[36:37] neg_lo:[0,0,1] neg_hi:[0,0,1]
	v_mov_b32_e32 v33, v77
	s_delay_alu instid0(VALU_DEP_1)
	v_pk_add_f32 v[34:35], v[32:33], 0 neg_lo:[1,1] neg_hi:[1,1]
	ds_store_b64 v3, v[34:35]
.LBB52_944:                             ;   in Loop: Header=BB52_3 Depth=1
	s_or_b32 exec_lo, exec_lo, s6
	s_wait_loadcnt_dscnt 0x0
	s_barrier_signal -1
	s_barrier_wait -1
	s_and_saveexec_b32 s6, s46
	s_cbranch_execz .LBB52_946
; %bb.945:                              ;   in Loop: Header=BB52_3 Depth=1
	ds_load_b64 v[34:35], v5 offset:2592
	ds_load_b64 v[36:37], v3
	s_wait_dscnt 0x0
	v_pk_mul_f32 v[76:77], v[36:37], v[34:35] op_sel:[1,1] op_sel_hi:[0,1]
	s_delay_alu instid0(VALU_DEP_1) | instskip(SKIP_1) | instid1(VALU_DEP_2)
	v_pk_fma_f32 v[78:79], v[36:37], v[34:35], v[76:77] op_sel_hi:[1,0,1]
	v_pk_fma_f32 v[34:35], v[36:37], v[34:35], v[76:77] neg_lo:[0,0,1] neg_hi:[0,0,1]
	v_mov_b32_e32 v35, v79
	s_delay_alu instid0(VALU_DEP_1)
	v_pk_add_f32 v[32:33], v[32:33], v[34:35] neg_lo:[0,1] neg_hi:[0,1]
.LBB52_946:                             ;   in Loop: Header=BB52_3 Depth=1
	s_or_b32 exec_lo, exec_lo, s6
	s_barrier_signal -1
	s_barrier_wait -1
	s_and_saveexec_b32 s6, s46
	s_cbranch_execz .LBB52_948
; %bb.947:                              ;   in Loop: Header=BB52_3 Depth=1
	ds_load_b64 v[34:35], v5 offset:2080
	s_wait_dscnt 0x0
	v_pk_mul_f32 v[36:37], v[32:33], v[34:35] op_sel:[1,1] op_sel_hi:[1,0]
	s_delay_alu instid0(VALU_DEP_1) | instskip(SKIP_1) | instid1(VALU_DEP_2)
	v_pk_fma_f32 v[76:77], v[32:33], v[34:35], v[36:37] op_sel_hi:[0,1,1]
	v_pk_fma_f32 v[32:33], v[32:33], v[34:35], v[36:37] neg_lo:[0,0,1] neg_hi:[0,0,1]
	v_mov_b32_e32 v33, v77
	s_delay_alu instid0(VALU_DEP_1)
	v_pk_add_f32 v[34:35], v[32:33], 0 neg_lo:[1,1] neg_hi:[1,1]
	ds_store_b64 v3, v[34:35]
.LBB52_948:                             ;   in Loop: Header=BB52_3 Depth=1
	s_or_b32 exec_lo, exec_lo, s6
	s_wait_dscnt 0x0
	s_barrier_signal -1
	s_barrier_wait -1
	s_barrier_signal -1
	s_barrier_wait -1
	s_and_saveexec_b32 s6, s1
; %bb.949:                              ;   in Loop: Header=BB52_3 Depth=1
	ds_store_b64 v42, v[32:33] offset:3616
; %bb.950:                              ;   in Loop: Header=BB52_3 Depth=1
	s_or_b32 exec_lo, exec_lo, s6
	s_wait_dscnt 0x0
	s_barrier_signal -1
	s_barrier_wait -1
	s_barrier_signal -1
	s_barrier_wait -1
	s_and_saveexec_b32 s6, s14
	s_cbranch_execz .LBB52_952
; %bb.951:                              ;   in Loop: Header=BB52_3 Depth=1
	v_add_nc_u32_e64 v32, 32, 0
	ds_load_b64 v[36:37], v5 offset:2600
	ds_load_2addr_stride64_b64 v[32:35], v32 offset0:4 offset1:5
	s_wait_dscnt 0x0
	v_dual_mul_f32 v75, v37, v33 :: v_dual_mul_f32 v76, v36, v33
	s_delay_alu instid0(VALU_DEP_1) | instskip(NEXT) | instid1(VALU_DEP_1)
	v_xor_b32_e32 v78, 0x80000000, v75
	v_dual_fmac_f32 v76, v37, v32 :: v_dual_fmac_f32 v78, v36, v32
	s_delay_alu instid0(VALU_DEP_1) | instskip(NEXT) | instid1(VALU_DEP_1)
	v_pk_mul_f32 v[32:33], v[76:77], v[34:35] op_sel:[0,1] op_sel_hi:[0,0]
	v_pk_fma_f32 v[36:37], v[78:79], v[34:35], v[32:33] op_sel_hi:[0,1,1]
	v_pk_fma_f32 v[32:33], v[78:79], v[34:35], v[32:33] neg_lo:[0,0,1] neg_hi:[0,0,1]
	s_delay_alu instid0(VALU_DEP_2)
	v_mov_b32_e32 v33, v37
	ds_store_b64 v5, v[32:33] offset:2592
.LBB52_952:                             ;   in Loop: Header=BB52_3 Depth=1
	s_or_b32 exec_lo, exec_lo, s6
	v_mov_b64_e32 v[32:33], 0
	s_wait_dscnt 0x0
	s_barrier_signal -1
	s_barrier_wait -1
	global_wb scope:SCOPE_DEV
	s_wait_storecnt 0x0
	global_inv scope:SCOPE_DEV
	s_and_saveexec_b32 s98, s2
	s_cbranch_execz .LBB52_958
; %bb.953:                              ;   in Loop: Header=BB52_3 Depth=1
	ds_load_b64 v[32:33], v44 offset:2048
	ds_load_b64 v[34:35], v45 offset:3616
	s_wait_dscnt 0x0
	v_dual_mul_f32 v36, v35, v33 :: v_dual_mul_f32 v33, v34, v33
	s_delay_alu instid0(VALU_DEP_1) | instskip(NEXT) | instid1(VALU_DEP_1)
	v_dual_fma_f32 v34, v34, v32, -v36 :: v_dual_fmac_f32 v33, v35, v32
	v_dual_add_f32 v32, 0, v34 :: v_dual_add_f32 v33, 0, v33
	s_and_saveexec_b32 s6, s16
	s_cbranch_execnz .LBB52_1096
; %bb.954:                              ;   in Loop: Header=BB52_3 Depth=1
	s_or_b32 exec_lo, exec_lo, s6
	s_and_saveexec_b32 s6, s17
	s_cbranch_execnz .LBB52_1097
.LBB52_955:                             ;   in Loop: Header=BB52_3 Depth=1
	s_or_b32 exec_lo, exec_lo, s6
	s_and_saveexec_b32 s6, s1
	s_cbranch_execz .LBB52_957
.LBB52_956:                             ;   in Loop: Header=BB52_3 Depth=1
	ds_load_b64 v[34:35], v41 offset:3584
	ds_load_b64 v[36:37], v5 offset:3640
	s_wait_dscnt 0x0
	v_dual_mul_f32 v75, v37, v35 :: v_dual_mul_f32 v35, v36, v35
	s_delay_alu instid0(VALU_DEP_1) | instskip(NEXT) | instid1(VALU_DEP_1)
	v_fmac_f32_e32 v35, v37, v34
	v_dual_fma_f32 v36, v36, v34, -v75 :: v_dual_add_f32 v33, v33, v35
	s_delay_alu instid0(VALU_DEP_1)
	v_add_f32_e32 v32, v32, v36
.LBB52_957:                             ;   in Loop: Header=BB52_3 Depth=1
	s_or_b32 exec_lo, exec_lo, s6
.LBB52_958:                             ;   in Loop: Header=BB52_3 Depth=1
	s_delay_alu instid0(SALU_CYCLE_1)
	s_or_b32 exec_lo, exec_lo, s98
	s_and_saveexec_b32 s6, s47
	s_cbranch_execz .LBB52_960
; %bb.959:                              ;   in Loop: Header=BB52_3 Depth=1
	ds_load_b64 v[34:35], v5 offset:1560
	s_wait_dscnt 0x0
	v_dual_mul_f32 v36, v33, v34 :: v_dual_mul_f32 v76, v33, v35
	s_delay_alu instid0(VALU_DEP_1) | instskip(NEXT) | instid1(VALU_DEP_2)
	v_pk_fma_f32 v[36:37], v[32:33], v[34:35], v[36:37] op_sel:[1,0,0] op_sel_hi:[0,1,0]
	v_pk_fma_f32 v[32:33], v[32:33], v[34:35], v[76:77] op_sel_hi:[1,1,0] neg_lo:[0,0,1] neg_hi:[0,0,1]
	s_delay_alu instid0(VALU_DEP_2) | instskip(NEXT) | instid1(VALU_DEP_1)
	v_mov_b32_e32 v33, v37
	v_pk_add_f32 v[34:35], v[32:33], 0 neg_lo:[1,1] neg_hi:[1,1]
	ds_store_b64 v43, v[34:35]
.LBB52_960:                             ;   in Loop: Header=BB52_3 Depth=1
	s_or_b32 exec_lo, exec_lo, s6
	s_wait_loadcnt_dscnt 0x0
	s_barrier_signal -1
	s_barrier_wait -1
	s_and_saveexec_b32 s6, s48
	s_cbranch_execz .LBB52_962
; %bb.961:                              ;   in Loop: Header=BB52_3 Depth=1
	ds_load_b64 v[34:35], v44 offset:1536
	ds_load_b64 v[36:37], v43
	s_wait_dscnt 0x0
	v_pk_mul_f32 v[76:77], v[36:37], v[34:35] op_sel:[1,1] op_sel_hi:[0,1]
	s_delay_alu instid0(VALU_DEP_1) | instskip(SKIP_1) | instid1(VALU_DEP_2)
	v_pk_fma_f32 v[78:79], v[36:37], v[34:35], v[76:77] op_sel_hi:[1,0,1]
	v_pk_fma_f32 v[34:35], v[36:37], v[34:35], v[76:77] neg_lo:[0,0,1] neg_hi:[0,0,1]
	v_mov_b32_e32 v35, v79
	s_delay_alu instid0(VALU_DEP_1)
	v_pk_add_f32 v[32:33], v[32:33], v[34:35] neg_lo:[0,1] neg_hi:[0,1]
.LBB52_962:                             ;   in Loop: Header=BB52_3 Depth=1
	s_or_b32 exec_lo, exec_lo, s6
	s_barrier_signal -1
	s_barrier_wait -1
	s_and_saveexec_b32 s6, s49
	s_cbranch_execz .LBB52_964
; %bb.963:                              ;   in Loop: Header=BB52_3 Depth=1
	ds_load_b64 v[34:35], v5 offset:1040
	s_wait_dscnt 0x0
	v_pk_mul_f32 v[36:37], v[32:33], v[34:35] op_sel:[1,1] op_sel_hi:[1,0]
	s_delay_alu instid0(VALU_DEP_1) | instskip(SKIP_1) | instid1(VALU_DEP_2)
	v_pk_fma_f32 v[76:77], v[32:33], v[34:35], v[36:37] op_sel_hi:[0,1,1]
	v_pk_fma_f32 v[32:33], v[32:33], v[34:35], v[36:37] neg_lo:[0,0,1] neg_hi:[0,0,1]
	v_mov_b32_e32 v33, v77
	s_delay_alu instid0(VALU_DEP_1)
	v_pk_add_f32 v[34:35], v[32:33], 0 neg_lo:[1,1] neg_hi:[1,1]
	ds_store_b64 v43, v[34:35]
.LBB52_964:                             ;   in Loop: Header=BB52_3 Depth=1
	s_or_b32 exec_lo, exec_lo, s6
	s_wait_dscnt 0x0
	s_barrier_signal -1
	s_barrier_wait -1
	s_and_saveexec_b32 s6, s50
	s_cbranch_execz .LBB52_966
; %bb.965:                              ;   in Loop: Header=BB52_3 Depth=1
	ds_load_b64 v[34:35], v44 offset:1024
	ds_load_b64 v[36:37], v43
	s_wait_dscnt 0x0
	v_pk_mul_f32 v[76:77], v[36:37], v[34:35] op_sel:[1,1] op_sel_hi:[0,1]
	s_delay_alu instid0(VALU_DEP_1) | instskip(SKIP_1) | instid1(VALU_DEP_2)
	v_pk_fma_f32 v[78:79], v[36:37], v[34:35], v[76:77] op_sel_hi:[1,0,1]
	v_pk_fma_f32 v[34:35], v[36:37], v[34:35], v[76:77] neg_lo:[0,0,1] neg_hi:[0,0,1]
	v_mov_b32_e32 v35, v79
	s_delay_alu instid0(VALU_DEP_1)
	v_pk_add_f32 v[32:33], v[32:33], v[34:35] neg_lo:[0,1] neg_hi:[0,1]
.LBB52_966:                             ;   in Loop: Header=BB52_3 Depth=1
	s_or_b32 exec_lo, exec_lo, s6
	s_barrier_signal -1
	s_barrier_wait -1
	s_and_saveexec_b32 s6, s51
	s_cbranch_execz .LBB52_968
; %bb.967:                              ;   in Loop: Header=BB52_3 Depth=1
	ds_load_b64 v[34:35], v5 offset:520
	s_wait_dscnt 0x0
	v_pk_mul_f32 v[36:37], v[32:33], v[34:35] op_sel:[1,1] op_sel_hi:[1,0]
	s_delay_alu instid0(VALU_DEP_1) | instskip(SKIP_1) | instid1(VALU_DEP_2)
	v_pk_fma_f32 v[76:77], v[32:33], v[34:35], v[36:37] op_sel_hi:[0,1,1]
	v_pk_fma_f32 v[32:33], v[32:33], v[34:35], v[36:37] neg_lo:[0,0,1] neg_hi:[0,0,1]
	v_mov_b32_e32 v33, v77
	s_delay_alu instid0(VALU_DEP_1)
	v_pk_add_f32 v[34:35], v[32:33], 0 neg_lo:[1,1] neg_hi:[1,1]
	ds_store_b64 v43, v[34:35]
.LBB52_968:                             ;   in Loop: Header=BB52_3 Depth=1
	s_or_b32 exec_lo, exec_lo, s6
	s_wait_dscnt 0x0
	s_barrier_signal -1
	s_barrier_wait -1
	s_and_saveexec_b32 s6, s52
	s_cbranch_execz .LBB52_970
; %bb.969:                              ;   in Loop: Header=BB52_3 Depth=1
	ds_load_b64 v[34:35], v5 offset:512
	ds_load_b64 v[36:37], v43
	s_wait_dscnt 0x0
	v_pk_mul_f32 v[76:77], v[36:37], v[34:35] op_sel:[1,1] op_sel_hi:[0,1]
	s_delay_alu instid0(VALU_DEP_1) | instskip(SKIP_1) | instid1(VALU_DEP_2)
	v_pk_fma_f32 v[78:79], v[36:37], v[34:35], v[76:77] op_sel_hi:[1,0,1]
	v_pk_fma_f32 v[34:35], v[36:37], v[34:35], v[76:77] neg_lo:[0,0,1] neg_hi:[0,0,1]
	v_mov_b32_e32 v35, v79
	s_delay_alu instid0(VALU_DEP_1)
	v_pk_add_f32 v[32:33], v[32:33], v[34:35] neg_lo:[0,1] neg_hi:[0,1]
.LBB52_970:                             ;   in Loop: Header=BB52_3 Depth=1
	s_or_b32 exec_lo, exec_lo, s6
	s_barrier_signal -1
	s_barrier_wait -1
	s_and_saveexec_b32 s6, s52
	s_cbranch_execz .LBB52_972
; %bb.971:                              ;   in Loop: Header=BB52_3 Depth=1
	ds_load_b64 v[34:35], v5
	s_wait_dscnt 0x0
	v_pk_mul_f32 v[36:37], v[32:33], v[34:35] op_sel:[1,1] op_sel_hi:[1,0]
	s_delay_alu instid0(VALU_DEP_1) | instskip(SKIP_1) | instid1(VALU_DEP_2)
	v_pk_fma_f32 v[76:77], v[32:33], v[34:35], v[36:37] op_sel_hi:[0,1,1]
	v_pk_fma_f32 v[32:33], v[32:33], v[34:35], v[36:37] neg_lo:[0,0,1] neg_hi:[0,0,1]
	v_mov_b32_e32 v33, v77
	s_delay_alu instid0(VALU_DEP_1)
	v_pk_add_f32 v[34:35], v[32:33], 0 neg_lo:[1,1] neg_hi:[1,1]
	ds_store_b64 v43, v[34:35]
.LBB52_972:                             ;   in Loop: Header=BB52_3 Depth=1
	s_or_b32 exec_lo, exec_lo, s6
	s_wait_dscnt 0x0
	s_barrier_signal -1
	s_barrier_wait -1
	s_barrier_signal -1
	s_barrier_wait -1
	s_and_saveexec_b32 s6, s2
; %bb.973:                              ;   in Loop: Header=BB52_3 Depth=1
	ds_store_b64 v46, v[32:33] offset:3584
; %bb.974:                              ;   in Loop: Header=BB52_3 Depth=1
	s_or_b32 exec_lo, exec_lo, s6
	s_wait_dscnt 0x0
	s_barrier_signal -1
	s_barrier_wait -1
	s_barrier_signal -1
	s_barrier_wait -1
	s_and_saveexec_b32 s6, s14
	s_cbranch_execz .LBB52_976
; %bb.975:                              ;   in Loop: Header=BB52_3 Depth=1
	ds_load_2addr_b64 v[32:35], v5 offset0:130 offset1:194
	ds_load_b64 v[36:37], v5 offset:1560
	s_wait_dscnt 0x0
	v_dual_mul_f32 v75, v37, v33 :: v_dual_mul_f32 v76, v36, v33
	s_delay_alu instid0(VALU_DEP_1) | instskip(NEXT) | instid1(VALU_DEP_1)
	v_xor_b32_e32 v78, 0x80000000, v75
	v_dual_fmac_f32 v76, v37, v32 :: v_dual_fmac_f32 v78, v36, v32
	s_delay_alu instid0(VALU_DEP_1) | instskip(NEXT) | instid1(VALU_DEP_1)
	v_pk_mul_f32 v[32:33], v[76:77], v[34:35] op_sel:[0,1] op_sel_hi:[0,0]
	v_pk_fma_f32 v[36:37], v[78:79], v[34:35], v[32:33] op_sel_hi:[0,1,1]
	v_pk_fma_f32 v[32:33], v[78:79], v[34:35], v[32:33] neg_lo:[0,0,1] neg_hi:[0,0,1]
	s_delay_alu instid0(VALU_DEP_2)
	v_mov_b32_e32 v33, v37
	ds_store_b64 v5, v[32:33] offset:1552
.LBB52_976:                             ;   in Loop: Header=BB52_3 Depth=1
	s_or_b32 exec_lo, exec_lo, s6
	v_dual_mov_b32 v32, 0 :: v_dual_mov_b32 v33, 0
	s_wait_dscnt 0x0
	s_barrier_signal -1
	s_barrier_wait -1
	global_wb scope:SCOPE_DEV
	s_wait_storecnt 0x0
	global_inv scope:SCOPE_DEV
	s_and_saveexec_b32 s6, s1
	s_cbranch_execz .LBB52_980
; %bb.977:                              ;   in Loop: Header=BB52_3 Depth=1
	ds_load_b64 v[32:33], v39 offset:1024
	ds_load_b64 v[34:35], v40 offset:1552
	s_wait_dscnt 0x0
	v_pk_mul_f32 v[36:37], v[34:35], v[32:33] op_sel:[1,1] op_sel_hi:[0,1]
	s_delay_alu instid0(VALU_DEP_1) | instskip(SKIP_1) | instid1(VALU_DEP_2)
	v_pk_fma_f32 v[76:77], v[34:35], v[32:33], v[36:37] op_sel_hi:[1,0,1]
	v_pk_fma_f32 v[32:33], v[34:35], v[32:33], v[36:37] neg_lo:[0,0,1] neg_hi:[0,0,1]
	v_mov_b32_e32 v33, v77
	s_delay_alu instid0(VALU_DEP_1)
	v_pk_add_f32 v[32:33], v[32:33], 0 op_sel_hi:[1,0]
	s_and_saveexec_b32 s13, s15
	s_cbranch_execz .LBB52_979
; %bb.978:                              ;   in Loop: Header=BB52_3 Depth=1
	ds_load_b64 v[34:35], v41 offset:1536
	ds_load_b64 v[36:37], v5 offset:1560
	s_wait_dscnt 0x0
	v_pk_mul_f32 v[76:77], v[36:37], v[34:35] op_sel:[1,1] op_sel_hi:[0,1]
	s_delay_alu instid0(VALU_DEP_1) | instskip(SKIP_1) | instid1(VALU_DEP_2)
	v_pk_fma_f32 v[78:79], v[36:37], v[34:35], v[76:77] op_sel_hi:[1,0,1]
	v_pk_fma_f32 v[34:35], v[36:37], v[34:35], v[76:77] neg_lo:[0,0,1] neg_hi:[0,0,1]
	v_mov_b32_e32 v35, v79
	s_delay_alu instid0(VALU_DEP_1)
	v_pk_add_f32 v[32:33], v[32:33], v[34:35]
.LBB52_979:                             ;   in Loop: Header=BB52_3 Depth=1
	s_or_b32 exec_lo, exec_lo, s13
.LBB52_980:                             ;   in Loop: Header=BB52_3 Depth=1
	s_delay_alu instid0(SALU_CYCLE_1)
	s_or_b32 exec_lo, exec_lo, s6
	s_and_saveexec_b32 s6, s45
	s_cbranch_execz .LBB52_982
; %bb.981:                              ;   in Loop: Header=BB52_3 Depth=1
	ds_load_b64 v[34:35], v5 offset:520
	s_wait_dscnt 0x0
	v_pk_mul_f32 v[36:37], v[32:33], v[34:35] op_sel:[1,1] op_sel_hi:[1,0]
	s_delay_alu instid0(VALU_DEP_1) | instskip(SKIP_1) | instid1(VALU_DEP_2)
	v_pk_fma_f32 v[76:77], v[32:33], v[34:35], v[36:37] op_sel_hi:[0,1,1]
	v_pk_fma_f32 v[32:33], v[32:33], v[34:35], v[36:37] neg_lo:[0,0,1] neg_hi:[0,0,1]
	v_mov_b32_e32 v33, v77
	s_delay_alu instid0(VALU_DEP_1)
	v_pk_add_f32 v[34:35], v[32:33], 0 neg_lo:[1,1] neg_hi:[1,1]
	ds_store_b64 v3, v[34:35]
.LBB52_982:                             ;   in Loop: Header=BB52_3 Depth=1
	s_or_b32 exec_lo, exec_lo, s6
	s_wait_loadcnt_dscnt 0x0
	s_barrier_signal -1
	s_barrier_wait -1
	s_and_saveexec_b32 s6, s46
	s_cbranch_execz .LBB52_984
; %bb.983:                              ;   in Loop: Header=BB52_3 Depth=1
	ds_load_b64 v[34:35], v5 offset:512
	ds_load_b64 v[36:37], v3
	s_wait_dscnt 0x0
	v_pk_mul_f32 v[76:77], v[36:37], v[34:35] op_sel:[1,1] op_sel_hi:[0,1]
	s_delay_alu instid0(VALU_DEP_1) | instskip(SKIP_1) | instid1(VALU_DEP_2)
	v_pk_fma_f32 v[78:79], v[36:37], v[34:35], v[76:77] op_sel_hi:[1,0,1]
	v_pk_fma_f32 v[34:35], v[36:37], v[34:35], v[76:77] neg_lo:[0,0,1] neg_hi:[0,0,1]
	v_mov_b32_e32 v35, v79
	s_delay_alu instid0(VALU_DEP_1)
	v_pk_add_f32 v[32:33], v[32:33], v[34:35] neg_lo:[0,1] neg_hi:[0,1]
.LBB52_984:                             ;   in Loop: Header=BB52_3 Depth=1
	s_or_b32 exec_lo, exec_lo, s6
	s_barrier_signal -1
	s_barrier_wait -1
	s_and_saveexec_b32 s6, s46
	s_cbranch_execz .LBB52_986
; %bb.985:                              ;   in Loop: Header=BB52_3 Depth=1
	ds_load_b64 v[34:35], v5
	s_wait_dscnt 0x0
	v_pk_mul_f32 v[36:37], v[32:33], v[34:35] op_sel:[1,1] op_sel_hi:[1,0]
	s_delay_alu instid0(VALU_DEP_1) | instskip(SKIP_1) | instid1(VALU_DEP_2)
	v_pk_fma_f32 v[76:77], v[32:33], v[34:35], v[36:37] op_sel_hi:[0,1,1]
	v_pk_fma_f32 v[32:33], v[32:33], v[34:35], v[36:37] neg_lo:[0,0,1] neg_hi:[0,0,1]
	v_mov_b32_e32 v33, v77
	s_delay_alu instid0(VALU_DEP_1)
	v_pk_add_f32 v[34:35], v[32:33], 0 neg_lo:[1,1] neg_hi:[1,1]
	ds_store_b64 v3, v[34:35]
.LBB52_986:                             ;   in Loop: Header=BB52_3 Depth=1
	s_or_b32 exec_lo, exec_lo, s6
	s_wait_dscnt 0x0
	s_barrier_signal -1
	s_barrier_wait -1
	s_barrier_signal -1
	s_barrier_wait -1
	s_and_saveexec_b32 s6, s1
; %bb.987:                              ;   in Loop: Header=BB52_3 Depth=1
	ds_store_b64 v42, v[32:33] offset:1536
; %bb.988:                              ;   in Loop: Header=BB52_3 Depth=1
	s_or_b32 exec_lo, exec_lo, s6
	s_wait_dscnt 0x0
	s_barrier_signal -1
	s_barrier_wait -1
	s_barrier_signal -1
	s_barrier_wait -1
	s_and_saveexec_b32 s6, s14
	s_cbranch_execz .LBB52_990
; %bb.989:                              ;   in Loop: Header=BB52_3 Depth=1
	ds_load_2addr_stride64_b64 v[32:35], v5 offset1:1
	ds_load_b64 v[36:37], v5 offset:520
	s_wait_dscnt 0x0
	v_dual_mul_f32 v75, v37, v33 :: v_dual_mul_f32 v76, v36, v33
	s_delay_alu instid0(VALU_DEP_1) | instskip(NEXT) | instid1(VALU_DEP_1)
	v_xor_b32_e32 v78, 0x80000000, v75
	v_dual_fmac_f32 v76, v37, v32 :: v_dual_fmac_f32 v78, v36, v32
	s_delay_alu instid0(VALU_DEP_1) | instskip(NEXT) | instid1(VALU_DEP_1)
	v_pk_mul_f32 v[32:33], v[76:77], v[34:35] op_sel:[0,1] op_sel_hi:[0,0]
	v_pk_fma_f32 v[36:37], v[78:79], v[34:35], v[32:33] op_sel_hi:[0,1,1]
	v_pk_fma_f32 v[32:33], v[78:79], v[34:35], v[32:33] neg_lo:[0,0,1] neg_hi:[0,0,1]
	s_delay_alu instid0(VALU_DEP_2)
	v_mov_b32_e32 v33, v37
	ds_store_b64 v5, v[32:33] offset:512
.LBB52_990:                             ;   in Loop: Header=BB52_3 Depth=1
	s_or_b32 exec_lo, exec_lo, s6
.LBB52_991:                             ;   in Loop: Header=BB52_3 Depth=1
	v_readlane_b32 s100, v86, 2
	v_mov_b64_e32 v[32:33], 0
	v_readlane_b32 s101, v86, 3
	s_mul_u64 s[98:99], s[84:85], s[88:89]
	s_wait_dscnt 0x0
	s_lshl_b64 s[98:99], s[98:99], 3
	s_barrier_signal -1
	s_add_nc_u64 s[98:99], s[100:101], s[98:99]
	s_barrier_wait -1
	s_and_saveexec_b32 s6, s11
	s_cbranch_execz .LBB52_993
; %bb.992:                              ;   in Loop: Header=BB52_3 Depth=1
	v_lshl_add_u64 v[32:33], v[26:27], 3, s[98:99]
	global_load_b64 v[32:33], v[32:33], off
	s_wait_loadcnt 0x0
	v_pk_mul_f32 v[34:35], v[30:31], v[32:33] op_sel:[1,0] neg_lo:[1,0]
	s_delay_alu instid0(VALU_DEP_1)
	v_pk_fma_f32 v[32:33], v[30:31], v[32:33], v[34:35] op_sel:[0,0,1] op_sel_hi:[0,1,0] neg_lo:[1,0,0] neg_hi:[1,0,0]
.LBB52_993:                             ;   in Loop: Header=BB52_3 Depth=1
	s_or_b32 exec_lo, exec_lo, s6
	s_delay_alu instid0(SALU_CYCLE_1)
	s_and_not1_b32 vcc_lo, exec_lo, s69
	s_cbranch_vccnz .LBB52_1012
; %bb.994:                              ;   in Loop: Header=BB52_3 Depth=1
	v_lshl_add_u64 v[30:31], v[6:7], 3, s[70:71]
	v_mov_b32_e32 v75, -1
	s_lshl_b64 s[100:101], s[88:89], 2
	s_mov_b32 s71, 0
	s_add_nc_u64 s[100:101], s[86:87], s[100:101]
	s_branch .LBB52_996
.LBB52_995:                             ;   in Loop: Header=BB52_996 Depth=2
	s_or_b32 exec_lo, exec_lo, s6
	s_add_co_i32 s71, s71, 1
	s_delay_alu instid0(SALU_CYCLE_1)
	s_cmp_eq_u32 s71, s103
	s_cbranch_scc1 .LBB52_1012
.LBB52_996:                             ;   Parent Loop BB52_3 Depth=1
                                        ; =>  This Loop Header: Depth=2
                                        ;       Child Loop BB52_998 Depth 3
	v_cmp_gt_i32_e32 vcc_lo, s71, v75
	s_and_b32 s13, s36, vcc_lo
	s_delay_alu instid0(SALU_CYCLE_1)
	s_and_saveexec_b32 s6, s13
	s_cbranch_execz .LBB52_999
; %bb.997:                              ;   in Loop: Header=BB52_996 Depth=2
	global_load_b32 v75, v5, s[100:101]
	s_wait_loadcnt 0x0
	v_cmp_le_i32_e32 vcc_lo, s71, v75
	s_cbranch_vccnz .LBB52_999
.LBB52_998:                             ;   Parent Loop BB52_3 Depth=1
                                        ;     Parent Loop BB52_996 Depth=2
                                        ; =>    This Inner Loop Header: Depth=3
	global_wb scope:SCOPE_DEV
	s_wait_storecnt 0x0
	global_inv scope:SCOPE_DEV
	global_load_b32 v75, v5, s[100:101]
	s_wait_loadcnt 0x0
	v_cmp_gt_i32_e32 vcc_lo, s71, v75
	s_cbranch_vccnz .LBB52_998
.LBB52_999:                             ;   in Loop: Header=BB52_996 Depth=2
	s_or_b32 exec_lo, exec_lo, s6
	s_sub_co_i32 s6, s104, s71
	global_wb scope:SCOPE_DEV
	s_wait_storecnt 0x0
	global_inv scope:SCOPE_DEV
	s_lshl_b32 s70, s6, 6
	s_wait_loadcnt 0x0
	s_barrier_signal -1
	s_barrier_wait -1
	s_and_saveexec_b32 s13, s37
	s_cbranch_execz .LBB52_1004
; %bb.1000:                             ;   in Loop: Header=BB52_996 Depth=2
	s_ashr_i32 vcc_lo, s70, 31
	s_delay_alu instid0(SALU_CYCLE_1) | instskip(NEXT) | instid1(VALU_DEP_1)
	v_dual_mov_b32 v35, vcc_lo :: v_dual_bitop2_b32 v34, s70, v4 bitop3:0x54
	v_cmp_le_i64_e32 vcc_lo, s[90:91], v[34:35]
	s_and_saveexec_b32 s23, vcc_lo
	s_delay_alu instid0(SALU_CYCLE_1)
	s_xor_b32 vcc_lo, exec_lo, s23
; %bb.1001:                             ;   in Loop: Header=BB52_996 Depth=2
	ds_store_b64 v66, v[28:29]
                                        ; implicit-def: $vgpr34_vgpr35
; %bb.1002:                             ;   in Loop: Header=BB52_996 Depth=2
	s_and_not1_saveexec_b32 s23, vcc_lo
	s_cbranch_execz .LBB52_1004
; %bb.1003:                             ;   in Loop: Header=BB52_996 Depth=2
	v_mul_u64_e32 v[34:35], s[82:83], v[34:35]
	s_delay_alu instid0(VALU_DEP_1)
	v_lshl_add_u64 v[34:35], v[34:35], 3, s[98:99]
	global_load_b64 v[34:35], v[34:35], off
	s_wait_loadcnt 0x0
	ds_store_b64 v66, v[34:35]
.LBB52_1004:                            ;   in Loop: Header=BB52_996 Depth=2
	s_or_b32 exec_lo, exec_lo, s13
	v_add_nc_u32_e32 v34, s70, v38
	s_cmp_eq_u32 s6, s12
	s_wait_dscnt 0x0
	s_cselect_b32 vcc_lo, -1, 0
	s_barrier_signal -1
	v_ashrrev_i32_e32 v35, 31, v34
	v_cmp_gt_i32_e64 s70, s90, v34
	s_barrier_wait -1
	s_delay_alu instid0(VALU_DEP_2) | instskip(SKIP_1) | instid1(VALU_DEP_1)
	v_mul_u64_e32 v[36:37], s[72:73], v[34:35]
	s_and_b32 s13, s0, s70
	v_lshl_add_u64 v[36:37], v[36:37], 3, v[30:31]
	s_and_saveexec_b32 s6, s13
	s_cbranch_execz .LBB52_1006
; %bb.1005:                             ;   in Loop: Header=BB52_996 Depth=2
	s_delay_alu instid0(VALU_DEP_1) | instskip(SKIP_4) | instid1(VALU_DEP_1)
	v_dual_cndmask_b32 v77, v37, v19 :: v_dual_cndmask_b32 v76, v36, v18
	ds_load_b64 v[78:79], v65
	flat_load_b64 v[76:77], v[76:77]
	s_wait_loadcnt_dscnt 0x0
	v_dual_mul_f32 v35, v79, v77 :: v_dual_mul_f32 v77, v78, v77
	v_dual_fma_f32 v35, v78, v76, -v35 :: v_dual_fmac_f32 v77, v79, v76
	s_delay_alu instid0(VALU_DEP_1)
	v_dual_add_f32 v32, v32, v35 :: v_dual_add_f32 v33, v33, v77
.LBB52_1006:                            ;   in Loop: Header=BB52_996 Depth=2
	s_or_b32 exec_lo, exec_lo, s6
	v_add_nc_u32_e32 v35, 16, v34
	s_delay_alu instid0(VALU_DEP_1) | instskip(SKIP_1) | instid1(SALU_CYCLE_1)
	v_cmp_gt_i32_e64 s70, s90, v35
	s_and_b32 s13, s0, s70
	s_and_saveexec_b32 s6, s13
	s_cbranch_execz .LBB52_1008
; %bb.1007:                             ;   in Loop: Header=BB52_996 Depth=2
	v_add_nc_u64_e32 v[76:77], s[92:93], v[36:37]
	ds_load_b64 v[78:79], v65 offset:128
	v_dual_cndmask_b32 v77, v77, v21 :: v_dual_cndmask_b32 v76, v76, v20
	flat_load_b64 v[76:77], v[76:77]
	s_wait_loadcnt_dscnt 0x0
	v_dual_mul_f32 v35, v79, v77 :: v_dual_mul_f32 v77, v78, v77
	s_delay_alu instid0(VALU_DEP_1) | instskip(NEXT) | instid1(VALU_DEP_1)
	v_dual_fma_f32 v35, v78, v76, -v35 :: v_dual_fmac_f32 v77, v79, v76
	v_dual_add_f32 v32, v32, v35 :: v_dual_add_f32 v33, v33, v77
.LBB52_1008:                            ;   in Loop: Header=BB52_996 Depth=2
	s_or_b32 exec_lo, exec_lo, s6
	v_add_nc_u32_e32 v35, 32, v34
	s_delay_alu instid0(VALU_DEP_1) | instskip(SKIP_1) | instid1(SALU_CYCLE_1)
	v_cmp_gt_i32_e64 s70, s90, v35
	s_and_b32 s13, s0, s70
	s_and_saveexec_b32 s6, s13
	s_cbranch_execz .LBB52_1010
; %bb.1009:                             ;   in Loop: Header=BB52_996 Depth=2
	v_add_nc_u64_e32 v[76:77], s[94:95], v[36:37]
	ds_load_b64 v[78:79], v65 offset:256
	v_dual_cndmask_b32 v77, v77, v23 :: v_dual_cndmask_b32 v76, v76, v22
	flat_load_b64 v[76:77], v[76:77]
	s_wait_loadcnt_dscnt 0x0
	v_dual_mul_f32 v35, v79, v77 :: v_dual_mul_f32 v81, v78, v77
	s_delay_alu instid0(VALU_DEP_1) | instskip(NEXT) | instid1(VALU_DEP_1)
	v_dual_fma_f32 v80, v78, v76, -v35 :: v_dual_fmac_f32 v81, v79, v76
	v_pk_add_f32 v[32:33], v[32:33], v[80:81]
.LBB52_1010:                            ;   in Loop: Header=BB52_996 Depth=2
	s_or_b32 exec_lo, exec_lo, s6
	v_add_nc_u32_e32 v34, 48, v34
	s_delay_alu instid0(VALU_DEP_1) | instskip(SKIP_1) | instid1(SALU_CYCLE_1)
	v_cmp_gt_i32_e64 s70, s90, v34
	s_and_b32 s13, s0, s70
	s_and_saveexec_b32 s6, s13
	s_cbranch_execz .LBB52_995
; %bb.1011:                             ;   in Loop: Header=BB52_996 Depth=2
	v_add_nc_u64_e32 v[34:35], s[96:97], v[36:37]
	ds_load_b64 v[36:37], v65 offset:384
	v_dual_cndmask_b32 v35, v35, v25 :: v_dual_cndmask_b32 v34, v34, v24
	flat_load_b64 v[34:35], v[34:35]
	s_wait_loadcnt_dscnt 0x0
	v_pk_mul_f32 v[76:77], v[36:37], v[34:35] op_sel:[1,1] op_sel_hi:[0,1]
	s_delay_alu instid0(VALU_DEP_1) | instskip(SKIP_1) | instid1(VALU_DEP_2)
	v_pk_fma_f32 v[78:79], v[36:37], v[34:35], v[76:77] op_sel_hi:[1,0,1]
	v_pk_fma_f32 v[34:35], v[36:37], v[34:35], v[76:77] neg_lo:[0,0,1] neg_hi:[0,0,1]
	v_mov_b32_e32 v35, v79
	s_delay_alu instid0(VALU_DEP_1)
	v_pk_add_f32 v[32:33], v[32:33], v[34:35]
	s_branch .LBB52_995
.LBB52_1012:                            ;   in Loop: Header=BB52_3 Depth=1
	ds_store_b64 v67, v[32:33]
	s_wait_dscnt 0x0
	s_barrier_signal -1
	s_barrier_wait -1
	s_and_saveexec_b32 s6, s5
	s_cbranch_execz .LBB52_1014
; %bb.1013:                             ;   in Loop: Header=BB52_3 Depth=1
	ds_load_2addr_stride64_b64 v[34:37], v68 offset0:1 offset1:2
	ds_load_2addr_stride64_b64 v[76:79], v68 offset0:3 offset1:4
	;; [unrolled: 1-line block ×3, first 2 shown]
	s_wait_dscnt 0x2
	v_pk_add_f32 v[30:31], v[32:33], v[34:35]
	s_delay_alu instid0(VALU_DEP_1) | instskip(SKIP_3) | instid1(VALU_DEP_1)
	v_pk_add_f32 v[34:35], v[30:31], v[36:37]
	ds_load_2addr_stride64_b64 v[30:33], v68 offset0:7 offset1:8
	s_wait_dscnt 0x2
	v_pk_add_f32 v[34:35], v[34:35], v[76:77]
	v_pk_add_f32 v[76:77], v[34:35], v[78:79]
	ds_load_2addr_stride64_b64 v[34:37], v68 offset0:9 offset1:10
	s_wait_dscnt 0x2
	v_pk_add_f32 v[76:77], v[76:77], v[80:81]
	s_delay_alu instid0(VALU_DEP_1) | instskip(SKIP_3) | instid1(VALU_DEP_1)
	v_pk_add_f32 v[80:81], v[76:77], v[82:83]
	ds_load_2addr_stride64_b64 v[76:79], v68 offset0:11 offset1:12
	s_wait_dscnt 0x2
	v_pk_add_f32 v[30:31], v[80:81], v[30:31]
	v_pk_add_f32 v[80:81], v[30:31], v[32:33]
	ds_load_2addr_stride64_b64 v[30:33], v68 offset0:13 offset1:14
	s_wait_dscnt 0x2
	v_pk_add_f32 v[34:35], v[80:81], v[34:35]
	s_delay_alu instid0(VALU_DEP_1) | instskip(SKIP_3) | instid1(VALU_DEP_1)
	v_pk_add_f32 v[34:35], v[34:35], v[36:37]
	ds_load_b64 v[36:37], v68 offset:7680
	s_wait_dscnt 0x2
	v_pk_add_f32 v[34:35], v[34:35], v[76:77]
	v_pk_add_f32 v[34:35], v[34:35], v[78:79]
	s_wait_dscnt 0x1
	s_delay_alu instid0(VALU_DEP_1) | instskip(NEXT) | instid1(VALU_DEP_1)
	v_pk_add_f32 v[30:31], v[34:35], v[30:31]
	v_pk_add_f32 v[30:31], v[30:31], v[32:33]
	s_wait_dscnt 0x0
	s_delay_alu instid0(VALU_DEP_1) | instskip(NEXT) | instid1(VALU_DEP_1)
	v_pk_add_f32 v[30:31], v[30:31], v[36:37]
	v_cndmask_b32_e64 v33, -v31, 0, s10
	s_delay_alu instid0(VALU_DEP_2)
	v_cndmask_b32_e64 v32, -v30, 0, s10
.LBB52_1014:                            ;   in Loop: Header=BB52_3 Depth=1
	s_or_b32 exec_lo, exec_lo, s6
	s_delay_alu instid0(SALU_CYCLE_1)
	s_and_not1_b32 vcc_lo, exec_lo, s44
	s_cbranch_vccnz .LBB52_1027
; %bb.1015:                             ;   in Loop: Header=BB52_3 Depth=1
	s_and_saveexec_b32 s6, s5
; %bb.1016:                             ;   in Loop: Header=BB52_3 Depth=1
	ds_store_b64 v70, v[32:33]
; %bb.1017:                             ;   in Loop: Header=BB52_3 Depth=1
	s_or_b32 exec_lo, exec_lo, s6
	v_mov_b64_e32 v[30:31], 0
	s_wait_dscnt 0x0
	s_barrier_signal -1
	s_barrier_wait -1
	s_mov_b32 s6, exec_lo
	v_readlane_b32 s13, v85, 11
	s_and_b32 s13, s6, s13
	s_delay_alu instid0(SALU_CYCLE_1)
	s_mov_b32 exec_lo, s13
	s_cbranch_execz .LBB52_1019
; %bb.1018:                             ;   in Loop: Header=BB52_3 Depth=1
	ds_load_b64 v[30:31], v69
	ds_load_b64 v[34:35], v65
	s_wait_dscnt 0x0
	v_dual_mul_f32 v36, v35, v31 :: v_dual_mul_f32 v31, v34, v31
	s_delay_alu instid0(VALU_DEP_1) | instskip(NEXT) | instid1(VALU_DEP_1)
	v_dual_fma_f32 v34, v34, v30, -v36 :: v_dual_fmac_f32 v31, v35, v30
	v_dual_add_f32 v30, 0, v34 :: v_dual_add_f32 v31, 0, v31
.LBB52_1019:                            ;   in Loop: Header=BB52_3 Depth=1
	s_or_b32 exec_lo, exec_lo, s6
	s_delay_alu instid0(SALU_CYCLE_1) | instskip(SKIP_2) | instid1(SALU_CYCLE_1)
	s_mov_b32 s6, exec_lo
	v_readlane_b32 s13, v85, 12
	s_and_b32 s13, s6, s13
	s_mov_b32 exec_lo, s13
	s_cbranch_execz .LBB52_1021
; %bb.1020:                             ;   in Loop: Header=BB52_3 Depth=1
	ds_load_b64 v[34:35], v69 offset:8192
	ds_load_b64 v[36:37], v65 offset:128
	s_wait_dscnt 0x0
	v_dual_mul_f32 v75, v37, v35 :: v_dual_mul_f32 v77, v36, v35
	s_delay_alu instid0(VALU_DEP_1) | instskip(NEXT) | instid1(VALU_DEP_1)
	v_dual_fma_f32 v76, v36, v34, -v75 :: v_dual_fmac_f32 v77, v37, v34
	v_pk_add_f32 v[30:31], v[30:31], v[76:77]
.LBB52_1021:                            ;   in Loop: Header=BB52_3 Depth=1
	s_or_b32 exec_lo, exec_lo, s6
	s_delay_alu instid0(SALU_CYCLE_1) | instskip(SKIP_2) | instid1(SALU_CYCLE_1)
	s_mov_b32 s6, exec_lo
	v_readlane_b32 s13, v85, 13
	s_and_b32 s13, s6, s13
	s_mov_b32 exec_lo, s13
	s_cbranch_execz .LBB52_1023
; %bb.1022:                             ;   in Loop: Header=BB52_3 Depth=1
	ds_load_b64 v[34:35], v69 offset:16384
	ds_load_b64 v[36:37], v65 offset:256
	s_wait_dscnt 0x0
	v_pk_mul_f32 v[76:77], v[36:37], v[34:35] op_sel:[1,1] op_sel_hi:[0,1]
	s_delay_alu instid0(VALU_DEP_1) | instskip(SKIP_1) | instid1(VALU_DEP_2)
	v_pk_fma_f32 v[78:79], v[36:37], v[34:35], v[76:77] op_sel_hi:[1,0,1]
	v_pk_fma_f32 v[34:35], v[36:37], v[34:35], v[76:77] neg_lo:[0,0,1] neg_hi:[0,0,1]
	v_mov_b32_e32 v35, v79
	s_delay_alu instid0(VALU_DEP_1)
	v_pk_add_f32 v[30:31], v[30:31], v[34:35]
.LBB52_1023:                            ;   in Loop: Header=BB52_3 Depth=1
	s_or_b32 exec_lo, exec_lo, s6
	s_delay_alu instid0(SALU_CYCLE_1) | instskip(SKIP_2) | instid1(SALU_CYCLE_1)
	s_mov_b32 s6, exec_lo
	v_readlane_b32 s13, v85, 14
	s_and_b32 s13, s6, s13
	s_mov_b32 exec_lo, s13
	s_cbranch_execz .LBB52_1025
; %bb.1024:                             ;   in Loop: Header=BB52_3 Depth=1
	ds_load_b64 v[34:35], v69 offset:24576
	ds_load_b64 v[36:37], v65 offset:384
	s_wait_dscnt 0x0
	v_pk_mul_f32 v[76:77], v[36:37], v[34:35] op_sel:[1,1] op_sel_hi:[0,1]
	s_delay_alu instid0(VALU_DEP_1) | instskip(SKIP_1) | instid1(VALU_DEP_2)
	v_pk_fma_f32 v[78:79], v[36:37], v[34:35], v[76:77] op_sel_hi:[1,0,1]
	v_pk_fma_f32 v[34:35], v[36:37], v[34:35], v[76:77] neg_lo:[0,0,1] neg_hi:[0,0,1]
	v_mov_b32_e32 v35, v79
	s_delay_alu instid0(VALU_DEP_1)
	v_pk_add_f32 v[30:31], v[30:31], v[34:35]
.LBB52_1025:                            ;   in Loop: Header=BB52_3 Depth=1
	s_or_b32 exec_lo, exec_lo, s6
	s_mov_b32 s71, 0
	s_mov_b32 s70, 0
	ds_store_b64 v67, v[30:31]
	s_wait_dscnt 0x0
	s_barrier_signal -1
	s_barrier_wait -1
                                        ; implicit-def: $vgpr34_vgpr35
	s_and_saveexec_b32 s6, s5
	s_cbranch_execz .LBB52_1044
; %bb.1026:                             ;   in Loop: Header=BB52_3 Depth=1
	ds_load_2addr_stride64_b64 v[34:37], v68 offset0:1 offset1:2
	ds_load_2addr_stride64_b64 v[76:79], v68 offset0:3 offset1:4
	;; [unrolled: 1-line block ×3, first 2 shown]
	s_mov_b32 s70, exec_lo
	s_wait_dscnt 0x2
	v_pk_add_f32 v[30:31], v[30:31], v[34:35]
	s_delay_alu instid0(VALU_DEP_1) | instskip(SKIP_3) | instid1(VALU_DEP_1)
	v_pk_add_f32 v[30:31], v[30:31], v[36:37]
	ds_load_2addr_stride64_b64 v[34:37], v68 offset0:7 offset1:8
	s_wait_dscnt 0x2
	v_pk_add_f32 v[30:31], v[30:31], v[76:77]
	v_pk_add_f32 v[30:31], v[30:31], v[78:79]
	ds_load_2addr_stride64_b64 v[76:79], v68 offset0:9 offset1:10
	s_wait_dscnt 0x2
	v_pk_add_f32 v[30:31], v[30:31], v[80:81]
	s_delay_alu instid0(VALU_DEP_1) | instskip(SKIP_3) | instid1(VALU_DEP_1)
	v_pk_add_f32 v[30:31], v[30:31], v[82:83]
	ds_load_2addr_stride64_b64 v[80:83], v68 offset0:11 offset1:12
	s_wait_dscnt 0x2
	v_pk_add_f32 v[30:31], v[30:31], v[34:35]
	v_pk_add_f32 v[30:31], v[30:31], v[36:37]
	ds_load_2addr_stride64_b64 v[34:37], v68 offset0:13 offset1:14
	s_wait_dscnt 0x2
	v_pk_add_f32 v[30:31], v[30:31], v[76:77]
	ds_load_b64 v[76:77], v68 offset:7680
	v_pk_add_f32 v[30:31], v[30:31], v[78:79]
	s_wait_dscnt 0x2
	s_delay_alu instid0(VALU_DEP_1) | instskip(NEXT) | instid1(VALU_DEP_1)
	v_pk_add_f32 v[30:31], v[30:31], v[80:81]
	v_pk_add_f32 v[30:31], v[30:31], v[82:83]
	s_wait_dscnt 0x1
	s_delay_alu instid0(VALU_DEP_1) | instskip(NEXT) | instid1(VALU_DEP_1)
	v_pk_add_f32 v[30:31], v[30:31], v[34:35]
	v_pk_add_f32 v[30:31], v[30:31], v[36:37]
	s_wait_dscnt 0x0
	s_delay_alu instid0(VALU_DEP_1) | instskip(SKIP_1) | instid1(SALU_CYCLE_1)
	v_pk_add_f32 v[34:35], v[30:31], v[76:77]
	s_or_b32 exec_lo, exec_lo, s6
	s_and_b32 vcc_lo, exec_lo, s71
	s_cbranch_vccnz .LBB52_1028
	s_branch .LBB52_1045
.LBB52_1027:                            ;   in Loop: Header=BB52_3 Depth=1
	s_mov_b32 s70, 0
                                        ; implicit-def: $vgpr34_vgpr35
	s_cbranch_execz .LBB52_1045
.LBB52_1028:                            ;   in Loop: Header=BB52_3 Depth=1
	v_mov_b32_e32 v30, v62
	s_mov_b32 s71, 63
	s_branch .LBB52_1030
.LBB52_1029:                            ;   in Loop: Header=BB52_1030 Depth=2
	s_or_b32 exec_lo, exec_lo, s6
	v_add_nc_u32_e32 v30, 0xfffffc00, v30
	s_add_co_i32 s71, s71, -2
	s_cmp_lg_u32 s100, 0
	s_barrier_signal -1
	s_barrier_wait -1
	s_cbranch_scc0 .LBB52_1038
.LBB52_1030:                            ;   Parent Loop BB52_3 Depth=1
                                        ; =>  This Inner Loop Header: Depth=2
	s_delay_alu instid0(VALU_DEP_1) | instskip(SKIP_1) | instid1(SALU_CYCLE_1)
	v_cmp_eq_u32_e32 vcc_lo, 0xffff8200, v30
	s_and_b32 s13, s5, vcc_lo
	s_and_saveexec_b32 s6, s13
	s_cbranch_execz .LBB52_1032
; %bb.1031:                             ;   in Loop: Header=BB52_1030 Depth=2
	ds_load_b64 v[34:35], v61
	s_wait_dscnt 0x0
	v_pk_mul_f32 v[36:37], v[32:33], v[34:35] op_sel:[1,1] op_sel_hi:[1,0]
	s_delay_alu instid0(VALU_DEP_1) | instskip(SKIP_1) | instid1(VALU_DEP_2)
	v_pk_fma_f32 v[76:77], v[32:33], v[34:35], v[36:37] op_sel_hi:[0,1,1]
	v_pk_fma_f32 v[34:35], v[32:33], v[34:35], v[36:37] neg_lo:[0,0,1] neg_hi:[0,0,1]
	v_mov_b32_e32 v35, v77
	s_delay_alu instid0(VALU_DEP_1)
	v_mov_b64_e32 v[32:33], v[34:35]
	ds_store_b64 v5, v[34:35] offset:41472
.LBB52_1032:                            ;   in Loop: Header=BB52_1030 Depth=2
	s_or_b32 exec_lo, exec_lo, s6
	v_cmp_gt_u32_e32 vcc_lo, s71, v2
	v_add_nc_u32_e32 v31, v59, v30
	s_wait_dscnt 0x0
	s_barrier_signal -1
	s_barrier_wait -1
	s_and_b32 s13, s5, vcc_lo
	s_delay_alu instid0(SALU_CYCLE_1)
	s_and_saveexec_b32 s6, s13
	s_cbranch_execz .LBB52_1034
; %bb.1033:                             ;   in Loop: Header=BB52_1030 Depth=2
	ds_load_b64 v[34:35], v31 offset:512
	ds_load_b64 v[36:37], v5 offset:41472
	s_wait_dscnt 0x0
	v_pk_mul_f32 v[76:77], v[36:37], v[34:35] op_sel:[1,1] op_sel_hi:[0,1]
	s_delay_alu instid0(VALU_DEP_1) | instskip(SKIP_1) | instid1(VALU_DEP_2)
	v_pk_fma_f32 v[78:79], v[36:37], v[34:35], v[76:77] op_sel_hi:[1,0,1]
	v_pk_fma_f32 v[34:35], v[36:37], v[34:35], v[76:77] neg_lo:[0,0,1] neg_hi:[0,0,1]
	v_mov_b32_e32 v35, v79
	s_delay_alu instid0(VALU_DEP_1)
	v_pk_add_f32 v[32:33], v[32:33], v[34:35]
.LBB52_1034:                            ;   in Loop: Header=BB52_1030 Depth=2
	s_or_b32 exec_lo, exec_lo, s6
	s_add_co_i32 s100, s71, -1
	s_delay_alu instid0(SALU_CYCLE_1) | instskip(SKIP_3) | instid1(SALU_CYCLE_1)
	v_cmp_eq_u32_e32 vcc_lo, s100, v2
	s_barrier_signal -1
	s_barrier_wait -1
	s_and_b32 s13, s5, vcc_lo
	s_and_saveexec_b32 s6, s13
	s_cbranch_execz .LBB52_1036
; %bb.1035:                             ;   in Loop: Header=BB52_1030 Depth=2
	ds_load_b64 v[34:35], v61
	s_wait_dscnt 0x0
	v_pk_mul_f32 v[36:37], v[32:33], v[34:35] op_sel:[1,1] op_sel_hi:[1,0]
	s_delay_alu instid0(VALU_DEP_1) | instskip(SKIP_1) | instid1(VALU_DEP_2)
	v_pk_fma_f32 v[76:77], v[32:33], v[34:35], v[36:37] op_sel_hi:[0,1,1]
	v_pk_fma_f32 v[34:35], v[32:33], v[34:35], v[36:37] neg_lo:[0,0,1] neg_hi:[0,0,1]
	v_mov_b32_e32 v35, v77
	s_delay_alu instid0(VALU_DEP_1)
	v_mov_b64_e32 v[32:33], v[34:35]
	ds_store_b64 v5, v[34:35] offset:41472
.LBB52_1036:                            ;   in Loop: Header=BB52_1030 Depth=2
	s_or_b32 exec_lo, exec_lo, s6
	v_cmp_gt_u32_e32 vcc_lo, s100, v2
	s_wait_dscnt 0x0
	s_barrier_signal -1
	s_barrier_wait -1
	s_and_b32 s13, s5, vcc_lo
	s_delay_alu instid0(SALU_CYCLE_1)
	s_and_saveexec_b32 s6, s13
	s_cbranch_execz .LBB52_1029
; %bb.1037:                             ;   in Loop: Header=BB52_1030 Depth=2
	ds_load_b64 v[34:35], v31
	ds_load_b64 v[36:37], v5 offset:41472
	s_wait_dscnt 0x0
	v_pk_mul_f32 v[76:77], v[36:37], v[34:35] op_sel:[1,1] op_sel_hi:[0,1]
	s_delay_alu instid0(VALU_DEP_1) | instskip(SKIP_1) | instid1(VALU_DEP_2)
	v_pk_fma_f32 v[78:79], v[36:37], v[34:35], v[76:77] op_sel_hi:[1,0,1]
	v_pk_fma_f32 v[34:35], v[36:37], v[34:35], v[76:77] neg_lo:[0,0,1] neg_hi:[0,0,1]
	v_mov_b32_e32 v35, v79
	s_delay_alu instid0(VALU_DEP_1)
	v_pk_add_f32 v[32:33], v[32:33], v[34:35]
	s_branch .LBB52_1029
.LBB52_1038:                            ;   in Loop: Header=BB52_3 Depth=1
	s_and_b32 vcc_lo, exec_lo, vcc_hi
	s_mov_b32 s6, -1
	s_cbranch_vccnz .LBB52_1046
; %bb.1039:                             ;   in Loop: Header=BB52_3 Depth=1
	s_and_not1_b32 vcc_lo, exec_lo, s6
	s_cbranch_vccz .LBB52_1047
.LBB52_1040:                            ;   in Loop: Header=BB52_3 Depth=1
	s_and_saveexec_b32 s6, s70
	s_cbranch_execz .LBB52_1042
.LBB52_1041:                            ;   in Loop: Header=BB52_3 Depth=1
	v_lshl_add_u64 v[30:31], v[0:1], 3, s[98:99]
	global_store_b64 v[30:31], v[32:33], off
.LBB52_1042:                            ;   in Loop: Header=BB52_3 Depth=1
	s_wait_xcnt 0x0
	s_or_b32 exec_lo, exec_lo, s6
	global_wb scope:SCOPE_DEV
	s_wait_storecnt 0x0
	global_inv scope:SCOPE_DEV
	s_wait_loadcnt 0x0
	s_barrier_signal -1
	s_barrier_wait -1
	s_and_saveexec_b32 s6, s36
	s_cbranch_execz .LBB52_2
; %bb.1043:                             ;   in Loop: Header=BB52_3 Depth=1
	s_lshl_b64 s[70:71], s[88:89], 2
	s_delay_alu instid0(SALU_CYCLE_1)
	s_add_nc_u64 s[70:71], s[86:87], s[70:71]
	global_load_b32 v30, v5, s[70:71]
	s_wait_loadcnt 0x0
	v_add_nc_u32_e32 v30, 1, v30
	global_store_b32 v5, v30, s[70:71]
	s_branch .LBB52_2
.LBB52_1044:                            ;   in Loop: Header=BB52_3 Depth=1
	s_or_b32 exec_lo, exec_lo, s6
	s_delay_alu instid0(SALU_CYCLE_1)
	s_and_b32 vcc_lo, exec_lo, s71
	s_cbranch_vccnz .LBB52_1028
.LBB52_1045:                            ;   in Loop: Header=BB52_3 Depth=1
	v_mov_b64_e32 v[32:33], v[34:35]
	s_and_saveexec_b32 s6, s70
	s_cbranch_execnz .LBB52_1041
	s_branch .LBB52_1042
.LBB52_1046:                            ;   in Loop: Header=BB52_3 Depth=1
	s_and_not1_b32 s13, s70, exec_lo
	s_and_b32 s23, s5, exec_lo
	s_delay_alu instid0(SALU_CYCLE_1)
	s_or_b32 s70, s13, s23
	s_cbranch_execnz .LBB52_1040
.LBB52_1047:                            ;   in Loop: Header=BB52_3 Depth=1
	v_readlane_b32 s13, v86, 12
	s_and_not1_b32 s6, s70, exec_lo
	s_and_b32 s13, s13, exec_lo
	s_delay_alu instid0(SALU_CYCLE_1) | instskip(NEXT) | instid1(SALU_CYCLE_1)
	s_or_b32 s70, s6, s13
	s_and_saveexec_b32 s6, s70
	s_cbranch_execnz .LBB52_1041
	s_branch .LBB52_1042
.LBB52_1048:                            ;   in Loop: Header=BB52_3 Depth=1
	ds_load_b64 v[34:35], v44 offset:31680
	ds_load_b64 v[36:37], v45 offset:32744
	s_wait_dscnt 0x0
	v_dual_mul_f32 v75, v37, v35 :: v_dual_mul_f32 v35, v36, v35
	s_delay_alu instid0(VALU_DEP_1) | instskip(NEXT) | instid1(VALU_DEP_1)
	v_fmac_f32_e32 v35, v37, v34
	v_dual_fma_f32 v36, v36, v34, -v75 :: v_dual_add_f32 v33, v33, v35
	s_delay_alu instid0(VALU_DEP_1)
	v_add_f32_e32 v32, v32, v36
	s_or_b32 exec_lo, exec_lo, s6
	s_and_saveexec_b32 s6, s17
	s_cbranch_execz .LBB52_151
.LBB52_1049:                            ;   in Loop: Header=BB52_3 Depth=1
	ds_load_b64 v[34:35], v44 offset:32192
	ds_load_b64 v[36:37], v45 offset:32752
	s_wait_dscnt 0x0
	v_dual_mul_f32 v75, v37, v35 :: v_dual_mul_f32 v35, v36, v35
	s_delay_alu instid0(VALU_DEP_1) | instskip(NEXT) | instid1(VALU_DEP_1)
	v_fmac_f32_e32 v35, v37, v34
	v_dual_fma_f32 v36, v36, v34, -v75 :: v_dual_add_f32 v33, v33, v35
	s_delay_alu instid0(VALU_DEP_1)
	v_add_f32_e32 v32, v32, v36
	s_or_b32 exec_lo, exec_lo, s6
	s_and_saveexec_b32 s6, s1
	s_cbranch_execnz .LBB52_152
	s_branch .LBB52_153
.LBB52_1050:                            ;   in Loop: Header=BB52_3 Depth=1
	ds_load_b64 v[34:35], v48 offset:29568
	ds_load_b64 v[36:37], v49 offset:32712
	s_wait_dscnt 0x0
	v_dual_mul_f32 v75, v37, v35 :: v_dual_mul_f32 v35, v36, v35
	s_delay_alu instid0(VALU_DEP_1) | instskip(NEXT) | instid1(VALU_DEP_1)
	v_fmac_f32_e32 v35, v37, v34
	v_dual_fma_f32 v36, v36, v34, -v75 :: v_dual_add_f32 v33, v33, v35
	s_delay_alu instid0(VALU_DEP_1)
	v_add_f32_e32 v32, v32, v36
	s_or_b32 exec_lo, exec_lo, s6
	s_and_saveexec_b32 s6, s19
	s_cbranch_execz .LBB52_189
.LBB52_1051:                            ;   in Loop: Header=BB52_3 Depth=1
	ds_load_b64 v[34:35], v48 offset:30080
	ds_load_b64 v[36:37], v49 offset:32720
	s_wait_dscnt 0x0
	v_dual_mul_f32 v75, v37, v35 :: v_dual_mul_f32 v35, v36, v35
	s_delay_alu instid0(VALU_DEP_1) | instskip(NEXT) | instid1(VALU_DEP_1)
	v_fmac_f32_e32 v35, v37, v34
	v_dual_fma_f32 v36, v36, v34, -v75 :: v_dual_add_f32 v33, v33, v35
	s_delay_alu instid0(VALU_DEP_1)
	v_add_f32_e32 v32, v32, v36
	s_or_b32 exec_lo, exec_lo, s6
	s_and_saveexec_b32 s6, s20
	s_cbranch_execz .LBB52_190
.LBB52_1052:                            ;   in Loop: Header=BB52_3 Depth=1
	ds_load_b64 v[34:35], v48 offset:30592
	ds_load_b64 v[36:37], v49 offset:32728
	s_wait_dscnt 0x0
	v_dual_mul_f32 v75, v37, v35 :: v_dual_mul_f32 v35, v36, v35
	s_delay_alu instid0(VALU_DEP_1) | instskip(NEXT) | instid1(VALU_DEP_1)
	v_fmac_f32_e32 v35, v37, v34
	v_dual_fma_f32 v36, v36, v34, -v75 :: v_dual_add_f32 v33, v33, v35
	s_delay_alu instid0(VALU_DEP_1)
	v_add_f32_e32 v32, v32, v36
	s_or_b32 exec_lo, exec_lo, s6
	s_and_saveexec_b32 s6, s21
	s_cbranch_execz .LBB52_191
.LBB52_1053:                            ;   in Loop: Header=BB52_3 Depth=1
	ds_load_b64 v[34:35], v48 offset:31104
	ds_load_b64 v[36:37], v49 offset:32736
	s_wait_dscnt 0x0
	v_dual_mul_f32 v75, v37, v35 :: v_dual_mul_f32 v35, v36, v35
	s_delay_alu instid0(VALU_DEP_1) | instskip(NEXT) | instid1(VALU_DEP_1)
	v_fmac_f32_e32 v35, v37, v34
	v_dual_fma_f32 v36, v36, v34, -v75 :: v_dual_add_f32 v33, v33, v35
	s_delay_alu instid0(VALU_DEP_1)
	v_add_f32_e32 v32, v32, v36
	s_or_b32 exec_lo, exec_lo, s6
	s_and_saveexec_b32 s6, s22
	s_cbranch_execz .LBB52_192
.LBB52_1054:                            ;   in Loop: Header=BB52_3 Depth=1
	ds_load_b64 v[34:35], v48 offset:31616
	ds_load_b64 v[36:37], v49 offset:32744
	s_wait_dscnt 0x0
	v_dual_mul_f32 v75, v37, v35 :: v_dual_mul_f32 v35, v36, v35
	s_delay_alu instid0(VALU_DEP_1) | instskip(NEXT) | instid1(VALU_DEP_1)
	v_fmac_f32_e32 v35, v37, v34
	v_dual_fma_f32 v36, v36, v34, -v75 :: v_dual_add_f32 v33, v33, v35
	s_delay_alu instid0(VALU_DEP_1)
	v_add_f32_e32 v32, v32, v36
	s_or_b32 exec_lo, exec_lo, s6
	s_and_saveexec_b32 s6, s2
	s_cbranch_execz .LBB52_193
.LBB52_1055:                            ;   in Loop: Header=BB52_3 Depth=1
	ds_load_b64 v[34:35], v48 offset:32128
	ds_load_b64 v[36:37], v49 offset:32752
	s_wait_dscnt 0x0
	v_dual_mul_f32 v75, v37, v35 :: v_dual_mul_f32 v35, v36, v35
	s_delay_alu instid0(VALU_DEP_1) | instskip(NEXT) | instid1(VALU_DEP_1)
	v_fmac_f32_e32 v35, v37, v34
	v_dual_fma_f32 v36, v36, v34, -v75 :: v_dual_add_f32 v33, v33, v35
	s_delay_alu instid0(VALU_DEP_1)
	v_add_f32_e32 v32, v32, v36
	s_or_b32 exec_lo, exec_lo, s6
	s_and_saveexec_b32 s6, s17
	s_cbranch_execnz .LBB52_194
	s_branch .LBB52_195
.LBB52_1056:                            ;   in Loop: Header=BB52_3 Depth=1
	ds_load_b64 v[34:35], v44 offset:27520
	ds_load_b64 v[36:37], v45 offset:28584
	s_wait_dscnt 0x0
	v_dual_mul_f32 v75, v37, v35 :: v_dual_mul_f32 v35, v36, v35
	s_delay_alu instid0(VALU_DEP_1) | instskip(NEXT) | instid1(VALU_DEP_1)
	v_fmac_f32_e32 v35, v37, v34
	v_dual_fma_f32 v36, v36, v34, -v75 :: v_dual_add_f32 v33, v33, v35
	s_delay_alu instid0(VALU_DEP_1)
	v_add_f32_e32 v32, v32, v36
	s_or_b32 exec_lo, exec_lo, s6
	s_and_saveexec_b32 s6, s17
	s_cbranch_execz .LBB52_247
.LBB52_1057:                            ;   in Loop: Header=BB52_3 Depth=1
	ds_load_b64 v[34:35], v44 offset:28032
	ds_load_b64 v[36:37], v45 offset:28592
	s_wait_dscnt 0x0
	v_dual_mul_f32 v75, v37, v35 :: v_dual_mul_f32 v35, v36, v35
	s_delay_alu instid0(VALU_DEP_1) | instskip(NEXT) | instid1(VALU_DEP_1)
	v_fmac_f32_e32 v35, v37, v34
	v_dual_fma_f32 v36, v36, v34, -v75 :: v_dual_add_f32 v33, v33, v35
	s_delay_alu instid0(VALU_DEP_1)
	v_add_f32_e32 v32, v32, v36
	s_or_b32 exec_lo, exec_lo, s6
	s_and_saveexec_b32 s6, s1
	s_cbranch_execnz .LBB52_248
	s_branch .LBB52_249
.LBB52_1058:                            ;   in Loop: Header=BB52_3 Depth=1
	ds_load_b64 v[34:35], v52 offset:30464
	ds_load_b64 v[36:37], v53 offset:32728
	s_wait_dscnt 0x0
	v_dual_mul_f32 v75, v37, v35 :: v_dual_mul_f32 v35, v36, v35
	s_delay_alu instid0(VALU_DEP_1) | instskip(NEXT) | instid1(VALU_DEP_1)
	v_fmac_f32_e32 v35, v37, v34
	v_dual_fma_f32 v36, v36, v34, -v75 :: v_dual_add_f32 v33, v33, v35
	s_delay_alu instid0(VALU_DEP_1)
	v_add_f32_e32 v32, v32, v36
	s_or_b32 exec_lo, exec_lo, s6
	s_and_saveexec_b32 s6, s3
	s_cbranch_execz .LBB52_305
.LBB52_1059:                            ;   in Loop: Header=BB52_3 Depth=1
	ds_load_b64 v[34:35], v52 offset:30976
	ds_load_b64 v[36:37], v53 offset:32736
	s_wait_dscnt 0x0
	v_dual_mul_f32 v75, v37, v35 :: v_dual_mul_f32 v35, v36, v35
	s_delay_alu instid0(VALU_DEP_1) | instskip(NEXT) | instid1(VALU_DEP_1)
	v_fmac_f32_e32 v35, v37, v34
	v_dual_fma_f32 v36, v36, v34, -v75 :: v_dual_add_f32 v33, v33, v35
	s_delay_alu instid0(VALU_DEP_1)
	v_add_f32_e32 v32, v32, v36
	s_or_b32 exec_lo, exec_lo, s6
	s_and_saveexec_b32 s6, s19
	s_cbranch_execz .LBB52_306
.LBB52_1060:                            ;   in Loop: Header=BB52_3 Depth=1
	ds_load_b64 v[34:35], v52 offset:31488
	ds_load_b64 v[36:37], v53 offset:32744
	s_wait_dscnt 0x0
	v_dual_mul_f32 v75, v37, v35 :: v_dual_mul_f32 v35, v36, v35
	s_delay_alu instid0(VALU_DEP_1) | instskip(NEXT) | instid1(VALU_DEP_1)
	v_fmac_f32_e32 v35, v37, v34
	v_dual_fma_f32 v36, v36, v34, -v75 :: v_dual_add_f32 v33, v33, v35
	s_delay_alu instid0(VALU_DEP_1)
	v_add_f32_e32 v32, v32, v36
	s_or_b32 exec_lo, exec_lo, s6
	s_and_saveexec_b32 s6, s21
	s_cbranch_execz .LBB52_307
.LBB52_1061:                            ;   in Loop: Header=BB52_3 Depth=1
	ds_load_b64 v[34:35], v52 offset:32000
	ds_load_b64 v[36:37], v53 offset:32752
	s_wait_dscnt 0x0
	v_dual_mul_f32 v75, v37, v35 :: v_dual_mul_f32 v35, v36, v35
	s_delay_alu instid0(VALU_DEP_1) | instskip(NEXT) | instid1(VALU_DEP_1)
	v_fmac_f32_e32 v35, v37, v34
	v_dual_fma_f32 v36, v36, v34, -v75 :: v_dual_add_f32 v33, v33, v35
	s_delay_alu instid0(VALU_DEP_1)
	v_add_f32_e32 v32, v32, v36
	s_or_b32 exec_lo, exec_lo, s6
	s_and_saveexec_b32 s6, s2
	s_cbranch_execnz .LBB52_308
	s_branch .LBB52_309
.LBB52_1062:                            ;   in Loop: Header=BB52_3 Depth=1
	ds_load_b64 v[34:35], v44 offset:23360
	ds_load_b64 v[36:37], v45 offset:24424
	s_wait_dscnt 0x0
	v_dual_mul_f32 v75, v37, v35 :: v_dual_mul_f32 v35, v36, v35
	s_delay_alu instid0(VALU_DEP_1) | instskip(NEXT) | instid1(VALU_DEP_1)
	v_fmac_f32_e32 v35, v37, v34
	v_dual_fma_f32 v36, v36, v34, -v75 :: v_dual_add_f32 v33, v33, v35
	s_delay_alu instid0(VALU_DEP_1)
	v_add_f32_e32 v32, v32, v36
	s_or_b32 exec_lo, exec_lo, s6
	s_and_saveexec_b32 s6, s17
	s_cbranch_execz .LBB52_393
.LBB52_1063:                            ;   in Loop: Header=BB52_3 Depth=1
	ds_load_b64 v[34:35], v44 offset:23872
	ds_load_b64 v[36:37], v45 offset:24432
	s_wait_dscnt 0x0
	v_dual_mul_f32 v75, v37, v35 :: v_dual_mul_f32 v35, v36, v35
	s_delay_alu instid0(VALU_DEP_1) | instskip(NEXT) | instid1(VALU_DEP_1)
	v_fmac_f32_e32 v35, v37, v34
	v_dual_fma_f32 v36, v36, v34, -v75 :: v_dual_add_f32 v33, v33, v35
	s_delay_alu instid0(VALU_DEP_1)
	v_add_f32_e32 v32, v32, v36
	s_or_b32 exec_lo, exec_lo, s6
	s_and_saveexec_b32 s6, s1
	s_cbranch_execnz .LBB52_394
	s_branch .LBB52_395
.LBB52_1064:                            ;   in Loop: Header=BB52_3 Depth=1
	ds_load_b64 v[34:35], v48 offset:21248
	ds_load_b64 v[36:37], v49 offset:24392
	s_wait_dscnt 0x0
	v_dual_mul_f32 v75, v37, v35 :: v_dual_mul_f32 v35, v36, v35
	s_delay_alu instid0(VALU_DEP_1) | instskip(NEXT) | instid1(VALU_DEP_1)
	v_fmac_f32_e32 v35, v37, v34
	v_dual_fma_f32 v36, v36, v34, -v75 :: v_dual_add_f32 v33, v33, v35
	s_delay_alu instid0(VALU_DEP_1)
	v_add_f32_e32 v32, v32, v36
	s_or_b32 exec_lo, exec_lo, s6
	s_and_saveexec_b32 s6, s19
	s_cbranch_execz .LBB52_431
.LBB52_1065:                            ;   in Loop: Header=BB52_3 Depth=1
	ds_load_b64 v[34:35], v48 offset:21760
	ds_load_b64 v[36:37], v49 offset:24400
	s_wait_dscnt 0x0
	v_dual_mul_f32 v75, v37, v35 :: v_dual_mul_f32 v35, v36, v35
	s_delay_alu instid0(VALU_DEP_1) | instskip(NEXT) | instid1(VALU_DEP_1)
	v_fmac_f32_e32 v35, v37, v34
	v_dual_fma_f32 v36, v36, v34, -v75 :: v_dual_add_f32 v33, v33, v35
	s_delay_alu instid0(VALU_DEP_1)
	v_add_f32_e32 v32, v32, v36
	s_or_b32 exec_lo, exec_lo, s6
	s_and_saveexec_b32 s6, s20
	s_cbranch_execz .LBB52_432
.LBB52_1066:                            ;   in Loop: Header=BB52_3 Depth=1
	ds_load_b64 v[34:35], v48 offset:22272
	ds_load_b64 v[36:37], v49 offset:24408
	s_wait_dscnt 0x0
	v_dual_mul_f32 v75, v37, v35 :: v_dual_mul_f32 v35, v36, v35
	s_delay_alu instid0(VALU_DEP_1) | instskip(NEXT) | instid1(VALU_DEP_1)
	v_fmac_f32_e32 v35, v37, v34
	v_dual_fma_f32 v36, v36, v34, -v75 :: v_dual_add_f32 v33, v33, v35
	s_delay_alu instid0(VALU_DEP_1)
	v_add_f32_e32 v32, v32, v36
	s_or_b32 exec_lo, exec_lo, s6
	s_and_saveexec_b32 s6, s21
	s_cbranch_execz .LBB52_433
.LBB52_1067:                            ;   in Loop: Header=BB52_3 Depth=1
	ds_load_b64 v[34:35], v48 offset:22784
	ds_load_b64 v[36:37], v49 offset:24416
	s_wait_dscnt 0x0
	v_dual_mul_f32 v75, v37, v35 :: v_dual_mul_f32 v35, v36, v35
	s_delay_alu instid0(VALU_DEP_1) | instskip(NEXT) | instid1(VALU_DEP_1)
	v_fmac_f32_e32 v35, v37, v34
	v_dual_fma_f32 v36, v36, v34, -v75 :: v_dual_add_f32 v33, v33, v35
	s_delay_alu instid0(VALU_DEP_1)
	v_add_f32_e32 v32, v32, v36
	s_or_b32 exec_lo, exec_lo, s6
	s_and_saveexec_b32 s6, s22
	s_cbranch_execz .LBB52_434
.LBB52_1068:                            ;   in Loop: Header=BB52_3 Depth=1
	ds_load_b64 v[34:35], v48 offset:23296
	ds_load_b64 v[36:37], v49 offset:24424
	s_wait_dscnt 0x0
	v_dual_mul_f32 v75, v37, v35 :: v_dual_mul_f32 v35, v36, v35
	s_delay_alu instid0(VALU_DEP_1) | instskip(NEXT) | instid1(VALU_DEP_1)
	v_fmac_f32_e32 v35, v37, v34
	v_dual_fma_f32 v36, v36, v34, -v75 :: v_dual_add_f32 v33, v33, v35
	s_delay_alu instid0(VALU_DEP_1)
	v_add_f32_e32 v32, v32, v36
	s_or_b32 exec_lo, exec_lo, s6
	s_and_saveexec_b32 s6, s2
	s_cbranch_execz .LBB52_435
.LBB52_1069:                            ;   in Loop: Header=BB52_3 Depth=1
	ds_load_b64 v[34:35], v48 offset:23808
	ds_load_b64 v[36:37], v49 offset:24432
	s_wait_dscnt 0x0
	v_dual_mul_f32 v75, v37, v35 :: v_dual_mul_f32 v35, v36, v35
	s_delay_alu instid0(VALU_DEP_1) | instskip(NEXT) | instid1(VALU_DEP_1)
	v_fmac_f32_e32 v35, v37, v34
	v_dual_fma_f32 v36, v36, v34, -v75 :: v_dual_add_f32 v33, v33, v35
	s_delay_alu instid0(VALU_DEP_1)
	v_add_f32_e32 v32, v32, v36
	s_or_b32 exec_lo, exec_lo, s6
	s_and_saveexec_b32 s6, s17
	s_cbranch_execnz .LBB52_436
	s_branch .LBB52_437
.LBB52_1070:                            ;   in Loop: Header=BB52_3 Depth=1
	ds_load_b64 v[34:35], v44 offset:19200
	ds_load_b64 v[36:37], v45 offset:20264
	s_wait_dscnt 0x0
	v_dual_mul_f32 v75, v37, v35 :: v_dual_mul_f32 v35, v36, v35
	s_delay_alu instid0(VALU_DEP_1) | instskip(NEXT) | instid1(VALU_DEP_1)
	v_fmac_f32_e32 v35, v37, v34
	v_dual_fma_f32 v36, v36, v34, -v75 :: v_dual_add_f32 v33, v33, v35
	s_delay_alu instid0(VALU_DEP_1)
	v_add_f32_e32 v32, v32, v36
	s_or_b32 exec_lo, exec_lo, s6
	s_and_saveexec_b32 s6, s17
	s_cbranch_execz .LBB52_489
.LBB52_1071:                            ;   in Loop: Header=BB52_3 Depth=1
	ds_load_b64 v[34:35], v44 offset:19712
	ds_load_b64 v[36:37], v45 offset:20272
	s_wait_dscnt 0x0
	v_dual_mul_f32 v75, v37, v35 :: v_dual_mul_f32 v35, v36, v35
	s_delay_alu instid0(VALU_DEP_1) | instskip(NEXT) | instid1(VALU_DEP_1)
	v_fmac_f32_e32 v35, v37, v34
	v_dual_fma_f32 v36, v36, v34, -v75 :: v_dual_add_f32 v33, v33, v35
	s_delay_alu instid0(VALU_DEP_1)
	v_add_f32_e32 v32, v32, v36
	s_or_b32 exec_lo, exec_lo, s6
	s_and_saveexec_b32 s6, s1
	s_cbranch_execnz .LBB52_490
	s_branch .LBB52_491
.LBB52_1072:                            ;   in Loop: Header=BB52_3 Depth=1
	ds_load_b64 v[34:35], v57 offset:31232
	ds_load_b64 v[36:37], v58 offset:32744
	s_wait_dscnt 0x0
	v_pk_mul_f32 v[76:77], v[36:37], v[34:35] op_sel:[1,1] op_sel_hi:[0,1]
	s_delay_alu instid0(VALU_DEP_1) | instskip(SKIP_1) | instid1(VALU_DEP_2)
	v_pk_fma_f32 v[78:79], v[36:37], v[34:35], v[76:77] op_sel_hi:[1,0,1]
	v_pk_fma_f32 v[34:35], v[36:37], v[34:35], v[76:77] neg_lo:[0,0,1] neg_hi:[0,0,1]
	v_mov_b32_e32 v35, v79
	s_delay_alu instid0(VALU_DEP_1)
	v_pk_add_f32 v[32:33], v[32:33], v[34:35]
	s_or_b32 exec_lo, exec_lo, s6
	s_and_saveexec_b32 s6, s3
	s_cbranch_execz .LBB52_583
.LBB52_1073:                            ;   in Loop: Header=BB52_3 Depth=1
	ds_load_b64 v[34:35], v57 offset:31744
	ds_load_b64 v[36:37], v58 offset:32752
	s_wait_dscnt 0x0
	v_pk_mul_f32 v[76:77], v[36:37], v[34:35] op_sel:[1,1] op_sel_hi:[0,1]
	s_delay_alu instid0(VALU_DEP_1) | instskip(SKIP_1) | instid1(VALU_DEP_2)
	v_pk_fma_f32 v[78:79], v[36:37], v[34:35], v[76:77] op_sel_hi:[1,0,1]
	v_pk_fma_f32 v[34:35], v[36:37], v[34:35], v[76:77] neg_lo:[0,0,1] neg_hi:[0,0,1]
	v_mov_b32_e32 v35, v79
	s_delay_alu instid0(VALU_DEP_1) | instskip(SKIP_2) | instid1(SALU_CYCLE_1)
	v_pk_add_f32 v[32:33], v[32:33], v[34:35]
	s_or_b32 exec_lo, exec_lo, s6
	s_and_saveexec_b32 s6, s21
	s_xor_b32 s6, exec_lo, s6
	s_cbranch_execnz .LBB52_584
	s_branch .LBB52_585
.LBB52_1074:                            ;   in Loop: Header=BB52_3 Depth=1
	ds_load_b64 v[34:35], v44 offset:15040
	ds_load_b64 v[36:37], v45 offset:16104
	s_wait_dscnt 0x0
	v_dual_mul_f32 v75, v37, v35 :: v_dual_mul_f32 v35, v36, v35
	s_delay_alu instid0(VALU_DEP_1) | instskip(NEXT) | instid1(VALU_DEP_1)
	v_fmac_f32_e32 v35, v37, v34
	v_dual_fma_f32 v36, v36, v34, -v75 :: v_dual_add_f32 v33, v33, v35
	s_delay_alu instid0(VALU_DEP_1)
	v_add_f32_e32 v32, v32, v36
	s_or_b32 exec_lo, exec_lo, s6
	s_and_saveexec_b32 s6, s17
	s_cbranch_execz .LBB52_617
.LBB52_1075:                            ;   in Loop: Header=BB52_3 Depth=1
	ds_load_b64 v[34:35], v44 offset:15552
	ds_load_b64 v[36:37], v45 offset:16112
	s_wait_dscnt 0x0
	v_dual_mul_f32 v75, v37, v35 :: v_dual_mul_f32 v35, v36, v35
	s_delay_alu instid0(VALU_DEP_1) | instskip(NEXT) | instid1(VALU_DEP_1)
	v_fmac_f32_e32 v35, v37, v34
	v_dual_fma_f32 v36, v36, v34, -v75 :: v_dual_add_f32 v33, v33, v35
	s_delay_alu instid0(VALU_DEP_1)
	v_add_f32_e32 v32, v32, v36
	s_or_b32 exec_lo, exec_lo, s6
	s_and_saveexec_b32 s6, s1
	s_cbranch_execnz .LBB52_618
	s_branch .LBB52_619
.LBB52_1076:                            ;   in Loop: Header=BB52_3 Depth=1
	ds_load_b64 v[34:35], v48 offset:12928
	ds_load_b64 v[36:37], v49 offset:16072
	s_wait_dscnt 0x0
	v_dual_mul_f32 v75, v37, v35 :: v_dual_mul_f32 v35, v36, v35
	s_delay_alu instid0(VALU_DEP_1) | instskip(NEXT) | instid1(VALU_DEP_1)
	v_fmac_f32_e32 v35, v37, v34
	v_dual_fma_f32 v36, v36, v34, -v75 :: v_dual_add_f32 v33, v33, v35
	s_delay_alu instid0(VALU_DEP_1)
	v_add_f32_e32 v32, v32, v36
	s_or_b32 exec_lo, exec_lo, s6
	s_and_saveexec_b32 s6, s19
	s_cbranch_execz .LBB52_655
.LBB52_1077:                            ;   in Loop: Header=BB52_3 Depth=1
	ds_load_b64 v[34:35], v48 offset:13440
	ds_load_b64 v[36:37], v49 offset:16080
	s_wait_dscnt 0x0
	v_dual_mul_f32 v75, v37, v35 :: v_dual_mul_f32 v35, v36, v35
	s_delay_alu instid0(VALU_DEP_1) | instskip(NEXT) | instid1(VALU_DEP_1)
	v_fmac_f32_e32 v35, v37, v34
	v_dual_fma_f32 v36, v36, v34, -v75 :: v_dual_add_f32 v33, v33, v35
	s_delay_alu instid0(VALU_DEP_1)
	v_add_f32_e32 v32, v32, v36
	s_or_b32 exec_lo, exec_lo, s6
	s_and_saveexec_b32 s6, s20
	s_cbranch_execz .LBB52_656
.LBB52_1078:                            ;   in Loop: Header=BB52_3 Depth=1
	ds_load_b64 v[34:35], v48 offset:13952
	ds_load_b64 v[36:37], v49 offset:16088
	s_wait_dscnt 0x0
	v_dual_mul_f32 v75, v37, v35 :: v_dual_mul_f32 v35, v36, v35
	s_delay_alu instid0(VALU_DEP_1) | instskip(NEXT) | instid1(VALU_DEP_1)
	v_fmac_f32_e32 v35, v37, v34
	v_dual_fma_f32 v36, v36, v34, -v75 :: v_dual_add_f32 v33, v33, v35
	s_delay_alu instid0(VALU_DEP_1)
	v_add_f32_e32 v32, v32, v36
	s_or_b32 exec_lo, exec_lo, s6
	s_and_saveexec_b32 s6, s21
	s_cbranch_execz .LBB52_657
.LBB52_1079:                            ;   in Loop: Header=BB52_3 Depth=1
	ds_load_b64 v[34:35], v48 offset:14464
	ds_load_b64 v[36:37], v49 offset:16096
	s_wait_dscnt 0x0
	v_dual_mul_f32 v75, v37, v35 :: v_dual_mul_f32 v35, v36, v35
	s_delay_alu instid0(VALU_DEP_1) | instskip(NEXT) | instid1(VALU_DEP_1)
	v_fmac_f32_e32 v35, v37, v34
	v_dual_fma_f32 v36, v36, v34, -v75 :: v_dual_add_f32 v33, v33, v35
	s_delay_alu instid0(VALU_DEP_1)
	v_add_f32_e32 v32, v32, v36
	s_or_b32 exec_lo, exec_lo, s6
	s_and_saveexec_b32 s6, s22
	s_cbranch_execz .LBB52_658
.LBB52_1080:                            ;   in Loop: Header=BB52_3 Depth=1
	ds_load_b64 v[34:35], v48 offset:14976
	ds_load_b64 v[36:37], v49 offset:16104
	s_wait_dscnt 0x0
	v_dual_mul_f32 v75, v37, v35 :: v_dual_mul_f32 v35, v36, v35
	s_delay_alu instid0(VALU_DEP_1) | instskip(NEXT) | instid1(VALU_DEP_1)
	v_fmac_f32_e32 v35, v37, v34
	v_dual_fma_f32 v36, v36, v34, -v75 :: v_dual_add_f32 v33, v33, v35
	s_delay_alu instid0(VALU_DEP_1)
	v_add_f32_e32 v32, v32, v36
	s_or_b32 exec_lo, exec_lo, s6
	s_and_saveexec_b32 s6, s2
	s_cbranch_execz .LBB52_659
.LBB52_1081:                            ;   in Loop: Header=BB52_3 Depth=1
	ds_load_b64 v[34:35], v48 offset:15488
	ds_load_b64 v[36:37], v49 offset:16112
	s_wait_dscnt 0x0
	v_dual_mul_f32 v75, v37, v35 :: v_dual_mul_f32 v35, v36, v35
	s_delay_alu instid0(VALU_DEP_1) | instskip(NEXT) | instid1(VALU_DEP_1)
	v_fmac_f32_e32 v35, v37, v34
	v_dual_fma_f32 v36, v36, v34, -v75 :: v_dual_add_f32 v33, v33, v35
	s_delay_alu instid0(VALU_DEP_1)
	v_add_f32_e32 v32, v32, v36
	s_or_b32 exec_lo, exec_lo, s6
	s_and_saveexec_b32 s6, s17
	s_cbranch_execnz .LBB52_660
	s_branch .LBB52_661
.LBB52_1082:                            ;   in Loop: Header=BB52_3 Depth=1
	ds_load_b64 v[34:35], v44 offset:10880
	ds_load_b64 v[36:37], v45 offset:11944
	s_wait_dscnt 0x0
	v_dual_mul_f32 v75, v37, v35 :: v_dual_mul_f32 v35, v36, v35
	s_delay_alu instid0(VALU_DEP_1) | instskip(NEXT) | instid1(VALU_DEP_1)
	v_fmac_f32_e32 v35, v37, v34
	v_dual_fma_f32 v36, v36, v34, -v75 :: v_dual_add_f32 v33, v33, v35
	s_delay_alu instid0(VALU_DEP_1)
	v_add_f32_e32 v32, v32, v36
	s_or_b32 exec_lo, exec_lo, s6
	s_and_saveexec_b32 s6, s17
	s_cbranch_execz .LBB52_713
.LBB52_1083:                            ;   in Loop: Header=BB52_3 Depth=1
	ds_load_b64 v[34:35], v44 offset:11392
	ds_load_b64 v[36:37], v45 offset:11952
	s_wait_dscnt 0x0
	v_dual_mul_f32 v75, v37, v35 :: v_dual_mul_f32 v35, v36, v35
	s_delay_alu instid0(VALU_DEP_1) | instskip(NEXT) | instid1(VALU_DEP_1)
	v_fmac_f32_e32 v35, v37, v34
	v_dual_fma_f32 v36, v36, v34, -v75 :: v_dual_add_f32 v33, v33, v35
	s_delay_alu instid0(VALU_DEP_1)
	v_add_f32_e32 v32, v32, v36
	s_or_b32 exec_lo, exec_lo, s6
	s_and_saveexec_b32 s6, s1
	s_cbranch_execnz .LBB52_714
	s_branch .LBB52_715
.LBB52_1084:                            ;   in Loop: Header=BB52_3 Depth=1
	ds_load_b64 v[34:35], v52 offset:13824
	ds_load_b64 v[36:37], v53 offset:16088
	s_wait_dscnt 0x0
	v_dual_mul_f32 v75, v37, v35 :: v_dual_mul_f32 v35, v36, v35
	s_delay_alu instid0(VALU_DEP_1) | instskip(NEXT) | instid1(VALU_DEP_1)
	v_fmac_f32_e32 v35, v37, v34
	v_dual_fma_f32 v36, v36, v34, -v75 :: v_dual_add_f32 v33, v33, v35
	s_delay_alu instid0(VALU_DEP_1)
	v_add_f32_e32 v32, v32, v36
	s_or_b32 exec_lo, exec_lo, s6
	s_and_saveexec_b32 s6, s3
	s_cbranch_execz .LBB52_771
.LBB52_1085:                            ;   in Loop: Header=BB52_3 Depth=1
	ds_load_b64 v[34:35], v52 offset:14336
	ds_load_b64 v[36:37], v53 offset:16096
	s_wait_dscnt 0x0
	v_dual_mul_f32 v75, v37, v35 :: v_dual_mul_f32 v35, v36, v35
	s_delay_alu instid0(VALU_DEP_1) | instskip(NEXT) | instid1(VALU_DEP_1)
	v_fmac_f32_e32 v35, v37, v34
	v_dual_fma_f32 v36, v36, v34, -v75 :: v_dual_add_f32 v33, v33, v35
	s_delay_alu instid0(VALU_DEP_1)
	v_add_f32_e32 v32, v32, v36
	s_or_b32 exec_lo, exec_lo, s6
	s_and_saveexec_b32 s6, s19
	s_cbranch_execz .LBB52_772
.LBB52_1086:                            ;   in Loop: Header=BB52_3 Depth=1
	ds_load_b64 v[34:35], v52 offset:14848
	ds_load_b64 v[36:37], v53 offset:16104
	s_wait_dscnt 0x0
	v_dual_mul_f32 v75, v37, v35 :: v_dual_mul_f32 v35, v36, v35
	s_delay_alu instid0(VALU_DEP_1) | instskip(NEXT) | instid1(VALU_DEP_1)
	v_fmac_f32_e32 v35, v37, v34
	v_dual_fma_f32 v36, v36, v34, -v75 :: v_dual_add_f32 v33, v33, v35
	s_delay_alu instid0(VALU_DEP_1)
	v_add_f32_e32 v32, v32, v36
	s_or_b32 exec_lo, exec_lo, s6
	s_and_saveexec_b32 s6, s21
	s_cbranch_execz .LBB52_773
.LBB52_1087:                            ;   in Loop: Header=BB52_3 Depth=1
	ds_load_b64 v[34:35], v52 offset:15360
	ds_load_b64 v[36:37], v53 offset:16112
	s_wait_dscnt 0x0
	v_dual_mul_f32 v75, v37, v35 :: v_dual_mul_f32 v35, v36, v35
	s_delay_alu instid0(VALU_DEP_1) | instskip(NEXT) | instid1(VALU_DEP_1)
	v_fmac_f32_e32 v35, v37, v34
	v_dual_fma_f32 v36, v36, v34, -v75 :: v_dual_add_f32 v33, v33, v35
	s_delay_alu instid0(VALU_DEP_1)
	v_add_f32_e32 v32, v32, v36
	s_or_b32 exec_lo, exec_lo, s6
	s_and_saveexec_b32 s6, s2
	s_cbranch_execnz .LBB52_774
	s_branch .LBB52_775
.LBB52_1088:                            ;   in Loop: Header=BB52_3 Depth=1
	ds_load_b64 v[34:35], v44 offset:6720
	ds_load_b64 v[36:37], v45 offset:7784
	s_wait_dscnt 0x0
	v_dual_mul_f32 v75, v37, v35 :: v_dual_mul_f32 v35, v36, v35
	s_delay_alu instid0(VALU_DEP_1) | instskip(NEXT) | instid1(VALU_DEP_1)
	v_fmac_f32_e32 v35, v37, v34
	v_dual_fma_f32 v36, v36, v34, -v75 :: v_dual_add_f32 v33, v33, v35
	s_delay_alu instid0(VALU_DEP_1)
	v_add_f32_e32 v32, v32, v36
	s_or_b32 exec_lo, exec_lo, s6
	s_and_saveexec_b32 s6, s17
	s_cbranch_execz .LBB52_859
.LBB52_1089:                            ;   in Loop: Header=BB52_3 Depth=1
	ds_load_b64 v[34:35], v44 offset:7232
	ds_load_b64 v[36:37], v45 offset:7792
	s_wait_dscnt 0x0
	v_dual_mul_f32 v75, v37, v35 :: v_dual_mul_f32 v35, v36, v35
	s_delay_alu instid0(VALU_DEP_1) | instskip(NEXT) | instid1(VALU_DEP_1)
	v_fmac_f32_e32 v35, v37, v34
	v_dual_fma_f32 v36, v36, v34, -v75 :: v_dual_add_f32 v33, v33, v35
	s_delay_alu instid0(VALU_DEP_1)
	v_add_f32_e32 v32, v32, v36
	s_or_b32 exec_lo, exec_lo, s6
	s_and_saveexec_b32 s6, s1
	s_cbranch_execnz .LBB52_860
	s_branch .LBB52_861
.LBB52_1090:                            ;   in Loop: Header=BB52_3 Depth=1
	ds_load_b64 v[34:35], v48 offset:4608
	ds_load_b64 v[36:37], v49 offset:7752
	s_wait_dscnt 0x0
	v_dual_mul_f32 v75, v37, v35 :: v_dual_mul_f32 v35, v36, v35
	s_delay_alu instid0(VALU_DEP_1) | instskip(NEXT) | instid1(VALU_DEP_1)
	v_fmac_f32_e32 v35, v37, v34
	v_dual_fma_f32 v36, v36, v34, -v75 :: v_dual_add_f32 v33, v33, v35
	s_delay_alu instid0(VALU_DEP_1)
	v_add_f32_e32 v32, v32, v36
	s_or_b32 exec_lo, exec_lo, s6
	s_and_saveexec_b32 s6, s19
	s_cbranch_execz .LBB52_897
.LBB52_1091:                            ;   in Loop: Header=BB52_3 Depth=1
	ds_load_b64 v[34:35], v48 offset:5120
	ds_load_b64 v[36:37], v49 offset:7760
	s_wait_dscnt 0x0
	v_dual_mul_f32 v75, v37, v35 :: v_dual_mul_f32 v35, v36, v35
	s_delay_alu instid0(VALU_DEP_1) | instskip(NEXT) | instid1(VALU_DEP_1)
	v_fmac_f32_e32 v35, v37, v34
	v_dual_fma_f32 v36, v36, v34, -v75 :: v_dual_add_f32 v33, v33, v35
	s_delay_alu instid0(VALU_DEP_1)
	v_add_f32_e32 v32, v32, v36
	s_or_b32 exec_lo, exec_lo, s6
	s_and_saveexec_b32 s6, s20
	s_cbranch_execz .LBB52_898
.LBB52_1092:                            ;   in Loop: Header=BB52_3 Depth=1
	ds_load_b64 v[34:35], v48 offset:5632
	ds_load_b64 v[36:37], v49 offset:7768
	s_wait_dscnt 0x0
	v_dual_mul_f32 v75, v37, v35 :: v_dual_mul_f32 v35, v36, v35
	s_delay_alu instid0(VALU_DEP_1) | instskip(NEXT) | instid1(VALU_DEP_1)
	v_fmac_f32_e32 v35, v37, v34
	v_dual_fma_f32 v36, v36, v34, -v75 :: v_dual_add_f32 v33, v33, v35
	s_delay_alu instid0(VALU_DEP_1)
	v_add_f32_e32 v32, v32, v36
	s_or_b32 exec_lo, exec_lo, s6
	s_and_saveexec_b32 s6, s21
	s_cbranch_execz .LBB52_899
.LBB52_1093:                            ;   in Loop: Header=BB52_3 Depth=1
	ds_load_b64 v[34:35], v48 offset:6144
	ds_load_b64 v[36:37], v49 offset:7776
	s_wait_dscnt 0x0
	v_dual_mul_f32 v75, v37, v35 :: v_dual_mul_f32 v35, v36, v35
	s_delay_alu instid0(VALU_DEP_1) | instskip(NEXT) | instid1(VALU_DEP_1)
	v_fmac_f32_e32 v35, v37, v34
	v_dual_fma_f32 v36, v36, v34, -v75 :: v_dual_add_f32 v33, v33, v35
	s_delay_alu instid0(VALU_DEP_1)
	v_add_f32_e32 v32, v32, v36
	s_or_b32 exec_lo, exec_lo, s6
	s_and_saveexec_b32 s6, s22
	s_cbranch_execz .LBB52_900
.LBB52_1094:                            ;   in Loop: Header=BB52_3 Depth=1
	ds_load_b64 v[34:35], v48 offset:6656
	ds_load_b64 v[36:37], v49 offset:7784
	s_wait_dscnt 0x0
	v_dual_mul_f32 v75, v37, v35 :: v_dual_mul_f32 v35, v36, v35
	s_delay_alu instid0(VALU_DEP_1) | instskip(NEXT) | instid1(VALU_DEP_1)
	v_fmac_f32_e32 v35, v37, v34
	v_dual_fma_f32 v36, v36, v34, -v75 :: v_dual_add_f32 v33, v33, v35
	s_delay_alu instid0(VALU_DEP_1)
	v_add_f32_e32 v32, v32, v36
	s_or_b32 exec_lo, exec_lo, s6
	s_and_saveexec_b32 s6, s2
	s_cbranch_execz .LBB52_901
.LBB52_1095:                            ;   in Loop: Header=BB52_3 Depth=1
	ds_load_b64 v[34:35], v48 offset:7168
	ds_load_b64 v[36:37], v49 offset:7792
	s_wait_dscnt 0x0
	v_dual_mul_f32 v75, v37, v35 :: v_dual_mul_f32 v35, v36, v35
	s_delay_alu instid0(VALU_DEP_1) | instskip(NEXT) | instid1(VALU_DEP_1)
	v_fmac_f32_e32 v35, v37, v34
	v_dual_fma_f32 v36, v36, v34, -v75 :: v_dual_add_f32 v33, v33, v35
	s_delay_alu instid0(VALU_DEP_1)
	v_add_f32_e32 v32, v32, v36
	s_or_b32 exec_lo, exec_lo, s6
	s_and_saveexec_b32 s6, s17
	s_cbranch_execnz .LBB52_902
	s_branch .LBB52_903
.LBB52_1096:                            ;   in Loop: Header=BB52_3 Depth=1
	ds_load_b64 v[34:35], v44 offset:2560
	ds_load_b64 v[36:37], v45 offset:3624
	s_wait_dscnt 0x0
	v_dual_mul_f32 v75, v37, v35 :: v_dual_mul_f32 v35, v36, v35
	s_delay_alu instid0(VALU_DEP_1) | instskip(NEXT) | instid1(VALU_DEP_1)
	v_fmac_f32_e32 v35, v37, v34
	v_dual_fma_f32 v36, v36, v34, -v75 :: v_dual_add_f32 v33, v33, v35
	s_delay_alu instid0(VALU_DEP_1)
	v_add_f32_e32 v32, v32, v36
	s_or_b32 exec_lo, exec_lo, s6
	s_and_saveexec_b32 s6, s17
	s_cbranch_execz .LBB52_955
.LBB52_1097:                            ;   in Loop: Header=BB52_3 Depth=1
	ds_load_b64 v[34:35], v44 offset:3072
	ds_load_b64 v[36:37], v45 offset:3632
	s_wait_dscnt 0x0
	v_dual_mul_f32 v75, v37, v35 :: v_dual_mul_f32 v35, v36, v35
	s_delay_alu instid0(VALU_DEP_1) | instskip(NEXT) | instid1(VALU_DEP_1)
	v_fmac_f32_e32 v35, v37, v34
	v_dual_fma_f32 v36, v36, v34, -v75 :: v_dual_add_f32 v33, v33, v35
	s_delay_alu instid0(VALU_DEP_1)
	v_add_f32_e32 v32, v32, v36
	s_or_b32 exec_lo, exec_lo, s6
	s_and_saveexec_b32 s6, s1
	s_cbranch_execnz .LBB52_956
	s_branch .LBB52_957
.LBB52_1098:
	s_endpgm
	.section	.rodata,"a",@progbits
	.p2align	6, 0x0
	.amdhsa_kernel _ZL19rocblas_trsv_deviceILi64ELi16ELb0ELb0ELb0ELb0E19rocblas_complex_numIfEPKS1_S3_PS1_EviT7_lllT6_T8_lllPii
		.amdhsa_group_segment_fixed_size 41480
		.amdhsa_private_segment_fixed_size 48
		.amdhsa_kernarg_size 352
		.amdhsa_user_sgpr_count 2
		.amdhsa_user_sgpr_dispatch_ptr 0
		.amdhsa_user_sgpr_queue_ptr 0
		.amdhsa_user_sgpr_kernarg_segment_ptr 1
		.amdhsa_user_sgpr_dispatch_id 0
		.amdhsa_user_sgpr_kernarg_preload_length 0
		.amdhsa_user_sgpr_kernarg_preload_offset 0
		.amdhsa_user_sgpr_private_segment_size 0
		.amdhsa_wavefront_size32 1
		.amdhsa_uses_dynamic_stack 0
		.amdhsa_enable_private_segment 1
		.amdhsa_system_sgpr_workgroup_id_x 1
		.amdhsa_system_sgpr_workgroup_id_y 0
		.amdhsa_system_sgpr_workgroup_id_z 1
		.amdhsa_system_sgpr_workgroup_info 0
		.amdhsa_system_vgpr_workitem_id 1
		.amdhsa_next_free_vgpr 87
		.amdhsa_next_free_sgpr 105
		.amdhsa_named_barrier_count 0
		.amdhsa_reserve_vcc 1
		.amdhsa_float_round_mode_32 0
		.amdhsa_float_round_mode_16_64 0
		.amdhsa_float_denorm_mode_32 3
		.amdhsa_float_denorm_mode_16_64 3
		.amdhsa_fp16_overflow 0
		.amdhsa_memory_ordered 1
		.amdhsa_forward_progress 1
		.amdhsa_inst_pref_size 255
		.amdhsa_round_robin_scheduling 0
		.amdhsa_exception_fp_ieee_invalid_op 0
		.amdhsa_exception_fp_denorm_src 0
		.amdhsa_exception_fp_ieee_div_zero 0
		.amdhsa_exception_fp_ieee_overflow 0
		.amdhsa_exception_fp_ieee_underflow 0
		.amdhsa_exception_fp_ieee_inexact 0
		.amdhsa_exception_int_div_zero 0
	.end_amdhsa_kernel
	.section	.text._ZL19rocblas_trsv_deviceILi64ELi16ELb0ELb0ELb0ELb0E19rocblas_complex_numIfEPKS1_S3_PS1_EviT7_lllT6_T8_lllPii,"axG",@progbits,_ZL19rocblas_trsv_deviceILi64ELi16ELb0ELb0ELb0ELb0E19rocblas_complex_numIfEPKS1_S3_PS1_EviT7_lllT6_T8_lllPii,comdat
.Lfunc_end52:
	.size	_ZL19rocblas_trsv_deviceILi64ELi16ELb0ELb0ELb0ELb0E19rocblas_complex_numIfEPKS1_S3_PS1_EviT7_lllT6_T8_lllPii, .Lfunc_end52-_ZL19rocblas_trsv_deviceILi64ELi16ELb0ELb0ELb0ELb0E19rocblas_complex_numIfEPKS1_S3_PS1_EviT7_lllT6_T8_lllPii
                                        ; -- End function
	.set _ZL19rocblas_trsv_deviceILi64ELi16ELb0ELb0ELb0ELb0E19rocblas_complex_numIfEPKS1_S3_PS1_EviT7_lllT6_T8_lllPii.num_vgpr, 87
	.set _ZL19rocblas_trsv_deviceILi64ELi16ELb0ELb0ELb0ELb0E19rocblas_complex_numIfEPKS1_S3_PS1_EviT7_lllT6_T8_lllPii.num_agpr, 0
	.set _ZL19rocblas_trsv_deviceILi64ELi16ELb0ELb0ELb0ELb0E19rocblas_complex_numIfEPKS1_S3_PS1_EviT7_lllT6_T8_lllPii.numbered_sgpr, 105
	.set _ZL19rocblas_trsv_deviceILi64ELi16ELb0ELb0ELb0ELb0E19rocblas_complex_numIfEPKS1_S3_PS1_EviT7_lllT6_T8_lllPii.num_named_barrier, 0
	.set _ZL19rocblas_trsv_deviceILi64ELi16ELb0ELb0ELb0ELb0E19rocblas_complex_numIfEPKS1_S3_PS1_EviT7_lllT6_T8_lllPii.private_seg_size, 48
	.set _ZL19rocblas_trsv_deviceILi64ELi16ELb0ELb0ELb0ELb0E19rocblas_complex_numIfEPKS1_S3_PS1_EviT7_lllT6_T8_lllPii.uses_vcc, 1
	.set _ZL19rocblas_trsv_deviceILi64ELi16ELb0ELb0ELb0ELb0E19rocblas_complex_numIfEPKS1_S3_PS1_EviT7_lllT6_T8_lllPii.uses_flat_scratch, 0
	.set _ZL19rocblas_trsv_deviceILi64ELi16ELb0ELb0ELb0ELb0E19rocblas_complex_numIfEPKS1_S3_PS1_EviT7_lllT6_T8_lllPii.has_dyn_sized_stack, 0
	.set _ZL19rocblas_trsv_deviceILi64ELi16ELb0ELb0ELb0ELb0E19rocblas_complex_numIfEPKS1_S3_PS1_EviT7_lllT6_T8_lllPii.has_recursion, 0
	.set _ZL19rocblas_trsv_deviceILi64ELi16ELb0ELb0ELb0ELb0E19rocblas_complex_numIfEPKS1_S3_PS1_EviT7_lllT6_T8_lllPii.has_indirect_call, 0
	.section	.AMDGPU.csdata,"",@progbits
; Kernel info:
; codeLenInByte = 51800
; TotalNumSgprs: 107
; NumVgprs: 87
; ScratchSize: 48
; MemoryBound: 0
; FloatMode: 240
; IeeeMode: 1
; LDSByteSize: 41480 bytes/workgroup (compile time only)
; SGPRBlocks: 0
; VGPRBlocks: 5
; NumSGPRsForWavesPerEU: 107
; NumVGPRsForWavesPerEU: 87
; NamedBarCnt: 0
; Occupancy: 10
; WaveLimiterHint : 0
; COMPUTE_PGM_RSRC2:SCRATCH_EN: 1
; COMPUTE_PGM_RSRC2:USER_SGPR: 2
; COMPUTE_PGM_RSRC2:TRAP_HANDLER: 0
; COMPUTE_PGM_RSRC2:TGID_X_EN: 1
; COMPUTE_PGM_RSRC2:TGID_Y_EN: 0
; COMPUTE_PGM_RSRC2:TGID_Z_EN: 1
; COMPUTE_PGM_RSRC2:TIDIG_COMP_CNT: 1
	.section	.text._ZL19rocblas_trsv_deviceILi64ELi16ELb0ELb1ELb0ELb0E19rocblas_complex_numIfEPKS1_S3_PS1_EviT7_lllT6_T8_lllPii,"axG",@progbits,_ZL19rocblas_trsv_deviceILi64ELi16ELb0ELb1ELb0ELb0E19rocblas_complex_numIfEPKS1_S3_PS1_EviT7_lllT6_T8_lllPii,comdat
	.globl	_ZL19rocblas_trsv_deviceILi64ELi16ELb0ELb1ELb0ELb0E19rocblas_complex_numIfEPKS1_S3_PS1_EviT7_lllT6_T8_lllPii ; -- Begin function _ZL19rocblas_trsv_deviceILi64ELi16ELb0ELb1ELb0ELb0E19rocblas_complex_numIfEPKS1_S3_PS1_EviT7_lllT6_T8_lllPii
	.p2align	8
	.type	_ZL19rocblas_trsv_deviceILi64ELi16ELb0ELb1ELb0ELb0E19rocblas_complex_numIfEPKS1_S3_PS1_EviT7_lllT6_T8_lllPii,@function
_ZL19rocblas_trsv_deviceILi64ELi16ELb0ELb1ELb0ELb0E19rocblas_complex_numIfEPKS1_S3_PS1_EviT7_lllT6_T8_lllPii: ; @_ZL19rocblas_trsv_deviceILi64ELi16ELb0ELb1ELb0ELb0E19rocblas_complex_numIfEPKS1_S3_PS1_EviT7_lllT6_T8_lllPii
; %bb.0:
	s_load_b32 s88, s[0:1], 0x58
	s_bfe_u32 s2, ttmp6, 0x40014
	s_lshr_b32 s3, ttmp7, 16
	s_add_co_i32 s2, s2, 1
	s_bfe_u32 s5, ttmp6, 0x40008
	s_mul_i32 s4, s3, s2
	s_getreg_b32 s2, hwreg(HW_REG_IB_STS2, 6, 4)
	s_add_co_i32 s5, s5, s4
	s_cmp_eq_u32 s2, 0
	s_mov_b32 s85, 0
	s_cselect_b32 s84, s3, s5
	s_wait_kmcnt 0x0
	s_cmp_ge_u32 s84, s88
	s_cbranch_scc1 .LBB53_1160
; %bb.1:
	s_clause 0x2
	s_load_b512 s[64:79], s[0:1], 0x8
	s_load_b32 s3, s[0:1], 0x6c
	s_load_b32 s89, s[0:1], 0x0
	s_bfe_u32 s5, ttmp6, 0x4000c
	s_and_b32 s4, ttmp6, 15
	s_add_co_i32 s5, s5, 1
	s_load_b128 s[80:83], s[0:1], 0x48
	s_wait_xcnt 0x0
	s_mul_i32 s0, ttmp9, s5
	v_and_b32_e32 v2, 0x3ff, v0
	s_add_co_i32 s6, s4, s0
	v_mov_b32_e32 v1, 0
                                        ; implicit-def: $vgpr105 : SGPR spill to VGPR lane
	v_bfe_u32 v44, v0, 10, 10
                                        ; implicit-def: $vgpr104 : SGPR spill to VGPR lane
	s_delay_alu instid0(VALU_DEP_3) | instskip(NEXT) | instid1(VALU_DEP_3)
	v_dual_lshlrev_b32 v10, 6, v2 :: v_dual_bitop2_b32 v64, 31, v0 bitop3:0x40
	v_dual_mov_b32 v5, v1 :: v_dual_lshlrev_b32 v48, 3, v2
	v_mov_b32_e32 v3, v1
	s_delay_alu instid0(VALU_DEP_4)
	v_lshl_add_u32 v34, v44, 6, v2
	v_dual_add_nc_u32 v29, 32, v44 :: v_dual_add_nc_u32 v32, 48, v44
	s_wait_kmcnt 0x0
	s_lshl_b64 s[0:1], s[66:67], 3
	s_lshl_b64 s[4:5], s[76:77], 3
	s_cmp_eq_u32 s2, 0
	s_add_nc_u64 s[0:1], s[64:65], s[0:1]
	s_cselect_b32 s90, ttmp9, s6
	s_add_co_i32 s2, s89, -1
	s_and_b32 s6, s3, 0xffff
	s_ashr_i32 s3, s89, 31
	s_ashr_i32 s7, s2, 31
	s_lshr_b32 s3, s3, 26
	s_lshr_b32 s7, s7, 26
	s_add_co_i32 s3, s89, s3
	s_add_co_i32 s2, s2, s7
	s_and_not1_b32 s3, s3, 63
	s_ashr_i32 s2, s2, 6
	s_sub_co_i32 s9, s89, s3
	v_writelane_b32 v105, s0, 0
	s_cmp_eq_u32 s2, s90
	s_add_nc_u64 s[2:3], s[68:69], 1
	s_cselect_b32 s7, -1, 0
	s_cmp_lg_u32 s9, 0
	v_writelane_b32 v105, s1, 1
	s_cselect_b32 s0, -1, 0
	s_lshl_b32 s10, s90, 6
	v_sub_co_u32 v45, s1, s90, 1
	s_and_b32 s15, s0, s7
	v_dual_add_nc_u32 v28, 16, v44 :: v_dual_add_nc_u32 v12, s10, v44
	s_xor_b32 s0, s1, -1
	s_xor_b32 s92, s15, -1
	v_mad_nc_u64_u32 v[20:21], s2, s10, v[2:3]
	v_add_nc_u32_e32 v3, v44, v10
	s_cmp_lt_i32 s90, 5
	v_lshl_add_u32 v13, v28, 6, v2
	s_cselect_b32 vcc_lo, -1, 0
	s_delay_alu instid0(VALU_DEP_2) | instid1(SALU_CYCLE_1)
	v_dual_add_nc_u32 v18, s10, v2 :: v_dual_cndmask_b32 v24, v34, v3, vcc_lo
	v_lshrrev_b32_e32 v3, 1, v34
	v_add_nc_u32_e32 v11, v28, v10
	s_add_nc_u64 s[4:5], s[74:75], s[4:5]
	s_or_b32 vcc_lo, vcc_lo, s15
	v_writelane_b32 v105, s4, 2
	v_dual_lshlrev_b32 v14, 9, v3 :: v_dual_ashrrev_i32 v19, 31, v18
	v_dual_cndmask_b32 v25, v13, v11, vcc_lo :: v_dual_bitop2_b32 v13, 1, v0 bitop3:0x40
	v_writelane_b32 v105, s5, 3
	v_subrev_nc_u32_e32 v6, 64, v12
	s_ashr_i32 s11, s10, 31
	s_mul_i32 s1, s3, s10
	v_lshlrev_b32_e32 v46, 3, v13
	v_writelane_b32 v105, s0, 4
	s_mul_i32 s0, s2, s11
	v_dual_ashrrev_i32 v7, 31, v6 :: v_dual_lshrrev_b32 v11, 10, v0
	v_add3_u32 v21, s0, s1, v21
	v_cmp_gt_u32_e64 s0, 4, v34
	v_dual_sub_nc_u32 v47, 0, v14 :: v_dual_sub_nc_u32 v49, v46, v14
	v_cmp_eq_u32_e64 s2, 1, v13
	v_cmp_eq_u32_e64 s3, 0, v13
	v_and_b32_e32 v14, 3, v0
	v_bitop3_b32 v35, v0, v11, 0x3ff bitop3:0xa8
	v_lshrrev_b32_e32 v11, 2, v34
	s_and_b32 s94, s2, s0
	s_and_b32 s95, s3, s0
	v_cmp_gt_u32_e64 s2, 16, v34
	v_cmp_eq_u32_e64 s3, 3, v14
	v_cmp_eq_u32_e64 s1, 0, v44
	v_cmp_gt_u32_e64 s4, 2, v2
	v_dual_lshlrev_b32 v15, 9, v11 :: v_dual_lshlrev_b32 v52, 3, v14
	s_and_b32 s97, s3, s2
	v_cmp_eq_u32_e64 s3, 2, v14
	v_mad_u32_u24 v4, v44, s6, v2
	s_and_b32 s96, s1, s4
	v_sub_nc_u32_e32 v53, 0, v15
	v_lshl_add_u32 v51, v11, 3, 0x8000
	v_cmp_ne_u32_e64 s4, 3, v14
	v_cmp_gt_u32_e64 s5, 2, v14
	v_cmp_eq_u32_e64 s6, 1, v14
	v_cmp_eq_u32_e64 s7, 0, v14
	s_and_b32 s99, s3, s2
	v_cmp_gt_u32_e64 s3, 4, v2
	v_dual_sub_nc_u32 v56, v52, v15 :: v_dual_bitop2_b32 v11, -8, v34 bitop3:0x40
	v_dual_lshlrev_b32 v14, 6, v34 :: v_dual_bitop2_b32 v15, 7, v0 bitop3:0x40
	s_and_b32 s98, s4, s2
	s_and_b32 s103, s1, s3
	v_cmp_gt_u32_e64 s3, 64, v34
	s_and_b32 s100, s5, s2
	v_cmp_eq_u32_e64 s4, 7, v15
	v_cmp_ne_u32_e64 s5, 7, v15
	s_and_b32 s101, s6, s2
	v_cmp_eq_u32_e64 s6, 6, v15
	s_and_b32 s102, s7, s2
	s_and_b32 s104, s4, s3
	v_cmp_gt_u32_e64 s4, 6, v15
	s_and_b32 vcc_hi, s5, s3
	v_cmp_eq_u32_e64 s5, 5, v15
	s_and_b32 s39, s6, s3
	v_cmp_gt_u32_e64 s6, 5, v15
	s_and_b32 s40, s4, s3
	v_cmp_eq_u32_e64 s4, 4, v15
	v_cmp_gt_u32_e64 s7, 4, v15
	s_and_b32 s41, s5, s3
	v_cmp_eq_u32_e64 s5, 3, v15
	v_lshlrev_b32_e32 v58, 3, v15
	s_and_b32 s43, s4, s3
	v_cmp_gt_u32_e64 s4, 3, v15
	s_and_b32 s42, s6, s3
	s_and_b32 s44, s7, s3
	v_cmp_eq_u32_e64 s6, 2, v15
	s_and_b32 s45, s5, s3
	v_cmp_gt_u32_e64 s5, 2, v15
	v_cmp_eq_u32_e64 s7, 1, v15
	s_and_b32 s46, s4, s3
	v_cmp_eq_u32_e64 s4, 0, v15
	v_lshl_add_u32 v15, v29, 6, v2
	v_add_nc_u32_e32 v57, 0x8000, v11
	v_and_b32_e32 v11, 0xfffffe00, v14
	s_and_b32 s48, s5, s3
	v_cmp_gt_u32_e64 s5, 8, v2
	v_lshrrev_b32_e32 v14, 4, v34
	s_and_b32 s50, s4, s3
	v_dual_sub_nc_u32 v59, 0, v11 :: v_dual_sub_nc_u32 v60, v58, v11
	v_and_b32_e32 v11, 15, v0
	s_and_b32 s51, s1, s5
	v_lshl_add_u32 v61, v14, 3, 0x8000
	v_lshlrev_b32_e32 v14, 9, v14
	v_cmp_gt_u32_e64 s4, 0x100, v34
	v_cmp_eq_u32_e64 s5, 15, v11
	s_and_b32 s47, s6, s3
	v_cmp_ne_u32_e64 s6, 15, v11
	s_and_b32 s49, s7, s3
	v_cmp_eq_u32_e64 s7, 14, v11
	s_and_b32 s5, s5, s4
	v_cmp_gt_u32_e64 s8, 14, v11
	v_writelane_b32 v105, s5, 5
	s_and_b32 s5, s6, s4
	s_and_b32 s6, s7, s4
	v_cmp_eq_u32_e64 s7, 12, v11
	s_and_b32 s55, s8, s4
	v_writelane_b32 v105, s5, 6
	v_cmp_eq_u32_e64 s5, 13, v11
	v_cmp_eq_u32_e64 s8, 11, v11
	s_and_b32 s58, s7, s4
	v_cmp_gt_u32_e64 s7, 10, v11
	v_writelane_b32 v105, s6, 7
	v_cmp_gt_u32_e64 s6, 13, v11
	s_and_b32 s56, s5, s4
	v_cmp_gt_u32_e64 s5, 12, v11
	s_and_b32 s60, s8, s4
	;; [unrolled: 2-line block ×4, first 2 shown]
	v_cmp_eq_u32_e64 s5, 10, v11
	s_and_b32 s63, s7, s4
	s_and_b32 s65, s8, s4
	;; [unrolled: 1-line block ×3, first 2 shown]
	v_cmp_eq_u32_e64 s6, 9, v11
	s_and_b32 s62, s5, s4
	v_cmp_eq_u32_e64 s5, 8, v11
	v_cmp_eq_u32_e64 s7, 7, v11
	v_cmp_eq_u32_e64 s8, 6, v11
	s_and_b32 s64, s6, s4
	v_cmp_gt_u32_e64 s6, 8, v11
	s_and_b32 s12, s5, s4
	v_cmp_gt_u32_e64 s5, 7, v11
	s_and_b32 s23, s7, s4
	s_and_b32 s27, s8, s4
	;; [unrolled: 1-line block ×3, first 2 shown]
	v_cmp_gt_u32_e64 s6, 6, v11
	s_and_b32 s25, s5, s4
	v_cmp_eq_u32_e64 s5, 5, v11
	v_cmp_gt_u32_e64 s7, 5, v11
	v_cmp_gt_u32_e64 s8, 4, v11
	s_and_b32 s29, s6, s4
	v_cmp_eq_u32_e64 s6, 4, v11
	s_and_b32 s31, s5, s4
	v_cmp_eq_u32_e64 s5, 3, v11
	v_dual_lshlrev_b32 v62, 3, v11 :: v_dual_sub_nc_u32 v63, 0, v14
	s_and_b32 s38, s6, s4
	v_cmp_gt_u32_e64 s6, 3, v11
	s_and_b32 s26, s5, s4
	v_cmp_gt_u32_e64 s5, 2, v11
	s_and_b32 s34, s7, s4
	s_and_b32 s24, s8, s4
	v_cmp_eq_u32_e64 s7, 2, v11
	v_cmp_eq_u32_e64 s8, 1, v11
	s_and_b32 s28, s6, s4
	v_cmp_eq_u32_e64 s6, 0, v11
	s_and_b32 s33, s5, s4
	v_cmp_gt_u32_e64 s5, 16, v2
	v_lshrrev_b32_e32 v11, 5, v34
	v_cmp_le_i32_e64 s14, s9, v2
	v_sub_nc_u32_e32 v65, v62, v14
	v_add_nc_u64_e32 v[22:23], s[10:11], v[4:5]
	s_and_b32 s74, s1, s5
	v_dual_lshlrev_b32 v14, 9, v11 :: v_dual_lshlrev_b32 v5, 3, v64
	v_lshl_add_u32 v66, v11, 3, 0x8000
	v_cmp_gt_u32_e64 s5, 32, v2
	v_dual_add_nc_u32 v11, v29, v10 :: v_dual_add_nc_u32 v10, v32, v10
	v_lshlrev_b32_e32 v78, 3, v24
	v_lshl_add_u32 v16, v32, 6, v2
	s_and_b32 s75, s14, s15
	s_xor_b32 s93, vcc_lo, -1
	s_and_b32 s77, s6, s4
	s_delay_alu instid0(VALU_DEP_1)
	v_dual_cndmask_b32 v26, v15, v11 :: v_dual_cndmask_b32 v27, v16, v10
	v_lshlrev_b32_e32 v79, 3, v25
	s_xor_b32 s6, s75, -1
	s_and_b32 s5, s1, s5
	v_cmp_gt_i32_e32 vcc_lo, s9, v2
	s_and_b32 s30, s7, s4
	s_and_b32 s76, s8, s4
	v_dual_add_nc_u32 v0, s10, v4 :: v_dual_sub_nc_u32 v67, 0, v14
	v_writelane_b32 v105, s5, 8
	s_and_b32 s10, s1, s6
	s_cmp_gt_i32 s90, 0
	v_mul_u64_e32 v[8:9], s[68:69], v[18:19]
	s_cselect_b32 s11, -1, 0
	s_and_b32 s5, s1, vcc_lo
	v_mul_u64_e32 v[10:11], s[78:79], v[18:19]
	v_subrev_nc_u32_e32 v19, 48, v12
	v_writelane_b32 v105, s5, 9
	v_cmp_gt_i32_e64 s5, s89, v18
	v_cmp_gt_i32_e32 vcc_lo, s89, v6
	v_subrev_nc_u32_e32 v30, 32, v12
	v_cmp_gt_i32_e64 s6, s89, v19
	v_cmp_ne_u32_e64 s16, v2, v28
	v_cmp_ne_u32_e64 s17, v2, v29
	s_and_b32 s7, vcc_lo, s5
	v_cmp_gt_i32_e32 vcc_lo, s89, v30
	v_writelane_b32 v105, s7, 10
	s_and_b32 s6, s6, s5
	v_mad_u32_u24 v50, 0x1f8, v2, v48
	v_cmp_ne_u32_e64 s18, v2, v32
	v_cmp_gt_u32_e64 s35, 0xf0, v34
	v_writelane_b32 v105, s6, 11
	s_and_b32 s6, vcc_lo, s5
	v_cmp_le_i32_e32 vcc_lo, s9, v44
	v_mad_i32_i24 v55, 0xfffffe08, v2, v50
	v_add_max_i32_e64 v36, v12, -16, v18
	v_writelane_b32 v105, s6, 12
	v_cmp_ge_u32_e64 s6, v2, v44
	s_or_b32 s7, vcc_lo, s14
	v_cmp_le_i32_e32 vcc_lo, s9, v28
	v_mad_u32_u24 v69, 0x1f8, v2, v55
	v_mul_u64_e32 v[18:19], s[78:79], v[22:23]
	s_or_b32 s7, s7, s6
	v_dual_lshlrev_b32 v22, 3, v44 :: v_dual_mov_b32 v30, 0
	v_writelane_b32 v105, s7, 13
	v_cmp_ge_u32_e64 s7, v2, v28
	s_or_b32 s8, vcc_lo, s14
	v_cmp_le_i32_e32 vcc_lo, s9, v29
	v_mad_i32_i24 v70, 0xfffffe08, v2, v69
	v_or_b32_e32 v85, 0xa000, v22
	s_or_b32 s8, s8, s7
	v_cmp_le_i32_e64 s52, s89, v36
	v_writelane_b32 v105, s8, 14
	v_cmp_ge_u32_e64 s8, v2, v29
	s_or_b32 s15, vcc_lo, s14
	v_cmp_le_i32_e32 vcc_lo, s9, v32
	v_mad_u32_u24 v71, 0x1f8, v2, v70
	v_or_b32_e32 v37, v28, v2
	s_or_b32 s9, s15, s8
	v_or_b32_e32 v38, v29, v2
	v_writelane_b32 v105, s9, 15
	v_cmp_ge_u32_e64 s9, v2, v32
	s_or_b32 s15, vcc_lo, s14
	v_mad_i32_i24 v72, 0xfffffe08, v2, v71
	v_dual_lshlrev_b32 v81, 3, v26 :: v_dual_lshlrev_b32 v82, 3, v27
	s_or_b32 s15, s15, s9
	v_or_b32_e32 v39, v32, v2
	v_writelane_b32 v105, s15, 16
	v_cmp_ne_u32_e64 s15, v2, v44
	v_mad_u32_u24 v74, 0x1f8, v2, v72
	v_mul_i32_i24_e32 v54, 0xfffffe08, v2
	v_mul_u32_u24_e32 v13, 0x1f8, v2
	v_cmp_lt_u32_e32 vcc_lo, 0x3ff, v34
	v_writelane_b32 v105, s15, 17
	s_or_b32 s15, s14, s15
	v_mad_i32_i24 v75, 0xfffffe08, v2, v74
	v_mul_lo_u32 v17, v54, 6
	v_lshl_add_u32 v3, v3, 3, 0x8000
	v_writelane_b32 v105, s15, 18
	s_or_b32 s15, s14, s16
	v_mad_u32_u24 v76, 0x1f8, v2, v75
	v_lshl_add_u32 v88, v4, 3, 0xa000
	v_lshl_add_u32 v89, v34, 3, 0x8000
	v_writelane_b32 v105, s16, 19
	v_add_nc_u32_e32 v90, 0x8000, v48
	v_mad_i32_i24 v77, 0xfffffe08, v2, v76
	v_add_nc_u32_e32 v92, v85, v48
	v_mad_u32 v16, v13, 7, v17
	v_writelane_b32 v105, s15, 20
	s_or_b32 s15, s14, s17
	s_or_b32 s14, s14, s18
	v_mad_u32_u24 v80, 0x1f8, v2, v77
	v_mul_u32_u24_e32 v17, 0x1f0, v2
	v_writelane_b32 v105, s17, 21
	v_sub_nc_u32_e32 v68, v5, v14
	v_mad_nc_u64_u32 v[14:15], s68, v28, v[20:21]
	v_mad_i32_i24 v83, 0xfffffe08, v2, v80
	v_mad_nc_u64_u32 v[12:13], s68, v44, v[20:21]
	v_writelane_b32 v105, s15, 22
	v_sub_nc_u32_e32 v73, v16, v17
	v_mad_nc_u64_u32 v[16:17], s68, v29, v[20:21]
	v_mad_u32_u24 v84, 0x1f8, v2, v83
	v_mad_nc_u64_u32 v[20:21], s68, v32, v[20:21]
	v_writelane_b32 v105, s18, 23
	v_lshl_add_u32 v91, v44, 9, v77
	v_or_b32_e32 v93, 0x3c00, v5
	v_add_nc_u32_e32 v86, v84, v22
	v_mbcnt_lo_u32_b32 v22, -1, 0
	v_writelane_b32 v105, s14, 24
	v_mad_u32 v15, s69, v28, v15
	v_mad_u32 v13, s69, v44, v13
	;; [unrolled: 1-line block ×3, first 2 shown]
	v_lshlrev_b32_e32 v31, 20, v22
	v_writelane_b32 v105, s35, 25
	v_cmp_gt_u32_e64 s35, 0xe0, v34
	v_mad_u32 v21, s69, v32, v21
	v_mov_b64_e32 v[32:33], 0
	v_add_nc_u64_e32 v[22:23], src_flat_scratch_base_lo, v[30:31]
	v_mov_b32_e32 v30, 8
	v_writelane_b32 v105, s35, 26
	v_cmp_gt_u32_e64 s35, 0xd0, v34
	v_subrev_nc_u32_e32 v94, 31, v64
	v_cmp_eq_u32_e64 s14, 0, v35
	v_add_nc_u64_e32 v[24:25], src_flat_scratch_base_lo, v[30:31]
	v_mov_b32_e32 v30, 16
	v_writelane_b32 v105, s35, 27
	v_cmp_gt_u32_e64 s35, 0xc0, v34
	v_cmp_gt_u32_e64 s15, 2, v34
	;; [unrolled: 1-line block ×3, first 2 shown]
	v_add_nc_u64_e32 v[26:27], src_flat_scratch_base_lo, v[30:31]
	v_mov_b32_e32 v30, 24
	v_writelane_b32 v105, s35, 28
	v_cmp_gt_u32_e64 s35, 0xb0, v34
	v_cmp_gt_u32_e64 s17, 8, v34
	;; [unrolled: 1-line block ×3, first 2 shown]
	v_add_nc_u64_e32 v[28:29], src_flat_scratch_base_lo, v[30:31]
	v_lshlrev_b32_e32 v30, 9, v64
	v_writelane_b32 v105, s35, 29
	v_cmp_gt_u32_e64 s35, 0xa0, v34
	v_cmp_gt_u32_e64 s19, 48, v34
	;; [unrolled: 1-line block ×3, first 2 shown]
	v_add_nc_u32_e32 v87, v5, v30
	v_mul_u64_e32 v[30:31], s[78:79], v[0:1]
	v_writelane_b32 v105, s35, 30
	v_cmp_gt_u32_e64 s35, 0x90, v34
	v_cmp_gt_u32_e64 s21, 32, v34
	;; [unrolled: 1-line block ×3, first 2 shown]
	v_cmp_eq_u32_e64 s36, 0, v4
	v_cmp_gt_u32_e64 s37, 64, v4
	v_writelane_b32 v105, s35, 31
	v_cmp_gt_u32_e64 s35, 0x80, v34
	s_xor_b32 s91, vcc_lo, -1
	v_writelane_b32 v104, s35, 0
	v_cmp_gt_u32_e64 s35, 0x70, v34
	s_delay_alu instid0(VALU_DEP_1) | instskip(SKIP_1) | instid1(VALU_DEP_1)
	v_writelane_b32 v104, s35, 1
	v_cmp_gt_u32_e64 s35, 0x60, v34
	v_writelane_b32 v104, s35, 2
	v_cmp_gt_u32_e64 s35, 0x50, v34
	s_delay_alu instid0(VALU_DEP_1) | instskip(SKIP_3) | instid1(VALU_DEP_1)
	v_writelane_b32 v104, s35, 3
	v_cmp_gt_u32_e64 s35, 0x400, v34
	v_writelane_b32 v104, s52, 4
	v_cmp_gt_u32_e64 s52, 64, v35
	;; [unrolled: 2-line block ×3, first 2 shown]
	s_delay_alu instid0(VALU_DEP_1) | instskip(SKIP_1) | instid1(VALU_DEP_1)
	v_writelane_b32 v104, s52, 6
	v_cmp_gt_u32_e64 s52, 64, v38
	v_writelane_b32 v104, s52, 7
	v_cmp_gt_u32_e64 s52, 64, v39
	s_delay_alu instid0(VALU_DEP_1) | instskip(SKIP_1) | instid1(VALU_DEP_1)
	v_writelane_b32 v104, s52, 8
	v_cmp_gt_u32_e64 s52, 0x3e0, v34
	v_writelane_b32 v104, s52, 9
	v_cmp_gt_u32_e64 s52, 0x3c0, v34
	;; [unrolled: 5-line block ×12, first 2 shown]
	s_delay_alu instid0(VALU_DEP_1) | instskip(SKIP_1) | instid1(VALU_DEP_1)
	v_writelane_b32 v104, s52, 30
	v_cmp_gt_u32_e64 s52, 0x120, v34
	v_writelane_b32 v104, s52, 31
	s_branch .LBB53_3
.LBB53_2:                               ;   in Loop: Header=BB53_3 Depth=1
	s_wait_xcnt 0x0
	s_or_b32 exec_lo, exec_lo, s52
	s_add_co_i32 s84, s84, 0x10000
	global_wb scope:SCOPE_DEV
	s_wait_storecnt 0x0
	global_inv scope:SCOPE_DEV
	s_cmp_lt_u32 s84, s88
	s_cbranch_scc0 .LBB53_1160
.LBB53_3:                               ; =>This Loop Header: Depth=1
                                        ;     Child Loop BB53_571 Depth 2
                                        ;     Child Loop BB53_1011 Depth 2
                                        ;       Child Loop BB53_1013 Depth 3
                                        ;     Child Loop BB53_1042 Depth 2
	global_load_b64 v[36:37], v1, s[72:73]
	v_readlane_b32 s52, v105, 0
	v_readlane_b32 s53, v105, 1
	s_mul_u64 s[66:67], s[70:71], s[84:85]
	s_delay_alu instid0(SALU_CYCLE_1) | instskip(NEXT) | instid1(SALU_CYCLE_1)
	s_lshl_b64 s[66:67], s[66:67], 3
	s_add_nc_u64 s[66:67], s[52:53], s[66:67]
	v_readlane_b32 s52, v105, 4
	v_lshl_add_u64 v[34:35], v[8:9], 3, s[66:67]
	s_and_not1_b32 vcc_lo, exec_lo, s52
	s_cbranch_vccz .LBB53_6
; %bb.4:                                ;   in Loop: Header=BB53_3 Depth=1
	s_and_not1_b32 vcc_lo, exec_lo, s92
	s_mov_b32 s52, -1
	s_cbranch_vccz .LBB53_17
.LBB53_5:                               ;   in Loop: Header=BB53_3 Depth=1
	s_and_b32 vcc_lo, exec_lo, s52
	s_cbranch_vccnz .LBB53_27
	s_branch .LBB53_84
.LBB53_6:                               ;   in Loop: Header=BB53_3 Depth=1
	s_delay_alu instid0(VALU_DEP_1)
	v_lshl_add_u64 v[38:39], v[6:7], 3, v[34:35]
	v_dual_mov_b32 v40, 0 :: v_dual_mov_b32 v42, 0
	v_mov_b32_e32 v43, 0
	v_readlane_b32 s53, v105, 10
	s_wait_loadcnt 0x0
	s_barrier_signal -1
	s_barrier_wait -1
	s_wait_xcnt 0x0
	s_and_saveexec_b32 s52, s53
	s_cbranch_execz .LBB53_8
; %bb.7:                                ;   in Loop: Header=BB53_3 Depth=1
	global_load_b64 v[42:43], v[38:39], off
.LBB53_8:                               ;   in Loop: Header=BB53_3 Depth=1
	s_wait_xcnt 0x0
	s_or_b32 exec_lo, exec_lo, s52
	v_mov_b32_e32 v41, 0
	v_readlane_b32 s53, v105, 11
	s_wait_loadcnt 0x0
	scratch_store_b64 off, v[42:43], off
	s_wait_storecnt 0x0
	s_barrier_signal -1
	s_barrier_wait -1
	s_wait_xcnt 0x0
	s_and_saveexec_b32 s52, s53
	s_cbranch_execz .LBB53_10
; %bb.9:                                ;   in Loop: Header=BB53_3 Depth=1
	global_load_b64 v[40:41], v[38:39], off offset:128
.LBB53_10:                              ;   in Loop: Header=BB53_3 Depth=1
	s_wait_xcnt 0x0
	s_or_b32 exec_lo, exec_lo, s52
	s_wait_loadcnt 0x0
	scratch_store_b64 off, v[40:41], off offset:8
	s_wait_xcnt 0x0
	v_dual_mov_b32 v40, 0 :: v_dual_mov_b32 v41, 0
	v_readlane_b32 s53, v105, 12
	s_wait_storecnt 0x0
	s_barrier_signal -1
	s_barrier_wait -1
	s_and_saveexec_b32 s52, s53
	s_cbranch_execz .LBB53_12
; %bb.11:                               ;   in Loop: Header=BB53_3 Depth=1
	global_load_b64 v[40:41], v[38:39], off offset:256
.LBB53_12:                              ;   in Loop: Header=BB53_3 Depth=1
	s_wait_xcnt 0x0
	s_or_b32 exec_lo, exec_lo, s52
	v_readlane_b32 s53, v104, 4
	s_wait_loadcnt 0x0
	scratch_store_b64 off, v[40:41], off offset:16
	s_wait_storecnt 0x0
	s_barrier_signal -1
	s_barrier_wait -1
	s_wait_xcnt 0x0
	s_and_saveexec_b32 s52, s53
	s_delay_alu instid0(SALU_CYCLE_1)
	s_xor_b32 s52, exec_lo, s52
	s_cbranch_execz .LBB53_14
; %bb.13:                               ;   in Loop: Header=BB53_3 Depth=1
	scratch_store_b64 off, v[32:33], off offset:24
                                        ; implicit-def: $vgpr38_vgpr39
.LBB53_14:                              ;   in Loop: Header=BB53_3 Depth=1
	s_wait_xcnt 0x0
	s_and_not1_saveexec_b32 s52, s52
	s_cbranch_execz .LBB53_16
; %bb.15:                               ;   in Loop: Header=BB53_3 Depth=1
	global_load_b64 v[38:39], v[38:39], off offset:384
	s_wait_loadcnt 0x0
	scratch_store_b64 off, v[38:39], off offset:24
.LBB53_16:                              ;   in Loop: Header=BB53_3 Depth=1
	s_wait_xcnt 0x0
	s_or_b32 exec_lo, exec_lo, s52
	s_delay_alu instid0(SALU_CYCLE_1)
	s_and_not1_b32 vcc_lo, exec_lo, s92
	s_mov_b32 s52, -1
	s_cbranch_vccnz .LBB53_5
.LBB53_17:                              ;   in Loop: Header=BB53_3 Depth=1
	s_wait_xcnt 0x0
	s_and_saveexec_b32 s52, s6
	s_delay_alu instid0(SALU_CYCLE_1)
	s_xor_b32 s68, exec_lo, s52
	s_cbranch_execnz .LBB53_1055
; %bb.18:                               ;   in Loop: Header=BB53_3 Depth=1
	s_and_not1_saveexec_b32 s52, s68
	s_cbranch_execnz .LBB53_1066
.LBB53_19:                              ;   in Loop: Header=BB53_3 Depth=1
	s_or_b32 exec_lo, exec_lo, s52
	s_and_saveexec_b32 s52, s7
	s_delay_alu instid0(SALU_CYCLE_1)
	s_xor_b32 s68, exec_lo, s52
	s_cbranch_execnz .LBB53_1067
.LBB53_20:                              ;   in Loop: Header=BB53_3 Depth=1
	s_and_not1_saveexec_b32 s52, s68
	s_cbranch_execnz .LBB53_1078
.LBB53_21:                              ;   in Loop: Header=BB53_3 Depth=1
	s_or_b32 exec_lo, exec_lo, s52
	s_and_saveexec_b32 s52, s8
	s_delay_alu instid0(SALU_CYCLE_1)
	s_xor_b32 s68, exec_lo, s52
	s_cbranch_execnz .LBB53_1079
.LBB53_22:                              ;   in Loop: Header=BB53_3 Depth=1
	s_and_not1_saveexec_b32 s52, s68
	s_cbranch_execnz .LBB53_1090
.LBB53_23:                              ;   in Loop: Header=BB53_3 Depth=1
	s_or_b32 exec_lo, exec_lo, s52
	s_and_saveexec_b32 s52, s9
	s_delay_alu instid0(SALU_CYCLE_1)
	s_xor_b32 s68, exec_lo, s52
	s_cbranch_execnz .LBB53_1091
.LBB53_24:                              ;   in Loop: Header=BB53_3 Depth=1
	s_and_not1_saveexec_b32 s52, s68
	s_cbranch_execz .LBB53_26
.LBB53_25:                              ;   in Loop: Header=BB53_3 Depth=1
	v_lshl_add_u64 v[38:39], v[20:21], 3, s[66:67]
	global_load_b64 v[38:39], v[38:39], off
	s_wait_loadcnt 0x0
	v_pk_add_f32 v[38:39], v[38:39], 0 neg_lo:[1,1] neg_hi:[1,1]
	ds_store_b64 v82, v[38:39]
.LBB53_26:                              ;   in Loop: Header=BB53_3 Depth=1
	s_or_b32 exec_lo, exec_lo, s52
	s_branch .LBB53_84
.LBB53_27:                              ;   in Loop: Header=BB53_3 Depth=1
	v_readlane_b32 s53, v105, 13
	s_wait_xcnt 0x0
	s_and_saveexec_b32 s52, s53
	s_delay_alu instid0(SALU_CYCLE_1)
	s_xor_b32 s68, exec_lo, s52
	s_cbranch_execz .LBB53_39
; %bb.28:                               ;   in Loop: Header=BB53_3 Depth=1
	v_readlane_b32 s53, v105, 18
	s_and_saveexec_b32 s52, s53
	s_delay_alu instid0(SALU_CYCLE_1)
	s_xor_b32 s52, exec_lo, s52
	s_cbranch_execz .LBB53_32
; %bb.29:                               ;   in Loop: Header=BB53_3 Depth=1
	v_readlane_b32 s53, v104, 5
	s_and_saveexec_b32 s69, s53
; %bb.30:                               ;   in Loop: Header=BB53_3 Depth=1
	ds_store_b64 v86, v[32:33]
; %bb.31:                               ;   in Loop: Header=BB53_3 Depth=1
	s_or_b32 exec_lo, exec_lo, s69
.LBB53_32:                              ;   in Loop: Header=BB53_3 Depth=1
	s_and_not1_saveexec_b32 s69, s52
	s_cbranch_execz .LBB53_38
; %bb.33:                               ;   in Loop: Header=BB53_3 Depth=1
	v_lshl_add_u64 v[38:39], v[12:13], 3, s[66:67]
	s_mov_b32 s86, exec_lo
                                        ; implicit-def: $vgpr40_vgpr41
	global_load_b64 v[38:39], v[38:39], off
	s_wait_loadcnt 0x0
	v_cmpx_ngt_f32_e64 |v38|, |v39|
	s_xor_b32 s86, exec_lo, s86
	s_cbranch_execz .LBB53_35
; %bb.34:                               ;   in Loop: Header=BB53_3 Depth=1
	v_div_scale_f32 v0, null, v39, v39, v38
	v_div_scale_f32 v42, vcc_lo, v38, v39, v38
	s_delay_alu instid0(VALU_DEP_2) | instskip(SKIP_1) | instid1(TRANS32_DEP_1)
	v_rcp_f32_e32 v40, v0
	v_nop
	v_fma_f32 v41, -v0, v40, 1.0
	s_delay_alu instid0(VALU_DEP_1) | instskip(NEXT) | instid1(VALU_DEP_1)
	v_fmac_f32_e32 v40, v41, v40
	v_mul_f32_e32 v41, v42, v40
	s_delay_alu instid0(VALU_DEP_1) | instskip(NEXT) | instid1(VALU_DEP_1)
	v_fma_f32 v43, -v0, v41, v42
	v_fmac_f32_e32 v41, v43, v40
	s_delay_alu instid0(VALU_DEP_1) | instskip(NEXT) | instid1(VALU_DEP_1)
	v_fma_f32 v0, -v0, v41, v42
	v_div_fmas_f32 v0, v0, v40, v41
	s_delay_alu instid0(VALU_DEP_1) | instskip(NEXT) | instid1(VALU_DEP_1)
	v_div_fixup_f32 v0, v0, v39, v38
	v_fmac_f32_e32 v39, v38, v0
	s_delay_alu instid0(VALU_DEP_1) | instskip(SKIP_1) | instid1(VALU_DEP_2)
	v_div_scale_f32 v38, null, v39, v39, 1.0
	v_div_scale_f32 v42, vcc_lo, 1.0, v39, 1.0
	v_rcp_f32_e32 v40, v38
	v_nop
	s_delay_alu instid0(TRANS32_DEP_1) | instskip(NEXT) | instid1(VALU_DEP_1)
	v_fma_f32 v41, -v38, v40, 1.0
	v_fmac_f32_e32 v40, v41, v40
	s_delay_alu instid0(VALU_DEP_1) | instskip(NEXT) | instid1(VALU_DEP_1)
	v_mul_f32_e32 v41, v42, v40
	v_fma_f32 v43, -v38, v41, v42
	s_delay_alu instid0(VALU_DEP_1) | instskip(NEXT) | instid1(VALU_DEP_1)
	v_fmac_f32_e32 v41, v43, v40
	v_fma_f32 v38, -v38, v41, v42
	s_delay_alu instid0(VALU_DEP_1) | instskip(NEXT) | instid1(VALU_DEP_1)
	v_div_fmas_f32 v38, v38, v40, v41
	v_div_fixup_f32 v38, v38, v39, 1.0
	s_delay_alu instid0(VALU_DEP_1)
	v_mul_f32_e32 v40, v0, v38
	v_xor_b32_e32 v41, 0x80000000, v38
                                        ; implicit-def: $vgpr38_vgpr39
.LBB53_35:                              ;   in Loop: Header=BB53_3 Depth=1
	s_and_not1_saveexec_b32 s86, s86
	s_cbranch_execz .LBB53_37
; %bb.36:                               ;   in Loop: Header=BB53_3 Depth=1
	v_div_scale_f32 v0, null, v38, v38, v39
	v_div_scale_f32 v42, vcc_lo, v39, v38, v39
	s_delay_alu instid0(VALU_DEP_2) | instskip(SKIP_1) | instid1(TRANS32_DEP_1)
	v_rcp_f32_e32 v40, v0
	v_nop
	v_fma_f32 v41, -v0, v40, 1.0
	s_delay_alu instid0(VALU_DEP_1) | instskip(NEXT) | instid1(VALU_DEP_1)
	v_fmac_f32_e32 v40, v41, v40
	v_mul_f32_e32 v41, v42, v40
	s_delay_alu instid0(VALU_DEP_1) | instskip(NEXT) | instid1(VALU_DEP_1)
	v_fma_f32 v43, -v0, v41, v42
	v_fmac_f32_e32 v41, v43, v40
	s_delay_alu instid0(VALU_DEP_1) | instskip(NEXT) | instid1(VALU_DEP_1)
	v_fma_f32 v0, -v0, v41, v42
	v_div_fmas_f32 v0, v0, v40, v41
	s_delay_alu instid0(VALU_DEP_1) | instskip(NEXT) | instid1(VALU_DEP_1)
	v_div_fixup_f32 v0, v0, v38, v39
	v_fmac_f32_e32 v38, v39, v0
	s_delay_alu instid0(VALU_DEP_1) | instskip(NEXT) | instid1(VALU_DEP_1)
	v_div_scale_f32 v39, null, v38, v38, 1.0
	v_rcp_f32_e32 v40, v39
	v_nop
	s_delay_alu instid0(TRANS32_DEP_1) | instskip(NEXT) | instid1(VALU_DEP_1)
	v_fma_f32 v41, -v39, v40, 1.0
	v_fmac_f32_e32 v40, v41, v40
	v_div_scale_f32 v41, vcc_lo, 1.0, v38, 1.0
	s_delay_alu instid0(VALU_DEP_1) | instskip(NEXT) | instid1(VALU_DEP_1)
	v_mul_f32_e32 v42, v41, v40
	v_fma_f32 v43, -v39, v42, v41
	s_delay_alu instid0(VALU_DEP_1) | instskip(NEXT) | instid1(VALU_DEP_1)
	v_fmac_f32_e32 v42, v43, v40
	v_fma_f32 v39, -v39, v42, v41
	s_delay_alu instid0(VALU_DEP_1) | instskip(NEXT) | instid1(VALU_DEP_1)
	v_div_fmas_f32 v39, v39, v40, v42
	v_div_fixup_f32 v40, v39, v38, 1.0
	s_delay_alu instid0(VALU_DEP_1)
	v_mul_f32_e64 v41, v0, -v40
.LBB53_37:                              ;   in Loop: Header=BB53_3 Depth=1
	s_or_b32 exec_lo, exec_lo, s86
	ds_store_b64 v86, v[40:41]
.LBB53_38:                              ;   in Loop: Header=BB53_3 Depth=1
	s_or_b32 exec_lo, exec_lo, s69
.LBB53_39:                              ;   in Loop: Header=BB53_3 Depth=1
	s_and_not1_saveexec_b32 s52, s68
	s_cbranch_execz .LBB53_41
; %bb.40:                               ;   in Loop: Header=BB53_3 Depth=1
	v_lshl_add_u64 v[38:39], v[12:13], 3, s[66:67]
	global_load_b64 v[38:39], v[38:39], off
	s_wait_loadcnt 0x0
	v_pk_add_f32 v[38:39], v[38:39], 0 neg_lo:[1,1] neg_hi:[1,1]
	ds_store_b64 v86, v[38:39]
.LBB53_41:                              ;   in Loop: Header=BB53_3 Depth=1
	s_or_b32 exec_lo, exec_lo, s52
	v_readlane_b32 s53, v105, 14
	s_and_saveexec_b32 s52, s53
	s_delay_alu instid0(SALU_CYCLE_1)
	s_xor_b32 s68, exec_lo, s52
	s_cbranch_execz .LBB53_53
; %bb.42:                               ;   in Loop: Header=BB53_3 Depth=1
	v_readlane_b32 s53, v105, 20
	s_and_saveexec_b32 s52, s53
	s_delay_alu instid0(SALU_CYCLE_1)
	s_xor_b32 s52, exec_lo, s52
	s_cbranch_execz .LBB53_46
; %bb.43:                               ;   in Loop: Header=BB53_3 Depth=1
	v_readlane_b32 s53, v104, 6
	s_and_saveexec_b32 s69, s53
; %bb.44:                               ;   in Loop: Header=BB53_3 Depth=1
	ds_store_b64 v79, v[32:33]
; %bb.45:                               ;   in Loop: Header=BB53_3 Depth=1
	s_or_b32 exec_lo, exec_lo, s69
.LBB53_46:                              ;   in Loop: Header=BB53_3 Depth=1
	s_and_not1_saveexec_b32 s69, s52
	s_cbranch_execz .LBB53_52
; %bb.47:                               ;   in Loop: Header=BB53_3 Depth=1
	v_lshl_add_u64 v[38:39], v[14:15], 3, s[66:67]
	s_mov_b32 s86, exec_lo
                                        ; implicit-def: $vgpr40_vgpr41
	global_load_b64 v[38:39], v[38:39], off
	s_wait_loadcnt 0x0
	v_cmpx_ngt_f32_e64 |v38|, |v39|
	s_xor_b32 s86, exec_lo, s86
	s_cbranch_execz .LBB53_49
; %bb.48:                               ;   in Loop: Header=BB53_3 Depth=1
	v_div_scale_f32 v0, null, v39, v39, v38
	v_div_scale_f32 v42, vcc_lo, v38, v39, v38
	s_delay_alu instid0(VALU_DEP_2) | instskip(SKIP_1) | instid1(TRANS32_DEP_1)
	v_rcp_f32_e32 v40, v0
	v_nop
	v_fma_f32 v41, -v0, v40, 1.0
	s_delay_alu instid0(VALU_DEP_1) | instskip(NEXT) | instid1(VALU_DEP_1)
	v_fmac_f32_e32 v40, v41, v40
	v_mul_f32_e32 v41, v42, v40
	s_delay_alu instid0(VALU_DEP_1) | instskip(NEXT) | instid1(VALU_DEP_1)
	v_fma_f32 v43, -v0, v41, v42
	v_fmac_f32_e32 v41, v43, v40
	s_delay_alu instid0(VALU_DEP_1) | instskip(NEXT) | instid1(VALU_DEP_1)
	v_fma_f32 v0, -v0, v41, v42
	v_div_fmas_f32 v0, v0, v40, v41
	s_delay_alu instid0(VALU_DEP_1) | instskip(NEXT) | instid1(VALU_DEP_1)
	v_div_fixup_f32 v0, v0, v39, v38
	v_fmac_f32_e32 v39, v38, v0
	s_delay_alu instid0(VALU_DEP_1) | instskip(SKIP_1) | instid1(VALU_DEP_2)
	v_div_scale_f32 v38, null, v39, v39, 1.0
	v_div_scale_f32 v42, vcc_lo, 1.0, v39, 1.0
	v_rcp_f32_e32 v40, v38
	v_nop
	s_delay_alu instid0(TRANS32_DEP_1) | instskip(NEXT) | instid1(VALU_DEP_1)
	v_fma_f32 v41, -v38, v40, 1.0
	v_fmac_f32_e32 v40, v41, v40
	s_delay_alu instid0(VALU_DEP_1) | instskip(NEXT) | instid1(VALU_DEP_1)
	v_mul_f32_e32 v41, v42, v40
	v_fma_f32 v43, -v38, v41, v42
	s_delay_alu instid0(VALU_DEP_1) | instskip(NEXT) | instid1(VALU_DEP_1)
	v_fmac_f32_e32 v41, v43, v40
	v_fma_f32 v38, -v38, v41, v42
	s_delay_alu instid0(VALU_DEP_1) | instskip(NEXT) | instid1(VALU_DEP_1)
	v_div_fmas_f32 v38, v38, v40, v41
	v_div_fixup_f32 v38, v38, v39, 1.0
	s_delay_alu instid0(VALU_DEP_1)
	v_mul_f32_e32 v40, v0, v38
	v_xor_b32_e32 v41, 0x80000000, v38
                                        ; implicit-def: $vgpr38_vgpr39
.LBB53_49:                              ;   in Loop: Header=BB53_3 Depth=1
	s_and_not1_saveexec_b32 s86, s86
	s_cbranch_execz .LBB53_51
; %bb.50:                               ;   in Loop: Header=BB53_3 Depth=1
	v_div_scale_f32 v0, null, v38, v38, v39
	v_div_scale_f32 v42, vcc_lo, v39, v38, v39
	s_delay_alu instid0(VALU_DEP_2) | instskip(SKIP_1) | instid1(TRANS32_DEP_1)
	v_rcp_f32_e32 v40, v0
	v_nop
	v_fma_f32 v41, -v0, v40, 1.0
	s_delay_alu instid0(VALU_DEP_1) | instskip(NEXT) | instid1(VALU_DEP_1)
	v_fmac_f32_e32 v40, v41, v40
	v_mul_f32_e32 v41, v42, v40
	s_delay_alu instid0(VALU_DEP_1) | instskip(NEXT) | instid1(VALU_DEP_1)
	v_fma_f32 v43, -v0, v41, v42
	v_fmac_f32_e32 v41, v43, v40
	s_delay_alu instid0(VALU_DEP_1) | instskip(NEXT) | instid1(VALU_DEP_1)
	v_fma_f32 v0, -v0, v41, v42
	v_div_fmas_f32 v0, v0, v40, v41
	s_delay_alu instid0(VALU_DEP_1) | instskip(NEXT) | instid1(VALU_DEP_1)
	v_div_fixup_f32 v0, v0, v38, v39
	v_fmac_f32_e32 v38, v39, v0
	s_delay_alu instid0(VALU_DEP_1) | instskip(NEXT) | instid1(VALU_DEP_1)
	v_div_scale_f32 v39, null, v38, v38, 1.0
	v_rcp_f32_e32 v40, v39
	v_nop
	s_delay_alu instid0(TRANS32_DEP_1) | instskip(NEXT) | instid1(VALU_DEP_1)
	v_fma_f32 v41, -v39, v40, 1.0
	v_fmac_f32_e32 v40, v41, v40
	v_div_scale_f32 v41, vcc_lo, 1.0, v38, 1.0
	s_delay_alu instid0(VALU_DEP_1) | instskip(NEXT) | instid1(VALU_DEP_1)
	v_mul_f32_e32 v42, v41, v40
	v_fma_f32 v43, -v39, v42, v41
	s_delay_alu instid0(VALU_DEP_1) | instskip(NEXT) | instid1(VALU_DEP_1)
	v_fmac_f32_e32 v42, v43, v40
	v_fma_f32 v39, -v39, v42, v41
	s_delay_alu instid0(VALU_DEP_1) | instskip(NEXT) | instid1(VALU_DEP_1)
	v_div_fmas_f32 v39, v39, v40, v42
	v_div_fixup_f32 v40, v39, v38, 1.0
	s_delay_alu instid0(VALU_DEP_1)
	v_mul_f32_e64 v41, v0, -v40
.LBB53_51:                              ;   in Loop: Header=BB53_3 Depth=1
	s_or_b32 exec_lo, exec_lo, s86
	ds_store_b64 v79, v[40:41]
.LBB53_52:                              ;   in Loop: Header=BB53_3 Depth=1
	s_or_b32 exec_lo, exec_lo, s69
.LBB53_53:                              ;   in Loop: Header=BB53_3 Depth=1
	s_and_not1_saveexec_b32 s52, s68
	s_cbranch_execz .LBB53_55
; %bb.54:                               ;   in Loop: Header=BB53_3 Depth=1
	v_lshl_add_u64 v[38:39], v[14:15], 3, s[66:67]
	global_load_b64 v[38:39], v[38:39], off
	s_wait_loadcnt 0x0
	v_pk_add_f32 v[38:39], v[38:39], 0 neg_lo:[1,1] neg_hi:[1,1]
	ds_store_b64 v79, v[38:39]
.LBB53_55:                              ;   in Loop: Header=BB53_3 Depth=1
	s_or_b32 exec_lo, exec_lo, s52
	v_readlane_b32 s53, v105, 15
	s_and_saveexec_b32 s52, s53
	s_delay_alu instid0(SALU_CYCLE_1)
	s_xor_b32 s68, exec_lo, s52
	s_cbranch_execz .LBB53_67
; %bb.56:                               ;   in Loop: Header=BB53_3 Depth=1
	v_readlane_b32 s53, v105, 22
	s_and_saveexec_b32 s52, s53
	s_delay_alu instid0(SALU_CYCLE_1)
	s_xor_b32 s52, exec_lo, s52
	s_cbranch_execz .LBB53_60
; %bb.57:                               ;   in Loop: Header=BB53_3 Depth=1
	v_readlane_b32 s53, v104, 7
	s_and_saveexec_b32 s69, s53
; %bb.58:                               ;   in Loop: Header=BB53_3 Depth=1
	ds_store_b64 v81, v[32:33]
; %bb.59:                               ;   in Loop: Header=BB53_3 Depth=1
	s_or_b32 exec_lo, exec_lo, s69
.LBB53_60:                              ;   in Loop: Header=BB53_3 Depth=1
	s_and_not1_saveexec_b32 s69, s52
	s_cbranch_execz .LBB53_66
; %bb.61:                               ;   in Loop: Header=BB53_3 Depth=1
	v_lshl_add_u64 v[38:39], v[16:17], 3, s[66:67]
	s_mov_b32 s86, exec_lo
                                        ; implicit-def: $vgpr40_vgpr41
	global_load_b64 v[38:39], v[38:39], off
	s_wait_loadcnt 0x0
	v_cmpx_ngt_f32_e64 |v38|, |v39|
	s_xor_b32 s86, exec_lo, s86
	s_cbranch_execz .LBB53_63
; %bb.62:                               ;   in Loop: Header=BB53_3 Depth=1
	v_div_scale_f32 v0, null, v39, v39, v38
	v_div_scale_f32 v42, vcc_lo, v38, v39, v38
	s_delay_alu instid0(VALU_DEP_2) | instskip(SKIP_1) | instid1(TRANS32_DEP_1)
	v_rcp_f32_e32 v40, v0
	v_nop
	v_fma_f32 v41, -v0, v40, 1.0
	s_delay_alu instid0(VALU_DEP_1) | instskip(NEXT) | instid1(VALU_DEP_1)
	v_fmac_f32_e32 v40, v41, v40
	v_mul_f32_e32 v41, v42, v40
	s_delay_alu instid0(VALU_DEP_1) | instskip(NEXT) | instid1(VALU_DEP_1)
	v_fma_f32 v43, -v0, v41, v42
	v_fmac_f32_e32 v41, v43, v40
	s_delay_alu instid0(VALU_DEP_1) | instskip(NEXT) | instid1(VALU_DEP_1)
	v_fma_f32 v0, -v0, v41, v42
	v_div_fmas_f32 v0, v0, v40, v41
	s_delay_alu instid0(VALU_DEP_1) | instskip(NEXT) | instid1(VALU_DEP_1)
	v_div_fixup_f32 v0, v0, v39, v38
	v_fmac_f32_e32 v39, v38, v0
	s_delay_alu instid0(VALU_DEP_1) | instskip(SKIP_1) | instid1(VALU_DEP_2)
	v_div_scale_f32 v38, null, v39, v39, 1.0
	v_div_scale_f32 v42, vcc_lo, 1.0, v39, 1.0
	v_rcp_f32_e32 v40, v38
	v_nop
	s_delay_alu instid0(TRANS32_DEP_1) | instskip(NEXT) | instid1(VALU_DEP_1)
	v_fma_f32 v41, -v38, v40, 1.0
	v_fmac_f32_e32 v40, v41, v40
	s_delay_alu instid0(VALU_DEP_1) | instskip(NEXT) | instid1(VALU_DEP_1)
	v_mul_f32_e32 v41, v42, v40
	v_fma_f32 v43, -v38, v41, v42
	s_delay_alu instid0(VALU_DEP_1) | instskip(NEXT) | instid1(VALU_DEP_1)
	v_fmac_f32_e32 v41, v43, v40
	v_fma_f32 v38, -v38, v41, v42
	s_delay_alu instid0(VALU_DEP_1) | instskip(NEXT) | instid1(VALU_DEP_1)
	v_div_fmas_f32 v38, v38, v40, v41
	v_div_fixup_f32 v38, v38, v39, 1.0
	s_delay_alu instid0(VALU_DEP_1)
	v_mul_f32_e32 v40, v0, v38
	v_xor_b32_e32 v41, 0x80000000, v38
                                        ; implicit-def: $vgpr38_vgpr39
.LBB53_63:                              ;   in Loop: Header=BB53_3 Depth=1
	s_and_not1_saveexec_b32 s86, s86
	s_cbranch_execz .LBB53_65
; %bb.64:                               ;   in Loop: Header=BB53_3 Depth=1
	v_div_scale_f32 v0, null, v38, v38, v39
	v_div_scale_f32 v42, vcc_lo, v39, v38, v39
	s_delay_alu instid0(VALU_DEP_2) | instskip(SKIP_1) | instid1(TRANS32_DEP_1)
	v_rcp_f32_e32 v40, v0
	v_nop
	v_fma_f32 v41, -v0, v40, 1.0
	s_delay_alu instid0(VALU_DEP_1) | instskip(NEXT) | instid1(VALU_DEP_1)
	v_fmac_f32_e32 v40, v41, v40
	v_mul_f32_e32 v41, v42, v40
	s_delay_alu instid0(VALU_DEP_1) | instskip(NEXT) | instid1(VALU_DEP_1)
	v_fma_f32 v43, -v0, v41, v42
	v_fmac_f32_e32 v41, v43, v40
	s_delay_alu instid0(VALU_DEP_1) | instskip(NEXT) | instid1(VALU_DEP_1)
	v_fma_f32 v0, -v0, v41, v42
	v_div_fmas_f32 v0, v0, v40, v41
	s_delay_alu instid0(VALU_DEP_1) | instskip(NEXT) | instid1(VALU_DEP_1)
	v_div_fixup_f32 v0, v0, v38, v39
	v_fmac_f32_e32 v38, v39, v0
	s_delay_alu instid0(VALU_DEP_1) | instskip(NEXT) | instid1(VALU_DEP_1)
	v_div_scale_f32 v39, null, v38, v38, 1.0
	v_rcp_f32_e32 v40, v39
	v_nop
	s_delay_alu instid0(TRANS32_DEP_1) | instskip(NEXT) | instid1(VALU_DEP_1)
	v_fma_f32 v41, -v39, v40, 1.0
	v_fmac_f32_e32 v40, v41, v40
	v_div_scale_f32 v41, vcc_lo, 1.0, v38, 1.0
	s_delay_alu instid0(VALU_DEP_1) | instskip(NEXT) | instid1(VALU_DEP_1)
	v_mul_f32_e32 v42, v41, v40
	v_fma_f32 v43, -v39, v42, v41
	s_delay_alu instid0(VALU_DEP_1) | instskip(NEXT) | instid1(VALU_DEP_1)
	v_fmac_f32_e32 v42, v43, v40
	v_fma_f32 v39, -v39, v42, v41
	s_delay_alu instid0(VALU_DEP_1) | instskip(NEXT) | instid1(VALU_DEP_1)
	v_div_fmas_f32 v39, v39, v40, v42
	v_div_fixup_f32 v40, v39, v38, 1.0
	s_delay_alu instid0(VALU_DEP_1)
	v_mul_f32_e64 v41, v0, -v40
.LBB53_65:                              ;   in Loop: Header=BB53_3 Depth=1
	s_or_b32 exec_lo, exec_lo, s86
	ds_store_b64 v81, v[40:41]
.LBB53_66:                              ;   in Loop: Header=BB53_3 Depth=1
	s_or_b32 exec_lo, exec_lo, s69
.LBB53_67:                              ;   in Loop: Header=BB53_3 Depth=1
	s_and_not1_saveexec_b32 s52, s68
	s_cbranch_execz .LBB53_69
; %bb.68:                               ;   in Loop: Header=BB53_3 Depth=1
	v_lshl_add_u64 v[38:39], v[16:17], 3, s[66:67]
	global_load_b64 v[38:39], v[38:39], off
	s_wait_loadcnt 0x0
	v_pk_add_f32 v[38:39], v[38:39], 0 neg_lo:[1,1] neg_hi:[1,1]
	ds_store_b64 v81, v[38:39]
.LBB53_69:                              ;   in Loop: Header=BB53_3 Depth=1
	s_or_b32 exec_lo, exec_lo, s52
	v_readlane_b32 s53, v105, 16
	s_and_saveexec_b32 s52, s53
	s_delay_alu instid0(SALU_CYCLE_1)
	s_xor_b32 s68, exec_lo, s52
	s_cbranch_execz .LBB53_81
; %bb.70:                               ;   in Loop: Header=BB53_3 Depth=1
	v_readlane_b32 s53, v105, 24
	s_and_saveexec_b32 s52, s53
	s_delay_alu instid0(SALU_CYCLE_1)
	s_xor_b32 s52, exec_lo, s52
	s_cbranch_execz .LBB53_74
; %bb.71:                               ;   in Loop: Header=BB53_3 Depth=1
	v_readlane_b32 s53, v104, 8
	s_and_saveexec_b32 s69, s53
; %bb.72:                               ;   in Loop: Header=BB53_3 Depth=1
	ds_store_b64 v82, v[32:33]
; %bb.73:                               ;   in Loop: Header=BB53_3 Depth=1
	s_or_b32 exec_lo, exec_lo, s69
.LBB53_74:                              ;   in Loop: Header=BB53_3 Depth=1
	s_and_not1_saveexec_b32 s69, s52
	s_cbranch_execz .LBB53_80
; %bb.75:                               ;   in Loop: Header=BB53_3 Depth=1
	v_lshl_add_u64 v[38:39], v[20:21], 3, s[66:67]
	s_mov_b32 s86, exec_lo
                                        ; implicit-def: $vgpr40_vgpr41
	global_load_b64 v[38:39], v[38:39], off
	s_wait_loadcnt 0x0
	v_cmpx_ngt_f32_e64 |v38|, |v39|
	s_xor_b32 s86, exec_lo, s86
	s_cbranch_execz .LBB53_77
; %bb.76:                               ;   in Loop: Header=BB53_3 Depth=1
	v_div_scale_f32 v0, null, v39, v39, v38
	v_div_scale_f32 v42, vcc_lo, v38, v39, v38
	s_delay_alu instid0(VALU_DEP_2) | instskip(SKIP_1) | instid1(TRANS32_DEP_1)
	v_rcp_f32_e32 v40, v0
	v_nop
	v_fma_f32 v41, -v0, v40, 1.0
	s_delay_alu instid0(VALU_DEP_1) | instskip(NEXT) | instid1(VALU_DEP_1)
	v_fmac_f32_e32 v40, v41, v40
	v_mul_f32_e32 v41, v42, v40
	s_delay_alu instid0(VALU_DEP_1) | instskip(NEXT) | instid1(VALU_DEP_1)
	v_fma_f32 v43, -v0, v41, v42
	v_fmac_f32_e32 v41, v43, v40
	s_delay_alu instid0(VALU_DEP_1) | instskip(NEXT) | instid1(VALU_DEP_1)
	v_fma_f32 v0, -v0, v41, v42
	v_div_fmas_f32 v0, v0, v40, v41
	s_delay_alu instid0(VALU_DEP_1) | instskip(NEXT) | instid1(VALU_DEP_1)
	v_div_fixup_f32 v0, v0, v39, v38
	v_fmac_f32_e32 v39, v38, v0
	s_delay_alu instid0(VALU_DEP_1) | instskip(SKIP_1) | instid1(VALU_DEP_2)
	v_div_scale_f32 v38, null, v39, v39, 1.0
	v_div_scale_f32 v42, vcc_lo, 1.0, v39, 1.0
	v_rcp_f32_e32 v40, v38
	v_nop
	s_delay_alu instid0(TRANS32_DEP_1) | instskip(NEXT) | instid1(VALU_DEP_1)
	v_fma_f32 v41, -v38, v40, 1.0
	v_fmac_f32_e32 v40, v41, v40
	s_delay_alu instid0(VALU_DEP_1) | instskip(NEXT) | instid1(VALU_DEP_1)
	v_mul_f32_e32 v41, v42, v40
	v_fma_f32 v43, -v38, v41, v42
	s_delay_alu instid0(VALU_DEP_1) | instskip(NEXT) | instid1(VALU_DEP_1)
	v_fmac_f32_e32 v41, v43, v40
	v_fma_f32 v38, -v38, v41, v42
	s_delay_alu instid0(VALU_DEP_1) | instskip(NEXT) | instid1(VALU_DEP_1)
	v_div_fmas_f32 v38, v38, v40, v41
	v_div_fixup_f32 v38, v38, v39, 1.0
	s_delay_alu instid0(VALU_DEP_1)
	v_mul_f32_e32 v40, v0, v38
	v_xor_b32_e32 v41, 0x80000000, v38
                                        ; implicit-def: $vgpr38_vgpr39
.LBB53_77:                              ;   in Loop: Header=BB53_3 Depth=1
	s_and_not1_saveexec_b32 s86, s86
	s_cbranch_execz .LBB53_79
; %bb.78:                               ;   in Loop: Header=BB53_3 Depth=1
	v_div_scale_f32 v0, null, v38, v38, v39
	v_div_scale_f32 v42, vcc_lo, v39, v38, v39
	s_delay_alu instid0(VALU_DEP_2) | instskip(SKIP_1) | instid1(TRANS32_DEP_1)
	v_rcp_f32_e32 v40, v0
	v_nop
	v_fma_f32 v41, -v0, v40, 1.0
	s_delay_alu instid0(VALU_DEP_1) | instskip(NEXT) | instid1(VALU_DEP_1)
	v_fmac_f32_e32 v40, v41, v40
	v_mul_f32_e32 v41, v42, v40
	s_delay_alu instid0(VALU_DEP_1) | instskip(NEXT) | instid1(VALU_DEP_1)
	v_fma_f32 v43, -v0, v41, v42
	v_fmac_f32_e32 v41, v43, v40
	s_delay_alu instid0(VALU_DEP_1) | instskip(NEXT) | instid1(VALU_DEP_1)
	v_fma_f32 v0, -v0, v41, v42
	v_div_fmas_f32 v0, v0, v40, v41
	s_delay_alu instid0(VALU_DEP_1) | instskip(NEXT) | instid1(VALU_DEP_1)
	v_div_fixup_f32 v0, v0, v38, v39
	v_fmac_f32_e32 v38, v39, v0
	s_delay_alu instid0(VALU_DEP_1) | instskip(NEXT) | instid1(VALU_DEP_1)
	v_div_scale_f32 v39, null, v38, v38, 1.0
	v_rcp_f32_e32 v40, v39
	v_nop
	s_delay_alu instid0(TRANS32_DEP_1) | instskip(NEXT) | instid1(VALU_DEP_1)
	v_fma_f32 v41, -v39, v40, 1.0
	v_fmac_f32_e32 v40, v41, v40
	v_div_scale_f32 v41, vcc_lo, 1.0, v38, 1.0
	s_delay_alu instid0(VALU_DEP_1) | instskip(NEXT) | instid1(VALU_DEP_1)
	v_mul_f32_e32 v42, v41, v40
	v_fma_f32 v43, -v39, v42, v41
	s_delay_alu instid0(VALU_DEP_1) | instskip(NEXT) | instid1(VALU_DEP_1)
	v_fmac_f32_e32 v42, v43, v40
	v_fma_f32 v39, -v39, v42, v41
	s_delay_alu instid0(VALU_DEP_1) | instskip(NEXT) | instid1(VALU_DEP_1)
	v_div_fmas_f32 v39, v39, v40, v42
	v_div_fixup_f32 v40, v39, v38, 1.0
	s_delay_alu instid0(VALU_DEP_1)
	v_mul_f32_e64 v41, v0, -v40
.LBB53_79:                              ;   in Loop: Header=BB53_3 Depth=1
	s_or_b32 exec_lo, exec_lo, s86
	ds_store_b64 v82, v[40:41]
.LBB53_80:                              ;   in Loop: Header=BB53_3 Depth=1
	s_or_b32 exec_lo, exec_lo, s69
.LBB53_81:                              ;   in Loop: Header=BB53_3 Depth=1
	s_and_not1_saveexec_b32 s52, s68
	s_cbranch_execz .LBB53_83
; %bb.82:                               ;   in Loop: Header=BB53_3 Depth=1
	v_lshl_add_u64 v[38:39], v[20:21], 3, s[66:67]
	global_load_b64 v[38:39], v[38:39], off
	s_wait_loadcnt 0x0
	v_pk_add_f32 v[38:39], v[38:39], 0 neg_lo:[1,1] neg_hi:[1,1]
	ds_store_b64 v82, v[38:39]
.LBB53_83:                              ;   in Loop: Header=BB53_3 Depth=1
	s_or_b32 exec_lo, exec_lo, s52
.LBB53_84:                              ;   in Loop: Header=BB53_3 Depth=1
	s_delay_alu instid0(SALU_CYCLE_1)
	s_and_not1_b32 vcc_lo, exec_lo, s93
	s_wait_storecnt 0x0
	s_wait_loadcnt_dscnt 0x0
	s_barrier_signal -1
	s_barrier_wait -1
	s_cbranch_vccnz .LBB53_1006
; %bb.85:                               ;   in Loop: Header=BB53_3 Depth=1
	s_and_saveexec_b32 s52, s14
	s_cbranch_execz .LBB53_87
; %bb.86:                               ;   in Loop: Header=BB53_3 Depth=1
	v_add_nc_u32_e64 v0, 0x1f0, 0
	ds_load_b64 v[42:43], v1 offset:32760
	ds_load_2addr_stride64_b64 v[38:41], v0 offset0:62 offset1:63
	s_wait_dscnt 0x0
	v_dual_mul_f32 v95, v43, v39 :: v_dual_mul_f32 v0, v42, v39
	s_delay_alu instid0(VALU_DEP_1) | instskip(NEXT) | instid1(VALU_DEP_2)
	v_xor_b32_e32 v96, 0x80000000, v95
	v_fmac_f32_e32 v0, v43, v38
	s_delay_alu instid0(VALU_DEP_2) | instskip(NEXT) | instid1(VALU_DEP_2)
	v_fmac_f32_e32 v96, v42, v38
	v_pk_mul_f32 v[38:39], v[0:1], v[40:41] op_sel:[0,1] op_sel_hi:[0,0]
	v_add_nc_u32_e64 v0, 0x7800, 0
	s_delay_alu instid0(VALU_DEP_2) | instskip(SKIP_1) | instid1(VALU_DEP_2)
	v_pk_fma_f32 v[42:43], v[96:97], v[40:41], v[38:39] op_sel_hi:[0,1,1]
	v_pk_fma_f32 v[38:39], v[96:97], v[40:41], v[38:39] neg_lo:[0,0,1] neg_hi:[0,0,1]
	v_mov_b32_e32 v39, v43
	ds_store_2addr_b64 v0, v[38:39], v[38:39] offset0:191 offset1:254
.LBB53_87:                              ;   in Loop: Header=BB53_3 Depth=1
	s_or_b32 exec_lo, exec_lo, s52
	v_dual_mov_b32 v38, 0 :: v_dual_mov_b32 v39, 0
	s_wait_dscnt 0x0
	s_barrier_signal -1
	s_barrier_wait -1
	global_wb scope:SCOPE_DEV
	s_wait_storecnt 0x0
	global_inv scope:SCOPE_DEV
	s_and_saveexec_b32 s66, s0
	s_cbranch_execz .LBB53_91
; %bb.88:                               ;   in Loop: Header=BB53_3 Depth=1
	ds_load_b64 v[38:39], v46 offset:32224
	ds_load_b64 v[40:41], v47 offset:32752
	s_wait_dscnt 0x0
	v_pk_mul_f32 v[42:43], v[40:41], v[38:39] op_sel:[1,1] op_sel_hi:[0,1]
	s_delay_alu instid0(VALU_DEP_1) | instskip(SKIP_1) | instid1(VALU_DEP_2)
	v_pk_fma_f32 v[96:97], v[40:41], v[38:39], v[42:43] op_sel_hi:[1,0,1]
	v_pk_fma_f32 v[38:39], v[40:41], v[38:39], v[42:43] neg_lo:[0,0,1] neg_hi:[0,0,1]
	v_mov_b32_e32 v39, v97
	s_delay_alu instid0(VALU_DEP_1)
	v_pk_add_f32 v[38:39], v[38:39], 0 op_sel_hi:[1,0]
	s_and_saveexec_b32 s52, s15
	s_cbranch_execz .LBB53_90
; %bb.89:                               ;   in Loop: Header=BB53_3 Depth=1
	ds_load_b64 v[40:41], v48 offset:32736
	ds_load_b64 v[42:43], v1 offset:32760
	s_wait_dscnt 0x0
	v_pk_mul_f32 v[96:97], v[42:43], v[40:41] op_sel:[1,1] op_sel_hi:[0,1]
	s_delay_alu instid0(VALU_DEP_1) | instskip(SKIP_1) | instid1(VALU_DEP_2)
	v_pk_fma_f32 v[98:99], v[42:43], v[40:41], v[96:97] op_sel_hi:[1,0,1]
	v_pk_fma_f32 v[40:41], v[42:43], v[40:41], v[96:97] neg_lo:[0,0,1] neg_hi:[0,0,1]
	v_mov_b32_e32 v41, v99
	s_delay_alu instid0(VALU_DEP_1)
	v_pk_add_f32 v[38:39], v[38:39], v[40:41]
.LBB53_90:                              ;   in Loop: Header=BB53_3 Depth=1
	s_or_b32 exec_lo, exec_lo, s52
.LBB53_91:                              ;   in Loop: Header=BB53_3 Depth=1
	s_delay_alu instid0(SALU_CYCLE_1)
	s_or_b32 exec_lo, exec_lo, s66
	s_and_saveexec_b32 s52, s94
	s_cbranch_execz .LBB53_93
; %bb.92:                               ;   in Loop: Header=BB53_3 Depth=1
	ds_load_b64 v[40:41], v1 offset:31720
	s_wait_dscnt 0x0
	v_pk_mul_f32 v[42:43], v[38:39], v[40:41] op_sel:[1,1] op_sel_hi:[1,0]
	s_delay_alu instid0(VALU_DEP_1) | instskip(SKIP_1) | instid1(VALU_DEP_2)
	v_pk_fma_f32 v[96:97], v[38:39], v[40:41], v[42:43] op_sel_hi:[0,1,1]
	v_pk_fma_f32 v[38:39], v[38:39], v[40:41], v[42:43] neg_lo:[0,0,1] neg_hi:[0,0,1]
	v_mov_b32_e32 v39, v97
	s_delay_alu instid0(VALU_DEP_1)
	v_pk_add_f32 v[40:41], v[38:39], 0 neg_lo:[1,1] neg_hi:[1,1]
	ds_store_b64 v3, v[40:41]
.LBB53_93:                              ;   in Loop: Header=BB53_3 Depth=1
	s_or_b32 exec_lo, exec_lo, s52
	s_wait_loadcnt_dscnt 0x0
	s_barrier_signal -1
	s_barrier_wait -1
	s_and_saveexec_b32 s52, s95
	s_cbranch_execz .LBB53_95
; %bb.94:                               ;   in Loop: Header=BB53_3 Depth=1
	ds_load_b64 v[40:41], v1 offset:31712
	ds_load_b64 v[42:43], v3
	s_wait_dscnt 0x0
	v_pk_mul_f32 v[96:97], v[42:43], v[40:41] op_sel:[1,1] op_sel_hi:[0,1]
	s_delay_alu instid0(VALU_DEP_1) | instskip(SKIP_1) | instid1(VALU_DEP_2)
	v_pk_fma_f32 v[98:99], v[42:43], v[40:41], v[96:97] op_sel_hi:[1,0,1]
	v_pk_fma_f32 v[40:41], v[42:43], v[40:41], v[96:97] neg_lo:[0,0,1] neg_hi:[0,0,1]
	v_mov_b32_e32 v41, v99
	s_delay_alu instid0(VALU_DEP_1)
	v_pk_add_f32 v[38:39], v[38:39], v[40:41] neg_lo:[0,1] neg_hi:[0,1]
.LBB53_95:                              ;   in Loop: Header=BB53_3 Depth=1
	s_or_b32 exec_lo, exec_lo, s52
	s_barrier_signal -1
	s_barrier_wait -1
	s_and_saveexec_b32 s52, s95
	s_cbranch_execz .LBB53_97
; %bb.96:                               ;   in Loop: Header=BB53_3 Depth=1
	ds_load_b64 v[40:41], v1 offset:31200
	s_wait_dscnt 0x0
	v_pk_mul_f32 v[42:43], v[38:39], v[40:41] op_sel:[1,1] op_sel_hi:[1,0]
	s_delay_alu instid0(VALU_DEP_1) | instskip(SKIP_1) | instid1(VALU_DEP_2)
	v_pk_fma_f32 v[96:97], v[38:39], v[40:41], v[42:43] op_sel_hi:[0,1,1]
	v_pk_fma_f32 v[38:39], v[38:39], v[40:41], v[42:43] neg_lo:[0,0,1] neg_hi:[0,0,1]
	v_mov_b32_e32 v39, v97
	s_delay_alu instid0(VALU_DEP_1)
	v_pk_add_f32 v[40:41], v[38:39], 0 neg_lo:[1,1] neg_hi:[1,1]
	ds_store_b64 v3, v[40:41]
.LBB53_97:                              ;   in Loop: Header=BB53_3 Depth=1
	s_or_b32 exec_lo, exec_lo, s52
	s_wait_dscnt 0x0
	s_barrier_signal -1
	s_barrier_wait -1
	s_barrier_signal -1
	s_barrier_wait -1
	s_and_saveexec_b32 s52, s0
; %bb.98:                               ;   in Loop: Header=BB53_3 Depth=1
	ds_store_b64 v49, v[38:39] offset:32736
; %bb.99:                               ;   in Loop: Header=BB53_3 Depth=1
	s_or_b32 exec_lo, exec_lo, s52
	s_wait_dscnt 0x0
	s_barrier_signal -1
	s_barrier_wait -1
	s_barrier_signal -1
	s_barrier_wait -1
	s_and_saveexec_b32 s52, s96
	s_cbranch_execz .LBB53_101
; %bb.100:                              ;   in Loop: Header=BB53_3 Depth=1
	ds_load_b64 v[38:39], v50 offset:32224
	s_wait_dscnt 0x0
	ds_store_b64 v48, v[38:39] offset:31216
	ds_load_b64 v[38:39], v50 offset:32232
	s_wait_dscnt 0x0
	ds_store_b64 v48, v[38:39] offset:31728
.LBB53_101:                             ;   in Loop: Header=BB53_3 Depth=1
	s_or_b32 exec_lo, exec_lo, s52
	s_wait_dscnt 0x0
	s_barrier_signal -1
	s_barrier_wait -1
	s_and_saveexec_b32 s52, s14
	s_cbranch_execz .LBB53_103
; %bb.102:                              ;   in Loop: Header=BB53_3 Depth=1
	v_add_nc_u32_e64 v0, 0x1e0, 0
	ds_load_b64 v[42:43], v1 offset:31720
	ds_load_2addr_stride64_b64 v[38:41], v0 offset0:60 offset1:61
	s_wait_dscnt 0x0
	v_dual_mul_f32 v95, v43, v39 :: v_dual_mul_f32 v0, v42, v39
	s_delay_alu instid0(VALU_DEP_1) | instskip(NEXT) | instid1(VALU_DEP_2)
	v_xor_b32_e32 v96, 0x80000000, v95
	v_fmac_f32_e32 v0, v43, v38
	s_delay_alu instid0(VALU_DEP_2) | instskip(NEXT) | instid1(VALU_DEP_2)
	v_fmac_f32_e32 v96, v42, v38
	v_pk_mul_f32 v[38:39], v[0:1], v[40:41] op_sel:[0,1] op_sel_hi:[0,0]
	v_add_nc_u32_e64 v0, 0x7800, 0
	s_delay_alu instid0(VALU_DEP_2) | instskip(SKIP_1) | instid1(VALU_DEP_2)
	v_pk_fma_f32 v[42:43], v[96:97], v[40:41], v[38:39] op_sel_hi:[0,1,1]
	v_pk_fma_f32 v[38:39], v[96:97], v[40:41], v[38:39] neg_lo:[0,0,1] neg_hi:[0,0,1]
	v_mov_b32_e32 v39, v43
	ds_store_2addr_b64 v0, v[38:39], v[38:39] offset0:61 offset1:124
.LBB53_103:                             ;   in Loop: Header=BB53_3 Depth=1
	s_or_b32 exec_lo, exec_lo, s52
	v_mov_b64_e32 v[38:39], 0
	s_wait_dscnt 0x0
	s_barrier_signal -1
	s_barrier_wait -1
	global_wb scope:SCOPE_DEV
	s_wait_storecnt 0x0
	global_inv scope:SCOPE_DEV
	s_and_saveexec_b32 s66, s2
	s_cbranch_execz .LBB53_109
; %bb.104:                              ;   in Loop: Header=BB53_3 Depth=1
	ds_load_b64 v[38:39], v52 offset:31168
	ds_load_b64 v[40:41], v53 offset:32736
	s_wait_dscnt 0x0
	v_dual_mul_f32 v0, v41, v39 :: v_dual_mul_f32 v39, v40, v39
	s_delay_alu instid0(VALU_DEP_1) | instskip(NEXT) | instid1(VALU_DEP_1)
	v_dual_fma_f32 v0, v40, v38, -v0 :: v_dual_fmac_f32 v39, v41, v38
	v_dual_add_f32 v38, 0, v0 :: v_dual_add_f32 v39, 0, v39
	s_and_saveexec_b32 s52, s16
	s_cbranch_execnz .LBB53_1110
; %bb.105:                              ;   in Loop: Header=BB53_3 Depth=1
	s_or_b32 exec_lo, exec_lo, s52
	s_and_saveexec_b32 s52, s17
	s_cbranch_execnz .LBB53_1111
.LBB53_106:                             ;   in Loop: Header=BB53_3 Depth=1
	s_or_b32 exec_lo, exec_lo, s52
	s_and_saveexec_b32 s52, s0
	s_cbranch_execz .LBB53_108
.LBB53_107:                             ;   in Loop: Header=BB53_3 Depth=1
	ds_load_b64 v[40:41], v55 offset:32704
	ds_load_b64 v[42:43], v1 offset:32760
	s_wait_dscnt 0x0
	v_dual_mul_f32 v0, v43, v41 :: v_dual_mul_f32 v41, v42, v41
	s_delay_alu instid0(VALU_DEP_1) | instskip(NEXT) | instid1(VALU_DEP_1)
	v_dual_fma_f32 v0, v42, v40, -v0 :: v_dual_fmac_f32 v41, v43, v40
	v_dual_add_f32 v38, v38, v0 :: v_dual_add_f32 v39, v39, v41
.LBB53_108:                             ;   in Loop: Header=BB53_3 Depth=1
	s_or_b32 exec_lo, exec_lo, s52
.LBB53_109:                             ;   in Loop: Header=BB53_3 Depth=1
	s_delay_alu instid0(SALU_CYCLE_1)
	s_or_b32 exec_lo, exec_lo, s66
	s_and_saveexec_b32 s52, s97
	s_cbranch_execz .LBB53_111
; %bb.110:                              ;   in Loop: Header=BB53_3 Depth=1
	ds_load_b64 v[40:41], v1 offset:30680
	s_wait_dscnt 0x0
	v_dual_mul_f32 v0, v39, v40 :: v_dual_mul_f32 v42, v39, v41
	s_delay_alu instid0(VALU_DEP_1) | instskip(NEXT) | instid1(VALU_DEP_2)
	v_pk_fma_f32 v[96:97], v[38:39], v[40:41], v[0:1] op_sel:[1,0,0] op_sel_hi:[0,1,0]
	v_pk_fma_f32 v[38:39], v[38:39], v[40:41], v[42:43] op_sel_hi:[1,1,0] neg_lo:[0,0,1] neg_hi:[0,0,1]
	s_delay_alu instid0(VALU_DEP_2) | instskip(NEXT) | instid1(VALU_DEP_1)
	v_mov_b32_e32 v39, v97
	v_pk_add_f32 v[40:41], v[38:39], 0 neg_lo:[1,1] neg_hi:[1,1]
	ds_store_b64 v51, v[40:41]
.LBB53_111:                             ;   in Loop: Header=BB53_3 Depth=1
	s_or_b32 exec_lo, exec_lo, s52
	s_wait_loadcnt_dscnt 0x0
	s_barrier_signal -1
	s_barrier_wait -1
	s_and_saveexec_b32 s52, s98
	s_cbranch_execz .LBB53_113
; %bb.112:                              ;   in Loop: Header=BB53_3 Depth=1
	ds_load_b64 v[40:41], v52 offset:30656
	ds_load_b64 v[42:43], v51
	s_wait_dscnt 0x0
	v_pk_mul_f32 v[96:97], v[42:43], v[40:41] op_sel:[1,1] op_sel_hi:[0,1]
	s_delay_alu instid0(VALU_DEP_1) | instskip(SKIP_1) | instid1(VALU_DEP_2)
	v_pk_fma_f32 v[98:99], v[42:43], v[40:41], v[96:97] op_sel_hi:[1,0,1]
	v_pk_fma_f32 v[40:41], v[42:43], v[40:41], v[96:97] neg_lo:[0,0,1] neg_hi:[0,0,1]
	v_mov_b32_e32 v41, v99
	s_delay_alu instid0(VALU_DEP_1)
	v_pk_add_f32 v[38:39], v[38:39], v[40:41] neg_lo:[0,1] neg_hi:[0,1]
.LBB53_113:                             ;   in Loop: Header=BB53_3 Depth=1
	s_or_b32 exec_lo, exec_lo, s52
	s_barrier_signal -1
	s_barrier_wait -1
	s_and_saveexec_b32 s52, s99
	s_cbranch_execz .LBB53_115
; %bb.114:                              ;   in Loop: Header=BB53_3 Depth=1
	ds_load_b64 v[40:41], v1 offset:30160
	s_wait_dscnt 0x0
	v_pk_mul_f32 v[42:43], v[38:39], v[40:41] op_sel:[1,1] op_sel_hi:[1,0]
	s_delay_alu instid0(VALU_DEP_1) | instskip(SKIP_1) | instid1(VALU_DEP_2)
	v_pk_fma_f32 v[96:97], v[38:39], v[40:41], v[42:43] op_sel_hi:[0,1,1]
	v_pk_fma_f32 v[38:39], v[38:39], v[40:41], v[42:43] neg_lo:[0,0,1] neg_hi:[0,0,1]
	v_mov_b32_e32 v39, v97
	s_delay_alu instid0(VALU_DEP_1)
	v_pk_add_f32 v[40:41], v[38:39], 0 neg_lo:[1,1] neg_hi:[1,1]
	ds_store_b64 v51, v[40:41]
.LBB53_115:                             ;   in Loop: Header=BB53_3 Depth=1
	s_or_b32 exec_lo, exec_lo, s52
	s_wait_dscnt 0x0
	s_barrier_signal -1
	s_barrier_wait -1
	s_and_saveexec_b32 s52, s100
	s_cbranch_execz .LBB53_117
; %bb.116:                              ;   in Loop: Header=BB53_3 Depth=1
	ds_load_b64 v[40:41], v52 offset:30144
	ds_load_b64 v[42:43], v51
	s_wait_dscnt 0x0
	v_pk_mul_f32 v[96:97], v[42:43], v[40:41] op_sel:[1,1] op_sel_hi:[0,1]
	s_delay_alu instid0(VALU_DEP_1) | instskip(SKIP_1) | instid1(VALU_DEP_2)
	v_pk_fma_f32 v[98:99], v[42:43], v[40:41], v[96:97] op_sel_hi:[1,0,1]
	v_pk_fma_f32 v[40:41], v[42:43], v[40:41], v[96:97] neg_lo:[0,0,1] neg_hi:[0,0,1]
	v_mov_b32_e32 v41, v99
	s_delay_alu instid0(VALU_DEP_1)
	v_pk_add_f32 v[38:39], v[38:39], v[40:41] neg_lo:[0,1] neg_hi:[0,1]
.LBB53_117:                             ;   in Loop: Header=BB53_3 Depth=1
	s_or_b32 exec_lo, exec_lo, s52
	s_barrier_signal -1
	s_barrier_wait -1
	s_and_saveexec_b32 s52, s101
	s_cbranch_execz .LBB53_119
; %bb.118:                              ;   in Loop: Header=BB53_3 Depth=1
	ds_load_b64 v[40:41], v1 offset:29640
	s_wait_dscnt 0x0
	v_pk_mul_f32 v[42:43], v[38:39], v[40:41] op_sel:[1,1] op_sel_hi:[1,0]
	s_delay_alu instid0(VALU_DEP_1) | instskip(SKIP_1) | instid1(VALU_DEP_2)
	v_pk_fma_f32 v[96:97], v[38:39], v[40:41], v[42:43] op_sel_hi:[0,1,1]
	v_pk_fma_f32 v[38:39], v[38:39], v[40:41], v[42:43] neg_lo:[0,0,1] neg_hi:[0,0,1]
	v_mov_b32_e32 v39, v97
	s_delay_alu instid0(VALU_DEP_1)
	v_pk_add_f32 v[40:41], v[38:39], 0 neg_lo:[1,1] neg_hi:[1,1]
	ds_store_b64 v51, v[40:41]
.LBB53_119:                             ;   in Loop: Header=BB53_3 Depth=1
	s_or_b32 exec_lo, exec_lo, s52
	s_wait_dscnt 0x0
	;; [unrolled: 35-line block ×3, first 2 shown]
	s_barrier_signal -1
	s_barrier_wait -1
	s_barrier_signal -1
	s_barrier_wait -1
	s_and_saveexec_b32 s52, s2
; %bb.124:                              ;   in Loop: Header=BB53_3 Depth=1
	ds_store_b64 v56, v[38:39] offset:32704
; %bb.125:                              ;   in Loop: Header=BB53_3 Depth=1
	s_or_b32 exec_lo, exec_lo, s52
	s_wait_dscnt 0x0
	s_barrier_signal -1
	s_barrier_wait -1
	s_barrier_signal -1
	s_barrier_wait -1
	s_and_saveexec_b32 s52, s103
	s_cbranch_execz .LBB53_127
; %bb.126:                              ;   in Loop: Header=BB53_3 Depth=1
	ds_load_b64 v[38:39], v69 offset:31168
	s_wait_dscnt 0x0
	ds_store_b64 v70, v[38:39] offset:29152
	ds_load_b64 v[38:39], v69 offset:31176
	s_wait_dscnt 0x0
	ds_store_b64 v70, v[38:39] offset:29664
	ds_load_b64 v[38:39], v69 offset:31184
	s_wait_dscnt 0x0
	ds_store_b64 v70, v[38:39] offset:30176
	ds_load_b64 v[38:39], v69 offset:31192
	s_wait_dscnt 0x0
	ds_store_b64 v70, v[38:39] offset:30688
.LBB53_127:                             ;   in Loop: Header=BB53_3 Depth=1
	s_or_b32 exec_lo, exec_lo, s52
	s_wait_dscnt 0x0
	s_barrier_signal -1
	s_barrier_wait -1
	s_and_saveexec_b32 s52, s14
	s_cbranch_execz .LBB53_129
; %bb.128:                              ;   in Loop: Header=BB53_3 Depth=1
	v_add_nc_u32_e64 v0, 0x1d0, 0
	ds_load_b64 v[42:43], v1 offset:30680
	ds_load_2addr_stride64_b64 v[38:41], v0 offset0:58 offset1:59
	s_wait_dscnt 0x0
	v_dual_mul_f32 v95, v43, v39 :: v_dual_mul_f32 v0, v42, v39
	s_delay_alu instid0(VALU_DEP_1) | instskip(NEXT) | instid1(VALU_DEP_2)
	v_xor_b32_e32 v96, 0x80000000, v95
	v_fmac_f32_e32 v0, v43, v38
	s_delay_alu instid0(VALU_DEP_2) | instskip(NEXT) | instid1(VALU_DEP_2)
	v_fmac_f32_e32 v96, v42, v38
	v_pk_mul_f32 v[38:39], v[0:1], v[40:41] op_sel:[0,1] op_sel_hi:[0,0]
	v_add_nc_u32_e64 v0, 0x7000, 0
	s_delay_alu instid0(VALU_DEP_2) | instskip(SKIP_1) | instid1(VALU_DEP_2)
	v_pk_fma_f32 v[42:43], v[96:97], v[40:41], v[38:39] op_sel_hi:[0,1,1]
	v_pk_fma_f32 v[38:39], v[96:97], v[40:41], v[38:39] neg_lo:[0,0,1] neg_hi:[0,0,1]
	v_mov_b32_e32 v39, v43
	ds_store_2addr_b64 v0, v[38:39], v[38:39] offset0:187 offset1:250
.LBB53_129:                             ;   in Loop: Header=BB53_3 Depth=1
	s_or_b32 exec_lo, exec_lo, s52
	v_dual_mov_b32 v38, 0 :: v_dual_mov_b32 v39, 0
	s_wait_dscnt 0x0
	s_barrier_signal -1
	s_barrier_wait -1
	global_wb scope:SCOPE_DEV
	s_wait_storecnt 0x0
	global_inv scope:SCOPE_DEV
	s_and_saveexec_b32 s66, s0
	s_cbranch_execz .LBB53_133
; %bb.130:                              ;   in Loop: Header=BB53_3 Depth=1
	ds_load_b64 v[38:39], v46 offset:30144
	ds_load_b64 v[40:41], v47 offset:30672
	s_wait_dscnt 0x0
	v_pk_mul_f32 v[42:43], v[40:41], v[38:39] op_sel:[1,1] op_sel_hi:[0,1]
	s_delay_alu instid0(VALU_DEP_1) | instskip(SKIP_1) | instid1(VALU_DEP_2)
	v_pk_fma_f32 v[96:97], v[40:41], v[38:39], v[42:43] op_sel_hi:[1,0,1]
	v_pk_fma_f32 v[38:39], v[40:41], v[38:39], v[42:43] neg_lo:[0,0,1] neg_hi:[0,0,1]
	v_mov_b32_e32 v39, v97
	s_delay_alu instid0(VALU_DEP_1)
	v_pk_add_f32 v[38:39], v[38:39], 0 op_sel_hi:[1,0]
	s_and_saveexec_b32 s52, s15
	s_cbranch_execz .LBB53_132
; %bb.131:                              ;   in Loop: Header=BB53_3 Depth=1
	ds_load_b64 v[40:41], v70 offset:30656
	ds_load_b64 v[42:43], v1 offset:30680
	s_wait_dscnt 0x0
	v_pk_mul_f32 v[96:97], v[42:43], v[40:41] op_sel:[1,1] op_sel_hi:[0,1]
	s_delay_alu instid0(VALU_DEP_1) | instskip(SKIP_1) | instid1(VALU_DEP_2)
	v_pk_fma_f32 v[98:99], v[42:43], v[40:41], v[96:97] op_sel_hi:[1,0,1]
	v_pk_fma_f32 v[40:41], v[42:43], v[40:41], v[96:97] neg_lo:[0,0,1] neg_hi:[0,0,1]
	v_mov_b32_e32 v41, v99
	s_delay_alu instid0(VALU_DEP_1)
	v_pk_add_f32 v[38:39], v[38:39], v[40:41]
.LBB53_132:                             ;   in Loop: Header=BB53_3 Depth=1
	s_or_b32 exec_lo, exec_lo, s52
.LBB53_133:                             ;   in Loop: Header=BB53_3 Depth=1
	s_delay_alu instid0(SALU_CYCLE_1)
	s_or_b32 exec_lo, exec_lo, s66
	s_and_saveexec_b32 s52, s94
	s_cbranch_execz .LBB53_135
; %bb.134:                              ;   in Loop: Header=BB53_3 Depth=1
	ds_load_b64 v[40:41], v1 offset:29640
	s_wait_dscnt 0x0
	v_pk_mul_f32 v[42:43], v[38:39], v[40:41] op_sel:[1,1] op_sel_hi:[1,0]
	s_delay_alu instid0(VALU_DEP_1) | instskip(SKIP_1) | instid1(VALU_DEP_2)
	v_pk_fma_f32 v[96:97], v[38:39], v[40:41], v[42:43] op_sel_hi:[0,1,1]
	v_pk_fma_f32 v[38:39], v[38:39], v[40:41], v[42:43] neg_lo:[0,0,1] neg_hi:[0,0,1]
	v_mov_b32_e32 v39, v97
	s_delay_alu instid0(VALU_DEP_1)
	v_pk_add_f32 v[40:41], v[38:39], 0 neg_lo:[1,1] neg_hi:[1,1]
	ds_store_b64 v3, v[40:41]
.LBB53_135:                             ;   in Loop: Header=BB53_3 Depth=1
	s_or_b32 exec_lo, exec_lo, s52
	s_wait_loadcnt_dscnt 0x0
	s_barrier_signal -1
	s_barrier_wait -1
	s_and_saveexec_b32 s52, s95
	s_cbranch_execz .LBB53_137
; %bb.136:                              ;   in Loop: Header=BB53_3 Depth=1
	ds_load_b64 v[40:41], v1 offset:29632
	ds_load_b64 v[42:43], v3
	s_wait_dscnt 0x0
	v_pk_mul_f32 v[96:97], v[42:43], v[40:41] op_sel:[1,1] op_sel_hi:[0,1]
	s_delay_alu instid0(VALU_DEP_1) | instskip(SKIP_1) | instid1(VALU_DEP_2)
	v_pk_fma_f32 v[98:99], v[42:43], v[40:41], v[96:97] op_sel_hi:[1,0,1]
	v_pk_fma_f32 v[40:41], v[42:43], v[40:41], v[96:97] neg_lo:[0,0,1] neg_hi:[0,0,1]
	v_mov_b32_e32 v41, v99
	s_delay_alu instid0(VALU_DEP_1)
	v_pk_add_f32 v[38:39], v[38:39], v[40:41] neg_lo:[0,1] neg_hi:[0,1]
.LBB53_137:                             ;   in Loop: Header=BB53_3 Depth=1
	s_or_b32 exec_lo, exec_lo, s52
	s_barrier_signal -1
	s_barrier_wait -1
	s_and_saveexec_b32 s52, s95
	s_cbranch_execz .LBB53_139
; %bb.138:                              ;   in Loop: Header=BB53_3 Depth=1
	ds_load_b64 v[40:41], v1 offset:29120
	s_wait_dscnt 0x0
	v_pk_mul_f32 v[42:43], v[38:39], v[40:41] op_sel:[1,1] op_sel_hi:[1,0]
	s_delay_alu instid0(VALU_DEP_1) | instskip(SKIP_1) | instid1(VALU_DEP_2)
	v_pk_fma_f32 v[96:97], v[38:39], v[40:41], v[42:43] op_sel_hi:[0,1,1]
	v_pk_fma_f32 v[38:39], v[38:39], v[40:41], v[42:43] neg_lo:[0,0,1] neg_hi:[0,0,1]
	v_mov_b32_e32 v39, v97
	s_delay_alu instid0(VALU_DEP_1)
	v_pk_add_f32 v[40:41], v[38:39], 0 neg_lo:[1,1] neg_hi:[1,1]
	ds_store_b64 v3, v[40:41]
.LBB53_139:                             ;   in Loop: Header=BB53_3 Depth=1
	s_or_b32 exec_lo, exec_lo, s52
	s_wait_dscnt 0x0
	s_barrier_signal -1
	s_barrier_wait -1
	s_barrier_signal -1
	s_barrier_wait -1
	s_and_saveexec_b32 s52, s0
; %bb.140:                              ;   in Loop: Header=BB53_3 Depth=1
	ds_store_b64 v49, v[38:39] offset:30656
; %bb.141:                              ;   in Loop: Header=BB53_3 Depth=1
	s_or_b32 exec_lo, exec_lo, s52
	s_wait_dscnt 0x0
	s_barrier_signal -1
	s_barrier_wait -1
	s_barrier_signal -1
	s_barrier_wait -1
	s_and_saveexec_b32 s52, s96
	s_cbranch_execz .LBB53_143
; %bb.142:                              ;   in Loop: Header=BB53_3 Depth=1
	ds_load_b64 v[38:39], v71 offset:30144
	s_wait_dscnt 0x0
	ds_store_b64 v70, v[38:39] offset:29136
	ds_load_b64 v[38:39], v71 offset:30152
	s_wait_dscnt 0x0
	ds_store_b64 v70, v[38:39] offset:29648
.LBB53_143:                             ;   in Loop: Header=BB53_3 Depth=1
	s_or_b32 exec_lo, exec_lo, s52
	s_wait_dscnt 0x0
	s_barrier_signal -1
	s_barrier_wait -1
	s_and_saveexec_b32 s52, s14
	s_cbranch_execz .LBB53_145
; %bb.144:                              ;   in Loop: Header=BB53_3 Depth=1
	v_add_nc_u32_e64 v0, 0x1c0, 0
	ds_load_b64 v[42:43], v1 offset:29640
	ds_load_2addr_stride64_b64 v[38:41], v0 offset0:56 offset1:57
	s_wait_dscnt 0x0
	v_dual_mul_f32 v95, v43, v39 :: v_dual_mul_f32 v0, v42, v39
	s_delay_alu instid0(VALU_DEP_1) | instskip(NEXT) | instid1(VALU_DEP_2)
	v_xor_b32_e32 v96, 0x80000000, v95
	v_fmac_f32_e32 v0, v43, v38
	s_delay_alu instid0(VALU_DEP_2) | instskip(NEXT) | instid1(VALU_DEP_2)
	v_fmac_f32_e32 v96, v42, v38
	v_pk_mul_f32 v[38:39], v[0:1], v[40:41] op_sel:[0,1] op_sel_hi:[0,0]
	v_add_nc_u32_e64 v0, 0x7000, 0
	s_delay_alu instid0(VALU_DEP_2) | instskip(SKIP_1) | instid1(VALU_DEP_2)
	v_pk_fma_f32 v[42:43], v[96:97], v[40:41], v[38:39] op_sel_hi:[0,1,1]
	v_pk_fma_f32 v[38:39], v[96:97], v[40:41], v[38:39] neg_lo:[0,0,1] neg_hi:[0,0,1]
	v_mov_b32_e32 v39, v43
	ds_store_2addr_b64 v0, v[38:39], v[38:39] offset0:57 offset1:120
.LBB53_145:                             ;   in Loop: Header=BB53_3 Depth=1
	s_or_b32 exec_lo, exec_lo, s52
	v_mov_b64_e32 v[38:39], 0
	s_wait_dscnt 0x0
	s_barrier_signal -1
	s_barrier_wait -1
	global_wb scope:SCOPE_DEV
	s_wait_storecnt 0x0
	global_inv scope:SCOPE_DEV
	s_and_saveexec_b32 s66, s3
	s_cbranch_execz .LBB53_155
; %bb.146:                              ;   in Loop: Header=BB53_3 Depth=1
	ds_load_b64 v[38:39], v58 offset:29056
	ds_load_b64 v[40:41], v59 offset:32704
	s_wait_dscnt 0x0
	v_dual_mul_f32 v0, v41, v39 :: v_dual_mul_f32 v39, v40, v39
	s_delay_alu instid0(VALU_DEP_1) | instskip(NEXT) | instid1(VALU_DEP_1)
	v_dual_fma_f32 v0, v40, v38, -v0 :: v_dual_fmac_f32 v39, v41, v38
	v_dual_add_f32 v38, 0, v0 :: v_dual_add_f32 v39, 0, v39
	s_and_saveexec_b32 s52, s18
	s_cbranch_execnz .LBB53_1112
; %bb.147:                              ;   in Loop: Header=BB53_3 Depth=1
	s_or_b32 exec_lo, exec_lo, s52
	s_and_saveexec_b32 s52, s19
	s_cbranch_execnz .LBB53_1113
.LBB53_148:                             ;   in Loop: Header=BB53_3 Depth=1
	s_or_b32 exec_lo, exec_lo, s52
	s_and_saveexec_b32 s52, s20
	s_cbranch_execnz .LBB53_1114
.LBB53_149:                             ;   in Loop: Header=BB53_3 Depth=1
	s_or_b32 exec_lo, exec_lo, s52
	s_and_saveexec_b32 s52, s21
	s_cbranch_execnz .LBB53_1115
.LBB53_150:                             ;   in Loop: Header=BB53_3 Depth=1
	s_or_b32 exec_lo, exec_lo, s52
	s_and_saveexec_b32 s52, s22
	s_cbranch_execnz .LBB53_1116
.LBB53_151:                             ;   in Loop: Header=BB53_3 Depth=1
	s_or_b32 exec_lo, exec_lo, s52
	s_and_saveexec_b32 s52, s2
	s_cbranch_execnz .LBB53_1117
.LBB53_152:                             ;   in Loop: Header=BB53_3 Depth=1
	s_or_b32 exec_lo, exec_lo, s52
	s_and_saveexec_b32 s52, s17
	s_cbranch_execz .LBB53_154
.LBB53_153:                             ;   in Loop: Header=BB53_3 Depth=1
	ds_load_b64 v[40:41], v72 offset:32640
	ds_load_b64 v[42:43], v1 offset:32760
	s_wait_dscnt 0x0
	v_dual_mul_f32 v0, v43, v41 :: v_dual_mul_f32 v97, v42, v41
	s_delay_alu instid0(VALU_DEP_1) | instskip(NEXT) | instid1(VALU_DEP_1)
	v_dual_fma_f32 v96, v42, v40, -v0 :: v_dual_fmac_f32 v97, v43, v40
	v_pk_add_f32 v[38:39], v[38:39], v[96:97]
.LBB53_154:                             ;   in Loop: Header=BB53_3 Depth=1
	s_or_b32 exec_lo, exec_lo, s52
.LBB53_155:                             ;   in Loop: Header=BB53_3 Depth=1
	s_delay_alu instid0(SALU_CYCLE_1)
	s_or_b32 exec_lo, exec_lo, s66
	s_and_saveexec_b32 s52, s104
	s_cbranch_execz .LBB53_157
; %bb.156:                              ;   in Loop: Header=BB53_3 Depth=1
	ds_load_b64 v[40:41], v1 offset:28600
	s_wait_dscnt 0x0
	v_pk_mul_f32 v[42:43], v[38:39], v[40:41] op_sel:[1,1] op_sel_hi:[1,0]
	s_delay_alu instid0(VALU_DEP_1) | instskip(SKIP_1) | instid1(VALU_DEP_2)
	v_pk_fma_f32 v[96:97], v[38:39], v[40:41], v[42:43] op_sel_hi:[0,1,1]
	v_pk_fma_f32 v[38:39], v[38:39], v[40:41], v[42:43] neg_lo:[0,0,1] neg_hi:[0,0,1]
	v_mov_b32_e32 v39, v97
	s_delay_alu instid0(VALU_DEP_1)
	v_pk_add_f32 v[40:41], v[38:39], 0 neg_lo:[1,1] neg_hi:[1,1]
	ds_store_b64 v57, v[40:41]
.LBB53_157:                             ;   in Loop: Header=BB53_3 Depth=1
	s_or_b32 exec_lo, exec_lo, s52
	s_wait_loadcnt_dscnt 0x0
	s_barrier_signal -1
	s_barrier_wait -1
	s_and_saveexec_b32 s52, vcc_hi
	s_cbranch_execz .LBB53_159
; %bb.158:                              ;   in Loop: Header=BB53_3 Depth=1
	ds_load_b64 v[40:41], v58 offset:28544
	ds_load_b64 v[42:43], v57
	s_wait_dscnt 0x0
	v_pk_mul_f32 v[96:97], v[42:43], v[40:41] op_sel:[1,1] op_sel_hi:[0,1]
	s_delay_alu instid0(VALU_DEP_1) | instskip(SKIP_1) | instid1(VALU_DEP_2)
	v_pk_fma_f32 v[98:99], v[42:43], v[40:41], v[96:97] op_sel_hi:[1,0,1]
	v_pk_fma_f32 v[40:41], v[42:43], v[40:41], v[96:97] neg_lo:[0,0,1] neg_hi:[0,0,1]
	v_mov_b32_e32 v41, v99
	s_delay_alu instid0(VALU_DEP_1)
	v_pk_add_f32 v[38:39], v[38:39], v[40:41] neg_lo:[0,1] neg_hi:[0,1]
.LBB53_159:                             ;   in Loop: Header=BB53_3 Depth=1
	s_or_b32 exec_lo, exec_lo, s52
	s_barrier_signal -1
	s_barrier_wait -1
	s_and_saveexec_b32 s52, s39
	s_cbranch_execz .LBB53_161
; %bb.160:                              ;   in Loop: Header=BB53_3 Depth=1
	ds_load_b64 v[40:41], v1 offset:28080
	s_wait_dscnt 0x0
	v_pk_mul_f32 v[42:43], v[38:39], v[40:41] op_sel:[1,1] op_sel_hi:[1,0]
	s_delay_alu instid0(VALU_DEP_1) | instskip(SKIP_1) | instid1(VALU_DEP_2)
	v_pk_fma_f32 v[96:97], v[38:39], v[40:41], v[42:43] op_sel_hi:[0,1,1]
	v_pk_fma_f32 v[38:39], v[38:39], v[40:41], v[42:43] neg_lo:[0,0,1] neg_hi:[0,0,1]
	v_mov_b32_e32 v39, v97
	s_delay_alu instid0(VALU_DEP_1)
	v_pk_add_f32 v[40:41], v[38:39], 0 neg_lo:[1,1] neg_hi:[1,1]
	ds_store_b64 v57, v[40:41]
.LBB53_161:                             ;   in Loop: Header=BB53_3 Depth=1
	s_or_b32 exec_lo, exec_lo, s52
	s_wait_dscnt 0x0
	s_barrier_signal -1
	s_barrier_wait -1
	s_and_saveexec_b32 s52, s40
	s_cbranch_execz .LBB53_163
; %bb.162:                              ;   in Loop: Header=BB53_3 Depth=1
	ds_load_b64 v[40:41], v58 offset:28032
	ds_load_b64 v[42:43], v57
	s_wait_dscnt 0x0
	v_pk_mul_f32 v[96:97], v[42:43], v[40:41] op_sel:[1,1] op_sel_hi:[0,1]
	s_delay_alu instid0(VALU_DEP_1) | instskip(SKIP_1) | instid1(VALU_DEP_2)
	v_pk_fma_f32 v[98:99], v[42:43], v[40:41], v[96:97] op_sel_hi:[1,0,1]
	v_pk_fma_f32 v[40:41], v[42:43], v[40:41], v[96:97] neg_lo:[0,0,1] neg_hi:[0,0,1]
	v_mov_b32_e32 v41, v99
	s_delay_alu instid0(VALU_DEP_1)
	v_pk_add_f32 v[38:39], v[38:39], v[40:41] neg_lo:[0,1] neg_hi:[0,1]
.LBB53_163:                             ;   in Loop: Header=BB53_3 Depth=1
	s_or_b32 exec_lo, exec_lo, s52
	s_barrier_signal -1
	s_barrier_wait -1
	s_and_saveexec_b32 s52, s41
	s_cbranch_execz .LBB53_165
; %bb.164:                              ;   in Loop: Header=BB53_3 Depth=1
	ds_load_b64 v[40:41], v1 offset:27560
	s_wait_dscnt 0x0
	v_pk_mul_f32 v[42:43], v[38:39], v[40:41] op_sel:[1,1] op_sel_hi:[1,0]
	s_delay_alu instid0(VALU_DEP_1) | instskip(SKIP_1) | instid1(VALU_DEP_2)
	v_pk_fma_f32 v[96:97], v[38:39], v[40:41], v[42:43] op_sel_hi:[0,1,1]
	v_pk_fma_f32 v[38:39], v[38:39], v[40:41], v[42:43] neg_lo:[0,0,1] neg_hi:[0,0,1]
	v_mov_b32_e32 v39, v97
	s_delay_alu instid0(VALU_DEP_1)
	v_pk_add_f32 v[40:41], v[38:39], 0 neg_lo:[1,1] neg_hi:[1,1]
	ds_store_b64 v57, v[40:41]
.LBB53_165:                             ;   in Loop: Header=BB53_3 Depth=1
	s_or_b32 exec_lo, exec_lo, s52
	s_wait_dscnt 0x0
	s_barrier_signal -1
	s_barrier_wait -1
	s_and_saveexec_b32 s52, s42
	s_cbranch_execz .LBB53_167
; %bb.166:                              ;   in Loop: Header=BB53_3 Depth=1
	ds_load_b64 v[40:41], v58 offset:27520
	ds_load_b64 v[42:43], v57
	s_wait_dscnt 0x0
	v_pk_mul_f32 v[96:97], v[42:43], v[40:41] op_sel:[1,1] op_sel_hi:[0,1]
	s_delay_alu instid0(VALU_DEP_1) | instskip(SKIP_1) | instid1(VALU_DEP_2)
	v_pk_fma_f32 v[98:99], v[42:43], v[40:41], v[96:97] op_sel_hi:[1,0,1]
	v_pk_fma_f32 v[40:41], v[42:43], v[40:41], v[96:97] neg_lo:[0,0,1] neg_hi:[0,0,1]
	v_mov_b32_e32 v41, v99
	s_delay_alu instid0(VALU_DEP_1)
	v_pk_add_f32 v[38:39], v[38:39], v[40:41] neg_lo:[0,1] neg_hi:[0,1]
.LBB53_167:                             ;   in Loop: Header=BB53_3 Depth=1
	s_or_b32 exec_lo, exec_lo, s52
	s_barrier_signal -1
	s_barrier_wait -1
	s_and_saveexec_b32 s52, s43
	s_cbranch_execz .LBB53_169
; %bb.168:                              ;   in Loop: Header=BB53_3 Depth=1
	ds_load_b64 v[40:41], v1 offset:27040
	s_wait_dscnt 0x0
	v_pk_mul_f32 v[42:43], v[38:39], v[40:41]
	v_pk_mul_f32 v[38:39], v[38:39], v[40:41] op_sel:[1,0] op_sel_hi:[0,1]
	s_delay_alu instid0(VALU_DEP_1) | instskip(NEXT) | instid1(VALU_DEP_3)
	v_dual_mov_b32 v40, v42 :: v_dual_mov_b32 v41, v38
	v_mov_b32_e32 v38, v43
	s_delay_alu instid0(VALU_DEP_1) | instskip(SKIP_1) | instid1(VALU_DEP_2)
	v_pk_add_f32 v[42:43], v[40:41], v[38:39]
	v_pk_add_f32 v[38:39], v[40:41], v[38:39] neg_lo:[0,1] neg_hi:[0,1]
	v_mov_b32_e32 v39, v43
	s_delay_alu instid0(VALU_DEP_1)
	v_pk_add_f32 v[40:41], v[38:39], 0 neg_lo:[1,1] neg_hi:[1,1]
	ds_store_b64 v57, v[40:41]
.LBB53_169:                             ;   in Loop: Header=BB53_3 Depth=1
	s_or_b32 exec_lo, exec_lo, s52
	s_wait_dscnt 0x0
	s_barrier_signal -1
	s_barrier_wait -1
	s_and_saveexec_b32 s52, s44
	s_cbranch_execz .LBB53_171
; %bb.170:                              ;   in Loop: Header=BB53_3 Depth=1
	ds_load_b64 v[40:41], v58 offset:27008
	ds_load_b64 v[42:43], v57
	s_wait_dscnt 0x0
	v_dual_mul_f32 v0, v43, v41 :: v_dual_mul_f32 v41, v42, v41
	s_delay_alu instid0(VALU_DEP_1) | instskip(NEXT) | instid1(VALU_DEP_1)
	v_dual_fma_f32 v0, v42, v40, -v0 :: v_dual_fmac_f32 v41, v43, v40
	v_dual_sub_f32 v38, v38, v0 :: v_dual_sub_f32 v39, v39, v41
.LBB53_171:                             ;   in Loop: Header=BB53_3 Depth=1
	s_or_b32 exec_lo, exec_lo, s52
	s_barrier_signal -1
	s_barrier_wait -1
	s_and_saveexec_b32 s52, s45
	s_cbranch_execz .LBB53_173
; %bb.172:                              ;   in Loop: Header=BB53_3 Depth=1
	ds_load_b64 v[40:41], v1 offset:26520
	s_wait_dscnt 0x0
	v_dual_mul_f32 v0, v39, v40 :: v_dual_mul_f32 v42, v39, v41
	s_delay_alu instid0(VALU_DEP_1) | instskip(NEXT) | instid1(VALU_DEP_2)
	v_pk_fma_f32 v[96:97], v[38:39], v[40:41], v[0:1] op_sel:[1,0,0] op_sel_hi:[0,1,0]
	v_pk_fma_f32 v[38:39], v[38:39], v[40:41], v[42:43] op_sel_hi:[1,1,0] neg_lo:[0,0,1] neg_hi:[0,0,1]
	s_delay_alu instid0(VALU_DEP_2) | instskip(NEXT) | instid1(VALU_DEP_1)
	v_mov_b32_e32 v39, v97
	v_pk_add_f32 v[40:41], v[38:39], 0 neg_lo:[1,1] neg_hi:[1,1]
	ds_store_b64 v57, v[40:41]
.LBB53_173:                             ;   in Loop: Header=BB53_3 Depth=1
	s_or_b32 exec_lo, exec_lo, s52
	s_wait_dscnt 0x0
	s_barrier_signal -1
	s_barrier_wait -1
	s_and_saveexec_b32 s52, s46
	s_cbranch_execz .LBB53_175
; %bb.174:                              ;   in Loop: Header=BB53_3 Depth=1
	ds_load_b64 v[40:41], v58 offset:26496
	ds_load_b64 v[42:43], v57
	s_wait_dscnt 0x0
	v_pk_mul_f32 v[96:97], v[42:43], v[40:41] op_sel:[1,1] op_sel_hi:[0,1]
	s_delay_alu instid0(VALU_DEP_1) | instskip(SKIP_1) | instid1(VALU_DEP_2)
	v_pk_fma_f32 v[98:99], v[42:43], v[40:41], v[96:97] op_sel_hi:[1,0,1]
	v_pk_fma_f32 v[40:41], v[42:43], v[40:41], v[96:97] neg_lo:[0,0,1] neg_hi:[0,0,1]
	v_mov_b32_e32 v41, v99
	s_delay_alu instid0(VALU_DEP_1)
	v_pk_add_f32 v[38:39], v[38:39], v[40:41] neg_lo:[0,1] neg_hi:[0,1]
.LBB53_175:                             ;   in Loop: Header=BB53_3 Depth=1
	s_or_b32 exec_lo, exec_lo, s52
	s_barrier_signal -1
	s_barrier_wait -1
	s_and_saveexec_b32 s52, s47
	s_cbranch_execz .LBB53_177
; %bb.176:                              ;   in Loop: Header=BB53_3 Depth=1
	ds_load_b64 v[40:41], v1 offset:26000
	s_wait_dscnt 0x0
	v_pk_mul_f32 v[42:43], v[38:39], v[40:41] op_sel:[1,1] op_sel_hi:[1,0]
	s_delay_alu instid0(VALU_DEP_1) | instskip(SKIP_1) | instid1(VALU_DEP_2)
	v_pk_fma_f32 v[96:97], v[38:39], v[40:41], v[42:43] op_sel_hi:[0,1,1]
	v_pk_fma_f32 v[38:39], v[38:39], v[40:41], v[42:43] neg_lo:[0,0,1] neg_hi:[0,0,1]
	v_mov_b32_e32 v39, v97
	s_delay_alu instid0(VALU_DEP_1)
	v_pk_add_f32 v[40:41], v[38:39], 0 neg_lo:[1,1] neg_hi:[1,1]
	ds_store_b64 v57, v[40:41]
.LBB53_177:                             ;   in Loop: Header=BB53_3 Depth=1
	s_or_b32 exec_lo, exec_lo, s52
	s_wait_dscnt 0x0
	s_barrier_signal -1
	s_barrier_wait -1
	s_and_saveexec_b32 s52, s48
	s_cbranch_execz .LBB53_179
; %bb.178:                              ;   in Loop: Header=BB53_3 Depth=1
	ds_load_b64 v[40:41], v58 offset:25984
	ds_load_b64 v[42:43], v57
	s_wait_dscnt 0x0
	v_pk_mul_f32 v[96:97], v[42:43], v[40:41] op_sel:[1,1] op_sel_hi:[0,1]
	s_delay_alu instid0(VALU_DEP_1) | instskip(SKIP_1) | instid1(VALU_DEP_2)
	v_pk_fma_f32 v[98:99], v[42:43], v[40:41], v[96:97] op_sel_hi:[1,0,1]
	v_pk_fma_f32 v[40:41], v[42:43], v[40:41], v[96:97] neg_lo:[0,0,1] neg_hi:[0,0,1]
	v_mov_b32_e32 v41, v99
	s_delay_alu instid0(VALU_DEP_1)
	v_pk_add_f32 v[38:39], v[38:39], v[40:41] neg_lo:[0,1] neg_hi:[0,1]
.LBB53_179:                             ;   in Loop: Header=BB53_3 Depth=1
	s_or_b32 exec_lo, exec_lo, s52
	s_barrier_signal -1
	s_barrier_wait -1
	s_and_saveexec_b32 s52, s49
	s_cbranch_execz .LBB53_181
; %bb.180:                              ;   in Loop: Header=BB53_3 Depth=1
	ds_load_b64 v[40:41], v1 offset:25480
	s_wait_dscnt 0x0
	v_pk_mul_f32 v[42:43], v[38:39], v[40:41] op_sel:[1,1] op_sel_hi:[1,0]
	s_delay_alu instid0(VALU_DEP_1) | instskip(SKIP_1) | instid1(VALU_DEP_2)
	v_pk_fma_f32 v[96:97], v[38:39], v[40:41], v[42:43] op_sel_hi:[0,1,1]
	v_pk_fma_f32 v[38:39], v[38:39], v[40:41], v[42:43] neg_lo:[0,0,1] neg_hi:[0,0,1]
	v_mov_b32_e32 v39, v97
	s_delay_alu instid0(VALU_DEP_1)
	v_pk_add_f32 v[40:41], v[38:39], 0 neg_lo:[1,1] neg_hi:[1,1]
	ds_store_b64 v57, v[40:41]
.LBB53_181:                             ;   in Loop: Header=BB53_3 Depth=1
	;; [unrolled: 35-line block ×3, first 2 shown]
	s_or_b32 exec_lo, exec_lo, s52
	s_wait_dscnt 0x0
	s_barrier_signal -1
	s_barrier_wait -1
	s_barrier_signal -1
	s_barrier_wait -1
	s_and_saveexec_b32 s52, s3
; %bb.186:                              ;   in Loop: Header=BB53_3 Depth=1
	ds_store_b64 v60, v[38:39] offset:32640
; %bb.187:                              ;   in Loop: Header=BB53_3 Depth=1
	s_or_b32 exec_lo, exec_lo, s52
	s_wait_dscnt 0x0
	s_barrier_signal -1
	s_barrier_wait -1
	s_barrier_signal -1
	s_barrier_wait -1
	s_and_saveexec_b32 s52, s51
	s_cbranch_execz .LBB53_189
; %bb.188:                              ;   in Loop: Header=BB53_3 Depth=1
	ds_load_b64 v[38:39], v74 offset:29056
	s_wait_dscnt 0x0
	ds_store_b64 v75, v[38:39] offset:25024
	ds_load_b64 v[38:39], v74 offset:29064
	s_wait_dscnt 0x0
	ds_store_b64 v75, v[38:39] offset:25536
	;; [unrolled: 3-line block ×8, first 2 shown]
.LBB53_189:                             ;   in Loop: Header=BB53_3 Depth=1
	s_or_b32 exec_lo, exec_lo, s52
	s_wait_dscnt 0x0
	s_barrier_signal -1
	s_barrier_wait -1
	s_and_saveexec_b32 s52, s14
	s_cbranch_execz .LBB53_191
; %bb.190:                              ;   in Loop: Header=BB53_3 Depth=1
	v_add_nc_u32_e64 v0, 0x1b0, 0
	ds_load_b64 v[42:43], v1 offset:28600
	ds_load_2addr_stride64_b64 v[38:41], v0 offset0:54 offset1:55
	s_wait_dscnt 0x0
	v_dual_mul_f32 v95, v43, v39 :: v_dual_mul_f32 v0, v42, v39
	s_delay_alu instid0(VALU_DEP_1) | instskip(NEXT) | instid1(VALU_DEP_2)
	v_xor_b32_e32 v96, 0x80000000, v95
	v_fmac_f32_e32 v0, v43, v38
	s_delay_alu instid0(VALU_DEP_2) | instskip(NEXT) | instid1(VALU_DEP_2)
	v_fmac_f32_e32 v96, v42, v38
	v_pk_mul_f32 v[38:39], v[0:1], v[40:41] op_sel:[0,1] op_sel_hi:[0,0]
	v_add_nc_u32_e64 v0, 0x6800, 0
	s_delay_alu instid0(VALU_DEP_2) | instskip(SKIP_1) | instid1(VALU_DEP_2)
	v_pk_fma_f32 v[42:43], v[96:97], v[40:41], v[38:39] op_sel_hi:[0,1,1]
	v_pk_fma_f32 v[38:39], v[96:97], v[40:41], v[38:39] neg_lo:[0,0,1] neg_hi:[0,0,1]
	v_mov_b32_e32 v39, v43
	ds_store_2addr_b64 v0, v[38:39], v[38:39] offset0:183 offset1:246
.LBB53_191:                             ;   in Loop: Header=BB53_3 Depth=1
	s_or_b32 exec_lo, exec_lo, s52
	v_dual_mov_b32 v38, 0 :: v_dual_mov_b32 v39, 0
	s_wait_dscnt 0x0
	s_barrier_signal -1
	s_barrier_wait -1
	global_wb scope:SCOPE_DEV
	s_wait_storecnt 0x0
	global_inv scope:SCOPE_DEV
	s_and_saveexec_b32 s66, s0
	s_cbranch_execz .LBB53_195
; %bb.192:                              ;   in Loop: Header=BB53_3 Depth=1
	ds_load_b64 v[38:39], v46 offset:28064
	ds_load_b64 v[40:41], v47 offset:28592
	s_wait_dscnt 0x0
	v_pk_mul_f32 v[42:43], v[40:41], v[38:39] op_sel:[1,1] op_sel_hi:[0,1]
	s_delay_alu instid0(VALU_DEP_1) | instskip(SKIP_1) | instid1(VALU_DEP_2)
	v_pk_fma_f32 v[96:97], v[40:41], v[38:39], v[42:43] op_sel_hi:[1,0,1]
	v_pk_fma_f32 v[38:39], v[40:41], v[38:39], v[42:43] neg_lo:[0,0,1] neg_hi:[0,0,1]
	v_mov_b32_e32 v39, v97
	s_delay_alu instid0(VALU_DEP_1)
	v_pk_add_f32 v[38:39], v[38:39], 0 op_sel_hi:[1,0]
	s_and_saveexec_b32 s52, s15
	s_cbranch_execz .LBB53_194
; %bb.193:                              ;   in Loop: Header=BB53_3 Depth=1
	ds_load_b64 v[40:41], v75 offset:28576
	ds_load_b64 v[42:43], v1 offset:28600
	s_wait_dscnt 0x0
	v_pk_mul_f32 v[96:97], v[42:43], v[40:41] op_sel:[1,1] op_sel_hi:[0,1]
	s_delay_alu instid0(VALU_DEP_1) | instskip(SKIP_1) | instid1(VALU_DEP_2)
	v_pk_fma_f32 v[98:99], v[42:43], v[40:41], v[96:97] op_sel_hi:[1,0,1]
	v_pk_fma_f32 v[40:41], v[42:43], v[40:41], v[96:97] neg_lo:[0,0,1] neg_hi:[0,0,1]
	v_mov_b32_e32 v41, v99
	s_delay_alu instid0(VALU_DEP_1)
	v_pk_add_f32 v[38:39], v[38:39], v[40:41]
.LBB53_194:                             ;   in Loop: Header=BB53_3 Depth=1
	s_or_b32 exec_lo, exec_lo, s52
.LBB53_195:                             ;   in Loop: Header=BB53_3 Depth=1
	s_delay_alu instid0(SALU_CYCLE_1)
	s_or_b32 exec_lo, exec_lo, s66
	s_and_saveexec_b32 s52, s94
	s_cbranch_execz .LBB53_197
; %bb.196:                              ;   in Loop: Header=BB53_3 Depth=1
	ds_load_b64 v[40:41], v1 offset:27560
	s_wait_dscnt 0x0
	v_pk_mul_f32 v[42:43], v[38:39], v[40:41] op_sel:[1,1] op_sel_hi:[1,0]
	s_delay_alu instid0(VALU_DEP_1) | instskip(SKIP_1) | instid1(VALU_DEP_2)
	v_pk_fma_f32 v[96:97], v[38:39], v[40:41], v[42:43] op_sel_hi:[0,1,1]
	v_pk_fma_f32 v[38:39], v[38:39], v[40:41], v[42:43] neg_lo:[0,0,1] neg_hi:[0,0,1]
	v_mov_b32_e32 v39, v97
	s_delay_alu instid0(VALU_DEP_1)
	v_pk_add_f32 v[40:41], v[38:39], 0 neg_lo:[1,1] neg_hi:[1,1]
	ds_store_b64 v3, v[40:41]
.LBB53_197:                             ;   in Loop: Header=BB53_3 Depth=1
	s_or_b32 exec_lo, exec_lo, s52
	s_wait_loadcnt_dscnt 0x0
	s_barrier_signal -1
	s_barrier_wait -1
	s_and_saveexec_b32 s52, s95
	s_cbranch_execz .LBB53_199
; %bb.198:                              ;   in Loop: Header=BB53_3 Depth=1
	ds_load_b64 v[40:41], v1 offset:27552
	ds_load_b64 v[42:43], v3
	s_wait_dscnt 0x0
	v_pk_mul_f32 v[96:97], v[42:43], v[40:41] op_sel:[1,1] op_sel_hi:[0,1]
	s_delay_alu instid0(VALU_DEP_1) | instskip(SKIP_1) | instid1(VALU_DEP_2)
	v_pk_fma_f32 v[98:99], v[42:43], v[40:41], v[96:97] op_sel_hi:[1,0,1]
	v_pk_fma_f32 v[40:41], v[42:43], v[40:41], v[96:97] neg_lo:[0,0,1] neg_hi:[0,0,1]
	v_mov_b32_e32 v41, v99
	s_delay_alu instid0(VALU_DEP_1)
	v_pk_add_f32 v[38:39], v[38:39], v[40:41] neg_lo:[0,1] neg_hi:[0,1]
.LBB53_199:                             ;   in Loop: Header=BB53_3 Depth=1
	s_or_b32 exec_lo, exec_lo, s52
	s_barrier_signal -1
	s_barrier_wait -1
	s_and_saveexec_b32 s52, s95
	s_cbranch_execz .LBB53_201
; %bb.200:                              ;   in Loop: Header=BB53_3 Depth=1
	ds_load_b64 v[40:41], v1 offset:27040
	s_wait_dscnt 0x0
	v_pk_mul_f32 v[42:43], v[38:39], v[40:41] op_sel:[1,1] op_sel_hi:[1,0]
	s_delay_alu instid0(VALU_DEP_1) | instskip(SKIP_1) | instid1(VALU_DEP_2)
	v_pk_fma_f32 v[96:97], v[38:39], v[40:41], v[42:43] op_sel_hi:[0,1,1]
	v_pk_fma_f32 v[38:39], v[38:39], v[40:41], v[42:43] neg_lo:[0,0,1] neg_hi:[0,0,1]
	v_mov_b32_e32 v39, v97
	s_delay_alu instid0(VALU_DEP_1)
	v_pk_add_f32 v[40:41], v[38:39], 0 neg_lo:[1,1] neg_hi:[1,1]
	ds_store_b64 v3, v[40:41]
.LBB53_201:                             ;   in Loop: Header=BB53_3 Depth=1
	s_or_b32 exec_lo, exec_lo, s52
	s_wait_dscnt 0x0
	s_barrier_signal -1
	s_barrier_wait -1
	s_barrier_signal -1
	s_barrier_wait -1
	s_and_saveexec_b32 s52, s0
; %bb.202:                              ;   in Loop: Header=BB53_3 Depth=1
	ds_store_b64 v49, v[38:39] offset:28576
; %bb.203:                              ;   in Loop: Header=BB53_3 Depth=1
	s_or_b32 exec_lo, exec_lo, s52
	s_wait_dscnt 0x0
	s_barrier_signal -1
	s_barrier_wait -1
	s_barrier_signal -1
	s_barrier_wait -1
	s_and_saveexec_b32 s52, s96
	s_cbranch_execz .LBB53_205
; %bb.204:                              ;   in Loop: Header=BB53_3 Depth=1
	ds_load_b64 v[38:39], v76 offset:28064
	s_wait_dscnt 0x0
	ds_store_b64 v75, v[38:39] offset:27056
	ds_load_b64 v[38:39], v76 offset:28072
	s_wait_dscnt 0x0
	ds_store_b64 v75, v[38:39] offset:27568
.LBB53_205:                             ;   in Loop: Header=BB53_3 Depth=1
	s_or_b32 exec_lo, exec_lo, s52
	s_wait_dscnt 0x0
	s_barrier_signal -1
	s_barrier_wait -1
	s_and_saveexec_b32 s52, s14
	s_cbranch_execz .LBB53_207
; %bb.206:                              ;   in Loop: Header=BB53_3 Depth=1
	v_add_nc_u32_e64 v0, 0x1a0, 0
	ds_load_b64 v[42:43], v1 offset:27560
	ds_load_2addr_stride64_b64 v[38:41], v0 offset0:52 offset1:53
	s_wait_dscnt 0x0
	v_dual_mul_f32 v95, v43, v39 :: v_dual_mul_f32 v0, v42, v39
	s_delay_alu instid0(VALU_DEP_1) | instskip(NEXT) | instid1(VALU_DEP_2)
	v_xor_b32_e32 v96, 0x80000000, v95
	v_fmac_f32_e32 v0, v43, v38
	s_delay_alu instid0(VALU_DEP_2) | instskip(NEXT) | instid1(VALU_DEP_2)
	v_fmac_f32_e32 v96, v42, v38
	v_pk_mul_f32 v[38:39], v[0:1], v[40:41] op_sel:[0,1] op_sel_hi:[0,0]
	v_add_nc_u32_e64 v0, 0x6800, 0
	s_delay_alu instid0(VALU_DEP_2) | instskip(SKIP_1) | instid1(VALU_DEP_2)
	v_pk_fma_f32 v[42:43], v[96:97], v[40:41], v[38:39] op_sel_hi:[0,1,1]
	v_pk_fma_f32 v[38:39], v[96:97], v[40:41], v[38:39] neg_lo:[0,0,1] neg_hi:[0,0,1]
	v_mov_b32_e32 v39, v43
	ds_store_2addr_b64 v0, v[38:39], v[38:39] offset0:53 offset1:116
.LBB53_207:                             ;   in Loop: Header=BB53_3 Depth=1
	s_or_b32 exec_lo, exec_lo, s52
	v_mov_b64_e32 v[38:39], 0
	s_wait_dscnt 0x0
	s_barrier_signal -1
	s_barrier_wait -1
	global_wb scope:SCOPE_DEV
	s_wait_storecnt 0x0
	global_inv scope:SCOPE_DEV
	s_and_saveexec_b32 s66, s2
	s_cbranch_execz .LBB53_213
; %bb.208:                              ;   in Loop: Header=BB53_3 Depth=1
	ds_load_b64 v[38:39], v52 offset:27008
	ds_load_b64 v[40:41], v53 offset:28576
	s_wait_dscnt 0x0
	v_dual_mul_f32 v0, v41, v39 :: v_dual_mul_f32 v39, v40, v39
	s_delay_alu instid0(VALU_DEP_1) | instskip(NEXT) | instid1(VALU_DEP_1)
	v_dual_fma_f32 v0, v40, v38, -v0 :: v_dual_fmac_f32 v39, v41, v38
	v_dual_add_f32 v38, 0, v0 :: v_dual_add_f32 v39, 0, v39
	s_and_saveexec_b32 s52, s16
	s_cbranch_execnz .LBB53_1118
; %bb.209:                              ;   in Loop: Header=BB53_3 Depth=1
	s_or_b32 exec_lo, exec_lo, s52
	s_and_saveexec_b32 s52, s17
	s_cbranch_execnz .LBB53_1119
.LBB53_210:                             ;   in Loop: Header=BB53_3 Depth=1
	s_or_b32 exec_lo, exec_lo, s52
	s_and_saveexec_b32 s52, s0
	s_cbranch_execz .LBB53_212
.LBB53_211:                             ;   in Loop: Header=BB53_3 Depth=1
	ds_load_b64 v[40:41], v77 offset:28544
	ds_load_b64 v[42:43], v1 offset:28600
	s_wait_dscnt 0x0
	v_dual_mul_f32 v0, v43, v41 :: v_dual_mul_f32 v41, v42, v41
	s_delay_alu instid0(VALU_DEP_1) | instskip(NEXT) | instid1(VALU_DEP_1)
	v_dual_fma_f32 v0, v42, v40, -v0 :: v_dual_fmac_f32 v41, v43, v40
	v_dual_add_f32 v38, v38, v0 :: v_dual_add_f32 v39, v39, v41
.LBB53_212:                             ;   in Loop: Header=BB53_3 Depth=1
	s_or_b32 exec_lo, exec_lo, s52
.LBB53_213:                             ;   in Loop: Header=BB53_3 Depth=1
	s_delay_alu instid0(SALU_CYCLE_1)
	s_or_b32 exec_lo, exec_lo, s66
	s_and_saveexec_b32 s52, s97
	s_cbranch_execz .LBB53_215
; %bb.214:                              ;   in Loop: Header=BB53_3 Depth=1
	ds_load_b64 v[40:41], v1 offset:26520
	s_wait_dscnt 0x0
	v_dual_mul_f32 v0, v39, v40 :: v_dual_mul_f32 v42, v39, v41
	s_delay_alu instid0(VALU_DEP_1) | instskip(NEXT) | instid1(VALU_DEP_2)
	v_pk_fma_f32 v[96:97], v[38:39], v[40:41], v[0:1] op_sel:[1,0,0] op_sel_hi:[0,1,0]
	v_pk_fma_f32 v[38:39], v[38:39], v[40:41], v[42:43] op_sel_hi:[1,1,0] neg_lo:[0,0,1] neg_hi:[0,0,1]
	s_delay_alu instid0(VALU_DEP_2) | instskip(NEXT) | instid1(VALU_DEP_1)
	v_mov_b32_e32 v39, v97
	v_pk_add_f32 v[40:41], v[38:39], 0 neg_lo:[1,1] neg_hi:[1,1]
	ds_store_b64 v51, v[40:41]
.LBB53_215:                             ;   in Loop: Header=BB53_3 Depth=1
	s_or_b32 exec_lo, exec_lo, s52
	s_wait_loadcnt_dscnt 0x0
	s_barrier_signal -1
	s_barrier_wait -1
	s_and_saveexec_b32 s52, s98
	s_cbranch_execz .LBB53_217
; %bb.216:                              ;   in Loop: Header=BB53_3 Depth=1
	ds_load_b64 v[40:41], v52 offset:26496
	ds_load_b64 v[42:43], v51
	s_wait_dscnt 0x0
	v_pk_mul_f32 v[96:97], v[42:43], v[40:41] op_sel:[1,1] op_sel_hi:[0,1]
	s_delay_alu instid0(VALU_DEP_1) | instskip(SKIP_1) | instid1(VALU_DEP_2)
	v_pk_fma_f32 v[98:99], v[42:43], v[40:41], v[96:97] op_sel_hi:[1,0,1]
	v_pk_fma_f32 v[40:41], v[42:43], v[40:41], v[96:97] neg_lo:[0,0,1] neg_hi:[0,0,1]
	v_mov_b32_e32 v41, v99
	s_delay_alu instid0(VALU_DEP_1)
	v_pk_add_f32 v[38:39], v[38:39], v[40:41] neg_lo:[0,1] neg_hi:[0,1]
.LBB53_217:                             ;   in Loop: Header=BB53_3 Depth=1
	s_or_b32 exec_lo, exec_lo, s52
	s_barrier_signal -1
	s_barrier_wait -1
	s_and_saveexec_b32 s52, s99
	s_cbranch_execz .LBB53_219
; %bb.218:                              ;   in Loop: Header=BB53_3 Depth=1
	ds_load_b64 v[40:41], v1 offset:26000
	s_wait_dscnt 0x0
	v_pk_mul_f32 v[42:43], v[38:39], v[40:41] op_sel:[1,1] op_sel_hi:[1,0]
	s_delay_alu instid0(VALU_DEP_1) | instskip(SKIP_1) | instid1(VALU_DEP_2)
	v_pk_fma_f32 v[96:97], v[38:39], v[40:41], v[42:43] op_sel_hi:[0,1,1]
	v_pk_fma_f32 v[38:39], v[38:39], v[40:41], v[42:43] neg_lo:[0,0,1] neg_hi:[0,0,1]
	v_mov_b32_e32 v39, v97
	s_delay_alu instid0(VALU_DEP_1)
	v_pk_add_f32 v[40:41], v[38:39], 0 neg_lo:[1,1] neg_hi:[1,1]
	ds_store_b64 v51, v[40:41]
.LBB53_219:                             ;   in Loop: Header=BB53_3 Depth=1
	s_or_b32 exec_lo, exec_lo, s52
	s_wait_dscnt 0x0
	s_barrier_signal -1
	s_barrier_wait -1
	s_and_saveexec_b32 s52, s100
	s_cbranch_execz .LBB53_221
; %bb.220:                              ;   in Loop: Header=BB53_3 Depth=1
	ds_load_b64 v[40:41], v52 offset:25984
	ds_load_b64 v[42:43], v51
	s_wait_dscnt 0x0
	v_pk_mul_f32 v[96:97], v[42:43], v[40:41] op_sel:[1,1] op_sel_hi:[0,1]
	s_delay_alu instid0(VALU_DEP_1) | instskip(SKIP_1) | instid1(VALU_DEP_2)
	v_pk_fma_f32 v[98:99], v[42:43], v[40:41], v[96:97] op_sel_hi:[1,0,1]
	v_pk_fma_f32 v[40:41], v[42:43], v[40:41], v[96:97] neg_lo:[0,0,1] neg_hi:[0,0,1]
	v_mov_b32_e32 v41, v99
	s_delay_alu instid0(VALU_DEP_1)
	v_pk_add_f32 v[38:39], v[38:39], v[40:41] neg_lo:[0,1] neg_hi:[0,1]
.LBB53_221:                             ;   in Loop: Header=BB53_3 Depth=1
	s_or_b32 exec_lo, exec_lo, s52
	s_barrier_signal -1
	s_barrier_wait -1
	s_and_saveexec_b32 s52, s101
	s_cbranch_execz .LBB53_223
; %bb.222:                              ;   in Loop: Header=BB53_3 Depth=1
	ds_load_b64 v[40:41], v1 offset:25480
	s_wait_dscnt 0x0
	v_pk_mul_f32 v[42:43], v[38:39], v[40:41] op_sel:[1,1] op_sel_hi:[1,0]
	s_delay_alu instid0(VALU_DEP_1) | instskip(SKIP_1) | instid1(VALU_DEP_2)
	v_pk_fma_f32 v[96:97], v[38:39], v[40:41], v[42:43] op_sel_hi:[0,1,1]
	v_pk_fma_f32 v[38:39], v[38:39], v[40:41], v[42:43] neg_lo:[0,0,1] neg_hi:[0,0,1]
	v_mov_b32_e32 v39, v97
	s_delay_alu instid0(VALU_DEP_1)
	v_pk_add_f32 v[40:41], v[38:39], 0 neg_lo:[1,1] neg_hi:[1,1]
	ds_store_b64 v51, v[40:41]
.LBB53_223:                             ;   in Loop: Header=BB53_3 Depth=1
	s_or_b32 exec_lo, exec_lo, s52
	s_wait_dscnt 0x0
	;; [unrolled: 35-line block ×3, first 2 shown]
	s_barrier_signal -1
	s_barrier_wait -1
	s_barrier_signal -1
	s_barrier_wait -1
	s_and_saveexec_b32 s52, s2
; %bb.228:                              ;   in Loop: Header=BB53_3 Depth=1
	ds_store_b64 v56, v[38:39] offset:28544
; %bb.229:                              ;   in Loop: Header=BB53_3 Depth=1
	s_or_b32 exec_lo, exec_lo, s52
	s_wait_dscnt 0x0
	s_barrier_signal -1
	s_barrier_wait -1
	s_barrier_signal -1
	s_barrier_wait -1
	s_and_saveexec_b32 s52, s103
	s_cbranch_execz .LBB53_231
; %bb.230:                              ;   in Loop: Header=BB53_3 Depth=1
	ds_load_b64 v[38:39], v80 offset:27008
	s_wait_dscnt 0x0
	ds_store_b64 v83, v[38:39] offset:24992
	ds_load_b64 v[38:39], v80 offset:27016
	s_wait_dscnt 0x0
	ds_store_b64 v83, v[38:39] offset:25504
	;; [unrolled: 3-line block ×4, first 2 shown]
.LBB53_231:                             ;   in Loop: Header=BB53_3 Depth=1
	s_or_b32 exec_lo, exec_lo, s52
	s_wait_dscnt 0x0
	s_barrier_signal -1
	s_barrier_wait -1
	s_and_saveexec_b32 s52, s14
	s_cbranch_execz .LBB53_233
; %bb.232:                              ;   in Loop: Header=BB53_3 Depth=1
	v_add_nc_u32_e64 v0, 0x190, 0
	ds_load_b64 v[42:43], v1 offset:26520
	ds_load_2addr_stride64_b64 v[38:41], v0 offset0:50 offset1:51
	s_wait_dscnt 0x0
	v_dual_mul_f32 v95, v43, v39 :: v_dual_mul_f32 v0, v42, v39
	s_delay_alu instid0(VALU_DEP_1) | instskip(NEXT) | instid1(VALU_DEP_2)
	v_xor_b32_e32 v96, 0x80000000, v95
	v_fmac_f32_e32 v0, v43, v38
	s_delay_alu instid0(VALU_DEP_2) | instskip(NEXT) | instid1(VALU_DEP_2)
	v_fmac_f32_e32 v96, v42, v38
	v_pk_mul_f32 v[38:39], v[0:1], v[40:41] op_sel:[0,1] op_sel_hi:[0,0]
	v_add_nc_u32_e64 v0, 0x6000, 0
	s_delay_alu instid0(VALU_DEP_2) | instskip(SKIP_1) | instid1(VALU_DEP_2)
	v_pk_fma_f32 v[42:43], v[96:97], v[40:41], v[38:39] op_sel_hi:[0,1,1]
	v_pk_fma_f32 v[38:39], v[96:97], v[40:41], v[38:39] neg_lo:[0,0,1] neg_hi:[0,0,1]
	v_mov_b32_e32 v39, v43
	ds_store_2addr_b64 v0, v[38:39], v[38:39] offset0:179 offset1:242
.LBB53_233:                             ;   in Loop: Header=BB53_3 Depth=1
	s_or_b32 exec_lo, exec_lo, s52
	v_dual_mov_b32 v38, 0 :: v_dual_mov_b32 v39, 0
	s_wait_dscnt 0x0
	s_barrier_signal -1
	s_barrier_wait -1
	global_wb scope:SCOPE_DEV
	s_wait_storecnt 0x0
	global_inv scope:SCOPE_DEV
	s_and_saveexec_b32 s66, s0
	s_cbranch_execz .LBB53_237
; %bb.234:                              ;   in Loop: Header=BB53_3 Depth=1
	ds_load_b64 v[38:39], v46 offset:25984
	ds_load_b64 v[40:41], v47 offset:26512
	s_wait_dscnt 0x0
	v_pk_mul_f32 v[42:43], v[40:41], v[38:39] op_sel:[1,1] op_sel_hi:[0,1]
	s_delay_alu instid0(VALU_DEP_1) | instskip(SKIP_1) | instid1(VALU_DEP_2)
	v_pk_fma_f32 v[96:97], v[40:41], v[38:39], v[42:43] op_sel_hi:[1,0,1]
	v_pk_fma_f32 v[38:39], v[40:41], v[38:39], v[42:43] neg_lo:[0,0,1] neg_hi:[0,0,1]
	v_mov_b32_e32 v39, v97
	s_delay_alu instid0(VALU_DEP_1)
	v_pk_add_f32 v[38:39], v[38:39], 0 op_sel_hi:[1,0]
	s_and_saveexec_b32 s52, s15
	s_cbranch_execz .LBB53_236
; %bb.235:                              ;   in Loop: Header=BB53_3 Depth=1
	ds_load_b64 v[40:41], v83 offset:26496
	ds_load_b64 v[42:43], v1 offset:26520
	s_wait_dscnt 0x0
	v_pk_mul_f32 v[96:97], v[42:43], v[40:41] op_sel:[1,1] op_sel_hi:[0,1]
	s_delay_alu instid0(VALU_DEP_1) | instskip(SKIP_1) | instid1(VALU_DEP_2)
	v_pk_fma_f32 v[98:99], v[42:43], v[40:41], v[96:97] op_sel_hi:[1,0,1]
	v_pk_fma_f32 v[40:41], v[42:43], v[40:41], v[96:97] neg_lo:[0,0,1] neg_hi:[0,0,1]
	v_mov_b32_e32 v41, v99
	s_delay_alu instid0(VALU_DEP_1)
	v_pk_add_f32 v[38:39], v[38:39], v[40:41]
.LBB53_236:                             ;   in Loop: Header=BB53_3 Depth=1
	s_or_b32 exec_lo, exec_lo, s52
.LBB53_237:                             ;   in Loop: Header=BB53_3 Depth=1
	s_delay_alu instid0(SALU_CYCLE_1)
	s_or_b32 exec_lo, exec_lo, s66
	s_and_saveexec_b32 s52, s94
	s_cbranch_execz .LBB53_239
; %bb.238:                              ;   in Loop: Header=BB53_3 Depth=1
	ds_load_b64 v[40:41], v1 offset:25480
	s_wait_dscnt 0x0
	v_pk_mul_f32 v[42:43], v[38:39], v[40:41] op_sel:[1,1] op_sel_hi:[1,0]
	s_delay_alu instid0(VALU_DEP_1) | instskip(SKIP_1) | instid1(VALU_DEP_2)
	v_pk_fma_f32 v[96:97], v[38:39], v[40:41], v[42:43] op_sel_hi:[0,1,1]
	v_pk_fma_f32 v[38:39], v[38:39], v[40:41], v[42:43] neg_lo:[0,0,1] neg_hi:[0,0,1]
	v_mov_b32_e32 v39, v97
	s_delay_alu instid0(VALU_DEP_1)
	v_pk_add_f32 v[40:41], v[38:39], 0 neg_lo:[1,1] neg_hi:[1,1]
	ds_store_b64 v3, v[40:41]
.LBB53_239:                             ;   in Loop: Header=BB53_3 Depth=1
	s_or_b32 exec_lo, exec_lo, s52
	s_wait_loadcnt_dscnt 0x0
	s_barrier_signal -1
	s_barrier_wait -1
	s_and_saveexec_b32 s52, s95
	s_cbranch_execz .LBB53_241
; %bb.240:                              ;   in Loop: Header=BB53_3 Depth=1
	ds_load_b64 v[40:41], v1 offset:25472
	ds_load_b64 v[42:43], v3
	s_wait_dscnt 0x0
	v_pk_mul_f32 v[96:97], v[42:43], v[40:41] op_sel:[1,1] op_sel_hi:[0,1]
	s_delay_alu instid0(VALU_DEP_1) | instskip(SKIP_1) | instid1(VALU_DEP_2)
	v_pk_fma_f32 v[98:99], v[42:43], v[40:41], v[96:97] op_sel_hi:[1,0,1]
	v_pk_fma_f32 v[40:41], v[42:43], v[40:41], v[96:97] neg_lo:[0,0,1] neg_hi:[0,0,1]
	v_mov_b32_e32 v41, v99
	s_delay_alu instid0(VALU_DEP_1)
	v_pk_add_f32 v[38:39], v[38:39], v[40:41] neg_lo:[0,1] neg_hi:[0,1]
.LBB53_241:                             ;   in Loop: Header=BB53_3 Depth=1
	s_or_b32 exec_lo, exec_lo, s52
	s_barrier_signal -1
	s_barrier_wait -1
	s_and_saveexec_b32 s52, s95
	s_cbranch_execz .LBB53_243
; %bb.242:                              ;   in Loop: Header=BB53_3 Depth=1
	ds_load_b64 v[40:41], v1 offset:24960
	s_wait_dscnt 0x0
	v_pk_mul_f32 v[42:43], v[38:39], v[40:41] op_sel:[1,1] op_sel_hi:[1,0]
	s_delay_alu instid0(VALU_DEP_1) | instskip(SKIP_1) | instid1(VALU_DEP_2)
	v_pk_fma_f32 v[96:97], v[38:39], v[40:41], v[42:43] op_sel_hi:[0,1,1]
	v_pk_fma_f32 v[38:39], v[38:39], v[40:41], v[42:43] neg_lo:[0,0,1] neg_hi:[0,0,1]
	v_mov_b32_e32 v39, v97
	s_delay_alu instid0(VALU_DEP_1)
	v_pk_add_f32 v[40:41], v[38:39], 0 neg_lo:[1,1] neg_hi:[1,1]
	ds_store_b64 v3, v[40:41]
.LBB53_243:                             ;   in Loop: Header=BB53_3 Depth=1
	s_or_b32 exec_lo, exec_lo, s52
	s_wait_dscnt 0x0
	s_barrier_signal -1
	s_barrier_wait -1
	s_barrier_signal -1
	s_barrier_wait -1
	s_and_saveexec_b32 s52, s0
; %bb.244:                              ;   in Loop: Header=BB53_3 Depth=1
	ds_store_b64 v49, v[38:39] offset:26496
; %bb.245:                              ;   in Loop: Header=BB53_3 Depth=1
	s_or_b32 exec_lo, exec_lo, s52
	s_wait_dscnt 0x0
	s_barrier_signal -1
	s_barrier_wait -1
	s_barrier_signal -1
	s_barrier_wait -1
	s_and_saveexec_b32 s52, s96
	s_cbranch_execz .LBB53_247
; %bb.246:                              ;   in Loop: Header=BB53_3 Depth=1
	ds_load_b64 v[38:39], v84 offset:25984
	s_wait_dscnt 0x0
	ds_store_b64 v83, v[38:39] offset:24976
	ds_load_b64 v[38:39], v84 offset:25992
	s_wait_dscnt 0x0
	ds_store_b64 v83, v[38:39] offset:25488
.LBB53_247:                             ;   in Loop: Header=BB53_3 Depth=1
	s_or_b32 exec_lo, exec_lo, s52
	s_wait_dscnt 0x0
	s_barrier_signal -1
	s_barrier_wait -1
	s_and_saveexec_b32 s52, s14
	s_cbranch_execz .LBB53_249
; %bb.248:                              ;   in Loop: Header=BB53_3 Depth=1
	v_add_nc_u32_e64 v0, 0x180, 0
	ds_load_b64 v[42:43], v1 offset:25480
	ds_load_2addr_stride64_b64 v[38:41], v0 offset0:48 offset1:49
	s_wait_dscnt 0x0
	v_dual_mul_f32 v95, v43, v39 :: v_dual_mul_f32 v0, v42, v39
	s_delay_alu instid0(VALU_DEP_1) | instskip(NEXT) | instid1(VALU_DEP_2)
	v_xor_b32_e32 v96, 0x80000000, v95
	v_fmac_f32_e32 v0, v43, v38
	s_delay_alu instid0(VALU_DEP_2) | instskip(NEXT) | instid1(VALU_DEP_2)
	v_fmac_f32_e32 v96, v42, v38
	v_pk_mul_f32 v[38:39], v[0:1], v[40:41] op_sel:[0,1] op_sel_hi:[0,0]
	v_add_nc_u32_e64 v0, 0x6000, 0
	s_delay_alu instid0(VALU_DEP_2) | instskip(SKIP_1) | instid1(VALU_DEP_2)
	v_pk_fma_f32 v[42:43], v[96:97], v[40:41], v[38:39] op_sel_hi:[0,1,1]
	v_pk_fma_f32 v[38:39], v[96:97], v[40:41], v[38:39] neg_lo:[0,0,1] neg_hi:[0,0,1]
	v_mov_b32_e32 v39, v43
	ds_store_2addr_b64 v0, v[38:39], v[38:39] offset0:49 offset1:112
.LBB53_249:                             ;   in Loop: Header=BB53_3 Depth=1
	s_or_b32 exec_lo, exec_lo, s52
	v_mov_b64_e32 v[38:39], 0
	s_wait_dscnt 0x0
	s_barrier_signal -1
	s_barrier_wait -1
	global_wb scope:SCOPE_DEV
	s_wait_storecnt 0x0
	global_inv scope:SCOPE_DEV
	s_and_saveexec_b32 s66, s4
	s_cbranch_execz .LBB53_277
; %bb.250:                              ;   in Loop: Header=BB53_3 Depth=1
	ds_load_b64 v[38:39], v62 offset:24832
	ds_load_b64 v[40:41], v63 offset:32640
	v_readlane_b32 s53, v105, 25
	s_wait_dscnt 0x0
	v_dual_mul_f32 v0, v41, v39 :: v_dual_mul_f32 v39, v40, v39
	s_delay_alu instid0(VALU_DEP_1) | instskip(NEXT) | instid1(VALU_DEP_1)
	v_dual_fma_f32 v0, v40, v38, -v0 :: v_dual_fmac_f32 v39, v41, v38
	v_dual_add_f32 v38, 0, v0 :: v_dual_add_f32 v39, 0, v39
	s_and_saveexec_b32 s52, s53
	s_cbranch_execz .LBB53_252
; %bb.251:                              ;   in Loop: Header=BB53_3 Depth=1
	ds_load_b64 v[40:41], v62 offset:25344
	ds_load_b64 v[42:43], v63 offset:32648
	s_wait_dscnt 0x0
	v_dual_mul_f32 v0, v43, v41 :: v_dual_mul_f32 v41, v42, v41
	s_delay_alu instid0(VALU_DEP_1) | instskip(NEXT) | instid1(VALU_DEP_1)
	v_dual_fma_f32 v0, v42, v40, -v0 :: v_dual_fmac_f32 v41, v43, v40
	v_dual_add_f32 v38, v38, v0 :: v_dual_add_f32 v39, v39, v41
.LBB53_252:                             ;   in Loop: Header=BB53_3 Depth=1
	s_or_b32 exec_lo, exec_lo, s52
	v_readlane_b32 s53, v105, 26
	s_and_saveexec_b32 s52, s53
	s_cbranch_execz .LBB53_254
; %bb.253:                              ;   in Loop: Header=BB53_3 Depth=1
	ds_load_b64 v[40:41], v62 offset:25856
	ds_load_b64 v[42:43], v63 offset:32656
	s_wait_dscnt 0x0
	v_dual_mul_f32 v0, v43, v41 :: v_dual_mul_f32 v41, v42, v41
	s_delay_alu instid0(VALU_DEP_1) | instskip(NEXT) | instid1(VALU_DEP_1)
	v_dual_fma_f32 v0, v42, v40, -v0 :: v_dual_fmac_f32 v41, v43, v40
	v_dual_add_f32 v38, v38, v0 :: v_dual_add_f32 v39, v39, v41
.LBB53_254:                             ;   in Loop: Header=BB53_3 Depth=1
	s_or_b32 exec_lo, exec_lo, s52
	v_readlane_b32 s53, v105, 27
	;; [unrolled: 13-line block ×10, first 2 shown]
	s_and_saveexec_b32 s52, s53
	s_cbranch_execnz .LBB53_1120
; %bb.271:                              ;   in Loop: Header=BB53_3 Depth=1
	s_or_b32 exec_lo, exec_lo, s52
	s_and_saveexec_b32 s52, s3
	s_cbranch_execnz .LBB53_1121
.LBB53_272:                             ;   in Loop: Header=BB53_3 Depth=1
	s_or_b32 exec_lo, exec_lo, s52
	s_and_saveexec_b32 s52, s19
	s_cbranch_execnz .LBB53_1122
.LBB53_273:                             ;   in Loop: Header=BB53_3 Depth=1
	s_or_b32 exec_lo, exec_lo, s52
	s_and_saveexec_b32 s52, s21
	s_cbranch_execnz .LBB53_1123
.LBB53_274:                             ;   in Loop: Header=BB53_3 Depth=1
	s_or_b32 exec_lo, exec_lo, s52
	s_and_saveexec_b32 s52, s2
	s_cbranch_execz .LBB53_276
.LBB53_275:                             ;   in Loop: Header=BB53_3 Depth=1
	ds_load_b64 v[40:41], v48 offset:32512
	ds_load_b64 v[42:43], v1 offset:32760
	s_wait_dscnt 0x0
	v_dual_mul_f32 v0, v43, v41 :: v_dual_mul_f32 v97, v42, v41
	s_delay_alu instid0(VALU_DEP_1) | instskip(NEXT) | instid1(VALU_DEP_1)
	v_dual_fma_f32 v96, v42, v40, -v0 :: v_dual_fmac_f32 v97, v43, v40
	v_pk_add_f32 v[38:39], v[38:39], v[96:97]
.LBB53_276:                             ;   in Loop: Header=BB53_3 Depth=1
	s_or_b32 exec_lo, exec_lo, s52
.LBB53_277:                             ;   in Loop: Header=BB53_3 Depth=1
	s_delay_alu instid0(SALU_CYCLE_1)
	s_or_b32 exec_lo, exec_lo, s66
	v_readlane_b32 s53, v105, 5
	s_and_saveexec_b32 s52, s53
	s_cbranch_execz .LBB53_279
; %bb.278:                              ;   in Loop: Header=BB53_3 Depth=1
	ds_load_b64 v[40:41], v1 offset:24440
	s_wait_dscnt 0x0
	v_pk_mul_f32 v[42:43], v[38:39], v[40:41] op_sel:[1,1] op_sel_hi:[1,0]
	s_delay_alu instid0(VALU_DEP_1) | instskip(SKIP_1) | instid1(VALU_DEP_2)
	v_pk_fma_f32 v[96:97], v[38:39], v[40:41], v[42:43] op_sel_hi:[0,1,1]
	v_pk_fma_f32 v[38:39], v[38:39], v[40:41], v[42:43] neg_lo:[0,0,1] neg_hi:[0,0,1]
	v_mov_b32_e32 v39, v97
	s_delay_alu instid0(VALU_DEP_1)
	v_pk_add_f32 v[40:41], v[38:39], 0 neg_lo:[1,1] neg_hi:[1,1]
	ds_store_b64 v61, v[40:41]
.LBB53_279:                             ;   in Loop: Header=BB53_3 Depth=1
	s_or_b32 exec_lo, exec_lo, s52
	v_readlane_b32 s53, v105, 6
	s_wait_loadcnt_dscnt 0x0
	s_barrier_signal -1
	s_barrier_wait -1
	s_and_saveexec_b32 s52, s53
	s_cbranch_execz .LBB53_281
; %bb.280:                              ;   in Loop: Header=BB53_3 Depth=1
	ds_load_b64 v[40:41], v62 offset:24320
	ds_load_b64 v[42:43], v61
	s_wait_dscnt 0x0
	v_pk_mul_f32 v[96:97], v[42:43], v[40:41] op_sel:[1,1] op_sel_hi:[0,1]
	s_delay_alu instid0(VALU_DEP_1) | instskip(SKIP_1) | instid1(VALU_DEP_2)
	v_pk_fma_f32 v[98:99], v[42:43], v[40:41], v[96:97] op_sel_hi:[1,0,1]
	v_pk_fma_f32 v[40:41], v[42:43], v[40:41], v[96:97] neg_lo:[0,0,1] neg_hi:[0,0,1]
	v_mov_b32_e32 v41, v99
	s_delay_alu instid0(VALU_DEP_1)
	v_pk_add_f32 v[38:39], v[38:39], v[40:41] neg_lo:[0,1] neg_hi:[0,1]
.LBB53_281:                             ;   in Loop: Header=BB53_3 Depth=1
	s_or_b32 exec_lo, exec_lo, s52
	v_readlane_b32 s53, v105, 7
	s_barrier_signal -1
	s_barrier_wait -1
	s_and_saveexec_b32 s52, s53
	s_cbranch_execz .LBB53_283
; %bb.282:                              ;   in Loop: Header=BB53_3 Depth=1
	ds_load_b64 v[40:41], v1 offset:23920
	s_wait_dscnt 0x0
	v_pk_mul_f32 v[42:43], v[38:39], v[40:41] op_sel:[1,1] op_sel_hi:[1,0]
	s_delay_alu instid0(VALU_DEP_1) | instskip(SKIP_1) | instid1(VALU_DEP_2)
	v_pk_fma_f32 v[96:97], v[38:39], v[40:41], v[42:43] op_sel_hi:[0,1,1]
	v_pk_fma_f32 v[38:39], v[38:39], v[40:41], v[42:43] neg_lo:[0,0,1] neg_hi:[0,0,1]
	v_mov_b32_e32 v39, v97
	s_delay_alu instid0(VALU_DEP_1)
	v_pk_add_f32 v[40:41], v[38:39], 0 neg_lo:[1,1] neg_hi:[1,1]
	ds_store_b64 v61, v[40:41]
.LBB53_283:                             ;   in Loop: Header=BB53_3 Depth=1
	s_or_b32 exec_lo, exec_lo, s52
	s_wait_dscnt 0x0
	s_barrier_signal -1
	s_barrier_wait -1
	s_and_saveexec_b32 s52, s55
	s_cbranch_execz .LBB53_285
; %bb.284:                              ;   in Loop: Header=BB53_3 Depth=1
	ds_load_b64 v[40:41], v62 offset:23808
	ds_load_b64 v[42:43], v61
	s_wait_dscnt 0x0
	v_pk_mul_f32 v[96:97], v[42:43], v[40:41] op_sel:[1,1] op_sel_hi:[0,1]
	s_delay_alu instid0(VALU_DEP_1) | instskip(SKIP_1) | instid1(VALU_DEP_2)
	v_pk_fma_f32 v[98:99], v[42:43], v[40:41], v[96:97] op_sel_hi:[1,0,1]
	v_pk_fma_f32 v[40:41], v[42:43], v[40:41], v[96:97] neg_lo:[0,0,1] neg_hi:[0,0,1]
	v_mov_b32_e32 v41, v99
	s_delay_alu instid0(VALU_DEP_1)
	v_pk_add_f32 v[38:39], v[38:39], v[40:41] neg_lo:[0,1] neg_hi:[0,1]
.LBB53_285:                             ;   in Loop: Header=BB53_3 Depth=1
	s_or_b32 exec_lo, exec_lo, s52
	s_barrier_signal -1
	s_barrier_wait -1
	s_and_saveexec_b32 s52, s56
	s_cbranch_execz .LBB53_287
; %bb.286:                              ;   in Loop: Header=BB53_3 Depth=1
	ds_load_b64 v[40:41], v1 offset:23400
	s_wait_dscnt 0x0
	v_pk_mul_f32 v[42:43], v[38:39], v[40:41] op_sel:[1,1] op_sel_hi:[1,0]
	s_delay_alu instid0(VALU_DEP_1) | instskip(SKIP_1) | instid1(VALU_DEP_2)
	v_pk_fma_f32 v[96:97], v[38:39], v[40:41], v[42:43] op_sel_hi:[0,1,1]
	v_pk_fma_f32 v[38:39], v[38:39], v[40:41], v[42:43] neg_lo:[0,0,1] neg_hi:[0,0,1]
	v_mov_b32_e32 v39, v97
	s_delay_alu instid0(VALU_DEP_1)
	v_pk_add_f32 v[40:41], v[38:39], 0 neg_lo:[1,1] neg_hi:[1,1]
	ds_store_b64 v61, v[40:41]
.LBB53_287:                             ;   in Loop: Header=BB53_3 Depth=1
	s_or_b32 exec_lo, exec_lo, s52
	s_wait_dscnt 0x0
	s_barrier_signal -1
	s_barrier_wait -1
	s_and_saveexec_b32 s52, s57
	s_cbranch_execz .LBB53_289
; %bb.288:                              ;   in Loop: Header=BB53_3 Depth=1
	ds_load_b64 v[40:41], v62 offset:23296
	ds_load_b64 v[42:43], v61
	s_wait_dscnt 0x0
	v_pk_mul_f32 v[96:97], v[42:43], v[40:41] op_sel:[1,1] op_sel_hi:[0,1]
	s_delay_alu instid0(VALU_DEP_1) | instskip(SKIP_1) | instid1(VALU_DEP_2)
	v_pk_fma_f32 v[98:99], v[42:43], v[40:41], v[96:97] op_sel_hi:[1,0,1]
	v_pk_fma_f32 v[40:41], v[42:43], v[40:41], v[96:97] neg_lo:[0,0,1] neg_hi:[0,0,1]
	v_mov_b32_e32 v41, v99
	s_delay_alu instid0(VALU_DEP_1)
	v_pk_add_f32 v[38:39], v[38:39], v[40:41] neg_lo:[0,1] neg_hi:[0,1]
.LBB53_289:                             ;   in Loop: Header=BB53_3 Depth=1
	s_or_b32 exec_lo, exec_lo, s52
	s_delay_alu instid0(VALU_DEP_1)
	v_dual_mov_b32 v40, v39 :: v_dual_mov_b32 v41, v38
	s_barrier_signal -1
	s_barrier_wait -1
	s_and_saveexec_b32 s52, s58
	s_cbranch_execz .LBB53_291
; %bb.290:                              ;   in Loop: Header=BB53_3 Depth=1
	ds_load_b64 v[42:43], v1 offset:22880
	s_wait_dscnt 0x0
	v_dual_mul_f32 v0, v41, v43 :: v_dual_mul_f32 v96, v39, v43
	s_delay_alu instid0(VALU_DEP_1) | instskip(NEXT) | instid1(VALU_DEP_2)
	v_pk_fma_f32 v[40:41], v[40:41], v[42:43], v[0:1] op_sel_hi:[1,1,0]
	v_pk_fma_f32 v[38:39], v[38:39], v[42:43], v[96:97] op_sel_hi:[1,1,0] neg_lo:[0,0,1] neg_hi:[0,0,1]
	s_delay_alu instid0(VALU_DEP_1) | instskip(NEXT) | instid1(VALU_DEP_1)
	v_dual_mov_b32 v39, v40 :: v_dual_mov_b32 v41, v38
	v_pk_add_f32 v[42:43], v[38:39], 0 neg_lo:[1,1] neg_hi:[1,1]
	ds_store_b64 v61, v[42:43]
.LBB53_291:                             ;   in Loop: Header=BB53_3 Depth=1
	s_or_b32 exec_lo, exec_lo, s52
	s_wait_dscnt 0x0
	s_barrier_signal -1
	s_barrier_wait -1
	s_and_saveexec_b32 s52, s59
	s_cbranch_execz .LBB53_293
; %bb.292:                              ;   in Loop: Header=BB53_3 Depth=1
	ds_load_b64 v[38:39], v62 offset:22784
	ds_load_b64 v[42:43], v61
	s_wait_dscnt 0x0
	v_dual_mul_f32 v0, v43, v39 :: v_dual_mul_f32 v96, v42, v39
	s_delay_alu instid0(VALU_DEP_1) | instskip(NEXT) | instid1(VALU_DEP_2)
	v_fma_f32 v97, v42, v38, -v0
	v_fmac_f32_e32 v96, v43, v38
	s_delay_alu instid0(VALU_DEP_1)
	v_pk_add_f32 v[40:41], v[40:41], v[96:97] neg_lo:[0,1] neg_hi:[0,1]
.LBB53_293:                             ;   in Loop: Header=BB53_3 Depth=1
	s_or_b32 exec_lo, exec_lo, s52
	s_barrier_signal -1
	s_barrier_wait -1
	s_and_saveexec_b32 s52, s60
	s_cbranch_execz .LBB53_295
; %bb.294:                              ;   in Loop: Header=BB53_3 Depth=1
	ds_load_b64 v[38:39], v1 offset:22360
	s_wait_dscnt 0x0
	v_pk_mul_f32 v[42:43], v[40:41], v[38:39] op_sel_hi:[0,1]
	s_delay_alu instid0(VALU_DEP_1) | instskip(SKIP_1) | instid1(VALU_DEP_2)
	v_pk_fma_f32 v[96:97], v[40:41], v[38:39], v[42:43] op_sel:[1,1,0] op_sel_hi:[1,0,1] neg_lo:[0,0,1] neg_hi:[0,0,1]
	v_pk_fma_f32 v[40:41], v[40:41], v[38:39], v[42:43] op_sel:[1,1,0] op_sel_hi:[1,0,1]
	v_mov_b32_e32 v41, v97
	s_delay_alu instid0(VALU_DEP_2)
	v_xor_b32_e32 v39, 0x80000000, v40
	v_xor_b32_e32 v38, 0x80000000, v97
	ds_store_b64 v61, v[38:39]
.LBB53_295:                             ;   in Loop: Header=BB53_3 Depth=1
	s_or_b32 exec_lo, exec_lo, s52
	s_wait_dscnt 0x0
	s_barrier_signal -1
	s_barrier_wait -1
	s_and_saveexec_b32 s52, s61
	s_cbranch_execz .LBB53_297
; %bb.296:                              ;   in Loop: Header=BB53_3 Depth=1
	ds_load_b64 v[38:39], v62 offset:22272
	ds_load_b64 v[42:43], v61
	s_wait_dscnt 0x0
	v_pk_mul_f32 v[96:97], v[42:43], v[38:39] op_sel:[0,1]
	s_delay_alu instid0(VALU_DEP_1) | instskip(SKIP_1) | instid1(VALU_DEP_2)
	v_pk_fma_f32 v[98:99], v[42:43], v[38:39], v[96:97] op_sel:[1,0,0] op_sel_hi:[0,0,1] neg_lo:[0,0,1] neg_hi:[0,0,1]
	v_pk_fma_f32 v[38:39], v[42:43], v[38:39], v[96:97] op_sel:[1,0,0] op_sel_hi:[0,1,1]
	v_mov_b32_e32 v39, v99
	s_delay_alu instid0(VALU_DEP_1)
	v_pk_add_f32 v[40:41], v[40:41], v[38:39] neg_lo:[0,1] neg_hi:[0,1]
.LBB53_297:                             ;   in Loop: Header=BB53_3 Depth=1
	s_or_b32 exec_lo, exec_lo, s52
	s_barrier_signal -1
	s_barrier_wait -1
	s_and_saveexec_b32 s52, s62
	s_cbranch_execz .LBB53_299
; %bb.298:                              ;   in Loop: Header=BB53_3 Depth=1
	ds_load_b64 v[38:39], v1 offset:21840
	s_wait_dscnt 0x0
	v_pk_mul_f32 v[42:43], v[40:41], v[38:39] op_sel_hi:[0,1]
	s_delay_alu instid0(VALU_DEP_1) | instskip(SKIP_1) | instid1(VALU_DEP_2)
	v_pk_fma_f32 v[96:97], v[40:41], v[38:39], v[42:43] op_sel:[1,1,0] op_sel_hi:[1,0,1] neg_lo:[0,0,1] neg_hi:[0,0,1]
	v_pk_fma_f32 v[40:41], v[40:41], v[38:39], v[42:43] op_sel:[1,1,0] op_sel_hi:[1,0,1]
	v_mov_b32_e32 v41, v97
	s_delay_alu instid0(VALU_DEP_2)
	v_xor_b32_e32 v39, 0x80000000, v40
	v_xor_b32_e32 v38, 0x80000000, v97
	ds_store_b64 v61, v[38:39]
.LBB53_299:                             ;   in Loop: Header=BB53_3 Depth=1
	s_or_b32 exec_lo, exec_lo, s52
	s_wait_dscnt 0x0
	s_barrier_signal -1
	s_barrier_wait -1
	s_and_saveexec_b32 s52, s63
	s_cbranch_execz .LBB53_301
; %bb.300:                              ;   in Loop: Header=BB53_3 Depth=1
	ds_load_b64 v[38:39], v62 offset:21760
	ds_load_b64 v[42:43], v61
	s_wait_dscnt 0x0
	v_pk_mul_f32 v[96:97], v[42:43], v[38:39] op_sel:[0,1]
	s_delay_alu instid0(VALU_DEP_1) | instskip(SKIP_1) | instid1(VALU_DEP_2)
	v_pk_fma_f32 v[98:99], v[42:43], v[38:39], v[96:97] op_sel:[1,0,0] op_sel_hi:[0,0,1] neg_lo:[0,0,1] neg_hi:[0,0,1]
	v_pk_fma_f32 v[38:39], v[42:43], v[38:39], v[96:97] op_sel:[1,0,0] op_sel_hi:[0,1,1]
	v_mov_b32_e32 v39, v99
	s_delay_alu instid0(VALU_DEP_1)
	v_pk_add_f32 v[40:41], v[40:41], v[38:39] neg_lo:[0,1] neg_hi:[0,1]
.LBB53_301:                             ;   in Loop: Header=BB53_3 Depth=1
	;; [unrolled: 36-line block ×3, first 2 shown]
	s_or_b32 exec_lo, exec_lo, s52
	s_delay_alu instid0(VALU_DEP_1)
	v_dual_mov_b32 v38, v41 :: v_dual_mov_b32 v39, v40
	s_barrier_signal -1
	s_barrier_wait -1
	s_and_saveexec_b32 s52, s12
	s_cbranch_execz .LBB53_307
; %bb.306:                              ;   in Loop: Header=BB53_3 Depth=1
	ds_load_b64 v[42:43], v1 offset:20800
	s_wait_dscnt 0x0
	v_dual_mul_f32 v0, v40, v42 :: v_dual_mul_f32 v96, v39, v43
	s_delay_alu instid0(VALU_DEP_1) | instskip(NEXT) | instid1(VALU_DEP_2)
	v_pk_fma_f32 v[40:41], v[40:41], v[42:43], v[0:1] op_sel_hi:[1,1,0]
	v_pk_fma_f32 v[38:39], v[38:39], v[42:43], v[96:97] op_sel_hi:[1,1,0] neg_lo:[0,0,1] neg_hi:[0,0,1]
	s_delay_alu instid0(VALU_DEP_2) | instskip(NEXT) | instid1(VALU_DEP_1)
	v_mov_b32_e32 v39, v41
	v_pk_add_f32 v[40:41], v[38:39], 0 neg_lo:[1,1] neg_hi:[1,1]
	ds_store_b64 v61, v[40:41]
.LBB53_307:                             ;   in Loop: Header=BB53_3 Depth=1
	s_or_b32 exec_lo, exec_lo, s52
	s_wait_dscnt 0x0
	s_barrier_signal -1
	s_barrier_wait -1
	s_and_saveexec_b32 s52, s13
	s_cbranch_execz .LBB53_309
; %bb.308:                              ;   in Loop: Header=BB53_3 Depth=1
	ds_load_b64 v[40:41], v62 offset:20736
	ds_load_b64 v[42:43], v61
	s_wait_dscnt 0x0
	v_dual_mul_f32 v0, v43, v41 :: v_dual_mul_f32 v97, v42, v41
	s_delay_alu instid0(VALU_DEP_1) | instskip(NEXT) | instid1(VALU_DEP_1)
	v_dual_fma_f32 v96, v42, v40, -v0 :: v_dual_fmac_f32 v97, v43, v40
	v_pk_add_f32 v[38:39], v[38:39], v[96:97] neg_lo:[0,1] neg_hi:[0,1]
.LBB53_309:                             ;   in Loop: Header=BB53_3 Depth=1
	s_or_b32 exec_lo, exec_lo, s52
	s_barrier_signal -1
	s_barrier_wait -1
	s_and_saveexec_b32 s52, s23
	s_cbranch_execz .LBB53_311
; %bb.310:                              ;   in Loop: Header=BB53_3 Depth=1
	ds_load_b64 v[40:41], v1 offset:20280
	s_wait_dscnt 0x0
	v_pk_mul_f32 v[42:43], v[38:39], v[40:41] op_sel:[1,1] op_sel_hi:[1,0]
	s_delay_alu instid0(VALU_DEP_1) | instskip(SKIP_1) | instid1(VALU_DEP_2)
	v_pk_fma_f32 v[96:97], v[38:39], v[40:41], v[42:43] op_sel_hi:[0,1,1]
	v_pk_fma_f32 v[38:39], v[38:39], v[40:41], v[42:43] neg_lo:[0,0,1] neg_hi:[0,0,1]
	v_mov_b32_e32 v39, v97
	s_delay_alu instid0(VALU_DEP_1)
	v_pk_add_f32 v[40:41], v[38:39], 0 neg_lo:[1,1] neg_hi:[1,1]
	ds_store_b64 v61, v[40:41]
.LBB53_311:                             ;   in Loop: Header=BB53_3 Depth=1
	s_or_b32 exec_lo, exec_lo, s52
	s_wait_dscnt 0x0
	s_barrier_signal -1
	s_barrier_wait -1
	s_and_saveexec_b32 s52, s25
	s_cbranch_execz .LBB53_313
; %bb.312:                              ;   in Loop: Header=BB53_3 Depth=1
	ds_load_b64 v[40:41], v62 offset:20224
	ds_load_b64 v[42:43], v61
	s_wait_dscnt 0x0
	v_pk_mul_f32 v[96:97], v[42:43], v[40:41] op_sel:[1,1] op_sel_hi:[0,1]
	s_delay_alu instid0(VALU_DEP_1) | instskip(SKIP_1) | instid1(VALU_DEP_2)
	v_pk_fma_f32 v[98:99], v[42:43], v[40:41], v[96:97] op_sel_hi:[1,0,1]
	v_pk_fma_f32 v[40:41], v[42:43], v[40:41], v[96:97] neg_lo:[0,0,1] neg_hi:[0,0,1]
	v_mov_b32_e32 v41, v99
	s_delay_alu instid0(VALU_DEP_1)
	v_pk_add_f32 v[38:39], v[38:39], v[40:41] neg_lo:[0,1] neg_hi:[0,1]
.LBB53_313:                             ;   in Loop: Header=BB53_3 Depth=1
	s_or_b32 exec_lo, exec_lo, s52
	s_barrier_signal -1
	s_barrier_wait -1
	s_and_saveexec_b32 s52, s27
	s_cbranch_execz .LBB53_315
; %bb.314:                              ;   in Loop: Header=BB53_3 Depth=1
	ds_load_b64 v[40:41], v1 offset:19760
	s_wait_dscnt 0x0
	v_pk_mul_f32 v[42:43], v[38:39], v[40:41] op_sel:[1,1] op_sel_hi:[1,0]
	s_delay_alu instid0(VALU_DEP_1) | instskip(SKIP_1) | instid1(VALU_DEP_2)
	v_pk_fma_f32 v[96:97], v[38:39], v[40:41], v[42:43] op_sel_hi:[0,1,1]
	v_pk_fma_f32 v[38:39], v[38:39], v[40:41], v[42:43] neg_lo:[0,0,1] neg_hi:[0,0,1]
	v_mov_b32_e32 v39, v97
	s_delay_alu instid0(VALU_DEP_1)
	v_pk_add_f32 v[40:41], v[38:39], 0 neg_lo:[1,1] neg_hi:[1,1]
	ds_store_b64 v61, v[40:41]
.LBB53_315:                             ;   in Loop: Header=BB53_3 Depth=1
	s_or_b32 exec_lo, exec_lo, s52
	s_wait_dscnt 0x0
	s_barrier_signal -1
	s_barrier_wait -1
	s_and_saveexec_b32 s52, s29
	s_cbranch_execz .LBB53_317
; %bb.316:                              ;   in Loop: Header=BB53_3 Depth=1
	ds_load_b64 v[40:41], v62 offset:19712
	ds_load_b64 v[42:43], v61
	s_wait_dscnt 0x0
	v_pk_mul_f32 v[96:97], v[42:43], v[40:41] op_sel:[1,1] op_sel_hi:[0,1]
	s_delay_alu instid0(VALU_DEP_1) | instskip(SKIP_1) | instid1(VALU_DEP_2)
	v_pk_fma_f32 v[98:99], v[42:43], v[40:41], v[96:97] op_sel_hi:[1,0,1]
	v_pk_fma_f32 v[40:41], v[42:43], v[40:41], v[96:97] neg_lo:[0,0,1] neg_hi:[0,0,1]
	v_mov_b32_e32 v41, v99
	s_delay_alu instid0(VALU_DEP_1)
	v_pk_add_f32 v[38:39], v[38:39], v[40:41] neg_lo:[0,1] neg_hi:[0,1]
.LBB53_317:                             ;   in Loop: Header=BB53_3 Depth=1
	;; [unrolled: 35-line block ×3, first 2 shown]
	s_or_b32 exec_lo, exec_lo, s52
	s_barrier_signal -1
	s_barrier_wait -1
	s_and_saveexec_b32 s52, s38
	s_cbranch_execz .LBB53_323
; %bb.322:                              ;   in Loop: Header=BB53_3 Depth=1
	ds_load_b64 v[40:41], v1 offset:18720
	s_wait_dscnt 0x0
	v_pk_mul_f32 v[42:43], v[38:39], v[40:41]
	v_pk_mul_f32 v[38:39], v[38:39], v[40:41] op_sel:[1,0] op_sel_hi:[0,1]
	s_delay_alu instid0(VALU_DEP_1) | instskip(NEXT) | instid1(VALU_DEP_3)
	v_dual_mov_b32 v40, v42 :: v_dual_mov_b32 v41, v38
	v_mov_b32_e32 v38, v43
	s_delay_alu instid0(VALU_DEP_1) | instskip(SKIP_1) | instid1(VALU_DEP_2)
	v_pk_add_f32 v[42:43], v[40:41], v[38:39]
	v_pk_add_f32 v[38:39], v[40:41], v[38:39] neg_lo:[0,1] neg_hi:[0,1]
	v_mov_b32_e32 v39, v43
	s_delay_alu instid0(VALU_DEP_1)
	v_pk_add_f32 v[40:41], v[38:39], 0 neg_lo:[1,1] neg_hi:[1,1]
	ds_store_b64 v61, v[40:41]
.LBB53_323:                             ;   in Loop: Header=BB53_3 Depth=1
	s_or_b32 exec_lo, exec_lo, s52
	s_wait_dscnt 0x0
	s_barrier_signal -1
	s_barrier_wait -1
	s_and_saveexec_b32 s52, s24
	s_cbranch_execz .LBB53_325
; %bb.324:                              ;   in Loop: Header=BB53_3 Depth=1
	ds_load_b64 v[40:41], v62 offset:18688
	ds_load_b64 v[42:43], v61
	s_wait_dscnt 0x0
	v_dual_mul_f32 v0, v43, v41 :: v_dual_mul_f32 v41, v42, v41
	s_delay_alu instid0(VALU_DEP_1) | instskip(NEXT) | instid1(VALU_DEP_1)
	v_dual_fma_f32 v0, v42, v40, -v0 :: v_dual_fmac_f32 v41, v43, v40
	v_dual_sub_f32 v38, v38, v0 :: v_dual_sub_f32 v39, v39, v41
.LBB53_325:                             ;   in Loop: Header=BB53_3 Depth=1
	s_or_b32 exec_lo, exec_lo, s52
	s_barrier_signal -1
	s_barrier_wait -1
	s_and_saveexec_b32 s52, s26
	s_cbranch_execz .LBB53_327
; %bb.326:                              ;   in Loop: Header=BB53_3 Depth=1
	ds_load_b64 v[40:41], v1 offset:18200
	s_wait_dscnt 0x0
	v_dual_mul_f32 v0, v39, v40 :: v_dual_mul_f32 v42, v39, v41
	s_delay_alu instid0(VALU_DEP_1) | instskip(NEXT) | instid1(VALU_DEP_2)
	v_pk_fma_f32 v[96:97], v[38:39], v[40:41], v[0:1] op_sel:[1,0,0] op_sel_hi:[0,1,0]
	v_pk_fma_f32 v[38:39], v[38:39], v[40:41], v[42:43] op_sel_hi:[1,1,0] neg_lo:[0,0,1] neg_hi:[0,0,1]
	s_delay_alu instid0(VALU_DEP_2) | instskip(NEXT) | instid1(VALU_DEP_1)
	v_mov_b32_e32 v39, v97
	v_pk_add_f32 v[40:41], v[38:39], 0 neg_lo:[1,1] neg_hi:[1,1]
	ds_store_b64 v61, v[40:41]
.LBB53_327:                             ;   in Loop: Header=BB53_3 Depth=1
	s_or_b32 exec_lo, exec_lo, s52
	s_wait_dscnt 0x0
	s_barrier_signal -1
	s_barrier_wait -1
	s_and_saveexec_b32 s52, s28
	s_cbranch_execz .LBB53_329
; %bb.328:                              ;   in Loop: Header=BB53_3 Depth=1
	ds_load_b64 v[40:41], v62 offset:18176
	ds_load_b64 v[42:43], v61
	s_wait_dscnt 0x0
	v_pk_mul_f32 v[96:97], v[42:43], v[40:41] op_sel:[1,1] op_sel_hi:[0,1]
	s_delay_alu instid0(VALU_DEP_1) | instskip(SKIP_1) | instid1(VALU_DEP_2)
	v_pk_fma_f32 v[98:99], v[42:43], v[40:41], v[96:97] op_sel_hi:[1,0,1]
	v_pk_fma_f32 v[40:41], v[42:43], v[40:41], v[96:97] neg_lo:[0,0,1] neg_hi:[0,0,1]
	v_mov_b32_e32 v41, v99
	s_delay_alu instid0(VALU_DEP_1)
	v_pk_add_f32 v[38:39], v[38:39], v[40:41] neg_lo:[0,1] neg_hi:[0,1]
.LBB53_329:                             ;   in Loop: Header=BB53_3 Depth=1
	s_or_b32 exec_lo, exec_lo, s52
	s_barrier_signal -1
	s_barrier_wait -1
	s_and_saveexec_b32 s52, s30
	s_cbranch_execz .LBB53_331
; %bb.330:                              ;   in Loop: Header=BB53_3 Depth=1
	ds_load_b64 v[40:41], v1 offset:17680
	s_wait_dscnt 0x0
	v_pk_mul_f32 v[42:43], v[38:39], v[40:41] op_sel:[1,1] op_sel_hi:[1,0]
	s_delay_alu instid0(VALU_DEP_1) | instskip(SKIP_1) | instid1(VALU_DEP_2)
	v_pk_fma_f32 v[96:97], v[38:39], v[40:41], v[42:43] op_sel_hi:[0,1,1]
	v_pk_fma_f32 v[38:39], v[38:39], v[40:41], v[42:43] neg_lo:[0,0,1] neg_hi:[0,0,1]
	v_mov_b32_e32 v39, v97
	s_delay_alu instid0(VALU_DEP_1)
	v_pk_add_f32 v[40:41], v[38:39], 0 neg_lo:[1,1] neg_hi:[1,1]
	ds_store_b64 v61, v[40:41]
.LBB53_331:                             ;   in Loop: Header=BB53_3 Depth=1
	s_or_b32 exec_lo, exec_lo, s52
	s_wait_dscnt 0x0
	s_barrier_signal -1
	s_barrier_wait -1
	s_and_saveexec_b32 s52, s33
	s_cbranch_execz .LBB53_333
; %bb.332:                              ;   in Loop: Header=BB53_3 Depth=1
	ds_load_b64 v[40:41], v62 offset:17664
	ds_load_b64 v[42:43], v61
	s_wait_dscnt 0x0
	v_pk_mul_f32 v[96:97], v[42:43], v[40:41] op_sel:[1,1] op_sel_hi:[0,1]
	s_delay_alu instid0(VALU_DEP_1) | instskip(SKIP_1) | instid1(VALU_DEP_2)
	v_pk_fma_f32 v[98:99], v[42:43], v[40:41], v[96:97] op_sel_hi:[1,0,1]
	v_pk_fma_f32 v[40:41], v[42:43], v[40:41], v[96:97] neg_lo:[0,0,1] neg_hi:[0,0,1]
	v_mov_b32_e32 v41, v99
	s_delay_alu instid0(VALU_DEP_1)
	v_pk_add_f32 v[38:39], v[38:39], v[40:41] neg_lo:[0,1] neg_hi:[0,1]
.LBB53_333:                             ;   in Loop: Header=BB53_3 Depth=1
	s_or_b32 exec_lo, exec_lo, s52
	s_barrier_signal -1
	s_barrier_wait -1
	s_and_saveexec_b32 s52, s76
	s_cbranch_execz .LBB53_335
; %bb.334:                              ;   in Loop: Header=BB53_3 Depth=1
	ds_load_b64 v[40:41], v1 offset:17160
	s_wait_dscnt 0x0
	v_pk_mul_f32 v[42:43], v[38:39], v[40:41] op_sel:[1,1] op_sel_hi:[1,0]
	s_delay_alu instid0(VALU_DEP_1) | instskip(SKIP_1) | instid1(VALU_DEP_2)
	v_pk_fma_f32 v[96:97], v[38:39], v[40:41], v[42:43] op_sel_hi:[0,1,1]
	v_pk_fma_f32 v[38:39], v[38:39], v[40:41], v[42:43] neg_lo:[0,0,1] neg_hi:[0,0,1]
	v_mov_b32_e32 v39, v97
	s_delay_alu instid0(VALU_DEP_1)
	v_pk_add_f32 v[40:41], v[38:39], 0 neg_lo:[1,1] neg_hi:[1,1]
	ds_store_b64 v61, v[40:41]
.LBB53_335:                             ;   in Loop: Header=BB53_3 Depth=1
	;; [unrolled: 35-line block ×3, first 2 shown]
	s_or_b32 exec_lo, exec_lo, s52
	s_wait_dscnt 0x0
	s_barrier_signal -1
	s_barrier_wait -1
	s_barrier_signal -1
	s_barrier_wait -1
	s_and_saveexec_b32 s52, s4
; %bb.340:                              ;   in Loop: Header=BB53_3 Depth=1
	ds_store_b64 v65, v[38:39] offset:32512
; %bb.341:                              ;   in Loop: Header=BB53_3 Depth=1
	s_or_b32 exec_lo, exec_lo, s52
	s_wait_dscnt 0x0
	s_barrier_signal -1
	s_barrier_wait -1
	s_barrier_signal -1
	s_barrier_wait -1
	s_and_saveexec_b32 s66, s74
	s_cbranch_execz .LBB53_343
; %bb.342:                              ;   in Loop: Header=BB53_3 Depth=1
	ds_load_b64 v[38:39], v50 offset:24832
	s_wait_dscnt 0x0
	ds_store_b64 v55, v[38:39] offset:16768
	ds_load_b64 v[38:39], v50 offset:24840
	s_wait_dscnt 0x0
	ds_store_b64 v55, v[38:39] offset:17280
	;; [unrolled: 3-line block ×16, first 2 shown]
.LBB53_343:                             ;   in Loop: Header=BB53_3 Depth=1
	s_or_b32 exec_lo, exec_lo, s66
	s_wait_dscnt 0x0
	s_barrier_signal -1
	s_barrier_wait -1
	s_and_saveexec_b32 s52, s14
	s_cbranch_execz .LBB53_345
; %bb.344:                              ;   in Loop: Header=BB53_3 Depth=1
	v_add_nc_u32_e64 v0, 0x170, 0
	ds_load_b64 v[42:43], v1 offset:24440
	ds_load_2addr_stride64_b64 v[38:41], v0 offset0:46 offset1:47
	s_wait_dscnt 0x0
	v_dual_mul_f32 v95, v43, v39 :: v_dual_mul_f32 v0, v42, v39
	s_delay_alu instid0(VALU_DEP_1) | instskip(NEXT) | instid1(VALU_DEP_2)
	v_xor_b32_e32 v96, 0x80000000, v95
	v_fmac_f32_e32 v0, v43, v38
	s_delay_alu instid0(VALU_DEP_2) | instskip(NEXT) | instid1(VALU_DEP_2)
	v_fmac_f32_e32 v96, v42, v38
	v_pk_mul_f32 v[38:39], v[0:1], v[40:41] op_sel:[0,1] op_sel_hi:[0,0]
	v_add_nc_u32_e64 v0, 0x5800, 0
	s_delay_alu instid0(VALU_DEP_2) | instskip(SKIP_1) | instid1(VALU_DEP_2)
	v_pk_fma_f32 v[42:43], v[96:97], v[40:41], v[38:39] op_sel_hi:[0,1,1]
	v_pk_fma_f32 v[38:39], v[96:97], v[40:41], v[38:39] neg_lo:[0,0,1] neg_hi:[0,0,1]
	v_mov_b32_e32 v39, v43
	ds_store_2addr_b64 v0, v[38:39], v[38:39] offset0:175 offset1:238
.LBB53_345:                             ;   in Loop: Header=BB53_3 Depth=1
	s_or_b32 exec_lo, exec_lo, s52
	v_dual_mov_b32 v38, 0 :: v_dual_mov_b32 v39, 0
	s_wait_dscnt 0x0
	s_barrier_signal -1
	s_barrier_wait -1
	global_wb scope:SCOPE_DEV
	s_wait_storecnt 0x0
	global_inv scope:SCOPE_DEV
	s_and_saveexec_b32 s66, s0
	s_cbranch_execz .LBB53_349
; %bb.346:                              ;   in Loop: Header=BB53_3 Depth=1
	ds_load_b64 v[38:39], v46 offset:23904
	ds_load_b64 v[40:41], v47 offset:24432
	s_wait_dscnt 0x0
	v_pk_mul_f32 v[42:43], v[40:41], v[38:39] op_sel:[1,1] op_sel_hi:[0,1]
	s_delay_alu instid0(VALU_DEP_1) | instskip(SKIP_1) | instid1(VALU_DEP_2)
	v_pk_fma_f32 v[96:97], v[40:41], v[38:39], v[42:43] op_sel_hi:[1,0,1]
	v_pk_fma_f32 v[38:39], v[40:41], v[38:39], v[42:43] neg_lo:[0,0,1] neg_hi:[0,0,1]
	v_mov_b32_e32 v39, v97
	s_delay_alu instid0(VALU_DEP_1)
	v_pk_add_f32 v[38:39], v[38:39], 0 op_sel_hi:[1,0]
	s_and_saveexec_b32 s52, s15
	s_cbranch_execz .LBB53_348
; %bb.347:                              ;   in Loop: Header=BB53_3 Depth=1
	ds_load_b64 v[40:41], v48 offset:24416
	ds_load_b64 v[42:43], v1 offset:24440
	s_wait_dscnt 0x0
	v_pk_mul_f32 v[96:97], v[42:43], v[40:41] op_sel:[1,1] op_sel_hi:[0,1]
	s_delay_alu instid0(VALU_DEP_1) | instskip(SKIP_1) | instid1(VALU_DEP_2)
	v_pk_fma_f32 v[98:99], v[42:43], v[40:41], v[96:97] op_sel_hi:[1,0,1]
	v_pk_fma_f32 v[40:41], v[42:43], v[40:41], v[96:97] neg_lo:[0,0,1] neg_hi:[0,0,1]
	v_mov_b32_e32 v41, v99
	s_delay_alu instid0(VALU_DEP_1)
	v_pk_add_f32 v[38:39], v[38:39], v[40:41]
.LBB53_348:                             ;   in Loop: Header=BB53_3 Depth=1
	s_or_b32 exec_lo, exec_lo, s52
.LBB53_349:                             ;   in Loop: Header=BB53_3 Depth=1
	s_delay_alu instid0(SALU_CYCLE_1)
	s_or_b32 exec_lo, exec_lo, s66
	s_and_saveexec_b32 s52, s94
	s_cbranch_execz .LBB53_351
; %bb.350:                              ;   in Loop: Header=BB53_3 Depth=1
	ds_load_b64 v[40:41], v1 offset:23400
	s_wait_dscnt 0x0
	v_pk_mul_f32 v[42:43], v[38:39], v[40:41] op_sel:[1,1] op_sel_hi:[1,0]
	s_delay_alu instid0(VALU_DEP_1) | instskip(SKIP_1) | instid1(VALU_DEP_2)
	v_pk_fma_f32 v[96:97], v[38:39], v[40:41], v[42:43] op_sel_hi:[0,1,1]
	v_pk_fma_f32 v[38:39], v[38:39], v[40:41], v[42:43] neg_lo:[0,0,1] neg_hi:[0,0,1]
	v_mov_b32_e32 v39, v97
	s_delay_alu instid0(VALU_DEP_1)
	v_pk_add_f32 v[40:41], v[38:39], 0 neg_lo:[1,1] neg_hi:[1,1]
	ds_store_b64 v3, v[40:41]
.LBB53_351:                             ;   in Loop: Header=BB53_3 Depth=1
	s_or_b32 exec_lo, exec_lo, s52
	s_wait_loadcnt_dscnt 0x0
	s_barrier_signal -1
	s_barrier_wait -1
	s_and_saveexec_b32 s52, s95
	s_cbranch_execz .LBB53_353
; %bb.352:                              ;   in Loop: Header=BB53_3 Depth=1
	ds_load_b64 v[40:41], v1 offset:23392
	ds_load_b64 v[42:43], v3
	s_wait_dscnt 0x0
	v_pk_mul_f32 v[96:97], v[42:43], v[40:41] op_sel:[1,1] op_sel_hi:[0,1]
	s_delay_alu instid0(VALU_DEP_1) | instskip(SKIP_1) | instid1(VALU_DEP_2)
	v_pk_fma_f32 v[98:99], v[42:43], v[40:41], v[96:97] op_sel_hi:[1,0,1]
	v_pk_fma_f32 v[40:41], v[42:43], v[40:41], v[96:97] neg_lo:[0,0,1] neg_hi:[0,0,1]
	v_mov_b32_e32 v41, v99
	s_delay_alu instid0(VALU_DEP_1)
	v_pk_add_f32 v[38:39], v[38:39], v[40:41] neg_lo:[0,1] neg_hi:[0,1]
.LBB53_353:                             ;   in Loop: Header=BB53_3 Depth=1
	s_or_b32 exec_lo, exec_lo, s52
	s_barrier_signal -1
	s_barrier_wait -1
	s_and_saveexec_b32 s52, s95
	s_cbranch_execz .LBB53_355
; %bb.354:                              ;   in Loop: Header=BB53_3 Depth=1
	ds_load_b64 v[40:41], v1 offset:22880
	s_wait_dscnt 0x0
	v_pk_mul_f32 v[42:43], v[38:39], v[40:41] op_sel:[1,1] op_sel_hi:[1,0]
	s_delay_alu instid0(VALU_DEP_1) | instskip(SKIP_1) | instid1(VALU_DEP_2)
	v_pk_fma_f32 v[96:97], v[38:39], v[40:41], v[42:43] op_sel_hi:[0,1,1]
	v_pk_fma_f32 v[38:39], v[38:39], v[40:41], v[42:43] neg_lo:[0,0,1] neg_hi:[0,0,1]
	v_mov_b32_e32 v39, v97
	s_delay_alu instid0(VALU_DEP_1)
	v_pk_add_f32 v[40:41], v[38:39], 0 neg_lo:[1,1] neg_hi:[1,1]
	ds_store_b64 v3, v[40:41]
.LBB53_355:                             ;   in Loop: Header=BB53_3 Depth=1
	s_or_b32 exec_lo, exec_lo, s52
	s_wait_dscnt 0x0
	s_barrier_signal -1
	s_barrier_wait -1
	s_barrier_signal -1
	s_barrier_wait -1
	s_and_saveexec_b32 s52, s0
; %bb.356:                              ;   in Loop: Header=BB53_3 Depth=1
	ds_store_b64 v49, v[38:39] offset:24416
; %bb.357:                              ;   in Loop: Header=BB53_3 Depth=1
	s_or_b32 exec_lo, exec_lo, s52
	s_wait_dscnt 0x0
	s_barrier_signal -1
	s_barrier_wait -1
	s_barrier_signal -1
	s_barrier_wait -1
	s_and_saveexec_b32 s52, s96
	s_cbranch_execz .LBB53_359
; %bb.358:                              ;   in Loop: Header=BB53_3 Depth=1
	ds_load_b64 v[38:39], v50 offset:23904
	s_wait_dscnt 0x0
	ds_store_b64 v48, v[38:39] offset:22896
	ds_load_b64 v[38:39], v50 offset:23912
	s_wait_dscnt 0x0
	ds_store_b64 v48, v[38:39] offset:23408
.LBB53_359:                             ;   in Loop: Header=BB53_3 Depth=1
	s_or_b32 exec_lo, exec_lo, s52
	s_wait_dscnt 0x0
	s_barrier_signal -1
	s_barrier_wait -1
	s_and_saveexec_b32 s52, s14
	s_cbranch_execz .LBB53_361
; %bb.360:                              ;   in Loop: Header=BB53_3 Depth=1
	v_add_nc_u32_e64 v0, 0x160, 0
	ds_load_b64 v[42:43], v1 offset:23400
	ds_load_2addr_stride64_b64 v[38:41], v0 offset0:44 offset1:45
	s_wait_dscnt 0x0
	v_dual_mul_f32 v95, v43, v39 :: v_dual_mul_f32 v0, v42, v39
	s_delay_alu instid0(VALU_DEP_1) | instskip(NEXT) | instid1(VALU_DEP_2)
	v_xor_b32_e32 v96, 0x80000000, v95
	v_fmac_f32_e32 v0, v43, v38
	s_delay_alu instid0(VALU_DEP_2) | instskip(NEXT) | instid1(VALU_DEP_2)
	v_fmac_f32_e32 v96, v42, v38
	v_pk_mul_f32 v[38:39], v[0:1], v[40:41] op_sel:[0,1] op_sel_hi:[0,0]
	v_add_nc_u32_e64 v0, 0x5800, 0
	s_delay_alu instid0(VALU_DEP_2) | instskip(SKIP_1) | instid1(VALU_DEP_2)
	v_pk_fma_f32 v[42:43], v[96:97], v[40:41], v[38:39] op_sel_hi:[0,1,1]
	v_pk_fma_f32 v[38:39], v[96:97], v[40:41], v[38:39] neg_lo:[0,0,1] neg_hi:[0,0,1]
	v_mov_b32_e32 v39, v43
	ds_store_2addr_b64 v0, v[38:39], v[38:39] offset0:45 offset1:108
.LBB53_361:                             ;   in Loop: Header=BB53_3 Depth=1
	s_or_b32 exec_lo, exec_lo, s52
	v_mov_b64_e32 v[38:39], 0
	s_wait_dscnt 0x0
	s_barrier_signal -1
	s_barrier_wait -1
	global_wb scope:SCOPE_DEV
	s_wait_storecnt 0x0
	global_inv scope:SCOPE_DEV
	s_and_saveexec_b32 s66, s2
	s_cbranch_execz .LBB53_367
; %bb.362:                              ;   in Loop: Header=BB53_3 Depth=1
	ds_load_b64 v[38:39], v52 offset:22848
	ds_load_b64 v[40:41], v53 offset:24416
	s_wait_dscnt 0x0
	v_dual_mul_f32 v0, v41, v39 :: v_dual_mul_f32 v39, v40, v39
	s_delay_alu instid0(VALU_DEP_1) | instskip(NEXT) | instid1(VALU_DEP_1)
	v_dual_fma_f32 v0, v40, v38, -v0 :: v_dual_fmac_f32 v39, v41, v38
	v_dual_add_f32 v38, 0, v0 :: v_dual_add_f32 v39, 0, v39
	s_and_saveexec_b32 s52, s16
	s_cbranch_execnz .LBB53_1124
; %bb.363:                              ;   in Loop: Header=BB53_3 Depth=1
	s_or_b32 exec_lo, exec_lo, s52
	s_and_saveexec_b32 s52, s17
	s_cbranch_execnz .LBB53_1125
.LBB53_364:                             ;   in Loop: Header=BB53_3 Depth=1
	s_or_b32 exec_lo, exec_lo, s52
	s_and_saveexec_b32 s52, s0
	s_cbranch_execz .LBB53_366
.LBB53_365:                             ;   in Loop: Header=BB53_3 Depth=1
	ds_load_b64 v[40:41], v55 offset:24384
	ds_load_b64 v[42:43], v1 offset:24440
	s_wait_dscnt 0x0
	v_dual_mul_f32 v0, v43, v41 :: v_dual_mul_f32 v41, v42, v41
	s_delay_alu instid0(VALU_DEP_1) | instskip(NEXT) | instid1(VALU_DEP_1)
	v_dual_fma_f32 v0, v42, v40, -v0 :: v_dual_fmac_f32 v41, v43, v40
	v_dual_add_f32 v38, v38, v0 :: v_dual_add_f32 v39, v39, v41
.LBB53_366:                             ;   in Loop: Header=BB53_3 Depth=1
	s_or_b32 exec_lo, exec_lo, s52
.LBB53_367:                             ;   in Loop: Header=BB53_3 Depth=1
	s_delay_alu instid0(SALU_CYCLE_1)
	s_or_b32 exec_lo, exec_lo, s66
	s_and_saveexec_b32 s52, s97
	s_cbranch_execz .LBB53_369
; %bb.368:                              ;   in Loop: Header=BB53_3 Depth=1
	ds_load_b64 v[40:41], v1 offset:22360
	s_wait_dscnt 0x0
	v_dual_mul_f32 v0, v39, v40 :: v_dual_mul_f32 v42, v39, v41
	s_delay_alu instid0(VALU_DEP_1) | instskip(NEXT) | instid1(VALU_DEP_2)
	v_pk_fma_f32 v[96:97], v[38:39], v[40:41], v[0:1] op_sel:[1,0,0] op_sel_hi:[0,1,0]
	v_pk_fma_f32 v[38:39], v[38:39], v[40:41], v[42:43] op_sel_hi:[1,1,0] neg_lo:[0,0,1] neg_hi:[0,0,1]
	s_delay_alu instid0(VALU_DEP_2) | instskip(NEXT) | instid1(VALU_DEP_1)
	v_mov_b32_e32 v39, v97
	v_pk_add_f32 v[40:41], v[38:39], 0 neg_lo:[1,1] neg_hi:[1,1]
	ds_store_b64 v51, v[40:41]
.LBB53_369:                             ;   in Loop: Header=BB53_3 Depth=1
	s_or_b32 exec_lo, exec_lo, s52
	s_wait_loadcnt_dscnt 0x0
	s_barrier_signal -1
	s_barrier_wait -1
	s_and_saveexec_b32 s52, s98
	s_cbranch_execz .LBB53_371
; %bb.370:                              ;   in Loop: Header=BB53_3 Depth=1
	ds_load_b64 v[40:41], v52 offset:22336
	ds_load_b64 v[42:43], v51
	s_wait_dscnt 0x0
	v_pk_mul_f32 v[96:97], v[42:43], v[40:41] op_sel:[1,1] op_sel_hi:[0,1]
	s_delay_alu instid0(VALU_DEP_1) | instskip(SKIP_1) | instid1(VALU_DEP_2)
	v_pk_fma_f32 v[98:99], v[42:43], v[40:41], v[96:97] op_sel_hi:[1,0,1]
	v_pk_fma_f32 v[40:41], v[42:43], v[40:41], v[96:97] neg_lo:[0,0,1] neg_hi:[0,0,1]
	v_mov_b32_e32 v41, v99
	s_delay_alu instid0(VALU_DEP_1)
	v_pk_add_f32 v[38:39], v[38:39], v[40:41] neg_lo:[0,1] neg_hi:[0,1]
.LBB53_371:                             ;   in Loop: Header=BB53_3 Depth=1
	s_or_b32 exec_lo, exec_lo, s52
	s_barrier_signal -1
	s_barrier_wait -1
	s_and_saveexec_b32 s52, s99
	s_cbranch_execz .LBB53_373
; %bb.372:                              ;   in Loop: Header=BB53_3 Depth=1
	ds_load_b64 v[40:41], v1 offset:21840
	s_wait_dscnt 0x0
	v_pk_mul_f32 v[42:43], v[38:39], v[40:41] op_sel:[1,1] op_sel_hi:[1,0]
	s_delay_alu instid0(VALU_DEP_1) | instskip(SKIP_1) | instid1(VALU_DEP_2)
	v_pk_fma_f32 v[96:97], v[38:39], v[40:41], v[42:43] op_sel_hi:[0,1,1]
	v_pk_fma_f32 v[38:39], v[38:39], v[40:41], v[42:43] neg_lo:[0,0,1] neg_hi:[0,0,1]
	v_mov_b32_e32 v39, v97
	s_delay_alu instid0(VALU_DEP_1)
	v_pk_add_f32 v[40:41], v[38:39], 0 neg_lo:[1,1] neg_hi:[1,1]
	ds_store_b64 v51, v[40:41]
.LBB53_373:                             ;   in Loop: Header=BB53_3 Depth=1
	s_or_b32 exec_lo, exec_lo, s52
	s_wait_dscnt 0x0
	s_barrier_signal -1
	s_barrier_wait -1
	s_and_saveexec_b32 s52, s100
	s_cbranch_execz .LBB53_375
; %bb.374:                              ;   in Loop: Header=BB53_3 Depth=1
	ds_load_b64 v[40:41], v52 offset:21824
	ds_load_b64 v[42:43], v51
	s_wait_dscnt 0x0
	v_pk_mul_f32 v[96:97], v[42:43], v[40:41] op_sel:[1,1] op_sel_hi:[0,1]
	s_delay_alu instid0(VALU_DEP_1) | instskip(SKIP_1) | instid1(VALU_DEP_2)
	v_pk_fma_f32 v[98:99], v[42:43], v[40:41], v[96:97] op_sel_hi:[1,0,1]
	v_pk_fma_f32 v[40:41], v[42:43], v[40:41], v[96:97] neg_lo:[0,0,1] neg_hi:[0,0,1]
	v_mov_b32_e32 v41, v99
	s_delay_alu instid0(VALU_DEP_1)
	v_pk_add_f32 v[38:39], v[38:39], v[40:41] neg_lo:[0,1] neg_hi:[0,1]
.LBB53_375:                             ;   in Loop: Header=BB53_3 Depth=1
	s_or_b32 exec_lo, exec_lo, s52
	s_barrier_signal -1
	s_barrier_wait -1
	s_and_saveexec_b32 s52, s101
	s_cbranch_execz .LBB53_377
; %bb.376:                              ;   in Loop: Header=BB53_3 Depth=1
	ds_load_b64 v[40:41], v1 offset:21320
	s_wait_dscnt 0x0
	v_pk_mul_f32 v[42:43], v[38:39], v[40:41] op_sel:[1,1] op_sel_hi:[1,0]
	s_delay_alu instid0(VALU_DEP_1) | instskip(SKIP_1) | instid1(VALU_DEP_2)
	v_pk_fma_f32 v[96:97], v[38:39], v[40:41], v[42:43] op_sel_hi:[0,1,1]
	v_pk_fma_f32 v[38:39], v[38:39], v[40:41], v[42:43] neg_lo:[0,0,1] neg_hi:[0,0,1]
	v_mov_b32_e32 v39, v97
	s_delay_alu instid0(VALU_DEP_1)
	v_pk_add_f32 v[40:41], v[38:39], 0 neg_lo:[1,1] neg_hi:[1,1]
	ds_store_b64 v51, v[40:41]
.LBB53_377:                             ;   in Loop: Header=BB53_3 Depth=1
	s_or_b32 exec_lo, exec_lo, s52
	s_wait_dscnt 0x0
	;; [unrolled: 35-line block ×3, first 2 shown]
	s_barrier_signal -1
	s_barrier_wait -1
	s_barrier_signal -1
	s_barrier_wait -1
	s_and_saveexec_b32 s52, s2
; %bb.382:                              ;   in Loop: Header=BB53_3 Depth=1
	ds_store_b64 v56, v[38:39] offset:24384
; %bb.383:                              ;   in Loop: Header=BB53_3 Depth=1
	s_or_b32 exec_lo, exec_lo, s52
	s_wait_dscnt 0x0
	s_barrier_signal -1
	s_barrier_wait -1
	s_barrier_signal -1
	s_barrier_wait -1
	s_and_saveexec_b32 s52, s103
	s_cbranch_execz .LBB53_385
; %bb.384:                              ;   in Loop: Header=BB53_3 Depth=1
	ds_load_b64 v[38:39], v69 offset:22848
	s_wait_dscnt 0x0
	ds_store_b64 v70, v[38:39] offset:20832
	ds_load_b64 v[38:39], v69 offset:22856
	s_wait_dscnt 0x0
	ds_store_b64 v70, v[38:39] offset:21344
	;; [unrolled: 3-line block ×4, first 2 shown]
.LBB53_385:                             ;   in Loop: Header=BB53_3 Depth=1
	s_or_b32 exec_lo, exec_lo, s52
	s_wait_dscnt 0x0
	s_barrier_signal -1
	s_barrier_wait -1
	s_and_saveexec_b32 s52, s14
	s_cbranch_execz .LBB53_387
; %bb.386:                              ;   in Loop: Header=BB53_3 Depth=1
	v_add_nc_u32_e64 v0, 0x150, 0
	ds_load_b64 v[42:43], v1 offset:22360
	ds_load_2addr_stride64_b64 v[38:41], v0 offset0:42 offset1:43
	s_wait_dscnt 0x0
	v_dual_mul_f32 v95, v43, v39 :: v_dual_mul_f32 v0, v42, v39
	s_delay_alu instid0(VALU_DEP_1) | instskip(NEXT) | instid1(VALU_DEP_2)
	v_xor_b32_e32 v96, 0x80000000, v95
	v_fmac_f32_e32 v0, v43, v38
	s_delay_alu instid0(VALU_DEP_2) | instskip(NEXT) | instid1(VALU_DEP_2)
	v_fmac_f32_e32 v96, v42, v38
	v_pk_mul_f32 v[38:39], v[0:1], v[40:41] op_sel:[0,1] op_sel_hi:[0,0]
	v_add_nc_u32_e64 v0, 0x5000, 0
	s_delay_alu instid0(VALU_DEP_2) | instskip(SKIP_1) | instid1(VALU_DEP_2)
	v_pk_fma_f32 v[42:43], v[96:97], v[40:41], v[38:39] op_sel_hi:[0,1,1]
	v_pk_fma_f32 v[38:39], v[96:97], v[40:41], v[38:39] neg_lo:[0,0,1] neg_hi:[0,0,1]
	v_mov_b32_e32 v39, v43
	ds_store_2addr_b64 v0, v[38:39], v[38:39] offset0:171 offset1:234
.LBB53_387:                             ;   in Loop: Header=BB53_3 Depth=1
	s_or_b32 exec_lo, exec_lo, s52
	v_dual_mov_b32 v38, 0 :: v_dual_mov_b32 v39, 0
	s_wait_dscnt 0x0
	s_barrier_signal -1
	s_barrier_wait -1
	global_wb scope:SCOPE_DEV
	s_wait_storecnt 0x0
	global_inv scope:SCOPE_DEV
	s_and_saveexec_b32 s66, s0
	s_cbranch_execz .LBB53_391
; %bb.388:                              ;   in Loop: Header=BB53_3 Depth=1
	ds_load_b64 v[38:39], v46 offset:21824
	ds_load_b64 v[40:41], v47 offset:22352
	s_wait_dscnt 0x0
	v_pk_mul_f32 v[42:43], v[40:41], v[38:39] op_sel:[1,1] op_sel_hi:[0,1]
	s_delay_alu instid0(VALU_DEP_1) | instskip(SKIP_1) | instid1(VALU_DEP_2)
	v_pk_fma_f32 v[96:97], v[40:41], v[38:39], v[42:43] op_sel_hi:[1,0,1]
	v_pk_fma_f32 v[38:39], v[40:41], v[38:39], v[42:43] neg_lo:[0,0,1] neg_hi:[0,0,1]
	v_mov_b32_e32 v39, v97
	s_delay_alu instid0(VALU_DEP_1)
	v_pk_add_f32 v[38:39], v[38:39], 0 op_sel_hi:[1,0]
	s_and_saveexec_b32 s52, s15
	s_cbranch_execz .LBB53_390
; %bb.389:                              ;   in Loop: Header=BB53_3 Depth=1
	ds_load_b64 v[40:41], v70 offset:22336
	ds_load_b64 v[42:43], v1 offset:22360
	s_wait_dscnt 0x0
	v_pk_mul_f32 v[96:97], v[42:43], v[40:41] op_sel:[1,1] op_sel_hi:[0,1]
	s_delay_alu instid0(VALU_DEP_1) | instskip(SKIP_1) | instid1(VALU_DEP_2)
	v_pk_fma_f32 v[98:99], v[42:43], v[40:41], v[96:97] op_sel_hi:[1,0,1]
	v_pk_fma_f32 v[40:41], v[42:43], v[40:41], v[96:97] neg_lo:[0,0,1] neg_hi:[0,0,1]
	v_mov_b32_e32 v41, v99
	s_delay_alu instid0(VALU_DEP_1)
	v_pk_add_f32 v[38:39], v[38:39], v[40:41]
.LBB53_390:                             ;   in Loop: Header=BB53_3 Depth=1
	s_or_b32 exec_lo, exec_lo, s52
.LBB53_391:                             ;   in Loop: Header=BB53_3 Depth=1
	s_delay_alu instid0(SALU_CYCLE_1)
	s_or_b32 exec_lo, exec_lo, s66
	s_and_saveexec_b32 s52, s94
	s_cbranch_execz .LBB53_393
; %bb.392:                              ;   in Loop: Header=BB53_3 Depth=1
	ds_load_b64 v[40:41], v1 offset:21320
	s_wait_dscnt 0x0
	v_pk_mul_f32 v[42:43], v[38:39], v[40:41] op_sel:[1,1] op_sel_hi:[1,0]
	s_delay_alu instid0(VALU_DEP_1) | instskip(SKIP_1) | instid1(VALU_DEP_2)
	v_pk_fma_f32 v[96:97], v[38:39], v[40:41], v[42:43] op_sel_hi:[0,1,1]
	v_pk_fma_f32 v[38:39], v[38:39], v[40:41], v[42:43] neg_lo:[0,0,1] neg_hi:[0,0,1]
	v_mov_b32_e32 v39, v97
	s_delay_alu instid0(VALU_DEP_1)
	v_pk_add_f32 v[40:41], v[38:39], 0 neg_lo:[1,1] neg_hi:[1,1]
	ds_store_b64 v3, v[40:41]
.LBB53_393:                             ;   in Loop: Header=BB53_3 Depth=1
	s_or_b32 exec_lo, exec_lo, s52
	s_wait_loadcnt_dscnt 0x0
	s_barrier_signal -1
	s_barrier_wait -1
	s_and_saveexec_b32 s52, s95
	s_cbranch_execz .LBB53_395
; %bb.394:                              ;   in Loop: Header=BB53_3 Depth=1
	ds_load_b64 v[40:41], v1 offset:21312
	ds_load_b64 v[42:43], v3
	s_wait_dscnt 0x0
	v_pk_mul_f32 v[96:97], v[42:43], v[40:41] op_sel:[1,1] op_sel_hi:[0,1]
	s_delay_alu instid0(VALU_DEP_1) | instskip(SKIP_1) | instid1(VALU_DEP_2)
	v_pk_fma_f32 v[98:99], v[42:43], v[40:41], v[96:97] op_sel_hi:[1,0,1]
	v_pk_fma_f32 v[40:41], v[42:43], v[40:41], v[96:97] neg_lo:[0,0,1] neg_hi:[0,0,1]
	v_mov_b32_e32 v41, v99
	s_delay_alu instid0(VALU_DEP_1)
	v_pk_add_f32 v[38:39], v[38:39], v[40:41] neg_lo:[0,1] neg_hi:[0,1]
.LBB53_395:                             ;   in Loop: Header=BB53_3 Depth=1
	s_or_b32 exec_lo, exec_lo, s52
	s_barrier_signal -1
	s_barrier_wait -1
	s_and_saveexec_b32 s52, s95
	s_cbranch_execz .LBB53_397
; %bb.396:                              ;   in Loop: Header=BB53_3 Depth=1
	ds_load_b64 v[40:41], v1 offset:20800
	s_wait_dscnt 0x0
	v_pk_mul_f32 v[42:43], v[38:39], v[40:41] op_sel:[1,1] op_sel_hi:[1,0]
	s_delay_alu instid0(VALU_DEP_1) | instskip(SKIP_1) | instid1(VALU_DEP_2)
	v_pk_fma_f32 v[96:97], v[38:39], v[40:41], v[42:43] op_sel_hi:[0,1,1]
	v_pk_fma_f32 v[38:39], v[38:39], v[40:41], v[42:43] neg_lo:[0,0,1] neg_hi:[0,0,1]
	v_mov_b32_e32 v39, v97
	s_delay_alu instid0(VALU_DEP_1)
	v_pk_add_f32 v[40:41], v[38:39], 0 neg_lo:[1,1] neg_hi:[1,1]
	ds_store_b64 v3, v[40:41]
.LBB53_397:                             ;   in Loop: Header=BB53_3 Depth=1
	s_or_b32 exec_lo, exec_lo, s52
	s_wait_dscnt 0x0
	s_barrier_signal -1
	s_barrier_wait -1
	s_barrier_signal -1
	s_barrier_wait -1
	s_and_saveexec_b32 s52, s0
; %bb.398:                              ;   in Loop: Header=BB53_3 Depth=1
	ds_store_b64 v49, v[38:39] offset:22336
; %bb.399:                              ;   in Loop: Header=BB53_3 Depth=1
	s_or_b32 exec_lo, exec_lo, s52
	s_wait_dscnt 0x0
	s_barrier_signal -1
	s_barrier_wait -1
	s_barrier_signal -1
	s_barrier_wait -1
	s_and_saveexec_b32 s52, s96
	s_cbranch_execz .LBB53_401
; %bb.400:                              ;   in Loop: Header=BB53_3 Depth=1
	ds_load_b64 v[38:39], v71 offset:21824
	s_wait_dscnt 0x0
	ds_store_b64 v70, v[38:39] offset:20816
	ds_load_b64 v[38:39], v71 offset:21832
	s_wait_dscnt 0x0
	ds_store_b64 v70, v[38:39] offset:21328
.LBB53_401:                             ;   in Loop: Header=BB53_3 Depth=1
	s_or_b32 exec_lo, exec_lo, s52
	s_wait_dscnt 0x0
	s_barrier_signal -1
	s_barrier_wait -1
	s_and_saveexec_b32 s52, s14
	s_cbranch_execz .LBB53_403
; %bb.402:                              ;   in Loop: Header=BB53_3 Depth=1
	v_add_nc_u32_e64 v0, 0x140, 0
	ds_load_b64 v[42:43], v1 offset:21320
	ds_load_2addr_stride64_b64 v[38:41], v0 offset0:40 offset1:41
	s_wait_dscnt 0x0
	v_dual_mul_f32 v95, v43, v39 :: v_dual_mul_f32 v0, v42, v39
	s_delay_alu instid0(VALU_DEP_1) | instskip(NEXT) | instid1(VALU_DEP_2)
	v_xor_b32_e32 v96, 0x80000000, v95
	v_fmac_f32_e32 v0, v43, v38
	s_delay_alu instid0(VALU_DEP_2) | instskip(NEXT) | instid1(VALU_DEP_2)
	v_fmac_f32_e32 v96, v42, v38
	v_pk_mul_f32 v[38:39], v[0:1], v[40:41] op_sel:[0,1] op_sel_hi:[0,0]
	v_add_nc_u32_e64 v0, 0x5000, 0
	s_delay_alu instid0(VALU_DEP_2) | instskip(SKIP_1) | instid1(VALU_DEP_2)
	v_pk_fma_f32 v[42:43], v[96:97], v[40:41], v[38:39] op_sel_hi:[0,1,1]
	v_pk_fma_f32 v[38:39], v[96:97], v[40:41], v[38:39] neg_lo:[0,0,1] neg_hi:[0,0,1]
	v_mov_b32_e32 v39, v43
	ds_store_2addr_b64 v0, v[38:39], v[38:39] offset0:41 offset1:104
.LBB53_403:                             ;   in Loop: Header=BB53_3 Depth=1
	s_or_b32 exec_lo, exec_lo, s52
	v_mov_b64_e32 v[38:39], 0
	s_wait_dscnt 0x0
	s_barrier_signal -1
	s_barrier_wait -1
	global_wb scope:SCOPE_DEV
	s_wait_storecnt 0x0
	global_inv scope:SCOPE_DEV
	s_and_saveexec_b32 s66, s3
	s_cbranch_execz .LBB53_413
; %bb.404:                              ;   in Loop: Header=BB53_3 Depth=1
	ds_load_b64 v[38:39], v58 offset:20736
	ds_load_b64 v[40:41], v59 offset:24384
	s_wait_dscnt 0x0
	v_dual_mul_f32 v0, v41, v39 :: v_dual_mul_f32 v39, v40, v39
	s_delay_alu instid0(VALU_DEP_1) | instskip(NEXT) | instid1(VALU_DEP_1)
	v_dual_fma_f32 v0, v40, v38, -v0 :: v_dual_fmac_f32 v39, v41, v38
	v_dual_add_f32 v38, 0, v0 :: v_dual_add_f32 v39, 0, v39
	s_and_saveexec_b32 s52, s18
	s_cbranch_execnz .LBB53_1126
; %bb.405:                              ;   in Loop: Header=BB53_3 Depth=1
	s_or_b32 exec_lo, exec_lo, s52
	s_and_saveexec_b32 s52, s19
	s_cbranch_execnz .LBB53_1127
.LBB53_406:                             ;   in Loop: Header=BB53_3 Depth=1
	s_or_b32 exec_lo, exec_lo, s52
	s_and_saveexec_b32 s52, s20
	s_cbranch_execnz .LBB53_1128
.LBB53_407:                             ;   in Loop: Header=BB53_3 Depth=1
	s_or_b32 exec_lo, exec_lo, s52
	s_and_saveexec_b32 s52, s21
	s_cbranch_execnz .LBB53_1129
.LBB53_408:                             ;   in Loop: Header=BB53_3 Depth=1
	s_or_b32 exec_lo, exec_lo, s52
	s_and_saveexec_b32 s52, s22
	s_cbranch_execnz .LBB53_1130
.LBB53_409:                             ;   in Loop: Header=BB53_3 Depth=1
	s_or_b32 exec_lo, exec_lo, s52
	s_and_saveexec_b32 s52, s2
	s_cbranch_execnz .LBB53_1131
.LBB53_410:                             ;   in Loop: Header=BB53_3 Depth=1
	s_or_b32 exec_lo, exec_lo, s52
	s_and_saveexec_b32 s52, s17
	s_cbranch_execz .LBB53_412
.LBB53_411:                             ;   in Loop: Header=BB53_3 Depth=1
	ds_load_b64 v[40:41], v72 offset:24320
	ds_load_b64 v[42:43], v1 offset:24440
	s_wait_dscnt 0x0
	v_dual_mul_f32 v0, v43, v41 :: v_dual_mul_f32 v97, v42, v41
	s_delay_alu instid0(VALU_DEP_1) | instskip(NEXT) | instid1(VALU_DEP_1)
	v_dual_fma_f32 v96, v42, v40, -v0 :: v_dual_fmac_f32 v97, v43, v40
	v_pk_add_f32 v[38:39], v[38:39], v[96:97]
.LBB53_412:                             ;   in Loop: Header=BB53_3 Depth=1
	s_or_b32 exec_lo, exec_lo, s52
.LBB53_413:                             ;   in Loop: Header=BB53_3 Depth=1
	s_delay_alu instid0(SALU_CYCLE_1)
	s_or_b32 exec_lo, exec_lo, s66
	s_and_saveexec_b32 s52, s104
	s_cbranch_execz .LBB53_415
; %bb.414:                              ;   in Loop: Header=BB53_3 Depth=1
	ds_load_b64 v[40:41], v1 offset:20280
	s_wait_dscnt 0x0
	v_pk_mul_f32 v[42:43], v[38:39], v[40:41] op_sel:[1,1] op_sel_hi:[1,0]
	s_delay_alu instid0(VALU_DEP_1) | instskip(SKIP_1) | instid1(VALU_DEP_2)
	v_pk_fma_f32 v[96:97], v[38:39], v[40:41], v[42:43] op_sel_hi:[0,1,1]
	v_pk_fma_f32 v[38:39], v[38:39], v[40:41], v[42:43] neg_lo:[0,0,1] neg_hi:[0,0,1]
	v_mov_b32_e32 v39, v97
	s_delay_alu instid0(VALU_DEP_1)
	v_pk_add_f32 v[40:41], v[38:39], 0 neg_lo:[1,1] neg_hi:[1,1]
	ds_store_b64 v57, v[40:41]
.LBB53_415:                             ;   in Loop: Header=BB53_3 Depth=1
	s_or_b32 exec_lo, exec_lo, s52
	s_wait_loadcnt_dscnt 0x0
	s_barrier_signal -1
	s_barrier_wait -1
	s_and_saveexec_b32 s52, vcc_hi
	s_cbranch_execz .LBB53_417
; %bb.416:                              ;   in Loop: Header=BB53_3 Depth=1
	ds_load_b64 v[40:41], v58 offset:20224
	ds_load_b64 v[42:43], v57
	s_wait_dscnt 0x0
	v_pk_mul_f32 v[96:97], v[42:43], v[40:41] op_sel:[1,1] op_sel_hi:[0,1]
	s_delay_alu instid0(VALU_DEP_1) | instskip(SKIP_1) | instid1(VALU_DEP_2)
	v_pk_fma_f32 v[98:99], v[42:43], v[40:41], v[96:97] op_sel_hi:[1,0,1]
	v_pk_fma_f32 v[40:41], v[42:43], v[40:41], v[96:97] neg_lo:[0,0,1] neg_hi:[0,0,1]
	v_mov_b32_e32 v41, v99
	s_delay_alu instid0(VALU_DEP_1)
	v_pk_add_f32 v[38:39], v[38:39], v[40:41] neg_lo:[0,1] neg_hi:[0,1]
.LBB53_417:                             ;   in Loop: Header=BB53_3 Depth=1
	s_or_b32 exec_lo, exec_lo, s52
	s_barrier_signal -1
	s_barrier_wait -1
	s_and_saveexec_b32 s52, s39
	s_cbranch_execz .LBB53_419
; %bb.418:                              ;   in Loop: Header=BB53_3 Depth=1
	ds_load_b64 v[40:41], v1 offset:19760
	s_wait_dscnt 0x0
	v_pk_mul_f32 v[42:43], v[38:39], v[40:41] op_sel:[1,1] op_sel_hi:[1,0]
	s_delay_alu instid0(VALU_DEP_1) | instskip(SKIP_1) | instid1(VALU_DEP_2)
	v_pk_fma_f32 v[96:97], v[38:39], v[40:41], v[42:43] op_sel_hi:[0,1,1]
	v_pk_fma_f32 v[38:39], v[38:39], v[40:41], v[42:43] neg_lo:[0,0,1] neg_hi:[0,0,1]
	v_mov_b32_e32 v39, v97
	s_delay_alu instid0(VALU_DEP_1)
	v_pk_add_f32 v[40:41], v[38:39], 0 neg_lo:[1,1] neg_hi:[1,1]
	ds_store_b64 v57, v[40:41]
.LBB53_419:                             ;   in Loop: Header=BB53_3 Depth=1
	s_or_b32 exec_lo, exec_lo, s52
	s_wait_dscnt 0x0
	s_barrier_signal -1
	s_barrier_wait -1
	s_and_saveexec_b32 s52, s40
	s_cbranch_execz .LBB53_421
; %bb.420:                              ;   in Loop: Header=BB53_3 Depth=1
	ds_load_b64 v[40:41], v58 offset:19712
	ds_load_b64 v[42:43], v57
	s_wait_dscnt 0x0
	v_pk_mul_f32 v[96:97], v[42:43], v[40:41] op_sel:[1,1] op_sel_hi:[0,1]
	s_delay_alu instid0(VALU_DEP_1) | instskip(SKIP_1) | instid1(VALU_DEP_2)
	v_pk_fma_f32 v[98:99], v[42:43], v[40:41], v[96:97] op_sel_hi:[1,0,1]
	v_pk_fma_f32 v[40:41], v[42:43], v[40:41], v[96:97] neg_lo:[0,0,1] neg_hi:[0,0,1]
	v_mov_b32_e32 v41, v99
	s_delay_alu instid0(VALU_DEP_1)
	v_pk_add_f32 v[38:39], v[38:39], v[40:41] neg_lo:[0,1] neg_hi:[0,1]
.LBB53_421:                             ;   in Loop: Header=BB53_3 Depth=1
	s_or_b32 exec_lo, exec_lo, s52
	s_barrier_signal -1
	s_barrier_wait -1
	s_and_saveexec_b32 s52, s41
	s_cbranch_execz .LBB53_423
; %bb.422:                              ;   in Loop: Header=BB53_3 Depth=1
	ds_load_b64 v[40:41], v1 offset:19240
	s_wait_dscnt 0x0
	v_pk_mul_f32 v[42:43], v[38:39], v[40:41] op_sel:[1,1] op_sel_hi:[1,0]
	s_delay_alu instid0(VALU_DEP_1) | instskip(SKIP_1) | instid1(VALU_DEP_2)
	v_pk_fma_f32 v[96:97], v[38:39], v[40:41], v[42:43] op_sel_hi:[0,1,1]
	v_pk_fma_f32 v[38:39], v[38:39], v[40:41], v[42:43] neg_lo:[0,0,1] neg_hi:[0,0,1]
	v_mov_b32_e32 v39, v97
	s_delay_alu instid0(VALU_DEP_1)
	v_pk_add_f32 v[40:41], v[38:39], 0 neg_lo:[1,1] neg_hi:[1,1]
	ds_store_b64 v57, v[40:41]
.LBB53_423:                             ;   in Loop: Header=BB53_3 Depth=1
	s_or_b32 exec_lo, exec_lo, s52
	s_wait_dscnt 0x0
	s_barrier_signal -1
	s_barrier_wait -1
	s_and_saveexec_b32 s52, s42
	s_cbranch_execz .LBB53_425
; %bb.424:                              ;   in Loop: Header=BB53_3 Depth=1
	ds_load_b64 v[40:41], v58 offset:19200
	ds_load_b64 v[42:43], v57
	s_wait_dscnt 0x0
	v_pk_mul_f32 v[96:97], v[42:43], v[40:41] op_sel:[1,1] op_sel_hi:[0,1]
	s_delay_alu instid0(VALU_DEP_1) | instskip(SKIP_1) | instid1(VALU_DEP_2)
	v_pk_fma_f32 v[98:99], v[42:43], v[40:41], v[96:97] op_sel_hi:[1,0,1]
	v_pk_fma_f32 v[40:41], v[42:43], v[40:41], v[96:97] neg_lo:[0,0,1] neg_hi:[0,0,1]
	v_mov_b32_e32 v41, v99
	s_delay_alu instid0(VALU_DEP_1)
	v_pk_add_f32 v[38:39], v[38:39], v[40:41] neg_lo:[0,1] neg_hi:[0,1]
.LBB53_425:                             ;   in Loop: Header=BB53_3 Depth=1
	s_or_b32 exec_lo, exec_lo, s52
	s_barrier_signal -1
	s_barrier_wait -1
	s_and_saveexec_b32 s52, s43
	s_cbranch_execz .LBB53_427
; %bb.426:                              ;   in Loop: Header=BB53_3 Depth=1
	ds_load_b64 v[40:41], v1 offset:18720
	s_wait_dscnt 0x0
	v_pk_mul_f32 v[42:43], v[38:39], v[40:41]
	v_pk_mul_f32 v[38:39], v[38:39], v[40:41] op_sel:[1,0] op_sel_hi:[0,1]
	s_delay_alu instid0(VALU_DEP_1) | instskip(NEXT) | instid1(VALU_DEP_3)
	v_dual_mov_b32 v40, v42 :: v_dual_mov_b32 v41, v38
	v_mov_b32_e32 v38, v43
	s_delay_alu instid0(VALU_DEP_1) | instskip(SKIP_1) | instid1(VALU_DEP_2)
	v_pk_add_f32 v[42:43], v[40:41], v[38:39]
	v_pk_add_f32 v[38:39], v[40:41], v[38:39] neg_lo:[0,1] neg_hi:[0,1]
	v_mov_b32_e32 v39, v43
	s_delay_alu instid0(VALU_DEP_1)
	v_pk_add_f32 v[40:41], v[38:39], 0 neg_lo:[1,1] neg_hi:[1,1]
	ds_store_b64 v57, v[40:41]
.LBB53_427:                             ;   in Loop: Header=BB53_3 Depth=1
	s_or_b32 exec_lo, exec_lo, s52
	s_wait_dscnt 0x0
	s_barrier_signal -1
	s_barrier_wait -1
	s_and_saveexec_b32 s52, s44
	s_cbranch_execz .LBB53_429
; %bb.428:                              ;   in Loop: Header=BB53_3 Depth=1
	ds_load_b64 v[40:41], v58 offset:18688
	ds_load_b64 v[42:43], v57
	s_wait_dscnt 0x0
	v_dual_mul_f32 v0, v43, v41 :: v_dual_mul_f32 v41, v42, v41
	s_delay_alu instid0(VALU_DEP_1) | instskip(NEXT) | instid1(VALU_DEP_1)
	v_dual_fma_f32 v0, v42, v40, -v0 :: v_dual_fmac_f32 v41, v43, v40
	v_dual_sub_f32 v38, v38, v0 :: v_dual_sub_f32 v39, v39, v41
.LBB53_429:                             ;   in Loop: Header=BB53_3 Depth=1
	s_or_b32 exec_lo, exec_lo, s52
	s_barrier_signal -1
	s_barrier_wait -1
	s_and_saveexec_b32 s52, s45
	s_cbranch_execz .LBB53_431
; %bb.430:                              ;   in Loop: Header=BB53_3 Depth=1
	ds_load_b64 v[40:41], v1 offset:18200
	s_wait_dscnt 0x0
	v_dual_mul_f32 v0, v39, v40 :: v_dual_mul_f32 v42, v39, v41
	s_delay_alu instid0(VALU_DEP_1) | instskip(NEXT) | instid1(VALU_DEP_2)
	v_pk_fma_f32 v[96:97], v[38:39], v[40:41], v[0:1] op_sel:[1,0,0] op_sel_hi:[0,1,0]
	v_pk_fma_f32 v[38:39], v[38:39], v[40:41], v[42:43] op_sel_hi:[1,1,0] neg_lo:[0,0,1] neg_hi:[0,0,1]
	s_delay_alu instid0(VALU_DEP_2) | instskip(NEXT) | instid1(VALU_DEP_1)
	v_mov_b32_e32 v39, v97
	v_pk_add_f32 v[40:41], v[38:39], 0 neg_lo:[1,1] neg_hi:[1,1]
	ds_store_b64 v57, v[40:41]
.LBB53_431:                             ;   in Loop: Header=BB53_3 Depth=1
	s_or_b32 exec_lo, exec_lo, s52
	s_wait_dscnt 0x0
	s_barrier_signal -1
	s_barrier_wait -1
	s_and_saveexec_b32 s52, s46
	s_cbranch_execz .LBB53_433
; %bb.432:                              ;   in Loop: Header=BB53_3 Depth=1
	ds_load_b64 v[40:41], v58 offset:18176
	ds_load_b64 v[42:43], v57
	s_wait_dscnt 0x0
	v_pk_mul_f32 v[96:97], v[42:43], v[40:41] op_sel:[1,1] op_sel_hi:[0,1]
	s_delay_alu instid0(VALU_DEP_1) | instskip(SKIP_1) | instid1(VALU_DEP_2)
	v_pk_fma_f32 v[98:99], v[42:43], v[40:41], v[96:97] op_sel_hi:[1,0,1]
	v_pk_fma_f32 v[40:41], v[42:43], v[40:41], v[96:97] neg_lo:[0,0,1] neg_hi:[0,0,1]
	v_mov_b32_e32 v41, v99
	s_delay_alu instid0(VALU_DEP_1)
	v_pk_add_f32 v[38:39], v[38:39], v[40:41] neg_lo:[0,1] neg_hi:[0,1]
.LBB53_433:                             ;   in Loop: Header=BB53_3 Depth=1
	s_or_b32 exec_lo, exec_lo, s52
	s_barrier_signal -1
	s_barrier_wait -1
	s_and_saveexec_b32 s52, s47
	s_cbranch_execz .LBB53_435
; %bb.434:                              ;   in Loop: Header=BB53_3 Depth=1
	ds_load_b64 v[40:41], v1 offset:17680
	s_wait_dscnt 0x0
	v_pk_mul_f32 v[42:43], v[38:39], v[40:41] op_sel:[1,1] op_sel_hi:[1,0]
	s_delay_alu instid0(VALU_DEP_1) | instskip(SKIP_1) | instid1(VALU_DEP_2)
	v_pk_fma_f32 v[96:97], v[38:39], v[40:41], v[42:43] op_sel_hi:[0,1,1]
	v_pk_fma_f32 v[38:39], v[38:39], v[40:41], v[42:43] neg_lo:[0,0,1] neg_hi:[0,0,1]
	v_mov_b32_e32 v39, v97
	s_delay_alu instid0(VALU_DEP_1)
	v_pk_add_f32 v[40:41], v[38:39], 0 neg_lo:[1,1] neg_hi:[1,1]
	ds_store_b64 v57, v[40:41]
.LBB53_435:                             ;   in Loop: Header=BB53_3 Depth=1
	s_or_b32 exec_lo, exec_lo, s52
	s_wait_dscnt 0x0
	s_barrier_signal -1
	s_barrier_wait -1
	s_and_saveexec_b32 s52, s48
	s_cbranch_execz .LBB53_437
; %bb.436:                              ;   in Loop: Header=BB53_3 Depth=1
	ds_load_b64 v[40:41], v58 offset:17664
	ds_load_b64 v[42:43], v57
	s_wait_dscnt 0x0
	v_pk_mul_f32 v[96:97], v[42:43], v[40:41] op_sel:[1,1] op_sel_hi:[0,1]
	s_delay_alu instid0(VALU_DEP_1) | instskip(SKIP_1) | instid1(VALU_DEP_2)
	v_pk_fma_f32 v[98:99], v[42:43], v[40:41], v[96:97] op_sel_hi:[1,0,1]
	v_pk_fma_f32 v[40:41], v[42:43], v[40:41], v[96:97] neg_lo:[0,0,1] neg_hi:[0,0,1]
	v_mov_b32_e32 v41, v99
	s_delay_alu instid0(VALU_DEP_1)
	v_pk_add_f32 v[38:39], v[38:39], v[40:41] neg_lo:[0,1] neg_hi:[0,1]
.LBB53_437:                             ;   in Loop: Header=BB53_3 Depth=1
	s_or_b32 exec_lo, exec_lo, s52
	s_barrier_signal -1
	s_barrier_wait -1
	s_and_saveexec_b32 s52, s49
	s_cbranch_execz .LBB53_439
; %bb.438:                              ;   in Loop: Header=BB53_3 Depth=1
	ds_load_b64 v[40:41], v1 offset:17160
	s_wait_dscnt 0x0
	v_pk_mul_f32 v[42:43], v[38:39], v[40:41] op_sel:[1,1] op_sel_hi:[1,0]
	s_delay_alu instid0(VALU_DEP_1) | instskip(SKIP_1) | instid1(VALU_DEP_2)
	v_pk_fma_f32 v[96:97], v[38:39], v[40:41], v[42:43] op_sel_hi:[0,1,1]
	v_pk_fma_f32 v[38:39], v[38:39], v[40:41], v[42:43] neg_lo:[0,0,1] neg_hi:[0,0,1]
	v_mov_b32_e32 v39, v97
	s_delay_alu instid0(VALU_DEP_1)
	v_pk_add_f32 v[40:41], v[38:39], 0 neg_lo:[1,1] neg_hi:[1,1]
	ds_store_b64 v57, v[40:41]
.LBB53_439:                             ;   in Loop: Header=BB53_3 Depth=1
	;; [unrolled: 35-line block ×3, first 2 shown]
	s_or_b32 exec_lo, exec_lo, s52
	s_wait_dscnt 0x0
	s_barrier_signal -1
	s_barrier_wait -1
	s_barrier_signal -1
	s_barrier_wait -1
	s_and_saveexec_b32 s52, s3
; %bb.444:                              ;   in Loop: Header=BB53_3 Depth=1
	ds_store_b64 v60, v[38:39] offset:24320
; %bb.445:                              ;   in Loop: Header=BB53_3 Depth=1
	s_or_b32 exec_lo, exec_lo, s52
	s_wait_dscnt 0x0
	s_barrier_signal -1
	s_barrier_wait -1
	s_barrier_signal -1
	s_barrier_wait -1
	s_and_saveexec_b32 s52, s51
	s_cbranch_execz .LBB53_447
; %bb.446:                              ;   in Loop: Header=BB53_3 Depth=1
	ds_load_b64 v[38:39], v74 offset:20736
	s_wait_dscnt 0x0
	ds_store_b64 v75, v[38:39] offset:16704
	ds_load_b64 v[38:39], v74 offset:20744
	s_wait_dscnt 0x0
	ds_store_b64 v75, v[38:39] offset:17216
	;; [unrolled: 3-line block ×8, first 2 shown]
.LBB53_447:                             ;   in Loop: Header=BB53_3 Depth=1
	s_or_b32 exec_lo, exec_lo, s52
	s_wait_dscnt 0x0
	s_barrier_signal -1
	s_barrier_wait -1
	s_and_saveexec_b32 s52, s14
	s_cbranch_execz .LBB53_449
; %bb.448:                              ;   in Loop: Header=BB53_3 Depth=1
	v_add_nc_u32_e64 v0, 0x130, 0
	ds_load_b64 v[42:43], v1 offset:20280
	ds_load_2addr_stride64_b64 v[38:41], v0 offset0:38 offset1:39
	s_wait_dscnt 0x0
	v_dual_mul_f32 v95, v43, v39 :: v_dual_mul_f32 v0, v42, v39
	s_delay_alu instid0(VALU_DEP_1) | instskip(NEXT) | instid1(VALU_DEP_2)
	v_xor_b32_e32 v96, 0x80000000, v95
	v_fmac_f32_e32 v0, v43, v38
	s_delay_alu instid0(VALU_DEP_2) | instskip(NEXT) | instid1(VALU_DEP_2)
	v_fmac_f32_e32 v96, v42, v38
	v_pk_mul_f32 v[38:39], v[0:1], v[40:41] op_sel:[0,1] op_sel_hi:[0,0]
	v_add_nc_u32_e64 v0, 0x4800, 0
	s_delay_alu instid0(VALU_DEP_2) | instskip(SKIP_1) | instid1(VALU_DEP_2)
	v_pk_fma_f32 v[42:43], v[96:97], v[40:41], v[38:39] op_sel_hi:[0,1,1]
	v_pk_fma_f32 v[38:39], v[96:97], v[40:41], v[38:39] neg_lo:[0,0,1] neg_hi:[0,0,1]
	v_mov_b32_e32 v39, v43
	ds_store_2addr_b64 v0, v[38:39], v[38:39] offset0:167 offset1:230
.LBB53_449:                             ;   in Loop: Header=BB53_3 Depth=1
	s_or_b32 exec_lo, exec_lo, s52
	v_dual_mov_b32 v38, 0 :: v_dual_mov_b32 v39, 0
	s_wait_dscnt 0x0
	s_barrier_signal -1
	s_barrier_wait -1
	global_wb scope:SCOPE_DEV
	s_wait_storecnt 0x0
	global_inv scope:SCOPE_DEV
	s_and_saveexec_b32 s66, s0
	s_cbranch_execz .LBB53_453
; %bb.450:                              ;   in Loop: Header=BB53_3 Depth=1
	ds_load_b64 v[38:39], v46 offset:19744
	ds_load_b64 v[40:41], v47 offset:20272
	s_wait_dscnt 0x0
	v_pk_mul_f32 v[42:43], v[40:41], v[38:39] op_sel:[1,1] op_sel_hi:[0,1]
	s_delay_alu instid0(VALU_DEP_1) | instskip(SKIP_1) | instid1(VALU_DEP_2)
	v_pk_fma_f32 v[96:97], v[40:41], v[38:39], v[42:43] op_sel_hi:[1,0,1]
	v_pk_fma_f32 v[38:39], v[40:41], v[38:39], v[42:43] neg_lo:[0,0,1] neg_hi:[0,0,1]
	v_mov_b32_e32 v39, v97
	s_delay_alu instid0(VALU_DEP_1)
	v_pk_add_f32 v[38:39], v[38:39], 0 op_sel_hi:[1,0]
	s_and_saveexec_b32 s52, s15
	s_cbranch_execz .LBB53_452
; %bb.451:                              ;   in Loop: Header=BB53_3 Depth=1
	ds_load_b64 v[40:41], v75 offset:20256
	ds_load_b64 v[42:43], v1 offset:20280
	s_wait_dscnt 0x0
	v_pk_mul_f32 v[96:97], v[42:43], v[40:41] op_sel:[1,1] op_sel_hi:[0,1]
	s_delay_alu instid0(VALU_DEP_1) | instskip(SKIP_1) | instid1(VALU_DEP_2)
	v_pk_fma_f32 v[98:99], v[42:43], v[40:41], v[96:97] op_sel_hi:[1,0,1]
	v_pk_fma_f32 v[40:41], v[42:43], v[40:41], v[96:97] neg_lo:[0,0,1] neg_hi:[0,0,1]
	v_mov_b32_e32 v41, v99
	s_delay_alu instid0(VALU_DEP_1)
	v_pk_add_f32 v[38:39], v[38:39], v[40:41]
.LBB53_452:                             ;   in Loop: Header=BB53_3 Depth=1
	s_or_b32 exec_lo, exec_lo, s52
.LBB53_453:                             ;   in Loop: Header=BB53_3 Depth=1
	s_delay_alu instid0(SALU_CYCLE_1)
	s_or_b32 exec_lo, exec_lo, s66
	s_and_saveexec_b32 s52, s94
	s_cbranch_execz .LBB53_455
; %bb.454:                              ;   in Loop: Header=BB53_3 Depth=1
	ds_load_b64 v[40:41], v1 offset:19240
	s_wait_dscnt 0x0
	v_pk_mul_f32 v[42:43], v[38:39], v[40:41] op_sel:[1,1] op_sel_hi:[1,0]
	s_delay_alu instid0(VALU_DEP_1) | instskip(SKIP_1) | instid1(VALU_DEP_2)
	v_pk_fma_f32 v[96:97], v[38:39], v[40:41], v[42:43] op_sel_hi:[0,1,1]
	v_pk_fma_f32 v[38:39], v[38:39], v[40:41], v[42:43] neg_lo:[0,0,1] neg_hi:[0,0,1]
	v_mov_b32_e32 v39, v97
	s_delay_alu instid0(VALU_DEP_1)
	v_pk_add_f32 v[40:41], v[38:39], 0 neg_lo:[1,1] neg_hi:[1,1]
	ds_store_b64 v3, v[40:41]
.LBB53_455:                             ;   in Loop: Header=BB53_3 Depth=1
	s_or_b32 exec_lo, exec_lo, s52
	s_wait_loadcnt_dscnt 0x0
	s_barrier_signal -1
	s_barrier_wait -1
	s_and_saveexec_b32 s52, s95
	s_cbranch_execz .LBB53_457
; %bb.456:                              ;   in Loop: Header=BB53_3 Depth=1
	ds_load_b64 v[40:41], v1 offset:19232
	ds_load_b64 v[42:43], v3
	s_wait_dscnt 0x0
	v_pk_mul_f32 v[96:97], v[42:43], v[40:41] op_sel:[1,1] op_sel_hi:[0,1]
	s_delay_alu instid0(VALU_DEP_1) | instskip(SKIP_1) | instid1(VALU_DEP_2)
	v_pk_fma_f32 v[98:99], v[42:43], v[40:41], v[96:97] op_sel_hi:[1,0,1]
	v_pk_fma_f32 v[40:41], v[42:43], v[40:41], v[96:97] neg_lo:[0,0,1] neg_hi:[0,0,1]
	v_mov_b32_e32 v41, v99
	s_delay_alu instid0(VALU_DEP_1)
	v_pk_add_f32 v[38:39], v[38:39], v[40:41] neg_lo:[0,1] neg_hi:[0,1]
.LBB53_457:                             ;   in Loop: Header=BB53_3 Depth=1
	s_or_b32 exec_lo, exec_lo, s52
	s_barrier_signal -1
	s_barrier_wait -1
	s_and_saveexec_b32 s52, s95
	s_cbranch_execz .LBB53_459
; %bb.458:                              ;   in Loop: Header=BB53_3 Depth=1
	ds_load_b64 v[40:41], v1 offset:18720
	s_wait_dscnt 0x0
	v_pk_mul_f32 v[42:43], v[38:39], v[40:41] op_sel:[1,1] op_sel_hi:[1,0]
	s_delay_alu instid0(VALU_DEP_1) | instskip(SKIP_1) | instid1(VALU_DEP_2)
	v_pk_fma_f32 v[96:97], v[38:39], v[40:41], v[42:43] op_sel_hi:[0,1,1]
	v_pk_fma_f32 v[38:39], v[38:39], v[40:41], v[42:43] neg_lo:[0,0,1] neg_hi:[0,0,1]
	v_mov_b32_e32 v39, v97
	s_delay_alu instid0(VALU_DEP_1)
	v_pk_add_f32 v[40:41], v[38:39], 0 neg_lo:[1,1] neg_hi:[1,1]
	ds_store_b64 v3, v[40:41]
.LBB53_459:                             ;   in Loop: Header=BB53_3 Depth=1
	s_or_b32 exec_lo, exec_lo, s52
	s_wait_dscnt 0x0
	s_barrier_signal -1
	s_barrier_wait -1
	s_barrier_signal -1
	s_barrier_wait -1
	s_and_saveexec_b32 s52, s0
; %bb.460:                              ;   in Loop: Header=BB53_3 Depth=1
	ds_store_b64 v49, v[38:39] offset:20256
; %bb.461:                              ;   in Loop: Header=BB53_3 Depth=1
	s_or_b32 exec_lo, exec_lo, s52
	s_wait_dscnt 0x0
	s_barrier_signal -1
	s_barrier_wait -1
	s_barrier_signal -1
	s_barrier_wait -1
	s_and_saveexec_b32 s52, s96
	s_cbranch_execz .LBB53_463
; %bb.462:                              ;   in Loop: Header=BB53_3 Depth=1
	ds_load_b64 v[38:39], v76 offset:19744
	s_wait_dscnt 0x0
	ds_store_b64 v75, v[38:39] offset:18736
	ds_load_b64 v[38:39], v76 offset:19752
	s_wait_dscnt 0x0
	ds_store_b64 v75, v[38:39] offset:19248
.LBB53_463:                             ;   in Loop: Header=BB53_3 Depth=1
	s_or_b32 exec_lo, exec_lo, s52
	s_wait_dscnt 0x0
	s_barrier_signal -1
	s_barrier_wait -1
	s_and_saveexec_b32 s52, s14
	s_cbranch_execz .LBB53_465
; %bb.464:                              ;   in Loop: Header=BB53_3 Depth=1
	v_add_nc_u32_e64 v0, 0x120, 0
	ds_load_b64 v[42:43], v1 offset:19240
	ds_load_2addr_stride64_b64 v[38:41], v0 offset0:36 offset1:37
	s_wait_dscnt 0x0
	v_dual_mul_f32 v95, v43, v39 :: v_dual_mul_f32 v0, v42, v39
	s_delay_alu instid0(VALU_DEP_1) | instskip(NEXT) | instid1(VALU_DEP_2)
	v_xor_b32_e32 v96, 0x80000000, v95
	v_fmac_f32_e32 v0, v43, v38
	s_delay_alu instid0(VALU_DEP_2) | instskip(NEXT) | instid1(VALU_DEP_2)
	v_fmac_f32_e32 v96, v42, v38
	v_pk_mul_f32 v[38:39], v[0:1], v[40:41] op_sel:[0,1] op_sel_hi:[0,0]
	v_add_nc_u32_e64 v0, 0x4800, 0
	s_delay_alu instid0(VALU_DEP_2) | instskip(SKIP_1) | instid1(VALU_DEP_2)
	v_pk_fma_f32 v[42:43], v[96:97], v[40:41], v[38:39] op_sel_hi:[0,1,1]
	v_pk_fma_f32 v[38:39], v[96:97], v[40:41], v[38:39] neg_lo:[0,0,1] neg_hi:[0,0,1]
	v_mov_b32_e32 v39, v43
	ds_store_2addr_b64 v0, v[38:39], v[38:39] offset0:37 offset1:100
.LBB53_465:                             ;   in Loop: Header=BB53_3 Depth=1
	s_or_b32 exec_lo, exec_lo, s52
	v_mov_b64_e32 v[38:39], 0
	s_wait_dscnt 0x0
	s_barrier_signal -1
	s_barrier_wait -1
	global_wb scope:SCOPE_DEV
	s_wait_storecnt 0x0
	global_inv scope:SCOPE_DEV
	s_and_saveexec_b32 s66, s2
	s_cbranch_execz .LBB53_471
; %bb.466:                              ;   in Loop: Header=BB53_3 Depth=1
	ds_load_b64 v[38:39], v52 offset:18688
	ds_load_b64 v[40:41], v53 offset:20256
	s_wait_dscnt 0x0
	v_dual_mul_f32 v0, v41, v39 :: v_dual_mul_f32 v39, v40, v39
	s_delay_alu instid0(VALU_DEP_1) | instskip(NEXT) | instid1(VALU_DEP_1)
	v_dual_fma_f32 v0, v40, v38, -v0 :: v_dual_fmac_f32 v39, v41, v38
	v_dual_add_f32 v38, 0, v0 :: v_dual_add_f32 v39, 0, v39
	s_and_saveexec_b32 s52, s16
	s_cbranch_execnz .LBB53_1132
; %bb.467:                              ;   in Loop: Header=BB53_3 Depth=1
	s_or_b32 exec_lo, exec_lo, s52
	s_and_saveexec_b32 s52, s17
	s_cbranch_execnz .LBB53_1133
.LBB53_468:                             ;   in Loop: Header=BB53_3 Depth=1
	s_or_b32 exec_lo, exec_lo, s52
	s_and_saveexec_b32 s52, s0
	s_cbranch_execz .LBB53_470
.LBB53_469:                             ;   in Loop: Header=BB53_3 Depth=1
	ds_load_b64 v[40:41], v77 offset:20224
	ds_load_b64 v[42:43], v1 offset:20280
	s_wait_dscnt 0x0
	v_dual_mul_f32 v0, v43, v41 :: v_dual_mul_f32 v41, v42, v41
	s_delay_alu instid0(VALU_DEP_1) | instskip(NEXT) | instid1(VALU_DEP_1)
	v_dual_fma_f32 v0, v42, v40, -v0 :: v_dual_fmac_f32 v41, v43, v40
	v_dual_add_f32 v38, v38, v0 :: v_dual_add_f32 v39, v39, v41
.LBB53_470:                             ;   in Loop: Header=BB53_3 Depth=1
	s_or_b32 exec_lo, exec_lo, s52
.LBB53_471:                             ;   in Loop: Header=BB53_3 Depth=1
	s_delay_alu instid0(SALU_CYCLE_1)
	s_or_b32 exec_lo, exec_lo, s66
	s_and_saveexec_b32 s52, s97
	s_cbranch_execz .LBB53_473
; %bb.472:                              ;   in Loop: Header=BB53_3 Depth=1
	ds_load_b64 v[40:41], v1 offset:18200
	s_wait_dscnt 0x0
	v_dual_mul_f32 v0, v39, v40 :: v_dual_mul_f32 v42, v39, v41
	s_delay_alu instid0(VALU_DEP_1) | instskip(NEXT) | instid1(VALU_DEP_2)
	v_pk_fma_f32 v[96:97], v[38:39], v[40:41], v[0:1] op_sel:[1,0,0] op_sel_hi:[0,1,0]
	v_pk_fma_f32 v[38:39], v[38:39], v[40:41], v[42:43] op_sel_hi:[1,1,0] neg_lo:[0,0,1] neg_hi:[0,0,1]
	s_delay_alu instid0(VALU_DEP_2) | instskip(NEXT) | instid1(VALU_DEP_1)
	v_mov_b32_e32 v39, v97
	v_pk_add_f32 v[40:41], v[38:39], 0 neg_lo:[1,1] neg_hi:[1,1]
	ds_store_b64 v51, v[40:41]
.LBB53_473:                             ;   in Loop: Header=BB53_3 Depth=1
	s_or_b32 exec_lo, exec_lo, s52
	s_wait_loadcnt_dscnt 0x0
	s_barrier_signal -1
	s_barrier_wait -1
	s_and_saveexec_b32 s52, s98
	s_cbranch_execz .LBB53_475
; %bb.474:                              ;   in Loop: Header=BB53_3 Depth=1
	ds_load_b64 v[40:41], v52 offset:18176
	ds_load_b64 v[42:43], v51
	s_wait_dscnt 0x0
	v_pk_mul_f32 v[96:97], v[42:43], v[40:41] op_sel:[1,1] op_sel_hi:[0,1]
	s_delay_alu instid0(VALU_DEP_1) | instskip(SKIP_1) | instid1(VALU_DEP_2)
	v_pk_fma_f32 v[98:99], v[42:43], v[40:41], v[96:97] op_sel_hi:[1,0,1]
	v_pk_fma_f32 v[40:41], v[42:43], v[40:41], v[96:97] neg_lo:[0,0,1] neg_hi:[0,0,1]
	v_mov_b32_e32 v41, v99
	s_delay_alu instid0(VALU_DEP_1)
	v_pk_add_f32 v[38:39], v[38:39], v[40:41] neg_lo:[0,1] neg_hi:[0,1]
.LBB53_475:                             ;   in Loop: Header=BB53_3 Depth=1
	s_or_b32 exec_lo, exec_lo, s52
	s_barrier_signal -1
	s_barrier_wait -1
	s_and_saveexec_b32 s52, s99
	s_cbranch_execz .LBB53_477
; %bb.476:                              ;   in Loop: Header=BB53_3 Depth=1
	ds_load_b64 v[40:41], v1 offset:17680
	s_wait_dscnt 0x0
	v_pk_mul_f32 v[42:43], v[38:39], v[40:41] op_sel:[1,1] op_sel_hi:[1,0]
	s_delay_alu instid0(VALU_DEP_1) | instskip(SKIP_1) | instid1(VALU_DEP_2)
	v_pk_fma_f32 v[96:97], v[38:39], v[40:41], v[42:43] op_sel_hi:[0,1,1]
	v_pk_fma_f32 v[38:39], v[38:39], v[40:41], v[42:43] neg_lo:[0,0,1] neg_hi:[0,0,1]
	v_mov_b32_e32 v39, v97
	s_delay_alu instid0(VALU_DEP_1)
	v_pk_add_f32 v[40:41], v[38:39], 0 neg_lo:[1,1] neg_hi:[1,1]
	ds_store_b64 v51, v[40:41]
.LBB53_477:                             ;   in Loop: Header=BB53_3 Depth=1
	s_or_b32 exec_lo, exec_lo, s52
	s_wait_dscnt 0x0
	s_barrier_signal -1
	s_barrier_wait -1
	s_and_saveexec_b32 s52, s100
	s_cbranch_execz .LBB53_479
; %bb.478:                              ;   in Loop: Header=BB53_3 Depth=1
	ds_load_b64 v[40:41], v52 offset:17664
	ds_load_b64 v[42:43], v51
	s_wait_dscnt 0x0
	v_pk_mul_f32 v[96:97], v[42:43], v[40:41] op_sel:[1,1] op_sel_hi:[0,1]
	s_delay_alu instid0(VALU_DEP_1) | instskip(SKIP_1) | instid1(VALU_DEP_2)
	v_pk_fma_f32 v[98:99], v[42:43], v[40:41], v[96:97] op_sel_hi:[1,0,1]
	v_pk_fma_f32 v[40:41], v[42:43], v[40:41], v[96:97] neg_lo:[0,0,1] neg_hi:[0,0,1]
	v_mov_b32_e32 v41, v99
	s_delay_alu instid0(VALU_DEP_1)
	v_pk_add_f32 v[38:39], v[38:39], v[40:41] neg_lo:[0,1] neg_hi:[0,1]
.LBB53_479:                             ;   in Loop: Header=BB53_3 Depth=1
	s_or_b32 exec_lo, exec_lo, s52
	s_barrier_signal -1
	s_barrier_wait -1
	s_and_saveexec_b32 s52, s101
	s_cbranch_execz .LBB53_481
; %bb.480:                              ;   in Loop: Header=BB53_3 Depth=1
	ds_load_b64 v[40:41], v1 offset:17160
	s_wait_dscnt 0x0
	v_pk_mul_f32 v[42:43], v[38:39], v[40:41] op_sel:[1,1] op_sel_hi:[1,0]
	s_delay_alu instid0(VALU_DEP_1) | instskip(SKIP_1) | instid1(VALU_DEP_2)
	v_pk_fma_f32 v[96:97], v[38:39], v[40:41], v[42:43] op_sel_hi:[0,1,1]
	v_pk_fma_f32 v[38:39], v[38:39], v[40:41], v[42:43] neg_lo:[0,0,1] neg_hi:[0,0,1]
	v_mov_b32_e32 v39, v97
	s_delay_alu instid0(VALU_DEP_1)
	v_pk_add_f32 v[40:41], v[38:39], 0 neg_lo:[1,1] neg_hi:[1,1]
	ds_store_b64 v51, v[40:41]
.LBB53_481:                             ;   in Loop: Header=BB53_3 Depth=1
	s_or_b32 exec_lo, exec_lo, s52
	s_wait_dscnt 0x0
	;; [unrolled: 35-line block ×3, first 2 shown]
	s_barrier_signal -1
	s_barrier_wait -1
	s_barrier_signal -1
	s_barrier_wait -1
	s_and_saveexec_b32 s52, s2
; %bb.486:                              ;   in Loop: Header=BB53_3 Depth=1
	ds_store_b64 v56, v[38:39] offset:20224
; %bb.487:                              ;   in Loop: Header=BB53_3 Depth=1
	s_or_b32 exec_lo, exec_lo, s52
	s_wait_dscnt 0x0
	s_barrier_signal -1
	s_barrier_wait -1
	s_barrier_signal -1
	s_barrier_wait -1
	s_and_saveexec_b32 s52, s103
	s_cbranch_execz .LBB53_489
; %bb.488:                              ;   in Loop: Header=BB53_3 Depth=1
	ds_load_b64 v[38:39], v80 offset:18688
	s_wait_dscnt 0x0
	ds_store_b64 v83, v[38:39] offset:16672
	ds_load_b64 v[38:39], v80 offset:18696
	s_wait_dscnt 0x0
	ds_store_b64 v83, v[38:39] offset:17184
	ds_load_b64 v[38:39], v80 offset:18704
	s_wait_dscnt 0x0
	ds_store_b64 v83, v[38:39] offset:17696
	ds_load_b64 v[38:39], v80 offset:18712
	s_wait_dscnt 0x0
	ds_store_b64 v83, v[38:39] offset:18208
.LBB53_489:                             ;   in Loop: Header=BB53_3 Depth=1
	s_or_b32 exec_lo, exec_lo, s52
	s_wait_dscnt 0x0
	s_barrier_signal -1
	s_barrier_wait -1
	s_and_saveexec_b32 s52, s14
	s_cbranch_execz .LBB53_491
; %bb.490:                              ;   in Loop: Header=BB53_3 Depth=1
	v_add_nc_u32_e64 v0, 0x110, 0
	ds_load_b64 v[42:43], v1 offset:18200
	ds_load_2addr_stride64_b64 v[38:41], v0 offset0:34 offset1:35
	s_wait_dscnt 0x0
	v_dual_mul_f32 v95, v43, v39 :: v_dual_mul_f32 v0, v42, v39
	s_delay_alu instid0(VALU_DEP_1) | instskip(NEXT) | instid1(VALU_DEP_2)
	v_xor_b32_e32 v96, 0x80000000, v95
	v_fmac_f32_e32 v0, v43, v38
	s_delay_alu instid0(VALU_DEP_2) | instskip(NEXT) | instid1(VALU_DEP_2)
	v_fmac_f32_e32 v96, v42, v38
	v_pk_mul_f32 v[38:39], v[0:1], v[40:41] op_sel:[0,1] op_sel_hi:[0,0]
	v_add_nc_u32_e64 v0, 0x4000, 0
	s_delay_alu instid0(VALU_DEP_2) | instskip(SKIP_1) | instid1(VALU_DEP_2)
	v_pk_fma_f32 v[42:43], v[96:97], v[40:41], v[38:39] op_sel_hi:[0,1,1]
	v_pk_fma_f32 v[38:39], v[96:97], v[40:41], v[38:39] neg_lo:[0,0,1] neg_hi:[0,0,1]
	v_mov_b32_e32 v39, v43
	ds_store_2addr_b64 v0, v[38:39], v[38:39] offset0:163 offset1:226
.LBB53_491:                             ;   in Loop: Header=BB53_3 Depth=1
	s_or_b32 exec_lo, exec_lo, s52
	v_dual_mov_b32 v38, 0 :: v_dual_mov_b32 v39, 0
	s_wait_dscnt 0x0
	s_barrier_signal -1
	s_barrier_wait -1
	global_wb scope:SCOPE_DEV
	s_wait_storecnt 0x0
	global_inv scope:SCOPE_DEV
	s_and_saveexec_b32 s66, s0
	s_cbranch_execz .LBB53_495
; %bb.492:                              ;   in Loop: Header=BB53_3 Depth=1
	ds_load_b64 v[38:39], v46 offset:17664
	ds_load_b64 v[40:41], v47 offset:18192
	s_wait_dscnt 0x0
	v_pk_mul_f32 v[42:43], v[40:41], v[38:39] op_sel:[1,1] op_sel_hi:[0,1]
	s_delay_alu instid0(VALU_DEP_1) | instskip(SKIP_1) | instid1(VALU_DEP_2)
	v_pk_fma_f32 v[96:97], v[40:41], v[38:39], v[42:43] op_sel_hi:[1,0,1]
	v_pk_fma_f32 v[38:39], v[40:41], v[38:39], v[42:43] neg_lo:[0,0,1] neg_hi:[0,0,1]
	v_mov_b32_e32 v39, v97
	s_delay_alu instid0(VALU_DEP_1)
	v_pk_add_f32 v[38:39], v[38:39], 0 op_sel_hi:[1,0]
	s_and_saveexec_b32 s52, s15
	s_cbranch_execz .LBB53_494
; %bb.493:                              ;   in Loop: Header=BB53_3 Depth=1
	ds_load_b64 v[40:41], v83 offset:18176
	ds_load_b64 v[42:43], v1 offset:18200
	s_wait_dscnt 0x0
	v_pk_mul_f32 v[96:97], v[42:43], v[40:41] op_sel:[1,1] op_sel_hi:[0,1]
	s_delay_alu instid0(VALU_DEP_1) | instskip(SKIP_1) | instid1(VALU_DEP_2)
	v_pk_fma_f32 v[98:99], v[42:43], v[40:41], v[96:97] op_sel_hi:[1,0,1]
	v_pk_fma_f32 v[40:41], v[42:43], v[40:41], v[96:97] neg_lo:[0,0,1] neg_hi:[0,0,1]
	v_mov_b32_e32 v41, v99
	s_delay_alu instid0(VALU_DEP_1)
	v_pk_add_f32 v[38:39], v[38:39], v[40:41]
.LBB53_494:                             ;   in Loop: Header=BB53_3 Depth=1
	s_or_b32 exec_lo, exec_lo, s52
.LBB53_495:                             ;   in Loop: Header=BB53_3 Depth=1
	s_delay_alu instid0(SALU_CYCLE_1)
	s_or_b32 exec_lo, exec_lo, s66
	s_and_saveexec_b32 s52, s94
	s_cbranch_execz .LBB53_497
; %bb.496:                              ;   in Loop: Header=BB53_3 Depth=1
	ds_load_b64 v[40:41], v1 offset:17160
	s_wait_dscnt 0x0
	v_pk_mul_f32 v[42:43], v[38:39], v[40:41] op_sel:[1,1] op_sel_hi:[1,0]
	s_delay_alu instid0(VALU_DEP_1) | instskip(SKIP_1) | instid1(VALU_DEP_2)
	v_pk_fma_f32 v[96:97], v[38:39], v[40:41], v[42:43] op_sel_hi:[0,1,1]
	v_pk_fma_f32 v[38:39], v[38:39], v[40:41], v[42:43] neg_lo:[0,0,1] neg_hi:[0,0,1]
	v_mov_b32_e32 v39, v97
	s_delay_alu instid0(VALU_DEP_1)
	v_pk_add_f32 v[40:41], v[38:39], 0 neg_lo:[1,1] neg_hi:[1,1]
	ds_store_b64 v3, v[40:41]
.LBB53_497:                             ;   in Loop: Header=BB53_3 Depth=1
	s_or_b32 exec_lo, exec_lo, s52
	s_wait_loadcnt_dscnt 0x0
	s_barrier_signal -1
	s_barrier_wait -1
	s_and_saveexec_b32 s52, s95
	s_cbranch_execz .LBB53_499
; %bb.498:                              ;   in Loop: Header=BB53_3 Depth=1
	ds_load_b64 v[40:41], v1 offset:17152
	ds_load_b64 v[42:43], v3
	s_wait_dscnt 0x0
	v_pk_mul_f32 v[96:97], v[42:43], v[40:41] op_sel:[1,1] op_sel_hi:[0,1]
	s_delay_alu instid0(VALU_DEP_1) | instskip(SKIP_1) | instid1(VALU_DEP_2)
	v_pk_fma_f32 v[98:99], v[42:43], v[40:41], v[96:97] op_sel_hi:[1,0,1]
	v_pk_fma_f32 v[40:41], v[42:43], v[40:41], v[96:97] neg_lo:[0,0,1] neg_hi:[0,0,1]
	v_mov_b32_e32 v41, v99
	s_delay_alu instid0(VALU_DEP_1)
	v_pk_add_f32 v[38:39], v[38:39], v[40:41] neg_lo:[0,1] neg_hi:[0,1]
.LBB53_499:                             ;   in Loop: Header=BB53_3 Depth=1
	s_or_b32 exec_lo, exec_lo, s52
	s_barrier_signal -1
	s_barrier_wait -1
	s_and_saveexec_b32 s52, s95
	s_cbranch_execz .LBB53_501
; %bb.500:                              ;   in Loop: Header=BB53_3 Depth=1
	ds_load_b64 v[40:41], v1 offset:16640
	s_wait_dscnt 0x0
	v_pk_mul_f32 v[42:43], v[38:39], v[40:41] op_sel:[1,1] op_sel_hi:[1,0]
	s_delay_alu instid0(VALU_DEP_1) | instskip(SKIP_1) | instid1(VALU_DEP_2)
	v_pk_fma_f32 v[96:97], v[38:39], v[40:41], v[42:43] op_sel_hi:[0,1,1]
	v_pk_fma_f32 v[38:39], v[38:39], v[40:41], v[42:43] neg_lo:[0,0,1] neg_hi:[0,0,1]
	v_mov_b32_e32 v39, v97
	s_delay_alu instid0(VALU_DEP_1)
	v_pk_add_f32 v[40:41], v[38:39], 0 neg_lo:[1,1] neg_hi:[1,1]
	ds_store_b64 v3, v[40:41]
.LBB53_501:                             ;   in Loop: Header=BB53_3 Depth=1
	s_or_b32 exec_lo, exec_lo, s52
	s_wait_dscnt 0x0
	s_barrier_signal -1
	s_barrier_wait -1
	s_barrier_signal -1
	s_barrier_wait -1
	s_and_saveexec_b32 s52, s0
; %bb.502:                              ;   in Loop: Header=BB53_3 Depth=1
	ds_store_b64 v49, v[38:39] offset:18176
; %bb.503:                              ;   in Loop: Header=BB53_3 Depth=1
	s_or_b32 exec_lo, exec_lo, s52
	s_wait_dscnt 0x0
	s_barrier_signal -1
	s_barrier_wait -1
	s_barrier_signal -1
	s_barrier_wait -1
	s_and_saveexec_b32 s52, s96
	s_cbranch_execz .LBB53_505
; %bb.504:                              ;   in Loop: Header=BB53_3 Depth=1
	ds_load_b64 v[38:39], v84 offset:17664
	s_wait_dscnt 0x0
	ds_store_b64 v83, v[38:39] offset:16656
	ds_load_b64 v[38:39], v84 offset:17672
	s_wait_dscnt 0x0
	ds_store_b64 v83, v[38:39] offset:17168
.LBB53_505:                             ;   in Loop: Header=BB53_3 Depth=1
	s_or_b32 exec_lo, exec_lo, s52
	s_wait_dscnt 0x0
	s_barrier_signal -1
	s_barrier_wait -1
	s_and_saveexec_b32 s52, s14
	s_cbranch_execz .LBB53_507
; %bb.506:                              ;   in Loop: Header=BB53_3 Depth=1
	v_add_nc_u32_e64 v0, 0x100, 0
	ds_load_b64 v[42:43], v1 offset:17160
	ds_load_2addr_stride64_b64 v[38:41], v0 offset0:32 offset1:33
	s_wait_dscnt 0x0
	v_dual_mul_f32 v95, v43, v39 :: v_dual_mul_f32 v0, v42, v39
	s_delay_alu instid0(VALU_DEP_1) | instskip(NEXT) | instid1(VALU_DEP_2)
	v_xor_b32_e32 v96, 0x80000000, v95
	v_fmac_f32_e32 v0, v43, v38
	s_delay_alu instid0(VALU_DEP_2) | instskip(NEXT) | instid1(VALU_DEP_2)
	v_fmac_f32_e32 v96, v42, v38
	v_pk_mul_f32 v[38:39], v[0:1], v[40:41] op_sel:[0,1] op_sel_hi:[0,0]
	v_add_nc_u32_e64 v0, 0x4000, 0
	s_delay_alu instid0(VALU_DEP_2) | instskip(SKIP_1) | instid1(VALU_DEP_2)
	v_pk_fma_f32 v[42:43], v[96:97], v[40:41], v[38:39] op_sel_hi:[0,1,1]
	v_pk_fma_f32 v[38:39], v[96:97], v[40:41], v[38:39] neg_lo:[0,0,1] neg_hi:[0,0,1]
	v_mov_b32_e32 v39, v43
	ds_store_2addr_b64 v0, v[38:39], v[38:39] offset0:33 offset1:96
.LBB53_507:                             ;   in Loop: Header=BB53_3 Depth=1
	s_or_b32 exec_lo, exec_lo, s52
	v_mov_b64_e32 v[38:39], 0
	s_wait_dscnt 0x0
	s_barrier_signal -1
	s_barrier_wait -1
	global_wb scope:SCOPE_DEV
	s_wait_storecnt 0x0
	global_inv scope:SCOPE_DEV
	s_and_saveexec_b32 s66, s35
	s_cbranch_execz .LBB53_569
; %bb.508:                              ;   in Loop: Header=BB53_3 Depth=1
	ds_load_b64 v[38:39], v5 offset:16384
	ds_load_b64 v[40:41], v67 offset:32512
	v_readlane_b32 s53, v104, 9
	s_wait_dscnt 0x0
	v_dual_mul_f32 v0, v41, v39 :: v_dual_mul_f32 v39, v40, v39
	s_delay_alu instid0(VALU_DEP_1) | instskip(NEXT) | instid1(VALU_DEP_1)
	v_dual_fma_f32 v0, v40, v38, -v0 :: v_dual_fmac_f32 v39, v41, v38
	v_dual_add_f32 v38, 0, v0 :: v_dual_add_f32 v39, 0, v39
	s_and_saveexec_b32 s52, s53
	s_cbranch_execz .LBB53_510
; %bb.509:                              ;   in Loop: Header=BB53_3 Depth=1
	ds_load_b64 v[40:41], v5 offset:16896
	ds_load_b64 v[42:43], v67 offset:32520
	s_wait_dscnt 0x0
	v_dual_mul_f32 v0, v43, v41 :: v_dual_mul_f32 v41, v42, v41
	s_delay_alu instid0(VALU_DEP_1) | instskip(NEXT) | instid1(VALU_DEP_1)
	v_dual_fma_f32 v0, v42, v40, -v0 :: v_dual_fmac_f32 v41, v43, v40
	v_dual_add_f32 v38, v38, v0 :: v_dual_add_f32 v39, v39, v41
.LBB53_510:                             ;   in Loop: Header=BB53_3 Depth=1
	s_or_b32 exec_lo, exec_lo, s52
	v_readlane_b32 s53, v104, 10
	s_and_saveexec_b32 s52, s53
	s_cbranch_execz .LBB53_512
; %bb.511:                              ;   in Loop: Header=BB53_3 Depth=1
	ds_load_b64 v[40:41], v5 offset:17408
	ds_load_b64 v[42:43], v67 offset:32528
	s_wait_dscnt 0x0
	v_dual_mul_f32 v0, v43, v41 :: v_dual_mul_f32 v41, v42, v41
	s_delay_alu instid0(VALU_DEP_1) | instskip(NEXT) | instid1(VALU_DEP_1)
	v_dual_fma_f32 v0, v42, v40, -v0 :: v_dual_fmac_f32 v41, v43, v40
	v_dual_add_f32 v38, v38, v0 :: v_dual_add_f32 v39, v39, v41
.LBB53_512:                             ;   in Loop: Header=BB53_3 Depth=1
	s_or_b32 exec_lo, exec_lo, s52
	v_readlane_b32 s53, v104, 11
	;; [unrolled: 13-line block ×22, first 2 shown]
	s_and_saveexec_b32 s52, s53
	s_cbranch_execz .LBB53_554
; %bb.553:                              ;   in Loop: Header=BB53_3 Depth=1
	ds_load_b64 v[40:41], v5 offset:28160
	ds_load_b64 v[42:43], v67 offset:32696
	s_wait_dscnt 0x0
	v_dual_mul_f32 v0, v43, v41 :: v_dual_mul_f32 v41, v42, v41
	s_delay_alu instid0(VALU_DEP_1) | instskip(NEXT) | instid1(VALU_DEP_1)
	v_dual_fma_f32 v0, v42, v40, -v0 :: v_dual_fmac_f32 v41, v43, v40
	v_dual_add_f32 v38, v38, v0 :: v_dual_add_f32 v39, v39, v41
.LBB53_554:                             ;   in Loop: Header=BB53_3 Depth=1
	s_or_b32 exec_lo, exec_lo, s52
	s_and_saveexec_b32 s52, s4
	s_cbranch_execz .LBB53_556
; %bb.555:                              ;   in Loop: Header=BB53_3 Depth=1
	ds_load_b64 v[40:41], v5 offset:28672
	ds_load_b64 v[42:43], v67 offset:32704
	s_wait_dscnt 0x0
	v_dual_mul_f32 v0, v43, v41 :: v_dual_mul_f32 v41, v42, v41
	s_delay_alu instid0(VALU_DEP_1) | instskip(NEXT) | instid1(VALU_DEP_1)
	v_dual_fma_f32 v0, v42, v40, -v0 :: v_dual_fmac_f32 v41, v43, v40
	v_dual_add_f32 v38, v38, v0 :: v_dual_add_f32 v39, v39, v41
.LBB53_556:                             ;   in Loop: Header=BB53_3 Depth=1
	s_or_b32 exec_lo, exec_lo, s52
	v_readlane_b32 s53, v105, 26
	s_and_saveexec_b32 s52, s53
	s_cbranch_execz .LBB53_558
; %bb.557:                              ;   in Loop: Header=BB53_3 Depth=1
	ds_load_b64 v[40:41], v5 offset:29184
	ds_load_b64 v[42:43], v67 offset:32712
	s_wait_dscnt 0x0
	v_dual_mul_f32 v0, v43, v41 :: v_dual_mul_f32 v41, v42, v41
	s_delay_alu instid0(VALU_DEP_1) | instskip(NEXT) | instid1(VALU_DEP_1)
	v_dual_fma_f32 v0, v42, v40, -v0 :: v_dual_fmac_f32 v41, v43, v40
	v_dual_add_f32 v38, v38, v0 :: v_dual_add_f32 v39, v39, v41
.LBB53_558:                             ;   in Loop: Header=BB53_3 Depth=1
	s_or_b32 exec_lo, exec_lo, s52
	v_readlane_b32 s53, v105, 28
	;; [unrolled: 13-line block ×4, first 2 shown]
	s_and_saveexec_b32 s52, s53
	s_cbranch_execz .LBB53_564
; %bb.563:                              ;   in Loop: Header=BB53_3 Depth=1
	ds_load_b64 v[40:41], v5 offset:30720
	ds_load_b64 v[42:43], v67 offset:32736
	s_wait_dscnt 0x0
	v_dual_mul_f32 v0, v43, v41 :: v_dual_mul_f32 v97, v42, v41
	s_delay_alu instid0(VALU_DEP_1) | instskip(NEXT) | instid1(VALU_DEP_1)
	v_dual_fma_f32 v96, v42, v40, -v0 :: v_dual_fmac_f32 v97, v43, v40
	v_pk_add_f32 v[38:39], v[38:39], v[96:97]
.LBB53_564:                             ;   in Loop: Header=BB53_3 Depth=1
	s_or_b32 exec_lo, exec_lo, s52
	v_readlane_b32 s53, v104, 2
	s_and_saveexec_b32 s52, s53
	s_cbranch_execnz .LBB53_1134
; %bb.565:                              ;   in Loop: Header=BB53_3 Depth=1
	s_or_b32 exec_lo, exec_lo, s52
	s_and_saveexec_b32 s52, s3
	s_cbranch_execnz .LBB53_1135
.LBB53_566:                             ;   in Loop: Header=BB53_3 Depth=1
	s_or_b32 exec_lo, exec_lo, s52
	s_and_saveexec_b32 s52, s21
	s_delay_alu instid0(SALU_CYCLE_1)
	s_xor_b32 s52, exec_lo, s52
	s_cbranch_execz .LBB53_568
.LBB53_567:                             ;   in Loop: Header=BB53_3 Depth=1
	ds_load_b64 v[40:41], v5 offset:32256
	ds_load_b64 v[42:43], v67 offset:32760
	s_wait_dscnt 0x0
	v_pk_mul_f32 v[96:97], v[42:43], v[40:41] op_sel:[1,1] op_sel_hi:[0,1]
	s_delay_alu instid0(VALU_DEP_1) | instskip(SKIP_1) | instid1(VALU_DEP_2)
	v_pk_fma_f32 v[98:99], v[42:43], v[40:41], v[96:97] op_sel_hi:[1,0,1]
	v_pk_fma_f32 v[40:41], v[42:43], v[40:41], v[96:97] neg_lo:[0,0,1] neg_hi:[0,0,1]
	v_mov_b32_e32 v41, v99
	s_delay_alu instid0(VALU_DEP_1)
	v_pk_add_f32 v[38:39], v[38:39], v[40:41]
.LBB53_568:                             ;   in Loop: Header=BB53_3 Depth=1
	s_or_b32 exec_lo, exec_lo, s52
.LBB53_569:                             ;   in Loop: Header=BB53_3 Depth=1
	s_delay_alu instid0(SALU_CYCLE_1)
	s_or_b32 exec_lo, exec_lo, s66
	v_dual_mov_b32 v0, v94 :: v_dual_mov_b32 v40, v93
	s_mov_b32 s66, 31
	s_branch .LBB53_571
.LBB53_570:                             ;   in Loop: Header=BB53_571 Depth=2
	s_or_b32 exec_lo, exec_lo, s52
	v_add_nc_u32_e32 v40, 0xfffffc00, v40
	v_add_nc_u32_e32 v0, 2, v0
	s_add_co_i32 s66, s66, -2
	s_cmp_eq_u32 s67, 0
	s_barrier_signal -1
	s_barrier_wait -1
	s_cbranch_scc1 .LBB53_579
.LBB53_571:                             ;   Parent Loop BB53_3 Depth=1
                                        ; =>  This Inner Loop Header: Depth=2
	s_delay_alu instid0(VALU_DEP_1) | instskip(SKIP_1) | instid1(SALU_CYCLE_1)
	v_cmp_eq_u32_e32 vcc_lo, 0, v0
	s_and_b32 s67, s91, vcc_lo
	s_and_saveexec_b32 s52, s67
	s_cbranch_execz .LBB53_573
; %bb.572:                              ;   in Loop: Header=BB53_571 Depth=2
	ds_load_b64 v[42:43], v87
	s_wait_dscnt 0x0
	v_pk_mul_f32 v[96:97], v[38:39], v[42:43] op_sel:[1,1] op_sel_hi:[1,0]
	s_delay_alu instid0(VALU_DEP_1) | instskip(SKIP_1) | instid1(VALU_DEP_2)
	v_pk_fma_f32 v[98:99], v[38:39], v[42:43], v[96:97] op_sel_hi:[0,1,1]
	v_pk_fma_f32 v[38:39], v[38:39], v[42:43], v[96:97] neg_lo:[0,0,1] neg_hi:[0,0,1]
	v_mov_b32_e32 v39, v99
	s_delay_alu instid0(VALU_DEP_1)
	v_pk_add_f32 v[42:43], v[38:39], 0 neg_lo:[1,1] neg_hi:[1,1]
	ds_store_b64 v66, v[42:43]
.LBB53_573:                             ;   in Loop: Header=BB53_571 Depth=2
	s_or_b32 exec_lo, exec_lo, s52
	v_cmp_gt_u32_e32 vcc_lo, s66, v64
	s_wait_loadcnt_dscnt 0x0
	s_barrier_signal -1
	s_barrier_wait -1
	s_and_b32 s67, s91, vcc_lo
	s_delay_alu instid0(SALU_CYCLE_1)
	s_and_saveexec_b32 s52, s67
	s_cbranch_execz .LBB53_575
; %bb.574:                              ;   in Loop: Header=BB53_571 Depth=2
	ds_load_b64 v[42:43], v40 offset:512
	ds_load_b64 v[96:97], v66
	s_wait_dscnt 0x0
	v_pk_mul_f32 v[98:99], v[96:97], v[42:43] op_sel:[1,1] op_sel_hi:[0,1]
	s_delay_alu instid0(VALU_DEP_1) | instskip(SKIP_1) | instid1(VALU_DEP_2)
	v_pk_fma_f32 v[100:101], v[96:97], v[42:43], v[98:99] op_sel_hi:[1,0,1]
	v_pk_fma_f32 v[42:43], v[96:97], v[42:43], v[98:99] neg_lo:[0,0,1] neg_hi:[0,0,1]
	v_mov_b32_e32 v43, v101
	s_delay_alu instid0(VALU_DEP_1)
	v_pk_add_f32 v[38:39], v[38:39], v[42:43] neg_lo:[0,1] neg_hi:[0,1]
.LBB53_575:                             ;   in Loop: Header=BB53_571 Depth=2
	s_or_b32 exec_lo, exec_lo, s52
	s_add_co_i32 s67, s66, -1
	s_delay_alu instid0(SALU_CYCLE_1) | instskip(SKIP_3) | instid1(SALU_CYCLE_1)
	v_cmp_eq_u32_e32 vcc_lo, s67, v64
	s_barrier_signal -1
	s_barrier_wait -1
	s_and_b32 s68, s91, vcc_lo
	s_and_saveexec_b32 s52, s68
	s_cbranch_execz .LBB53_577
; %bb.576:                              ;   in Loop: Header=BB53_571 Depth=2
	ds_load_b64 v[42:43], v87
	s_wait_dscnt 0x0
	v_pk_mul_f32 v[96:97], v[38:39], v[42:43] op_sel:[1,1] op_sel_hi:[1,0]
	s_delay_alu instid0(VALU_DEP_1) | instskip(SKIP_1) | instid1(VALU_DEP_2)
	v_pk_fma_f32 v[98:99], v[38:39], v[42:43], v[96:97] op_sel_hi:[0,1,1]
	v_pk_fma_f32 v[38:39], v[38:39], v[42:43], v[96:97] neg_lo:[0,0,1] neg_hi:[0,0,1]
	v_mov_b32_e32 v39, v99
	s_delay_alu instid0(VALU_DEP_1)
	v_pk_add_f32 v[42:43], v[38:39], 0 neg_lo:[1,1] neg_hi:[1,1]
	ds_store_b64 v66, v[42:43]
.LBB53_577:                             ;   in Loop: Header=BB53_571 Depth=2
	s_or_b32 exec_lo, exec_lo, s52
	v_cmp_gt_u32_e32 vcc_lo, s67, v64
	s_wait_dscnt 0x0
	s_barrier_signal -1
	s_barrier_wait -1
	s_and_b32 s68, s91, vcc_lo
	s_delay_alu instid0(SALU_CYCLE_1)
	s_and_saveexec_b32 s52, s68
	s_cbranch_execz .LBB53_570
; %bb.578:                              ;   in Loop: Header=BB53_571 Depth=2
	ds_load_b64 v[42:43], v40
	ds_load_b64 v[96:97], v66
	s_wait_dscnt 0x0
	v_pk_mul_f32 v[98:99], v[96:97], v[42:43] op_sel:[1,1] op_sel_hi:[0,1]
	s_delay_alu instid0(VALU_DEP_1) | instskip(SKIP_1) | instid1(VALU_DEP_2)
	v_pk_fma_f32 v[100:101], v[96:97], v[42:43], v[98:99] op_sel_hi:[1,0,1]
	v_pk_fma_f32 v[42:43], v[96:97], v[42:43], v[98:99] neg_lo:[0,0,1] neg_hi:[0,0,1]
	v_mov_b32_e32 v43, v101
	s_delay_alu instid0(VALU_DEP_1)
	v_pk_add_f32 v[38:39], v[38:39], v[42:43] neg_lo:[0,1] neg_hi:[0,1]
	s_branch .LBB53_570
.LBB53_579:                             ;   in Loop: Header=BB53_3 Depth=1
	s_and_saveexec_b32 s52, s35
; %bb.580:                              ;   in Loop: Header=BB53_3 Depth=1
	ds_store_b64 v68, v[38:39] offset:32256
; %bb.581:                              ;   in Loop: Header=BB53_3 Depth=1
	s_or_b32 exec_lo, exec_lo, s52
	s_wait_dscnt 0x0
	s_barrier_signal -1
	s_barrier_wait -1
	s_barrier_signal -1
	s_barrier_wait -1
	s_mov_b32 s66, exec_lo
	v_readlane_b32 s52, v105, 8
	s_and_b32 s52, s66, s52
	s_delay_alu instid0(SALU_CYCLE_1)
	s_mov_b32 exec_lo, s52
	s_cbranch_execz .LBB53_583
; %bb.582:                              ;   in Loop: Header=BB53_3 Depth=1
	ds_load_b64 v[38:39], v84 offset:16384
	v_add_nc_u32_e32 v0, v84, v54
	s_wait_dscnt 0x0
	ds_store_b64 v0, v[38:39] offset:256
	ds_load_b64 v[38:39], v84 offset:16392
	s_wait_dscnt 0x0
	ds_store_b64 v0, v[38:39] offset:768
	ds_load_b64 v[38:39], v84 offset:16400
	;; [unrolled: 3-line block ×31, first 2 shown]
	s_wait_dscnt 0x0
	ds_store_b64 v0, v[38:39] offset:16128
.LBB53_583:                             ;   in Loop: Header=BB53_3 Depth=1
	s_or_b32 exec_lo, exec_lo, s66
	s_wait_dscnt 0x0
	s_barrier_signal -1
	s_barrier_wait -1
	s_and_saveexec_b32 s52, s14
	s_cbranch_execz .LBB53_585
; %bb.584:                              ;   in Loop: Header=BB53_3 Depth=1
	v_add_nc_u32_e64 v0, 0xf0, 0
	ds_load_b64 v[42:43], v1 offset:16120
	ds_load_2addr_stride64_b64 v[38:41], v0 offset0:30 offset1:31
	s_wait_dscnt 0x0
	v_dual_mul_f32 v95, v43, v39 :: v_dual_mul_f32 v0, v42, v39
	s_delay_alu instid0(VALU_DEP_1) | instskip(NEXT) | instid1(VALU_DEP_2)
	v_xor_b32_e32 v96, 0x80000000, v95
	v_fmac_f32_e32 v0, v43, v38
	s_delay_alu instid0(VALU_DEP_2) | instskip(NEXT) | instid1(VALU_DEP_2)
	v_fmac_f32_e32 v96, v42, v38
	v_pk_mul_f32 v[38:39], v[0:1], v[40:41] op_sel:[0,1] op_sel_hi:[0,0]
	v_add_nc_u32_e64 v0, 0x3800, 0
	s_delay_alu instid0(VALU_DEP_2) | instskip(SKIP_1) | instid1(VALU_DEP_2)
	v_pk_fma_f32 v[42:43], v[96:97], v[40:41], v[38:39] op_sel_hi:[0,1,1]
	v_pk_fma_f32 v[38:39], v[96:97], v[40:41], v[38:39] neg_lo:[0,0,1] neg_hi:[0,0,1]
	v_mov_b32_e32 v39, v43
	ds_store_2addr_b64 v0, v[38:39], v[38:39] offset0:159 offset1:222
.LBB53_585:                             ;   in Loop: Header=BB53_3 Depth=1
	s_or_b32 exec_lo, exec_lo, s52
	v_dual_mov_b32 v38, 0 :: v_dual_mov_b32 v39, 0
	s_wait_dscnt 0x0
	s_barrier_signal -1
	s_barrier_wait -1
	global_wb scope:SCOPE_DEV
	s_wait_storecnt 0x0
	global_inv scope:SCOPE_DEV
	s_and_saveexec_b32 s66, s0
	s_cbranch_execz .LBB53_589
; %bb.586:                              ;   in Loop: Header=BB53_3 Depth=1
	ds_load_b64 v[38:39], v46 offset:15584
	ds_load_b64 v[40:41], v47 offset:16112
	s_wait_dscnt 0x0
	v_pk_mul_f32 v[42:43], v[40:41], v[38:39] op_sel:[1,1] op_sel_hi:[0,1]
	s_delay_alu instid0(VALU_DEP_1) | instskip(SKIP_1) | instid1(VALU_DEP_2)
	v_pk_fma_f32 v[96:97], v[40:41], v[38:39], v[42:43] op_sel_hi:[1,0,1]
	v_pk_fma_f32 v[38:39], v[40:41], v[38:39], v[42:43] neg_lo:[0,0,1] neg_hi:[0,0,1]
	v_mov_b32_e32 v39, v97
	s_delay_alu instid0(VALU_DEP_1)
	v_pk_add_f32 v[38:39], v[38:39], 0 op_sel_hi:[1,0]
	s_and_saveexec_b32 s52, s15
	s_cbranch_execz .LBB53_588
; %bb.587:                              ;   in Loop: Header=BB53_3 Depth=1
	ds_load_b64 v[40:41], v48 offset:16096
	ds_load_b64 v[42:43], v1 offset:16120
	s_wait_dscnt 0x0
	v_pk_mul_f32 v[96:97], v[42:43], v[40:41] op_sel:[1,1] op_sel_hi:[0,1]
	s_delay_alu instid0(VALU_DEP_1) | instskip(SKIP_1) | instid1(VALU_DEP_2)
	v_pk_fma_f32 v[98:99], v[42:43], v[40:41], v[96:97] op_sel_hi:[1,0,1]
	v_pk_fma_f32 v[40:41], v[42:43], v[40:41], v[96:97] neg_lo:[0,0,1] neg_hi:[0,0,1]
	v_mov_b32_e32 v41, v99
	s_delay_alu instid0(VALU_DEP_1)
	v_pk_add_f32 v[38:39], v[38:39], v[40:41]
.LBB53_588:                             ;   in Loop: Header=BB53_3 Depth=1
	s_or_b32 exec_lo, exec_lo, s52
.LBB53_589:                             ;   in Loop: Header=BB53_3 Depth=1
	s_delay_alu instid0(SALU_CYCLE_1)
	s_or_b32 exec_lo, exec_lo, s66
	s_and_saveexec_b32 s52, s94
	s_cbranch_execz .LBB53_591
; %bb.590:                              ;   in Loop: Header=BB53_3 Depth=1
	ds_load_b64 v[40:41], v1 offset:15080
	s_wait_dscnt 0x0
	v_pk_mul_f32 v[42:43], v[38:39], v[40:41] op_sel:[1,1] op_sel_hi:[1,0]
	s_delay_alu instid0(VALU_DEP_1) | instskip(SKIP_1) | instid1(VALU_DEP_2)
	v_pk_fma_f32 v[96:97], v[38:39], v[40:41], v[42:43] op_sel_hi:[0,1,1]
	v_pk_fma_f32 v[38:39], v[38:39], v[40:41], v[42:43] neg_lo:[0,0,1] neg_hi:[0,0,1]
	v_mov_b32_e32 v39, v97
	s_delay_alu instid0(VALU_DEP_1)
	v_pk_add_f32 v[40:41], v[38:39], 0 neg_lo:[1,1] neg_hi:[1,1]
	ds_store_b64 v3, v[40:41]
.LBB53_591:                             ;   in Loop: Header=BB53_3 Depth=1
	s_or_b32 exec_lo, exec_lo, s52
	s_wait_loadcnt_dscnt 0x0
	s_barrier_signal -1
	s_barrier_wait -1
	s_and_saveexec_b32 s52, s95
	s_cbranch_execz .LBB53_593
; %bb.592:                              ;   in Loop: Header=BB53_3 Depth=1
	ds_load_b64 v[40:41], v1 offset:15072
	ds_load_b64 v[42:43], v3
	s_wait_dscnt 0x0
	v_pk_mul_f32 v[96:97], v[42:43], v[40:41] op_sel:[1,1] op_sel_hi:[0,1]
	s_delay_alu instid0(VALU_DEP_1) | instskip(SKIP_1) | instid1(VALU_DEP_2)
	v_pk_fma_f32 v[98:99], v[42:43], v[40:41], v[96:97] op_sel_hi:[1,0,1]
	v_pk_fma_f32 v[40:41], v[42:43], v[40:41], v[96:97] neg_lo:[0,0,1] neg_hi:[0,0,1]
	v_mov_b32_e32 v41, v99
	s_delay_alu instid0(VALU_DEP_1)
	v_pk_add_f32 v[38:39], v[38:39], v[40:41] neg_lo:[0,1] neg_hi:[0,1]
.LBB53_593:                             ;   in Loop: Header=BB53_3 Depth=1
	s_or_b32 exec_lo, exec_lo, s52
	s_barrier_signal -1
	s_barrier_wait -1
	s_and_saveexec_b32 s52, s95
	s_cbranch_execz .LBB53_595
; %bb.594:                              ;   in Loop: Header=BB53_3 Depth=1
	ds_load_b64 v[40:41], v1 offset:14560
	s_wait_dscnt 0x0
	v_pk_mul_f32 v[42:43], v[38:39], v[40:41] op_sel:[1,1] op_sel_hi:[1,0]
	s_delay_alu instid0(VALU_DEP_1) | instskip(SKIP_1) | instid1(VALU_DEP_2)
	v_pk_fma_f32 v[96:97], v[38:39], v[40:41], v[42:43] op_sel_hi:[0,1,1]
	v_pk_fma_f32 v[38:39], v[38:39], v[40:41], v[42:43] neg_lo:[0,0,1] neg_hi:[0,0,1]
	v_mov_b32_e32 v39, v97
	s_delay_alu instid0(VALU_DEP_1)
	v_pk_add_f32 v[40:41], v[38:39], 0 neg_lo:[1,1] neg_hi:[1,1]
	ds_store_b64 v3, v[40:41]
.LBB53_595:                             ;   in Loop: Header=BB53_3 Depth=1
	s_or_b32 exec_lo, exec_lo, s52
	s_wait_dscnt 0x0
	s_barrier_signal -1
	s_barrier_wait -1
	s_barrier_signal -1
	s_barrier_wait -1
	s_and_saveexec_b32 s52, s0
; %bb.596:                              ;   in Loop: Header=BB53_3 Depth=1
	ds_store_b64 v49, v[38:39] offset:16096
; %bb.597:                              ;   in Loop: Header=BB53_3 Depth=1
	s_or_b32 exec_lo, exec_lo, s52
	s_wait_dscnt 0x0
	s_barrier_signal -1
	s_barrier_wait -1
	s_barrier_signal -1
	s_barrier_wait -1
	s_and_saveexec_b32 s52, s96
	s_cbranch_execz .LBB53_599
; %bb.598:                              ;   in Loop: Header=BB53_3 Depth=1
	ds_load_b64 v[38:39], v50 offset:15584
	s_wait_dscnt 0x0
	ds_store_b64 v48, v[38:39] offset:14576
	ds_load_b64 v[38:39], v50 offset:15592
	s_wait_dscnt 0x0
	ds_store_b64 v48, v[38:39] offset:15088
.LBB53_599:                             ;   in Loop: Header=BB53_3 Depth=1
	s_or_b32 exec_lo, exec_lo, s52
	s_wait_dscnt 0x0
	s_barrier_signal -1
	s_barrier_wait -1
	s_and_saveexec_b32 s52, s14
	s_cbranch_execz .LBB53_601
; %bb.600:                              ;   in Loop: Header=BB53_3 Depth=1
	v_add_nc_u32_e64 v0, 0xe0, 0
	ds_load_b64 v[42:43], v1 offset:15080
	ds_load_2addr_stride64_b64 v[38:41], v0 offset0:28 offset1:29
	s_wait_dscnt 0x0
	v_dual_mul_f32 v95, v43, v39 :: v_dual_mul_f32 v0, v42, v39
	s_delay_alu instid0(VALU_DEP_1) | instskip(NEXT) | instid1(VALU_DEP_2)
	v_xor_b32_e32 v96, 0x80000000, v95
	v_fmac_f32_e32 v0, v43, v38
	s_delay_alu instid0(VALU_DEP_2) | instskip(NEXT) | instid1(VALU_DEP_2)
	v_fmac_f32_e32 v96, v42, v38
	v_pk_mul_f32 v[38:39], v[0:1], v[40:41] op_sel:[0,1] op_sel_hi:[0,0]
	v_add_nc_u32_e64 v0, 0x3800, 0
	s_delay_alu instid0(VALU_DEP_2) | instskip(SKIP_1) | instid1(VALU_DEP_2)
	v_pk_fma_f32 v[42:43], v[96:97], v[40:41], v[38:39] op_sel_hi:[0,1,1]
	v_pk_fma_f32 v[38:39], v[96:97], v[40:41], v[38:39] neg_lo:[0,0,1] neg_hi:[0,0,1]
	v_mov_b32_e32 v39, v43
	ds_store_2addr_b64 v0, v[38:39], v[38:39] offset0:29 offset1:92
.LBB53_601:                             ;   in Loop: Header=BB53_3 Depth=1
	s_or_b32 exec_lo, exec_lo, s52
	v_mov_b64_e32 v[38:39], 0
	s_wait_dscnt 0x0
	s_barrier_signal -1
	s_barrier_wait -1
	global_wb scope:SCOPE_DEV
	s_wait_storecnt 0x0
	global_inv scope:SCOPE_DEV
	s_and_saveexec_b32 s66, s2
	s_cbranch_execz .LBB53_607
; %bb.602:                              ;   in Loop: Header=BB53_3 Depth=1
	ds_load_b64 v[38:39], v52 offset:14528
	ds_load_b64 v[40:41], v53 offset:16096
	s_wait_dscnt 0x0
	v_dual_mul_f32 v0, v41, v39 :: v_dual_mul_f32 v39, v40, v39
	s_delay_alu instid0(VALU_DEP_1) | instskip(NEXT) | instid1(VALU_DEP_1)
	v_dual_fma_f32 v0, v40, v38, -v0 :: v_dual_fmac_f32 v39, v41, v38
	v_dual_add_f32 v38, 0, v0 :: v_dual_add_f32 v39, 0, v39
	s_and_saveexec_b32 s52, s16
	s_cbranch_execnz .LBB53_1136
; %bb.603:                              ;   in Loop: Header=BB53_3 Depth=1
	s_or_b32 exec_lo, exec_lo, s52
	s_and_saveexec_b32 s52, s17
	s_cbranch_execnz .LBB53_1137
.LBB53_604:                             ;   in Loop: Header=BB53_3 Depth=1
	s_or_b32 exec_lo, exec_lo, s52
	s_and_saveexec_b32 s52, s0
	s_cbranch_execz .LBB53_606
.LBB53_605:                             ;   in Loop: Header=BB53_3 Depth=1
	ds_load_b64 v[40:41], v55 offset:16064
	ds_load_b64 v[42:43], v1 offset:16120
	s_wait_dscnt 0x0
	v_dual_mul_f32 v0, v43, v41 :: v_dual_mul_f32 v41, v42, v41
	s_delay_alu instid0(VALU_DEP_1) | instskip(NEXT) | instid1(VALU_DEP_1)
	v_dual_fma_f32 v0, v42, v40, -v0 :: v_dual_fmac_f32 v41, v43, v40
	v_dual_add_f32 v38, v38, v0 :: v_dual_add_f32 v39, v39, v41
.LBB53_606:                             ;   in Loop: Header=BB53_3 Depth=1
	s_or_b32 exec_lo, exec_lo, s52
.LBB53_607:                             ;   in Loop: Header=BB53_3 Depth=1
	s_delay_alu instid0(SALU_CYCLE_1)
	s_or_b32 exec_lo, exec_lo, s66
	s_and_saveexec_b32 s52, s97
	s_cbranch_execz .LBB53_609
; %bb.608:                              ;   in Loop: Header=BB53_3 Depth=1
	ds_load_b64 v[40:41], v1 offset:14040
	s_wait_dscnt 0x0
	v_dual_mul_f32 v0, v39, v40 :: v_dual_mul_f32 v42, v39, v41
	s_delay_alu instid0(VALU_DEP_1) | instskip(NEXT) | instid1(VALU_DEP_2)
	v_pk_fma_f32 v[96:97], v[38:39], v[40:41], v[0:1] op_sel:[1,0,0] op_sel_hi:[0,1,0]
	v_pk_fma_f32 v[38:39], v[38:39], v[40:41], v[42:43] op_sel_hi:[1,1,0] neg_lo:[0,0,1] neg_hi:[0,0,1]
	s_delay_alu instid0(VALU_DEP_2) | instskip(NEXT) | instid1(VALU_DEP_1)
	v_mov_b32_e32 v39, v97
	v_pk_add_f32 v[40:41], v[38:39], 0 neg_lo:[1,1] neg_hi:[1,1]
	ds_store_b64 v51, v[40:41]
.LBB53_609:                             ;   in Loop: Header=BB53_3 Depth=1
	s_or_b32 exec_lo, exec_lo, s52
	s_wait_loadcnt_dscnt 0x0
	s_barrier_signal -1
	s_barrier_wait -1
	s_and_saveexec_b32 s52, s98
	s_cbranch_execz .LBB53_611
; %bb.610:                              ;   in Loop: Header=BB53_3 Depth=1
	ds_load_b64 v[40:41], v52 offset:14016
	ds_load_b64 v[42:43], v51
	s_wait_dscnt 0x0
	v_pk_mul_f32 v[96:97], v[42:43], v[40:41] op_sel:[1,1] op_sel_hi:[0,1]
	s_delay_alu instid0(VALU_DEP_1) | instskip(SKIP_1) | instid1(VALU_DEP_2)
	v_pk_fma_f32 v[98:99], v[42:43], v[40:41], v[96:97] op_sel_hi:[1,0,1]
	v_pk_fma_f32 v[40:41], v[42:43], v[40:41], v[96:97] neg_lo:[0,0,1] neg_hi:[0,0,1]
	v_mov_b32_e32 v41, v99
	s_delay_alu instid0(VALU_DEP_1)
	v_pk_add_f32 v[38:39], v[38:39], v[40:41] neg_lo:[0,1] neg_hi:[0,1]
.LBB53_611:                             ;   in Loop: Header=BB53_3 Depth=1
	s_or_b32 exec_lo, exec_lo, s52
	s_barrier_signal -1
	s_barrier_wait -1
	s_and_saveexec_b32 s52, s99
	s_cbranch_execz .LBB53_613
; %bb.612:                              ;   in Loop: Header=BB53_3 Depth=1
	ds_load_b64 v[40:41], v1 offset:13520
	s_wait_dscnt 0x0
	v_pk_mul_f32 v[42:43], v[38:39], v[40:41] op_sel:[1,1] op_sel_hi:[1,0]
	s_delay_alu instid0(VALU_DEP_1) | instskip(SKIP_1) | instid1(VALU_DEP_2)
	v_pk_fma_f32 v[96:97], v[38:39], v[40:41], v[42:43] op_sel_hi:[0,1,1]
	v_pk_fma_f32 v[38:39], v[38:39], v[40:41], v[42:43] neg_lo:[0,0,1] neg_hi:[0,0,1]
	v_mov_b32_e32 v39, v97
	s_delay_alu instid0(VALU_DEP_1)
	v_pk_add_f32 v[40:41], v[38:39], 0 neg_lo:[1,1] neg_hi:[1,1]
	ds_store_b64 v51, v[40:41]
.LBB53_613:                             ;   in Loop: Header=BB53_3 Depth=1
	s_or_b32 exec_lo, exec_lo, s52
	s_wait_dscnt 0x0
	s_barrier_signal -1
	s_barrier_wait -1
	s_and_saveexec_b32 s52, s100
	s_cbranch_execz .LBB53_615
; %bb.614:                              ;   in Loop: Header=BB53_3 Depth=1
	ds_load_b64 v[40:41], v52 offset:13504
	ds_load_b64 v[42:43], v51
	s_wait_dscnt 0x0
	v_pk_mul_f32 v[96:97], v[42:43], v[40:41] op_sel:[1,1] op_sel_hi:[0,1]
	s_delay_alu instid0(VALU_DEP_1) | instskip(SKIP_1) | instid1(VALU_DEP_2)
	v_pk_fma_f32 v[98:99], v[42:43], v[40:41], v[96:97] op_sel_hi:[1,0,1]
	v_pk_fma_f32 v[40:41], v[42:43], v[40:41], v[96:97] neg_lo:[0,0,1] neg_hi:[0,0,1]
	v_mov_b32_e32 v41, v99
	s_delay_alu instid0(VALU_DEP_1)
	v_pk_add_f32 v[38:39], v[38:39], v[40:41] neg_lo:[0,1] neg_hi:[0,1]
.LBB53_615:                             ;   in Loop: Header=BB53_3 Depth=1
	s_or_b32 exec_lo, exec_lo, s52
	s_barrier_signal -1
	s_barrier_wait -1
	s_and_saveexec_b32 s52, s101
	s_cbranch_execz .LBB53_617
; %bb.616:                              ;   in Loop: Header=BB53_3 Depth=1
	ds_load_b64 v[40:41], v1 offset:13000
	s_wait_dscnt 0x0
	v_pk_mul_f32 v[42:43], v[38:39], v[40:41] op_sel:[1,1] op_sel_hi:[1,0]
	s_delay_alu instid0(VALU_DEP_1) | instskip(SKIP_1) | instid1(VALU_DEP_2)
	v_pk_fma_f32 v[96:97], v[38:39], v[40:41], v[42:43] op_sel_hi:[0,1,1]
	v_pk_fma_f32 v[38:39], v[38:39], v[40:41], v[42:43] neg_lo:[0,0,1] neg_hi:[0,0,1]
	v_mov_b32_e32 v39, v97
	s_delay_alu instid0(VALU_DEP_1)
	v_pk_add_f32 v[40:41], v[38:39], 0 neg_lo:[1,1] neg_hi:[1,1]
	ds_store_b64 v51, v[40:41]
.LBB53_617:                             ;   in Loop: Header=BB53_3 Depth=1
	s_or_b32 exec_lo, exec_lo, s52
	s_wait_dscnt 0x0
	;; [unrolled: 35-line block ×3, first 2 shown]
	s_barrier_signal -1
	s_barrier_wait -1
	s_barrier_signal -1
	s_barrier_wait -1
	s_and_saveexec_b32 s52, s2
; %bb.622:                              ;   in Loop: Header=BB53_3 Depth=1
	ds_store_b64 v56, v[38:39] offset:16064
; %bb.623:                              ;   in Loop: Header=BB53_3 Depth=1
	s_or_b32 exec_lo, exec_lo, s52
	s_wait_dscnt 0x0
	s_barrier_signal -1
	s_barrier_wait -1
	s_barrier_signal -1
	s_barrier_wait -1
	s_and_saveexec_b32 s52, s103
	s_cbranch_execz .LBB53_625
; %bb.624:                              ;   in Loop: Header=BB53_3 Depth=1
	ds_load_b64 v[38:39], v69 offset:14528
	s_wait_dscnt 0x0
	ds_store_b64 v70, v[38:39] offset:12512
	ds_load_b64 v[38:39], v69 offset:14536
	s_wait_dscnt 0x0
	ds_store_b64 v70, v[38:39] offset:13024
	;; [unrolled: 3-line block ×4, first 2 shown]
.LBB53_625:                             ;   in Loop: Header=BB53_3 Depth=1
	s_or_b32 exec_lo, exec_lo, s52
	s_wait_dscnt 0x0
	s_barrier_signal -1
	s_barrier_wait -1
	s_and_saveexec_b32 s52, s14
	s_cbranch_execz .LBB53_627
; %bb.626:                              ;   in Loop: Header=BB53_3 Depth=1
	v_add_nc_u32_e64 v0, 0xd0, 0
	ds_load_b64 v[42:43], v1 offset:14040
	ds_load_2addr_stride64_b64 v[38:41], v0 offset0:26 offset1:27
	s_wait_dscnt 0x0
	v_dual_mul_f32 v95, v43, v39 :: v_dual_mul_f32 v0, v42, v39
	s_delay_alu instid0(VALU_DEP_1) | instskip(NEXT) | instid1(VALU_DEP_2)
	v_xor_b32_e32 v96, 0x80000000, v95
	v_fmac_f32_e32 v0, v43, v38
	s_delay_alu instid0(VALU_DEP_2) | instskip(NEXT) | instid1(VALU_DEP_2)
	v_fmac_f32_e32 v96, v42, v38
	v_pk_mul_f32 v[38:39], v[0:1], v[40:41] op_sel:[0,1] op_sel_hi:[0,0]
	v_add_nc_u32_e64 v0, 0x3000, 0
	s_delay_alu instid0(VALU_DEP_2) | instskip(SKIP_1) | instid1(VALU_DEP_2)
	v_pk_fma_f32 v[42:43], v[96:97], v[40:41], v[38:39] op_sel_hi:[0,1,1]
	v_pk_fma_f32 v[38:39], v[96:97], v[40:41], v[38:39] neg_lo:[0,0,1] neg_hi:[0,0,1]
	v_mov_b32_e32 v39, v43
	ds_store_2addr_b64 v0, v[38:39], v[38:39] offset0:155 offset1:218
.LBB53_627:                             ;   in Loop: Header=BB53_3 Depth=1
	s_or_b32 exec_lo, exec_lo, s52
	v_dual_mov_b32 v38, 0 :: v_dual_mov_b32 v39, 0
	s_wait_dscnt 0x0
	s_barrier_signal -1
	s_barrier_wait -1
	global_wb scope:SCOPE_DEV
	s_wait_storecnt 0x0
	global_inv scope:SCOPE_DEV
	s_and_saveexec_b32 s66, s0
	s_cbranch_execz .LBB53_631
; %bb.628:                              ;   in Loop: Header=BB53_3 Depth=1
	ds_load_b64 v[38:39], v46 offset:13504
	ds_load_b64 v[40:41], v47 offset:14032
	s_wait_dscnt 0x0
	v_pk_mul_f32 v[42:43], v[40:41], v[38:39] op_sel:[1,1] op_sel_hi:[0,1]
	s_delay_alu instid0(VALU_DEP_1) | instskip(SKIP_1) | instid1(VALU_DEP_2)
	v_pk_fma_f32 v[96:97], v[40:41], v[38:39], v[42:43] op_sel_hi:[1,0,1]
	v_pk_fma_f32 v[38:39], v[40:41], v[38:39], v[42:43] neg_lo:[0,0,1] neg_hi:[0,0,1]
	v_mov_b32_e32 v39, v97
	s_delay_alu instid0(VALU_DEP_1)
	v_pk_add_f32 v[38:39], v[38:39], 0 op_sel_hi:[1,0]
	s_and_saveexec_b32 s52, s15
	s_cbranch_execz .LBB53_630
; %bb.629:                              ;   in Loop: Header=BB53_3 Depth=1
	ds_load_b64 v[40:41], v70 offset:14016
	ds_load_b64 v[42:43], v1 offset:14040
	s_wait_dscnt 0x0
	v_pk_mul_f32 v[96:97], v[42:43], v[40:41] op_sel:[1,1] op_sel_hi:[0,1]
	s_delay_alu instid0(VALU_DEP_1) | instskip(SKIP_1) | instid1(VALU_DEP_2)
	v_pk_fma_f32 v[98:99], v[42:43], v[40:41], v[96:97] op_sel_hi:[1,0,1]
	v_pk_fma_f32 v[40:41], v[42:43], v[40:41], v[96:97] neg_lo:[0,0,1] neg_hi:[0,0,1]
	v_mov_b32_e32 v41, v99
	s_delay_alu instid0(VALU_DEP_1)
	v_pk_add_f32 v[38:39], v[38:39], v[40:41]
.LBB53_630:                             ;   in Loop: Header=BB53_3 Depth=1
	s_or_b32 exec_lo, exec_lo, s52
.LBB53_631:                             ;   in Loop: Header=BB53_3 Depth=1
	s_delay_alu instid0(SALU_CYCLE_1)
	s_or_b32 exec_lo, exec_lo, s66
	s_and_saveexec_b32 s52, s94
	s_cbranch_execz .LBB53_633
; %bb.632:                              ;   in Loop: Header=BB53_3 Depth=1
	ds_load_b64 v[40:41], v1 offset:13000
	s_wait_dscnt 0x0
	v_pk_mul_f32 v[42:43], v[38:39], v[40:41] op_sel:[1,1] op_sel_hi:[1,0]
	s_delay_alu instid0(VALU_DEP_1) | instskip(SKIP_1) | instid1(VALU_DEP_2)
	v_pk_fma_f32 v[96:97], v[38:39], v[40:41], v[42:43] op_sel_hi:[0,1,1]
	v_pk_fma_f32 v[38:39], v[38:39], v[40:41], v[42:43] neg_lo:[0,0,1] neg_hi:[0,0,1]
	v_mov_b32_e32 v39, v97
	s_delay_alu instid0(VALU_DEP_1)
	v_pk_add_f32 v[40:41], v[38:39], 0 neg_lo:[1,1] neg_hi:[1,1]
	ds_store_b64 v3, v[40:41]
.LBB53_633:                             ;   in Loop: Header=BB53_3 Depth=1
	s_or_b32 exec_lo, exec_lo, s52
	s_wait_loadcnt_dscnt 0x0
	s_barrier_signal -1
	s_barrier_wait -1
	s_and_saveexec_b32 s52, s95
	s_cbranch_execz .LBB53_635
; %bb.634:                              ;   in Loop: Header=BB53_3 Depth=1
	ds_load_b64 v[40:41], v1 offset:12992
	ds_load_b64 v[42:43], v3
	s_wait_dscnt 0x0
	v_pk_mul_f32 v[96:97], v[42:43], v[40:41] op_sel:[1,1] op_sel_hi:[0,1]
	s_delay_alu instid0(VALU_DEP_1) | instskip(SKIP_1) | instid1(VALU_DEP_2)
	v_pk_fma_f32 v[98:99], v[42:43], v[40:41], v[96:97] op_sel_hi:[1,0,1]
	v_pk_fma_f32 v[40:41], v[42:43], v[40:41], v[96:97] neg_lo:[0,0,1] neg_hi:[0,0,1]
	v_mov_b32_e32 v41, v99
	s_delay_alu instid0(VALU_DEP_1)
	v_pk_add_f32 v[38:39], v[38:39], v[40:41] neg_lo:[0,1] neg_hi:[0,1]
.LBB53_635:                             ;   in Loop: Header=BB53_3 Depth=1
	s_or_b32 exec_lo, exec_lo, s52
	s_barrier_signal -1
	s_barrier_wait -1
	s_and_saveexec_b32 s52, s95
	s_cbranch_execz .LBB53_637
; %bb.636:                              ;   in Loop: Header=BB53_3 Depth=1
	ds_load_b64 v[40:41], v1 offset:12480
	s_wait_dscnt 0x0
	v_pk_mul_f32 v[42:43], v[38:39], v[40:41] op_sel:[1,1] op_sel_hi:[1,0]
	s_delay_alu instid0(VALU_DEP_1) | instskip(SKIP_1) | instid1(VALU_DEP_2)
	v_pk_fma_f32 v[96:97], v[38:39], v[40:41], v[42:43] op_sel_hi:[0,1,1]
	v_pk_fma_f32 v[38:39], v[38:39], v[40:41], v[42:43] neg_lo:[0,0,1] neg_hi:[0,0,1]
	v_mov_b32_e32 v39, v97
	s_delay_alu instid0(VALU_DEP_1)
	v_pk_add_f32 v[40:41], v[38:39], 0 neg_lo:[1,1] neg_hi:[1,1]
	ds_store_b64 v3, v[40:41]
.LBB53_637:                             ;   in Loop: Header=BB53_3 Depth=1
	s_or_b32 exec_lo, exec_lo, s52
	s_wait_dscnt 0x0
	s_barrier_signal -1
	s_barrier_wait -1
	s_barrier_signal -1
	s_barrier_wait -1
	s_and_saveexec_b32 s52, s0
; %bb.638:                              ;   in Loop: Header=BB53_3 Depth=1
	ds_store_b64 v49, v[38:39] offset:14016
; %bb.639:                              ;   in Loop: Header=BB53_3 Depth=1
	s_or_b32 exec_lo, exec_lo, s52
	s_wait_dscnt 0x0
	s_barrier_signal -1
	s_barrier_wait -1
	s_barrier_signal -1
	s_barrier_wait -1
	s_and_saveexec_b32 s52, s96
	s_cbranch_execz .LBB53_641
; %bb.640:                              ;   in Loop: Header=BB53_3 Depth=1
	ds_load_b64 v[38:39], v71 offset:13504
	s_wait_dscnt 0x0
	ds_store_b64 v70, v[38:39] offset:12496
	ds_load_b64 v[38:39], v71 offset:13512
	s_wait_dscnt 0x0
	ds_store_b64 v70, v[38:39] offset:13008
.LBB53_641:                             ;   in Loop: Header=BB53_3 Depth=1
	s_or_b32 exec_lo, exec_lo, s52
	s_wait_dscnt 0x0
	s_barrier_signal -1
	s_barrier_wait -1
	s_and_saveexec_b32 s52, s14
	s_cbranch_execz .LBB53_643
; %bb.642:                              ;   in Loop: Header=BB53_3 Depth=1
	v_add_nc_u32_e64 v0, 0xc0, 0
	ds_load_b64 v[42:43], v1 offset:13000
	ds_load_2addr_stride64_b64 v[38:41], v0 offset0:24 offset1:25
	s_wait_dscnt 0x0
	v_dual_mul_f32 v95, v43, v39 :: v_dual_mul_f32 v0, v42, v39
	s_delay_alu instid0(VALU_DEP_1) | instskip(NEXT) | instid1(VALU_DEP_2)
	v_xor_b32_e32 v96, 0x80000000, v95
	v_fmac_f32_e32 v0, v43, v38
	s_delay_alu instid0(VALU_DEP_2) | instskip(NEXT) | instid1(VALU_DEP_2)
	v_fmac_f32_e32 v96, v42, v38
	v_pk_mul_f32 v[38:39], v[0:1], v[40:41] op_sel:[0,1] op_sel_hi:[0,0]
	v_add_nc_u32_e64 v0, 0x3000, 0
	s_delay_alu instid0(VALU_DEP_2) | instskip(SKIP_1) | instid1(VALU_DEP_2)
	v_pk_fma_f32 v[42:43], v[96:97], v[40:41], v[38:39] op_sel_hi:[0,1,1]
	v_pk_fma_f32 v[38:39], v[96:97], v[40:41], v[38:39] neg_lo:[0,0,1] neg_hi:[0,0,1]
	v_mov_b32_e32 v39, v43
	ds_store_2addr_b64 v0, v[38:39], v[38:39] offset0:25 offset1:88
.LBB53_643:                             ;   in Loop: Header=BB53_3 Depth=1
	s_or_b32 exec_lo, exec_lo, s52
	v_mov_b64_e32 v[38:39], 0
	s_wait_dscnt 0x0
	s_barrier_signal -1
	s_barrier_wait -1
	global_wb scope:SCOPE_DEV
	s_wait_storecnt 0x0
	global_inv scope:SCOPE_DEV
	s_and_saveexec_b32 s66, s3
	s_cbranch_execz .LBB53_653
; %bb.644:                              ;   in Loop: Header=BB53_3 Depth=1
	ds_load_b64 v[38:39], v58 offset:12416
	ds_load_b64 v[40:41], v59 offset:16064
	s_wait_dscnt 0x0
	v_dual_mul_f32 v0, v41, v39 :: v_dual_mul_f32 v39, v40, v39
	s_delay_alu instid0(VALU_DEP_1) | instskip(NEXT) | instid1(VALU_DEP_1)
	v_dual_fma_f32 v0, v40, v38, -v0 :: v_dual_fmac_f32 v39, v41, v38
	v_dual_add_f32 v38, 0, v0 :: v_dual_add_f32 v39, 0, v39
	s_and_saveexec_b32 s52, s18
	s_cbranch_execnz .LBB53_1138
; %bb.645:                              ;   in Loop: Header=BB53_3 Depth=1
	s_or_b32 exec_lo, exec_lo, s52
	s_and_saveexec_b32 s52, s19
	s_cbranch_execnz .LBB53_1139
.LBB53_646:                             ;   in Loop: Header=BB53_3 Depth=1
	s_or_b32 exec_lo, exec_lo, s52
	s_and_saveexec_b32 s52, s20
	s_cbranch_execnz .LBB53_1140
.LBB53_647:                             ;   in Loop: Header=BB53_3 Depth=1
	s_or_b32 exec_lo, exec_lo, s52
	s_and_saveexec_b32 s52, s21
	s_cbranch_execnz .LBB53_1141
.LBB53_648:                             ;   in Loop: Header=BB53_3 Depth=1
	s_or_b32 exec_lo, exec_lo, s52
	s_and_saveexec_b32 s52, s22
	s_cbranch_execnz .LBB53_1142
.LBB53_649:                             ;   in Loop: Header=BB53_3 Depth=1
	s_or_b32 exec_lo, exec_lo, s52
	s_and_saveexec_b32 s52, s2
	s_cbranch_execnz .LBB53_1143
.LBB53_650:                             ;   in Loop: Header=BB53_3 Depth=1
	s_or_b32 exec_lo, exec_lo, s52
	s_and_saveexec_b32 s52, s17
	s_cbranch_execz .LBB53_652
.LBB53_651:                             ;   in Loop: Header=BB53_3 Depth=1
	ds_load_b64 v[40:41], v72 offset:16000
	ds_load_b64 v[42:43], v1 offset:16120
	s_wait_dscnt 0x0
	v_dual_mul_f32 v0, v43, v41 :: v_dual_mul_f32 v97, v42, v41
	s_delay_alu instid0(VALU_DEP_1) | instskip(NEXT) | instid1(VALU_DEP_1)
	v_dual_fma_f32 v96, v42, v40, -v0 :: v_dual_fmac_f32 v97, v43, v40
	v_pk_add_f32 v[38:39], v[38:39], v[96:97]
.LBB53_652:                             ;   in Loop: Header=BB53_3 Depth=1
	s_or_b32 exec_lo, exec_lo, s52
.LBB53_653:                             ;   in Loop: Header=BB53_3 Depth=1
	s_delay_alu instid0(SALU_CYCLE_1)
	s_or_b32 exec_lo, exec_lo, s66
	s_and_saveexec_b32 s52, s104
	s_cbranch_execz .LBB53_655
; %bb.654:                              ;   in Loop: Header=BB53_3 Depth=1
	ds_load_b64 v[40:41], v1 offset:11960
	s_wait_dscnt 0x0
	v_pk_mul_f32 v[42:43], v[38:39], v[40:41] op_sel:[1,1] op_sel_hi:[1,0]
	s_delay_alu instid0(VALU_DEP_1) | instskip(SKIP_1) | instid1(VALU_DEP_2)
	v_pk_fma_f32 v[96:97], v[38:39], v[40:41], v[42:43] op_sel_hi:[0,1,1]
	v_pk_fma_f32 v[38:39], v[38:39], v[40:41], v[42:43] neg_lo:[0,0,1] neg_hi:[0,0,1]
	v_mov_b32_e32 v39, v97
	s_delay_alu instid0(VALU_DEP_1)
	v_pk_add_f32 v[40:41], v[38:39], 0 neg_lo:[1,1] neg_hi:[1,1]
	ds_store_b64 v57, v[40:41]
.LBB53_655:                             ;   in Loop: Header=BB53_3 Depth=1
	s_or_b32 exec_lo, exec_lo, s52
	s_wait_loadcnt_dscnt 0x0
	s_barrier_signal -1
	s_barrier_wait -1
	s_and_saveexec_b32 s52, vcc_hi
	s_cbranch_execz .LBB53_657
; %bb.656:                              ;   in Loop: Header=BB53_3 Depth=1
	ds_load_b64 v[40:41], v58 offset:11904
	ds_load_b64 v[42:43], v57
	s_wait_dscnt 0x0
	v_pk_mul_f32 v[96:97], v[42:43], v[40:41] op_sel:[1,1] op_sel_hi:[0,1]
	s_delay_alu instid0(VALU_DEP_1) | instskip(SKIP_1) | instid1(VALU_DEP_2)
	v_pk_fma_f32 v[98:99], v[42:43], v[40:41], v[96:97] op_sel_hi:[1,0,1]
	v_pk_fma_f32 v[40:41], v[42:43], v[40:41], v[96:97] neg_lo:[0,0,1] neg_hi:[0,0,1]
	v_mov_b32_e32 v41, v99
	s_delay_alu instid0(VALU_DEP_1)
	v_pk_add_f32 v[38:39], v[38:39], v[40:41] neg_lo:[0,1] neg_hi:[0,1]
.LBB53_657:                             ;   in Loop: Header=BB53_3 Depth=1
	s_or_b32 exec_lo, exec_lo, s52
	s_barrier_signal -1
	s_barrier_wait -1
	s_and_saveexec_b32 s52, s39
	s_cbranch_execz .LBB53_659
; %bb.658:                              ;   in Loop: Header=BB53_3 Depth=1
	ds_load_b64 v[40:41], v1 offset:11440
	s_wait_dscnt 0x0
	v_pk_mul_f32 v[42:43], v[38:39], v[40:41] op_sel:[1,1] op_sel_hi:[1,0]
	s_delay_alu instid0(VALU_DEP_1) | instskip(SKIP_1) | instid1(VALU_DEP_2)
	v_pk_fma_f32 v[96:97], v[38:39], v[40:41], v[42:43] op_sel_hi:[0,1,1]
	v_pk_fma_f32 v[38:39], v[38:39], v[40:41], v[42:43] neg_lo:[0,0,1] neg_hi:[0,0,1]
	v_mov_b32_e32 v39, v97
	s_delay_alu instid0(VALU_DEP_1)
	v_pk_add_f32 v[40:41], v[38:39], 0 neg_lo:[1,1] neg_hi:[1,1]
	ds_store_b64 v57, v[40:41]
.LBB53_659:                             ;   in Loop: Header=BB53_3 Depth=1
	s_or_b32 exec_lo, exec_lo, s52
	s_wait_dscnt 0x0
	s_barrier_signal -1
	s_barrier_wait -1
	s_and_saveexec_b32 s52, s40
	s_cbranch_execz .LBB53_661
; %bb.660:                              ;   in Loop: Header=BB53_3 Depth=1
	ds_load_b64 v[40:41], v58 offset:11392
	ds_load_b64 v[42:43], v57
	s_wait_dscnt 0x0
	v_pk_mul_f32 v[96:97], v[42:43], v[40:41] op_sel:[1,1] op_sel_hi:[0,1]
	s_delay_alu instid0(VALU_DEP_1) | instskip(SKIP_1) | instid1(VALU_DEP_2)
	v_pk_fma_f32 v[98:99], v[42:43], v[40:41], v[96:97] op_sel_hi:[1,0,1]
	v_pk_fma_f32 v[40:41], v[42:43], v[40:41], v[96:97] neg_lo:[0,0,1] neg_hi:[0,0,1]
	v_mov_b32_e32 v41, v99
	s_delay_alu instid0(VALU_DEP_1)
	v_pk_add_f32 v[38:39], v[38:39], v[40:41] neg_lo:[0,1] neg_hi:[0,1]
.LBB53_661:                             ;   in Loop: Header=BB53_3 Depth=1
	s_or_b32 exec_lo, exec_lo, s52
	s_barrier_signal -1
	s_barrier_wait -1
	s_and_saveexec_b32 s52, s41
	s_cbranch_execz .LBB53_663
; %bb.662:                              ;   in Loop: Header=BB53_3 Depth=1
	ds_load_b64 v[40:41], v1 offset:10920
	s_wait_dscnt 0x0
	v_pk_mul_f32 v[42:43], v[38:39], v[40:41] op_sel:[1,1] op_sel_hi:[1,0]
	s_delay_alu instid0(VALU_DEP_1) | instskip(SKIP_1) | instid1(VALU_DEP_2)
	v_pk_fma_f32 v[96:97], v[38:39], v[40:41], v[42:43] op_sel_hi:[0,1,1]
	v_pk_fma_f32 v[38:39], v[38:39], v[40:41], v[42:43] neg_lo:[0,0,1] neg_hi:[0,0,1]
	v_mov_b32_e32 v39, v97
	s_delay_alu instid0(VALU_DEP_1)
	v_pk_add_f32 v[40:41], v[38:39], 0 neg_lo:[1,1] neg_hi:[1,1]
	ds_store_b64 v57, v[40:41]
.LBB53_663:                             ;   in Loop: Header=BB53_3 Depth=1
	s_or_b32 exec_lo, exec_lo, s52
	s_wait_dscnt 0x0
	s_barrier_signal -1
	s_barrier_wait -1
	s_and_saveexec_b32 s52, s42
	s_cbranch_execz .LBB53_665
; %bb.664:                              ;   in Loop: Header=BB53_3 Depth=1
	ds_load_b64 v[40:41], v58 offset:10880
	ds_load_b64 v[42:43], v57
	s_wait_dscnt 0x0
	v_pk_mul_f32 v[96:97], v[42:43], v[40:41] op_sel:[1,1] op_sel_hi:[0,1]
	s_delay_alu instid0(VALU_DEP_1) | instskip(SKIP_1) | instid1(VALU_DEP_2)
	v_pk_fma_f32 v[98:99], v[42:43], v[40:41], v[96:97] op_sel_hi:[1,0,1]
	v_pk_fma_f32 v[40:41], v[42:43], v[40:41], v[96:97] neg_lo:[0,0,1] neg_hi:[0,0,1]
	v_mov_b32_e32 v41, v99
	s_delay_alu instid0(VALU_DEP_1)
	v_pk_add_f32 v[38:39], v[38:39], v[40:41] neg_lo:[0,1] neg_hi:[0,1]
.LBB53_665:                             ;   in Loop: Header=BB53_3 Depth=1
	s_or_b32 exec_lo, exec_lo, s52
	s_barrier_signal -1
	s_barrier_wait -1
	s_and_saveexec_b32 s52, s43
	s_cbranch_execz .LBB53_667
; %bb.666:                              ;   in Loop: Header=BB53_3 Depth=1
	ds_load_b64 v[40:41], v1 offset:10400
	s_wait_dscnt 0x0
	v_pk_mul_f32 v[42:43], v[38:39], v[40:41]
	v_pk_mul_f32 v[38:39], v[38:39], v[40:41] op_sel:[1,0] op_sel_hi:[0,1]
	s_delay_alu instid0(VALU_DEP_1) | instskip(NEXT) | instid1(VALU_DEP_3)
	v_dual_mov_b32 v40, v42 :: v_dual_mov_b32 v41, v38
	v_mov_b32_e32 v38, v43
	s_delay_alu instid0(VALU_DEP_1) | instskip(SKIP_1) | instid1(VALU_DEP_2)
	v_pk_add_f32 v[42:43], v[40:41], v[38:39]
	v_pk_add_f32 v[38:39], v[40:41], v[38:39] neg_lo:[0,1] neg_hi:[0,1]
	v_mov_b32_e32 v39, v43
	s_delay_alu instid0(VALU_DEP_1)
	v_pk_add_f32 v[40:41], v[38:39], 0 neg_lo:[1,1] neg_hi:[1,1]
	ds_store_b64 v57, v[40:41]
.LBB53_667:                             ;   in Loop: Header=BB53_3 Depth=1
	s_or_b32 exec_lo, exec_lo, s52
	s_wait_dscnt 0x0
	s_barrier_signal -1
	s_barrier_wait -1
	s_and_saveexec_b32 s52, s44
	s_cbranch_execz .LBB53_669
; %bb.668:                              ;   in Loop: Header=BB53_3 Depth=1
	ds_load_b64 v[40:41], v58 offset:10368
	ds_load_b64 v[42:43], v57
	s_wait_dscnt 0x0
	v_dual_mul_f32 v0, v43, v41 :: v_dual_mul_f32 v41, v42, v41
	s_delay_alu instid0(VALU_DEP_1) | instskip(NEXT) | instid1(VALU_DEP_1)
	v_dual_fma_f32 v0, v42, v40, -v0 :: v_dual_fmac_f32 v41, v43, v40
	v_dual_sub_f32 v38, v38, v0 :: v_dual_sub_f32 v39, v39, v41
.LBB53_669:                             ;   in Loop: Header=BB53_3 Depth=1
	s_or_b32 exec_lo, exec_lo, s52
	s_barrier_signal -1
	s_barrier_wait -1
	s_and_saveexec_b32 s52, s45
	s_cbranch_execz .LBB53_671
; %bb.670:                              ;   in Loop: Header=BB53_3 Depth=1
	ds_load_b64 v[40:41], v1 offset:9880
	s_wait_dscnt 0x0
	v_dual_mul_f32 v0, v39, v40 :: v_dual_mul_f32 v42, v39, v41
	s_delay_alu instid0(VALU_DEP_1) | instskip(NEXT) | instid1(VALU_DEP_2)
	v_pk_fma_f32 v[96:97], v[38:39], v[40:41], v[0:1] op_sel:[1,0,0] op_sel_hi:[0,1,0]
	v_pk_fma_f32 v[38:39], v[38:39], v[40:41], v[42:43] op_sel_hi:[1,1,0] neg_lo:[0,0,1] neg_hi:[0,0,1]
	s_delay_alu instid0(VALU_DEP_2) | instskip(NEXT) | instid1(VALU_DEP_1)
	v_mov_b32_e32 v39, v97
	v_pk_add_f32 v[40:41], v[38:39], 0 neg_lo:[1,1] neg_hi:[1,1]
	ds_store_b64 v57, v[40:41]
.LBB53_671:                             ;   in Loop: Header=BB53_3 Depth=1
	s_or_b32 exec_lo, exec_lo, s52
	s_wait_dscnt 0x0
	s_barrier_signal -1
	s_barrier_wait -1
	s_and_saveexec_b32 s52, s46
	s_cbranch_execz .LBB53_673
; %bb.672:                              ;   in Loop: Header=BB53_3 Depth=1
	ds_load_b64 v[40:41], v58 offset:9856
	ds_load_b64 v[42:43], v57
	s_wait_dscnt 0x0
	v_pk_mul_f32 v[96:97], v[42:43], v[40:41] op_sel:[1,1] op_sel_hi:[0,1]
	s_delay_alu instid0(VALU_DEP_1) | instskip(SKIP_1) | instid1(VALU_DEP_2)
	v_pk_fma_f32 v[98:99], v[42:43], v[40:41], v[96:97] op_sel_hi:[1,0,1]
	v_pk_fma_f32 v[40:41], v[42:43], v[40:41], v[96:97] neg_lo:[0,0,1] neg_hi:[0,0,1]
	v_mov_b32_e32 v41, v99
	s_delay_alu instid0(VALU_DEP_1)
	v_pk_add_f32 v[38:39], v[38:39], v[40:41] neg_lo:[0,1] neg_hi:[0,1]
.LBB53_673:                             ;   in Loop: Header=BB53_3 Depth=1
	s_or_b32 exec_lo, exec_lo, s52
	s_barrier_signal -1
	s_barrier_wait -1
	s_and_saveexec_b32 s52, s47
	s_cbranch_execz .LBB53_675
; %bb.674:                              ;   in Loop: Header=BB53_3 Depth=1
	ds_load_b64 v[40:41], v1 offset:9360
	s_wait_dscnt 0x0
	v_pk_mul_f32 v[42:43], v[38:39], v[40:41] op_sel:[1,1] op_sel_hi:[1,0]
	s_delay_alu instid0(VALU_DEP_1) | instskip(SKIP_1) | instid1(VALU_DEP_2)
	v_pk_fma_f32 v[96:97], v[38:39], v[40:41], v[42:43] op_sel_hi:[0,1,1]
	v_pk_fma_f32 v[38:39], v[38:39], v[40:41], v[42:43] neg_lo:[0,0,1] neg_hi:[0,0,1]
	v_mov_b32_e32 v39, v97
	s_delay_alu instid0(VALU_DEP_1)
	v_pk_add_f32 v[40:41], v[38:39], 0 neg_lo:[1,1] neg_hi:[1,1]
	ds_store_b64 v57, v[40:41]
.LBB53_675:                             ;   in Loop: Header=BB53_3 Depth=1
	s_or_b32 exec_lo, exec_lo, s52
	s_wait_dscnt 0x0
	s_barrier_signal -1
	s_barrier_wait -1
	s_and_saveexec_b32 s52, s48
	s_cbranch_execz .LBB53_677
; %bb.676:                              ;   in Loop: Header=BB53_3 Depth=1
	ds_load_b64 v[40:41], v58 offset:9344
	ds_load_b64 v[42:43], v57
	s_wait_dscnt 0x0
	v_pk_mul_f32 v[96:97], v[42:43], v[40:41] op_sel:[1,1] op_sel_hi:[0,1]
	s_delay_alu instid0(VALU_DEP_1) | instskip(SKIP_1) | instid1(VALU_DEP_2)
	v_pk_fma_f32 v[98:99], v[42:43], v[40:41], v[96:97] op_sel_hi:[1,0,1]
	v_pk_fma_f32 v[40:41], v[42:43], v[40:41], v[96:97] neg_lo:[0,0,1] neg_hi:[0,0,1]
	v_mov_b32_e32 v41, v99
	s_delay_alu instid0(VALU_DEP_1)
	v_pk_add_f32 v[38:39], v[38:39], v[40:41] neg_lo:[0,1] neg_hi:[0,1]
.LBB53_677:                             ;   in Loop: Header=BB53_3 Depth=1
	s_or_b32 exec_lo, exec_lo, s52
	s_barrier_signal -1
	s_barrier_wait -1
	s_and_saveexec_b32 s52, s49
	s_cbranch_execz .LBB53_679
; %bb.678:                              ;   in Loop: Header=BB53_3 Depth=1
	ds_load_b64 v[40:41], v1 offset:8840
	s_wait_dscnt 0x0
	v_pk_mul_f32 v[42:43], v[38:39], v[40:41] op_sel:[1,1] op_sel_hi:[1,0]
	s_delay_alu instid0(VALU_DEP_1) | instskip(SKIP_1) | instid1(VALU_DEP_2)
	v_pk_fma_f32 v[96:97], v[38:39], v[40:41], v[42:43] op_sel_hi:[0,1,1]
	v_pk_fma_f32 v[38:39], v[38:39], v[40:41], v[42:43] neg_lo:[0,0,1] neg_hi:[0,0,1]
	v_mov_b32_e32 v39, v97
	s_delay_alu instid0(VALU_DEP_1)
	v_pk_add_f32 v[40:41], v[38:39], 0 neg_lo:[1,1] neg_hi:[1,1]
	ds_store_b64 v57, v[40:41]
.LBB53_679:                             ;   in Loop: Header=BB53_3 Depth=1
	;; [unrolled: 35-line block ×3, first 2 shown]
	s_or_b32 exec_lo, exec_lo, s52
	s_wait_dscnt 0x0
	s_barrier_signal -1
	s_barrier_wait -1
	s_barrier_signal -1
	s_barrier_wait -1
	s_and_saveexec_b32 s52, s3
; %bb.684:                              ;   in Loop: Header=BB53_3 Depth=1
	ds_store_b64 v60, v[38:39] offset:16000
; %bb.685:                              ;   in Loop: Header=BB53_3 Depth=1
	s_or_b32 exec_lo, exec_lo, s52
	s_wait_dscnt 0x0
	s_barrier_signal -1
	s_barrier_wait -1
	s_barrier_signal -1
	s_barrier_wait -1
	s_and_saveexec_b32 s52, s51
	s_cbranch_execz .LBB53_687
; %bb.686:                              ;   in Loop: Header=BB53_3 Depth=1
	ds_load_b64 v[38:39], v74 offset:12416
	s_wait_dscnt 0x0
	ds_store_b64 v75, v[38:39] offset:8384
	ds_load_b64 v[38:39], v74 offset:12424
	s_wait_dscnt 0x0
	ds_store_b64 v75, v[38:39] offset:8896
	;; [unrolled: 3-line block ×8, first 2 shown]
.LBB53_687:                             ;   in Loop: Header=BB53_3 Depth=1
	s_or_b32 exec_lo, exec_lo, s52
	s_wait_dscnt 0x0
	s_barrier_signal -1
	s_barrier_wait -1
	s_and_saveexec_b32 s52, s14
	s_cbranch_execz .LBB53_689
; %bb.688:                              ;   in Loop: Header=BB53_3 Depth=1
	v_add_nc_u32_e64 v0, 0xb0, 0
	ds_load_b64 v[42:43], v1 offset:11960
	ds_load_2addr_stride64_b64 v[38:41], v0 offset0:22 offset1:23
	s_wait_dscnt 0x0
	v_dual_mul_f32 v95, v43, v39 :: v_dual_mul_f32 v0, v42, v39
	s_delay_alu instid0(VALU_DEP_1) | instskip(NEXT) | instid1(VALU_DEP_2)
	v_xor_b32_e32 v96, 0x80000000, v95
	v_fmac_f32_e32 v0, v43, v38
	s_delay_alu instid0(VALU_DEP_2) | instskip(NEXT) | instid1(VALU_DEP_2)
	v_fmac_f32_e32 v96, v42, v38
	v_pk_mul_f32 v[38:39], v[0:1], v[40:41] op_sel:[0,1] op_sel_hi:[0,0]
	v_add_nc_u32_e64 v0, 0x2800, 0
	s_delay_alu instid0(VALU_DEP_2) | instskip(SKIP_1) | instid1(VALU_DEP_2)
	v_pk_fma_f32 v[42:43], v[96:97], v[40:41], v[38:39] op_sel_hi:[0,1,1]
	v_pk_fma_f32 v[38:39], v[96:97], v[40:41], v[38:39] neg_lo:[0,0,1] neg_hi:[0,0,1]
	v_mov_b32_e32 v39, v43
	ds_store_2addr_b64 v0, v[38:39], v[38:39] offset0:151 offset1:214
.LBB53_689:                             ;   in Loop: Header=BB53_3 Depth=1
	s_or_b32 exec_lo, exec_lo, s52
	v_dual_mov_b32 v38, 0 :: v_dual_mov_b32 v39, 0
	s_wait_dscnt 0x0
	s_barrier_signal -1
	s_barrier_wait -1
	global_wb scope:SCOPE_DEV
	s_wait_storecnt 0x0
	global_inv scope:SCOPE_DEV
	s_and_saveexec_b32 s66, s0
	s_cbranch_execz .LBB53_693
; %bb.690:                              ;   in Loop: Header=BB53_3 Depth=1
	ds_load_b64 v[38:39], v46 offset:11424
	ds_load_b64 v[40:41], v47 offset:11952
	s_wait_dscnt 0x0
	v_pk_mul_f32 v[42:43], v[40:41], v[38:39] op_sel:[1,1] op_sel_hi:[0,1]
	s_delay_alu instid0(VALU_DEP_1) | instskip(SKIP_1) | instid1(VALU_DEP_2)
	v_pk_fma_f32 v[96:97], v[40:41], v[38:39], v[42:43] op_sel_hi:[1,0,1]
	v_pk_fma_f32 v[38:39], v[40:41], v[38:39], v[42:43] neg_lo:[0,0,1] neg_hi:[0,0,1]
	v_mov_b32_e32 v39, v97
	s_delay_alu instid0(VALU_DEP_1)
	v_pk_add_f32 v[38:39], v[38:39], 0 op_sel_hi:[1,0]
	s_and_saveexec_b32 s52, s15
	s_cbranch_execz .LBB53_692
; %bb.691:                              ;   in Loop: Header=BB53_3 Depth=1
	ds_load_b64 v[40:41], v75 offset:11936
	ds_load_b64 v[42:43], v1 offset:11960
	s_wait_dscnt 0x0
	v_pk_mul_f32 v[96:97], v[42:43], v[40:41] op_sel:[1,1] op_sel_hi:[0,1]
	s_delay_alu instid0(VALU_DEP_1) | instskip(SKIP_1) | instid1(VALU_DEP_2)
	v_pk_fma_f32 v[98:99], v[42:43], v[40:41], v[96:97] op_sel_hi:[1,0,1]
	v_pk_fma_f32 v[40:41], v[42:43], v[40:41], v[96:97] neg_lo:[0,0,1] neg_hi:[0,0,1]
	v_mov_b32_e32 v41, v99
	s_delay_alu instid0(VALU_DEP_1)
	v_pk_add_f32 v[38:39], v[38:39], v[40:41]
.LBB53_692:                             ;   in Loop: Header=BB53_3 Depth=1
	s_or_b32 exec_lo, exec_lo, s52
.LBB53_693:                             ;   in Loop: Header=BB53_3 Depth=1
	s_delay_alu instid0(SALU_CYCLE_1)
	s_or_b32 exec_lo, exec_lo, s66
	s_and_saveexec_b32 s52, s94
	s_cbranch_execz .LBB53_695
; %bb.694:                              ;   in Loop: Header=BB53_3 Depth=1
	ds_load_b64 v[40:41], v1 offset:10920
	s_wait_dscnt 0x0
	v_pk_mul_f32 v[42:43], v[38:39], v[40:41] op_sel:[1,1] op_sel_hi:[1,0]
	s_delay_alu instid0(VALU_DEP_1) | instskip(SKIP_1) | instid1(VALU_DEP_2)
	v_pk_fma_f32 v[96:97], v[38:39], v[40:41], v[42:43] op_sel_hi:[0,1,1]
	v_pk_fma_f32 v[38:39], v[38:39], v[40:41], v[42:43] neg_lo:[0,0,1] neg_hi:[0,0,1]
	v_mov_b32_e32 v39, v97
	s_delay_alu instid0(VALU_DEP_1)
	v_pk_add_f32 v[40:41], v[38:39], 0 neg_lo:[1,1] neg_hi:[1,1]
	ds_store_b64 v3, v[40:41]
.LBB53_695:                             ;   in Loop: Header=BB53_3 Depth=1
	s_or_b32 exec_lo, exec_lo, s52
	s_wait_loadcnt_dscnt 0x0
	s_barrier_signal -1
	s_barrier_wait -1
	s_and_saveexec_b32 s52, s95
	s_cbranch_execz .LBB53_697
; %bb.696:                              ;   in Loop: Header=BB53_3 Depth=1
	ds_load_b64 v[40:41], v1 offset:10912
	ds_load_b64 v[42:43], v3
	s_wait_dscnt 0x0
	v_pk_mul_f32 v[96:97], v[42:43], v[40:41] op_sel:[1,1] op_sel_hi:[0,1]
	s_delay_alu instid0(VALU_DEP_1) | instskip(SKIP_1) | instid1(VALU_DEP_2)
	v_pk_fma_f32 v[98:99], v[42:43], v[40:41], v[96:97] op_sel_hi:[1,0,1]
	v_pk_fma_f32 v[40:41], v[42:43], v[40:41], v[96:97] neg_lo:[0,0,1] neg_hi:[0,0,1]
	v_mov_b32_e32 v41, v99
	s_delay_alu instid0(VALU_DEP_1)
	v_pk_add_f32 v[38:39], v[38:39], v[40:41] neg_lo:[0,1] neg_hi:[0,1]
.LBB53_697:                             ;   in Loop: Header=BB53_3 Depth=1
	s_or_b32 exec_lo, exec_lo, s52
	s_barrier_signal -1
	s_barrier_wait -1
	s_and_saveexec_b32 s52, s95
	s_cbranch_execz .LBB53_699
; %bb.698:                              ;   in Loop: Header=BB53_3 Depth=1
	ds_load_b64 v[40:41], v1 offset:10400
	s_wait_dscnt 0x0
	v_pk_mul_f32 v[42:43], v[38:39], v[40:41] op_sel:[1,1] op_sel_hi:[1,0]
	s_delay_alu instid0(VALU_DEP_1) | instskip(SKIP_1) | instid1(VALU_DEP_2)
	v_pk_fma_f32 v[96:97], v[38:39], v[40:41], v[42:43] op_sel_hi:[0,1,1]
	v_pk_fma_f32 v[38:39], v[38:39], v[40:41], v[42:43] neg_lo:[0,0,1] neg_hi:[0,0,1]
	v_mov_b32_e32 v39, v97
	s_delay_alu instid0(VALU_DEP_1)
	v_pk_add_f32 v[40:41], v[38:39], 0 neg_lo:[1,1] neg_hi:[1,1]
	ds_store_b64 v3, v[40:41]
.LBB53_699:                             ;   in Loop: Header=BB53_3 Depth=1
	s_or_b32 exec_lo, exec_lo, s52
	s_wait_dscnt 0x0
	s_barrier_signal -1
	s_barrier_wait -1
	s_barrier_signal -1
	s_barrier_wait -1
	s_and_saveexec_b32 s52, s0
; %bb.700:                              ;   in Loop: Header=BB53_3 Depth=1
	ds_store_b64 v49, v[38:39] offset:11936
; %bb.701:                              ;   in Loop: Header=BB53_3 Depth=1
	s_or_b32 exec_lo, exec_lo, s52
	s_wait_dscnt 0x0
	s_barrier_signal -1
	s_barrier_wait -1
	s_barrier_signal -1
	s_barrier_wait -1
	s_and_saveexec_b32 s52, s96
	s_cbranch_execz .LBB53_703
; %bb.702:                              ;   in Loop: Header=BB53_3 Depth=1
	ds_load_b64 v[38:39], v76 offset:11424
	s_wait_dscnt 0x0
	ds_store_b64 v75, v[38:39] offset:10416
	ds_load_b64 v[38:39], v76 offset:11432
	s_wait_dscnt 0x0
	ds_store_b64 v75, v[38:39] offset:10928
.LBB53_703:                             ;   in Loop: Header=BB53_3 Depth=1
	s_or_b32 exec_lo, exec_lo, s52
	s_wait_dscnt 0x0
	s_barrier_signal -1
	s_barrier_wait -1
	s_and_saveexec_b32 s52, s14
	s_cbranch_execz .LBB53_705
; %bb.704:                              ;   in Loop: Header=BB53_3 Depth=1
	v_add_nc_u32_e64 v0, 0xa0, 0
	ds_load_b64 v[42:43], v1 offset:10920
	ds_load_2addr_stride64_b64 v[38:41], v0 offset0:20 offset1:21
	s_wait_dscnt 0x0
	v_dual_mul_f32 v95, v43, v39 :: v_dual_mul_f32 v0, v42, v39
	s_delay_alu instid0(VALU_DEP_1) | instskip(NEXT) | instid1(VALU_DEP_2)
	v_xor_b32_e32 v96, 0x80000000, v95
	v_fmac_f32_e32 v0, v43, v38
	s_delay_alu instid0(VALU_DEP_2) | instskip(NEXT) | instid1(VALU_DEP_2)
	v_fmac_f32_e32 v96, v42, v38
	v_pk_mul_f32 v[38:39], v[0:1], v[40:41] op_sel:[0,1] op_sel_hi:[0,0]
	v_add_nc_u32_e64 v0, 0x2800, 0
	s_delay_alu instid0(VALU_DEP_2) | instskip(SKIP_1) | instid1(VALU_DEP_2)
	v_pk_fma_f32 v[42:43], v[96:97], v[40:41], v[38:39] op_sel_hi:[0,1,1]
	v_pk_fma_f32 v[38:39], v[96:97], v[40:41], v[38:39] neg_lo:[0,0,1] neg_hi:[0,0,1]
	v_mov_b32_e32 v39, v43
	ds_store_2addr_b64 v0, v[38:39], v[38:39] offset0:21 offset1:84
.LBB53_705:                             ;   in Loop: Header=BB53_3 Depth=1
	s_or_b32 exec_lo, exec_lo, s52
	v_mov_b64_e32 v[38:39], 0
	s_wait_dscnt 0x0
	s_barrier_signal -1
	s_barrier_wait -1
	global_wb scope:SCOPE_DEV
	s_wait_storecnt 0x0
	global_inv scope:SCOPE_DEV
	s_and_saveexec_b32 s66, s2
	s_cbranch_execz .LBB53_711
; %bb.706:                              ;   in Loop: Header=BB53_3 Depth=1
	ds_load_b64 v[38:39], v52 offset:10368
	ds_load_b64 v[40:41], v53 offset:11936
	s_wait_dscnt 0x0
	v_dual_mul_f32 v0, v41, v39 :: v_dual_mul_f32 v39, v40, v39
	s_delay_alu instid0(VALU_DEP_1) | instskip(NEXT) | instid1(VALU_DEP_1)
	v_dual_fma_f32 v0, v40, v38, -v0 :: v_dual_fmac_f32 v39, v41, v38
	v_dual_add_f32 v38, 0, v0 :: v_dual_add_f32 v39, 0, v39
	s_and_saveexec_b32 s52, s16
	s_cbranch_execnz .LBB53_1144
; %bb.707:                              ;   in Loop: Header=BB53_3 Depth=1
	s_or_b32 exec_lo, exec_lo, s52
	s_and_saveexec_b32 s52, s17
	s_cbranch_execnz .LBB53_1145
.LBB53_708:                             ;   in Loop: Header=BB53_3 Depth=1
	s_or_b32 exec_lo, exec_lo, s52
	s_and_saveexec_b32 s52, s0
	s_cbranch_execz .LBB53_710
.LBB53_709:                             ;   in Loop: Header=BB53_3 Depth=1
	ds_load_b64 v[40:41], v77 offset:11904
	ds_load_b64 v[42:43], v1 offset:11960
	s_wait_dscnt 0x0
	v_dual_mul_f32 v0, v43, v41 :: v_dual_mul_f32 v41, v42, v41
	s_delay_alu instid0(VALU_DEP_1) | instskip(NEXT) | instid1(VALU_DEP_1)
	v_dual_fma_f32 v0, v42, v40, -v0 :: v_dual_fmac_f32 v41, v43, v40
	v_dual_add_f32 v38, v38, v0 :: v_dual_add_f32 v39, v39, v41
.LBB53_710:                             ;   in Loop: Header=BB53_3 Depth=1
	s_or_b32 exec_lo, exec_lo, s52
.LBB53_711:                             ;   in Loop: Header=BB53_3 Depth=1
	s_delay_alu instid0(SALU_CYCLE_1)
	s_or_b32 exec_lo, exec_lo, s66
	s_and_saveexec_b32 s52, s97
	s_cbranch_execz .LBB53_713
; %bb.712:                              ;   in Loop: Header=BB53_3 Depth=1
	ds_load_b64 v[40:41], v1 offset:9880
	s_wait_dscnt 0x0
	v_dual_mul_f32 v0, v39, v40 :: v_dual_mul_f32 v42, v39, v41
	s_delay_alu instid0(VALU_DEP_1) | instskip(NEXT) | instid1(VALU_DEP_2)
	v_pk_fma_f32 v[96:97], v[38:39], v[40:41], v[0:1] op_sel:[1,0,0] op_sel_hi:[0,1,0]
	v_pk_fma_f32 v[38:39], v[38:39], v[40:41], v[42:43] op_sel_hi:[1,1,0] neg_lo:[0,0,1] neg_hi:[0,0,1]
	s_delay_alu instid0(VALU_DEP_2) | instskip(NEXT) | instid1(VALU_DEP_1)
	v_mov_b32_e32 v39, v97
	v_pk_add_f32 v[40:41], v[38:39], 0 neg_lo:[1,1] neg_hi:[1,1]
	ds_store_b64 v51, v[40:41]
.LBB53_713:                             ;   in Loop: Header=BB53_3 Depth=1
	s_or_b32 exec_lo, exec_lo, s52
	s_wait_loadcnt_dscnt 0x0
	s_barrier_signal -1
	s_barrier_wait -1
	s_and_saveexec_b32 s52, s98
	s_cbranch_execz .LBB53_715
; %bb.714:                              ;   in Loop: Header=BB53_3 Depth=1
	ds_load_b64 v[40:41], v52 offset:9856
	ds_load_b64 v[42:43], v51
	s_wait_dscnt 0x0
	v_pk_mul_f32 v[96:97], v[42:43], v[40:41] op_sel:[1,1] op_sel_hi:[0,1]
	s_delay_alu instid0(VALU_DEP_1) | instskip(SKIP_1) | instid1(VALU_DEP_2)
	v_pk_fma_f32 v[98:99], v[42:43], v[40:41], v[96:97] op_sel_hi:[1,0,1]
	v_pk_fma_f32 v[40:41], v[42:43], v[40:41], v[96:97] neg_lo:[0,0,1] neg_hi:[0,0,1]
	v_mov_b32_e32 v41, v99
	s_delay_alu instid0(VALU_DEP_1)
	v_pk_add_f32 v[38:39], v[38:39], v[40:41] neg_lo:[0,1] neg_hi:[0,1]
.LBB53_715:                             ;   in Loop: Header=BB53_3 Depth=1
	s_or_b32 exec_lo, exec_lo, s52
	s_barrier_signal -1
	s_barrier_wait -1
	s_and_saveexec_b32 s52, s99
	s_cbranch_execz .LBB53_717
; %bb.716:                              ;   in Loop: Header=BB53_3 Depth=1
	ds_load_b64 v[40:41], v1 offset:9360
	s_wait_dscnt 0x0
	v_pk_mul_f32 v[42:43], v[38:39], v[40:41] op_sel:[1,1] op_sel_hi:[1,0]
	s_delay_alu instid0(VALU_DEP_1) | instskip(SKIP_1) | instid1(VALU_DEP_2)
	v_pk_fma_f32 v[96:97], v[38:39], v[40:41], v[42:43] op_sel_hi:[0,1,1]
	v_pk_fma_f32 v[38:39], v[38:39], v[40:41], v[42:43] neg_lo:[0,0,1] neg_hi:[0,0,1]
	v_mov_b32_e32 v39, v97
	s_delay_alu instid0(VALU_DEP_1)
	v_pk_add_f32 v[40:41], v[38:39], 0 neg_lo:[1,1] neg_hi:[1,1]
	ds_store_b64 v51, v[40:41]
.LBB53_717:                             ;   in Loop: Header=BB53_3 Depth=1
	s_or_b32 exec_lo, exec_lo, s52
	s_wait_dscnt 0x0
	s_barrier_signal -1
	s_barrier_wait -1
	s_and_saveexec_b32 s52, s100
	s_cbranch_execz .LBB53_719
; %bb.718:                              ;   in Loop: Header=BB53_3 Depth=1
	ds_load_b64 v[40:41], v52 offset:9344
	ds_load_b64 v[42:43], v51
	s_wait_dscnt 0x0
	v_pk_mul_f32 v[96:97], v[42:43], v[40:41] op_sel:[1,1] op_sel_hi:[0,1]
	s_delay_alu instid0(VALU_DEP_1) | instskip(SKIP_1) | instid1(VALU_DEP_2)
	v_pk_fma_f32 v[98:99], v[42:43], v[40:41], v[96:97] op_sel_hi:[1,0,1]
	v_pk_fma_f32 v[40:41], v[42:43], v[40:41], v[96:97] neg_lo:[0,0,1] neg_hi:[0,0,1]
	v_mov_b32_e32 v41, v99
	s_delay_alu instid0(VALU_DEP_1)
	v_pk_add_f32 v[38:39], v[38:39], v[40:41] neg_lo:[0,1] neg_hi:[0,1]
.LBB53_719:                             ;   in Loop: Header=BB53_3 Depth=1
	s_or_b32 exec_lo, exec_lo, s52
	s_barrier_signal -1
	s_barrier_wait -1
	s_and_saveexec_b32 s52, s101
	s_cbranch_execz .LBB53_721
; %bb.720:                              ;   in Loop: Header=BB53_3 Depth=1
	ds_load_b64 v[40:41], v1 offset:8840
	s_wait_dscnt 0x0
	v_pk_mul_f32 v[42:43], v[38:39], v[40:41] op_sel:[1,1] op_sel_hi:[1,0]
	s_delay_alu instid0(VALU_DEP_1) | instskip(SKIP_1) | instid1(VALU_DEP_2)
	v_pk_fma_f32 v[96:97], v[38:39], v[40:41], v[42:43] op_sel_hi:[0,1,1]
	v_pk_fma_f32 v[38:39], v[38:39], v[40:41], v[42:43] neg_lo:[0,0,1] neg_hi:[0,0,1]
	v_mov_b32_e32 v39, v97
	s_delay_alu instid0(VALU_DEP_1)
	v_pk_add_f32 v[40:41], v[38:39], 0 neg_lo:[1,1] neg_hi:[1,1]
	ds_store_b64 v51, v[40:41]
.LBB53_721:                             ;   in Loop: Header=BB53_3 Depth=1
	s_or_b32 exec_lo, exec_lo, s52
	s_wait_dscnt 0x0
	;; [unrolled: 35-line block ×3, first 2 shown]
	s_barrier_signal -1
	s_barrier_wait -1
	s_barrier_signal -1
	s_barrier_wait -1
	s_and_saveexec_b32 s52, s2
; %bb.726:                              ;   in Loop: Header=BB53_3 Depth=1
	ds_store_b64 v56, v[38:39] offset:11904
; %bb.727:                              ;   in Loop: Header=BB53_3 Depth=1
	s_or_b32 exec_lo, exec_lo, s52
	s_wait_dscnt 0x0
	s_barrier_signal -1
	s_barrier_wait -1
	s_barrier_signal -1
	s_barrier_wait -1
	s_and_saveexec_b32 s52, s103
	s_cbranch_execz .LBB53_729
; %bb.728:                              ;   in Loop: Header=BB53_3 Depth=1
	ds_load_b64 v[38:39], v80 offset:10368
	s_wait_dscnt 0x0
	ds_store_b64 v83, v[38:39] offset:8352
	ds_load_b64 v[38:39], v80 offset:10376
	s_wait_dscnt 0x0
	ds_store_b64 v83, v[38:39] offset:8864
	;; [unrolled: 3-line block ×4, first 2 shown]
.LBB53_729:                             ;   in Loop: Header=BB53_3 Depth=1
	s_or_b32 exec_lo, exec_lo, s52
	s_wait_dscnt 0x0
	s_barrier_signal -1
	s_barrier_wait -1
	s_and_saveexec_b32 s52, s14
	s_cbranch_execz .LBB53_731
; %bb.730:                              ;   in Loop: Header=BB53_3 Depth=1
	v_add_nc_u32_e64 v0, 0x90, 0
	ds_load_b64 v[42:43], v1 offset:9880
	ds_load_2addr_stride64_b64 v[38:41], v0 offset0:18 offset1:19
	s_wait_dscnt 0x0
	v_dual_mul_f32 v95, v43, v39 :: v_dual_mul_f32 v0, v42, v39
	s_delay_alu instid0(VALU_DEP_1) | instskip(NEXT) | instid1(VALU_DEP_2)
	v_xor_b32_e32 v96, 0x80000000, v95
	v_fmac_f32_e32 v0, v43, v38
	s_delay_alu instid0(VALU_DEP_2) | instskip(NEXT) | instid1(VALU_DEP_2)
	v_fmac_f32_e32 v96, v42, v38
	v_pk_mul_f32 v[38:39], v[0:1], v[40:41] op_sel:[0,1] op_sel_hi:[0,0]
	v_add_nc_u32_e64 v0, 0x2000, 0
	s_delay_alu instid0(VALU_DEP_2) | instskip(SKIP_1) | instid1(VALU_DEP_2)
	v_pk_fma_f32 v[42:43], v[96:97], v[40:41], v[38:39] op_sel_hi:[0,1,1]
	v_pk_fma_f32 v[38:39], v[96:97], v[40:41], v[38:39] neg_lo:[0,0,1] neg_hi:[0,0,1]
	v_mov_b32_e32 v39, v43
	ds_store_2addr_b64 v0, v[38:39], v[38:39] offset0:147 offset1:210
.LBB53_731:                             ;   in Loop: Header=BB53_3 Depth=1
	s_or_b32 exec_lo, exec_lo, s52
	v_dual_mov_b32 v38, 0 :: v_dual_mov_b32 v39, 0
	s_wait_dscnt 0x0
	s_barrier_signal -1
	s_barrier_wait -1
	global_wb scope:SCOPE_DEV
	s_wait_storecnt 0x0
	global_inv scope:SCOPE_DEV
	s_and_saveexec_b32 s66, s0
	s_cbranch_execz .LBB53_735
; %bb.732:                              ;   in Loop: Header=BB53_3 Depth=1
	ds_load_b64 v[38:39], v46 offset:9344
	ds_load_b64 v[40:41], v47 offset:9872
	s_wait_dscnt 0x0
	v_pk_mul_f32 v[42:43], v[40:41], v[38:39] op_sel:[1,1] op_sel_hi:[0,1]
	s_delay_alu instid0(VALU_DEP_1) | instskip(SKIP_1) | instid1(VALU_DEP_2)
	v_pk_fma_f32 v[96:97], v[40:41], v[38:39], v[42:43] op_sel_hi:[1,0,1]
	v_pk_fma_f32 v[38:39], v[40:41], v[38:39], v[42:43] neg_lo:[0,0,1] neg_hi:[0,0,1]
	v_mov_b32_e32 v39, v97
	s_delay_alu instid0(VALU_DEP_1)
	v_pk_add_f32 v[38:39], v[38:39], 0 op_sel_hi:[1,0]
	s_and_saveexec_b32 s52, s15
	s_cbranch_execz .LBB53_734
; %bb.733:                              ;   in Loop: Header=BB53_3 Depth=1
	ds_load_b64 v[40:41], v83 offset:9856
	ds_load_b64 v[42:43], v1 offset:9880
	s_wait_dscnt 0x0
	v_pk_mul_f32 v[96:97], v[42:43], v[40:41] op_sel:[1,1] op_sel_hi:[0,1]
	s_delay_alu instid0(VALU_DEP_1) | instskip(SKIP_1) | instid1(VALU_DEP_2)
	v_pk_fma_f32 v[98:99], v[42:43], v[40:41], v[96:97] op_sel_hi:[1,0,1]
	v_pk_fma_f32 v[40:41], v[42:43], v[40:41], v[96:97] neg_lo:[0,0,1] neg_hi:[0,0,1]
	v_mov_b32_e32 v41, v99
	s_delay_alu instid0(VALU_DEP_1)
	v_pk_add_f32 v[38:39], v[38:39], v[40:41]
.LBB53_734:                             ;   in Loop: Header=BB53_3 Depth=1
	s_or_b32 exec_lo, exec_lo, s52
.LBB53_735:                             ;   in Loop: Header=BB53_3 Depth=1
	s_delay_alu instid0(SALU_CYCLE_1)
	s_or_b32 exec_lo, exec_lo, s66
	s_and_saveexec_b32 s52, s94
	s_cbranch_execz .LBB53_737
; %bb.736:                              ;   in Loop: Header=BB53_3 Depth=1
	ds_load_b64 v[40:41], v1 offset:8840
	s_wait_dscnt 0x0
	v_pk_mul_f32 v[42:43], v[38:39], v[40:41] op_sel:[1,1] op_sel_hi:[1,0]
	s_delay_alu instid0(VALU_DEP_1) | instskip(SKIP_1) | instid1(VALU_DEP_2)
	v_pk_fma_f32 v[96:97], v[38:39], v[40:41], v[42:43] op_sel_hi:[0,1,1]
	v_pk_fma_f32 v[38:39], v[38:39], v[40:41], v[42:43] neg_lo:[0,0,1] neg_hi:[0,0,1]
	v_mov_b32_e32 v39, v97
	s_delay_alu instid0(VALU_DEP_1)
	v_pk_add_f32 v[40:41], v[38:39], 0 neg_lo:[1,1] neg_hi:[1,1]
	ds_store_b64 v3, v[40:41]
.LBB53_737:                             ;   in Loop: Header=BB53_3 Depth=1
	s_or_b32 exec_lo, exec_lo, s52
	s_wait_loadcnt_dscnt 0x0
	s_barrier_signal -1
	s_barrier_wait -1
	s_and_saveexec_b32 s52, s95
	s_cbranch_execz .LBB53_739
; %bb.738:                              ;   in Loop: Header=BB53_3 Depth=1
	ds_load_b64 v[40:41], v1 offset:8832
	ds_load_b64 v[42:43], v3
	s_wait_dscnt 0x0
	v_pk_mul_f32 v[96:97], v[42:43], v[40:41] op_sel:[1,1] op_sel_hi:[0,1]
	s_delay_alu instid0(VALU_DEP_1) | instskip(SKIP_1) | instid1(VALU_DEP_2)
	v_pk_fma_f32 v[98:99], v[42:43], v[40:41], v[96:97] op_sel_hi:[1,0,1]
	v_pk_fma_f32 v[40:41], v[42:43], v[40:41], v[96:97] neg_lo:[0,0,1] neg_hi:[0,0,1]
	v_mov_b32_e32 v41, v99
	s_delay_alu instid0(VALU_DEP_1)
	v_pk_add_f32 v[38:39], v[38:39], v[40:41] neg_lo:[0,1] neg_hi:[0,1]
.LBB53_739:                             ;   in Loop: Header=BB53_3 Depth=1
	s_or_b32 exec_lo, exec_lo, s52
	s_barrier_signal -1
	s_barrier_wait -1
	s_and_saveexec_b32 s52, s95
	s_cbranch_execz .LBB53_741
; %bb.740:                              ;   in Loop: Header=BB53_3 Depth=1
	ds_load_b64 v[40:41], v1 offset:8320
	s_wait_dscnt 0x0
	v_pk_mul_f32 v[42:43], v[38:39], v[40:41] op_sel:[1,1] op_sel_hi:[1,0]
	s_delay_alu instid0(VALU_DEP_1) | instskip(SKIP_1) | instid1(VALU_DEP_2)
	v_pk_fma_f32 v[96:97], v[38:39], v[40:41], v[42:43] op_sel_hi:[0,1,1]
	v_pk_fma_f32 v[38:39], v[38:39], v[40:41], v[42:43] neg_lo:[0,0,1] neg_hi:[0,0,1]
	v_mov_b32_e32 v39, v97
	s_delay_alu instid0(VALU_DEP_1)
	v_pk_add_f32 v[40:41], v[38:39], 0 neg_lo:[1,1] neg_hi:[1,1]
	ds_store_b64 v3, v[40:41]
.LBB53_741:                             ;   in Loop: Header=BB53_3 Depth=1
	s_or_b32 exec_lo, exec_lo, s52
	s_wait_dscnt 0x0
	s_barrier_signal -1
	s_barrier_wait -1
	s_barrier_signal -1
	s_barrier_wait -1
	s_and_saveexec_b32 s52, s0
; %bb.742:                              ;   in Loop: Header=BB53_3 Depth=1
	ds_store_b64 v49, v[38:39] offset:9856
; %bb.743:                              ;   in Loop: Header=BB53_3 Depth=1
	s_or_b32 exec_lo, exec_lo, s52
	s_wait_dscnt 0x0
	s_barrier_signal -1
	s_barrier_wait -1
	s_barrier_signal -1
	s_barrier_wait -1
	s_and_saveexec_b32 s52, s96
	s_cbranch_execz .LBB53_745
; %bb.744:                              ;   in Loop: Header=BB53_3 Depth=1
	ds_load_b64 v[38:39], v84 offset:9344
	s_wait_dscnt 0x0
	ds_store_b64 v83, v[38:39] offset:8336
	ds_load_b64 v[38:39], v84 offset:9352
	s_wait_dscnt 0x0
	ds_store_b64 v83, v[38:39] offset:8848
.LBB53_745:                             ;   in Loop: Header=BB53_3 Depth=1
	s_or_b32 exec_lo, exec_lo, s52
	s_wait_dscnt 0x0
	s_barrier_signal -1
	s_barrier_wait -1
	s_and_saveexec_b32 s52, s14
	s_cbranch_execz .LBB53_747
; %bb.746:                              ;   in Loop: Header=BB53_3 Depth=1
	v_add_nc_u32_e64 v0, 0x80, 0
	ds_load_b64 v[42:43], v1 offset:8840
	ds_load_2addr_stride64_b64 v[38:41], v0 offset0:16 offset1:17
	s_wait_dscnt 0x0
	v_dual_mul_f32 v95, v43, v39 :: v_dual_mul_f32 v0, v42, v39
	s_delay_alu instid0(VALU_DEP_1) | instskip(NEXT) | instid1(VALU_DEP_2)
	v_xor_b32_e32 v96, 0x80000000, v95
	v_fmac_f32_e32 v0, v43, v38
	s_delay_alu instid0(VALU_DEP_2) | instskip(NEXT) | instid1(VALU_DEP_2)
	v_fmac_f32_e32 v96, v42, v38
	v_pk_mul_f32 v[38:39], v[0:1], v[40:41] op_sel:[0,1] op_sel_hi:[0,0]
	v_add_nc_u32_e64 v0, 0x2000, 0
	s_delay_alu instid0(VALU_DEP_2) | instskip(SKIP_1) | instid1(VALU_DEP_2)
	v_pk_fma_f32 v[42:43], v[96:97], v[40:41], v[38:39] op_sel_hi:[0,1,1]
	v_pk_fma_f32 v[38:39], v[96:97], v[40:41], v[38:39] neg_lo:[0,0,1] neg_hi:[0,0,1]
	v_mov_b32_e32 v39, v43
	ds_store_2addr_b64 v0, v[38:39], v[38:39] offset0:17 offset1:80
.LBB53_747:                             ;   in Loop: Header=BB53_3 Depth=1
	s_or_b32 exec_lo, exec_lo, s52
	v_mov_b64_e32 v[38:39], 0
	s_wait_dscnt 0x0
	s_barrier_signal -1
	s_barrier_wait -1
	global_wb scope:SCOPE_DEV
	s_wait_storecnt 0x0
	global_inv scope:SCOPE_DEV
	s_and_saveexec_b32 s66, s4
	s_cbranch_execz .LBB53_775
; %bb.748:                              ;   in Loop: Header=BB53_3 Depth=1
	ds_load_b64 v[38:39], v62 offset:8192
	ds_load_b64 v[40:41], v63 offset:16000
	v_readlane_b32 s53, v105, 25
	s_wait_dscnt 0x0
	v_dual_mul_f32 v0, v41, v39 :: v_dual_mul_f32 v39, v40, v39
	s_delay_alu instid0(VALU_DEP_1) | instskip(NEXT) | instid1(VALU_DEP_1)
	v_dual_fma_f32 v0, v40, v38, -v0 :: v_dual_fmac_f32 v39, v41, v38
	v_dual_add_f32 v38, 0, v0 :: v_dual_add_f32 v39, 0, v39
	s_and_saveexec_b32 s52, s53
	s_cbranch_execz .LBB53_750
; %bb.749:                              ;   in Loop: Header=BB53_3 Depth=1
	ds_load_b64 v[40:41], v62 offset:8704
	ds_load_b64 v[42:43], v63 offset:16008
	s_wait_dscnt 0x0
	v_dual_mul_f32 v0, v43, v41 :: v_dual_mul_f32 v41, v42, v41
	s_delay_alu instid0(VALU_DEP_1) | instskip(NEXT) | instid1(VALU_DEP_1)
	v_dual_fma_f32 v0, v42, v40, -v0 :: v_dual_fmac_f32 v41, v43, v40
	v_dual_add_f32 v38, v38, v0 :: v_dual_add_f32 v39, v39, v41
.LBB53_750:                             ;   in Loop: Header=BB53_3 Depth=1
	s_or_b32 exec_lo, exec_lo, s52
	v_readlane_b32 s53, v105, 26
	s_and_saveexec_b32 s52, s53
	s_cbranch_execz .LBB53_752
; %bb.751:                              ;   in Loop: Header=BB53_3 Depth=1
	ds_load_b64 v[40:41], v62 offset:9216
	ds_load_b64 v[42:43], v63 offset:16016
	s_wait_dscnt 0x0
	v_dual_mul_f32 v0, v43, v41 :: v_dual_mul_f32 v41, v42, v41
	s_delay_alu instid0(VALU_DEP_1) | instskip(NEXT) | instid1(VALU_DEP_1)
	v_dual_fma_f32 v0, v42, v40, -v0 :: v_dual_fmac_f32 v41, v43, v40
	v_dual_add_f32 v38, v38, v0 :: v_dual_add_f32 v39, v39, v41
.LBB53_752:                             ;   in Loop: Header=BB53_3 Depth=1
	s_or_b32 exec_lo, exec_lo, s52
	v_readlane_b32 s53, v105, 27
	;; [unrolled: 13-line block ×10, first 2 shown]
	s_and_saveexec_b32 s52, s53
	s_cbranch_execnz .LBB53_1146
; %bb.769:                              ;   in Loop: Header=BB53_3 Depth=1
	s_or_b32 exec_lo, exec_lo, s52
	s_and_saveexec_b32 s52, s3
	s_cbranch_execnz .LBB53_1147
.LBB53_770:                             ;   in Loop: Header=BB53_3 Depth=1
	s_or_b32 exec_lo, exec_lo, s52
	s_and_saveexec_b32 s52, s19
	s_cbranch_execnz .LBB53_1148
.LBB53_771:                             ;   in Loop: Header=BB53_3 Depth=1
	s_or_b32 exec_lo, exec_lo, s52
	s_and_saveexec_b32 s52, s21
	s_cbranch_execnz .LBB53_1149
.LBB53_772:                             ;   in Loop: Header=BB53_3 Depth=1
	s_or_b32 exec_lo, exec_lo, s52
	s_and_saveexec_b32 s52, s2
	s_cbranch_execz .LBB53_774
.LBB53_773:                             ;   in Loop: Header=BB53_3 Depth=1
	ds_load_b64 v[40:41], v48 offset:15872
	ds_load_b64 v[42:43], v1 offset:16120
	s_wait_dscnt 0x0
	v_dual_mul_f32 v0, v43, v41 :: v_dual_mul_f32 v97, v42, v41
	s_delay_alu instid0(VALU_DEP_1) | instskip(NEXT) | instid1(VALU_DEP_1)
	v_dual_fma_f32 v96, v42, v40, -v0 :: v_dual_fmac_f32 v97, v43, v40
	v_pk_add_f32 v[38:39], v[38:39], v[96:97]
.LBB53_774:                             ;   in Loop: Header=BB53_3 Depth=1
	s_or_b32 exec_lo, exec_lo, s52
.LBB53_775:                             ;   in Loop: Header=BB53_3 Depth=1
	s_delay_alu instid0(SALU_CYCLE_1)
	s_or_b32 exec_lo, exec_lo, s66
	v_readlane_b32 s53, v105, 5
	s_and_saveexec_b32 s52, s53
	s_cbranch_execz .LBB53_777
; %bb.776:                              ;   in Loop: Header=BB53_3 Depth=1
	ds_load_b64 v[40:41], v1 offset:7800
	s_wait_dscnt 0x0
	v_pk_mul_f32 v[42:43], v[38:39], v[40:41] op_sel:[1,1] op_sel_hi:[1,0]
	s_delay_alu instid0(VALU_DEP_1) | instskip(SKIP_1) | instid1(VALU_DEP_2)
	v_pk_fma_f32 v[96:97], v[38:39], v[40:41], v[42:43] op_sel_hi:[0,1,1]
	v_pk_fma_f32 v[38:39], v[38:39], v[40:41], v[42:43] neg_lo:[0,0,1] neg_hi:[0,0,1]
	v_mov_b32_e32 v39, v97
	s_delay_alu instid0(VALU_DEP_1)
	v_pk_add_f32 v[40:41], v[38:39], 0 neg_lo:[1,1] neg_hi:[1,1]
	ds_store_b64 v61, v[40:41]
.LBB53_777:                             ;   in Loop: Header=BB53_3 Depth=1
	s_or_b32 exec_lo, exec_lo, s52
	v_readlane_b32 s53, v105, 6
	s_wait_loadcnt_dscnt 0x0
	s_barrier_signal -1
	s_barrier_wait -1
	s_and_saveexec_b32 s52, s53
	s_cbranch_execz .LBB53_779
; %bb.778:                              ;   in Loop: Header=BB53_3 Depth=1
	ds_load_b64 v[40:41], v62 offset:7680
	ds_load_b64 v[42:43], v61
	s_wait_dscnt 0x0
	v_pk_mul_f32 v[96:97], v[42:43], v[40:41] op_sel:[1,1] op_sel_hi:[0,1]
	s_delay_alu instid0(VALU_DEP_1) | instskip(SKIP_1) | instid1(VALU_DEP_2)
	v_pk_fma_f32 v[98:99], v[42:43], v[40:41], v[96:97] op_sel_hi:[1,0,1]
	v_pk_fma_f32 v[40:41], v[42:43], v[40:41], v[96:97] neg_lo:[0,0,1] neg_hi:[0,0,1]
	v_mov_b32_e32 v41, v99
	s_delay_alu instid0(VALU_DEP_1)
	v_pk_add_f32 v[38:39], v[38:39], v[40:41] neg_lo:[0,1] neg_hi:[0,1]
.LBB53_779:                             ;   in Loop: Header=BB53_3 Depth=1
	s_or_b32 exec_lo, exec_lo, s52
	v_readlane_b32 s53, v105, 7
	s_barrier_signal -1
	s_barrier_wait -1
	s_and_saveexec_b32 s52, s53
	s_cbranch_execz .LBB53_781
; %bb.780:                              ;   in Loop: Header=BB53_3 Depth=1
	ds_load_b64 v[40:41], v1 offset:7280
	s_wait_dscnt 0x0
	v_pk_mul_f32 v[42:43], v[38:39], v[40:41] op_sel:[1,1] op_sel_hi:[1,0]
	s_delay_alu instid0(VALU_DEP_1) | instskip(SKIP_1) | instid1(VALU_DEP_2)
	v_pk_fma_f32 v[96:97], v[38:39], v[40:41], v[42:43] op_sel_hi:[0,1,1]
	v_pk_fma_f32 v[38:39], v[38:39], v[40:41], v[42:43] neg_lo:[0,0,1] neg_hi:[0,0,1]
	v_mov_b32_e32 v39, v97
	s_delay_alu instid0(VALU_DEP_1)
	v_pk_add_f32 v[40:41], v[38:39], 0 neg_lo:[1,1] neg_hi:[1,1]
	ds_store_b64 v61, v[40:41]
.LBB53_781:                             ;   in Loop: Header=BB53_3 Depth=1
	s_or_b32 exec_lo, exec_lo, s52
	s_wait_dscnt 0x0
	s_barrier_signal -1
	s_barrier_wait -1
	s_and_saveexec_b32 s52, s55
	s_cbranch_execz .LBB53_783
; %bb.782:                              ;   in Loop: Header=BB53_3 Depth=1
	ds_load_b64 v[40:41], v62 offset:7168
	ds_load_b64 v[42:43], v61
	s_wait_dscnt 0x0
	v_pk_mul_f32 v[96:97], v[42:43], v[40:41] op_sel:[1,1] op_sel_hi:[0,1]
	s_delay_alu instid0(VALU_DEP_1) | instskip(SKIP_1) | instid1(VALU_DEP_2)
	v_pk_fma_f32 v[98:99], v[42:43], v[40:41], v[96:97] op_sel_hi:[1,0,1]
	v_pk_fma_f32 v[40:41], v[42:43], v[40:41], v[96:97] neg_lo:[0,0,1] neg_hi:[0,0,1]
	v_mov_b32_e32 v41, v99
	s_delay_alu instid0(VALU_DEP_1)
	v_pk_add_f32 v[38:39], v[38:39], v[40:41] neg_lo:[0,1] neg_hi:[0,1]
.LBB53_783:                             ;   in Loop: Header=BB53_3 Depth=1
	s_or_b32 exec_lo, exec_lo, s52
	s_barrier_signal -1
	s_barrier_wait -1
	s_and_saveexec_b32 s52, s56
	s_cbranch_execz .LBB53_785
; %bb.784:                              ;   in Loop: Header=BB53_3 Depth=1
	ds_load_b64 v[40:41], v1 offset:6760
	s_wait_dscnt 0x0
	v_pk_mul_f32 v[42:43], v[38:39], v[40:41] op_sel:[1,1] op_sel_hi:[1,0]
	s_delay_alu instid0(VALU_DEP_1) | instskip(SKIP_1) | instid1(VALU_DEP_2)
	v_pk_fma_f32 v[96:97], v[38:39], v[40:41], v[42:43] op_sel_hi:[0,1,1]
	v_pk_fma_f32 v[38:39], v[38:39], v[40:41], v[42:43] neg_lo:[0,0,1] neg_hi:[0,0,1]
	v_mov_b32_e32 v39, v97
	s_delay_alu instid0(VALU_DEP_1)
	v_pk_add_f32 v[40:41], v[38:39], 0 neg_lo:[1,1] neg_hi:[1,1]
	ds_store_b64 v61, v[40:41]
.LBB53_785:                             ;   in Loop: Header=BB53_3 Depth=1
	s_or_b32 exec_lo, exec_lo, s52
	s_wait_dscnt 0x0
	s_barrier_signal -1
	s_barrier_wait -1
	s_and_saveexec_b32 s52, s57
	s_cbranch_execz .LBB53_787
; %bb.786:                              ;   in Loop: Header=BB53_3 Depth=1
	ds_load_b64 v[40:41], v62 offset:6656
	ds_load_b64 v[42:43], v61
	s_wait_dscnt 0x0
	v_pk_mul_f32 v[96:97], v[42:43], v[40:41] op_sel:[1,1] op_sel_hi:[0,1]
	s_delay_alu instid0(VALU_DEP_1) | instskip(SKIP_1) | instid1(VALU_DEP_2)
	v_pk_fma_f32 v[98:99], v[42:43], v[40:41], v[96:97] op_sel_hi:[1,0,1]
	v_pk_fma_f32 v[40:41], v[42:43], v[40:41], v[96:97] neg_lo:[0,0,1] neg_hi:[0,0,1]
	v_mov_b32_e32 v41, v99
	s_delay_alu instid0(VALU_DEP_1)
	v_pk_add_f32 v[38:39], v[38:39], v[40:41] neg_lo:[0,1] neg_hi:[0,1]
.LBB53_787:                             ;   in Loop: Header=BB53_3 Depth=1
	s_or_b32 exec_lo, exec_lo, s52
	s_delay_alu instid0(VALU_DEP_1)
	v_dual_mov_b32 v40, v39 :: v_dual_mov_b32 v41, v38
	s_barrier_signal -1
	s_barrier_wait -1
	s_and_saveexec_b32 s52, s58
	s_cbranch_execz .LBB53_789
; %bb.788:                              ;   in Loop: Header=BB53_3 Depth=1
	ds_load_b64 v[42:43], v1 offset:6240
	s_wait_dscnt 0x0
	v_dual_mul_f32 v0, v41, v43 :: v_dual_mul_f32 v96, v39, v43
	s_delay_alu instid0(VALU_DEP_1) | instskip(NEXT) | instid1(VALU_DEP_2)
	v_pk_fma_f32 v[40:41], v[40:41], v[42:43], v[0:1] op_sel_hi:[1,1,0]
	v_pk_fma_f32 v[38:39], v[38:39], v[42:43], v[96:97] op_sel_hi:[1,1,0] neg_lo:[0,0,1] neg_hi:[0,0,1]
	s_delay_alu instid0(VALU_DEP_1) | instskip(NEXT) | instid1(VALU_DEP_1)
	v_dual_mov_b32 v39, v40 :: v_dual_mov_b32 v41, v38
	v_pk_add_f32 v[42:43], v[38:39], 0 neg_lo:[1,1] neg_hi:[1,1]
	ds_store_b64 v61, v[42:43]
.LBB53_789:                             ;   in Loop: Header=BB53_3 Depth=1
	s_or_b32 exec_lo, exec_lo, s52
	s_wait_dscnt 0x0
	s_barrier_signal -1
	s_barrier_wait -1
	s_and_saveexec_b32 s52, s59
	s_cbranch_execz .LBB53_791
; %bb.790:                              ;   in Loop: Header=BB53_3 Depth=1
	ds_load_b64 v[38:39], v62 offset:6144
	ds_load_b64 v[42:43], v61
	s_wait_dscnt 0x0
	v_dual_mul_f32 v0, v43, v39 :: v_dual_mul_f32 v96, v42, v39
	s_delay_alu instid0(VALU_DEP_1) | instskip(NEXT) | instid1(VALU_DEP_2)
	v_fma_f32 v97, v42, v38, -v0
	v_fmac_f32_e32 v96, v43, v38
	s_delay_alu instid0(VALU_DEP_1)
	v_pk_add_f32 v[40:41], v[40:41], v[96:97] neg_lo:[0,1] neg_hi:[0,1]
.LBB53_791:                             ;   in Loop: Header=BB53_3 Depth=1
	s_or_b32 exec_lo, exec_lo, s52
	s_barrier_signal -1
	s_barrier_wait -1
	s_and_saveexec_b32 s52, s60
	s_cbranch_execz .LBB53_793
; %bb.792:                              ;   in Loop: Header=BB53_3 Depth=1
	ds_load_b64 v[38:39], v1 offset:5720
	s_wait_dscnt 0x0
	v_pk_mul_f32 v[42:43], v[40:41], v[38:39] op_sel_hi:[0,1]
	s_delay_alu instid0(VALU_DEP_1) | instskip(SKIP_1) | instid1(VALU_DEP_2)
	v_pk_fma_f32 v[96:97], v[40:41], v[38:39], v[42:43] op_sel:[1,1,0] op_sel_hi:[1,0,1] neg_lo:[0,0,1] neg_hi:[0,0,1]
	v_pk_fma_f32 v[40:41], v[40:41], v[38:39], v[42:43] op_sel:[1,1,0] op_sel_hi:[1,0,1]
	v_mov_b32_e32 v41, v97
	s_delay_alu instid0(VALU_DEP_2)
	v_xor_b32_e32 v39, 0x80000000, v40
	v_xor_b32_e32 v38, 0x80000000, v97
	ds_store_b64 v61, v[38:39]
.LBB53_793:                             ;   in Loop: Header=BB53_3 Depth=1
	s_or_b32 exec_lo, exec_lo, s52
	s_wait_dscnt 0x0
	s_barrier_signal -1
	s_barrier_wait -1
	s_and_saveexec_b32 s52, s61
	s_cbranch_execz .LBB53_795
; %bb.794:                              ;   in Loop: Header=BB53_3 Depth=1
	ds_load_b64 v[38:39], v62 offset:5632
	ds_load_b64 v[42:43], v61
	s_wait_dscnt 0x0
	v_pk_mul_f32 v[96:97], v[42:43], v[38:39] op_sel:[0,1]
	s_delay_alu instid0(VALU_DEP_1) | instskip(SKIP_1) | instid1(VALU_DEP_2)
	v_pk_fma_f32 v[98:99], v[42:43], v[38:39], v[96:97] op_sel:[1,0,0] op_sel_hi:[0,0,1] neg_lo:[0,0,1] neg_hi:[0,0,1]
	v_pk_fma_f32 v[38:39], v[42:43], v[38:39], v[96:97] op_sel:[1,0,0] op_sel_hi:[0,1,1]
	v_mov_b32_e32 v39, v99
	s_delay_alu instid0(VALU_DEP_1)
	v_pk_add_f32 v[40:41], v[40:41], v[38:39] neg_lo:[0,1] neg_hi:[0,1]
.LBB53_795:                             ;   in Loop: Header=BB53_3 Depth=1
	s_or_b32 exec_lo, exec_lo, s52
	s_barrier_signal -1
	s_barrier_wait -1
	s_and_saveexec_b32 s52, s62
	s_cbranch_execz .LBB53_797
; %bb.796:                              ;   in Loop: Header=BB53_3 Depth=1
	ds_load_b64 v[38:39], v1 offset:5200
	s_wait_dscnt 0x0
	v_pk_mul_f32 v[42:43], v[40:41], v[38:39] op_sel_hi:[0,1]
	s_delay_alu instid0(VALU_DEP_1) | instskip(SKIP_1) | instid1(VALU_DEP_2)
	v_pk_fma_f32 v[96:97], v[40:41], v[38:39], v[42:43] op_sel:[1,1,0] op_sel_hi:[1,0,1] neg_lo:[0,0,1] neg_hi:[0,0,1]
	v_pk_fma_f32 v[40:41], v[40:41], v[38:39], v[42:43] op_sel:[1,1,0] op_sel_hi:[1,0,1]
	v_mov_b32_e32 v41, v97
	s_delay_alu instid0(VALU_DEP_2)
	v_xor_b32_e32 v39, 0x80000000, v40
	v_xor_b32_e32 v38, 0x80000000, v97
	ds_store_b64 v61, v[38:39]
.LBB53_797:                             ;   in Loop: Header=BB53_3 Depth=1
	s_or_b32 exec_lo, exec_lo, s52
	s_wait_dscnt 0x0
	s_barrier_signal -1
	s_barrier_wait -1
	s_and_saveexec_b32 s52, s63
	s_cbranch_execz .LBB53_799
; %bb.798:                              ;   in Loop: Header=BB53_3 Depth=1
	ds_load_b64 v[38:39], v62 offset:5120
	ds_load_b64 v[42:43], v61
	s_wait_dscnt 0x0
	v_pk_mul_f32 v[96:97], v[42:43], v[38:39] op_sel:[0,1]
	s_delay_alu instid0(VALU_DEP_1) | instskip(SKIP_1) | instid1(VALU_DEP_2)
	v_pk_fma_f32 v[98:99], v[42:43], v[38:39], v[96:97] op_sel:[1,0,0] op_sel_hi:[0,0,1] neg_lo:[0,0,1] neg_hi:[0,0,1]
	v_pk_fma_f32 v[38:39], v[42:43], v[38:39], v[96:97] op_sel:[1,0,0] op_sel_hi:[0,1,1]
	v_mov_b32_e32 v39, v99
	s_delay_alu instid0(VALU_DEP_1)
	v_pk_add_f32 v[40:41], v[40:41], v[38:39] neg_lo:[0,1] neg_hi:[0,1]
.LBB53_799:                             ;   in Loop: Header=BB53_3 Depth=1
	;; [unrolled: 36-line block ×3, first 2 shown]
	s_or_b32 exec_lo, exec_lo, s52
	s_delay_alu instid0(VALU_DEP_1)
	v_dual_mov_b32 v38, v41 :: v_dual_mov_b32 v39, v40
	s_barrier_signal -1
	s_barrier_wait -1
	s_and_saveexec_b32 s52, s12
	s_cbranch_execz .LBB53_805
; %bb.804:                              ;   in Loop: Header=BB53_3 Depth=1
	ds_load_b64 v[42:43], v1 offset:4160
	s_wait_dscnt 0x0
	v_dual_mul_f32 v0, v40, v42 :: v_dual_mul_f32 v96, v39, v43
	s_delay_alu instid0(VALU_DEP_1) | instskip(NEXT) | instid1(VALU_DEP_2)
	v_pk_fma_f32 v[40:41], v[40:41], v[42:43], v[0:1] op_sel_hi:[1,1,0]
	v_pk_fma_f32 v[38:39], v[38:39], v[42:43], v[96:97] op_sel_hi:[1,1,0] neg_lo:[0,0,1] neg_hi:[0,0,1]
	s_delay_alu instid0(VALU_DEP_2) | instskip(NEXT) | instid1(VALU_DEP_1)
	v_mov_b32_e32 v39, v41
	v_pk_add_f32 v[40:41], v[38:39], 0 neg_lo:[1,1] neg_hi:[1,1]
	ds_store_b64 v61, v[40:41]
.LBB53_805:                             ;   in Loop: Header=BB53_3 Depth=1
	s_or_b32 exec_lo, exec_lo, s52
	s_wait_dscnt 0x0
	s_barrier_signal -1
	s_barrier_wait -1
	s_and_saveexec_b32 s52, s13
	s_cbranch_execz .LBB53_807
; %bb.806:                              ;   in Loop: Header=BB53_3 Depth=1
	ds_load_b64 v[40:41], v62 offset:4096
	ds_load_b64 v[42:43], v61
	s_wait_dscnt 0x0
	v_dual_mul_f32 v0, v43, v41 :: v_dual_mul_f32 v97, v42, v41
	s_delay_alu instid0(VALU_DEP_1) | instskip(NEXT) | instid1(VALU_DEP_1)
	v_dual_fma_f32 v96, v42, v40, -v0 :: v_dual_fmac_f32 v97, v43, v40
	v_pk_add_f32 v[38:39], v[38:39], v[96:97] neg_lo:[0,1] neg_hi:[0,1]
.LBB53_807:                             ;   in Loop: Header=BB53_3 Depth=1
	s_or_b32 exec_lo, exec_lo, s52
	s_barrier_signal -1
	s_barrier_wait -1
	s_and_saveexec_b32 s52, s23
	s_cbranch_execz .LBB53_809
; %bb.808:                              ;   in Loop: Header=BB53_3 Depth=1
	ds_load_b64 v[40:41], v1 offset:3640
	s_wait_dscnt 0x0
	v_pk_mul_f32 v[42:43], v[38:39], v[40:41] op_sel:[1,1] op_sel_hi:[1,0]
	s_delay_alu instid0(VALU_DEP_1) | instskip(SKIP_1) | instid1(VALU_DEP_2)
	v_pk_fma_f32 v[96:97], v[38:39], v[40:41], v[42:43] op_sel_hi:[0,1,1]
	v_pk_fma_f32 v[38:39], v[38:39], v[40:41], v[42:43] neg_lo:[0,0,1] neg_hi:[0,0,1]
	v_mov_b32_e32 v39, v97
	s_delay_alu instid0(VALU_DEP_1)
	v_pk_add_f32 v[40:41], v[38:39], 0 neg_lo:[1,1] neg_hi:[1,1]
	ds_store_b64 v61, v[40:41]
.LBB53_809:                             ;   in Loop: Header=BB53_3 Depth=1
	s_or_b32 exec_lo, exec_lo, s52
	s_wait_dscnt 0x0
	s_barrier_signal -1
	s_barrier_wait -1
	s_and_saveexec_b32 s52, s25
	s_cbranch_execz .LBB53_811
; %bb.810:                              ;   in Loop: Header=BB53_3 Depth=1
	ds_load_b64 v[40:41], v62 offset:3584
	ds_load_b64 v[42:43], v61
	s_wait_dscnt 0x0
	v_pk_mul_f32 v[96:97], v[42:43], v[40:41] op_sel:[1,1] op_sel_hi:[0,1]
	s_delay_alu instid0(VALU_DEP_1) | instskip(SKIP_1) | instid1(VALU_DEP_2)
	v_pk_fma_f32 v[98:99], v[42:43], v[40:41], v[96:97] op_sel_hi:[1,0,1]
	v_pk_fma_f32 v[40:41], v[42:43], v[40:41], v[96:97] neg_lo:[0,0,1] neg_hi:[0,0,1]
	v_mov_b32_e32 v41, v99
	s_delay_alu instid0(VALU_DEP_1)
	v_pk_add_f32 v[38:39], v[38:39], v[40:41] neg_lo:[0,1] neg_hi:[0,1]
.LBB53_811:                             ;   in Loop: Header=BB53_3 Depth=1
	s_or_b32 exec_lo, exec_lo, s52
	s_barrier_signal -1
	s_barrier_wait -1
	s_and_saveexec_b32 s52, s27
	s_cbranch_execz .LBB53_813
; %bb.812:                              ;   in Loop: Header=BB53_3 Depth=1
	ds_load_b64 v[40:41], v1 offset:3120
	s_wait_dscnt 0x0
	v_pk_mul_f32 v[42:43], v[38:39], v[40:41] op_sel:[1,1] op_sel_hi:[1,0]
	s_delay_alu instid0(VALU_DEP_1) | instskip(SKIP_1) | instid1(VALU_DEP_2)
	v_pk_fma_f32 v[96:97], v[38:39], v[40:41], v[42:43] op_sel_hi:[0,1,1]
	v_pk_fma_f32 v[38:39], v[38:39], v[40:41], v[42:43] neg_lo:[0,0,1] neg_hi:[0,0,1]
	v_mov_b32_e32 v39, v97
	s_delay_alu instid0(VALU_DEP_1)
	v_pk_add_f32 v[40:41], v[38:39], 0 neg_lo:[1,1] neg_hi:[1,1]
	ds_store_b64 v61, v[40:41]
.LBB53_813:                             ;   in Loop: Header=BB53_3 Depth=1
	s_or_b32 exec_lo, exec_lo, s52
	s_wait_dscnt 0x0
	s_barrier_signal -1
	s_barrier_wait -1
	s_and_saveexec_b32 s52, s29
	s_cbranch_execz .LBB53_815
; %bb.814:                              ;   in Loop: Header=BB53_3 Depth=1
	ds_load_b64 v[40:41], v62 offset:3072
	ds_load_b64 v[42:43], v61
	s_wait_dscnt 0x0
	v_pk_mul_f32 v[96:97], v[42:43], v[40:41] op_sel:[1,1] op_sel_hi:[0,1]
	s_delay_alu instid0(VALU_DEP_1) | instskip(SKIP_1) | instid1(VALU_DEP_2)
	v_pk_fma_f32 v[98:99], v[42:43], v[40:41], v[96:97] op_sel_hi:[1,0,1]
	v_pk_fma_f32 v[40:41], v[42:43], v[40:41], v[96:97] neg_lo:[0,0,1] neg_hi:[0,0,1]
	v_mov_b32_e32 v41, v99
	s_delay_alu instid0(VALU_DEP_1)
	v_pk_add_f32 v[38:39], v[38:39], v[40:41] neg_lo:[0,1] neg_hi:[0,1]
.LBB53_815:                             ;   in Loop: Header=BB53_3 Depth=1
	s_or_b32 exec_lo, exec_lo, s52
	s_barrier_signal -1
	s_barrier_wait -1
	s_and_saveexec_b32 s52, s31
	s_cbranch_execz .LBB53_817
; %bb.816:                              ;   in Loop: Header=BB53_3 Depth=1
	ds_load_b64 v[40:41], v1 offset:2600
	s_wait_dscnt 0x0
	v_pk_mul_f32 v[42:43], v[38:39], v[40:41] op_sel:[1,1] op_sel_hi:[1,0]
	s_delay_alu instid0(VALU_DEP_1) | instskip(SKIP_1) | instid1(VALU_DEP_2)
	v_pk_fma_f32 v[96:97], v[38:39], v[40:41], v[42:43] op_sel_hi:[0,1,1]
	v_pk_fma_f32 v[38:39], v[38:39], v[40:41], v[42:43] neg_lo:[0,0,1] neg_hi:[0,0,1]
	v_mov_b32_e32 v39, v97
	s_delay_alu instid0(VALU_DEP_1)
	v_pk_add_f32 v[40:41], v[38:39], 0 neg_lo:[1,1] neg_hi:[1,1]
	ds_store_b64 v61, v[40:41]
.LBB53_817:                             ;   in Loop: Header=BB53_3 Depth=1
	s_or_b32 exec_lo, exec_lo, s52
	s_wait_dscnt 0x0
	s_barrier_signal -1
	s_barrier_wait -1
	s_and_saveexec_b32 s52, s34
	s_cbranch_execz .LBB53_819
; %bb.818:                              ;   in Loop: Header=BB53_3 Depth=1
	ds_load_b64 v[40:41], v62 offset:2560
	ds_load_b64 v[42:43], v61
	s_wait_dscnt 0x0
	v_pk_mul_f32 v[96:97], v[42:43], v[40:41] op_sel:[1,1] op_sel_hi:[0,1]
	s_delay_alu instid0(VALU_DEP_1) | instskip(SKIP_1) | instid1(VALU_DEP_2)
	v_pk_fma_f32 v[98:99], v[42:43], v[40:41], v[96:97] op_sel_hi:[1,0,1]
	v_pk_fma_f32 v[40:41], v[42:43], v[40:41], v[96:97] neg_lo:[0,0,1] neg_hi:[0,0,1]
	v_mov_b32_e32 v41, v99
	s_delay_alu instid0(VALU_DEP_1)
	v_pk_add_f32 v[38:39], v[38:39], v[40:41] neg_lo:[0,1] neg_hi:[0,1]
.LBB53_819:                             ;   in Loop: Header=BB53_3 Depth=1
	s_or_b32 exec_lo, exec_lo, s52
	s_barrier_signal -1
	s_barrier_wait -1
	s_and_saveexec_b32 s52, s38
	s_cbranch_execz .LBB53_821
; %bb.820:                              ;   in Loop: Header=BB53_3 Depth=1
	ds_load_b64 v[40:41], v1 offset:2080
	s_wait_dscnt 0x0
	v_pk_mul_f32 v[42:43], v[38:39], v[40:41]
	v_pk_mul_f32 v[38:39], v[38:39], v[40:41] op_sel:[1,0] op_sel_hi:[0,1]
	s_delay_alu instid0(VALU_DEP_1) | instskip(NEXT) | instid1(VALU_DEP_3)
	v_dual_mov_b32 v40, v42 :: v_dual_mov_b32 v41, v38
	v_mov_b32_e32 v38, v43
	s_delay_alu instid0(VALU_DEP_1) | instskip(SKIP_1) | instid1(VALU_DEP_2)
	v_pk_add_f32 v[42:43], v[40:41], v[38:39]
	v_pk_add_f32 v[38:39], v[40:41], v[38:39] neg_lo:[0,1] neg_hi:[0,1]
	v_mov_b32_e32 v39, v43
	s_delay_alu instid0(VALU_DEP_1)
	v_pk_add_f32 v[40:41], v[38:39], 0 neg_lo:[1,1] neg_hi:[1,1]
	ds_store_b64 v61, v[40:41]
.LBB53_821:                             ;   in Loop: Header=BB53_3 Depth=1
	s_or_b32 exec_lo, exec_lo, s52
	s_wait_dscnt 0x0
	s_barrier_signal -1
	s_barrier_wait -1
	s_and_saveexec_b32 s52, s24
	s_cbranch_execz .LBB53_823
; %bb.822:                              ;   in Loop: Header=BB53_3 Depth=1
	ds_load_b64 v[40:41], v62 offset:2048
	ds_load_b64 v[42:43], v61
	s_wait_dscnt 0x0
	v_dual_mul_f32 v0, v43, v41 :: v_dual_mul_f32 v41, v42, v41
	s_delay_alu instid0(VALU_DEP_1) | instskip(NEXT) | instid1(VALU_DEP_1)
	v_dual_fma_f32 v0, v42, v40, -v0 :: v_dual_fmac_f32 v41, v43, v40
	v_dual_sub_f32 v38, v38, v0 :: v_dual_sub_f32 v39, v39, v41
.LBB53_823:                             ;   in Loop: Header=BB53_3 Depth=1
	s_or_b32 exec_lo, exec_lo, s52
	s_barrier_signal -1
	s_barrier_wait -1
	s_and_saveexec_b32 s52, s26
	s_cbranch_execz .LBB53_825
; %bb.824:                              ;   in Loop: Header=BB53_3 Depth=1
	ds_load_b64 v[40:41], v1 offset:1560
	s_wait_dscnt 0x0
	v_dual_mul_f32 v0, v39, v40 :: v_dual_mul_f32 v42, v39, v41
	s_delay_alu instid0(VALU_DEP_1) | instskip(NEXT) | instid1(VALU_DEP_2)
	v_pk_fma_f32 v[96:97], v[38:39], v[40:41], v[0:1] op_sel:[1,0,0] op_sel_hi:[0,1,0]
	v_pk_fma_f32 v[38:39], v[38:39], v[40:41], v[42:43] op_sel_hi:[1,1,0] neg_lo:[0,0,1] neg_hi:[0,0,1]
	s_delay_alu instid0(VALU_DEP_2) | instskip(NEXT) | instid1(VALU_DEP_1)
	v_mov_b32_e32 v39, v97
	v_pk_add_f32 v[40:41], v[38:39], 0 neg_lo:[1,1] neg_hi:[1,1]
	ds_store_b64 v61, v[40:41]
.LBB53_825:                             ;   in Loop: Header=BB53_3 Depth=1
	s_or_b32 exec_lo, exec_lo, s52
	s_wait_dscnt 0x0
	s_barrier_signal -1
	s_barrier_wait -1
	s_and_saveexec_b32 s52, s28
	s_cbranch_execz .LBB53_827
; %bb.826:                              ;   in Loop: Header=BB53_3 Depth=1
	ds_load_b64 v[40:41], v62 offset:1536
	ds_load_b64 v[42:43], v61
	s_wait_dscnt 0x0
	v_pk_mul_f32 v[96:97], v[42:43], v[40:41] op_sel:[1,1] op_sel_hi:[0,1]
	s_delay_alu instid0(VALU_DEP_1) | instskip(SKIP_1) | instid1(VALU_DEP_2)
	v_pk_fma_f32 v[98:99], v[42:43], v[40:41], v[96:97] op_sel_hi:[1,0,1]
	v_pk_fma_f32 v[40:41], v[42:43], v[40:41], v[96:97] neg_lo:[0,0,1] neg_hi:[0,0,1]
	v_mov_b32_e32 v41, v99
	s_delay_alu instid0(VALU_DEP_1)
	v_pk_add_f32 v[38:39], v[38:39], v[40:41] neg_lo:[0,1] neg_hi:[0,1]
.LBB53_827:                             ;   in Loop: Header=BB53_3 Depth=1
	s_or_b32 exec_lo, exec_lo, s52
	s_barrier_signal -1
	s_barrier_wait -1
	s_and_saveexec_b32 s52, s30
	s_cbranch_execz .LBB53_829
; %bb.828:                              ;   in Loop: Header=BB53_3 Depth=1
	ds_load_b64 v[40:41], v1 offset:1040
	s_wait_dscnt 0x0
	v_pk_mul_f32 v[42:43], v[38:39], v[40:41] op_sel:[1,1] op_sel_hi:[1,0]
	s_delay_alu instid0(VALU_DEP_1) | instskip(SKIP_1) | instid1(VALU_DEP_2)
	v_pk_fma_f32 v[96:97], v[38:39], v[40:41], v[42:43] op_sel_hi:[0,1,1]
	v_pk_fma_f32 v[38:39], v[38:39], v[40:41], v[42:43] neg_lo:[0,0,1] neg_hi:[0,0,1]
	v_mov_b32_e32 v39, v97
	s_delay_alu instid0(VALU_DEP_1)
	v_pk_add_f32 v[40:41], v[38:39], 0 neg_lo:[1,1] neg_hi:[1,1]
	ds_store_b64 v61, v[40:41]
.LBB53_829:                             ;   in Loop: Header=BB53_3 Depth=1
	s_or_b32 exec_lo, exec_lo, s52
	s_wait_dscnt 0x0
	s_barrier_signal -1
	s_barrier_wait -1
	s_and_saveexec_b32 s52, s33
	s_cbranch_execz .LBB53_831
; %bb.830:                              ;   in Loop: Header=BB53_3 Depth=1
	ds_load_b64 v[40:41], v62 offset:1024
	ds_load_b64 v[42:43], v61
	s_wait_dscnt 0x0
	v_pk_mul_f32 v[96:97], v[42:43], v[40:41] op_sel:[1,1] op_sel_hi:[0,1]
	s_delay_alu instid0(VALU_DEP_1) | instskip(SKIP_1) | instid1(VALU_DEP_2)
	v_pk_fma_f32 v[98:99], v[42:43], v[40:41], v[96:97] op_sel_hi:[1,0,1]
	v_pk_fma_f32 v[40:41], v[42:43], v[40:41], v[96:97] neg_lo:[0,0,1] neg_hi:[0,0,1]
	v_mov_b32_e32 v41, v99
	s_delay_alu instid0(VALU_DEP_1)
	v_pk_add_f32 v[38:39], v[38:39], v[40:41] neg_lo:[0,1] neg_hi:[0,1]
.LBB53_831:                             ;   in Loop: Header=BB53_3 Depth=1
	s_or_b32 exec_lo, exec_lo, s52
	s_barrier_signal -1
	s_barrier_wait -1
	s_and_saveexec_b32 s52, s76
	s_cbranch_execz .LBB53_833
; %bb.832:                              ;   in Loop: Header=BB53_3 Depth=1
	ds_load_b64 v[40:41], v1 offset:520
	s_wait_dscnt 0x0
	v_pk_mul_f32 v[42:43], v[38:39], v[40:41] op_sel:[1,1] op_sel_hi:[1,0]
	s_delay_alu instid0(VALU_DEP_1) | instskip(SKIP_1) | instid1(VALU_DEP_2)
	v_pk_fma_f32 v[96:97], v[38:39], v[40:41], v[42:43] op_sel_hi:[0,1,1]
	v_pk_fma_f32 v[38:39], v[38:39], v[40:41], v[42:43] neg_lo:[0,0,1] neg_hi:[0,0,1]
	v_mov_b32_e32 v39, v97
	s_delay_alu instid0(VALU_DEP_1)
	v_pk_add_f32 v[40:41], v[38:39], 0 neg_lo:[1,1] neg_hi:[1,1]
	ds_store_b64 v61, v[40:41]
.LBB53_833:                             ;   in Loop: Header=BB53_3 Depth=1
	s_or_b32 exec_lo, exec_lo, s52
	s_wait_dscnt 0x0
	s_barrier_signal -1
	s_barrier_wait -1
	s_and_saveexec_b32 s52, s77
	s_cbranch_execz .LBB53_835
; %bb.834:                              ;   in Loop: Header=BB53_3 Depth=1
	ds_load_b64 v[40:41], v1 offset:512
	ds_load_b64 v[42:43], v61
	s_wait_dscnt 0x0
	v_pk_mul_f32 v[96:97], v[42:43], v[40:41] op_sel:[1,1] op_sel_hi:[0,1]
	s_delay_alu instid0(VALU_DEP_1) | instskip(SKIP_1) | instid1(VALU_DEP_2)
	v_pk_fma_f32 v[98:99], v[42:43], v[40:41], v[96:97] op_sel_hi:[1,0,1]
	v_pk_fma_f32 v[40:41], v[42:43], v[40:41], v[96:97] neg_lo:[0,0,1] neg_hi:[0,0,1]
	v_mov_b32_e32 v41, v99
	s_delay_alu instid0(VALU_DEP_1)
	v_pk_add_f32 v[38:39], v[38:39], v[40:41] neg_lo:[0,1] neg_hi:[0,1]
.LBB53_835:                             ;   in Loop: Header=BB53_3 Depth=1
	s_or_b32 exec_lo, exec_lo, s52
	s_barrier_signal -1
	s_barrier_wait -1
	s_and_saveexec_b32 s52, s77
	s_cbranch_execz .LBB53_837
; %bb.836:                              ;   in Loop: Header=BB53_3 Depth=1
	ds_load_b64 v[40:41], v1
	s_wait_dscnt 0x0
	v_pk_mul_f32 v[42:43], v[38:39], v[40:41] op_sel:[1,1] op_sel_hi:[1,0]
	s_delay_alu instid0(VALU_DEP_1) | instskip(SKIP_1) | instid1(VALU_DEP_2)
	v_pk_fma_f32 v[96:97], v[38:39], v[40:41], v[42:43] op_sel_hi:[0,1,1]
	v_pk_fma_f32 v[38:39], v[38:39], v[40:41], v[42:43] neg_lo:[0,0,1] neg_hi:[0,0,1]
	v_mov_b32_e32 v39, v97
	s_delay_alu instid0(VALU_DEP_1)
	v_pk_add_f32 v[40:41], v[38:39], 0 neg_lo:[1,1] neg_hi:[1,1]
	ds_store_b64 v61, v[40:41]
.LBB53_837:                             ;   in Loop: Header=BB53_3 Depth=1
	s_or_b32 exec_lo, exec_lo, s52
	s_wait_dscnt 0x0
	s_barrier_signal -1
	s_barrier_wait -1
	s_barrier_signal -1
	s_barrier_wait -1
	s_and_saveexec_b32 s52, s4
; %bb.838:                              ;   in Loop: Header=BB53_3 Depth=1
	ds_store_b64 v65, v[38:39] offset:15872
; %bb.839:                              ;   in Loop: Header=BB53_3 Depth=1
	s_or_b32 exec_lo, exec_lo, s52
	s_wait_dscnt 0x0
	s_barrier_signal -1
	s_barrier_wait -1
	s_barrier_signal -1
	s_barrier_wait -1
	s_and_saveexec_b32 s66, s74
	s_cbranch_execz .LBB53_841
; %bb.840:                              ;   in Loop: Header=BB53_3 Depth=1
	ds_load_b64 v[38:39], v50 offset:8192
	s_wait_dscnt 0x0
	ds_store_b64 v55, v[38:39] offset:128
	ds_load_b64 v[38:39], v50 offset:8200
	s_wait_dscnt 0x0
	ds_store_b64 v55, v[38:39] offset:640
	;; [unrolled: 3-line block ×16, first 2 shown]
.LBB53_841:                             ;   in Loop: Header=BB53_3 Depth=1
	s_or_b32 exec_lo, exec_lo, s66
	s_wait_dscnt 0x0
	s_barrier_signal -1
	s_barrier_wait -1
	s_and_saveexec_b32 s52, s14
	s_cbranch_execz .LBB53_843
; %bb.842:                              ;   in Loop: Header=BB53_3 Depth=1
	v_add_nc_u32_e64 v0, 0x70, 0
	ds_load_b64 v[42:43], v1 offset:7800
	ds_load_2addr_stride64_b64 v[38:41], v0 offset0:14 offset1:15
	s_wait_dscnt 0x0
	v_dual_mul_f32 v95, v43, v39 :: v_dual_mul_f32 v0, v42, v39
	s_delay_alu instid0(VALU_DEP_1) | instskip(NEXT) | instid1(VALU_DEP_2)
	v_xor_b32_e32 v96, 0x80000000, v95
	v_fmac_f32_e32 v0, v43, v38
	s_delay_alu instid0(VALU_DEP_2) | instskip(NEXT) | instid1(VALU_DEP_2)
	v_fmac_f32_e32 v96, v42, v38
	v_pk_mul_f32 v[38:39], v[0:1], v[40:41] op_sel:[0,1] op_sel_hi:[0,0]
	v_add_nc_u32_e64 v0, 0x1800, 0
	s_delay_alu instid0(VALU_DEP_2) | instskip(SKIP_1) | instid1(VALU_DEP_2)
	v_pk_fma_f32 v[42:43], v[96:97], v[40:41], v[38:39] op_sel_hi:[0,1,1]
	v_pk_fma_f32 v[38:39], v[96:97], v[40:41], v[38:39] neg_lo:[0,0,1] neg_hi:[0,0,1]
	v_mov_b32_e32 v39, v43
	ds_store_2addr_b64 v0, v[38:39], v[38:39] offset0:143 offset1:206
.LBB53_843:                             ;   in Loop: Header=BB53_3 Depth=1
	s_or_b32 exec_lo, exec_lo, s52
	v_dual_mov_b32 v38, 0 :: v_dual_mov_b32 v39, 0
	s_wait_dscnt 0x0
	s_barrier_signal -1
	s_barrier_wait -1
	global_wb scope:SCOPE_DEV
	s_wait_storecnt 0x0
	global_inv scope:SCOPE_DEV
	s_and_saveexec_b32 s66, s0
	s_cbranch_execz .LBB53_847
; %bb.844:                              ;   in Loop: Header=BB53_3 Depth=1
	ds_load_b64 v[38:39], v46 offset:7264
	ds_load_b64 v[40:41], v47 offset:7792
	s_wait_dscnt 0x0
	v_pk_mul_f32 v[42:43], v[40:41], v[38:39] op_sel:[1,1] op_sel_hi:[0,1]
	s_delay_alu instid0(VALU_DEP_1) | instskip(SKIP_1) | instid1(VALU_DEP_2)
	v_pk_fma_f32 v[96:97], v[40:41], v[38:39], v[42:43] op_sel_hi:[1,0,1]
	v_pk_fma_f32 v[38:39], v[40:41], v[38:39], v[42:43] neg_lo:[0,0,1] neg_hi:[0,0,1]
	v_mov_b32_e32 v39, v97
	s_delay_alu instid0(VALU_DEP_1)
	v_pk_add_f32 v[38:39], v[38:39], 0 op_sel_hi:[1,0]
	s_and_saveexec_b32 s52, s15
	s_cbranch_execz .LBB53_846
; %bb.845:                              ;   in Loop: Header=BB53_3 Depth=1
	ds_load_b64 v[40:41], v48 offset:7776
	ds_load_b64 v[42:43], v1 offset:7800
	s_wait_dscnt 0x0
	v_pk_mul_f32 v[96:97], v[42:43], v[40:41] op_sel:[1,1] op_sel_hi:[0,1]
	s_delay_alu instid0(VALU_DEP_1) | instskip(SKIP_1) | instid1(VALU_DEP_2)
	v_pk_fma_f32 v[98:99], v[42:43], v[40:41], v[96:97] op_sel_hi:[1,0,1]
	v_pk_fma_f32 v[40:41], v[42:43], v[40:41], v[96:97] neg_lo:[0,0,1] neg_hi:[0,0,1]
	v_mov_b32_e32 v41, v99
	s_delay_alu instid0(VALU_DEP_1)
	v_pk_add_f32 v[38:39], v[38:39], v[40:41]
.LBB53_846:                             ;   in Loop: Header=BB53_3 Depth=1
	s_or_b32 exec_lo, exec_lo, s52
.LBB53_847:                             ;   in Loop: Header=BB53_3 Depth=1
	s_delay_alu instid0(SALU_CYCLE_1)
	s_or_b32 exec_lo, exec_lo, s66
	s_and_saveexec_b32 s52, s94
	s_cbranch_execz .LBB53_849
; %bb.848:                              ;   in Loop: Header=BB53_3 Depth=1
	ds_load_b64 v[40:41], v1 offset:6760
	s_wait_dscnt 0x0
	v_pk_mul_f32 v[42:43], v[38:39], v[40:41] op_sel:[1,1] op_sel_hi:[1,0]
	s_delay_alu instid0(VALU_DEP_1) | instskip(SKIP_1) | instid1(VALU_DEP_2)
	v_pk_fma_f32 v[96:97], v[38:39], v[40:41], v[42:43] op_sel_hi:[0,1,1]
	v_pk_fma_f32 v[38:39], v[38:39], v[40:41], v[42:43] neg_lo:[0,0,1] neg_hi:[0,0,1]
	v_mov_b32_e32 v39, v97
	s_delay_alu instid0(VALU_DEP_1)
	v_pk_add_f32 v[40:41], v[38:39], 0 neg_lo:[1,1] neg_hi:[1,1]
	ds_store_b64 v3, v[40:41]
.LBB53_849:                             ;   in Loop: Header=BB53_3 Depth=1
	s_or_b32 exec_lo, exec_lo, s52
	s_wait_loadcnt_dscnt 0x0
	s_barrier_signal -1
	s_barrier_wait -1
	s_and_saveexec_b32 s52, s95
	s_cbranch_execz .LBB53_851
; %bb.850:                              ;   in Loop: Header=BB53_3 Depth=1
	ds_load_b64 v[40:41], v1 offset:6752
	ds_load_b64 v[42:43], v3
	s_wait_dscnt 0x0
	v_pk_mul_f32 v[96:97], v[42:43], v[40:41] op_sel:[1,1] op_sel_hi:[0,1]
	s_delay_alu instid0(VALU_DEP_1) | instskip(SKIP_1) | instid1(VALU_DEP_2)
	v_pk_fma_f32 v[98:99], v[42:43], v[40:41], v[96:97] op_sel_hi:[1,0,1]
	v_pk_fma_f32 v[40:41], v[42:43], v[40:41], v[96:97] neg_lo:[0,0,1] neg_hi:[0,0,1]
	v_mov_b32_e32 v41, v99
	s_delay_alu instid0(VALU_DEP_1)
	v_pk_add_f32 v[38:39], v[38:39], v[40:41] neg_lo:[0,1] neg_hi:[0,1]
.LBB53_851:                             ;   in Loop: Header=BB53_3 Depth=1
	s_or_b32 exec_lo, exec_lo, s52
	s_barrier_signal -1
	s_barrier_wait -1
	s_and_saveexec_b32 s52, s95
	s_cbranch_execz .LBB53_853
; %bb.852:                              ;   in Loop: Header=BB53_3 Depth=1
	ds_load_b64 v[40:41], v1 offset:6240
	s_wait_dscnt 0x0
	v_pk_mul_f32 v[42:43], v[38:39], v[40:41] op_sel:[1,1] op_sel_hi:[1,0]
	s_delay_alu instid0(VALU_DEP_1) | instskip(SKIP_1) | instid1(VALU_DEP_2)
	v_pk_fma_f32 v[96:97], v[38:39], v[40:41], v[42:43] op_sel_hi:[0,1,1]
	v_pk_fma_f32 v[38:39], v[38:39], v[40:41], v[42:43] neg_lo:[0,0,1] neg_hi:[0,0,1]
	v_mov_b32_e32 v39, v97
	s_delay_alu instid0(VALU_DEP_1)
	v_pk_add_f32 v[40:41], v[38:39], 0 neg_lo:[1,1] neg_hi:[1,1]
	ds_store_b64 v3, v[40:41]
.LBB53_853:                             ;   in Loop: Header=BB53_3 Depth=1
	s_or_b32 exec_lo, exec_lo, s52
	s_wait_dscnt 0x0
	s_barrier_signal -1
	s_barrier_wait -1
	s_barrier_signal -1
	s_barrier_wait -1
	s_and_saveexec_b32 s52, s0
; %bb.854:                              ;   in Loop: Header=BB53_3 Depth=1
	ds_store_b64 v49, v[38:39] offset:7776
; %bb.855:                              ;   in Loop: Header=BB53_3 Depth=1
	s_or_b32 exec_lo, exec_lo, s52
	s_wait_dscnt 0x0
	s_barrier_signal -1
	s_barrier_wait -1
	s_barrier_signal -1
	s_barrier_wait -1
	s_and_saveexec_b32 s52, s96
	s_cbranch_execz .LBB53_857
; %bb.856:                              ;   in Loop: Header=BB53_3 Depth=1
	ds_load_b64 v[38:39], v50 offset:7264
	s_wait_dscnt 0x0
	ds_store_b64 v48, v[38:39] offset:6256
	ds_load_b64 v[38:39], v50 offset:7272
	s_wait_dscnt 0x0
	ds_store_b64 v48, v[38:39] offset:6768
.LBB53_857:                             ;   in Loop: Header=BB53_3 Depth=1
	s_or_b32 exec_lo, exec_lo, s52
	s_wait_dscnt 0x0
	s_barrier_signal -1
	s_barrier_wait -1
	s_and_saveexec_b32 s52, s14
	s_cbranch_execz .LBB53_859
; %bb.858:                              ;   in Loop: Header=BB53_3 Depth=1
	v_add_nc_u32_e64 v0, 0x60, 0
	ds_load_b64 v[42:43], v1 offset:6760
	ds_load_2addr_stride64_b64 v[38:41], v0 offset0:12 offset1:13
	s_wait_dscnt 0x0
	v_dual_mul_f32 v95, v43, v39 :: v_dual_mul_f32 v0, v42, v39
	s_delay_alu instid0(VALU_DEP_1) | instskip(NEXT) | instid1(VALU_DEP_2)
	v_xor_b32_e32 v96, 0x80000000, v95
	v_fmac_f32_e32 v0, v43, v38
	s_delay_alu instid0(VALU_DEP_2) | instskip(NEXT) | instid1(VALU_DEP_2)
	v_fmac_f32_e32 v96, v42, v38
	v_pk_mul_f32 v[38:39], v[0:1], v[40:41] op_sel:[0,1] op_sel_hi:[0,0]
	v_add_nc_u32_e64 v0, 0x1800, 0
	s_delay_alu instid0(VALU_DEP_2) | instskip(SKIP_1) | instid1(VALU_DEP_2)
	v_pk_fma_f32 v[42:43], v[96:97], v[40:41], v[38:39] op_sel_hi:[0,1,1]
	v_pk_fma_f32 v[38:39], v[96:97], v[40:41], v[38:39] neg_lo:[0,0,1] neg_hi:[0,0,1]
	v_mov_b32_e32 v39, v43
	ds_store_2addr_b64 v0, v[38:39], v[38:39] offset0:13 offset1:76
.LBB53_859:                             ;   in Loop: Header=BB53_3 Depth=1
	s_or_b32 exec_lo, exec_lo, s52
	v_mov_b64_e32 v[38:39], 0
	s_wait_dscnt 0x0
	s_barrier_signal -1
	s_barrier_wait -1
	global_wb scope:SCOPE_DEV
	s_wait_storecnt 0x0
	global_inv scope:SCOPE_DEV
	s_and_saveexec_b32 s66, s2
	s_cbranch_execz .LBB53_865
; %bb.860:                              ;   in Loop: Header=BB53_3 Depth=1
	ds_load_b64 v[38:39], v52 offset:6208
	ds_load_b64 v[40:41], v53 offset:7776
	s_wait_dscnt 0x0
	v_dual_mul_f32 v0, v41, v39 :: v_dual_mul_f32 v39, v40, v39
	s_delay_alu instid0(VALU_DEP_1) | instskip(NEXT) | instid1(VALU_DEP_1)
	v_dual_fma_f32 v0, v40, v38, -v0 :: v_dual_fmac_f32 v39, v41, v38
	v_dual_add_f32 v38, 0, v0 :: v_dual_add_f32 v39, 0, v39
	s_and_saveexec_b32 s52, s16
	s_cbranch_execnz .LBB53_1150
; %bb.861:                              ;   in Loop: Header=BB53_3 Depth=1
	s_or_b32 exec_lo, exec_lo, s52
	s_and_saveexec_b32 s52, s17
	s_cbranch_execnz .LBB53_1151
.LBB53_862:                             ;   in Loop: Header=BB53_3 Depth=1
	s_or_b32 exec_lo, exec_lo, s52
	s_and_saveexec_b32 s52, s0
	s_cbranch_execz .LBB53_864
.LBB53_863:                             ;   in Loop: Header=BB53_3 Depth=1
	ds_load_b64 v[40:41], v55 offset:7744
	ds_load_b64 v[42:43], v1 offset:7800
	s_wait_dscnt 0x0
	v_dual_mul_f32 v0, v43, v41 :: v_dual_mul_f32 v41, v42, v41
	s_delay_alu instid0(VALU_DEP_1) | instskip(NEXT) | instid1(VALU_DEP_1)
	v_dual_fma_f32 v0, v42, v40, -v0 :: v_dual_fmac_f32 v41, v43, v40
	v_dual_add_f32 v38, v38, v0 :: v_dual_add_f32 v39, v39, v41
.LBB53_864:                             ;   in Loop: Header=BB53_3 Depth=1
	s_or_b32 exec_lo, exec_lo, s52
.LBB53_865:                             ;   in Loop: Header=BB53_3 Depth=1
	s_delay_alu instid0(SALU_CYCLE_1)
	s_or_b32 exec_lo, exec_lo, s66
	s_and_saveexec_b32 s52, s97
	s_cbranch_execz .LBB53_867
; %bb.866:                              ;   in Loop: Header=BB53_3 Depth=1
	ds_load_b64 v[40:41], v1 offset:5720
	s_wait_dscnt 0x0
	v_dual_mul_f32 v0, v39, v40 :: v_dual_mul_f32 v42, v39, v41
	s_delay_alu instid0(VALU_DEP_1) | instskip(NEXT) | instid1(VALU_DEP_2)
	v_pk_fma_f32 v[96:97], v[38:39], v[40:41], v[0:1] op_sel:[1,0,0] op_sel_hi:[0,1,0]
	v_pk_fma_f32 v[38:39], v[38:39], v[40:41], v[42:43] op_sel_hi:[1,1,0] neg_lo:[0,0,1] neg_hi:[0,0,1]
	s_delay_alu instid0(VALU_DEP_2) | instskip(NEXT) | instid1(VALU_DEP_1)
	v_mov_b32_e32 v39, v97
	v_pk_add_f32 v[40:41], v[38:39], 0 neg_lo:[1,1] neg_hi:[1,1]
	ds_store_b64 v51, v[40:41]
.LBB53_867:                             ;   in Loop: Header=BB53_3 Depth=1
	s_or_b32 exec_lo, exec_lo, s52
	s_wait_loadcnt_dscnt 0x0
	s_barrier_signal -1
	s_barrier_wait -1
	s_and_saveexec_b32 s52, s98
	s_cbranch_execz .LBB53_869
; %bb.868:                              ;   in Loop: Header=BB53_3 Depth=1
	ds_load_b64 v[40:41], v52 offset:5696
	ds_load_b64 v[42:43], v51
	s_wait_dscnt 0x0
	v_pk_mul_f32 v[96:97], v[42:43], v[40:41] op_sel:[1,1] op_sel_hi:[0,1]
	s_delay_alu instid0(VALU_DEP_1) | instskip(SKIP_1) | instid1(VALU_DEP_2)
	v_pk_fma_f32 v[98:99], v[42:43], v[40:41], v[96:97] op_sel_hi:[1,0,1]
	v_pk_fma_f32 v[40:41], v[42:43], v[40:41], v[96:97] neg_lo:[0,0,1] neg_hi:[0,0,1]
	v_mov_b32_e32 v41, v99
	s_delay_alu instid0(VALU_DEP_1)
	v_pk_add_f32 v[38:39], v[38:39], v[40:41] neg_lo:[0,1] neg_hi:[0,1]
.LBB53_869:                             ;   in Loop: Header=BB53_3 Depth=1
	s_or_b32 exec_lo, exec_lo, s52
	s_barrier_signal -1
	s_barrier_wait -1
	s_and_saveexec_b32 s52, s99
	s_cbranch_execz .LBB53_871
; %bb.870:                              ;   in Loop: Header=BB53_3 Depth=1
	ds_load_b64 v[40:41], v1 offset:5200
	s_wait_dscnt 0x0
	v_pk_mul_f32 v[42:43], v[38:39], v[40:41] op_sel:[1,1] op_sel_hi:[1,0]
	s_delay_alu instid0(VALU_DEP_1) | instskip(SKIP_1) | instid1(VALU_DEP_2)
	v_pk_fma_f32 v[96:97], v[38:39], v[40:41], v[42:43] op_sel_hi:[0,1,1]
	v_pk_fma_f32 v[38:39], v[38:39], v[40:41], v[42:43] neg_lo:[0,0,1] neg_hi:[0,0,1]
	v_mov_b32_e32 v39, v97
	s_delay_alu instid0(VALU_DEP_1)
	v_pk_add_f32 v[40:41], v[38:39], 0 neg_lo:[1,1] neg_hi:[1,1]
	ds_store_b64 v51, v[40:41]
.LBB53_871:                             ;   in Loop: Header=BB53_3 Depth=1
	s_or_b32 exec_lo, exec_lo, s52
	s_wait_dscnt 0x0
	s_barrier_signal -1
	s_barrier_wait -1
	s_and_saveexec_b32 s52, s100
	s_cbranch_execz .LBB53_873
; %bb.872:                              ;   in Loop: Header=BB53_3 Depth=1
	ds_load_b64 v[40:41], v52 offset:5184
	ds_load_b64 v[42:43], v51
	s_wait_dscnt 0x0
	v_pk_mul_f32 v[96:97], v[42:43], v[40:41] op_sel:[1,1] op_sel_hi:[0,1]
	s_delay_alu instid0(VALU_DEP_1) | instskip(SKIP_1) | instid1(VALU_DEP_2)
	v_pk_fma_f32 v[98:99], v[42:43], v[40:41], v[96:97] op_sel_hi:[1,0,1]
	v_pk_fma_f32 v[40:41], v[42:43], v[40:41], v[96:97] neg_lo:[0,0,1] neg_hi:[0,0,1]
	v_mov_b32_e32 v41, v99
	s_delay_alu instid0(VALU_DEP_1)
	v_pk_add_f32 v[38:39], v[38:39], v[40:41] neg_lo:[0,1] neg_hi:[0,1]
.LBB53_873:                             ;   in Loop: Header=BB53_3 Depth=1
	s_or_b32 exec_lo, exec_lo, s52
	s_barrier_signal -1
	s_barrier_wait -1
	s_and_saveexec_b32 s52, s101
	s_cbranch_execz .LBB53_875
; %bb.874:                              ;   in Loop: Header=BB53_3 Depth=1
	ds_load_b64 v[40:41], v1 offset:4680
	s_wait_dscnt 0x0
	v_pk_mul_f32 v[42:43], v[38:39], v[40:41] op_sel:[1,1] op_sel_hi:[1,0]
	s_delay_alu instid0(VALU_DEP_1) | instskip(SKIP_1) | instid1(VALU_DEP_2)
	v_pk_fma_f32 v[96:97], v[38:39], v[40:41], v[42:43] op_sel_hi:[0,1,1]
	v_pk_fma_f32 v[38:39], v[38:39], v[40:41], v[42:43] neg_lo:[0,0,1] neg_hi:[0,0,1]
	v_mov_b32_e32 v39, v97
	s_delay_alu instid0(VALU_DEP_1)
	v_pk_add_f32 v[40:41], v[38:39], 0 neg_lo:[1,1] neg_hi:[1,1]
	ds_store_b64 v51, v[40:41]
.LBB53_875:                             ;   in Loop: Header=BB53_3 Depth=1
	s_or_b32 exec_lo, exec_lo, s52
	s_wait_dscnt 0x0
	s_barrier_signal -1
	s_barrier_wait -1
	s_and_saveexec_b32 s52, s102
	s_cbranch_execz .LBB53_877
; %bb.876:                              ;   in Loop: Header=BB53_3 Depth=1
	ds_load_b64 v[40:41], v1 offset:4672
	ds_load_b64 v[42:43], v51
	s_wait_dscnt 0x0
	v_pk_mul_f32 v[96:97], v[42:43], v[40:41] op_sel:[1,1] op_sel_hi:[0,1]
	s_delay_alu instid0(VALU_DEP_1) | instskip(SKIP_1) | instid1(VALU_DEP_2)
	v_pk_fma_f32 v[98:99], v[42:43], v[40:41], v[96:97] op_sel_hi:[1,0,1]
	v_pk_fma_f32 v[40:41], v[42:43], v[40:41], v[96:97] neg_lo:[0,0,1] neg_hi:[0,0,1]
	v_mov_b32_e32 v41, v99
	s_delay_alu instid0(VALU_DEP_1)
	v_pk_add_f32 v[38:39], v[38:39], v[40:41] neg_lo:[0,1] neg_hi:[0,1]
.LBB53_877:                             ;   in Loop: Header=BB53_3 Depth=1
	s_or_b32 exec_lo, exec_lo, s52
	s_barrier_signal -1
	s_barrier_wait -1
	s_and_saveexec_b32 s52, s102
	s_cbranch_execz .LBB53_879
; %bb.878:                              ;   in Loop: Header=BB53_3 Depth=1
	ds_load_b64 v[40:41], v1 offset:4160
	s_wait_dscnt 0x0
	v_pk_mul_f32 v[42:43], v[38:39], v[40:41] op_sel:[1,1] op_sel_hi:[1,0]
	s_delay_alu instid0(VALU_DEP_1) | instskip(SKIP_1) | instid1(VALU_DEP_2)
	v_pk_fma_f32 v[96:97], v[38:39], v[40:41], v[42:43] op_sel_hi:[0,1,1]
	v_pk_fma_f32 v[38:39], v[38:39], v[40:41], v[42:43] neg_lo:[0,0,1] neg_hi:[0,0,1]
	v_mov_b32_e32 v39, v97
	s_delay_alu instid0(VALU_DEP_1)
	v_pk_add_f32 v[40:41], v[38:39], 0 neg_lo:[1,1] neg_hi:[1,1]
	ds_store_b64 v51, v[40:41]
.LBB53_879:                             ;   in Loop: Header=BB53_3 Depth=1
	s_or_b32 exec_lo, exec_lo, s52
	s_wait_dscnt 0x0
	s_barrier_signal -1
	s_barrier_wait -1
	s_barrier_signal -1
	s_barrier_wait -1
	s_and_saveexec_b32 s52, s2
; %bb.880:                              ;   in Loop: Header=BB53_3 Depth=1
	ds_store_b64 v56, v[38:39] offset:7744
; %bb.881:                              ;   in Loop: Header=BB53_3 Depth=1
	s_or_b32 exec_lo, exec_lo, s52
	s_wait_dscnt 0x0
	s_barrier_signal -1
	s_barrier_wait -1
	s_barrier_signal -1
	s_barrier_wait -1
	s_and_saveexec_b32 s52, s103
	s_cbranch_execz .LBB53_883
; %bb.882:                              ;   in Loop: Header=BB53_3 Depth=1
	ds_load_b64 v[38:39], v69 offset:6208
	s_wait_dscnt 0x0
	ds_store_b64 v70, v[38:39] offset:4192
	ds_load_b64 v[38:39], v69 offset:6216
	s_wait_dscnt 0x0
	ds_store_b64 v70, v[38:39] offset:4704
	;; [unrolled: 3-line block ×4, first 2 shown]
.LBB53_883:                             ;   in Loop: Header=BB53_3 Depth=1
	s_or_b32 exec_lo, exec_lo, s52
	s_wait_dscnt 0x0
	s_barrier_signal -1
	s_barrier_wait -1
	s_and_saveexec_b32 s52, s14
	s_cbranch_execz .LBB53_885
; %bb.884:                              ;   in Loop: Header=BB53_3 Depth=1
	v_add_nc_u32_e64 v0, 0x50, 0
	ds_load_b64 v[42:43], v1 offset:5720
	ds_load_2addr_stride64_b64 v[38:41], v0 offset0:10 offset1:11
	s_wait_dscnt 0x0
	v_dual_mul_f32 v95, v43, v39 :: v_dual_mul_f32 v0, v42, v39
	s_delay_alu instid0(VALU_DEP_1) | instskip(NEXT) | instid1(VALU_DEP_2)
	v_xor_b32_e32 v96, 0x80000000, v95
	v_fmac_f32_e32 v0, v43, v38
	s_delay_alu instid0(VALU_DEP_2) | instskip(NEXT) | instid1(VALU_DEP_2)
	v_fmac_f32_e32 v96, v42, v38
	v_pk_mul_f32 v[38:39], v[0:1], v[40:41] op_sel:[0,1] op_sel_hi:[0,0]
	v_add_nc_u32_e64 v0, 0x1000, 0
	s_delay_alu instid0(VALU_DEP_2) | instskip(SKIP_1) | instid1(VALU_DEP_2)
	v_pk_fma_f32 v[42:43], v[96:97], v[40:41], v[38:39] op_sel_hi:[0,1,1]
	v_pk_fma_f32 v[38:39], v[96:97], v[40:41], v[38:39] neg_lo:[0,0,1] neg_hi:[0,0,1]
	v_mov_b32_e32 v39, v43
	ds_store_2addr_b64 v0, v[38:39], v[38:39] offset0:139 offset1:202
.LBB53_885:                             ;   in Loop: Header=BB53_3 Depth=1
	s_or_b32 exec_lo, exec_lo, s52
	v_dual_mov_b32 v38, 0 :: v_dual_mov_b32 v39, 0
	s_wait_dscnt 0x0
	s_barrier_signal -1
	s_barrier_wait -1
	global_wb scope:SCOPE_DEV
	s_wait_storecnt 0x0
	global_inv scope:SCOPE_DEV
	s_and_saveexec_b32 s66, s0
	s_cbranch_execz .LBB53_889
; %bb.886:                              ;   in Loop: Header=BB53_3 Depth=1
	ds_load_b64 v[38:39], v46 offset:5184
	ds_load_b64 v[40:41], v47 offset:5712
	s_wait_dscnt 0x0
	v_pk_mul_f32 v[42:43], v[40:41], v[38:39] op_sel:[1,1] op_sel_hi:[0,1]
	s_delay_alu instid0(VALU_DEP_1) | instskip(SKIP_1) | instid1(VALU_DEP_2)
	v_pk_fma_f32 v[96:97], v[40:41], v[38:39], v[42:43] op_sel_hi:[1,0,1]
	v_pk_fma_f32 v[38:39], v[40:41], v[38:39], v[42:43] neg_lo:[0,0,1] neg_hi:[0,0,1]
	v_mov_b32_e32 v39, v97
	s_delay_alu instid0(VALU_DEP_1)
	v_pk_add_f32 v[38:39], v[38:39], 0 op_sel_hi:[1,0]
	s_and_saveexec_b32 s52, s15
	s_cbranch_execz .LBB53_888
; %bb.887:                              ;   in Loop: Header=BB53_3 Depth=1
	ds_load_b64 v[40:41], v70 offset:5696
	ds_load_b64 v[42:43], v1 offset:5720
	s_wait_dscnt 0x0
	v_pk_mul_f32 v[96:97], v[42:43], v[40:41] op_sel:[1,1] op_sel_hi:[0,1]
	s_delay_alu instid0(VALU_DEP_1) | instskip(SKIP_1) | instid1(VALU_DEP_2)
	v_pk_fma_f32 v[98:99], v[42:43], v[40:41], v[96:97] op_sel_hi:[1,0,1]
	v_pk_fma_f32 v[40:41], v[42:43], v[40:41], v[96:97] neg_lo:[0,0,1] neg_hi:[0,0,1]
	v_mov_b32_e32 v41, v99
	s_delay_alu instid0(VALU_DEP_1)
	v_pk_add_f32 v[38:39], v[38:39], v[40:41]
.LBB53_888:                             ;   in Loop: Header=BB53_3 Depth=1
	s_or_b32 exec_lo, exec_lo, s52
.LBB53_889:                             ;   in Loop: Header=BB53_3 Depth=1
	s_delay_alu instid0(SALU_CYCLE_1)
	s_or_b32 exec_lo, exec_lo, s66
	s_and_saveexec_b32 s52, s94
	s_cbranch_execz .LBB53_891
; %bb.890:                              ;   in Loop: Header=BB53_3 Depth=1
	ds_load_b64 v[40:41], v1 offset:4680
	s_wait_dscnt 0x0
	v_pk_mul_f32 v[42:43], v[38:39], v[40:41] op_sel:[1,1] op_sel_hi:[1,0]
	s_delay_alu instid0(VALU_DEP_1) | instskip(SKIP_1) | instid1(VALU_DEP_2)
	v_pk_fma_f32 v[96:97], v[38:39], v[40:41], v[42:43] op_sel_hi:[0,1,1]
	v_pk_fma_f32 v[38:39], v[38:39], v[40:41], v[42:43] neg_lo:[0,0,1] neg_hi:[0,0,1]
	v_mov_b32_e32 v39, v97
	s_delay_alu instid0(VALU_DEP_1)
	v_pk_add_f32 v[40:41], v[38:39], 0 neg_lo:[1,1] neg_hi:[1,1]
	ds_store_b64 v3, v[40:41]
.LBB53_891:                             ;   in Loop: Header=BB53_3 Depth=1
	s_or_b32 exec_lo, exec_lo, s52
	s_wait_loadcnt_dscnt 0x0
	s_barrier_signal -1
	s_barrier_wait -1
	s_and_saveexec_b32 s52, s95
	s_cbranch_execz .LBB53_893
; %bb.892:                              ;   in Loop: Header=BB53_3 Depth=1
	ds_load_b64 v[40:41], v1 offset:4672
	ds_load_b64 v[42:43], v3
	s_wait_dscnt 0x0
	v_pk_mul_f32 v[96:97], v[42:43], v[40:41] op_sel:[1,1] op_sel_hi:[0,1]
	s_delay_alu instid0(VALU_DEP_1) | instskip(SKIP_1) | instid1(VALU_DEP_2)
	v_pk_fma_f32 v[98:99], v[42:43], v[40:41], v[96:97] op_sel_hi:[1,0,1]
	v_pk_fma_f32 v[40:41], v[42:43], v[40:41], v[96:97] neg_lo:[0,0,1] neg_hi:[0,0,1]
	v_mov_b32_e32 v41, v99
	s_delay_alu instid0(VALU_DEP_1)
	v_pk_add_f32 v[38:39], v[38:39], v[40:41] neg_lo:[0,1] neg_hi:[0,1]
.LBB53_893:                             ;   in Loop: Header=BB53_3 Depth=1
	s_or_b32 exec_lo, exec_lo, s52
	s_barrier_signal -1
	s_barrier_wait -1
	s_and_saveexec_b32 s52, s95
	s_cbranch_execz .LBB53_895
; %bb.894:                              ;   in Loop: Header=BB53_3 Depth=1
	ds_load_b64 v[40:41], v1 offset:4160
	s_wait_dscnt 0x0
	v_pk_mul_f32 v[42:43], v[38:39], v[40:41] op_sel:[1,1] op_sel_hi:[1,0]
	s_delay_alu instid0(VALU_DEP_1) | instskip(SKIP_1) | instid1(VALU_DEP_2)
	v_pk_fma_f32 v[96:97], v[38:39], v[40:41], v[42:43] op_sel_hi:[0,1,1]
	v_pk_fma_f32 v[38:39], v[38:39], v[40:41], v[42:43] neg_lo:[0,0,1] neg_hi:[0,0,1]
	v_mov_b32_e32 v39, v97
	s_delay_alu instid0(VALU_DEP_1)
	v_pk_add_f32 v[40:41], v[38:39], 0 neg_lo:[1,1] neg_hi:[1,1]
	ds_store_b64 v3, v[40:41]
.LBB53_895:                             ;   in Loop: Header=BB53_3 Depth=1
	s_or_b32 exec_lo, exec_lo, s52
	s_wait_dscnt 0x0
	s_barrier_signal -1
	s_barrier_wait -1
	s_barrier_signal -1
	s_barrier_wait -1
	s_and_saveexec_b32 s52, s0
; %bb.896:                              ;   in Loop: Header=BB53_3 Depth=1
	ds_store_b64 v49, v[38:39] offset:5696
; %bb.897:                              ;   in Loop: Header=BB53_3 Depth=1
	s_or_b32 exec_lo, exec_lo, s52
	s_wait_dscnt 0x0
	s_barrier_signal -1
	s_barrier_wait -1
	s_barrier_signal -1
	s_barrier_wait -1
	s_and_saveexec_b32 s52, s96
	s_cbranch_execz .LBB53_899
; %bb.898:                              ;   in Loop: Header=BB53_3 Depth=1
	ds_load_b64 v[38:39], v71 offset:5184
	s_wait_dscnt 0x0
	ds_store_b64 v70, v[38:39] offset:4176
	ds_load_b64 v[38:39], v71 offset:5192
	s_wait_dscnt 0x0
	ds_store_b64 v70, v[38:39] offset:4688
.LBB53_899:                             ;   in Loop: Header=BB53_3 Depth=1
	s_or_b32 exec_lo, exec_lo, s52
	s_wait_dscnt 0x0
	s_barrier_signal -1
	s_barrier_wait -1
	s_and_saveexec_b32 s52, s14
	s_cbranch_execz .LBB53_901
; %bb.900:                              ;   in Loop: Header=BB53_3 Depth=1
	v_add_nc_u32_e64 v0, 64, 0
	ds_load_b64 v[42:43], v1 offset:4680
	ds_load_2addr_stride64_b64 v[38:41], v0 offset0:8 offset1:9
	s_wait_dscnt 0x0
	v_dual_mul_f32 v95, v43, v39 :: v_dual_mul_f32 v0, v42, v39
	s_delay_alu instid0(VALU_DEP_1) | instskip(NEXT) | instid1(VALU_DEP_2)
	v_xor_b32_e32 v96, 0x80000000, v95
	v_fmac_f32_e32 v0, v43, v38
	s_delay_alu instid0(VALU_DEP_2) | instskip(NEXT) | instid1(VALU_DEP_2)
	v_fmac_f32_e32 v96, v42, v38
	v_pk_mul_f32 v[38:39], v[0:1], v[40:41] op_sel:[0,1] op_sel_hi:[0,0]
	v_add_nc_u32_e64 v0, 0x1000, 0
	s_delay_alu instid0(VALU_DEP_2) | instskip(SKIP_1) | instid1(VALU_DEP_2)
	v_pk_fma_f32 v[42:43], v[96:97], v[40:41], v[38:39] op_sel_hi:[0,1,1]
	v_pk_fma_f32 v[38:39], v[96:97], v[40:41], v[38:39] neg_lo:[0,0,1] neg_hi:[0,0,1]
	v_mov_b32_e32 v39, v43
	ds_store_2addr_b64 v0, v[38:39], v[38:39] offset0:9 offset1:72
.LBB53_901:                             ;   in Loop: Header=BB53_3 Depth=1
	s_or_b32 exec_lo, exec_lo, s52
	v_mov_b64_e32 v[38:39], 0
	s_wait_dscnt 0x0
	s_barrier_signal -1
	s_barrier_wait -1
	global_wb scope:SCOPE_DEV
	s_wait_storecnt 0x0
	global_inv scope:SCOPE_DEV
	s_and_saveexec_b32 s66, s3
	s_cbranch_execz .LBB53_911
; %bb.902:                              ;   in Loop: Header=BB53_3 Depth=1
	ds_load_b64 v[38:39], v58 offset:4096
	ds_load_b64 v[40:41], v59 offset:7744
	s_wait_dscnt 0x0
	v_dual_mul_f32 v0, v41, v39 :: v_dual_mul_f32 v39, v40, v39
	s_delay_alu instid0(VALU_DEP_1) | instskip(NEXT) | instid1(VALU_DEP_1)
	v_dual_fma_f32 v0, v40, v38, -v0 :: v_dual_fmac_f32 v39, v41, v38
	v_dual_add_f32 v38, 0, v0 :: v_dual_add_f32 v39, 0, v39
	s_and_saveexec_b32 s52, s18
	s_cbranch_execnz .LBB53_1152
; %bb.903:                              ;   in Loop: Header=BB53_3 Depth=1
	s_or_b32 exec_lo, exec_lo, s52
	s_and_saveexec_b32 s52, s19
	s_cbranch_execnz .LBB53_1153
.LBB53_904:                             ;   in Loop: Header=BB53_3 Depth=1
	s_or_b32 exec_lo, exec_lo, s52
	s_and_saveexec_b32 s52, s20
	s_cbranch_execnz .LBB53_1154
.LBB53_905:                             ;   in Loop: Header=BB53_3 Depth=1
	s_or_b32 exec_lo, exec_lo, s52
	s_and_saveexec_b32 s52, s21
	s_cbranch_execnz .LBB53_1155
.LBB53_906:                             ;   in Loop: Header=BB53_3 Depth=1
	s_or_b32 exec_lo, exec_lo, s52
	s_and_saveexec_b32 s52, s22
	s_cbranch_execnz .LBB53_1156
.LBB53_907:                             ;   in Loop: Header=BB53_3 Depth=1
	s_or_b32 exec_lo, exec_lo, s52
	s_and_saveexec_b32 s52, s2
	s_cbranch_execnz .LBB53_1157
.LBB53_908:                             ;   in Loop: Header=BB53_3 Depth=1
	s_or_b32 exec_lo, exec_lo, s52
	s_and_saveexec_b32 s52, s17
	s_cbranch_execz .LBB53_910
.LBB53_909:                             ;   in Loop: Header=BB53_3 Depth=1
	ds_load_b64 v[40:41], v72 offset:7680
	ds_load_b64 v[42:43], v1 offset:7800
	s_wait_dscnt 0x0
	v_dual_mul_f32 v0, v43, v41 :: v_dual_mul_f32 v97, v42, v41
	s_delay_alu instid0(VALU_DEP_1) | instskip(NEXT) | instid1(VALU_DEP_1)
	v_dual_fma_f32 v96, v42, v40, -v0 :: v_dual_fmac_f32 v97, v43, v40
	v_pk_add_f32 v[38:39], v[38:39], v[96:97]
.LBB53_910:                             ;   in Loop: Header=BB53_3 Depth=1
	s_or_b32 exec_lo, exec_lo, s52
.LBB53_911:                             ;   in Loop: Header=BB53_3 Depth=1
	s_delay_alu instid0(SALU_CYCLE_1)
	s_or_b32 exec_lo, exec_lo, s66
	s_and_saveexec_b32 s52, s104
	s_cbranch_execz .LBB53_913
; %bb.912:                              ;   in Loop: Header=BB53_3 Depth=1
	ds_load_b64 v[40:41], v1 offset:3640
	s_wait_dscnt 0x0
	v_pk_mul_f32 v[42:43], v[38:39], v[40:41] op_sel:[1,1] op_sel_hi:[1,0]
	s_delay_alu instid0(VALU_DEP_1) | instskip(SKIP_1) | instid1(VALU_DEP_2)
	v_pk_fma_f32 v[96:97], v[38:39], v[40:41], v[42:43] op_sel_hi:[0,1,1]
	v_pk_fma_f32 v[38:39], v[38:39], v[40:41], v[42:43] neg_lo:[0,0,1] neg_hi:[0,0,1]
	v_mov_b32_e32 v39, v97
	s_delay_alu instid0(VALU_DEP_1)
	v_pk_add_f32 v[40:41], v[38:39], 0 neg_lo:[1,1] neg_hi:[1,1]
	ds_store_b64 v57, v[40:41]
.LBB53_913:                             ;   in Loop: Header=BB53_3 Depth=1
	s_or_b32 exec_lo, exec_lo, s52
	s_wait_loadcnt_dscnt 0x0
	s_barrier_signal -1
	s_barrier_wait -1
	s_and_saveexec_b32 s52, vcc_hi
	s_cbranch_execz .LBB53_915
; %bb.914:                              ;   in Loop: Header=BB53_3 Depth=1
	ds_load_b64 v[40:41], v58 offset:3584
	ds_load_b64 v[42:43], v57
	s_wait_dscnt 0x0
	v_pk_mul_f32 v[96:97], v[42:43], v[40:41] op_sel:[1,1] op_sel_hi:[0,1]
	s_delay_alu instid0(VALU_DEP_1) | instskip(SKIP_1) | instid1(VALU_DEP_2)
	v_pk_fma_f32 v[98:99], v[42:43], v[40:41], v[96:97] op_sel_hi:[1,0,1]
	v_pk_fma_f32 v[40:41], v[42:43], v[40:41], v[96:97] neg_lo:[0,0,1] neg_hi:[0,0,1]
	v_mov_b32_e32 v41, v99
	s_delay_alu instid0(VALU_DEP_1)
	v_pk_add_f32 v[38:39], v[38:39], v[40:41] neg_lo:[0,1] neg_hi:[0,1]
.LBB53_915:                             ;   in Loop: Header=BB53_3 Depth=1
	s_or_b32 exec_lo, exec_lo, s52
	s_barrier_signal -1
	s_barrier_wait -1
	s_and_saveexec_b32 s52, s39
	s_cbranch_execz .LBB53_917
; %bb.916:                              ;   in Loop: Header=BB53_3 Depth=1
	ds_load_b64 v[40:41], v1 offset:3120
	s_wait_dscnt 0x0
	v_pk_mul_f32 v[42:43], v[38:39], v[40:41] op_sel:[1,1] op_sel_hi:[1,0]
	s_delay_alu instid0(VALU_DEP_1) | instskip(SKIP_1) | instid1(VALU_DEP_2)
	v_pk_fma_f32 v[96:97], v[38:39], v[40:41], v[42:43] op_sel_hi:[0,1,1]
	v_pk_fma_f32 v[38:39], v[38:39], v[40:41], v[42:43] neg_lo:[0,0,1] neg_hi:[0,0,1]
	v_mov_b32_e32 v39, v97
	s_delay_alu instid0(VALU_DEP_1)
	v_pk_add_f32 v[40:41], v[38:39], 0 neg_lo:[1,1] neg_hi:[1,1]
	ds_store_b64 v57, v[40:41]
.LBB53_917:                             ;   in Loop: Header=BB53_3 Depth=1
	s_or_b32 exec_lo, exec_lo, s52
	s_wait_dscnt 0x0
	s_barrier_signal -1
	s_barrier_wait -1
	s_and_saveexec_b32 s52, s40
	s_cbranch_execz .LBB53_919
; %bb.918:                              ;   in Loop: Header=BB53_3 Depth=1
	ds_load_b64 v[40:41], v58 offset:3072
	ds_load_b64 v[42:43], v57
	s_wait_dscnt 0x0
	v_pk_mul_f32 v[96:97], v[42:43], v[40:41] op_sel:[1,1] op_sel_hi:[0,1]
	s_delay_alu instid0(VALU_DEP_1) | instskip(SKIP_1) | instid1(VALU_DEP_2)
	v_pk_fma_f32 v[98:99], v[42:43], v[40:41], v[96:97] op_sel_hi:[1,0,1]
	v_pk_fma_f32 v[40:41], v[42:43], v[40:41], v[96:97] neg_lo:[0,0,1] neg_hi:[0,0,1]
	v_mov_b32_e32 v41, v99
	s_delay_alu instid0(VALU_DEP_1)
	v_pk_add_f32 v[38:39], v[38:39], v[40:41] neg_lo:[0,1] neg_hi:[0,1]
.LBB53_919:                             ;   in Loop: Header=BB53_3 Depth=1
	s_or_b32 exec_lo, exec_lo, s52
	s_barrier_signal -1
	s_barrier_wait -1
	s_and_saveexec_b32 s52, s41
	s_cbranch_execz .LBB53_921
; %bb.920:                              ;   in Loop: Header=BB53_3 Depth=1
	ds_load_b64 v[40:41], v1 offset:2600
	s_wait_dscnt 0x0
	v_pk_mul_f32 v[42:43], v[38:39], v[40:41] op_sel:[1,1] op_sel_hi:[1,0]
	s_delay_alu instid0(VALU_DEP_1) | instskip(SKIP_1) | instid1(VALU_DEP_2)
	v_pk_fma_f32 v[96:97], v[38:39], v[40:41], v[42:43] op_sel_hi:[0,1,1]
	v_pk_fma_f32 v[38:39], v[38:39], v[40:41], v[42:43] neg_lo:[0,0,1] neg_hi:[0,0,1]
	v_mov_b32_e32 v39, v97
	s_delay_alu instid0(VALU_DEP_1)
	v_pk_add_f32 v[40:41], v[38:39], 0 neg_lo:[1,1] neg_hi:[1,1]
	ds_store_b64 v57, v[40:41]
.LBB53_921:                             ;   in Loop: Header=BB53_3 Depth=1
	s_or_b32 exec_lo, exec_lo, s52
	s_wait_dscnt 0x0
	s_barrier_signal -1
	s_barrier_wait -1
	s_and_saveexec_b32 s52, s42
	s_cbranch_execz .LBB53_923
; %bb.922:                              ;   in Loop: Header=BB53_3 Depth=1
	ds_load_b64 v[40:41], v58 offset:2560
	ds_load_b64 v[42:43], v57
	s_wait_dscnt 0x0
	v_pk_mul_f32 v[96:97], v[42:43], v[40:41] op_sel:[1,1] op_sel_hi:[0,1]
	s_delay_alu instid0(VALU_DEP_1) | instskip(SKIP_1) | instid1(VALU_DEP_2)
	v_pk_fma_f32 v[98:99], v[42:43], v[40:41], v[96:97] op_sel_hi:[1,0,1]
	v_pk_fma_f32 v[40:41], v[42:43], v[40:41], v[96:97] neg_lo:[0,0,1] neg_hi:[0,0,1]
	v_mov_b32_e32 v41, v99
	s_delay_alu instid0(VALU_DEP_1)
	v_pk_add_f32 v[38:39], v[38:39], v[40:41] neg_lo:[0,1] neg_hi:[0,1]
.LBB53_923:                             ;   in Loop: Header=BB53_3 Depth=1
	s_or_b32 exec_lo, exec_lo, s52
	s_barrier_signal -1
	s_barrier_wait -1
	s_and_saveexec_b32 s52, s43
	s_cbranch_execz .LBB53_925
; %bb.924:                              ;   in Loop: Header=BB53_3 Depth=1
	ds_load_b64 v[40:41], v1 offset:2080
	s_wait_dscnt 0x0
	v_pk_mul_f32 v[42:43], v[38:39], v[40:41]
	v_pk_mul_f32 v[38:39], v[38:39], v[40:41] op_sel:[1,0] op_sel_hi:[0,1]
	s_delay_alu instid0(VALU_DEP_1) | instskip(NEXT) | instid1(VALU_DEP_3)
	v_dual_mov_b32 v40, v42 :: v_dual_mov_b32 v41, v38
	v_mov_b32_e32 v38, v43
	s_delay_alu instid0(VALU_DEP_1) | instskip(SKIP_1) | instid1(VALU_DEP_2)
	v_pk_add_f32 v[42:43], v[40:41], v[38:39]
	v_pk_add_f32 v[38:39], v[40:41], v[38:39] neg_lo:[0,1] neg_hi:[0,1]
	v_mov_b32_e32 v39, v43
	s_delay_alu instid0(VALU_DEP_1)
	v_pk_add_f32 v[40:41], v[38:39], 0 neg_lo:[1,1] neg_hi:[1,1]
	ds_store_b64 v57, v[40:41]
.LBB53_925:                             ;   in Loop: Header=BB53_3 Depth=1
	s_or_b32 exec_lo, exec_lo, s52
	s_wait_dscnt 0x0
	s_barrier_signal -1
	s_barrier_wait -1
	s_and_saveexec_b32 s52, s44
	s_cbranch_execz .LBB53_927
; %bb.926:                              ;   in Loop: Header=BB53_3 Depth=1
	ds_load_b64 v[40:41], v58 offset:2048
	ds_load_b64 v[42:43], v57
	s_wait_dscnt 0x0
	v_dual_mul_f32 v0, v43, v41 :: v_dual_mul_f32 v41, v42, v41
	s_delay_alu instid0(VALU_DEP_1) | instskip(NEXT) | instid1(VALU_DEP_1)
	v_dual_fma_f32 v0, v42, v40, -v0 :: v_dual_fmac_f32 v41, v43, v40
	v_dual_sub_f32 v38, v38, v0 :: v_dual_sub_f32 v39, v39, v41
.LBB53_927:                             ;   in Loop: Header=BB53_3 Depth=1
	s_or_b32 exec_lo, exec_lo, s52
	s_barrier_signal -1
	s_barrier_wait -1
	s_and_saveexec_b32 s52, s45
	s_cbranch_execz .LBB53_929
; %bb.928:                              ;   in Loop: Header=BB53_3 Depth=1
	ds_load_b64 v[40:41], v1 offset:1560
	s_wait_dscnt 0x0
	v_dual_mul_f32 v0, v39, v40 :: v_dual_mul_f32 v42, v39, v41
	s_delay_alu instid0(VALU_DEP_1) | instskip(NEXT) | instid1(VALU_DEP_2)
	v_pk_fma_f32 v[96:97], v[38:39], v[40:41], v[0:1] op_sel:[1,0,0] op_sel_hi:[0,1,0]
	v_pk_fma_f32 v[38:39], v[38:39], v[40:41], v[42:43] op_sel_hi:[1,1,0] neg_lo:[0,0,1] neg_hi:[0,0,1]
	s_delay_alu instid0(VALU_DEP_2) | instskip(NEXT) | instid1(VALU_DEP_1)
	v_mov_b32_e32 v39, v97
	v_pk_add_f32 v[40:41], v[38:39], 0 neg_lo:[1,1] neg_hi:[1,1]
	ds_store_b64 v57, v[40:41]
.LBB53_929:                             ;   in Loop: Header=BB53_3 Depth=1
	s_or_b32 exec_lo, exec_lo, s52
	s_wait_dscnt 0x0
	s_barrier_signal -1
	s_barrier_wait -1
	s_and_saveexec_b32 s52, s46
	s_cbranch_execz .LBB53_931
; %bb.930:                              ;   in Loop: Header=BB53_3 Depth=1
	ds_load_b64 v[40:41], v58 offset:1536
	ds_load_b64 v[42:43], v57
	s_wait_dscnt 0x0
	v_pk_mul_f32 v[96:97], v[42:43], v[40:41] op_sel:[1,1] op_sel_hi:[0,1]
	s_delay_alu instid0(VALU_DEP_1) | instskip(SKIP_1) | instid1(VALU_DEP_2)
	v_pk_fma_f32 v[98:99], v[42:43], v[40:41], v[96:97] op_sel_hi:[1,0,1]
	v_pk_fma_f32 v[40:41], v[42:43], v[40:41], v[96:97] neg_lo:[0,0,1] neg_hi:[0,0,1]
	v_mov_b32_e32 v41, v99
	s_delay_alu instid0(VALU_DEP_1)
	v_pk_add_f32 v[38:39], v[38:39], v[40:41] neg_lo:[0,1] neg_hi:[0,1]
.LBB53_931:                             ;   in Loop: Header=BB53_3 Depth=1
	s_or_b32 exec_lo, exec_lo, s52
	s_barrier_signal -1
	s_barrier_wait -1
	s_and_saveexec_b32 s52, s47
	s_cbranch_execz .LBB53_933
; %bb.932:                              ;   in Loop: Header=BB53_3 Depth=1
	ds_load_b64 v[40:41], v1 offset:1040
	s_wait_dscnt 0x0
	v_pk_mul_f32 v[42:43], v[38:39], v[40:41] op_sel:[1,1] op_sel_hi:[1,0]
	s_delay_alu instid0(VALU_DEP_1) | instskip(SKIP_1) | instid1(VALU_DEP_2)
	v_pk_fma_f32 v[96:97], v[38:39], v[40:41], v[42:43] op_sel_hi:[0,1,1]
	v_pk_fma_f32 v[38:39], v[38:39], v[40:41], v[42:43] neg_lo:[0,0,1] neg_hi:[0,0,1]
	v_mov_b32_e32 v39, v97
	s_delay_alu instid0(VALU_DEP_1)
	v_pk_add_f32 v[40:41], v[38:39], 0 neg_lo:[1,1] neg_hi:[1,1]
	ds_store_b64 v57, v[40:41]
.LBB53_933:                             ;   in Loop: Header=BB53_3 Depth=1
	s_or_b32 exec_lo, exec_lo, s52
	s_wait_dscnt 0x0
	s_barrier_signal -1
	s_barrier_wait -1
	s_and_saveexec_b32 s52, s48
	s_cbranch_execz .LBB53_935
; %bb.934:                              ;   in Loop: Header=BB53_3 Depth=1
	ds_load_b64 v[40:41], v58 offset:1024
	ds_load_b64 v[42:43], v57
	s_wait_dscnt 0x0
	v_pk_mul_f32 v[96:97], v[42:43], v[40:41] op_sel:[1,1] op_sel_hi:[0,1]
	s_delay_alu instid0(VALU_DEP_1) | instskip(SKIP_1) | instid1(VALU_DEP_2)
	v_pk_fma_f32 v[98:99], v[42:43], v[40:41], v[96:97] op_sel_hi:[1,0,1]
	v_pk_fma_f32 v[40:41], v[42:43], v[40:41], v[96:97] neg_lo:[0,0,1] neg_hi:[0,0,1]
	v_mov_b32_e32 v41, v99
	s_delay_alu instid0(VALU_DEP_1)
	v_pk_add_f32 v[38:39], v[38:39], v[40:41] neg_lo:[0,1] neg_hi:[0,1]
.LBB53_935:                             ;   in Loop: Header=BB53_3 Depth=1
	s_or_b32 exec_lo, exec_lo, s52
	s_barrier_signal -1
	s_barrier_wait -1
	s_and_saveexec_b32 s52, s49
	s_cbranch_execz .LBB53_937
; %bb.936:                              ;   in Loop: Header=BB53_3 Depth=1
	ds_load_b64 v[40:41], v1 offset:520
	s_wait_dscnt 0x0
	v_pk_mul_f32 v[42:43], v[38:39], v[40:41] op_sel:[1,1] op_sel_hi:[1,0]
	s_delay_alu instid0(VALU_DEP_1) | instskip(SKIP_1) | instid1(VALU_DEP_2)
	v_pk_fma_f32 v[96:97], v[38:39], v[40:41], v[42:43] op_sel_hi:[0,1,1]
	v_pk_fma_f32 v[38:39], v[38:39], v[40:41], v[42:43] neg_lo:[0,0,1] neg_hi:[0,0,1]
	v_mov_b32_e32 v39, v97
	s_delay_alu instid0(VALU_DEP_1)
	v_pk_add_f32 v[40:41], v[38:39], 0 neg_lo:[1,1] neg_hi:[1,1]
	ds_store_b64 v57, v[40:41]
.LBB53_937:                             ;   in Loop: Header=BB53_3 Depth=1
	s_or_b32 exec_lo, exec_lo, s52
	s_wait_dscnt 0x0
	s_barrier_signal -1
	s_barrier_wait -1
	s_and_saveexec_b32 s52, s50
	s_cbranch_execz .LBB53_939
; %bb.938:                              ;   in Loop: Header=BB53_3 Depth=1
	ds_load_b64 v[40:41], v1 offset:512
	ds_load_b64 v[42:43], v57
	s_wait_dscnt 0x0
	v_pk_mul_f32 v[96:97], v[42:43], v[40:41] op_sel:[1,1] op_sel_hi:[0,1]
	s_delay_alu instid0(VALU_DEP_1) | instskip(SKIP_1) | instid1(VALU_DEP_2)
	v_pk_fma_f32 v[98:99], v[42:43], v[40:41], v[96:97] op_sel_hi:[1,0,1]
	v_pk_fma_f32 v[40:41], v[42:43], v[40:41], v[96:97] neg_lo:[0,0,1] neg_hi:[0,0,1]
	v_mov_b32_e32 v41, v99
	s_delay_alu instid0(VALU_DEP_1)
	v_pk_add_f32 v[38:39], v[38:39], v[40:41] neg_lo:[0,1] neg_hi:[0,1]
.LBB53_939:                             ;   in Loop: Header=BB53_3 Depth=1
	s_or_b32 exec_lo, exec_lo, s52
	s_barrier_signal -1
	s_barrier_wait -1
	s_and_saveexec_b32 s52, s50
	s_cbranch_execz .LBB53_941
; %bb.940:                              ;   in Loop: Header=BB53_3 Depth=1
	ds_load_b64 v[40:41], v1
	s_wait_dscnt 0x0
	v_pk_mul_f32 v[42:43], v[38:39], v[40:41] op_sel:[1,1] op_sel_hi:[1,0]
	s_delay_alu instid0(VALU_DEP_1) | instskip(SKIP_1) | instid1(VALU_DEP_2)
	v_pk_fma_f32 v[96:97], v[38:39], v[40:41], v[42:43] op_sel_hi:[0,1,1]
	v_pk_fma_f32 v[38:39], v[38:39], v[40:41], v[42:43] neg_lo:[0,0,1] neg_hi:[0,0,1]
	v_mov_b32_e32 v39, v97
	s_delay_alu instid0(VALU_DEP_1)
	v_pk_add_f32 v[40:41], v[38:39], 0 neg_lo:[1,1] neg_hi:[1,1]
	ds_store_b64 v57, v[40:41]
.LBB53_941:                             ;   in Loop: Header=BB53_3 Depth=1
	s_or_b32 exec_lo, exec_lo, s52
	s_wait_dscnt 0x0
	s_barrier_signal -1
	s_barrier_wait -1
	s_barrier_signal -1
	s_barrier_wait -1
	s_and_saveexec_b32 s52, s3
; %bb.942:                              ;   in Loop: Header=BB53_3 Depth=1
	ds_store_b64 v60, v[38:39] offset:7680
; %bb.943:                              ;   in Loop: Header=BB53_3 Depth=1
	s_or_b32 exec_lo, exec_lo, s52
	s_wait_dscnt 0x0
	s_barrier_signal -1
	s_barrier_wait -1
	s_barrier_signal -1
	s_barrier_wait -1
	s_and_saveexec_b32 s52, s51
	s_cbranch_execz .LBB53_945
; %bb.944:                              ;   in Loop: Header=BB53_3 Depth=1
	ds_load_b64 v[38:39], v74 offset:4096
	s_wait_dscnt 0x0
	ds_store_b64 v75, v[38:39] offset:64
	ds_load_b64 v[38:39], v74 offset:4104
	s_wait_dscnt 0x0
	ds_store_b64 v75, v[38:39] offset:576
	;; [unrolled: 3-line block ×8, first 2 shown]
.LBB53_945:                             ;   in Loop: Header=BB53_3 Depth=1
	s_or_b32 exec_lo, exec_lo, s52
	s_wait_dscnt 0x0
	s_barrier_signal -1
	s_barrier_wait -1
	s_and_saveexec_b32 s52, s14
	s_cbranch_execz .LBB53_947
; %bb.946:                              ;   in Loop: Header=BB53_3 Depth=1
	v_add_nc_u32_e64 v0, 48, 0
	ds_load_b64 v[42:43], v1 offset:3640
	ds_load_2addr_stride64_b64 v[38:41], v0 offset0:6 offset1:7
	s_wait_dscnt 0x0
	v_dual_mul_f32 v95, v43, v39 :: v_dual_mul_f32 v0, v42, v39
	s_delay_alu instid0(VALU_DEP_1) | instskip(NEXT) | instid1(VALU_DEP_2)
	v_xor_b32_e32 v96, 0x80000000, v95
	v_fmac_f32_e32 v0, v43, v38
	s_delay_alu instid0(VALU_DEP_2) | instskip(NEXT) | instid1(VALU_DEP_2)
	v_fmac_f32_e32 v96, v42, v38
	v_pk_mul_f32 v[38:39], v[0:1], v[40:41] op_sel:[0,1] op_sel_hi:[0,0]
	v_add_nc_u32_e64 v0, 0x800, 0
	s_delay_alu instid0(VALU_DEP_2) | instskip(SKIP_1) | instid1(VALU_DEP_2)
	v_pk_fma_f32 v[42:43], v[96:97], v[40:41], v[38:39] op_sel_hi:[0,1,1]
	v_pk_fma_f32 v[38:39], v[96:97], v[40:41], v[38:39] neg_lo:[0,0,1] neg_hi:[0,0,1]
	v_mov_b32_e32 v39, v43
	ds_store_2addr_b64 v0, v[38:39], v[38:39] offset0:135 offset1:198
.LBB53_947:                             ;   in Loop: Header=BB53_3 Depth=1
	s_or_b32 exec_lo, exec_lo, s52
	v_dual_mov_b32 v38, 0 :: v_dual_mov_b32 v39, 0
	s_wait_dscnt 0x0
	s_barrier_signal -1
	s_barrier_wait -1
	global_wb scope:SCOPE_DEV
	s_wait_storecnt 0x0
	global_inv scope:SCOPE_DEV
	s_and_saveexec_b32 s66, s0
	s_cbranch_execz .LBB53_951
; %bb.948:                              ;   in Loop: Header=BB53_3 Depth=1
	ds_load_b64 v[38:39], v46 offset:3104
	ds_load_b64 v[40:41], v47 offset:3632
	s_wait_dscnt 0x0
	v_pk_mul_f32 v[42:43], v[40:41], v[38:39] op_sel:[1,1] op_sel_hi:[0,1]
	s_delay_alu instid0(VALU_DEP_1) | instskip(SKIP_1) | instid1(VALU_DEP_2)
	v_pk_fma_f32 v[96:97], v[40:41], v[38:39], v[42:43] op_sel_hi:[1,0,1]
	v_pk_fma_f32 v[38:39], v[40:41], v[38:39], v[42:43] neg_lo:[0,0,1] neg_hi:[0,0,1]
	v_mov_b32_e32 v39, v97
	s_delay_alu instid0(VALU_DEP_1)
	v_pk_add_f32 v[38:39], v[38:39], 0 op_sel_hi:[1,0]
	s_and_saveexec_b32 s52, s15
	s_cbranch_execz .LBB53_950
; %bb.949:                              ;   in Loop: Header=BB53_3 Depth=1
	ds_load_b64 v[40:41], v75 offset:3616
	ds_load_b64 v[42:43], v1 offset:3640
	s_wait_dscnt 0x0
	v_pk_mul_f32 v[96:97], v[42:43], v[40:41] op_sel:[1,1] op_sel_hi:[0,1]
	s_delay_alu instid0(VALU_DEP_1) | instskip(SKIP_1) | instid1(VALU_DEP_2)
	v_pk_fma_f32 v[98:99], v[42:43], v[40:41], v[96:97] op_sel_hi:[1,0,1]
	v_pk_fma_f32 v[40:41], v[42:43], v[40:41], v[96:97] neg_lo:[0,0,1] neg_hi:[0,0,1]
	v_mov_b32_e32 v41, v99
	s_delay_alu instid0(VALU_DEP_1)
	v_pk_add_f32 v[38:39], v[38:39], v[40:41]
.LBB53_950:                             ;   in Loop: Header=BB53_3 Depth=1
	s_or_b32 exec_lo, exec_lo, s52
.LBB53_951:                             ;   in Loop: Header=BB53_3 Depth=1
	s_delay_alu instid0(SALU_CYCLE_1)
	s_or_b32 exec_lo, exec_lo, s66
	s_and_saveexec_b32 s52, s94
	s_cbranch_execz .LBB53_953
; %bb.952:                              ;   in Loop: Header=BB53_3 Depth=1
	ds_load_b64 v[40:41], v1 offset:2600
	s_wait_dscnt 0x0
	v_pk_mul_f32 v[42:43], v[38:39], v[40:41] op_sel:[1,1] op_sel_hi:[1,0]
	s_delay_alu instid0(VALU_DEP_1) | instskip(SKIP_1) | instid1(VALU_DEP_2)
	v_pk_fma_f32 v[96:97], v[38:39], v[40:41], v[42:43] op_sel_hi:[0,1,1]
	v_pk_fma_f32 v[38:39], v[38:39], v[40:41], v[42:43] neg_lo:[0,0,1] neg_hi:[0,0,1]
	v_mov_b32_e32 v39, v97
	s_delay_alu instid0(VALU_DEP_1)
	v_pk_add_f32 v[40:41], v[38:39], 0 neg_lo:[1,1] neg_hi:[1,1]
	ds_store_b64 v3, v[40:41]
.LBB53_953:                             ;   in Loop: Header=BB53_3 Depth=1
	s_or_b32 exec_lo, exec_lo, s52
	s_wait_loadcnt_dscnt 0x0
	s_barrier_signal -1
	s_barrier_wait -1
	s_and_saveexec_b32 s52, s95
	s_cbranch_execz .LBB53_955
; %bb.954:                              ;   in Loop: Header=BB53_3 Depth=1
	ds_load_b64 v[40:41], v1 offset:2592
	ds_load_b64 v[42:43], v3
	s_wait_dscnt 0x0
	v_pk_mul_f32 v[96:97], v[42:43], v[40:41] op_sel:[1,1] op_sel_hi:[0,1]
	s_delay_alu instid0(VALU_DEP_1) | instskip(SKIP_1) | instid1(VALU_DEP_2)
	v_pk_fma_f32 v[98:99], v[42:43], v[40:41], v[96:97] op_sel_hi:[1,0,1]
	v_pk_fma_f32 v[40:41], v[42:43], v[40:41], v[96:97] neg_lo:[0,0,1] neg_hi:[0,0,1]
	v_mov_b32_e32 v41, v99
	s_delay_alu instid0(VALU_DEP_1)
	v_pk_add_f32 v[38:39], v[38:39], v[40:41] neg_lo:[0,1] neg_hi:[0,1]
.LBB53_955:                             ;   in Loop: Header=BB53_3 Depth=1
	s_or_b32 exec_lo, exec_lo, s52
	s_barrier_signal -1
	s_barrier_wait -1
	s_and_saveexec_b32 s52, s95
	s_cbranch_execz .LBB53_957
; %bb.956:                              ;   in Loop: Header=BB53_3 Depth=1
	ds_load_b64 v[40:41], v1 offset:2080
	s_wait_dscnt 0x0
	v_pk_mul_f32 v[42:43], v[38:39], v[40:41] op_sel:[1,1] op_sel_hi:[1,0]
	s_delay_alu instid0(VALU_DEP_1) | instskip(SKIP_1) | instid1(VALU_DEP_2)
	v_pk_fma_f32 v[96:97], v[38:39], v[40:41], v[42:43] op_sel_hi:[0,1,1]
	v_pk_fma_f32 v[38:39], v[38:39], v[40:41], v[42:43] neg_lo:[0,0,1] neg_hi:[0,0,1]
	v_mov_b32_e32 v39, v97
	s_delay_alu instid0(VALU_DEP_1)
	v_pk_add_f32 v[40:41], v[38:39], 0 neg_lo:[1,1] neg_hi:[1,1]
	ds_store_b64 v3, v[40:41]
.LBB53_957:                             ;   in Loop: Header=BB53_3 Depth=1
	s_or_b32 exec_lo, exec_lo, s52
	s_wait_dscnt 0x0
	s_barrier_signal -1
	s_barrier_wait -1
	s_barrier_signal -1
	s_barrier_wait -1
	s_and_saveexec_b32 s52, s0
; %bb.958:                              ;   in Loop: Header=BB53_3 Depth=1
	ds_store_b64 v49, v[38:39] offset:3616
; %bb.959:                              ;   in Loop: Header=BB53_3 Depth=1
	s_or_b32 exec_lo, exec_lo, s52
	s_wait_dscnt 0x0
	s_barrier_signal -1
	s_barrier_wait -1
	s_barrier_signal -1
	s_barrier_wait -1
	s_and_saveexec_b32 s52, s96
	s_cbranch_execz .LBB53_961
; %bb.960:                              ;   in Loop: Header=BB53_3 Depth=1
	ds_load_b64 v[38:39], v76 offset:3104
	s_wait_dscnt 0x0
	ds_store_b64 v75, v[38:39] offset:2096
	ds_load_b64 v[38:39], v76 offset:3112
	s_wait_dscnt 0x0
	ds_store_b64 v75, v[38:39] offset:2608
.LBB53_961:                             ;   in Loop: Header=BB53_3 Depth=1
	s_or_b32 exec_lo, exec_lo, s52
	s_wait_dscnt 0x0
	s_barrier_signal -1
	s_barrier_wait -1
	s_and_saveexec_b32 s52, s14
	s_cbranch_execz .LBB53_963
; %bb.962:                              ;   in Loop: Header=BB53_3 Depth=1
	v_add_nc_u32_e64 v0, 32, 0
	ds_load_b64 v[42:43], v1 offset:2600
	ds_load_2addr_stride64_b64 v[38:41], v0 offset0:4 offset1:5
	s_wait_dscnt 0x0
	v_dual_mul_f32 v95, v43, v39 :: v_dual_mul_f32 v0, v42, v39
	s_delay_alu instid0(VALU_DEP_1) | instskip(NEXT) | instid1(VALU_DEP_2)
	v_xor_b32_e32 v96, 0x80000000, v95
	v_fmac_f32_e32 v0, v43, v38
	s_delay_alu instid0(VALU_DEP_2) | instskip(NEXT) | instid1(VALU_DEP_2)
	v_fmac_f32_e32 v96, v42, v38
	v_pk_mul_f32 v[38:39], v[0:1], v[40:41] op_sel:[0,1] op_sel_hi:[0,0]
	v_add_nc_u32_e64 v0, 0x800, 0
	s_delay_alu instid0(VALU_DEP_2) | instskip(SKIP_1) | instid1(VALU_DEP_2)
	v_pk_fma_f32 v[42:43], v[96:97], v[40:41], v[38:39] op_sel_hi:[0,1,1]
	v_pk_fma_f32 v[38:39], v[96:97], v[40:41], v[38:39] neg_lo:[0,0,1] neg_hi:[0,0,1]
	v_mov_b32_e32 v39, v43
	ds_store_2addr_b64 v0, v[38:39], v[38:39] offset0:5 offset1:68
.LBB53_963:                             ;   in Loop: Header=BB53_3 Depth=1
	s_or_b32 exec_lo, exec_lo, s52
	v_mov_b64_e32 v[38:39], 0
	s_wait_dscnt 0x0
	s_barrier_signal -1
	s_barrier_wait -1
	global_wb scope:SCOPE_DEV
	s_wait_storecnt 0x0
	global_inv scope:SCOPE_DEV
	s_and_saveexec_b32 s66, s2
	s_cbranch_execz .LBB53_969
; %bb.964:                              ;   in Loop: Header=BB53_3 Depth=1
	ds_load_b64 v[38:39], v52 offset:2048
	ds_load_b64 v[40:41], v53 offset:3616
	s_wait_dscnt 0x0
	v_dual_mul_f32 v0, v41, v39 :: v_dual_mul_f32 v39, v40, v39
	s_delay_alu instid0(VALU_DEP_1) | instskip(NEXT) | instid1(VALU_DEP_1)
	v_dual_fma_f32 v0, v40, v38, -v0 :: v_dual_fmac_f32 v39, v41, v38
	v_dual_add_f32 v38, 0, v0 :: v_dual_add_f32 v39, 0, v39
	s_and_saveexec_b32 s52, s16
	s_cbranch_execnz .LBB53_1158
; %bb.965:                              ;   in Loop: Header=BB53_3 Depth=1
	s_or_b32 exec_lo, exec_lo, s52
	s_and_saveexec_b32 s52, s17
	s_cbranch_execnz .LBB53_1159
.LBB53_966:                             ;   in Loop: Header=BB53_3 Depth=1
	s_or_b32 exec_lo, exec_lo, s52
	s_and_saveexec_b32 s52, s0
	s_cbranch_execz .LBB53_968
.LBB53_967:                             ;   in Loop: Header=BB53_3 Depth=1
	ds_load_b64 v[40:41], v77 offset:3584
	ds_load_b64 v[42:43], v1 offset:3640
	s_wait_dscnt 0x0
	v_dual_mul_f32 v0, v43, v41 :: v_dual_mul_f32 v41, v42, v41
	s_delay_alu instid0(VALU_DEP_1) | instskip(NEXT) | instid1(VALU_DEP_1)
	v_dual_fma_f32 v0, v42, v40, -v0 :: v_dual_fmac_f32 v41, v43, v40
	v_dual_add_f32 v38, v38, v0 :: v_dual_add_f32 v39, v39, v41
.LBB53_968:                             ;   in Loop: Header=BB53_3 Depth=1
	s_or_b32 exec_lo, exec_lo, s52
.LBB53_969:                             ;   in Loop: Header=BB53_3 Depth=1
	s_delay_alu instid0(SALU_CYCLE_1)
	s_or_b32 exec_lo, exec_lo, s66
	s_and_saveexec_b32 s52, s97
	s_cbranch_execz .LBB53_971
; %bb.970:                              ;   in Loop: Header=BB53_3 Depth=1
	ds_load_b64 v[40:41], v1 offset:1560
	s_wait_dscnt 0x0
	v_dual_mul_f32 v0, v39, v40 :: v_dual_mul_f32 v42, v39, v41
	s_delay_alu instid0(VALU_DEP_1) | instskip(NEXT) | instid1(VALU_DEP_2)
	v_pk_fma_f32 v[96:97], v[38:39], v[40:41], v[0:1] op_sel:[1,0,0] op_sel_hi:[0,1,0]
	v_pk_fma_f32 v[38:39], v[38:39], v[40:41], v[42:43] op_sel_hi:[1,1,0] neg_lo:[0,0,1] neg_hi:[0,0,1]
	s_delay_alu instid0(VALU_DEP_2) | instskip(NEXT) | instid1(VALU_DEP_1)
	v_mov_b32_e32 v39, v97
	v_pk_add_f32 v[40:41], v[38:39], 0 neg_lo:[1,1] neg_hi:[1,1]
	ds_store_b64 v51, v[40:41]
.LBB53_971:                             ;   in Loop: Header=BB53_3 Depth=1
	s_or_b32 exec_lo, exec_lo, s52
	s_wait_loadcnt_dscnt 0x0
	s_barrier_signal -1
	s_barrier_wait -1
	s_and_saveexec_b32 s52, s98
	s_cbranch_execz .LBB53_973
; %bb.972:                              ;   in Loop: Header=BB53_3 Depth=1
	ds_load_b64 v[40:41], v52 offset:1536
	ds_load_b64 v[42:43], v51
	s_wait_dscnt 0x0
	v_pk_mul_f32 v[96:97], v[42:43], v[40:41] op_sel:[1,1] op_sel_hi:[0,1]
	s_delay_alu instid0(VALU_DEP_1) | instskip(SKIP_1) | instid1(VALU_DEP_2)
	v_pk_fma_f32 v[98:99], v[42:43], v[40:41], v[96:97] op_sel_hi:[1,0,1]
	v_pk_fma_f32 v[40:41], v[42:43], v[40:41], v[96:97] neg_lo:[0,0,1] neg_hi:[0,0,1]
	v_mov_b32_e32 v41, v99
	s_delay_alu instid0(VALU_DEP_1)
	v_pk_add_f32 v[38:39], v[38:39], v[40:41] neg_lo:[0,1] neg_hi:[0,1]
.LBB53_973:                             ;   in Loop: Header=BB53_3 Depth=1
	s_or_b32 exec_lo, exec_lo, s52
	s_barrier_signal -1
	s_barrier_wait -1
	s_and_saveexec_b32 s52, s99
	s_cbranch_execz .LBB53_975
; %bb.974:                              ;   in Loop: Header=BB53_3 Depth=1
	ds_load_b64 v[40:41], v1 offset:1040
	s_wait_dscnt 0x0
	v_pk_mul_f32 v[42:43], v[38:39], v[40:41] op_sel:[1,1] op_sel_hi:[1,0]
	s_delay_alu instid0(VALU_DEP_1) | instskip(SKIP_1) | instid1(VALU_DEP_2)
	v_pk_fma_f32 v[96:97], v[38:39], v[40:41], v[42:43] op_sel_hi:[0,1,1]
	v_pk_fma_f32 v[38:39], v[38:39], v[40:41], v[42:43] neg_lo:[0,0,1] neg_hi:[0,0,1]
	v_mov_b32_e32 v39, v97
	s_delay_alu instid0(VALU_DEP_1)
	v_pk_add_f32 v[40:41], v[38:39], 0 neg_lo:[1,1] neg_hi:[1,1]
	ds_store_b64 v51, v[40:41]
.LBB53_975:                             ;   in Loop: Header=BB53_3 Depth=1
	s_or_b32 exec_lo, exec_lo, s52
	s_wait_dscnt 0x0
	s_barrier_signal -1
	s_barrier_wait -1
	s_and_saveexec_b32 s52, s100
	s_cbranch_execz .LBB53_977
; %bb.976:                              ;   in Loop: Header=BB53_3 Depth=1
	ds_load_b64 v[40:41], v52 offset:1024
	ds_load_b64 v[42:43], v51
	s_wait_dscnt 0x0
	v_pk_mul_f32 v[96:97], v[42:43], v[40:41] op_sel:[1,1] op_sel_hi:[0,1]
	s_delay_alu instid0(VALU_DEP_1) | instskip(SKIP_1) | instid1(VALU_DEP_2)
	v_pk_fma_f32 v[98:99], v[42:43], v[40:41], v[96:97] op_sel_hi:[1,0,1]
	v_pk_fma_f32 v[40:41], v[42:43], v[40:41], v[96:97] neg_lo:[0,0,1] neg_hi:[0,0,1]
	v_mov_b32_e32 v41, v99
	s_delay_alu instid0(VALU_DEP_1)
	v_pk_add_f32 v[38:39], v[38:39], v[40:41] neg_lo:[0,1] neg_hi:[0,1]
.LBB53_977:                             ;   in Loop: Header=BB53_3 Depth=1
	s_or_b32 exec_lo, exec_lo, s52
	s_barrier_signal -1
	s_barrier_wait -1
	s_and_saveexec_b32 s52, s101
	s_cbranch_execz .LBB53_979
; %bb.978:                              ;   in Loop: Header=BB53_3 Depth=1
	ds_load_b64 v[40:41], v1 offset:520
	s_wait_dscnt 0x0
	v_pk_mul_f32 v[42:43], v[38:39], v[40:41] op_sel:[1,1] op_sel_hi:[1,0]
	s_delay_alu instid0(VALU_DEP_1) | instskip(SKIP_1) | instid1(VALU_DEP_2)
	v_pk_fma_f32 v[96:97], v[38:39], v[40:41], v[42:43] op_sel_hi:[0,1,1]
	v_pk_fma_f32 v[38:39], v[38:39], v[40:41], v[42:43] neg_lo:[0,0,1] neg_hi:[0,0,1]
	v_mov_b32_e32 v39, v97
	s_delay_alu instid0(VALU_DEP_1)
	v_pk_add_f32 v[40:41], v[38:39], 0 neg_lo:[1,1] neg_hi:[1,1]
	ds_store_b64 v51, v[40:41]
.LBB53_979:                             ;   in Loop: Header=BB53_3 Depth=1
	s_or_b32 exec_lo, exec_lo, s52
	s_wait_dscnt 0x0
	s_barrier_signal -1
	s_barrier_wait -1
	s_and_saveexec_b32 s52, s102
	s_cbranch_execz .LBB53_981
; %bb.980:                              ;   in Loop: Header=BB53_3 Depth=1
	ds_load_b64 v[40:41], v1 offset:512
	ds_load_b64 v[42:43], v51
	s_wait_dscnt 0x0
	v_pk_mul_f32 v[96:97], v[42:43], v[40:41] op_sel:[1,1] op_sel_hi:[0,1]
	s_delay_alu instid0(VALU_DEP_1) | instskip(SKIP_1) | instid1(VALU_DEP_2)
	v_pk_fma_f32 v[98:99], v[42:43], v[40:41], v[96:97] op_sel_hi:[1,0,1]
	v_pk_fma_f32 v[40:41], v[42:43], v[40:41], v[96:97] neg_lo:[0,0,1] neg_hi:[0,0,1]
	v_mov_b32_e32 v41, v99
	s_delay_alu instid0(VALU_DEP_1)
	v_pk_add_f32 v[38:39], v[38:39], v[40:41] neg_lo:[0,1] neg_hi:[0,1]
.LBB53_981:                             ;   in Loop: Header=BB53_3 Depth=1
	s_or_b32 exec_lo, exec_lo, s52
	s_barrier_signal -1
	s_barrier_wait -1
	s_and_saveexec_b32 s52, s102
	s_cbranch_execz .LBB53_983
; %bb.982:                              ;   in Loop: Header=BB53_3 Depth=1
	ds_load_b64 v[40:41], v1
	s_wait_dscnt 0x0
	v_pk_mul_f32 v[42:43], v[38:39], v[40:41] op_sel:[1,1] op_sel_hi:[1,0]
	s_delay_alu instid0(VALU_DEP_1) | instskip(SKIP_1) | instid1(VALU_DEP_2)
	v_pk_fma_f32 v[96:97], v[38:39], v[40:41], v[42:43] op_sel_hi:[0,1,1]
	v_pk_fma_f32 v[38:39], v[38:39], v[40:41], v[42:43] neg_lo:[0,0,1] neg_hi:[0,0,1]
	v_mov_b32_e32 v39, v97
	s_delay_alu instid0(VALU_DEP_1)
	v_pk_add_f32 v[40:41], v[38:39], 0 neg_lo:[1,1] neg_hi:[1,1]
	ds_store_b64 v51, v[40:41]
.LBB53_983:                             ;   in Loop: Header=BB53_3 Depth=1
	s_or_b32 exec_lo, exec_lo, s52
	s_wait_dscnt 0x0
	s_barrier_signal -1
	s_barrier_wait -1
	s_barrier_signal -1
	s_barrier_wait -1
	s_and_saveexec_b32 s52, s2
; %bb.984:                              ;   in Loop: Header=BB53_3 Depth=1
	ds_store_b64 v56, v[38:39] offset:3584
; %bb.985:                              ;   in Loop: Header=BB53_3 Depth=1
	s_or_b32 exec_lo, exec_lo, s52
	s_wait_dscnt 0x0
	s_barrier_signal -1
	s_barrier_wait -1
	s_barrier_signal -1
	s_barrier_wait -1
	s_and_saveexec_b32 s52, s103
	s_cbranch_execz .LBB53_987
; %bb.986:                              ;   in Loop: Header=BB53_3 Depth=1
	ds_load_b64 v[38:39], v80 offset:2048
	s_wait_dscnt 0x0
	ds_store_b64 v83, v[38:39] offset:32
	ds_load_b64 v[38:39], v80 offset:2056
	s_wait_dscnt 0x0
	ds_store_b64 v83, v[38:39] offset:544
	;; [unrolled: 3-line block ×4, first 2 shown]
.LBB53_987:                             ;   in Loop: Header=BB53_3 Depth=1
	s_or_b32 exec_lo, exec_lo, s52
	s_wait_dscnt 0x0
	s_barrier_signal -1
	s_barrier_wait -1
	s_and_saveexec_b32 s52, s14
	s_cbranch_execz .LBB53_989
; %bb.988:                              ;   in Loop: Header=BB53_3 Depth=1
	ds_load_2addr_b64 v[38:41], v1 offset0:130 offset1:194
	ds_load_b64 v[42:43], v1 offset:1560
	s_wait_dscnt 0x0
	v_dual_mul_f32 v95, v43, v39 :: v_dual_mul_f32 v0, v42, v39
	s_delay_alu instid0(VALU_DEP_1) | instskip(NEXT) | instid1(VALU_DEP_2)
	v_xor_b32_e32 v96, 0x80000000, v95
	v_fmac_f32_e32 v0, v43, v38
	s_delay_alu instid0(VALU_DEP_2) | instskip(NEXT) | instid1(VALU_DEP_2)
	v_fmac_f32_e32 v96, v42, v38
	v_pk_mul_f32 v[38:39], v[0:1], v[40:41] op_sel:[0,1] op_sel_hi:[0,0]
	s_delay_alu instid0(VALU_DEP_1) | instskip(SKIP_1) | instid1(VALU_DEP_2)
	v_pk_fma_f32 v[42:43], v[96:97], v[40:41], v[38:39] op_sel_hi:[0,1,1]
	v_pk_fma_f32 v[38:39], v[96:97], v[40:41], v[38:39] neg_lo:[0,0,1] neg_hi:[0,0,1]
	v_mov_b32_e32 v39, v43
	ds_store_2addr_b64 v1, v[38:39], v[38:39] offset0:131 offset1:194
.LBB53_989:                             ;   in Loop: Header=BB53_3 Depth=1
	s_or_b32 exec_lo, exec_lo, s52
	v_dual_mov_b32 v38, 0 :: v_dual_mov_b32 v39, 0
	s_wait_dscnt 0x0
	s_barrier_signal -1
	s_barrier_wait -1
	global_wb scope:SCOPE_DEV
	s_wait_storecnt 0x0
	global_inv scope:SCOPE_DEV
	s_and_saveexec_b32 s66, s0
	s_cbranch_execz .LBB53_993
; %bb.990:                              ;   in Loop: Header=BB53_3 Depth=1
	ds_load_b64 v[38:39], v46 offset:1024
	ds_load_b64 v[40:41], v47 offset:1552
	s_wait_dscnt 0x0
	v_pk_mul_f32 v[42:43], v[40:41], v[38:39] op_sel:[1,1] op_sel_hi:[0,1]
	s_delay_alu instid0(VALU_DEP_1) | instskip(SKIP_1) | instid1(VALU_DEP_2)
	v_pk_fma_f32 v[96:97], v[40:41], v[38:39], v[42:43] op_sel_hi:[1,0,1]
	v_pk_fma_f32 v[38:39], v[40:41], v[38:39], v[42:43] neg_lo:[0,0,1] neg_hi:[0,0,1]
	v_mov_b32_e32 v39, v97
	s_delay_alu instid0(VALU_DEP_1)
	v_pk_add_f32 v[38:39], v[38:39], 0 op_sel_hi:[1,0]
	s_and_saveexec_b32 s52, s15
	s_cbranch_execz .LBB53_992
; %bb.991:                              ;   in Loop: Header=BB53_3 Depth=1
	ds_load_b64 v[40:41], v83 offset:1536
	ds_load_b64 v[42:43], v1 offset:1560
	s_wait_dscnt 0x0
	v_pk_mul_f32 v[96:97], v[42:43], v[40:41] op_sel:[1,1] op_sel_hi:[0,1]
	s_delay_alu instid0(VALU_DEP_1) | instskip(SKIP_1) | instid1(VALU_DEP_2)
	v_pk_fma_f32 v[98:99], v[42:43], v[40:41], v[96:97] op_sel_hi:[1,0,1]
	v_pk_fma_f32 v[40:41], v[42:43], v[40:41], v[96:97] neg_lo:[0,0,1] neg_hi:[0,0,1]
	v_mov_b32_e32 v41, v99
	s_delay_alu instid0(VALU_DEP_1)
	v_pk_add_f32 v[38:39], v[38:39], v[40:41]
.LBB53_992:                             ;   in Loop: Header=BB53_3 Depth=1
	s_or_b32 exec_lo, exec_lo, s52
.LBB53_993:                             ;   in Loop: Header=BB53_3 Depth=1
	s_delay_alu instid0(SALU_CYCLE_1)
	s_or_b32 exec_lo, exec_lo, s66
	s_and_saveexec_b32 s52, s94
	s_cbranch_execz .LBB53_995
; %bb.994:                              ;   in Loop: Header=BB53_3 Depth=1
	ds_load_b64 v[40:41], v1 offset:520
	s_wait_dscnt 0x0
	v_pk_mul_f32 v[42:43], v[38:39], v[40:41] op_sel:[1,1] op_sel_hi:[1,0]
	s_delay_alu instid0(VALU_DEP_1) | instskip(SKIP_1) | instid1(VALU_DEP_2)
	v_pk_fma_f32 v[96:97], v[38:39], v[40:41], v[42:43] op_sel_hi:[0,1,1]
	v_pk_fma_f32 v[38:39], v[38:39], v[40:41], v[42:43] neg_lo:[0,0,1] neg_hi:[0,0,1]
	v_mov_b32_e32 v39, v97
	s_delay_alu instid0(VALU_DEP_1)
	v_pk_add_f32 v[40:41], v[38:39], 0 neg_lo:[1,1] neg_hi:[1,1]
	ds_store_b64 v3, v[40:41]
.LBB53_995:                             ;   in Loop: Header=BB53_3 Depth=1
	s_or_b32 exec_lo, exec_lo, s52
	s_wait_loadcnt_dscnt 0x0
	s_barrier_signal -1
	s_barrier_wait -1
	s_and_saveexec_b32 s52, s95
	s_cbranch_execz .LBB53_997
; %bb.996:                              ;   in Loop: Header=BB53_3 Depth=1
	ds_load_b64 v[40:41], v1 offset:512
	ds_load_b64 v[42:43], v3
	s_wait_dscnt 0x0
	v_pk_mul_f32 v[96:97], v[42:43], v[40:41] op_sel:[1,1] op_sel_hi:[0,1]
	s_delay_alu instid0(VALU_DEP_1) | instskip(SKIP_1) | instid1(VALU_DEP_2)
	v_pk_fma_f32 v[98:99], v[42:43], v[40:41], v[96:97] op_sel_hi:[1,0,1]
	v_pk_fma_f32 v[40:41], v[42:43], v[40:41], v[96:97] neg_lo:[0,0,1] neg_hi:[0,0,1]
	v_mov_b32_e32 v41, v99
	s_delay_alu instid0(VALU_DEP_1)
	v_pk_add_f32 v[38:39], v[38:39], v[40:41] neg_lo:[0,1] neg_hi:[0,1]
.LBB53_997:                             ;   in Loop: Header=BB53_3 Depth=1
	s_or_b32 exec_lo, exec_lo, s52
	s_barrier_signal -1
	s_barrier_wait -1
	s_and_saveexec_b32 s52, s95
	s_cbranch_execz .LBB53_999
; %bb.998:                              ;   in Loop: Header=BB53_3 Depth=1
	ds_load_b64 v[40:41], v1
	s_wait_dscnt 0x0
	v_pk_mul_f32 v[42:43], v[38:39], v[40:41] op_sel:[1,1] op_sel_hi:[1,0]
	s_delay_alu instid0(VALU_DEP_1) | instskip(SKIP_1) | instid1(VALU_DEP_2)
	v_pk_fma_f32 v[96:97], v[38:39], v[40:41], v[42:43] op_sel_hi:[0,1,1]
	v_pk_fma_f32 v[38:39], v[38:39], v[40:41], v[42:43] neg_lo:[0,0,1] neg_hi:[0,0,1]
	v_mov_b32_e32 v39, v97
	s_delay_alu instid0(VALU_DEP_1)
	v_pk_add_f32 v[40:41], v[38:39], 0 neg_lo:[1,1] neg_hi:[1,1]
	ds_store_b64 v3, v[40:41]
.LBB53_999:                             ;   in Loop: Header=BB53_3 Depth=1
	s_or_b32 exec_lo, exec_lo, s52
	s_wait_dscnt 0x0
	s_barrier_signal -1
	s_barrier_wait -1
	s_barrier_signal -1
	s_barrier_wait -1
	s_and_saveexec_b32 s52, s0
; %bb.1000:                             ;   in Loop: Header=BB53_3 Depth=1
	ds_store_b64 v49, v[38:39] offset:1536
; %bb.1001:                             ;   in Loop: Header=BB53_3 Depth=1
	s_or_b32 exec_lo, exec_lo, s52
	s_wait_dscnt 0x0
	s_barrier_signal -1
	s_barrier_wait -1
	s_barrier_signal -1
	s_barrier_wait -1
	s_and_saveexec_b32 s52, s96
	s_cbranch_execz .LBB53_1003
; %bb.1002:                             ;   in Loop: Header=BB53_3 Depth=1
	ds_load_b64 v[38:39], v84 offset:1024
	s_wait_dscnt 0x0
	ds_store_b64 v83, v[38:39] offset:16
	ds_load_b64 v[38:39], v84 offset:1032
	s_wait_dscnt 0x0
	ds_store_b64 v83, v[38:39] offset:528
.LBB53_1003:                            ;   in Loop: Header=BB53_3 Depth=1
	s_or_b32 exec_lo, exec_lo, s52
	s_wait_dscnt 0x0
	s_barrier_signal -1
	s_barrier_wait -1
	s_and_saveexec_b32 s52, s14
	s_cbranch_execz .LBB53_1005
; %bb.1004:                             ;   in Loop: Header=BB53_3 Depth=1
	ds_load_2addr_stride64_b64 v[38:41], v1 offset1:1
	ds_load_b64 v[42:43], v1 offset:520
	s_wait_dscnt 0x0
	v_dual_mul_f32 v95, v43, v39 :: v_dual_mul_f32 v0, v42, v39
	s_delay_alu instid0(VALU_DEP_1) | instskip(NEXT) | instid1(VALU_DEP_2)
	v_xor_b32_e32 v96, 0x80000000, v95
	v_fmac_f32_e32 v0, v43, v38
	s_delay_alu instid0(VALU_DEP_2) | instskip(NEXT) | instid1(VALU_DEP_2)
	v_fmac_f32_e32 v96, v42, v38
	v_pk_mul_f32 v[38:39], v[0:1], v[40:41] op_sel:[0,1] op_sel_hi:[0,0]
	s_delay_alu instid0(VALU_DEP_1) | instskip(SKIP_1) | instid1(VALU_DEP_2)
	v_pk_fma_f32 v[42:43], v[96:97], v[40:41], v[38:39] op_sel_hi:[0,1,1]
	v_pk_fma_f32 v[38:39], v[96:97], v[40:41], v[38:39] neg_lo:[0,0,1] neg_hi:[0,0,1]
	v_mov_b32_e32 v39, v43
	ds_store_2addr_b64 v1, v[38:39], v[38:39] offset0:1 offset1:64
.LBB53_1005:                            ;   in Loop: Header=BB53_3 Depth=1
	s_or_b32 exec_lo, exec_lo, s52
.LBB53_1006:                            ;   in Loop: Header=BB53_3 Depth=1
	v_readlane_b32 s52, v105, 2
	v_mov_b64_e32 v[38:39], 0
	v_readlane_b32 s53, v105, 3
	s_mul_u64 s[66:67], s[80:81], s[84:85]
	s_wait_dscnt 0x0
	s_lshl_b64 s[66:67], s[66:67], 3
	s_barrier_signal -1
	s_add_nc_u64 s[68:69], s[52:53], s[66:67]
	s_barrier_wait -1
	s_and_saveexec_b32 s52, s10
	s_cbranch_execz .LBB53_1008
; %bb.1007:                             ;   in Loop: Header=BB53_3 Depth=1
	v_lshl_add_u64 v[38:39], v[10:11], 3, s[68:69]
	global_load_b64 v[38:39], v[38:39], off
	s_wait_loadcnt 0x0
	v_pk_mul_f32 v[40:41], v[36:37], v[38:39] op_sel:[1,0] neg_lo:[1,0]
	s_delay_alu instid0(VALU_DEP_1)
	v_pk_fma_f32 v[38:39], v[36:37], v[38:39], v[40:41] op_sel:[0,0,1] op_sel_hi:[0,1,0] neg_lo:[1,0,0] neg_hi:[1,0,0]
.LBB53_1008:                            ;   in Loop: Header=BB53_3 Depth=1
	s_or_b32 exec_lo, exec_lo, s52
	s_delay_alu instid0(SALU_CYCLE_1)
	s_and_not1_b32 vcc_lo, exec_lo, s11
	s_cbranch_vccnz .LBB53_1027
; %bb.1009:                             ;   in Loop: Header=BB53_3 Depth=1
	v_mov_b32_e32 v40, -1
	s_lshl_b64 s[66:67], s[84:85], 2
	s_delay_alu instid0(SALU_CYCLE_1)
	s_add_nc_u64 s[86:87], s[82:83], s[66:67]
	s_mov_b32 s67, 0
	s_branch .LBB53_1011
.LBB53_1010:                            ;   in Loop: Header=BB53_1011 Depth=2
	s_or_b32 exec_lo, exec_lo, s52
	s_add_co_i32 s67, s67, 1
	s_delay_alu instid0(SALU_CYCLE_1)
	s_cmp_eq_u32 s67, s90
	s_cbranch_scc1 .LBB53_1027
.LBB53_1011:                            ;   Parent Loop BB53_3 Depth=1
                                        ; =>  This Loop Header: Depth=2
                                        ;       Child Loop BB53_1013 Depth 3
	v_cmp_gt_i32_e32 vcc_lo, s67, v40
	s_and_b32 s66, s36, vcc_lo
	s_delay_alu instid0(SALU_CYCLE_1)
	s_and_saveexec_b32 s52, s66
	s_cbranch_execz .LBB53_1014
; %bb.1012:                             ;   in Loop: Header=BB53_1011 Depth=2
	global_load_b32 v40, v1, s[86:87]
	s_wait_loadcnt 0x0
	v_cmp_le_i32_e32 vcc_lo, s67, v40
	s_cbranch_vccnz .LBB53_1014
.LBB53_1013:                            ;   Parent Loop BB53_3 Depth=1
                                        ;     Parent Loop BB53_1011 Depth=2
                                        ; =>    This Inner Loop Header: Depth=3
	global_wb scope:SCOPE_DEV
	s_wait_storecnt 0x0
	global_inv scope:SCOPE_DEV
	global_load_b32 v40, v1, s[86:87]
	s_wait_loadcnt 0x0
	v_cmp_gt_i32_e32 vcc_lo, s67, v40
	s_cbranch_vccnz .LBB53_1013
.LBB53_1014:                            ;   in Loop: Header=BB53_1011 Depth=2
	s_or_b32 exec_lo, exec_lo, s52
	s_lshl_b32 s66, s67, 6
	global_wb scope:SCOPE_DEV
	s_wait_storecnt 0x0
	global_inv scope:SCOPE_DEV
	s_wait_loadcnt 0x0
	s_barrier_signal -1
	s_barrier_wait -1
	s_and_saveexec_b32 s52, s37
	s_cbranch_execz .LBB53_1019
; %bb.1015:                             ;   in Loop: Header=BB53_1011 Depth=2
	v_or_b32_e32 v0, s66, v4
	s_delay_alu instid0(VALU_DEP_1) | instskip(SKIP_1) | instid1(SALU_CYCLE_1)
	v_cmp_le_i32_e32 vcc_lo, s89, v0
	s_and_saveexec_b32 s53, vcc_lo
	s_xor_b32 vcc_lo, exec_lo, s53
; %bb.1016:                             ;   in Loop: Header=BB53_1011 Depth=2
	ds_store_b64 v88, v[32:33]
; %bb.1017:                             ;   in Loop: Header=BB53_1011 Depth=2
	s_and_not1_saveexec_b32 s53, vcc_lo
	s_cbranch_execz .LBB53_1019
; %bb.1018:                             ;   in Loop: Header=BB53_1011 Depth=2
	v_mul_u64_e32 v[36:37], s[78:79], v[0:1]
	s_delay_alu instid0(VALU_DEP_1)
	v_lshl_add_u64 v[36:37], v[36:37], 3, s[68:69]
	global_load_b64 v[36:37], v[36:37], off
	s_wait_loadcnt 0x0
	ds_store_b64 v88, v[36:37]
.LBB53_1019:                            ;   in Loop: Header=BB53_1011 Depth=2
	s_or_b32 exec_lo, exec_lo, s52
	v_add_nc_u32_e32 v0, s66, v44
	s_wait_dscnt 0x0
	v_cmp_eq_u32_e32 vcc_lo, s67, v45
	s_barrier_signal -1
	s_barrier_wait -1
	v_cmp_gt_i32_e64 s66, s89, v0
	v_lshl_add_u64 v[36:37], v[0:1], 3, v[34:35]
	s_and_b32 s53, s66, s5
	s_delay_alu instid0(SALU_CYCLE_1)
	s_and_saveexec_b32 s52, s53
	s_cbranch_execz .LBB53_1021
; %bb.1020:                             ;   in Loop: Header=BB53_1011 Depth=2
	s_delay_alu instid0(VALU_DEP_1) | instskip(SKIP_4) | instid1(VALU_DEP_1)
	v_dual_cndmask_b32 v43, v37, v23 :: v_dual_cndmask_b32 v42, v36, v22
	ds_load_b64 v[96:97], v85
	flat_load_b64 v[42:43], v[42:43]
	s_wait_loadcnt_dscnt 0x0
	v_dual_mul_f32 v41, v97, v43 :: v_dual_mul_f32 v43, v96, v43
	v_dual_fma_f32 v41, v96, v42, -v41 :: v_dual_fmac_f32 v43, v97, v42
	s_delay_alu instid0(VALU_DEP_1)
	v_dual_add_f32 v38, v38, v41 :: v_dual_add_f32 v39, v39, v43
.LBB53_1021:                            ;   in Loop: Header=BB53_1011 Depth=2
	s_or_b32 exec_lo, exec_lo, s52
	v_add_nc_u32_e32 v41, 16, v0
	s_delay_alu instid0(VALU_DEP_1) | instskip(SKIP_1) | instid1(SALU_CYCLE_1)
	v_cmp_gt_i32_e64 s66, s89, v41
	s_and_b32 s53, s66, s5
	s_and_saveexec_b32 s52, s53
	s_cbranch_execz .LBB53_1023
; %bb.1022:                             ;   in Loop: Header=BB53_1011 Depth=2
	v_add_nc_u64_e32 v[42:43], 0x80, v[36:37]
	ds_load_b64 v[96:97], v85 offset:128
	v_dual_cndmask_b32 v43, v43, v25 :: v_dual_cndmask_b32 v42, v42, v24
	flat_load_b64 v[42:43], v[42:43]
	s_wait_loadcnt_dscnt 0x0
	v_dual_mul_f32 v41, v97, v43 :: v_dual_mul_f32 v43, v96, v43
	s_delay_alu instid0(VALU_DEP_1) | instskip(NEXT) | instid1(VALU_DEP_1)
	v_dual_fma_f32 v41, v96, v42, -v41 :: v_dual_fmac_f32 v43, v97, v42
	v_dual_add_f32 v38, v38, v41 :: v_dual_add_f32 v39, v39, v43
.LBB53_1023:                            ;   in Loop: Header=BB53_1011 Depth=2
	s_or_b32 exec_lo, exec_lo, s52
	v_add_nc_u32_e32 v41, 32, v0
	s_delay_alu instid0(VALU_DEP_1) | instskip(SKIP_1) | instid1(SALU_CYCLE_1)
	v_cmp_gt_i32_e64 s66, s89, v41
	s_and_b32 s53, s66, s5
	s_and_saveexec_b32 s52, s53
	s_cbranch_execz .LBB53_1025
; %bb.1024:                             ;   in Loop: Header=BB53_1011 Depth=2
	v_add_nc_u64_e32 v[42:43], 0x100, v[36:37]
	ds_load_b64 v[96:97], v85 offset:256
	v_dual_cndmask_b32 v43, v43, v27 :: v_dual_cndmask_b32 v42, v42, v26
	flat_load_b64 v[42:43], v[42:43]
	s_wait_loadcnt_dscnt 0x0
	v_dual_mul_f32 v41, v97, v43 :: v_dual_mul_f32 v99, v96, v43
	s_delay_alu instid0(VALU_DEP_1) | instskip(NEXT) | instid1(VALU_DEP_1)
	v_dual_fma_f32 v98, v96, v42, -v41 :: v_dual_fmac_f32 v99, v97, v42
	v_pk_add_f32 v[38:39], v[38:39], v[98:99]
.LBB53_1025:                            ;   in Loop: Header=BB53_1011 Depth=2
	s_or_b32 exec_lo, exec_lo, s52
	v_add_nc_u32_e32 v0, 48, v0
	s_delay_alu instid0(VALU_DEP_1) | instskip(SKIP_1) | instid1(SALU_CYCLE_1)
	v_cmp_gt_i32_e64 s66, s89, v0
	s_and_b32 s53, s66, s5
	s_and_saveexec_b32 s52, s53
	s_cbranch_execz .LBB53_1010
; %bb.1026:                             ;   in Loop: Header=BB53_1011 Depth=2
	v_add_nc_u64_e32 v[36:37], 0x180, v[36:37]
	ds_load_b64 v[42:43], v85 offset:384
	v_dual_cndmask_b32 v37, v37, v29 :: v_dual_cndmask_b32 v36, v36, v28
	flat_load_b64 v[36:37], v[36:37]
	s_wait_loadcnt_dscnt 0x0
	v_pk_mul_f32 v[96:97], v[42:43], v[36:37] op_sel:[1,1] op_sel_hi:[0,1]
	s_delay_alu instid0(VALU_DEP_1) | instskip(SKIP_1) | instid1(VALU_DEP_2)
	v_pk_fma_f32 v[98:99], v[42:43], v[36:37], v[96:97] op_sel_hi:[1,0,1]
	v_pk_fma_f32 v[36:37], v[42:43], v[36:37], v[96:97] neg_lo:[0,0,1] neg_hi:[0,0,1]
	v_mov_b32_e32 v37, v99
	s_delay_alu instid0(VALU_DEP_1)
	v_pk_add_f32 v[38:39], v[38:39], v[36:37]
	s_branch .LBB53_1010
.LBB53_1027:                            ;   in Loop: Header=BB53_3 Depth=1
	ds_store_b64 v89, v[38:39]
	s_wait_dscnt 0x0
	s_barrier_signal -1
	s_barrier_wait -1
	s_and_saveexec_b32 s66, s1
	s_cbranch_execz .LBB53_1029
; %bb.1028:                             ;   in Loop: Header=BB53_3 Depth=1
	ds_load_2addr_stride64_b64 v[34:37], v90 offset0:1 offset1:2
	ds_load_2addr_stride64_b64 v[40:43], v90 offset0:3 offset1:4
	;; [unrolled: 1-line block ×3, first 2 shown]
	s_wait_dscnt 0x2
	v_pk_add_f32 v[34:35], v[38:39], v[34:35]
	s_delay_alu instid0(VALU_DEP_1) | instskip(SKIP_3) | instid1(VALU_DEP_1)
	v_pk_add_f32 v[38:39], v[34:35], v[36:37]
	ds_load_2addr_stride64_b64 v[34:37], v90 offset0:7 offset1:8
	s_wait_dscnt 0x2
	v_pk_add_f32 v[38:39], v[38:39], v[40:41]
	v_pk_add_f32 v[42:43], v[38:39], v[42:43]
	ds_load_2addr_stride64_b64 v[38:41], v90 offset0:9 offset1:10
	s_wait_dscnt 0x2
	v_pk_add_f32 v[42:43], v[42:43], v[96:97]
	s_delay_alu instid0(VALU_DEP_1) | instskip(SKIP_3) | instid1(VALU_DEP_1)
	v_pk_add_f32 v[42:43], v[42:43], v[98:99]
	ds_load_2addr_stride64_b64 v[96:99], v90 offset0:11 offset1:12
	s_wait_dscnt 0x2
	v_pk_add_f32 v[34:35], v[42:43], v[34:35]
	v_pk_add_f32 v[42:43], v[34:35], v[36:37]
	ds_load_2addr_stride64_b64 v[34:37], v90 offset0:13 offset1:14
	s_wait_dscnt 0x2
	v_pk_add_f32 v[38:39], v[42:43], v[38:39]
	s_delay_alu instid0(VALU_DEP_1) | instskip(SKIP_3) | instid1(VALU_DEP_1)
	v_pk_add_f32 v[38:39], v[38:39], v[40:41]
	ds_load_b64 v[40:41], v90 offset:7680
	s_wait_dscnt 0x2
	v_pk_add_f32 v[38:39], v[38:39], v[96:97]
	v_pk_add_f32 v[38:39], v[38:39], v[98:99]
	s_wait_dscnt 0x1
	s_delay_alu instid0(VALU_DEP_1) | instskip(NEXT) | instid1(VALU_DEP_1)
	v_pk_add_f32 v[34:35], v[38:39], v[34:35]
	v_pk_add_f32 v[34:35], v[34:35], v[36:37]
	s_wait_dscnt 0x0
	s_delay_alu instid0(VALU_DEP_1) | instskip(NEXT) | instid1(VALU_DEP_1)
	v_pk_add_f32 v[34:35], v[34:35], v[40:41]
	v_cndmask_b32_e64 v39, -v35, 0, s75
	s_delay_alu instid0(VALU_DEP_2)
	v_cndmask_b32_e64 v38, -v34, 0, s75
.LBB53_1029:                            ;   in Loop: Header=BB53_3 Depth=1
	s_or_b32 exec_lo, exec_lo, s66
	s_delay_alu instid0(SALU_CYCLE_1)
	s_and_not1_b32 vcc_lo, exec_lo, s93
	s_cbranch_vccnz .LBB53_1039
; %bb.1030:                             ;   in Loop: Header=BB53_3 Depth=1
	s_and_saveexec_b32 s52, s1
; %bb.1031:                             ;   in Loop: Header=BB53_3 Depth=1
	ds_store_b64 v92, v[38:39]
; %bb.1032:                             ;   in Loop: Header=BB53_3 Depth=1
	s_or_b32 exec_lo, exec_lo, s52
	v_mov_b64_e32 v[34:35], 0
	s_wait_dscnt 0x0
	s_barrier_signal -1
	s_barrier_wait -1
	s_and_saveexec_b32 s52, s6
	s_cbranch_execnz .LBB53_1102
; %bb.1033:                             ;   in Loop: Header=BB53_3 Depth=1
	s_or_b32 exec_lo, exec_lo, s52
	s_and_saveexec_b32 s52, s7
	s_cbranch_execnz .LBB53_1103
.LBB53_1034:                            ;   in Loop: Header=BB53_3 Depth=1
	s_or_b32 exec_lo, exec_lo, s52
	s_and_saveexec_b32 s52, s8
	s_cbranch_execnz .LBB53_1104
.LBB53_1035:                            ;   in Loop: Header=BB53_3 Depth=1
	s_or_b32 exec_lo, exec_lo, s52
	s_and_saveexec_b32 s52, s9
	s_cbranch_execz .LBB53_1037
.LBB53_1036:                            ;   in Loop: Header=BB53_3 Depth=1
	ds_load_b64 v[36:37], v91 offset:24576
	ds_load_b64 v[40:41], v85 offset:384
	s_wait_dscnt 0x0
	v_pk_mul_f32 v[42:43], v[40:41], v[36:37] op_sel:[1,1] op_sel_hi:[0,1]
	s_delay_alu instid0(VALU_DEP_1) | instskip(SKIP_1) | instid1(VALU_DEP_2)
	v_pk_fma_f32 v[96:97], v[40:41], v[36:37], v[42:43] op_sel_hi:[1,0,1]
	v_pk_fma_f32 v[36:37], v[40:41], v[36:37], v[42:43] neg_lo:[0,0,1] neg_hi:[0,0,1]
	v_mov_b32_e32 v37, v97
	s_delay_alu instid0(VALU_DEP_1)
	v_pk_add_f32 v[34:35], v[34:35], v[36:37]
.LBB53_1037:                            ;   in Loop: Header=BB53_3 Depth=1
	s_or_b32 exec_lo, exec_lo, s52
	s_mov_b32 s67, 0
	s_mov_b32 s66, 0
	ds_store_b64 v89, v[34:35]
	s_wait_dscnt 0x0
	s_barrier_signal -1
	s_barrier_wait -1
                                        ; implicit-def: $vgpr36_vgpr37
	s_and_saveexec_b32 s86, s1
	s_cbranch_execz .LBB53_1105
; %bb.1038:                             ;   in Loop: Header=BB53_3 Depth=1
	ds_load_2addr_stride64_b64 v[40:43], v90 offset0:1 offset1:2
	ds_load_2addr_stride64_b64 v[96:99], v90 offset0:3 offset1:4
	;; [unrolled: 1-line block ×3, first 2 shown]
	s_mov_b32 s66, exec_lo
	s_wait_dscnt 0x2
	v_pk_add_f32 v[34:35], v[34:35], v[40:41]
	s_delay_alu instid0(VALU_DEP_1) | instskip(SKIP_3) | instid1(VALU_DEP_1)
	v_pk_add_f32 v[40:41], v[34:35], v[42:43]
	ds_load_2addr_stride64_b64 v[34:37], v90 offset0:7 offset1:8
	s_wait_dscnt 0x2
	v_pk_add_f32 v[40:41], v[40:41], v[96:97]
	v_pk_add_f32 v[96:97], v[40:41], v[98:99]
	ds_load_2addr_stride64_b64 v[40:43], v90 offset0:9 offset1:10
	s_wait_dscnt 0x2
	v_pk_add_f32 v[96:97], v[96:97], v[100:101]
	s_delay_alu instid0(VALU_DEP_1) | instskip(SKIP_3) | instid1(VALU_DEP_1)
	v_pk_add_f32 v[100:101], v[96:97], v[102:103]
	ds_load_2addr_stride64_b64 v[96:99], v90 offset0:11 offset1:12
	s_wait_dscnt 0x2
	v_pk_add_f32 v[34:35], v[100:101], v[34:35]
	v_pk_add_f32 v[34:35], v[34:35], v[36:37]
	s_wait_dscnt 0x1
	s_delay_alu instid0(VALU_DEP_1)
	v_pk_add_f32 v[40:41], v[34:35], v[40:41]
	ds_load_2addr_stride64_b64 v[34:37], v90 offset0:13 offset1:14
	v_pk_add_f32 v[40:41], v[40:41], v[42:43]
	ds_load_b64 v[42:43], v90 offset:7680
	s_wait_dscnt 0x2
	v_pk_add_f32 v[40:41], v[40:41], v[96:97]
	s_delay_alu instid0(VALU_DEP_1) | instskip(SKIP_1) | instid1(VALU_DEP_1)
	v_pk_add_f32 v[40:41], v[40:41], v[98:99]
	s_wait_dscnt 0x1
	v_pk_add_f32 v[34:35], v[40:41], v[34:35]
	s_delay_alu instid0(VALU_DEP_1) | instskip(SKIP_1) | instid1(VALU_DEP_1)
	v_pk_add_f32 v[34:35], v[34:35], v[36:37]
	s_wait_dscnt 0x0
	v_pk_add_f32 v[36:37], v[34:35], v[42:43]
	s_or_b32 exec_lo, exec_lo, s86
	s_delay_alu instid0(SALU_CYCLE_1)
	s_and_b32 vcc_lo, exec_lo, s67
	s_cbranch_vccnz .LBB53_1040
	s_branch .LBB53_1106
.LBB53_1039:                            ;   in Loop: Header=BB53_3 Depth=1
	s_mov_b32 s66, 0
                                        ; implicit-def: $vgpr36_vgpr37
	s_cbranch_execz .LBB53_1106
.LBB53_1040:                            ;   in Loop: Header=BB53_3 Depth=1
	v_dual_mov_b32 v0, v2 :: v_dual_mov_b32 v34, v73
	s_mov_b32 s67, 0
	s_branch .LBB53_1042
.LBB53_1041:                            ;   in Loop: Header=BB53_1042 Depth=2
	s_or_b32 exec_lo, exec_lo, s52
	v_add_nc_u32_e32 v34, 0x400, v34
	v_add_nc_u32_e32 v0, -2, v0
	s_add_co_i32 s67, s67, 2
	s_delay_alu instid0(SALU_CYCLE_1)
	s_cmp_lg_u32 s67, 64
	s_barrier_signal -1
	s_barrier_wait -1
	s_cbranch_scc0 .LBB53_1050
.LBB53_1042:                            ;   Parent Loop BB53_3 Depth=1
                                        ; =>  This Inner Loop Header: Depth=2
	s_delay_alu instid0(VALU_DEP_1) | instskip(SKIP_2) | instid1(SALU_CYCLE_1)
	v_cmp_eq_u32_e32 vcc_lo, 0, v0
	v_add_nc_u32_e32 v35, v84, v48
	s_and_b32 s53, s1, vcc_lo
	s_and_saveexec_b32 s52, s53
	s_cbranch_execz .LBB53_1044
; %bb.1043:                             ;   in Loop: Header=BB53_1042 Depth=2
	ds_load_b64 v[36:37], v35
	s_wait_dscnt 0x0
	v_pk_mul_f32 v[40:41], v[38:39], v[36:37] op_sel:[1,1] op_sel_hi:[1,0]
	s_delay_alu instid0(VALU_DEP_1) | instskip(SKIP_1) | instid1(VALU_DEP_2)
	v_pk_fma_f32 v[42:43], v[38:39], v[36:37], v[40:41] op_sel_hi:[0,1,1]
	v_pk_fma_f32 v[36:37], v[38:39], v[36:37], v[40:41] neg_lo:[0,0,1] neg_hi:[0,0,1]
	v_mov_b32_e32 v37, v43
	s_delay_alu instid0(VALU_DEP_1)
	v_mov_b64_e32 v[38:39], v[36:37]
	ds_store_b64 v1, v[36:37] offset:41472
.LBB53_1044:                            ;   in Loop: Header=BB53_1042 Depth=2
	s_or_b32 exec_lo, exec_lo, s52
	v_cmp_lt_u32_e32 vcc_lo, s67, v2
	s_wait_dscnt 0x0
	s_barrier_signal -1
	s_barrier_wait -1
	s_and_b32 s53, s1, vcc_lo
	s_delay_alu instid0(SALU_CYCLE_1)
	s_and_saveexec_b32 s52, s53
	s_cbranch_execz .LBB53_1046
; %bb.1045:                             ;   in Loop: Header=BB53_1042 Depth=2
	ds_load_b64 v[36:37], v34
	ds_load_b64 v[40:41], v1 offset:41472
	s_wait_dscnt 0x0
	v_pk_mul_f32 v[42:43], v[40:41], v[36:37] op_sel:[1,1] op_sel_hi:[0,1]
	s_delay_alu instid0(VALU_DEP_1) | instskip(SKIP_1) | instid1(VALU_DEP_2)
	v_pk_fma_f32 v[96:97], v[40:41], v[36:37], v[42:43] op_sel_hi:[1,0,1]
	v_pk_fma_f32 v[36:37], v[40:41], v[36:37], v[42:43] neg_lo:[0,0,1] neg_hi:[0,0,1]
	v_mov_b32_e32 v37, v97
	s_delay_alu instid0(VALU_DEP_1)
	v_pk_add_f32 v[38:39], v[38:39], v[36:37]
.LBB53_1046:                            ;   in Loop: Header=BB53_1042 Depth=2
	s_or_b32 exec_lo, exec_lo, s52
	s_or_b32 s52, s67, 1
	s_delay_alu instid0(SALU_CYCLE_1) | instskip(SKIP_3) | instid1(SALU_CYCLE_1)
	v_cmp_eq_u32_e32 vcc_lo, s52, v2
	s_barrier_signal -1
	s_barrier_wait -1
	s_and_b32 s53, s1, vcc_lo
	s_and_saveexec_b32 s86, s53
	s_cbranch_execz .LBB53_1048
; %bb.1047:                             ;   in Loop: Header=BB53_1042 Depth=2
	ds_load_b64 v[36:37], v35
	s_wait_dscnt 0x0
	v_pk_mul_f32 v[40:41], v[38:39], v[36:37] op_sel:[1,1] op_sel_hi:[1,0]
	s_delay_alu instid0(VALU_DEP_1) | instskip(SKIP_1) | instid1(VALU_DEP_2)
	v_pk_fma_f32 v[42:43], v[38:39], v[36:37], v[40:41] op_sel_hi:[0,1,1]
	v_pk_fma_f32 v[36:37], v[38:39], v[36:37], v[40:41] neg_lo:[0,0,1] neg_hi:[0,0,1]
	v_mov_b32_e32 v37, v43
	s_delay_alu instid0(VALU_DEP_1)
	v_mov_b64_e32 v[38:39], v[36:37]
	ds_store_b64 v1, v[36:37] offset:41472
.LBB53_1048:                            ;   in Loop: Header=BB53_1042 Depth=2
	s_or_b32 exec_lo, exec_lo, s86
	v_cmp_lt_u32_e32 vcc_lo, s52, v2
	s_wait_dscnt 0x0
	s_barrier_signal -1
	s_barrier_wait -1
	s_and_b32 s53, s1, vcc_lo
	s_delay_alu instid0(SALU_CYCLE_1)
	s_and_saveexec_b32 s52, s53
	s_cbranch_execz .LBB53_1041
; %bb.1049:                             ;   in Loop: Header=BB53_1042 Depth=2
	ds_load_b64 v[36:37], v34 offset:512
	ds_load_b64 v[40:41], v1 offset:41472
	s_wait_dscnt 0x0
	v_pk_mul_f32 v[42:43], v[40:41], v[36:37] op_sel:[1,1] op_sel_hi:[0,1]
	s_delay_alu instid0(VALU_DEP_1) | instskip(SKIP_1) | instid1(VALU_DEP_2)
	v_pk_fma_f32 v[96:97], v[40:41], v[36:37], v[42:43] op_sel_hi:[1,0,1]
	v_pk_fma_f32 v[36:37], v[40:41], v[36:37], v[42:43] neg_lo:[0,0,1] neg_hi:[0,0,1]
	v_mov_b32_e32 v37, v97
	s_delay_alu instid0(VALU_DEP_1)
	v_pk_add_f32 v[38:39], v[38:39], v[36:37]
	s_branch .LBB53_1041
.LBB53_1050:                            ;   in Loop: Header=BB53_3 Depth=1
	s_and_b32 vcc_lo, exec_lo, s92
	s_mov_b32 s52, -1
	s_cbranch_vccz .LBB53_1052
; %bb.1051:                             ;   in Loop: Header=BB53_3 Depth=1
	s_and_not1_b32 s53, s66, exec_lo
	s_and_b32 s54, s1, exec_lo
	s_mov_b32 s52, 0
	s_or_b32 s66, s53, s54
.LBB53_1052:                            ;   in Loop: Header=BB53_3 Depth=1
	s_and_not1_b32 vcc_lo, exec_lo, s52
	s_cbranch_vccnz .LBB53_1054
; %bb.1053:                             ;   in Loop: Header=BB53_3 Depth=1
	v_readlane_b32 s53, v105, 9
	s_and_not1_b32 s52, s66, exec_lo
	s_and_b32 s53, s53, exec_lo
	s_delay_alu instid0(SALU_CYCLE_1)
	s_or_b32 s66, s52, s53
.LBB53_1054:                            ;   in Loop: Header=BB53_3 Depth=1
	v_mov_b64_e32 v[34:35], v[18:19]
	s_and_saveexec_b32 s52, s66
	s_cbranch_execnz .LBB53_1107
	s_branch .LBB53_1108
.LBB53_1055:                            ;   in Loop: Header=BB53_3 Depth=1
	v_readlane_b32 s53, v105, 17
	s_and_saveexec_b32 s52, s53
	s_delay_alu instid0(SALU_CYCLE_1)
	s_xor_b32 s52, exec_lo, s52
	s_cbranch_execz .LBB53_1059
; %bb.1056:                             ;   in Loop: Header=BB53_3 Depth=1
	v_readlane_b32 s53, v104, 5
	s_and_saveexec_b32 s69, s53
; %bb.1057:                             ;   in Loop: Header=BB53_3 Depth=1
	ds_store_b64 v78, v[32:33]
; %bb.1058:                             ;   in Loop: Header=BB53_3 Depth=1
	s_or_b32 exec_lo, exec_lo, s69
.LBB53_1059:                            ;   in Loop: Header=BB53_3 Depth=1
	s_and_not1_saveexec_b32 s69, s52
	s_cbranch_execz .LBB53_1065
; %bb.1060:                             ;   in Loop: Header=BB53_3 Depth=1
	v_lshl_add_u64 v[38:39], v[12:13], 3, s[66:67]
	s_mov_b32 s86, exec_lo
                                        ; implicit-def: $vgpr40_vgpr41
	global_load_b64 v[38:39], v[38:39], off
	s_wait_loadcnt 0x0
	v_cmpx_ngt_f32_e64 |v38|, |v39|
	s_xor_b32 s86, exec_lo, s86
	s_cbranch_execz .LBB53_1062
; %bb.1061:                             ;   in Loop: Header=BB53_3 Depth=1
	v_div_scale_f32 v0, null, v39, v39, v38
	v_div_scale_f32 v42, vcc_lo, v38, v39, v38
	s_delay_alu instid0(VALU_DEP_2) | instskip(SKIP_1) | instid1(TRANS32_DEP_1)
	v_rcp_f32_e32 v40, v0
	v_nop
	v_fma_f32 v41, -v0, v40, 1.0
	s_delay_alu instid0(VALU_DEP_1) | instskip(NEXT) | instid1(VALU_DEP_1)
	v_fmac_f32_e32 v40, v41, v40
	v_mul_f32_e32 v41, v42, v40
	s_delay_alu instid0(VALU_DEP_1) | instskip(NEXT) | instid1(VALU_DEP_1)
	v_fma_f32 v43, -v0, v41, v42
	v_fmac_f32_e32 v41, v43, v40
	s_delay_alu instid0(VALU_DEP_1) | instskip(NEXT) | instid1(VALU_DEP_1)
	v_fma_f32 v0, -v0, v41, v42
	v_div_fmas_f32 v0, v0, v40, v41
	s_delay_alu instid0(VALU_DEP_1) | instskip(NEXT) | instid1(VALU_DEP_1)
	v_div_fixup_f32 v0, v0, v39, v38
	v_fmac_f32_e32 v39, v38, v0
	s_delay_alu instid0(VALU_DEP_1) | instskip(SKIP_1) | instid1(VALU_DEP_2)
	v_div_scale_f32 v38, null, v39, v39, 1.0
	v_div_scale_f32 v42, vcc_lo, 1.0, v39, 1.0
	v_rcp_f32_e32 v40, v38
	v_nop
	s_delay_alu instid0(TRANS32_DEP_1) | instskip(NEXT) | instid1(VALU_DEP_1)
	v_fma_f32 v41, -v38, v40, 1.0
	v_fmac_f32_e32 v40, v41, v40
	s_delay_alu instid0(VALU_DEP_1) | instskip(NEXT) | instid1(VALU_DEP_1)
	v_mul_f32_e32 v41, v42, v40
	v_fma_f32 v43, -v38, v41, v42
	s_delay_alu instid0(VALU_DEP_1) | instskip(NEXT) | instid1(VALU_DEP_1)
	v_fmac_f32_e32 v41, v43, v40
	v_fma_f32 v38, -v38, v41, v42
	s_delay_alu instid0(VALU_DEP_1) | instskip(NEXT) | instid1(VALU_DEP_1)
	v_div_fmas_f32 v38, v38, v40, v41
	v_div_fixup_f32 v38, v38, v39, 1.0
	s_delay_alu instid0(VALU_DEP_1)
	v_mul_f32_e32 v40, v0, v38
	v_xor_b32_e32 v41, 0x80000000, v38
                                        ; implicit-def: $vgpr38_vgpr39
.LBB53_1062:                            ;   in Loop: Header=BB53_3 Depth=1
	s_and_not1_saveexec_b32 s86, s86
	s_cbranch_execz .LBB53_1064
; %bb.1063:                             ;   in Loop: Header=BB53_3 Depth=1
	v_div_scale_f32 v0, null, v38, v38, v39
	v_div_scale_f32 v42, vcc_lo, v39, v38, v39
	s_delay_alu instid0(VALU_DEP_2) | instskip(SKIP_1) | instid1(TRANS32_DEP_1)
	v_rcp_f32_e32 v40, v0
	v_nop
	v_fma_f32 v41, -v0, v40, 1.0
	s_delay_alu instid0(VALU_DEP_1) | instskip(NEXT) | instid1(VALU_DEP_1)
	v_fmac_f32_e32 v40, v41, v40
	v_mul_f32_e32 v41, v42, v40
	s_delay_alu instid0(VALU_DEP_1) | instskip(NEXT) | instid1(VALU_DEP_1)
	v_fma_f32 v43, -v0, v41, v42
	v_fmac_f32_e32 v41, v43, v40
	s_delay_alu instid0(VALU_DEP_1) | instskip(NEXT) | instid1(VALU_DEP_1)
	v_fma_f32 v0, -v0, v41, v42
	v_div_fmas_f32 v0, v0, v40, v41
	s_delay_alu instid0(VALU_DEP_1) | instskip(NEXT) | instid1(VALU_DEP_1)
	v_div_fixup_f32 v0, v0, v38, v39
	v_fmac_f32_e32 v38, v39, v0
	s_delay_alu instid0(VALU_DEP_1) | instskip(NEXT) | instid1(VALU_DEP_1)
	v_div_scale_f32 v39, null, v38, v38, 1.0
	v_rcp_f32_e32 v40, v39
	v_nop
	s_delay_alu instid0(TRANS32_DEP_1) | instskip(NEXT) | instid1(VALU_DEP_1)
	v_fma_f32 v41, -v39, v40, 1.0
	v_fmac_f32_e32 v40, v41, v40
	v_div_scale_f32 v41, vcc_lo, 1.0, v38, 1.0
	s_delay_alu instid0(VALU_DEP_1) | instskip(NEXT) | instid1(VALU_DEP_1)
	v_mul_f32_e32 v42, v41, v40
	v_fma_f32 v43, -v39, v42, v41
	s_delay_alu instid0(VALU_DEP_1) | instskip(NEXT) | instid1(VALU_DEP_1)
	v_fmac_f32_e32 v42, v43, v40
	v_fma_f32 v39, -v39, v42, v41
	s_delay_alu instid0(VALU_DEP_1) | instskip(NEXT) | instid1(VALU_DEP_1)
	v_div_fmas_f32 v39, v39, v40, v42
	v_div_fixup_f32 v40, v39, v38, 1.0
	s_delay_alu instid0(VALU_DEP_1)
	v_mul_f32_e64 v41, v0, -v40
.LBB53_1064:                            ;   in Loop: Header=BB53_3 Depth=1
	s_or_b32 exec_lo, exec_lo, s86
	ds_store_b64 v78, v[40:41]
.LBB53_1065:                            ;   in Loop: Header=BB53_3 Depth=1
	s_or_b32 exec_lo, exec_lo, s69
	s_and_not1_saveexec_b32 s52, s68
	s_cbranch_execz .LBB53_19
.LBB53_1066:                            ;   in Loop: Header=BB53_3 Depth=1
	v_lshl_add_u64 v[38:39], v[12:13], 3, s[66:67]
	global_load_b64 v[38:39], v[38:39], off
	s_wait_loadcnt 0x0
	v_pk_add_f32 v[38:39], v[38:39], 0 neg_lo:[1,1] neg_hi:[1,1]
	ds_store_b64 v78, v[38:39]
	s_or_b32 exec_lo, exec_lo, s52
	s_and_saveexec_b32 s52, s7
	s_delay_alu instid0(SALU_CYCLE_1)
	s_xor_b32 s68, exec_lo, s52
	s_cbranch_execz .LBB53_20
.LBB53_1067:                            ;   in Loop: Header=BB53_3 Depth=1
	v_readlane_b32 s53, v105, 19
	s_and_saveexec_b32 s52, s53
	s_delay_alu instid0(SALU_CYCLE_1)
	s_xor_b32 s52, exec_lo, s52
	s_cbranch_execz .LBB53_1071
; %bb.1068:                             ;   in Loop: Header=BB53_3 Depth=1
	v_readlane_b32 s53, v104, 6
	s_and_saveexec_b32 s69, s53
; %bb.1069:                             ;   in Loop: Header=BB53_3 Depth=1
	ds_store_b64 v79, v[32:33]
; %bb.1070:                             ;   in Loop: Header=BB53_3 Depth=1
	s_or_b32 exec_lo, exec_lo, s69
.LBB53_1071:                            ;   in Loop: Header=BB53_3 Depth=1
	s_and_not1_saveexec_b32 s69, s52
	s_cbranch_execz .LBB53_1077
; %bb.1072:                             ;   in Loop: Header=BB53_3 Depth=1
	v_lshl_add_u64 v[38:39], v[14:15], 3, s[66:67]
	s_mov_b32 s86, exec_lo
                                        ; implicit-def: $vgpr40_vgpr41
	global_load_b64 v[38:39], v[38:39], off
	s_wait_loadcnt 0x0
	v_cmpx_ngt_f32_e64 |v38|, |v39|
	s_xor_b32 s86, exec_lo, s86
	s_cbranch_execz .LBB53_1074
; %bb.1073:                             ;   in Loop: Header=BB53_3 Depth=1
	v_div_scale_f32 v0, null, v39, v39, v38
	v_div_scale_f32 v42, vcc_lo, v38, v39, v38
	s_delay_alu instid0(VALU_DEP_2) | instskip(SKIP_1) | instid1(TRANS32_DEP_1)
	v_rcp_f32_e32 v40, v0
	v_nop
	v_fma_f32 v41, -v0, v40, 1.0
	s_delay_alu instid0(VALU_DEP_1) | instskip(NEXT) | instid1(VALU_DEP_1)
	v_fmac_f32_e32 v40, v41, v40
	v_mul_f32_e32 v41, v42, v40
	s_delay_alu instid0(VALU_DEP_1) | instskip(NEXT) | instid1(VALU_DEP_1)
	v_fma_f32 v43, -v0, v41, v42
	v_fmac_f32_e32 v41, v43, v40
	s_delay_alu instid0(VALU_DEP_1) | instskip(NEXT) | instid1(VALU_DEP_1)
	v_fma_f32 v0, -v0, v41, v42
	v_div_fmas_f32 v0, v0, v40, v41
	s_delay_alu instid0(VALU_DEP_1) | instskip(NEXT) | instid1(VALU_DEP_1)
	v_div_fixup_f32 v0, v0, v39, v38
	v_fmac_f32_e32 v39, v38, v0
	s_delay_alu instid0(VALU_DEP_1) | instskip(SKIP_1) | instid1(VALU_DEP_2)
	v_div_scale_f32 v38, null, v39, v39, 1.0
	v_div_scale_f32 v42, vcc_lo, 1.0, v39, 1.0
	v_rcp_f32_e32 v40, v38
	v_nop
	s_delay_alu instid0(TRANS32_DEP_1) | instskip(NEXT) | instid1(VALU_DEP_1)
	v_fma_f32 v41, -v38, v40, 1.0
	v_fmac_f32_e32 v40, v41, v40
	s_delay_alu instid0(VALU_DEP_1) | instskip(NEXT) | instid1(VALU_DEP_1)
	v_mul_f32_e32 v41, v42, v40
	v_fma_f32 v43, -v38, v41, v42
	s_delay_alu instid0(VALU_DEP_1) | instskip(NEXT) | instid1(VALU_DEP_1)
	v_fmac_f32_e32 v41, v43, v40
	v_fma_f32 v38, -v38, v41, v42
	s_delay_alu instid0(VALU_DEP_1) | instskip(NEXT) | instid1(VALU_DEP_1)
	v_div_fmas_f32 v38, v38, v40, v41
	v_div_fixup_f32 v38, v38, v39, 1.0
	s_delay_alu instid0(VALU_DEP_1)
	v_mul_f32_e32 v40, v0, v38
	v_xor_b32_e32 v41, 0x80000000, v38
                                        ; implicit-def: $vgpr38_vgpr39
.LBB53_1074:                            ;   in Loop: Header=BB53_3 Depth=1
	s_and_not1_saveexec_b32 s86, s86
	s_cbranch_execz .LBB53_1076
; %bb.1075:                             ;   in Loop: Header=BB53_3 Depth=1
	v_div_scale_f32 v0, null, v38, v38, v39
	v_div_scale_f32 v42, vcc_lo, v39, v38, v39
	s_delay_alu instid0(VALU_DEP_2) | instskip(SKIP_1) | instid1(TRANS32_DEP_1)
	v_rcp_f32_e32 v40, v0
	v_nop
	v_fma_f32 v41, -v0, v40, 1.0
	s_delay_alu instid0(VALU_DEP_1) | instskip(NEXT) | instid1(VALU_DEP_1)
	v_fmac_f32_e32 v40, v41, v40
	v_mul_f32_e32 v41, v42, v40
	s_delay_alu instid0(VALU_DEP_1) | instskip(NEXT) | instid1(VALU_DEP_1)
	v_fma_f32 v43, -v0, v41, v42
	v_fmac_f32_e32 v41, v43, v40
	s_delay_alu instid0(VALU_DEP_1) | instskip(NEXT) | instid1(VALU_DEP_1)
	v_fma_f32 v0, -v0, v41, v42
	v_div_fmas_f32 v0, v0, v40, v41
	s_delay_alu instid0(VALU_DEP_1) | instskip(NEXT) | instid1(VALU_DEP_1)
	v_div_fixup_f32 v0, v0, v38, v39
	v_fmac_f32_e32 v38, v39, v0
	s_delay_alu instid0(VALU_DEP_1) | instskip(NEXT) | instid1(VALU_DEP_1)
	v_div_scale_f32 v39, null, v38, v38, 1.0
	v_rcp_f32_e32 v40, v39
	v_nop
	s_delay_alu instid0(TRANS32_DEP_1) | instskip(NEXT) | instid1(VALU_DEP_1)
	v_fma_f32 v41, -v39, v40, 1.0
	v_fmac_f32_e32 v40, v41, v40
	v_div_scale_f32 v41, vcc_lo, 1.0, v38, 1.0
	s_delay_alu instid0(VALU_DEP_1) | instskip(NEXT) | instid1(VALU_DEP_1)
	v_mul_f32_e32 v42, v41, v40
	v_fma_f32 v43, -v39, v42, v41
	s_delay_alu instid0(VALU_DEP_1) | instskip(NEXT) | instid1(VALU_DEP_1)
	v_fmac_f32_e32 v42, v43, v40
	v_fma_f32 v39, -v39, v42, v41
	s_delay_alu instid0(VALU_DEP_1) | instskip(NEXT) | instid1(VALU_DEP_1)
	v_div_fmas_f32 v39, v39, v40, v42
	v_div_fixup_f32 v40, v39, v38, 1.0
	s_delay_alu instid0(VALU_DEP_1)
	v_mul_f32_e64 v41, v0, -v40
.LBB53_1076:                            ;   in Loop: Header=BB53_3 Depth=1
	s_or_b32 exec_lo, exec_lo, s86
	ds_store_b64 v79, v[40:41]
.LBB53_1077:                            ;   in Loop: Header=BB53_3 Depth=1
	s_or_b32 exec_lo, exec_lo, s69
	s_and_not1_saveexec_b32 s52, s68
	s_cbranch_execz .LBB53_21
.LBB53_1078:                            ;   in Loop: Header=BB53_3 Depth=1
	v_lshl_add_u64 v[38:39], v[14:15], 3, s[66:67]
	global_load_b64 v[38:39], v[38:39], off
	s_wait_loadcnt 0x0
	v_pk_add_f32 v[38:39], v[38:39], 0 neg_lo:[1,1] neg_hi:[1,1]
	ds_store_b64 v79, v[38:39]
	s_or_b32 exec_lo, exec_lo, s52
	s_and_saveexec_b32 s52, s8
	s_delay_alu instid0(SALU_CYCLE_1)
	s_xor_b32 s68, exec_lo, s52
	s_cbranch_execz .LBB53_22
.LBB53_1079:                            ;   in Loop: Header=BB53_3 Depth=1
	v_readlane_b32 s53, v105, 21
	s_and_saveexec_b32 s52, s53
	s_delay_alu instid0(SALU_CYCLE_1)
	s_xor_b32 s52, exec_lo, s52
	s_cbranch_execz .LBB53_1083
; %bb.1080:                             ;   in Loop: Header=BB53_3 Depth=1
	v_readlane_b32 s53, v104, 7
	s_and_saveexec_b32 s69, s53
; %bb.1081:                             ;   in Loop: Header=BB53_3 Depth=1
	ds_store_b64 v81, v[32:33]
; %bb.1082:                             ;   in Loop: Header=BB53_3 Depth=1
	s_or_b32 exec_lo, exec_lo, s69
.LBB53_1083:                            ;   in Loop: Header=BB53_3 Depth=1
	s_and_not1_saveexec_b32 s69, s52
	s_cbranch_execz .LBB53_1089
; %bb.1084:                             ;   in Loop: Header=BB53_3 Depth=1
	v_lshl_add_u64 v[38:39], v[16:17], 3, s[66:67]
	s_mov_b32 s86, exec_lo
                                        ; implicit-def: $vgpr40_vgpr41
	global_load_b64 v[38:39], v[38:39], off
	s_wait_loadcnt 0x0
	v_cmpx_ngt_f32_e64 |v38|, |v39|
	s_xor_b32 s86, exec_lo, s86
	s_cbranch_execz .LBB53_1086
; %bb.1085:                             ;   in Loop: Header=BB53_3 Depth=1
	v_div_scale_f32 v0, null, v39, v39, v38
	v_div_scale_f32 v42, vcc_lo, v38, v39, v38
	s_delay_alu instid0(VALU_DEP_2) | instskip(SKIP_1) | instid1(TRANS32_DEP_1)
	v_rcp_f32_e32 v40, v0
	v_nop
	v_fma_f32 v41, -v0, v40, 1.0
	s_delay_alu instid0(VALU_DEP_1) | instskip(NEXT) | instid1(VALU_DEP_1)
	v_fmac_f32_e32 v40, v41, v40
	v_mul_f32_e32 v41, v42, v40
	s_delay_alu instid0(VALU_DEP_1) | instskip(NEXT) | instid1(VALU_DEP_1)
	v_fma_f32 v43, -v0, v41, v42
	v_fmac_f32_e32 v41, v43, v40
	s_delay_alu instid0(VALU_DEP_1) | instskip(NEXT) | instid1(VALU_DEP_1)
	v_fma_f32 v0, -v0, v41, v42
	v_div_fmas_f32 v0, v0, v40, v41
	s_delay_alu instid0(VALU_DEP_1) | instskip(NEXT) | instid1(VALU_DEP_1)
	v_div_fixup_f32 v0, v0, v39, v38
	v_fmac_f32_e32 v39, v38, v0
	s_delay_alu instid0(VALU_DEP_1) | instskip(SKIP_1) | instid1(VALU_DEP_2)
	v_div_scale_f32 v38, null, v39, v39, 1.0
	v_div_scale_f32 v42, vcc_lo, 1.0, v39, 1.0
	v_rcp_f32_e32 v40, v38
	v_nop
	s_delay_alu instid0(TRANS32_DEP_1) | instskip(NEXT) | instid1(VALU_DEP_1)
	v_fma_f32 v41, -v38, v40, 1.0
	v_fmac_f32_e32 v40, v41, v40
	s_delay_alu instid0(VALU_DEP_1) | instskip(NEXT) | instid1(VALU_DEP_1)
	v_mul_f32_e32 v41, v42, v40
	v_fma_f32 v43, -v38, v41, v42
	s_delay_alu instid0(VALU_DEP_1) | instskip(NEXT) | instid1(VALU_DEP_1)
	v_fmac_f32_e32 v41, v43, v40
	v_fma_f32 v38, -v38, v41, v42
	s_delay_alu instid0(VALU_DEP_1) | instskip(NEXT) | instid1(VALU_DEP_1)
	v_div_fmas_f32 v38, v38, v40, v41
	v_div_fixup_f32 v38, v38, v39, 1.0
	s_delay_alu instid0(VALU_DEP_1)
	v_mul_f32_e32 v40, v0, v38
	v_xor_b32_e32 v41, 0x80000000, v38
                                        ; implicit-def: $vgpr38_vgpr39
.LBB53_1086:                            ;   in Loop: Header=BB53_3 Depth=1
	s_and_not1_saveexec_b32 s86, s86
	s_cbranch_execz .LBB53_1088
; %bb.1087:                             ;   in Loop: Header=BB53_3 Depth=1
	v_div_scale_f32 v0, null, v38, v38, v39
	v_div_scale_f32 v42, vcc_lo, v39, v38, v39
	s_delay_alu instid0(VALU_DEP_2) | instskip(SKIP_1) | instid1(TRANS32_DEP_1)
	v_rcp_f32_e32 v40, v0
	v_nop
	v_fma_f32 v41, -v0, v40, 1.0
	s_delay_alu instid0(VALU_DEP_1) | instskip(NEXT) | instid1(VALU_DEP_1)
	v_fmac_f32_e32 v40, v41, v40
	v_mul_f32_e32 v41, v42, v40
	s_delay_alu instid0(VALU_DEP_1) | instskip(NEXT) | instid1(VALU_DEP_1)
	v_fma_f32 v43, -v0, v41, v42
	v_fmac_f32_e32 v41, v43, v40
	s_delay_alu instid0(VALU_DEP_1) | instskip(NEXT) | instid1(VALU_DEP_1)
	v_fma_f32 v0, -v0, v41, v42
	v_div_fmas_f32 v0, v0, v40, v41
	s_delay_alu instid0(VALU_DEP_1) | instskip(NEXT) | instid1(VALU_DEP_1)
	v_div_fixup_f32 v0, v0, v38, v39
	v_fmac_f32_e32 v38, v39, v0
	s_delay_alu instid0(VALU_DEP_1) | instskip(NEXT) | instid1(VALU_DEP_1)
	v_div_scale_f32 v39, null, v38, v38, 1.0
	v_rcp_f32_e32 v40, v39
	v_nop
	s_delay_alu instid0(TRANS32_DEP_1) | instskip(NEXT) | instid1(VALU_DEP_1)
	v_fma_f32 v41, -v39, v40, 1.0
	v_fmac_f32_e32 v40, v41, v40
	v_div_scale_f32 v41, vcc_lo, 1.0, v38, 1.0
	s_delay_alu instid0(VALU_DEP_1) | instskip(NEXT) | instid1(VALU_DEP_1)
	v_mul_f32_e32 v42, v41, v40
	v_fma_f32 v43, -v39, v42, v41
	s_delay_alu instid0(VALU_DEP_1) | instskip(NEXT) | instid1(VALU_DEP_1)
	v_fmac_f32_e32 v42, v43, v40
	v_fma_f32 v39, -v39, v42, v41
	s_delay_alu instid0(VALU_DEP_1) | instskip(NEXT) | instid1(VALU_DEP_1)
	v_div_fmas_f32 v39, v39, v40, v42
	v_div_fixup_f32 v40, v39, v38, 1.0
	s_delay_alu instid0(VALU_DEP_1)
	v_mul_f32_e64 v41, v0, -v40
.LBB53_1088:                            ;   in Loop: Header=BB53_3 Depth=1
	s_or_b32 exec_lo, exec_lo, s86
	ds_store_b64 v81, v[40:41]
.LBB53_1089:                            ;   in Loop: Header=BB53_3 Depth=1
	s_or_b32 exec_lo, exec_lo, s69
	s_and_not1_saveexec_b32 s52, s68
	s_cbranch_execz .LBB53_23
.LBB53_1090:                            ;   in Loop: Header=BB53_3 Depth=1
	v_lshl_add_u64 v[38:39], v[16:17], 3, s[66:67]
	global_load_b64 v[38:39], v[38:39], off
	s_wait_loadcnt 0x0
	v_pk_add_f32 v[38:39], v[38:39], 0 neg_lo:[1,1] neg_hi:[1,1]
	ds_store_b64 v81, v[38:39]
	s_or_b32 exec_lo, exec_lo, s52
	s_and_saveexec_b32 s52, s9
	s_delay_alu instid0(SALU_CYCLE_1)
	s_xor_b32 s68, exec_lo, s52
	s_cbranch_execz .LBB53_24
.LBB53_1091:                            ;   in Loop: Header=BB53_3 Depth=1
	v_readlane_b32 s53, v105, 23
	s_and_saveexec_b32 s52, s53
	s_delay_alu instid0(SALU_CYCLE_1)
	s_xor_b32 s52, exec_lo, s52
	s_cbranch_execz .LBB53_1095
; %bb.1092:                             ;   in Loop: Header=BB53_3 Depth=1
	v_readlane_b32 s53, v104, 8
	s_and_saveexec_b32 s69, s53
; %bb.1093:                             ;   in Loop: Header=BB53_3 Depth=1
	ds_store_b64 v82, v[32:33]
; %bb.1094:                             ;   in Loop: Header=BB53_3 Depth=1
	s_or_b32 exec_lo, exec_lo, s69
.LBB53_1095:                            ;   in Loop: Header=BB53_3 Depth=1
	s_and_not1_saveexec_b32 s69, s52
	s_cbranch_execz .LBB53_1101
; %bb.1096:                             ;   in Loop: Header=BB53_3 Depth=1
	v_lshl_add_u64 v[38:39], v[20:21], 3, s[66:67]
	s_mov_b32 s86, exec_lo
                                        ; implicit-def: $vgpr40_vgpr41
	global_load_b64 v[38:39], v[38:39], off
	s_wait_loadcnt 0x0
	v_cmpx_ngt_f32_e64 |v38|, |v39|
	s_xor_b32 s86, exec_lo, s86
	s_cbranch_execz .LBB53_1098
; %bb.1097:                             ;   in Loop: Header=BB53_3 Depth=1
	v_div_scale_f32 v0, null, v39, v39, v38
	v_div_scale_f32 v42, vcc_lo, v38, v39, v38
	s_delay_alu instid0(VALU_DEP_2) | instskip(SKIP_1) | instid1(TRANS32_DEP_1)
	v_rcp_f32_e32 v40, v0
	v_nop
	v_fma_f32 v41, -v0, v40, 1.0
	s_delay_alu instid0(VALU_DEP_1) | instskip(NEXT) | instid1(VALU_DEP_1)
	v_fmac_f32_e32 v40, v41, v40
	v_mul_f32_e32 v41, v42, v40
	s_delay_alu instid0(VALU_DEP_1) | instskip(NEXT) | instid1(VALU_DEP_1)
	v_fma_f32 v43, -v0, v41, v42
	v_fmac_f32_e32 v41, v43, v40
	s_delay_alu instid0(VALU_DEP_1) | instskip(NEXT) | instid1(VALU_DEP_1)
	v_fma_f32 v0, -v0, v41, v42
	v_div_fmas_f32 v0, v0, v40, v41
	s_delay_alu instid0(VALU_DEP_1) | instskip(NEXT) | instid1(VALU_DEP_1)
	v_div_fixup_f32 v0, v0, v39, v38
	v_fmac_f32_e32 v39, v38, v0
	s_delay_alu instid0(VALU_DEP_1) | instskip(SKIP_1) | instid1(VALU_DEP_2)
	v_div_scale_f32 v38, null, v39, v39, 1.0
	v_div_scale_f32 v42, vcc_lo, 1.0, v39, 1.0
	v_rcp_f32_e32 v40, v38
	v_nop
	s_delay_alu instid0(TRANS32_DEP_1) | instskip(NEXT) | instid1(VALU_DEP_1)
	v_fma_f32 v41, -v38, v40, 1.0
	v_fmac_f32_e32 v40, v41, v40
	s_delay_alu instid0(VALU_DEP_1) | instskip(NEXT) | instid1(VALU_DEP_1)
	v_mul_f32_e32 v41, v42, v40
	v_fma_f32 v43, -v38, v41, v42
	s_delay_alu instid0(VALU_DEP_1) | instskip(NEXT) | instid1(VALU_DEP_1)
	v_fmac_f32_e32 v41, v43, v40
	v_fma_f32 v38, -v38, v41, v42
	s_delay_alu instid0(VALU_DEP_1) | instskip(NEXT) | instid1(VALU_DEP_1)
	v_div_fmas_f32 v38, v38, v40, v41
	v_div_fixup_f32 v38, v38, v39, 1.0
	s_delay_alu instid0(VALU_DEP_1)
	v_mul_f32_e32 v40, v0, v38
	v_xor_b32_e32 v41, 0x80000000, v38
                                        ; implicit-def: $vgpr38_vgpr39
.LBB53_1098:                            ;   in Loop: Header=BB53_3 Depth=1
	s_and_not1_saveexec_b32 s86, s86
	s_cbranch_execz .LBB53_1100
; %bb.1099:                             ;   in Loop: Header=BB53_3 Depth=1
	v_div_scale_f32 v0, null, v38, v38, v39
	v_div_scale_f32 v42, vcc_lo, v39, v38, v39
	s_delay_alu instid0(VALU_DEP_2) | instskip(SKIP_1) | instid1(TRANS32_DEP_1)
	v_rcp_f32_e32 v40, v0
	v_nop
	v_fma_f32 v41, -v0, v40, 1.0
	s_delay_alu instid0(VALU_DEP_1) | instskip(NEXT) | instid1(VALU_DEP_1)
	v_fmac_f32_e32 v40, v41, v40
	v_mul_f32_e32 v41, v42, v40
	s_delay_alu instid0(VALU_DEP_1) | instskip(NEXT) | instid1(VALU_DEP_1)
	v_fma_f32 v43, -v0, v41, v42
	v_fmac_f32_e32 v41, v43, v40
	s_delay_alu instid0(VALU_DEP_1) | instskip(NEXT) | instid1(VALU_DEP_1)
	v_fma_f32 v0, -v0, v41, v42
	v_div_fmas_f32 v0, v0, v40, v41
	s_delay_alu instid0(VALU_DEP_1) | instskip(NEXT) | instid1(VALU_DEP_1)
	v_div_fixup_f32 v0, v0, v38, v39
	v_fmac_f32_e32 v38, v39, v0
	s_delay_alu instid0(VALU_DEP_1) | instskip(NEXT) | instid1(VALU_DEP_1)
	v_div_scale_f32 v39, null, v38, v38, 1.0
	v_rcp_f32_e32 v40, v39
	v_nop
	s_delay_alu instid0(TRANS32_DEP_1) | instskip(NEXT) | instid1(VALU_DEP_1)
	v_fma_f32 v41, -v39, v40, 1.0
	v_fmac_f32_e32 v40, v41, v40
	v_div_scale_f32 v41, vcc_lo, 1.0, v38, 1.0
	s_delay_alu instid0(VALU_DEP_1) | instskip(NEXT) | instid1(VALU_DEP_1)
	v_mul_f32_e32 v42, v41, v40
	v_fma_f32 v43, -v39, v42, v41
	s_delay_alu instid0(VALU_DEP_1) | instskip(NEXT) | instid1(VALU_DEP_1)
	v_fmac_f32_e32 v42, v43, v40
	v_fma_f32 v39, -v39, v42, v41
	s_delay_alu instid0(VALU_DEP_1) | instskip(NEXT) | instid1(VALU_DEP_1)
	v_div_fmas_f32 v39, v39, v40, v42
	v_div_fixup_f32 v40, v39, v38, 1.0
	s_delay_alu instid0(VALU_DEP_1)
	v_mul_f32_e64 v41, v0, -v40
.LBB53_1100:                            ;   in Loop: Header=BB53_3 Depth=1
	s_or_b32 exec_lo, exec_lo, s86
	ds_store_b64 v82, v[40:41]
.LBB53_1101:                            ;   in Loop: Header=BB53_3 Depth=1
	s_or_b32 exec_lo, exec_lo, s69
	s_and_not1_saveexec_b32 s52, s68
	s_cbranch_execnz .LBB53_25
	s_branch .LBB53_26
.LBB53_1102:                            ;   in Loop: Header=BB53_3 Depth=1
	ds_load_b64 v[34:35], v91
	ds_load_b64 v[36:37], v85
	s_wait_dscnt 0x0
	v_dual_mul_f32 v0, v37, v35 :: v_dual_mul_f32 v35, v36, v35
	s_delay_alu instid0(VALU_DEP_1) | instskip(NEXT) | instid1(VALU_DEP_1)
	v_dual_fma_f32 v0, v36, v34, -v0 :: v_dual_fmac_f32 v35, v37, v34
	v_dual_add_f32 v34, 0, v0 :: v_dual_add_f32 v35, 0, v35
	s_or_b32 exec_lo, exec_lo, s52
	s_and_saveexec_b32 s52, s7
	s_cbranch_execz .LBB53_1034
.LBB53_1103:                            ;   in Loop: Header=BB53_3 Depth=1
	ds_load_b64 v[36:37], v91 offset:8192
	ds_load_b64 v[40:41], v85 offset:128
	s_wait_dscnt 0x0
	v_dual_mul_f32 v0, v41, v37 :: v_dual_mul_f32 v43, v40, v37
	s_delay_alu instid0(VALU_DEP_1) | instskip(NEXT) | instid1(VALU_DEP_1)
	v_dual_fma_f32 v42, v40, v36, -v0 :: v_dual_fmac_f32 v43, v41, v36
	v_pk_add_f32 v[34:35], v[34:35], v[42:43]
	s_or_b32 exec_lo, exec_lo, s52
	s_and_saveexec_b32 s52, s8
	s_cbranch_execz .LBB53_1035
.LBB53_1104:                            ;   in Loop: Header=BB53_3 Depth=1
	ds_load_b64 v[36:37], v91 offset:16384
	ds_load_b64 v[40:41], v85 offset:256
	s_wait_dscnt 0x0
	v_pk_mul_f32 v[42:43], v[40:41], v[36:37] op_sel:[1,1] op_sel_hi:[0,1]
	s_delay_alu instid0(VALU_DEP_1) | instskip(SKIP_1) | instid1(VALU_DEP_2)
	v_pk_fma_f32 v[96:97], v[40:41], v[36:37], v[42:43] op_sel_hi:[1,0,1]
	v_pk_fma_f32 v[36:37], v[40:41], v[36:37], v[42:43] neg_lo:[0,0,1] neg_hi:[0,0,1]
	v_mov_b32_e32 v37, v97
	s_delay_alu instid0(VALU_DEP_1)
	v_pk_add_f32 v[34:35], v[34:35], v[36:37]
	s_or_b32 exec_lo, exec_lo, s52
	s_and_saveexec_b32 s52, s9
	s_cbranch_execnz .LBB53_1036
	s_branch .LBB53_1037
.LBB53_1105:                            ;   in Loop: Header=BB53_3 Depth=1
	s_or_b32 exec_lo, exec_lo, s86
	s_delay_alu instid0(SALU_CYCLE_1)
	s_and_b32 vcc_lo, exec_lo, s67
	s_cbranch_vccnz .LBB53_1040
.LBB53_1106:                            ;   in Loop: Header=BB53_3 Depth=1
	v_mov_b64_e32 v[38:39], v[36:37]
	v_mov_b64_e32 v[34:35], v[30:31]
	s_and_saveexec_b32 s52, s66
	s_cbranch_execz .LBB53_1108
.LBB53_1107:                            ;   in Loop: Header=BB53_3 Depth=1
	s_delay_alu instid0(VALU_DEP_1)
	v_lshl_add_u64 v[34:35], v[34:35], 3, s[68:69]
	global_store_b64 v[34:35], v[38:39], off
.LBB53_1108:                            ;   in Loop: Header=BB53_3 Depth=1
	s_wait_xcnt 0x0
	s_or_b32 exec_lo, exec_lo, s52
	global_wb scope:SCOPE_DEV
	s_wait_storecnt 0x0
	global_inv scope:SCOPE_DEV
	s_wait_loadcnt 0x0
	s_barrier_signal -1
	s_barrier_wait -1
	s_and_saveexec_b32 s52, s36
	s_cbranch_execz .LBB53_2
; %bb.1109:                             ;   in Loop: Header=BB53_3 Depth=1
	s_lshl_b64 s[66:67], s[84:85], 2
	s_delay_alu instid0(SALU_CYCLE_1)
	s_add_nc_u64 s[66:67], s[82:83], s[66:67]
	global_load_b32 v0, v1, s[66:67]
	s_wait_loadcnt 0x0
	v_add_nc_u32_e32 v0, 1, v0
	global_store_b32 v1, v0, s[66:67]
	s_branch .LBB53_2
.LBB53_1110:                            ;   in Loop: Header=BB53_3 Depth=1
	ds_load_b64 v[40:41], v52 offset:31680
	ds_load_b64 v[42:43], v53 offset:32744
	s_wait_dscnt 0x0
	v_dual_mul_f32 v0, v43, v41 :: v_dual_mul_f32 v41, v42, v41
	s_delay_alu instid0(VALU_DEP_1) | instskip(NEXT) | instid1(VALU_DEP_1)
	v_dual_fma_f32 v0, v42, v40, -v0 :: v_dual_fmac_f32 v41, v43, v40
	v_dual_add_f32 v38, v38, v0 :: v_dual_add_f32 v39, v39, v41
	s_or_b32 exec_lo, exec_lo, s52
	s_and_saveexec_b32 s52, s17
	s_cbranch_execz .LBB53_106
.LBB53_1111:                            ;   in Loop: Header=BB53_3 Depth=1
	ds_load_b64 v[40:41], v52 offset:32192
	ds_load_b64 v[42:43], v53 offset:32752
	s_wait_dscnt 0x0
	v_dual_mul_f32 v0, v43, v41 :: v_dual_mul_f32 v41, v42, v41
	s_delay_alu instid0(VALU_DEP_1) | instskip(NEXT) | instid1(VALU_DEP_1)
	v_dual_fma_f32 v0, v42, v40, -v0 :: v_dual_fmac_f32 v41, v43, v40
	v_dual_add_f32 v38, v38, v0 :: v_dual_add_f32 v39, v39, v41
	s_or_b32 exec_lo, exec_lo, s52
	s_and_saveexec_b32 s52, s0
	s_cbranch_execnz .LBB53_107
	s_branch .LBB53_108
.LBB53_1112:                            ;   in Loop: Header=BB53_3 Depth=1
	ds_load_b64 v[40:41], v58 offset:29568
	ds_load_b64 v[42:43], v59 offset:32712
	s_wait_dscnt 0x0
	v_dual_mul_f32 v0, v43, v41 :: v_dual_mul_f32 v41, v42, v41
	s_delay_alu instid0(VALU_DEP_1) | instskip(NEXT) | instid1(VALU_DEP_1)
	v_dual_fma_f32 v0, v42, v40, -v0 :: v_dual_fmac_f32 v41, v43, v40
	v_dual_add_f32 v38, v38, v0 :: v_dual_add_f32 v39, v39, v41
	s_or_b32 exec_lo, exec_lo, s52
	s_and_saveexec_b32 s52, s19
	s_cbranch_execz .LBB53_148
.LBB53_1113:                            ;   in Loop: Header=BB53_3 Depth=1
	ds_load_b64 v[40:41], v58 offset:30080
	ds_load_b64 v[42:43], v59 offset:32720
	s_wait_dscnt 0x0
	v_dual_mul_f32 v0, v43, v41 :: v_dual_mul_f32 v41, v42, v41
	s_delay_alu instid0(VALU_DEP_1) | instskip(NEXT) | instid1(VALU_DEP_1)
	v_dual_fma_f32 v0, v42, v40, -v0 :: v_dual_fmac_f32 v41, v43, v40
	v_dual_add_f32 v38, v38, v0 :: v_dual_add_f32 v39, v39, v41
	s_or_b32 exec_lo, exec_lo, s52
	s_and_saveexec_b32 s52, s20
	s_cbranch_execz .LBB53_149
.LBB53_1114:                            ;   in Loop: Header=BB53_3 Depth=1
	ds_load_b64 v[40:41], v58 offset:30592
	ds_load_b64 v[42:43], v59 offset:32728
	s_wait_dscnt 0x0
	v_dual_mul_f32 v0, v43, v41 :: v_dual_mul_f32 v41, v42, v41
	s_delay_alu instid0(VALU_DEP_1) | instskip(NEXT) | instid1(VALU_DEP_1)
	v_dual_fma_f32 v0, v42, v40, -v0 :: v_dual_fmac_f32 v41, v43, v40
	v_dual_add_f32 v38, v38, v0 :: v_dual_add_f32 v39, v39, v41
	s_or_b32 exec_lo, exec_lo, s52
	s_and_saveexec_b32 s52, s21
	s_cbranch_execz .LBB53_150
.LBB53_1115:                            ;   in Loop: Header=BB53_3 Depth=1
	ds_load_b64 v[40:41], v58 offset:31104
	ds_load_b64 v[42:43], v59 offset:32736
	s_wait_dscnt 0x0
	v_dual_mul_f32 v0, v43, v41 :: v_dual_mul_f32 v41, v42, v41
	s_delay_alu instid0(VALU_DEP_1) | instskip(NEXT) | instid1(VALU_DEP_1)
	v_dual_fma_f32 v0, v42, v40, -v0 :: v_dual_fmac_f32 v41, v43, v40
	v_dual_add_f32 v38, v38, v0 :: v_dual_add_f32 v39, v39, v41
	s_or_b32 exec_lo, exec_lo, s52
	s_and_saveexec_b32 s52, s22
	s_cbranch_execz .LBB53_151
.LBB53_1116:                            ;   in Loop: Header=BB53_3 Depth=1
	ds_load_b64 v[40:41], v58 offset:31616
	ds_load_b64 v[42:43], v59 offset:32744
	s_wait_dscnt 0x0
	v_dual_mul_f32 v0, v43, v41 :: v_dual_mul_f32 v41, v42, v41
	s_delay_alu instid0(VALU_DEP_1) | instskip(NEXT) | instid1(VALU_DEP_1)
	v_dual_fma_f32 v0, v42, v40, -v0 :: v_dual_fmac_f32 v41, v43, v40
	v_dual_add_f32 v38, v38, v0 :: v_dual_add_f32 v39, v39, v41
	s_or_b32 exec_lo, exec_lo, s52
	s_and_saveexec_b32 s52, s2
	s_cbranch_execz .LBB53_152
.LBB53_1117:                            ;   in Loop: Header=BB53_3 Depth=1
	ds_load_b64 v[40:41], v58 offset:32128
	ds_load_b64 v[42:43], v59 offset:32752
	s_wait_dscnt 0x0
	v_dual_mul_f32 v0, v43, v41 :: v_dual_mul_f32 v41, v42, v41
	s_delay_alu instid0(VALU_DEP_1) | instskip(NEXT) | instid1(VALU_DEP_1)
	v_dual_fma_f32 v0, v42, v40, -v0 :: v_dual_fmac_f32 v41, v43, v40
	v_dual_add_f32 v38, v38, v0 :: v_dual_add_f32 v39, v39, v41
	s_or_b32 exec_lo, exec_lo, s52
	s_and_saveexec_b32 s52, s17
	s_cbranch_execnz .LBB53_153
	s_branch .LBB53_154
.LBB53_1118:                            ;   in Loop: Header=BB53_3 Depth=1
	ds_load_b64 v[40:41], v52 offset:27520
	ds_load_b64 v[42:43], v53 offset:28584
	s_wait_dscnt 0x0
	v_dual_mul_f32 v0, v43, v41 :: v_dual_mul_f32 v41, v42, v41
	s_delay_alu instid0(VALU_DEP_1) | instskip(NEXT) | instid1(VALU_DEP_1)
	v_dual_fma_f32 v0, v42, v40, -v0 :: v_dual_fmac_f32 v41, v43, v40
	v_dual_add_f32 v38, v38, v0 :: v_dual_add_f32 v39, v39, v41
	s_or_b32 exec_lo, exec_lo, s52
	s_and_saveexec_b32 s52, s17
	s_cbranch_execz .LBB53_210
.LBB53_1119:                            ;   in Loop: Header=BB53_3 Depth=1
	ds_load_b64 v[40:41], v52 offset:28032
	ds_load_b64 v[42:43], v53 offset:28592
	s_wait_dscnt 0x0
	v_dual_mul_f32 v0, v43, v41 :: v_dual_mul_f32 v41, v42, v41
	s_delay_alu instid0(VALU_DEP_1) | instskip(NEXT) | instid1(VALU_DEP_1)
	v_dual_fma_f32 v0, v42, v40, -v0 :: v_dual_fmac_f32 v41, v43, v40
	v_dual_add_f32 v38, v38, v0 :: v_dual_add_f32 v39, v39, v41
	s_or_b32 exec_lo, exec_lo, s52
	s_and_saveexec_b32 s52, s0
	s_cbranch_execnz .LBB53_211
	s_branch .LBB53_212
.LBB53_1120:                            ;   in Loop: Header=BB53_3 Depth=1
	ds_load_b64 v[40:41], v62 offset:30464
	ds_load_b64 v[42:43], v63 offset:32728
	s_wait_dscnt 0x0
	v_dual_mul_f32 v0, v43, v41 :: v_dual_mul_f32 v41, v42, v41
	s_delay_alu instid0(VALU_DEP_1) | instskip(NEXT) | instid1(VALU_DEP_1)
	v_dual_fma_f32 v0, v42, v40, -v0 :: v_dual_fmac_f32 v41, v43, v40
	v_dual_add_f32 v38, v38, v0 :: v_dual_add_f32 v39, v39, v41
	s_or_b32 exec_lo, exec_lo, s52
	s_and_saveexec_b32 s52, s3
	s_cbranch_execz .LBB53_272
.LBB53_1121:                            ;   in Loop: Header=BB53_3 Depth=1
	ds_load_b64 v[40:41], v62 offset:30976
	ds_load_b64 v[42:43], v63 offset:32736
	s_wait_dscnt 0x0
	v_dual_mul_f32 v0, v43, v41 :: v_dual_mul_f32 v41, v42, v41
	s_delay_alu instid0(VALU_DEP_1) | instskip(NEXT) | instid1(VALU_DEP_1)
	v_dual_fma_f32 v0, v42, v40, -v0 :: v_dual_fmac_f32 v41, v43, v40
	v_dual_add_f32 v38, v38, v0 :: v_dual_add_f32 v39, v39, v41
	s_or_b32 exec_lo, exec_lo, s52
	s_and_saveexec_b32 s52, s19
	s_cbranch_execz .LBB53_273
.LBB53_1122:                            ;   in Loop: Header=BB53_3 Depth=1
	ds_load_b64 v[40:41], v62 offset:31488
	ds_load_b64 v[42:43], v63 offset:32744
	s_wait_dscnt 0x0
	v_dual_mul_f32 v0, v43, v41 :: v_dual_mul_f32 v41, v42, v41
	s_delay_alu instid0(VALU_DEP_1) | instskip(NEXT) | instid1(VALU_DEP_1)
	v_dual_fma_f32 v0, v42, v40, -v0 :: v_dual_fmac_f32 v41, v43, v40
	v_dual_add_f32 v38, v38, v0 :: v_dual_add_f32 v39, v39, v41
	s_or_b32 exec_lo, exec_lo, s52
	s_and_saveexec_b32 s52, s21
	s_cbranch_execz .LBB53_274
.LBB53_1123:                            ;   in Loop: Header=BB53_3 Depth=1
	ds_load_b64 v[40:41], v62 offset:32000
	ds_load_b64 v[42:43], v63 offset:32752
	s_wait_dscnt 0x0
	v_dual_mul_f32 v0, v43, v41 :: v_dual_mul_f32 v41, v42, v41
	s_delay_alu instid0(VALU_DEP_1) | instskip(NEXT) | instid1(VALU_DEP_1)
	v_dual_fma_f32 v0, v42, v40, -v0 :: v_dual_fmac_f32 v41, v43, v40
	v_dual_add_f32 v38, v38, v0 :: v_dual_add_f32 v39, v39, v41
	s_or_b32 exec_lo, exec_lo, s52
	s_and_saveexec_b32 s52, s2
	s_cbranch_execnz .LBB53_275
	s_branch .LBB53_276
.LBB53_1124:                            ;   in Loop: Header=BB53_3 Depth=1
	ds_load_b64 v[40:41], v52 offset:23360
	ds_load_b64 v[42:43], v53 offset:24424
	s_wait_dscnt 0x0
	v_dual_mul_f32 v0, v43, v41 :: v_dual_mul_f32 v41, v42, v41
	s_delay_alu instid0(VALU_DEP_1) | instskip(NEXT) | instid1(VALU_DEP_1)
	v_dual_fma_f32 v0, v42, v40, -v0 :: v_dual_fmac_f32 v41, v43, v40
	v_dual_add_f32 v38, v38, v0 :: v_dual_add_f32 v39, v39, v41
	s_or_b32 exec_lo, exec_lo, s52
	s_and_saveexec_b32 s52, s17
	s_cbranch_execz .LBB53_364
.LBB53_1125:                            ;   in Loop: Header=BB53_3 Depth=1
	ds_load_b64 v[40:41], v52 offset:23872
	ds_load_b64 v[42:43], v53 offset:24432
	s_wait_dscnt 0x0
	v_dual_mul_f32 v0, v43, v41 :: v_dual_mul_f32 v41, v42, v41
	s_delay_alu instid0(VALU_DEP_1) | instskip(NEXT) | instid1(VALU_DEP_1)
	v_dual_fma_f32 v0, v42, v40, -v0 :: v_dual_fmac_f32 v41, v43, v40
	v_dual_add_f32 v38, v38, v0 :: v_dual_add_f32 v39, v39, v41
	s_or_b32 exec_lo, exec_lo, s52
	s_and_saveexec_b32 s52, s0
	s_cbranch_execnz .LBB53_365
	s_branch .LBB53_366
.LBB53_1126:                            ;   in Loop: Header=BB53_3 Depth=1
	ds_load_b64 v[40:41], v58 offset:21248
	ds_load_b64 v[42:43], v59 offset:24392
	s_wait_dscnt 0x0
	v_dual_mul_f32 v0, v43, v41 :: v_dual_mul_f32 v41, v42, v41
	s_delay_alu instid0(VALU_DEP_1) | instskip(NEXT) | instid1(VALU_DEP_1)
	v_dual_fma_f32 v0, v42, v40, -v0 :: v_dual_fmac_f32 v41, v43, v40
	v_dual_add_f32 v38, v38, v0 :: v_dual_add_f32 v39, v39, v41
	s_or_b32 exec_lo, exec_lo, s52
	s_and_saveexec_b32 s52, s19
	s_cbranch_execz .LBB53_406
.LBB53_1127:                            ;   in Loop: Header=BB53_3 Depth=1
	ds_load_b64 v[40:41], v58 offset:21760
	ds_load_b64 v[42:43], v59 offset:24400
	s_wait_dscnt 0x0
	v_dual_mul_f32 v0, v43, v41 :: v_dual_mul_f32 v41, v42, v41
	s_delay_alu instid0(VALU_DEP_1) | instskip(NEXT) | instid1(VALU_DEP_1)
	v_dual_fma_f32 v0, v42, v40, -v0 :: v_dual_fmac_f32 v41, v43, v40
	v_dual_add_f32 v38, v38, v0 :: v_dual_add_f32 v39, v39, v41
	s_or_b32 exec_lo, exec_lo, s52
	s_and_saveexec_b32 s52, s20
	s_cbranch_execz .LBB53_407
.LBB53_1128:                            ;   in Loop: Header=BB53_3 Depth=1
	ds_load_b64 v[40:41], v58 offset:22272
	ds_load_b64 v[42:43], v59 offset:24408
	s_wait_dscnt 0x0
	v_dual_mul_f32 v0, v43, v41 :: v_dual_mul_f32 v41, v42, v41
	s_delay_alu instid0(VALU_DEP_1) | instskip(NEXT) | instid1(VALU_DEP_1)
	v_dual_fma_f32 v0, v42, v40, -v0 :: v_dual_fmac_f32 v41, v43, v40
	v_dual_add_f32 v38, v38, v0 :: v_dual_add_f32 v39, v39, v41
	s_or_b32 exec_lo, exec_lo, s52
	s_and_saveexec_b32 s52, s21
	s_cbranch_execz .LBB53_408
.LBB53_1129:                            ;   in Loop: Header=BB53_3 Depth=1
	ds_load_b64 v[40:41], v58 offset:22784
	ds_load_b64 v[42:43], v59 offset:24416
	s_wait_dscnt 0x0
	v_dual_mul_f32 v0, v43, v41 :: v_dual_mul_f32 v41, v42, v41
	s_delay_alu instid0(VALU_DEP_1) | instskip(NEXT) | instid1(VALU_DEP_1)
	v_dual_fma_f32 v0, v42, v40, -v0 :: v_dual_fmac_f32 v41, v43, v40
	v_dual_add_f32 v38, v38, v0 :: v_dual_add_f32 v39, v39, v41
	s_or_b32 exec_lo, exec_lo, s52
	s_and_saveexec_b32 s52, s22
	s_cbranch_execz .LBB53_409
.LBB53_1130:                            ;   in Loop: Header=BB53_3 Depth=1
	ds_load_b64 v[40:41], v58 offset:23296
	ds_load_b64 v[42:43], v59 offset:24424
	s_wait_dscnt 0x0
	v_dual_mul_f32 v0, v43, v41 :: v_dual_mul_f32 v41, v42, v41
	s_delay_alu instid0(VALU_DEP_1) | instskip(NEXT) | instid1(VALU_DEP_1)
	v_dual_fma_f32 v0, v42, v40, -v0 :: v_dual_fmac_f32 v41, v43, v40
	v_dual_add_f32 v38, v38, v0 :: v_dual_add_f32 v39, v39, v41
	s_or_b32 exec_lo, exec_lo, s52
	s_and_saveexec_b32 s52, s2
	s_cbranch_execz .LBB53_410
.LBB53_1131:                            ;   in Loop: Header=BB53_3 Depth=1
	ds_load_b64 v[40:41], v58 offset:23808
	ds_load_b64 v[42:43], v59 offset:24432
	s_wait_dscnt 0x0
	v_dual_mul_f32 v0, v43, v41 :: v_dual_mul_f32 v41, v42, v41
	s_delay_alu instid0(VALU_DEP_1) | instskip(NEXT) | instid1(VALU_DEP_1)
	v_dual_fma_f32 v0, v42, v40, -v0 :: v_dual_fmac_f32 v41, v43, v40
	v_dual_add_f32 v38, v38, v0 :: v_dual_add_f32 v39, v39, v41
	s_or_b32 exec_lo, exec_lo, s52
	s_and_saveexec_b32 s52, s17
	s_cbranch_execnz .LBB53_411
	s_branch .LBB53_412
.LBB53_1132:                            ;   in Loop: Header=BB53_3 Depth=1
	ds_load_b64 v[40:41], v52 offset:19200
	ds_load_b64 v[42:43], v53 offset:20264
	s_wait_dscnt 0x0
	v_dual_mul_f32 v0, v43, v41 :: v_dual_mul_f32 v41, v42, v41
	s_delay_alu instid0(VALU_DEP_1) | instskip(NEXT) | instid1(VALU_DEP_1)
	v_dual_fma_f32 v0, v42, v40, -v0 :: v_dual_fmac_f32 v41, v43, v40
	v_dual_add_f32 v38, v38, v0 :: v_dual_add_f32 v39, v39, v41
	s_or_b32 exec_lo, exec_lo, s52
	s_and_saveexec_b32 s52, s17
	s_cbranch_execz .LBB53_468
.LBB53_1133:                            ;   in Loop: Header=BB53_3 Depth=1
	ds_load_b64 v[40:41], v52 offset:19712
	ds_load_b64 v[42:43], v53 offset:20272
	s_wait_dscnt 0x0
	v_dual_mul_f32 v0, v43, v41 :: v_dual_mul_f32 v41, v42, v41
	s_delay_alu instid0(VALU_DEP_1) | instskip(NEXT) | instid1(VALU_DEP_1)
	v_dual_fma_f32 v0, v42, v40, -v0 :: v_dual_fmac_f32 v41, v43, v40
	v_dual_add_f32 v38, v38, v0 :: v_dual_add_f32 v39, v39, v41
	s_or_b32 exec_lo, exec_lo, s52
	s_and_saveexec_b32 s52, s0
	s_cbranch_execnz .LBB53_469
	s_branch .LBB53_470
.LBB53_1134:                            ;   in Loop: Header=BB53_3 Depth=1
	ds_load_b64 v[40:41], v5 offset:31232
	ds_load_b64 v[42:43], v67 offset:32744
	s_wait_dscnt 0x0
	v_pk_mul_f32 v[96:97], v[42:43], v[40:41] op_sel:[1,1] op_sel_hi:[0,1]
	s_delay_alu instid0(VALU_DEP_1) | instskip(SKIP_1) | instid1(VALU_DEP_2)
	v_pk_fma_f32 v[98:99], v[42:43], v[40:41], v[96:97] op_sel_hi:[1,0,1]
	v_pk_fma_f32 v[40:41], v[42:43], v[40:41], v[96:97] neg_lo:[0,0,1] neg_hi:[0,0,1]
	v_mov_b32_e32 v41, v99
	s_delay_alu instid0(VALU_DEP_1)
	v_pk_add_f32 v[38:39], v[38:39], v[40:41]
	s_or_b32 exec_lo, exec_lo, s52
	s_and_saveexec_b32 s52, s3
	s_cbranch_execz .LBB53_566
.LBB53_1135:                            ;   in Loop: Header=BB53_3 Depth=1
	ds_load_b64 v[40:41], v5 offset:31744
	ds_load_b64 v[42:43], v67 offset:32752
	s_wait_dscnt 0x0
	v_pk_mul_f32 v[96:97], v[42:43], v[40:41] op_sel:[1,1] op_sel_hi:[0,1]
	s_delay_alu instid0(VALU_DEP_1) | instskip(SKIP_1) | instid1(VALU_DEP_2)
	v_pk_fma_f32 v[98:99], v[42:43], v[40:41], v[96:97] op_sel_hi:[1,0,1]
	v_pk_fma_f32 v[40:41], v[42:43], v[40:41], v[96:97] neg_lo:[0,0,1] neg_hi:[0,0,1]
	v_mov_b32_e32 v41, v99
	s_delay_alu instid0(VALU_DEP_1) | instskip(SKIP_2) | instid1(SALU_CYCLE_1)
	v_pk_add_f32 v[38:39], v[38:39], v[40:41]
	s_or_b32 exec_lo, exec_lo, s52
	s_and_saveexec_b32 s52, s21
	s_xor_b32 s52, exec_lo, s52
	s_cbranch_execnz .LBB53_567
	s_branch .LBB53_568
.LBB53_1136:                            ;   in Loop: Header=BB53_3 Depth=1
	ds_load_b64 v[40:41], v52 offset:15040
	ds_load_b64 v[42:43], v53 offset:16104
	s_wait_dscnt 0x0
	v_dual_mul_f32 v0, v43, v41 :: v_dual_mul_f32 v41, v42, v41
	s_delay_alu instid0(VALU_DEP_1) | instskip(NEXT) | instid1(VALU_DEP_1)
	v_dual_fma_f32 v0, v42, v40, -v0 :: v_dual_fmac_f32 v41, v43, v40
	v_dual_add_f32 v38, v38, v0 :: v_dual_add_f32 v39, v39, v41
	s_or_b32 exec_lo, exec_lo, s52
	s_and_saveexec_b32 s52, s17
	s_cbranch_execz .LBB53_604
.LBB53_1137:                            ;   in Loop: Header=BB53_3 Depth=1
	ds_load_b64 v[40:41], v52 offset:15552
	ds_load_b64 v[42:43], v53 offset:16112
	s_wait_dscnt 0x0
	v_dual_mul_f32 v0, v43, v41 :: v_dual_mul_f32 v41, v42, v41
	s_delay_alu instid0(VALU_DEP_1) | instskip(NEXT) | instid1(VALU_DEP_1)
	v_dual_fma_f32 v0, v42, v40, -v0 :: v_dual_fmac_f32 v41, v43, v40
	v_dual_add_f32 v38, v38, v0 :: v_dual_add_f32 v39, v39, v41
	s_or_b32 exec_lo, exec_lo, s52
	s_and_saveexec_b32 s52, s0
	s_cbranch_execnz .LBB53_605
	s_branch .LBB53_606
.LBB53_1138:                            ;   in Loop: Header=BB53_3 Depth=1
	ds_load_b64 v[40:41], v58 offset:12928
	ds_load_b64 v[42:43], v59 offset:16072
	s_wait_dscnt 0x0
	v_dual_mul_f32 v0, v43, v41 :: v_dual_mul_f32 v41, v42, v41
	s_delay_alu instid0(VALU_DEP_1) | instskip(NEXT) | instid1(VALU_DEP_1)
	v_dual_fma_f32 v0, v42, v40, -v0 :: v_dual_fmac_f32 v41, v43, v40
	v_dual_add_f32 v38, v38, v0 :: v_dual_add_f32 v39, v39, v41
	s_or_b32 exec_lo, exec_lo, s52
	s_and_saveexec_b32 s52, s19
	s_cbranch_execz .LBB53_646
.LBB53_1139:                            ;   in Loop: Header=BB53_3 Depth=1
	ds_load_b64 v[40:41], v58 offset:13440
	ds_load_b64 v[42:43], v59 offset:16080
	s_wait_dscnt 0x0
	v_dual_mul_f32 v0, v43, v41 :: v_dual_mul_f32 v41, v42, v41
	s_delay_alu instid0(VALU_DEP_1) | instskip(NEXT) | instid1(VALU_DEP_1)
	v_dual_fma_f32 v0, v42, v40, -v0 :: v_dual_fmac_f32 v41, v43, v40
	v_dual_add_f32 v38, v38, v0 :: v_dual_add_f32 v39, v39, v41
	s_or_b32 exec_lo, exec_lo, s52
	s_and_saveexec_b32 s52, s20
	s_cbranch_execz .LBB53_647
.LBB53_1140:                            ;   in Loop: Header=BB53_3 Depth=1
	ds_load_b64 v[40:41], v58 offset:13952
	ds_load_b64 v[42:43], v59 offset:16088
	s_wait_dscnt 0x0
	v_dual_mul_f32 v0, v43, v41 :: v_dual_mul_f32 v41, v42, v41
	s_delay_alu instid0(VALU_DEP_1) | instskip(NEXT) | instid1(VALU_DEP_1)
	v_dual_fma_f32 v0, v42, v40, -v0 :: v_dual_fmac_f32 v41, v43, v40
	v_dual_add_f32 v38, v38, v0 :: v_dual_add_f32 v39, v39, v41
	s_or_b32 exec_lo, exec_lo, s52
	s_and_saveexec_b32 s52, s21
	s_cbranch_execz .LBB53_648
.LBB53_1141:                            ;   in Loop: Header=BB53_3 Depth=1
	ds_load_b64 v[40:41], v58 offset:14464
	ds_load_b64 v[42:43], v59 offset:16096
	s_wait_dscnt 0x0
	v_dual_mul_f32 v0, v43, v41 :: v_dual_mul_f32 v41, v42, v41
	s_delay_alu instid0(VALU_DEP_1) | instskip(NEXT) | instid1(VALU_DEP_1)
	v_dual_fma_f32 v0, v42, v40, -v0 :: v_dual_fmac_f32 v41, v43, v40
	v_dual_add_f32 v38, v38, v0 :: v_dual_add_f32 v39, v39, v41
	s_or_b32 exec_lo, exec_lo, s52
	s_and_saveexec_b32 s52, s22
	s_cbranch_execz .LBB53_649
.LBB53_1142:                            ;   in Loop: Header=BB53_3 Depth=1
	ds_load_b64 v[40:41], v58 offset:14976
	ds_load_b64 v[42:43], v59 offset:16104
	s_wait_dscnt 0x0
	v_dual_mul_f32 v0, v43, v41 :: v_dual_mul_f32 v41, v42, v41
	s_delay_alu instid0(VALU_DEP_1) | instskip(NEXT) | instid1(VALU_DEP_1)
	v_dual_fma_f32 v0, v42, v40, -v0 :: v_dual_fmac_f32 v41, v43, v40
	v_dual_add_f32 v38, v38, v0 :: v_dual_add_f32 v39, v39, v41
	s_or_b32 exec_lo, exec_lo, s52
	s_and_saveexec_b32 s52, s2
	s_cbranch_execz .LBB53_650
.LBB53_1143:                            ;   in Loop: Header=BB53_3 Depth=1
	ds_load_b64 v[40:41], v58 offset:15488
	ds_load_b64 v[42:43], v59 offset:16112
	s_wait_dscnt 0x0
	v_dual_mul_f32 v0, v43, v41 :: v_dual_mul_f32 v41, v42, v41
	s_delay_alu instid0(VALU_DEP_1) | instskip(NEXT) | instid1(VALU_DEP_1)
	v_dual_fma_f32 v0, v42, v40, -v0 :: v_dual_fmac_f32 v41, v43, v40
	v_dual_add_f32 v38, v38, v0 :: v_dual_add_f32 v39, v39, v41
	s_or_b32 exec_lo, exec_lo, s52
	s_and_saveexec_b32 s52, s17
	s_cbranch_execnz .LBB53_651
	s_branch .LBB53_652
.LBB53_1144:                            ;   in Loop: Header=BB53_3 Depth=1
	ds_load_b64 v[40:41], v52 offset:10880
	ds_load_b64 v[42:43], v53 offset:11944
	s_wait_dscnt 0x0
	v_dual_mul_f32 v0, v43, v41 :: v_dual_mul_f32 v41, v42, v41
	s_delay_alu instid0(VALU_DEP_1) | instskip(NEXT) | instid1(VALU_DEP_1)
	v_dual_fma_f32 v0, v42, v40, -v0 :: v_dual_fmac_f32 v41, v43, v40
	v_dual_add_f32 v38, v38, v0 :: v_dual_add_f32 v39, v39, v41
	s_or_b32 exec_lo, exec_lo, s52
	s_and_saveexec_b32 s52, s17
	s_cbranch_execz .LBB53_708
.LBB53_1145:                            ;   in Loop: Header=BB53_3 Depth=1
	ds_load_b64 v[40:41], v52 offset:11392
	ds_load_b64 v[42:43], v53 offset:11952
	s_wait_dscnt 0x0
	v_dual_mul_f32 v0, v43, v41 :: v_dual_mul_f32 v41, v42, v41
	s_delay_alu instid0(VALU_DEP_1) | instskip(NEXT) | instid1(VALU_DEP_1)
	v_dual_fma_f32 v0, v42, v40, -v0 :: v_dual_fmac_f32 v41, v43, v40
	v_dual_add_f32 v38, v38, v0 :: v_dual_add_f32 v39, v39, v41
	s_or_b32 exec_lo, exec_lo, s52
	s_and_saveexec_b32 s52, s0
	s_cbranch_execnz .LBB53_709
	s_branch .LBB53_710
.LBB53_1146:                            ;   in Loop: Header=BB53_3 Depth=1
	ds_load_b64 v[40:41], v62 offset:13824
	ds_load_b64 v[42:43], v63 offset:16088
	s_wait_dscnt 0x0
	v_dual_mul_f32 v0, v43, v41 :: v_dual_mul_f32 v41, v42, v41
	s_delay_alu instid0(VALU_DEP_1) | instskip(NEXT) | instid1(VALU_DEP_1)
	v_dual_fma_f32 v0, v42, v40, -v0 :: v_dual_fmac_f32 v41, v43, v40
	v_dual_add_f32 v38, v38, v0 :: v_dual_add_f32 v39, v39, v41
	s_or_b32 exec_lo, exec_lo, s52
	s_and_saveexec_b32 s52, s3
	s_cbranch_execz .LBB53_770
.LBB53_1147:                            ;   in Loop: Header=BB53_3 Depth=1
	ds_load_b64 v[40:41], v62 offset:14336
	ds_load_b64 v[42:43], v63 offset:16096
	s_wait_dscnt 0x0
	v_dual_mul_f32 v0, v43, v41 :: v_dual_mul_f32 v41, v42, v41
	s_delay_alu instid0(VALU_DEP_1) | instskip(NEXT) | instid1(VALU_DEP_1)
	v_dual_fma_f32 v0, v42, v40, -v0 :: v_dual_fmac_f32 v41, v43, v40
	v_dual_add_f32 v38, v38, v0 :: v_dual_add_f32 v39, v39, v41
	s_or_b32 exec_lo, exec_lo, s52
	s_and_saveexec_b32 s52, s19
	s_cbranch_execz .LBB53_771
.LBB53_1148:                            ;   in Loop: Header=BB53_3 Depth=1
	ds_load_b64 v[40:41], v62 offset:14848
	ds_load_b64 v[42:43], v63 offset:16104
	s_wait_dscnt 0x0
	v_dual_mul_f32 v0, v43, v41 :: v_dual_mul_f32 v41, v42, v41
	s_delay_alu instid0(VALU_DEP_1) | instskip(NEXT) | instid1(VALU_DEP_1)
	v_dual_fma_f32 v0, v42, v40, -v0 :: v_dual_fmac_f32 v41, v43, v40
	v_dual_add_f32 v38, v38, v0 :: v_dual_add_f32 v39, v39, v41
	s_or_b32 exec_lo, exec_lo, s52
	s_and_saveexec_b32 s52, s21
	s_cbranch_execz .LBB53_772
.LBB53_1149:                            ;   in Loop: Header=BB53_3 Depth=1
	ds_load_b64 v[40:41], v62 offset:15360
	ds_load_b64 v[42:43], v63 offset:16112
	s_wait_dscnt 0x0
	v_dual_mul_f32 v0, v43, v41 :: v_dual_mul_f32 v41, v42, v41
	s_delay_alu instid0(VALU_DEP_1) | instskip(NEXT) | instid1(VALU_DEP_1)
	v_dual_fma_f32 v0, v42, v40, -v0 :: v_dual_fmac_f32 v41, v43, v40
	v_dual_add_f32 v38, v38, v0 :: v_dual_add_f32 v39, v39, v41
	s_or_b32 exec_lo, exec_lo, s52
	s_and_saveexec_b32 s52, s2
	s_cbranch_execnz .LBB53_773
	s_branch .LBB53_774
.LBB53_1150:                            ;   in Loop: Header=BB53_3 Depth=1
	ds_load_b64 v[40:41], v52 offset:6720
	ds_load_b64 v[42:43], v53 offset:7784
	s_wait_dscnt 0x0
	v_dual_mul_f32 v0, v43, v41 :: v_dual_mul_f32 v41, v42, v41
	s_delay_alu instid0(VALU_DEP_1) | instskip(NEXT) | instid1(VALU_DEP_1)
	v_dual_fma_f32 v0, v42, v40, -v0 :: v_dual_fmac_f32 v41, v43, v40
	v_dual_add_f32 v38, v38, v0 :: v_dual_add_f32 v39, v39, v41
	s_or_b32 exec_lo, exec_lo, s52
	s_and_saveexec_b32 s52, s17
	s_cbranch_execz .LBB53_862
.LBB53_1151:                            ;   in Loop: Header=BB53_3 Depth=1
	ds_load_b64 v[40:41], v52 offset:7232
	ds_load_b64 v[42:43], v53 offset:7792
	s_wait_dscnt 0x0
	v_dual_mul_f32 v0, v43, v41 :: v_dual_mul_f32 v41, v42, v41
	s_delay_alu instid0(VALU_DEP_1) | instskip(NEXT) | instid1(VALU_DEP_1)
	v_dual_fma_f32 v0, v42, v40, -v0 :: v_dual_fmac_f32 v41, v43, v40
	v_dual_add_f32 v38, v38, v0 :: v_dual_add_f32 v39, v39, v41
	s_or_b32 exec_lo, exec_lo, s52
	s_and_saveexec_b32 s52, s0
	s_cbranch_execnz .LBB53_863
	s_branch .LBB53_864
.LBB53_1152:                            ;   in Loop: Header=BB53_3 Depth=1
	ds_load_b64 v[40:41], v58 offset:4608
	ds_load_b64 v[42:43], v59 offset:7752
	s_wait_dscnt 0x0
	v_dual_mul_f32 v0, v43, v41 :: v_dual_mul_f32 v41, v42, v41
	s_delay_alu instid0(VALU_DEP_1) | instskip(NEXT) | instid1(VALU_DEP_1)
	v_dual_fma_f32 v0, v42, v40, -v0 :: v_dual_fmac_f32 v41, v43, v40
	v_dual_add_f32 v38, v38, v0 :: v_dual_add_f32 v39, v39, v41
	s_or_b32 exec_lo, exec_lo, s52
	s_and_saveexec_b32 s52, s19
	s_cbranch_execz .LBB53_904
.LBB53_1153:                            ;   in Loop: Header=BB53_3 Depth=1
	ds_load_b64 v[40:41], v58 offset:5120
	ds_load_b64 v[42:43], v59 offset:7760
	s_wait_dscnt 0x0
	v_dual_mul_f32 v0, v43, v41 :: v_dual_mul_f32 v41, v42, v41
	s_delay_alu instid0(VALU_DEP_1) | instskip(NEXT) | instid1(VALU_DEP_1)
	v_dual_fma_f32 v0, v42, v40, -v0 :: v_dual_fmac_f32 v41, v43, v40
	v_dual_add_f32 v38, v38, v0 :: v_dual_add_f32 v39, v39, v41
	s_or_b32 exec_lo, exec_lo, s52
	s_and_saveexec_b32 s52, s20
	s_cbranch_execz .LBB53_905
.LBB53_1154:                            ;   in Loop: Header=BB53_3 Depth=1
	ds_load_b64 v[40:41], v58 offset:5632
	ds_load_b64 v[42:43], v59 offset:7768
	s_wait_dscnt 0x0
	v_dual_mul_f32 v0, v43, v41 :: v_dual_mul_f32 v41, v42, v41
	s_delay_alu instid0(VALU_DEP_1) | instskip(NEXT) | instid1(VALU_DEP_1)
	v_dual_fma_f32 v0, v42, v40, -v0 :: v_dual_fmac_f32 v41, v43, v40
	v_dual_add_f32 v38, v38, v0 :: v_dual_add_f32 v39, v39, v41
	s_or_b32 exec_lo, exec_lo, s52
	s_and_saveexec_b32 s52, s21
	s_cbranch_execz .LBB53_906
.LBB53_1155:                            ;   in Loop: Header=BB53_3 Depth=1
	ds_load_b64 v[40:41], v58 offset:6144
	ds_load_b64 v[42:43], v59 offset:7776
	s_wait_dscnt 0x0
	v_dual_mul_f32 v0, v43, v41 :: v_dual_mul_f32 v41, v42, v41
	s_delay_alu instid0(VALU_DEP_1) | instskip(NEXT) | instid1(VALU_DEP_1)
	v_dual_fma_f32 v0, v42, v40, -v0 :: v_dual_fmac_f32 v41, v43, v40
	v_dual_add_f32 v38, v38, v0 :: v_dual_add_f32 v39, v39, v41
	s_or_b32 exec_lo, exec_lo, s52
	s_and_saveexec_b32 s52, s22
	s_cbranch_execz .LBB53_907
.LBB53_1156:                            ;   in Loop: Header=BB53_3 Depth=1
	ds_load_b64 v[40:41], v58 offset:6656
	ds_load_b64 v[42:43], v59 offset:7784
	s_wait_dscnt 0x0
	v_dual_mul_f32 v0, v43, v41 :: v_dual_mul_f32 v41, v42, v41
	s_delay_alu instid0(VALU_DEP_1) | instskip(NEXT) | instid1(VALU_DEP_1)
	v_dual_fma_f32 v0, v42, v40, -v0 :: v_dual_fmac_f32 v41, v43, v40
	v_dual_add_f32 v38, v38, v0 :: v_dual_add_f32 v39, v39, v41
	s_or_b32 exec_lo, exec_lo, s52
	s_and_saveexec_b32 s52, s2
	s_cbranch_execz .LBB53_908
.LBB53_1157:                            ;   in Loop: Header=BB53_3 Depth=1
	ds_load_b64 v[40:41], v58 offset:7168
	ds_load_b64 v[42:43], v59 offset:7792
	s_wait_dscnt 0x0
	v_dual_mul_f32 v0, v43, v41 :: v_dual_mul_f32 v41, v42, v41
	s_delay_alu instid0(VALU_DEP_1) | instskip(NEXT) | instid1(VALU_DEP_1)
	v_dual_fma_f32 v0, v42, v40, -v0 :: v_dual_fmac_f32 v41, v43, v40
	v_dual_add_f32 v38, v38, v0 :: v_dual_add_f32 v39, v39, v41
	s_or_b32 exec_lo, exec_lo, s52
	s_and_saveexec_b32 s52, s17
	s_cbranch_execnz .LBB53_909
	s_branch .LBB53_910
.LBB53_1158:                            ;   in Loop: Header=BB53_3 Depth=1
	ds_load_b64 v[40:41], v52 offset:2560
	ds_load_b64 v[42:43], v53 offset:3624
	s_wait_dscnt 0x0
	v_dual_mul_f32 v0, v43, v41 :: v_dual_mul_f32 v41, v42, v41
	s_delay_alu instid0(VALU_DEP_1) | instskip(NEXT) | instid1(VALU_DEP_1)
	v_dual_fma_f32 v0, v42, v40, -v0 :: v_dual_fmac_f32 v41, v43, v40
	v_dual_add_f32 v38, v38, v0 :: v_dual_add_f32 v39, v39, v41
	s_or_b32 exec_lo, exec_lo, s52
	s_and_saveexec_b32 s52, s17
	s_cbranch_execz .LBB53_966
.LBB53_1159:                            ;   in Loop: Header=BB53_3 Depth=1
	ds_load_b64 v[40:41], v52 offset:3072
	ds_load_b64 v[42:43], v53 offset:3632
	s_wait_dscnt 0x0
	v_dual_mul_f32 v0, v43, v41 :: v_dual_mul_f32 v41, v42, v41
	s_delay_alu instid0(VALU_DEP_1) | instskip(NEXT) | instid1(VALU_DEP_1)
	v_dual_fma_f32 v0, v42, v40, -v0 :: v_dual_fmac_f32 v41, v43, v40
	v_dual_add_f32 v38, v38, v0 :: v_dual_add_f32 v39, v39, v41
	s_or_b32 exec_lo, exec_lo, s52
	s_and_saveexec_b32 s52, s0
	s_cbranch_execnz .LBB53_967
	s_branch .LBB53_968
.LBB53_1160:
	s_endpgm
	.section	.rodata,"a",@progbits
	.p2align	6, 0x0
	.amdhsa_kernel _ZL19rocblas_trsv_deviceILi64ELi16ELb0ELb1ELb0ELb0E19rocblas_complex_numIfEPKS1_S3_PS1_EviT7_lllT6_T8_lllPii
		.amdhsa_group_segment_fixed_size 41480
		.amdhsa_private_segment_fixed_size 48
		.amdhsa_kernarg_size 352
		.amdhsa_user_sgpr_count 2
		.amdhsa_user_sgpr_dispatch_ptr 0
		.amdhsa_user_sgpr_queue_ptr 0
		.amdhsa_user_sgpr_kernarg_segment_ptr 1
		.amdhsa_user_sgpr_dispatch_id 0
		.amdhsa_user_sgpr_kernarg_preload_length 0
		.amdhsa_user_sgpr_kernarg_preload_offset 0
		.amdhsa_user_sgpr_private_segment_size 0
		.amdhsa_wavefront_size32 1
		.amdhsa_uses_dynamic_stack 0
		.amdhsa_enable_private_segment 1
		.amdhsa_system_sgpr_workgroup_id_x 1
		.amdhsa_system_sgpr_workgroup_id_y 0
		.amdhsa_system_sgpr_workgroup_id_z 1
		.amdhsa_system_sgpr_workgroup_info 0
		.amdhsa_system_vgpr_workitem_id 1
		.amdhsa_next_free_vgpr 106
		.amdhsa_next_free_sgpr 105
		.amdhsa_named_barrier_count 0
		.amdhsa_reserve_vcc 1
		.amdhsa_float_round_mode_32 0
		.amdhsa_float_round_mode_16_64 0
		.amdhsa_float_denorm_mode_32 3
		.amdhsa_float_denorm_mode_16_64 3
		.amdhsa_fp16_overflow 0
		.amdhsa_memory_ordered 1
		.amdhsa_forward_progress 1
		.amdhsa_inst_pref_size 255
		.amdhsa_round_robin_scheduling 0
		.amdhsa_exception_fp_ieee_invalid_op 0
		.amdhsa_exception_fp_denorm_src 0
		.amdhsa_exception_fp_ieee_div_zero 0
		.amdhsa_exception_fp_ieee_overflow 0
		.amdhsa_exception_fp_ieee_underflow 0
		.amdhsa_exception_fp_ieee_inexact 0
		.amdhsa_exception_int_div_zero 0
	.end_amdhsa_kernel
	.section	.text._ZL19rocblas_trsv_deviceILi64ELi16ELb0ELb1ELb0ELb0E19rocblas_complex_numIfEPKS1_S3_PS1_EviT7_lllT6_T8_lllPii,"axG",@progbits,_ZL19rocblas_trsv_deviceILi64ELi16ELb0ELb1ELb0ELb0E19rocblas_complex_numIfEPKS1_S3_PS1_EviT7_lllT6_T8_lllPii,comdat
.Lfunc_end53:
	.size	_ZL19rocblas_trsv_deviceILi64ELi16ELb0ELb1ELb0ELb0E19rocblas_complex_numIfEPKS1_S3_PS1_EviT7_lllT6_T8_lllPii, .Lfunc_end53-_ZL19rocblas_trsv_deviceILi64ELi16ELb0ELb1ELb0ELb0E19rocblas_complex_numIfEPKS1_S3_PS1_EviT7_lllT6_T8_lllPii
                                        ; -- End function
	.set _ZL19rocblas_trsv_deviceILi64ELi16ELb0ELb1ELb0ELb0E19rocblas_complex_numIfEPKS1_S3_PS1_EviT7_lllT6_T8_lllPii.num_vgpr, 106
	.set _ZL19rocblas_trsv_deviceILi64ELi16ELb0ELb1ELb0ELb0E19rocblas_complex_numIfEPKS1_S3_PS1_EviT7_lllT6_T8_lllPii.num_agpr, 0
	.set _ZL19rocblas_trsv_deviceILi64ELi16ELb0ELb1ELb0ELb0E19rocblas_complex_numIfEPKS1_S3_PS1_EviT7_lllT6_T8_lllPii.numbered_sgpr, 105
	.set _ZL19rocblas_trsv_deviceILi64ELi16ELb0ELb1ELb0ELb0E19rocblas_complex_numIfEPKS1_S3_PS1_EviT7_lllT6_T8_lllPii.num_named_barrier, 0
	.set _ZL19rocblas_trsv_deviceILi64ELi16ELb0ELb1ELb0ELb0E19rocblas_complex_numIfEPKS1_S3_PS1_EviT7_lllT6_T8_lllPii.private_seg_size, 48
	.set _ZL19rocblas_trsv_deviceILi64ELi16ELb0ELb1ELb0ELb0E19rocblas_complex_numIfEPKS1_S3_PS1_EviT7_lllT6_T8_lllPii.uses_vcc, 1
	.set _ZL19rocblas_trsv_deviceILi64ELi16ELb0ELb1ELb0ELb0E19rocblas_complex_numIfEPKS1_S3_PS1_EviT7_lllT6_T8_lllPii.uses_flat_scratch, 0
	.set _ZL19rocblas_trsv_deviceILi64ELi16ELb0ELb1ELb0ELb0E19rocblas_complex_numIfEPKS1_S3_PS1_EviT7_lllT6_T8_lllPii.has_dyn_sized_stack, 0
	.set _ZL19rocblas_trsv_deviceILi64ELi16ELb0ELb1ELb0ELb0E19rocblas_complex_numIfEPKS1_S3_PS1_EviT7_lllT6_T8_lllPii.has_recursion, 0
	.set _ZL19rocblas_trsv_deviceILi64ELi16ELb0ELb1ELb0ELb0E19rocblas_complex_numIfEPKS1_S3_PS1_EviT7_lllT6_T8_lllPii.has_indirect_call, 0
	.section	.AMDGPU.csdata,"",@progbits
; Kernel info:
; codeLenInByte = 54160
; TotalNumSgprs: 107
; NumVgprs: 106
; ScratchSize: 48
; MemoryBound: 0
; FloatMode: 240
; IeeeMode: 1
; LDSByteSize: 41480 bytes/workgroup (compile time only)
; SGPRBlocks: 0
; VGPRBlocks: 6
; NumSGPRsForWavesPerEU: 107
; NumVGPRsForWavesPerEU: 106
; NamedBarCnt: 0
; Occupancy: 9
; WaveLimiterHint : 0
; COMPUTE_PGM_RSRC2:SCRATCH_EN: 1
; COMPUTE_PGM_RSRC2:USER_SGPR: 2
; COMPUTE_PGM_RSRC2:TRAP_HANDLER: 0
; COMPUTE_PGM_RSRC2:TGID_X_EN: 1
; COMPUTE_PGM_RSRC2:TGID_Y_EN: 0
; COMPUTE_PGM_RSRC2:TGID_Z_EN: 1
; COMPUTE_PGM_RSRC2:TIDIG_COMP_CNT: 1
	.section	.text._ZL19rocblas_trsv_deviceILi64ELi16ELb0ELb1ELb1ELb0E19rocblas_complex_numIfEPKS1_S3_PS1_EviT7_lllT6_T8_lllPii,"axG",@progbits,_ZL19rocblas_trsv_deviceILi64ELi16ELb0ELb1ELb1ELb0E19rocblas_complex_numIfEPKS1_S3_PS1_EviT7_lllT6_T8_lllPii,comdat
	.globl	_ZL19rocblas_trsv_deviceILi64ELi16ELb0ELb1ELb1ELb0E19rocblas_complex_numIfEPKS1_S3_PS1_EviT7_lllT6_T8_lllPii ; -- Begin function _ZL19rocblas_trsv_deviceILi64ELi16ELb0ELb1ELb1ELb0E19rocblas_complex_numIfEPKS1_S3_PS1_EviT7_lllT6_T8_lllPii
	.p2align	8
	.type	_ZL19rocblas_trsv_deviceILi64ELi16ELb0ELb1ELb1ELb0E19rocblas_complex_numIfEPKS1_S3_PS1_EviT7_lllT6_T8_lllPii,@function
_ZL19rocblas_trsv_deviceILi64ELi16ELb0ELb1ELb1ELb0E19rocblas_complex_numIfEPKS1_S3_PS1_EviT7_lllT6_T8_lllPii: ; @_ZL19rocblas_trsv_deviceILi64ELi16ELb0ELb1ELb1ELb0E19rocblas_complex_numIfEPKS1_S3_PS1_EviT7_lllT6_T8_lllPii
; %bb.0:
	s_load_b32 s86, s[0:1], 0x58
	s_bfe_u32 s2, ttmp6, 0x40014
	s_lshr_b32 s3, ttmp7, 16
	s_add_co_i32 s2, s2, 1
	s_bfe_u32 s5, ttmp6, 0x40008
	s_mul_i32 s4, s3, s2
	s_getreg_b32 s2, hwreg(HW_REG_IB_STS2, 6, 4)
	s_add_co_i32 s5, s5, s4
	s_cmp_eq_u32 s2, 0
	s_mov_b32 s81, 0
	s_cselect_b32 s80, s3, s5
	s_wait_kmcnt 0x0
	s_cmp_ge_u32 s80, s86
	s_cbranch_scc1 .LBB54_1174
; %bb.1:
	s_clause 0x2
	s_load_b512 s[60:75], s[0:1], 0x8
	s_load_b32 s3, s[0:1], 0x6c
	s_load_b32 s87, s[0:1], 0x0
	s_bfe_u32 s5, ttmp6, 0x4000c
	s_and_b32 s4, ttmp6, 15
	s_add_co_i32 s5, s5, 1
	s_load_b128 s[76:79], s[0:1], 0x48
	s_wait_xcnt 0x0
	s_mul_i32 s0, ttmp9, s5
                                        ; implicit-def: $vgpr107 : SGPR spill to VGPR lane
	v_and_b32_e32 v4, 0x3ff, v0
	s_add_co_i32 s6, s4, s0
	v_bfe_u32 v43, v0, 10, 10
	v_mov_b32_e32 v3, 0
                                        ; implicit-def: $vgpr106 : SGPR spill to VGPR lane
	s_delay_alu instid0(VALU_DEP_3) | instskip(SKIP_1) | instid1(VALU_DEP_4)
	v_lshlrev_b32_e32 v1, 6, v4
	v_mul_i32_i24_e32 v53, 0xfffffe08, v4
	v_lshl_add_u32 v27, v43, 6, v4
	s_delay_alu instid0(VALU_DEP_4) | instskip(SKIP_1) | instid1(VALU_DEP_4)
	v_dual_mov_b32 v7, v3 :: v_dual_mov_b32 v5, v3
	v_mul_u32_u24_e32 v18, 0x1f8, v4
	v_mul_lo_u32 v31, v53, 6
	s_wait_kmcnt 0x0
	s_lshl_b64 s[0:1], s[62:63], 3
	s_lshl_b64 s[4:5], s[72:73], 3
	s_cmp_eq_u32 s2, 0
	s_add_nc_u64 s[0:1], s[60:61], s[0:1]
	s_cselect_b32 s88, ttmp9, s6
	s_add_co_i32 s2, s87, -1
	s_and_b32 s6, s3, 0xffff
	s_ashr_i32 s3, s87, 31
	s_ashr_i32 s7, s2, 31
	s_lshr_b32 s3, s3, 26
	s_lshr_b32 s7, s7, 26
	s_add_co_i32 s3, s87, s3
	s_add_co_i32 s2, s2, s7
	s_and_not1_b32 s3, s3, 63
	s_ashr_i32 s2, s2, 6
	s_sub_co_i32 s15, s87, s3
	v_writelane_b32 v107, s0, 0
	s_cmp_eq_u32 s2, s88
	s_add_nc_u64 s[2:3], s[64:65], 1
	s_cselect_b32 s7, -1, 0
	s_cmp_lg_u32 s15, 0
	v_writelane_b32 v107, s1, 1
	s_cselect_b32 s0, -1, 0
	s_lshl_b32 s10, s88, 6
	s_delay_alu instid0(SALU_CYCLE_1)
	v_dual_add_nc_u32 v22, 16, v43 :: v_dual_add_nc_u32 v16, s10, v43
	v_dual_add_nc_u32 v12, s10, v4 :: v_dual_add_nc_u32 v2, v43, v1
	v_sub_co_u32 v44, s1, s88, 1
	s_and_b32 s16, s0, s7
	v_subrev_nc_u32_e32 v8, 64, v16
	s_xor_b32 s0, s1, -1
	s_xor_b32 s90, s16, -1
	s_cmp_lt_i32 s88, 5
	v_ashrrev_i32_e32 v13, 31, v12
	v_mad_nc_u64_u32 v[20:21], s2, s10, v[4:5]
	v_add_nc_u32_e32 v5, v22, v1
	v_lshl_add_u32 v14, v22, 6, v4
	s_add_nc_u64 s[4:5], s[70:71], s[4:5]
	s_cselect_b32 vcc_lo, -1, 0
	v_writelane_b32 v107, s4, 2
	v_dual_ashrrev_i32 v9, 31, v8 :: v_dual_cndmask_b32 v23, v27, v2, vcc_lo
	s_or_b32 vcc_lo, vcc_lo, s16
	s_delay_alu instid0(SALU_CYCLE_1) | instskip(SKIP_2) | instid1(VALU_DEP_3)
	v_dual_lshrrev_b32 v2, 1, v27 :: v_dual_cndmask_b32 v24, v14, v5, vcc_lo
	v_dual_lshrrev_b32 v5, 10, v0 :: v_dual_bitop2_b32 v14, 1, v0 bitop3:0x40
	v_writelane_b32 v107, s5, 3
	v_dual_lshlrev_b32 v15, 9, v2 :: v_dual_lshlrev_b32 v47, 3, v4
	s_ashr_i32 s11, s10, 31
	s_delay_alu instid0(VALU_DEP_3)
	v_lshlrev_b32_e32 v45, 3, v14
	v_writelane_b32 v107, s0, 4
	s_mul_i32 s0, s2, s11
	s_mul_i32 s1, s3, s10
	v_sub_nc_u32_e32 v46, 0, v15
	v_add3_u32 v21, s0, s1, v21
	v_cmp_gt_u32_e64 s0, 4, v27
	v_cmp_eq_u32_e64 s2, 1, v14
	v_cmp_eq_u32_e64 s3, 0, v14
	v_dual_sub_nc_u32 v48, v45, v15 :: v_dual_bitop2_b32 v14, 3, v0 bitop3:0x40
	v_bitop3_b32 v29, v0, v5, 0x3ff bitop3:0xa8
	v_lshl_add_u32 v5, v2, 3, 0x8000
	s_and_b32 s92, s2, s0
	s_and_b32 s93, s3, s0
	v_dual_lshrrev_b32 v2, 2, v27 :: v_dual_lshlrev_b32 v51, 3, v14
	v_cmp_gt_u32_e64 s2, 16, v27
	v_cmp_eq_u32_e64 s3, 3, v14
	v_cmp_eq_u32_e64 s1, 0, v43
	v_cmp_gt_u32_e64 s4, 2, v4
	v_lshlrev_b32_e32 v15, 9, v2
	v_lshl_add_u32 v50, v2, 3, 0x8000
	s_and_b32 s95, s3, s2
	v_cmp_eq_u32_e64 s3, 2, v14
	s_and_b32 s94, s1, s4
	v_cmp_ne_u32_e64 s4, 3, v14
	v_cmp_gt_u32_e64 s5, 2, v14
	v_cmp_eq_u32_e64 s7, 1, v14
	v_cmp_eq_u32_e64 s8, 0, v14
	s_and_b32 s97, s3, s2
	v_cmp_gt_u32_e64 s3, 4, v4
	v_and_b32_e32 v2, -8, v27
	v_dual_sub_nc_u32 v52, 0, v15 :: v_dual_sub_nc_u32 v55, v51, v15
	v_dual_lshlrev_b32 v14, 6, v27 :: v_dual_bitop2_b32 v15, 7, v0 bitop3:0x40
	s_and_b32 s96, s4, s2
	s_and_b32 s98, s5, s2
	;; [unrolled: 1-line block ×3, first 2 shown]
	v_cmp_gt_u32_e64 s3, 64, v27
	v_cmp_eq_u32_e64 s4, 7, v15
	v_cmp_ne_u32_e64 s5, 7, v15
	s_and_b32 s99, s7, s2
	v_add_nc_u32_e32 v56, 0x8000, v2
	v_and_b32_e32 v2, 0xfffffe00, v14
	s_and_b32 s102, s4, s3
	v_cmp_gt_u32_e64 s4, 6, v15
	s_and_b32 s103, s5, s3
	v_cmp_eq_u32_e64 s5, 5, v15
	v_dual_lshlrev_b32 v57, 3, v15 :: v_dual_sub_nc_u32 v58, 0, v2
	s_and_b32 vcc_hi, s4, s3
	v_cmp_eq_u32_e64 s4, 4, v15
	s_and_b32 s38, s5, s3
	v_cmp_eq_u32_e64 s5, 3, v15
	v_cmp_eq_u32_e64 s7, 6, v15
	v_dual_lshrrev_b32 v14, 4, v27 :: v_dual_sub_nc_u32 v59, v57, v2
	s_and_b32 s40, s4, s3
	v_cmp_gt_u32_e64 s4, 3, v15
	s_and_b32 s42, s5, s3
	v_cmp_gt_u32_e64 s5, 2, v15
	;; [unrolled: 2-line block ×3, first 2 shown]
	s_and_b32 s43, s4, s3
	v_cmp_eq_u32_e64 s4, 0, v15
	s_and_b32 s45, s5, s3
	v_cmp_gt_u32_e64 s5, 8, v4
	v_dual_lshlrev_b32 v17, 9, v14 :: v_dual_bitop2_b32 v2, 15, v0 bitop3:0x40
	s_and_b32 s100, s8, s2
	v_cmp_gt_u32_e64 s8, 4, v15
	s_and_b32 s39, s7, s3
	v_cmp_eq_u32_e64 s7, 2, v15
	s_and_b32 s47, s4, s3
	s_and_b32 s48, s1, s5
	v_cmp_gt_u32_e64 s4, 0x100, v27
	v_cmp_eq_u32_e64 s5, 15, v2
	s_and_b32 s41, s8, s3
	v_cmp_eq_u32_e64 s8, 1, v15
	s_and_b32 s44, s7, s3
	v_cmp_ne_u32_e64 s7, 15, v2
	s_and_b32 s5, s5, s4
	v_cmp_gt_u32_e64 s9, 14, v2
	v_writelane_b32 v107, s5, 5
	s_and_b32 s46, s8, s3
	v_cmp_eq_u32_e64 s8, 14, v2
	s_and_b32 s5, s7, s4
	s_and_b32 s52, s9, s4
	v_writelane_b32 v107, s5, 6
	v_cmp_eq_u32_e64 s5, 13, v2
	s_and_b32 s7, s8, s4
	v_cmp_eq_u32_e64 s8, 12, v2
	v_cmp_eq_u32_e64 s9, 11, v2
	v_writelane_b32 v107, s7, 7
	v_cmp_gt_u32_e64 s7, 13, v2
	s_and_b32 s53, s5, s4
	v_cmp_gt_u32_e64 s5, 12, v2
	s_and_b32 s55, s8, s4
	s_and_b32 s57, s9, s4
	;; [unrolled: 1-line block ×3, first 2 shown]
	v_cmp_gt_u32_e64 s7, 11, v2
	s_and_b32 s56, s5, s4
	v_cmp_eq_u32_e64 s5, 10, v2
	v_cmp_gt_u32_e64 s8, 10, v2
	v_cmp_gt_u32_e64 s9, 9, v2
	s_and_b32 s58, s7, s4
	v_cmp_eq_u32_e64 s7, 9, v2
	s_and_b32 s59, s5, s4
	v_cmp_eq_u32_e64 s5, 8, v2
	s_and_b32 s60, s8, s4
	s_and_b32 s62, s9, s4
	;; [unrolled: 1-line block ×3, first 2 shown]
	v_cmp_gt_u32_e64 s7, 8, v2
	s_and_b32 s63, s5, s4
	v_cmp_gt_u32_e64 s5, 7, v2
	v_cmp_eq_u32_e64 s8, 7, v2
	v_cmp_eq_u32_e64 s9, 6, v2
	s_and_b32 s12, s7, s4
	v_cmp_gt_u32_e64 s7, 6, v2
	s_and_b32 s23, s5, s4
	v_cmp_eq_u32_e64 s5, 5, v2
	v_mad_u32_u24 v6, v43, s6, v4
	v_dual_lshlrev_b32 v61, 3, v2 :: v_dual_sub_nc_u32 v62, 0, v17
	s_and_b32 s27, s7, s4
	v_cmp_eq_u32_e64 s7, 4, v2
	s_and_b32 s13, s8, s4
	s_and_b32 s25, s9, s4
	v_cmp_gt_u32_e64 s8, 5, v2
	v_cmp_gt_u32_e64 s9, 4, v2
	s_and_b32 s29, s5, s4
	v_cmp_eq_u32_e64 s5, 3, v2
	s_and_b32 s34, s7, s4
	v_cmp_gt_u32_e64 s7, 3, v2
	v_lshl_add_u32 v60, v14, 3, 0x8000
	s_and_b32 s31, s8, s4
	s_and_b32 s24, s9, s4
	v_cmp_eq_u32_e64 s8, 2, v2
	s_and_b32 s26, s5, s4
	v_cmp_gt_u32_e64 s5, 2, v2
	v_cmp_eq_u32_e64 s9, 1, v2
	s_and_b32 s28, s7, s4
	v_cmp_eq_u32_e64 s7, 0, v2
	v_add_nc_u64_e32 v[14:15], s[10:11], v[6:7]
	v_dual_add_nc_u32 v2, s10, v6 :: v_dual_lshrrev_b32 v19, 5, v27
	v_dual_add_nc_u32 v25, 32, v43 :: v_dual_bitop2_b32 v7, 31, v0 bitop3:0x40
	v_dual_sub_nc_u32 v63, v61, v17 :: v_dual_add_nc_u32 v26, 48, v43
	s_delay_alu instid0(VALU_DEP_3) | instskip(SKIP_1) | instid1(VALU_DEP_4)
	v_lshlrev_b32_e32 v0, 9, v19
	v_cmp_le_i32_e64 s14, s15, v4
	v_add_nc_u32_e32 v17, v25, v1
	v_lshl_add_u32 v28, v25, 6, v4
	v_dual_add_nc_u32 v1, v26, v1 :: v_dual_lshlrev_b32 v64, 3, v7
	v_lshl_add_u32 v30, v26, 6, v4
	s_xor_b32 s91, vcc_lo, -1
	s_and_b32 s33, s5, s4
	v_cmp_gt_u32_e64 s5, 16, v4
	v_dual_cndmask_b32 v28, v28, v17, vcc_lo :: v_dual_sub_nc_u32 v66, 0, v0
	v_dual_cndmask_b32 v30, v30, v1 :: v_dual_sub_nc_u32 v67, v64, v0
	v_cmp_gt_u32_e32 vcc_lo, 32, v4
	s_and_b32 s11, s14, s16
	v_cmp_gt_i32_e64 s6, s15, v4
	s_and_b32 s73, s7, s4
	s_and_b32 s10, s1, s5
	s_xor_b32 s5, s11, -1
	s_and_b32 s7, s1, vcc_lo
	s_and_b32 s30, s8, s4
	s_and_b32 s72, s9, s4
	v_writelane_b32 v107, s7, 8
	s_and_b32 s70, s1, s5
	s_cmp_gt_i32 s88, 0
	v_subrev_nc_u32_e32 v17, 48, v16
	s_cselect_b32 s71, -1, 0
	v_cmp_gt_i32_e64 s5, s87, v12
	v_cmp_gt_i32_e32 vcc_lo, s87, v8
	s_and_b32 s6, s1, s6
	v_lshl_add_u32 v65, v19, 3, 0x8000
	v_writelane_b32 v107, s6, 9
	v_subrev_nc_u32_e32 v19, 32, v16
	s_and_b32 s6, vcc_lo, s5
	v_cmp_gt_i32_e32 vcc_lo, s87, v17
	v_dual_add_nc_u32 v32, -16, v16 :: v_dual_lshlrev_b32 v76, 3, v23
	v_writelane_b32 v107, s6, 10
	v_cmp_gt_i32_e64 s6, s87, v19
	s_and_b32 s7, vcc_lo, s5
	v_cmp_gt_i32_e32 vcc_lo, s87, v32
	v_cmp_ne_u32_e64 s16, v4, v22
	v_writelane_b32 v107, s7, 11
	s_and_b32 s6, s6, s5
	v_cmp_ne_u32_e64 s17, v4, v25
	v_cmp_ne_u32_e64 s18, v4, v26
	v_cmp_gt_u32_e64 s35, 0xf0, v27
	v_writelane_b32 v107, s6, 12
	s_and_b32 s6, vcc_lo, s5
	v_cmp_le_i32_e32 vcc_lo, s15, v43
	v_mad_u32 v31, v18, 7, v31
	v_mad_nc_u64_u32 v[16:17], s64, v22, v[20:21]
	v_writelane_b32 v107, s6, 13
	v_cmp_ge_u32_e64 s6, v4, v43
	s_or_b32 s7, vcc_lo, s14
	v_cmp_le_i32_e32 vcc_lo, s15, v22
	v_mul_u32_u24_e32 v32, 0x1f0, v4
	v_cmp_gt_u32_e64 s49, 64, v29
	s_or_b32 s7, s7, s6
	v_lshlrev_b32_e32 v23, 3, v43
	v_writelane_b32 v107, s7, 14
	v_cmp_ge_u32_e64 s7, v4, v22
	s_or_b32 s8, vcc_lo, s14
	v_cmp_le_i32_e32 vcc_lo, s15, v25
	v_sub_nc_u32_e32 v78, v31, v32
	v_or_b32_e32 v31, v22, v4
	s_or_b32 s8, s8, s7
	v_mad_u32 v17, s65, v22, v17
	v_writelane_b32 v107, s8, 15
	v_cmp_ge_u32_e64 s8, v4, v25
	s_or_b32 s9, vcc_lo, s14
	v_cmp_le_i32_e32 vcc_lo, s15, v26
	v_dual_lshlrev_b32 v22, 9, v7 :: v_dual_bitop2_b32 v33, v25, v4 bitop3:0x54
	s_or_b32 s9, s9, s8
	v_or_b32_e32 v84, 0xa000, v23
	v_writelane_b32 v107, s9, 16
	v_cmp_ge_u32_e64 s9, v4, v26
	s_or_b32 s15, vcc_lo, s14
	v_dual_add_nc_u32 v91, v84, v47 :: v_dual_bitop2_b32 v34, v26, v4 bitop3:0x54
	v_add_nc_u32_e32 v86, v64, v22
	s_or_b32 s15, s15, s9
	v_mad_u32_u24 v49, 0x1f8, v4, v47
	v_writelane_b32 v107, s15, 17
	v_cmp_ne_u32_e64 s15, v4, v43
	v_mul_u64_e32 v[10:11], s[64:65], v[12:13]
	v_mul_u64_e32 v[0:1], s[74:75], v[12:13]
	v_mad_i32_i24 v54, 0xfffffe08, v4, v49
	v_mul_u64_e32 v[12:13], s[74:75], v[14:15]
	v_writelane_b32 v107, s15, 18
	s_or_b32 s15, s14, s15
	v_mad_nc_u64_u32 v[14:15], s64, v43, v[20:21]
	v_mad_u32_u24 v68, 0x1f8, v4, v54
	v_mad_nc_u64_u32 v[18:19], s64, v25, v[20:21]
	v_writelane_b32 v107, s15, 19
	s_or_b32 s15, s14, s16
	v_mad_nc_u64_u32 v[20:21], s64, v26, v[20:21]
	v_mad_i32_i24 v69, 0xfffffe08, v4, v68
	v_dual_lshlrev_b32 v77, 3, v24 :: v_dual_lshlrev_b32 v81, 3, v30
	v_writelane_b32 v107, s16, 20
	v_cmp_lt_u32_e32 vcc_lo, 0x3ff, v27
	s_delay_alu instid0(VALU_DEP_4)
	v_mad_u32_u24 v70, 0x1f8, v4, v69
	v_mad_u32 v15, s65, v43, v15
	v_mad_u32 v19, s65, v25, v19
	v_writelane_b32 v107, s15, 21
	s_or_b32 s15, s14, s17
	s_or_b32 s14, s14, s18
	v_mad_i32_i24 v71, 0xfffffe08, v4, v70
	v_mad_u32 v21, s65, v26, v21
	v_writelane_b32 v107, s17, 22
	v_mov_b64_e32 v[24:25], 0
	v_lshl_add_u32 v87, v6, 3, 0xa000
	v_mad_u32_u24 v72, 0x1f8, v4, v71
	v_lshl_add_u32 v88, v27, 3, 0x8000
	v_writelane_b32 v107, s15, 23
	v_add_nc_u32_e32 v89, 0x8000, v47
	v_or_b32_e32 v92, 0x3c00, v64
	v_mad_i32_i24 v73, 0xfffffe08, v4, v72
	v_subrev_nc_u32_e32 v93, 31, v7
	v_writelane_b32 v107, s18, 24
	v_cmp_gt_u32_e64 s15, 2, v27
	v_cmp_gt_u32_e64 s16, 12, v27
	v_mad_u32_u24 v74, 0x1f8, v4, v73
	v_cmp_gt_u32_e64 s17, 8, v27
	v_writelane_b32 v107, s14, 25
	v_cmp_eq_u32_e64 s14, 0, v29
	v_cmp_gt_u32_e64 s18, 56, v27
	v_mad_i32_i24 v75, 0xfffffe08, v4, v74
	v_cmp_gt_u32_e64 s19, 48, v27
	v_writelane_b32 v107, s35, 26
	v_cmp_gt_u32_e64 s35, 0xe0, v27
	v_cmp_gt_u32_e64 s20, 40, v27
	v_mad_u32_u24 v79, 0x1f8, v4, v75
	v_lshl_add_u32 v90, v43, 9, v75
	v_cmp_gt_u32_e64 s21, 32, v27
	v_writelane_b32 v107, s35, 27
	v_cmp_gt_u32_e64 s35, 0xd0, v27
	v_mad_i32_i24 v82, 0xfffffe08, v4, v79
	v_cmp_gt_u32_e64 s22, 24, v27
	v_cmp_eq_u32_e64 s36, 0, v6
	v_cmp_gt_u32_e64 s37, 64, v6
	v_writelane_b32 v107, s35, 28
	v_cmp_gt_u32_e64 s35, 0xc0, v27
	v_mad_u32_u24 v83, 0x1f8, v4, v82
	v_lshlrev_b32_e32 v80, 3, v28
	s_xor_b32 s64, vcc_lo, -1
                                        ; implicit-def: $vgpr26
                                        ; implicit-def: $vgpr28
                                        ; implicit-def: $vgpr30
                                        ; implicit-def: $vgpr32
	v_writelane_b32 v107, s35, 29
	v_cmp_gt_u32_e64 s35, 0xb0, v27
	v_add_nc_u32_e32 v85, v83, v23
	v_mul_u64_e32 v[22:23], s[74:75], v[2:3]
	s_delay_alu instid0(VALU_DEP_3) | instskip(SKIP_1) | instid1(VALU_DEP_1)
	v_writelane_b32 v107, s35, 30
	v_cmp_gt_u32_e64 s35, 0xa0, v27
	v_writelane_b32 v107, s35, 31
	v_cmp_gt_u32_e64 s35, 0x90, v27
	s_delay_alu instid0(VALU_DEP_1) | instskip(SKIP_1) | instid1(VALU_DEP_1)
	v_writelane_b32 v106, s35, 0
	v_cmp_gt_u32_e64 s35, 0x80, v27
	v_writelane_b32 v106, s35, 1
	v_cmp_gt_u32_e64 s35, 0x70, v27
	s_delay_alu instid0(VALU_DEP_1) | instskip(SKIP_1) | instid1(VALU_DEP_1)
	v_writelane_b32 v106, s35, 2
	v_cmp_gt_u32_e64 s35, 0x60, v27
	v_writelane_b32 v106, s35, 3
	v_cmp_gt_u32_e64 s35, 0x50, v27
	s_delay_alu instid0(VALU_DEP_1) | instskip(SKIP_3) | instid1(VALU_DEP_1)
	v_writelane_b32 v106, s35, 4
	v_cmp_gt_u32_e64 s35, 0x400, v27
	v_writelane_b32 v106, s49, 5
	v_cmp_gt_u32_e64 s49, 64, v31
	;; [unrolled: 2-line block ×3, first 2 shown]
	s_delay_alu instid0(VALU_DEP_1) | instskip(SKIP_1) | instid1(VALU_DEP_1)
	v_writelane_b32 v106, s49, 7
	v_cmp_gt_u32_e64 s49, 64, v34
	v_writelane_b32 v106, s49, 8
	v_cmp_gt_u32_e64 s49, 0x3e0, v27
	s_delay_alu instid0(VALU_DEP_1) | instskip(SKIP_1) | instid1(VALU_DEP_1)
	v_writelane_b32 v106, s49, 9
	v_cmp_gt_u32_e64 s49, 0x3c0, v27
	v_writelane_b32 v106, s49, 10
	v_cmp_gt_u32_e64 s49, 0x3a0, v27
	;; [unrolled: 5-line block ×12, first 2 shown]
	s_delay_alu instid0(VALU_DEP_1)
	v_writelane_b32 v106, s49, 31
	s_branch .LBB54_3
.LBB54_2:                               ;   in Loop: Header=BB54_3 Depth=1
	s_wait_xcnt 0x0
	s_or_b32 exec_lo, exec_lo, s49
	s_add_co_i32 s80, s80, 0x10000
	global_wb scope:SCOPE_DEV
	s_wait_storecnt 0x0
	global_inv scope:SCOPE_DEV
	s_cmp_lt_u32 s80, s86
	s_cbranch_scc0 .LBB54_1174
.LBB54_3:                               ; =>This Loop Header: Depth=1
                                        ;     Child Loop BB54_569 Depth 2
                                        ;     Child Loop BB54_1010 Depth 2
                                        ;       Child Loop BB54_1012 Depth 3
                                        ;     Child Loop BB54_1056 Depth 2
	global_load_b64 v[36:37], v3, s[68:69]
	v_readlane_b32 s50, v107, 0
	v_readlane_b32 s51, v107, 1
	s_mul_u64 s[82:83], s[66:67], s[80:81]
	v_readlane_b32 s49, v107, 4
	s_lshl_b64 s[82:83], s[82:83], 3
	s_delay_alu instid0(SALU_CYCLE_1) | instskip(NEXT) | instid1(SALU_CYCLE_1)
	s_add_nc_u64 s[82:83], s[50:51], s[82:83]
	v_lshl_add_u64 v[34:35], v[10:11], 3, s[82:83]
	s_and_not1_b32 vcc_lo, exec_lo, s49
	s_cbranch_vccz .LBB54_6
; %bb.4:                                ;   in Loop: Header=BB54_3 Depth=1
	s_and_not1_b32 vcc_lo, exec_lo, s90
	s_mov_b32 s49, -1
	s_cbranch_vccz .LBB54_15
.LBB54_5:                               ;   in Loop: Header=BB54_3 Depth=1
	s_and_b32 vcc_lo, exec_lo, s49
	s_cbranch_vccnz .LBB54_25
	s_branch .LBB54_82
.LBB54_6:                               ;   in Loop: Header=BB54_3 Depth=1
	s_delay_alu instid0(VALU_DEP_1)
	v_lshl_add_u64 v[38:39], v[8:9], 3, v[34:35]
	v_dual_mov_b32 v28, 0 :: v_dual_mov_b32 v26, 0
	v_mov_b32_e32 v27, 0
	v_readlane_b32 s50, v107, 10
	s_wait_loadcnt 0x0
	s_barrier_signal -1
	s_barrier_wait -1
	s_wait_xcnt 0x0
	s_and_saveexec_b32 s49, s50
	s_cbranch_execz .LBB54_8
; %bb.7:                                ;   in Loop: Header=BB54_3 Depth=1
	global_load_b64 v[26:27], v[38:39], off
.LBB54_8:                               ;   in Loop: Header=BB54_3 Depth=1
	s_wait_xcnt 0x0
	s_or_b32 exec_lo, exec_lo, s49
	v_mov_b32_e32 v29, 0
	v_readlane_b32 s50, v107, 11
	s_wait_loadcnt 0x0
	s_barrier_signal -1
	s_barrier_wait -1
	s_and_saveexec_b32 s49, s50
	s_cbranch_execz .LBB54_10
; %bb.9:                                ;   in Loop: Header=BB54_3 Depth=1
	global_load_b64 v[28:29], v[38:39], off offset:128
.LBB54_10:                              ;   in Loop: Header=BB54_3 Depth=1
	s_wait_xcnt 0x0
	s_or_b32 exec_lo, exec_lo, s49
	v_dual_mov_b32 v33, 0 :: v_dual_mov_b32 v30, 0
	v_mov_b32_e32 v31, 0
	v_readlane_b32 s50, v107, 12
	s_wait_loadcnt 0x0
	s_barrier_signal -1
	s_barrier_wait -1
	s_and_saveexec_b32 s49, s50
	s_cbranch_execz .LBB54_12
; %bb.11:                               ;   in Loop: Header=BB54_3 Depth=1
	global_load_b64 v[30:31], v[38:39], off offset:256
.LBB54_12:                              ;   in Loop: Header=BB54_3 Depth=1
	s_wait_xcnt 0x0
	s_or_b32 exec_lo, exec_lo, s49
	v_mov_b32_e32 v32, 0
	v_readlane_b32 s50, v107, 13
	s_wait_loadcnt 0x0
	s_barrier_signal -1
	s_barrier_wait -1
	s_and_saveexec_b32 s49, s50
	s_cbranch_execz .LBB54_14
; %bb.13:                               ;   in Loop: Header=BB54_3 Depth=1
	global_load_b64 v[32:33], v[38:39], off offset:384
.LBB54_14:                              ;   in Loop: Header=BB54_3 Depth=1
	s_wait_xcnt 0x0
	s_or_b32 exec_lo, exec_lo, s49
	s_delay_alu instid0(SALU_CYCLE_1)
	s_and_not1_b32 vcc_lo, exec_lo, s90
	s_mov_b32 s49, -1
	s_cbranch_vccnz .LBB54_5
.LBB54_15:                              ;   in Loop: Header=BB54_3 Depth=1
	s_wait_xcnt 0x0
	s_and_saveexec_b32 s49, s6
	s_delay_alu instid0(SALU_CYCLE_1)
	s_xor_b32 s65, exec_lo, s49
	s_cbranch_execnz .LBB54_1069
; %bb.16:                               ;   in Loop: Header=BB54_3 Depth=1
	s_and_not1_saveexec_b32 s49, s65
	s_cbranch_execnz .LBB54_1080
.LBB54_17:                              ;   in Loop: Header=BB54_3 Depth=1
	s_or_b32 exec_lo, exec_lo, s49
	s_and_saveexec_b32 s49, s7
	s_delay_alu instid0(SALU_CYCLE_1)
	s_xor_b32 s65, exec_lo, s49
	s_cbranch_execnz .LBB54_1081
.LBB54_18:                              ;   in Loop: Header=BB54_3 Depth=1
	s_and_not1_saveexec_b32 s49, s65
	s_cbranch_execnz .LBB54_1092
.LBB54_19:                              ;   in Loop: Header=BB54_3 Depth=1
	s_or_b32 exec_lo, exec_lo, s49
	s_and_saveexec_b32 s49, s8
	s_delay_alu instid0(SALU_CYCLE_1)
	s_xor_b32 s65, exec_lo, s49
	s_cbranch_execnz .LBB54_1093
.LBB54_20:                              ;   in Loop: Header=BB54_3 Depth=1
	s_and_not1_saveexec_b32 s49, s65
	s_cbranch_execnz .LBB54_1104
.LBB54_21:                              ;   in Loop: Header=BB54_3 Depth=1
	s_or_b32 exec_lo, exec_lo, s49
	s_and_saveexec_b32 s49, s9
	s_delay_alu instid0(SALU_CYCLE_1)
	s_xor_b32 s65, exec_lo, s49
	s_cbranch_execnz .LBB54_1105
.LBB54_22:                              ;   in Loop: Header=BB54_3 Depth=1
	s_and_not1_saveexec_b32 s49, s65
	s_cbranch_execz .LBB54_24
.LBB54_23:                              ;   in Loop: Header=BB54_3 Depth=1
	v_lshl_add_u64 v[38:39], v[20:21], 3, s[82:83]
	global_load_b64 v[38:39], v[38:39], off
	s_wait_loadcnt 0x0
	v_xor_b32_e32 v38, 0x80000000, v38
	ds_store_b64 v81, v[38:39]
.LBB54_24:                              ;   in Loop: Header=BB54_3 Depth=1
	s_or_b32 exec_lo, exec_lo, s49
	s_branch .LBB54_82
.LBB54_25:                              ;   in Loop: Header=BB54_3 Depth=1
	v_readlane_b32 s50, v107, 14
	s_wait_xcnt 0x0
	s_and_saveexec_b32 s49, s50
	s_delay_alu instid0(SALU_CYCLE_1)
	s_xor_b32 s65, exec_lo, s49
	s_cbranch_execz .LBB54_37
; %bb.26:                               ;   in Loop: Header=BB54_3 Depth=1
	v_readlane_b32 s50, v107, 19
	s_and_saveexec_b32 s49, s50
	s_delay_alu instid0(SALU_CYCLE_1)
	s_xor_b32 s49, exec_lo, s49
	s_cbranch_execz .LBB54_30
; %bb.27:                               ;   in Loop: Header=BB54_3 Depth=1
	v_readlane_b32 s50, v106, 5
	s_and_saveexec_b32 s84, s50
; %bb.28:                               ;   in Loop: Header=BB54_3 Depth=1
	ds_store_b64 v85, v[24:25]
; %bb.29:                               ;   in Loop: Header=BB54_3 Depth=1
	s_or_b32 exec_lo, exec_lo, s84
.LBB54_30:                              ;   in Loop: Header=BB54_3 Depth=1
	s_and_not1_saveexec_b32 s84, s49
	s_cbranch_execz .LBB54_36
; %bb.31:                               ;   in Loop: Header=BB54_3 Depth=1
	v_lshl_add_u64 v[38:39], v[14:15], 3, s[82:83]
	s_mov_b32 s85, exec_lo
                                        ; implicit-def: $vgpr40_vgpr41
	global_load_b64 v[38:39], v[38:39], off
	s_wait_loadcnt 0x0
	v_cmpx_ngt_f32_e64 |v38|, |v39|
	s_xor_b32 s85, exec_lo, s85
	s_cbranch_execz .LBB54_33
; %bb.32:                               ;   in Loop: Header=BB54_3 Depth=1
	v_div_scale_f32 v2, null, -v39, -v39, v38
	v_div_scale_f32 v42, vcc_lo, v38, -v39, v38
	s_delay_alu instid0(VALU_DEP_2) | instskip(SKIP_1) | instid1(TRANS32_DEP_1)
	v_rcp_f32_e32 v40, v2
	v_nop
	v_fma_f32 v41, -v2, v40, 1.0
	s_delay_alu instid0(VALU_DEP_1) | instskip(NEXT) | instid1(VALU_DEP_1)
	v_fmac_f32_e32 v40, v41, v40
	v_mul_f32_e32 v41, v42, v40
	s_delay_alu instid0(VALU_DEP_1) | instskip(NEXT) | instid1(VALU_DEP_1)
	v_fma_f32 v94, -v2, v41, v42
	v_fmac_f32_e32 v41, v94, v40
	s_delay_alu instid0(VALU_DEP_1) | instskip(NEXT) | instid1(VALU_DEP_1)
	v_fma_f32 v2, -v2, v41, v42
	v_div_fmas_f32 v2, v2, v40, v41
	s_delay_alu instid0(VALU_DEP_1) | instskip(NEXT) | instid1(VALU_DEP_1)
	v_div_fixup_f32 v2, v2, -v39, v38
	v_fma_f32 v38, v38, v2, -v39
	s_delay_alu instid0(VALU_DEP_1) | instskip(SKIP_1) | instid1(VALU_DEP_2)
	v_div_scale_f32 v39, null, v38, v38, 1.0
	v_div_scale_f32 v42, vcc_lo, 1.0, v38, 1.0
	v_rcp_f32_e32 v40, v39
	v_nop
	s_delay_alu instid0(TRANS32_DEP_1) | instskip(NEXT) | instid1(VALU_DEP_1)
	v_fma_f32 v41, -v39, v40, 1.0
	v_fmac_f32_e32 v40, v41, v40
	s_delay_alu instid0(VALU_DEP_1) | instskip(NEXT) | instid1(VALU_DEP_1)
	v_mul_f32_e32 v41, v42, v40
	v_fma_f32 v94, -v39, v41, v42
	s_delay_alu instid0(VALU_DEP_1) | instskip(NEXT) | instid1(VALU_DEP_1)
	v_fmac_f32_e32 v41, v94, v40
	v_fma_f32 v39, -v39, v41, v42
	s_delay_alu instid0(VALU_DEP_1) | instskip(NEXT) | instid1(VALU_DEP_1)
	v_div_fmas_f32 v39, v39, v40, v41
	v_div_fixup_f32 v38, v39, v38, 1.0
	s_delay_alu instid0(VALU_DEP_1)
	v_mul_f32_e32 v40, v2, v38
	v_xor_b32_e32 v41, 0x80000000, v38
                                        ; implicit-def: $vgpr38_vgpr39
.LBB54_33:                              ;   in Loop: Header=BB54_3 Depth=1
	s_and_not1_saveexec_b32 s85, s85
	s_cbranch_execz .LBB54_35
; %bb.34:                               ;   in Loop: Header=BB54_3 Depth=1
	v_div_scale_f32 v2, null, v38, v38, -v39
	v_div_scale_f32 v42, vcc_lo, -v39, v38, -v39
	s_delay_alu instid0(VALU_DEP_2) | instskip(SKIP_1) | instid1(TRANS32_DEP_1)
	v_rcp_f32_e32 v40, v2
	v_nop
	v_fma_f32 v41, -v2, v40, 1.0
	s_delay_alu instid0(VALU_DEP_1) | instskip(NEXT) | instid1(VALU_DEP_1)
	v_fmac_f32_e32 v40, v41, v40
	v_mul_f32_e32 v41, v42, v40
	s_delay_alu instid0(VALU_DEP_1) | instskip(NEXT) | instid1(VALU_DEP_1)
	v_fma_f32 v94, -v2, v41, v42
	v_fmac_f32_e32 v41, v94, v40
	s_delay_alu instid0(VALU_DEP_1) | instskip(NEXT) | instid1(VALU_DEP_1)
	v_fma_f32 v2, -v2, v41, v42
	v_div_fmas_f32 v2, v2, v40, v41
	s_delay_alu instid0(VALU_DEP_1) | instskip(NEXT) | instid1(VALU_DEP_1)
	v_div_fixup_f32 v2, v2, v38, -v39
	v_fma_f32 v38, -v39, v2, v38
	s_delay_alu instid0(VALU_DEP_1) | instskip(NEXT) | instid1(VALU_DEP_1)
	v_div_scale_f32 v39, null, v38, v38, 1.0
	v_rcp_f32_e32 v40, v39
	v_nop
	s_delay_alu instid0(TRANS32_DEP_1) | instskip(NEXT) | instid1(VALU_DEP_1)
	v_fma_f32 v41, -v39, v40, 1.0
	v_fmac_f32_e32 v40, v41, v40
	v_div_scale_f32 v41, vcc_lo, 1.0, v38, 1.0
	s_delay_alu instid0(VALU_DEP_1) | instskip(NEXT) | instid1(VALU_DEP_1)
	v_mul_f32_e32 v42, v41, v40
	v_fma_f32 v94, -v39, v42, v41
	s_delay_alu instid0(VALU_DEP_1) | instskip(NEXT) | instid1(VALU_DEP_1)
	v_fmac_f32_e32 v42, v94, v40
	v_fma_f32 v39, -v39, v42, v41
	s_delay_alu instid0(VALU_DEP_1) | instskip(NEXT) | instid1(VALU_DEP_1)
	v_div_fmas_f32 v39, v39, v40, v42
	v_div_fixup_f32 v40, v39, v38, 1.0
	s_delay_alu instid0(VALU_DEP_1)
	v_mul_f32_e64 v41, v2, -v40
.LBB54_35:                              ;   in Loop: Header=BB54_3 Depth=1
	s_or_b32 exec_lo, exec_lo, s85
	ds_store_b64 v85, v[40:41]
.LBB54_36:                              ;   in Loop: Header=BB54_3 Depth=1
	s_or_b32 exec_lo, exec_lo, s84
.LBB54_37:                              ;   in Loop: Header=BB54_3 Depth=1
	s_and_not1_saveexec_b32 s49, s65
	s_cbranch_execz .LBB54_39
; %bb.38:                               ;   in Loop: Header=BB54_3 Depth=1
	v_lshl_add_u64 v[38:39], v[14:15], 3, s[82:83]
	global_load_b64 v[38:39], v[38:39], off
	s_wait_loadcnt 0x0
	v_xor_b32_e32 v38, 0x80000000, v38
	ds_store_b64 v85, v[38:39]
.LBB54_39:                              ;   in Loop: Header=BB54_3 Depth=1
	s_or_b32 exec_lo, exec_lo, s49
	v_readlane_b32 s50, v107, 15
	s_and_saveexec_b32 s49, s50
	s_delay_alu instid0(SALU_CYCLE_1)
	s_xor_b32 s65, exec_lo, s49
	s_cbranch_execz .LBB54_51
; %bb.40:                               ;   in Loop: Header=BB54_3 Depth=1
	v_readlane_b32 s50, v107, 21
	s_and_saveexec_b32 s49, s50
	s_delay_alu instid0(SALU_CYCLE_1)
	s_xor_b32 s49, exec_lo, s49
	s_cbranch_execz .LBB54_44
; %bb.41:                               ;   in Loop: Header=BB54_3 Depth=1
	v_readlane_b32 s50, v106, 6
	s_and_saveexec_b32 s84, s50
; %bb.42:                               ;   in Loop: Header=BB54_3 Depth=1
	ds_store_b64 v77, v[24:25]
; %bb.43:                               ;   in Loop: Header=BB54_3 Depth=1
	s_or_b32 exec_lo, exec_lo, s84
.LBB54_44:                              ;   in Loop: Header=BB54_3 Depth=1
	s_and_not1_saveexec_b32 s84, s49
	s_cbranch_execz .LBB54_50
; %bb.45:                               ;   in Loop: Header=BB54_3 Depth=1
	v_lshl_add_u64 v[38:39], v[16:17], 3, s[82:83]
	s_mov_b32 s85, exec_lo
                                        ; implicit-def: $vgpr40_vgpr41
	global_load_b64 v[38:39], v[38:39], off
	s_wait_loadcnt 0x0
	v_cmpx_ngt_f32_e64 |v38|, |v39|
	s_xor_b32 s85, exec_lo, s85
	s_cbranch_execz .LBB54_47
; %bb.46:                               ;   in Loop: Header=BB54_3 Depth=1
	v_div_scale_f32 v2, null, -v39, -v39, v38
	v_div_scale_f32 v42, vcc_lo, v38, -v39, v38
	s_delay_alu instid0(VALU_DEP_2) | instskip(SKIP_1) | instid1(TRANS32_DEP_1)
	v_rcp_f32_e32 v40, v2
	v_nop
	v_fma_f32 v41, -v2, v40, 1.0
	s_delay_alu instid0(VALU_DEP_1) | instskip(NEXT) | instid1(VALU_DEP_1)
	v_fmac_f32_e32 v40, v41, v40
	v_mul_f32_e32 v41, v42, v40
	s_delay_alu instid0(VALU_DEP_1) | instskip(NEXT) | instid1(VALU_DEP_1)
	v_fma_f32 v94, -v2, v41, v42
	v_fmac_f32_e32 v41, v94, v40
	s_delay_alu instid0(VALU_DEP_1) | instskip(NEXT) | instid1(VALU_DEP_1)
	v_fma_f32 v2, -v2, v41, v42
	v_div_fmas_f32 v2, v2, v40, v41
	s_delay_alu instid0(VALU_DEP_1) | instskip(NEXT) | instid1(VALU_DEP_1)
	v_div_fixup_f32 v2, v2, -v39, v38
	v_fma_f32 v38, v38, v2, -v39
	s_delay_alu instid0(VALU_DEP_1) | instskip(SKIP_1) | instid1(VALU_DEP_2)
	v_div_scale_f32 v39, null, v38, v38, 1.0
	v_div_scale_f32 v42, vcc_lo, 1.0, v38, 1.0
	v_rcp_f32_e32 v40, v39
	v_nop
	s_delay_alu instid0(TRANS32_DEP_1) | instskip(NEXT) | instid1(VALU_DEP_1)
	v_fma_f32 v41, -v39, v40, 1.0
	v_fmac_f32_e32 v40, v41, v40
	s_delay_alu instid0(VALU_DEP_1) | instskip(NEXT) | instid1(VALU_DEP_1)
	v_mul_f32_e32 v41, v42, v40
	v_fma_f32 v94, -v39, v41, v42
	s_delay_alu instid0(VALU_DEP_1) | instskip(NEXT) | instid1(VALU_DEP_1)
	v_fmac_f32_e32 v41, v94, v40
	v_fma_f32 v39, -v39, v41, v42
	s_delay_alu instid0(VALU_DEP_1) | instskip(NEXT) | instid1(VALU_DEP_1)
	v_div_fmas_f32 v39, v39, v40, v41
	v_div_fixup_f32 v38, v39, v38, 1.0
	s_delay_alu instid0(VALU_DEP_1)
	v_mul_f32_e32 v40, v2, v38
	v_xor_b32_e32 v41, 0x80000000, v38
                                        ; implicit-def: $vgpr38_vgpr39
.LBB54_47:                              ;   in Loop: Header=BB54_3 Depth=1
	s_and_not1_saveexec_b32 s85, s85
	s_cbranch_execz .LBB54_49
; %bb.48:                               ;   in Loop: Header=BB54_3 Depth=1
	v_div_scale_f32 v2, null, v38, v38, -v39
	v_div_scale_f32 v42, vcc_lo, -v39, v38, -v39
	s_delay_alu instid0(VALU_DEP_2) | instskip(SKIP_1) | instid1(TRANS32_DEP_1)
	v_rcp_f32_e32 v40, v2
	v_nop
	v_fma_f32 v41, -v2, v40, 1.0
	s_delay_alu instid0(VALU_DEP_1) | instskip(NEXT) | instid1(VALU_DEP_1)
	v_fmac_f32_e32 v40, v41, v40
	v_mul_f32_e32 v41, v42, v40
	s_delay_alu instid0(VALU_DEP_1) | instskip(NEXT) | instid1(VALU_DEP_1)
	v_fma_f32 v94, -v2, v41, v42
	v_fmac_f32_e32 v41, v94, v40
	s_delay_alu instid0(VALU_DEP_1) | instskip(NEXT) | instid1(VALU_DEP_1)
	v_fma_f32 v2, -v2, v41, v42
	v_div_fmas_f32 v2, v2, v40, v41
	s_delay_alu instid0(VALU_DEP_1) | instskip(NEXT) | instid1(VALU_DEP_1)
	v_div_fixup_f32 v2, v2, v38, -v39
	v_fma_f32 v38, -v39, v2, v38
	s_delay_alu instid0(VALU_DEP_1) | instskip(NEXT) | instid1(VALU_DEP_1)
	v_div_scale_f32 v39, null, v38, v38, 1.0
	v_rcp_f32_e32 v40, v39
	v_nop
	s_delay_alu instid0(TRANS32_DEP_1) | instskip(NEXT) | instid1(VALU_DEP_1)
	v_fma_f32 v41, -v39, v40, 1.0
	v_fmac_f32_e32 v40, v41, v40
	v_div_scale_f32 v41, vcc_lo, 1.0, v38, 1.0
	s_delay_alu instid0(VALU_DEP_1) | instskip(NEXT) | instid1(VALU_DEP_1)
	v_mul_f32_e32 v42, v41, v40
	v_fma_f32 v94, -v39, v42, v41
	s_delay_alu instid0(VALU_DEP_1) | instskip(NEXT) | instid1(VALU_DEP_1)
	v_fmac_f32_e32 v42, v94, v40
	v_fma_f32 v39, -v39, v42, v41
	s_delay_alu instid0(VALU_DEP_1) | instskip(NEXT) | instid1(VALU_DEP_1)
	v_div_fmas_f32 v39, v39, v40, v42
	v_div_fixup_f32 v40, v39, v38, 1.0
	s_delay_alu instid0(VALU_DEP_1)
	v_mul_f32_e64 v41, v2, -v40
.LBB54_49:                              ;   in Loop: Header=BB54_3 Depth=1
	s_or_b32 exec_lo, exec_lo, s85
	ds_store_b64 v77, v[40:41]
.LBB54_50:                              ;   in Loop: Header=BB54_3 Depth=1
	s_or_b32 exec_lo, exec_lo, s84
.LBB54_51:                              ;   in Loop: Header=BB54_3 Depth=1
	s_and_not1_saveexec_b32 s49, s65
	s_cbranch_execz .LBB54_53
; %bb.52:                               ;   in Loop: Header=BB54_3 Depth=1
	v_lshl_add_u64 v[38:39], v[16:17], 3, s[82:83]
	global_load_b64 v[38:39], v[38:39], off
	s_wait_loadcnt 0x0
	v_xor_b32_e32 v38, 0x80000000, v38
	ds_store_b64 v77, v[38:39]
.LBB54_53:                              ;   in Loop: Header=BB54_3 Depth=1
	s_or_b32 exec_lo, exec_lo, s49
	v_readlane_b32 s50, v107, 16
	s_and_saveexec_b32 s49, s50
	s_delay_alu instid0(SALU_CYCLE_1)
	s_xor_b32 s65, exec_lo, s49
	s_cbranch_execz .LBB54_65
; %bb.54:                               ;   in Loop: Header=BB54_3 Depth=1
	v_readlane_b32 s50, v107, 23
	s_and_saveexec_b32 s49, s50
	s_delay_alu instid0(SALU_CYCLE_1)
	s_xor_b32 s49, exec_lo, s49
	s_cbranch_execz .LBB54_58
; %bb.55:                               ;   in Loop: Header=BB54_3 Depth=1
	v_readlane_b32 s50, v106, 7
	s_and_saveexec_b32 s84, s50
; %bb.56:                               ;   in Loop: Header=BB54_3 Depth=1
	ds_store_b64 v80, v[24:25]
; %bb.57:                               ;   in Loop: Header=BB54_3 Depth=1
	s_or_b32 exec_lo, exec_lo, s84
.LBB54_58:                              ;   in Loop: Header=BB54_3 Depth=1
	s_and_not1_saveexec_b32 s84, s49
	s_cbranch_execz .LBB54_64
; %bb.59:                               ;   in Loop: Header=BB54_3 Depth=1
	v_lshl_add_u64 v[38:39], v[18:19], 3, s[82:83]
	s_mov_b32 s85, exec_lo
                                        ; implicit-def: $vgpr40_vgpr41
	global_load_b64 v[38:39], v[38:39], off
	s_wait_loadcnt 0x0
	v_cmpx_ngt_f32_e64 |v38|, |v39|
	s_xor_b32 s85, exec_lo, s85
	s_cbranch_execz .LBB54_61
; %bb.60:                               ;   in Loop: Header=BB54_3 Depth=1
	v_div_scale_f32 v2, null, -v39, -v39, v38
	v_div_scale_f32 v42, vcc_lo, v38, -v39, v38
	s_delay_alu instid0(VALU_DEP_2) | instskip(SKIP_1) | instid1(TRANS32_DEP_1)
	v_rcp_f32_e32 v40, v2
	v_nop
	v_fma_f32 v41, -v2, v40, 1.0
	s_delay_alu instid0(VALU_DEP_1) | instskip(NEXT) | instid1(VALU_DEP_1)
	v_fmac_f32_e32 v40, v41, v40
	v_mul_f32_e32 v41, v42, v40
	s_delay_alu instid0(VALU_DEP_1) | instskip(NEXT) | instid1(VALU_DEP_1)
	v_fma_f32 v94, -v2, v41, v42
	v_fmac_f32_e32 v41, v94, v40
	s_delay_alu instid0(VALU_DEP_1) | instskip(NEXT) | instid1(VALU_DEP_1)
	v_fma_f32 v2, -v2, v41, v42
	v_div_fmas_f32 v2, v2, v40, v41
	s_delay_alu instid0(VALU_DEP_1) | instskip(NEXT) | instid1(VALU_DEP_1)
	v_div_fixup_f32 v2, v2, -v39, v38
	v_fma_f32 v38, v38, v2, -v39
	s_delay_alu instid0(VALU_DEP_1) | instskip(SKIP_1) | instid1(VALU_DEP_2)
	v_div_scale_f32 v39, null, v38, v38, 1.0
	v_div_scale_f32 v42, vcc_lo, 1.0, v38, 1.0
	v_rcp_f32_e32 v40, v39
	v_nop
	s_delay_alu instid0(TRANS32_DEP_1) | instskip(NEXT) | instid1(VALU_DEP_1)
	v_fma_f32 v41, -v39, v40, 1.0
	v_fmac_f32_e32 v40, v41, v40
	s_delay_alu instid0(VALU_DEP_1) | instskip(NEXT) | instid1(VALU_DEP_1)
	v_mul_f32_e32 v41, v42, v40
	v_fma_f32 v94, -v39, v41, v42
	s_delay_alu instid0(VALU_DEP_1) | instskip(NEXT) | instid1(VALU_DEP_1)
	v_fmac_f32_e32 v41, v94, v40
	v_fma_f32 v39, -v39, v41, v42
	s_delay_alu instid0(VALU_DEP_1) | instskip(NEXT) | instid1(VALU_DEP_1)
	v_div_fmas_f32 v39, v39, v40, v41
	v_div_fixup_f32 v38, v39, v38, 1.0
	s_delay_alu instid0(VALU_DEP_1)
	v_mul_f32_e32 v40, v2, v38
	v_xor_b32_e32 v41, 0x80000000, v38
                                        ; implicit-def: $vgpr38_vgpr39
.LBB54_61:                              ;   in Loop: Header=BB54_3 Depth=1
	s_and_not1_saveexec_b32 s85, s85
	s_cbranch_execz .LBB54_63
; %bb.62:                               ;   in Loop: Header=BB54_3 Depth=1
	v_div_scale_f32 v2, null, v38, v38, -v39
	v_div_scale_f32 v42, vcc_lo, -v39, v38, -v39
	s_delay_alu instid0(VALU_DEP_2) | instskip(SKIP_1) | instid1(TRANS32_DEP_1)
	v_rcp_f32_e32 v40, v2
	v_nop
	v_fma_f32 v41, -v2, v40, 1.0
	s_delay_alu instid0(VALU_DEP_1) | instskip(NEXT) | instid1(VALU_DEP_1)
	v_fmac_f32_e32 v40, v41, v40
	v_mul_f32_e32 v41, v42, v40
	s_delay_alu instid0(VALU_DEP_1) | instskip(NEXT) | instid1(VALU_DEP_1)
	v_fma_f32 v94, -v2, v41, v42
	v_fmac_f32_e32 v41, v94, v40
	s_delay_alu instid0(VALU_DEP_1) | instskip(NEXT) | instid1(VALU_DEP_1)
	v_fma_f32 v2, -v2, v41, v42
	v_div_fmas_f32 v2, v2, v40, v41
	s_delay_alu instid0(VALU_DEP_1) | instskip(NEXT) | instid1(VALU_DEP_1)
	v_div_fixup_f32 v2, v2, v38, -v39
	v_fma_f32 v38, -v39, v2, v38
	s_delay_alu instid0(VALU_DEP_1) | instskip(NEXT) | instid1(VALU_DEP_1)
	v_div_scale_f32 v39, null, v38, v38, 1.0
	v_rcp_f32_e32 v40, v39
	v_nop
	s_delay_alu instid0(TRANS32_DEP_1) | instskip(NEXT) | instid1(VALU_DEP_1)
	v_fma_f32 v41, -v39, v40, 1.0
	v_fmac_f32_e32 v40, v41, v40
	v_div_scale_f32 v41, vcc_lo, 1.0, v38, 1.0
	s_delay_alu instid0(VALU_DEP_1) | instskip(NEXT) | instid1(VALU_DEP_1)
	v_mul_f32_e32 v42, v41, v40
	v_fma_f32 v94, -v39, v42, v41
	s_delay_alu instid0(VALU_DEP_1) | instskip(NEXT) | instid1(VALU_DEP_1)
	v_fmac_f32_e32 v42, v94, v40
	v_fma_f32 v39, -v39, v42, v41
	s_delay_alu instid0(VALU_DEP_1) | instskip(NEXT) | instid1(VALU_DEP_1)
	v_div_fmas_f32 v39, v39, v40, v42
	v_div_fixup_f32 v40, v39, v38, 1.0
	s_delay_alu instid0(VALU_DEP_1)
	v_mul_f32_e64 v41, v2, -v40
.LBB54_63:                              ;   in Loop: Header=BB54_3 Depth=1
	s_or_b32 exec_lo, exec_lo, s85
	ds_store_b64 v80, v[40:41]
.LBB54_64:                              ;   in Loop: Header=BB54_3 Depth=1
	s_or_b32 exec_lo, exec_lo, s84
.LBB54_65:                              ;   in Loop: Header=BB54_3 Depth=1
	s_and_not1_saveexec_b32 s49, s65
	s_cbranch_execz .LBB54_67
; %bb.66:                               ;   in Loop: Header=BB54_3 Depth=1
	v_lshl_add_u64 v[38:39], v[18:19], 3, s[82:83]
	global_load_b64 v[38:39], v[38:39], off
	s_wait_loadcnt 0x0
	v_xor_b32_e32 v38, 0x80000000, v38
	ds_store_b64 v80, v[38:39]
.LBB54_67:                              ;   in Loop: Header=BB54_3 Depth=1
	s_or_b32 exec_lo, exec_lo, s49
	v_readlane_b32 s50, v107, 17
	s_and_saveexec_b32 s49, s50
	s_delay_alu instid0(SALU_CYCLE_1)
	s_xor_b32 s65, exec_lo, s49
	s_cbranch_execz .LBB54_79
; %bb.68:                               ;   in Loop: Header=BB54_3 Depth=1
	v_readlane_b32 s50, v107, 25
	s_and_saveexec_b32 s49, s50
	s_delay_alu instid0(SALU_CYCLE_1)
	s_xor_b32 s49, exec_lo, s49
	s_cbranch_execz .LBB54_72
; %bb.69:                               ;   in Loop: Header=BB54_3 Depth=1
	v_readlane_b32 s50, v106, 8
	s_and_saveexec_b32 s84, s50
; %bb.70:                               ;   in Loop: Header=BB54_3 Depth=1
	ds_store_b64 v81, v[24:25]
; %bb.71:                               ;   in Loop: Header=BB54_3 Depth=1
	s_or_b32 exec_lo, exec_lo, s84
.LBB54_72:                              ;   in Loop: Header=BB54_3 Depth=1
	s_and_not1_saveexec_b32 s84, s49
	s_cbranch_execz .LBB54_78
; %bb.73:                               ;   in Loop: Header=BB54_3 Depth=1
	v_lshl_add_u64 v[38:39], v[20:21], 3, s[82:83]
	s_mov_b32 s85, exec_lo
                                        ; implicit-def: $vgpr40_vgpr41
	global_load_b64 v[38:39], v[38:39], off
	s_wait_loadcnt 0x0
	v_cmpx_ngt_f32_e64 |v38|, |v39|
	s_xor_b32 s85, exec_lo, s85
	s_cbranch_execz .LBB54_75
; %bb.74:                               ;   in Loop: Header=BB54_3 Depth=1
	v_div_scale_f32 v2, null, -v39, -v39, v38
	v_div_scale_f32 v42, vcc_lo, v38, -v39, v38
	s_delay_alu instid0(VALU_DEP_2) | instskip(SKIP_1) | instid1(TRANS32_DEP_1)
	v_rcp_f32_e32 v40, v2
	v_nop
	v_fma_f32 v41, -v2, v40, 1.0
	s_delay_alu instid0(VALU_DEP_1) | instskip(NEXT) | instid1(VALU_DEP_1)
	v_fmac_f32_e32 v40, v41, v40
	v_mul_f32_e32 v41, v42, v40
	s_delay_alu instid0(VALU_DEP_1) | instskip(NEXT) | instid1(VALU_DEP_1)
	v_fma_f32 v94, -v2, v41, v42
	v_fmac_f32_e32 v41, v94, v40
	s_delay_alu instid0(VALU_DEP_1) | instskip(NEXT) | instid1(VALU_DEP_1)
	v_fma_f32 v2, -v2, v41, v42
	v_div_fmas_f32 v2, v2, v40, v41
	s_delay_alu instid0(VALU_DEP_1) | instskip(NEXT) | instid1(VALU_DEP_1)
	v_div_fixup_f32 v2, v2, -v39, v38
	v_fma_f32 v38, v38, v2, -v39
	s_delay_alu instid0(VALU_DEP_1) | instskip(SKIP_1) | instid1(VALU_DEP_2)
	v_div_scale_f32 v39, null, v38, v38, 1.0
	v_div_scale_f32 v42, vcc_lo, 1.0, v38, 1.0
	v_rcp_f32_e32 v40, v39
	v_nop
	s_delay_alu instid0(TRANS32_DEP_1) | instskip(NEXT) | instid1(VALU_DEP_1)
	v_fma_f32 v41, -v39, v40, 1.0
	v_fmac_f32_e32 v40, v41, v40
	s_delay_alu instid0(VALU_DEP_1) | instskip(NEXT) | instid1(VALU_DEP_1)
	v_mul_f32_e32 v41, v42, v40
	v_fma_f32 v94, -v39, v41, v42
	s_delay_alu instid0(VALU_DEP_1) | instskip(NEXT) | instid1(VALU_DEP_1)
	v_fmac_f32_e32 v41, v94, v40
	v_fma_f32 v39, -v39, v41, v42
	s_delay_alu instid0(VALU_DEP_1) | instskip(NEXT) | instid1(VALU_DEP_1)
	v_div_fmas_f32 v39, v39, v40, v41
	v_div_fixup_f32 v38, v39, v38, 1.0
	s_delay_alu instid0(VALU_DEP_1)
	v_mul_f32_e32 v40, v2, v38
	v_xor_b32_e32 v41, 0x80000000, v38
                                        ; implicit-def: $vgpr38_vgpr39
.LBB54_75:                              ;   in Loop: Header=BB54_3 Depth=1
	s_and_not1_saveexec_b32 s85, s85
	s_cbranch_execz .LBB54_77
; %bb.76:                               ;   in Loop: Header=BB54_3 Depth=1
	v_div_scale_f32 v2, null, v38, v38, -v39
	v_div_scale_f32 v42, vcc_lo, -v39, v38, -v39
	s_delay_alu instid0(VALU_DEP_2) | instskip(SKIP_1) | instid1(TRANS32_DEP_1)
	v_rcp_f32_e32 v40, v2
	v_nop
	v_fma_f32 v41, -v2, v40, 1.0
	s_delay_alu instid0(VALU_DEP_1) | instskip(NEXT) | instid1(VALU_DEP_1)
	v_fmac_f32_e32 v40, v41, v40
	v_mul_f32_e32 v41, v42, v40
	s_delay_alu instid0(VALU_DEP_1) | instskip(NEXT) | instid1(VALU_DEP_1)
	v_fma_f32 v94, -v2, v41, v42
	v_fmac_f32_e32 v41, v94, v40
	s_delay_alu instid0(VALU_DEP_1) | instskip(NEXT) | instid1(VALU_DEP_1)
	v_fma_f32 v2, -v2, v41, v42
	v_div_fmas_f32 v2, v2, v40, v41
	s_delay_alu instid0(VALU_DEP_1) | instskip(NEXT) | instid1(VALU_DEP_1)
	v_div_fixup_f32 v2, v2, v38, -v39
	v_fma_f32 v38, -v39, v2, v38
	s_delay_alu instid0(VALU_DEP_1) | instskip(NEXT) | instid1(VALU_DEP_1)
	v_div_scale_f32 v39, null, v38, v38, 1.0
	v_rcp_f32_e32 v40, v39
	v_nop
	s_delay_alu instid0(TRANS32_DEP_1) | instskip(NEXT) | instid1(VALU_DEP_1)
	v_fma_f32 v41, -v39, v40, 1.0
	v_fmac_f32_e32 v40, v41, v40
	v_div_scale_f32 v41, vcc_lo, 1.0, v38, 1.0
	s_delay_alu instid0(VALU_DEP_1) | instskip(NEXT) | instid1(VALU_DEP_1)
	v_mul_f32_e32 v42, v41, v40
	v_fma_f32 v94, -v39, v42, v41
	s_delay_alu instid0(VALU_DEP_1) | instskip(NEXT) | instid1(VALU_DEP_1)
	v_fmac_f32_e32 v42, v94, v40
	v_fma_f32 v39, -v39, v42, v41
	s_delay_alu instid0(VALU_DEP_1) | instskip(NEXT) | instid1(VALU_DEP_1)
	v_div_fmas_f32 v39, v39, v40, v42
	v_div_fixup_f32 v40, v39, v38, 1.0
	s_delay_alu instid0(VALU_DEP_1)
	v_mul_f32_e64 v41, v2, -v40
.LBB54_77:                              ;   in Loop: Header=BB54_3 Depth=1
	s_or_b32 exec_lo, exec_lo, s85
	ds_store_b64 v81, v[40:41]
.LBB54_78:                              ;   in Loop: Header=BB54_3 Depth=1
	s_or_b32 exec_lo, exec_lo, s84
.LBB54_79:                              ;   in Loop: Header=BB54_3 Depth=1
	s_and_not1_saveexec_b32 s49, s65
	s_cbranch_execz .LBB54_81
; %bb.80:                               ;   in Loop: Header=BB54_3 Depth=1
	v_lshl_add_u64 v[38:39], v[20:21], 3, s[82:83]
	global_load_b64 v[38:39], v[38:39], off
	s_wait_loadcnt 0x0
	v_xor_b32_e32 v38, 0x80000000, v38
	ds_store_b64 v81, v[38:39]
.LBB54_81:                              ;   in Loop: Header=BB54_3 Depth=1
	s_or_b32 exec_lo, exec_lo, s49
.LBB54_82:                              ;   in Loop: Header=BB54_3 Depth=1
	s_delay_alu instid0(SALU_CYCLE_1)
	s_and_not1_b32 vcc_lo, exec_lo, s91
	s_wait_loadcnt_dscnt 0x0
	s_barrier_signal -1
	s_barrier_wait -1
	s_cbranch_vccnz .LBB54_1004
; %bb.83:                               ;   in Loop: Header=BB54_3 Depth=1
	s_and_saveexec_b32 s49, s14
	s_cbranch_execz .LBB54_85
; %bb.84:                               ;   in Loop: Header=BB54_3 Depth=1
	v_add_nc_u32_e64 v2, 0x1f0, 0
	ds_load_b64 v[94:95], v3 offset:32760
	ds_load_2addr_stride64_b64 v[38:41], v2 offset0:62 offset1:63
	s_wait_dscnt 0x0
	v_dual_mul_f32 v42, v95, v39 :: v_dual_mul_f32 v2, v94, v39
	s_delay_alu instid0(VALU_DEP_1) | instskip(NEXT) | instid1(VALU_DEP_2)
	v_xor_b32_e32 v42, 0x80000000, v42
	v_fmac_f32_e32 v2, v95, v38
	s_delay_alu instid0(VALU_DEP_2) | instskip(NEXT) | instid1(VALU_DEP_2)
	v_fmac_f32_e32 v42, v94, v38
	v_pk_mul_f32 v[38:39], v[2:3], v[40:41] op_sel:[0,1] op_sel_hi:[0,0]
	v_add_nc_u32_e64 v2, 0x7800, 0
	s_delay_alu instid0(VALU_DEP_2) | instskip(SKIP_1) | instid1(VALU_DEP_2)
	v_pk_fma_f32 v[94:95], v[42:43], v[40:41], v[38:39] op_sel_hi:[0,1,1]
	v_pk_fma_f32 v[38:39], v[42:43], v[40:41], v[38:39] neg_lo:[0,0,1] neg_hi:[0,0,1]
	v_mov_b32_e32 v39, v95
	ds_store_2addr_b64 v2, v[38:39], v[38:39] offset0:191 offset1:254
.LBB54_85:                              ;   in Loop: Header=BB54_3 Depth=1
	s_or_b32 exec_lo, exec_lo, s49
	v_dual_mov_b32 v38, 0 :: v_dual_mov_b32 v39, 0
	s_wait_dscnt 0x0
	s_barrier_signal -1
	s_barrier_wait -1
	global_wb scope:SCOPE_DEV
	s_wait_storecnt 0x0
	global_inv scope:SCOPE_DEV
	s_and_saveexec_b32 s65, s0
	s_cbranch_execz .LBB54_89
; %bb.86:                               ;   in Loop: Header=BB54_3 Depth=1
	ds_load_b64 v[38:39], v45 offset:32224
	ds_load_b64 v[40:41], v46 offset:32752
	s_wait_dscnt 0x0
	v_pk_mul_f32 v[94:95], v[40:41], v[38:39] op_sel:[1,1] op_sel_hi:[0,1]
	s_delay_alu instid0(VALU_DEP_1) | instskip(SKIP_1) | instid1(VALU_DEP_2)
	v_pk_fma_f32 v[96:97], v[40:41], v[38:39], v[94:95] op_sel_hi:[1,0,1]
	v_pk_fma_f32 v[38:39], v[40:41], v[38:39], v[94:95] neg_lo:[0,0,1] neg_hi:[0,0,1]
	v_mov_b32_e32 v39, v97
	s_delay_alu instid0(VALU_DEP_1)
	v_pk_add_f32 v[38:39], v[38:39], 0 op_sel_hi:[1,0]
	s_and_saveexec_b32 s49, s15
	s_cbranch_execz .LBB54_88
; %bb.87:                               ;   in Loop: Header=BB54_3 Depth=1
	ds_load_b64 v[40:41], v47 offset:32736
	ds_load_b64 v[94:95], v3 offset:32760
	s_wait_dscnt 0x0
	v_pk_mul_f32 v[96:97], v[94:95], v[40:41] op_sel:[1,1] op_sel_hi:[0,1]
	s_delay_alu instid0(VALU_DEP_1) | instskip(SKIP_1) | instid1(VALU_DEP_2)
	v_pk_fma_f32 v[98:99], v[94:95], v[40:41], v[96:97] op_sel_hi:[1,0,1]
	v_pk_fma_f32 v[40:41], v[94:95], v[40:41], v[96:97] neg_lo:[0,0,1] neg_hi:[0,0,1]
	v_mov_b32_e32 v41, v99
	s_delay_alu instid0(VALU_DEP_1)
	v_pk_add_f32 v[38:39], v[38:39], v[40:41]
.LBB54_88:                              ;   in Loop: Header=BB54_3 Depth=1
	s_or_b32 exec_lo, exec_lo, s49
.LBB54_89:                              ;   in Loop: Header=BB54_3 Depth=1
	s_delay_alu instid0(SALU_CYCLE_1)
	s_or_b32 exec_lo, exec_lo, s65
	s_and_saveexec_b32 s49, s92
	s_cbranch_execz .LBB54_91
; %bb.90:                               ;   in Loop: Header=BB54_3 Depth=1
	ds_load_b64 v[40:41], v3 offset:31720
	s_wait_dscnt 0x0
	v_pk_mul_f32 v[94:95], v[38:39], v[40:41] op_sel:[1,1] op_sel_hi:[1,0]
	s_delay_alu instid0(VALU_DEP_1) | instskip(SKIP_1) | instid1(VALU_DEP_2)
	v_pk_fma_f32 v[96:97], v[38:39], v[40:41], v[94:95] op_sel_hi:[0,1,1]
	v_pk_fma_f32 v[38:39], v[38:39], v[40:41], v[94:95] neg_lo:[0,0,1] neg_hi:[0,0,1]
	v_mov_b32_e32 v39, v97
	s_delay_alu instid0(VALU_DEP_1)
	v_pk_add_f32 v[40:41], v[38:39], 0 neg_lo:[1,1] neg_hi:[1,1]
	ds_store_b64 v5, v[40:41]
.LBB54_91:                              ;   in Loop: Header=BB54_3 Depth=1
	s_or_b32 exec_lo, exec_lo, s49
	s_wait_loadcnt_dscnt 0x0
	s_barrier_signal -1
	s_barrier_wait -1
	s_and_saveexec_b32 s49, s93
	s_cbranch_execz .LBB54_93
; %bb.92:                               ;   in Loop: Header=BB54_3 Depth=1
	ds_load_b64 v[40:41], v3 offset:31712
	ds_load_b64 v[94:95], v5
	s_wait_dscnt 0x0
	v_pk_mul_f32 v[96:97], v[94:95], v[40:41] op_sel:[1,1] op_sel_hi:[0,1]
	s_delay_alu instid0(VALU_DEP_1) | instskip(SKIP_1) | instid1(VALU_DEP_2)
	v_pk_fma_f32 v[98:99], v[94:95], v[40:41], v[96:97] op_sel_hi:[1,0,1]
	v_pk_fma_f32 v[40:41], v[94:95], v[40:41], v[96:97] neg_lo:[0,0,1] neg_hi:[0,0,1]
	v_mov_b32_e32 v41, v99
	s_delay_alu instid0(VALU_DEP_1)
	v_pk_add_f32 v[38:39], v[38:39], v[40:41] neg_lo:[0,1] neg_hi:[0,1]
.LBB54_93:                              ;   in Loop: Header=BB54_3 Depth=1
	s_or_b32 exec_lo, exec_lo, s49
	s_barrier_signal -1
	s_barrier_wait -1
	s_and_saveexec_b32 s49, s93
	s_cbranch_execz .LBB54_95
; %bb.94:                               ;   in Loop: Header=BB54_3 Depth=1
	ds_load_b64 v[40:41], v3 offset:31200
	s_wait_dscnt 0x0
	v_pk_mul_f32 v[94:95], v[38:39], v[40:41] op_sel:[1,1] op_sel_hi:[1,0]
	s_delay_alu instid0(VALU_DEP_1) | instskip(SKIP_1) | instid1(VALU_DEP_2)
	v_pk_fma_f32 v[96:97], v[38:39], v[40:41], v[94:95] op_sel_hi:[0,1,1]
	v_pk_fma_f32 v[38:39], v[38:39], v[40:41], v[94:95] neg_lo:[0,0,1] neg_hi:[0,0,1]
	v_mov_b32_e32 v39, v97
	s_delay_alu instid0(VALU_DEP_1)
	v_pk_add_f32 v[40:41], v[38:39], 0 neg_lo:[1,1] neg_hi:[1,1]
	ds_store_b64 v5, v[40:41]
.LBB54_95:                              ;   in Loop: Header=BB54_3 Depth=1
	s_or_b32 exec_lo, exec_lo, s49
	s_wait_dscnt 0x0
	s_barrier_signal -1
	s_barrier_wait -1
	s_barrier_signal -1
	s_barrier_wait -1
	s_and_saveexec_b32 s49, s0
; %bb.96:                               ;   in Loop: Header=BB54_3 Depth=1
	ds_store_b64 v48, v[38:39] offset:32736
; %bb.97:                               ;   in Loop: Header=BB54_3 Depth=1
	s_or_b32 exec_lo, exec_lo, s49
	s_wait_dscnt 0x0
	s_barrier_signal -1
	s_barrier_wait -1
	s_barrier_signal -1
	s_barrier_wait -1
	s_and_saveexec_b32 s49, s94
	s_cbranch_execz .LBB54_99
; %bb.98:                               ;   in Loop: Header=BB54_3 Depth=1
	ds_load_b64 v[38:39], v49 offset:32224
	s_wait_dscnt 0x0
	ds_store_b64 v47, v[38:39] offset:31216
	ds_load_b64 v[38:39], v49 offset:32232
	s_wait_dscnt 0x0
	ds_store_b64 v47, v[38:39] offset:31728
.LBB54_99:                              ;   in Loop: Header=BB54_3 Depth=1
	s_or_b32 exec_lo, exec_lo, s49
	s_wait_dscnt 0x0
	s_barrier_signal -1
	s_barrier_wait -1
	s_and_saveexec_b32 s49, s14
	s_cbranch_execz .LBB54_101
; %bb.100:                              ;   in Loop: Header=BB54_3 Depth=1
	v_add_nc_u32_e64 v2, 0x1e0, 0
	ds_load_b64 v[94:95], v3 offset:31720
	ds_load_2addr_stride64_b64 v[38:41], v2 offset0:60 offset1:61
	s_wait_dscnt 0x0
	v_dual_mul_f32 v42, v95, v39 :: v_dual_mul_f32 v2, v94, v39
	s_delay_alu instid0(VALU_DEP_1) | instskip(NEXT) | instid1(VALU_DEP_2)
	v_xor_b32_e32 v42, 0x80000000, v42
	v_fmac_f32_e32 v2, v95, v38
	s_delay_alu instid0(VALU_DEP_2) | instskip(NEXT) | instid1(VALU_DEP_2)
	v_fmac_f32_e32 v42, v94, v38
	v_pk_mul_f32 v[38:39], v[2:3], v[40:41] op_sel:[0,1] op_sel_hi:[0,0]
	v_add_nc_u32_e64 v2, 0x7800, 0
	s_delay_alu instid0(VALU_DEP_2) | instskip(SKIP_1) | instid1(VALU_DEP_2)
	v_pk_fma_f32 v[94:95], v[42:43], v[40:41], v[38:39] op_sel_hi:[0,1,1]
	v_pk_fma_f32 v[38:39], v[42:43], v[40:41], v[38:39] neg_lo:[0,0,1] neg_hi:[0,0,1]
	v_mov_b32_e32 v39, v95
	ds_store_2addr_b64 v2, v[38:39], v[38:39] offset0:61 offset1:124
.LBB54_101:                             ;   in Loop: Header=BB54_3 Depth=1
	s_or_b32 exec_lo, exec_lo, s49
	v_mov_b64_e32 v[38:39], 0
	s_wait_dscnt 0x0
	s_barrier_signal -1
	s_barrier_wait -1
	global_wb scope:SCOPE_DEV
	s_wait_storecnt 0x0
	global_inv scope:SCOPE_DEV
	s_and_saveexec_b32 s65, s2
	s_cbranch_execz .LBB54_107
; %bb.102:                              ;   in Loop: Header=BB54_3 Depth=1
	ds_load_b64 v[38:39], v51 offset:31168
	ds_load_b64 v[40:41], v52 offset:32736
	s_wait_dscnt 0x0
	v_dual_mul_f32 v2, v41, v39 :: v_dual_mul_f32 v39, v40, v39
	s_delay_alu instid0(VALU_DEP_1) | instskip(NEXT) | instid1(VALU_DEP_1)
	v_dual_fma_f32 v2, v40, v38, -v2 :: v_dual_fmac_f32 v39, v41, v38
	v_dual_add_f32 v38, 0, v2 :: v_dual_add_f32 v39, 0, v39
	s_and_saveexec_b32 s49, s16
	s_cbranch_execnz .LBB54_1124
; %bb.103:                              ;   in Loop: Header=BB54_3 Depth=1
	s_or_b32 exec_lo, exec_lo, s49
	s_and_saveexec_b32 s49, s17
	s_cbranch_execnz .LBB54_1125
.LBB54_104:                             ;   in Loop: Header=BB54_3 Depth=1
	s_or_b32 exec_lo, exec_lo, s49
	s_and_saveexec_b32 s49, s0
	s_cbranch_execz .LBB54_106
.LBB54_105:                             ;   in Loop: Header=BB54_3 Depth=1
	ds_load_b64 v[40:41], v54 offset:32704
	ds_load_b64 v[94:95], v3 offset:32760
	s_wait_dscnt 0x0
	v_dual_mul_f32 v2, v95, v41 :: v_dual_mul_f32 v41, v94, v41
	s_delay_alu instid0(VALU_DEP_1) | instskip(NEXT) | instid1(VALU_DEP_1)
	v_dual_fma_f32 v2, v94, v40, -v2 :: v_dual_fmac_f32 v41, v95, v40
	v_dual_add_f32 v38, v38, v2 :: v_dual_add_f32 v39, v39, v41
.LBB54_106:                             ;   in Loop: Header=BB54_3 Depth=1
	s_or_b32 exec_lo, exec_lo, s49
.LBB54_107:                             ;   in Loop: Header=BB54_3 Depth=1
	s_delay_alu instid0(SALU_CYCLE_1)
	s_or_b32 exec_lo, exec_lo, s65
	s_and_saveexec_b32 s49, s95
	s_cbranch_execz .LBB54_109
; %bb.108:                              ;   in Loop: Header=BB54_3 Depth=1
	ds_load_b64 v[40:41], v3 offset:30680
	s_wait_dscnt 0x0
	v_dual_mul_f32 v2, v39, v40 :: v_dual_mul_f32 v42, v39, v41
	s_delay_alu instid0(VALU_DEP_1) | instskip(NEXT) | instid1(VALU_DEP_2)
	v_pk_fma_f32 v[94:95], v[38:39], v[40:41], v[2:3] op_sel:[1,0,0] op_sel_hi:[0,1,0]
	v_pk_fma_f32 v[38:39], v[38:39], v[40:41], v[42:43] op_sel_hi:[1,1,0] neg_lo:[0,0,1] neg_hi:[0,0,1]
	s_delay_alu instid0(VALU_DEP_2) | instskip(NEXT) | instid1(VALU_DEP_1)
	v_mov_b32_e32 v39, v95
	v_pk_add_f32 v[40:41], v[38:39], 0 neg_lo:[1,1] neg_hi:[1,1]
	ds_store_b64 v50, v[40:41]
.LBB54_109:                             ;   in Loop: Header=BB54_3 Depth=1
	s_or_b32 exec_lo, exec_lo, s49
	s_wait_loadcnt_dscnt 0x0
	s_barrier_signal -1
	s_barrier_wait -1
	s_and_saveexec_b32 s49, s96
	s_cbranch_execz .LBB54_111
; %bb.110:                              ;   in Loop: Header=BB54_3 Depth=1
	ds_load_b64 v[40:41], v51 offset:30656
	ds_load_b64 v[94:95], v50
	s_wait_dscnt 0x0
	v_pk_mul_f32 v[96:97], v[94:95], v[40:41] op_sel:[1,1] op_sel_hi:[0,1]
	s_delay_alu instid0(VALU_DEP_1) | instskip(SKIP_1) | instid1(VALU_DEP_2)
	v_pk_fma_f32 v[98:99], v[94:95], v[40:41], v[96:97] op_sel_hi:[1,0,1]
	v_pk_fma_f32 v[40:41], v[94:95], v[40:41], v[96:97] neg_lo:[0,0,1] neg_hi:[0,0,1]
	v_mov_b32_e32 v41, v99
	s_delay_alu instid0(VALU_DEP_1)
	v_pk_add_f32 v[38:39], v[38:39], v[40:41] neg_lo:[0,1] neg_hi:[0,1]
.LBB54_111:                             ;   in Loop: Header=BB54_3 Depth=1
	s_or_b32 exec_lo, exec_lo, s49
	s_barrier_signal -1
	s_barrier_wait -1
	s_and_saveexec_b32 s49, s97
	s_cbranch_execz .LBB54_113
; %bb.112:                              ;   in Loop: Header=BB54_3 Depth=1
	ds_load_b64 v[40:41], v3 offset:30160
	s_wait_dscnt 0x0
	v_pk_mul_f32 v[94:95], v[38:39], v[40:41] op_sel:[1,1] op_sel_hi:[1,0]
	s_delay_alu instid0(VALU_DEP_1) | instskip(SKIP_1) | instid1(VALU_DEP_2)
	v_pk_fma_f32 v[96:97], v[38:39], v[40:41], v[94:95] op_sel_hi:[0,1,1]
	v_pk_fma_f32 v[38:39], v[38:39], v[40:41], v[94:95] neg_lo:[0,0,1] neg_hi:[0,0,1]
	v_mov_b32_e32 v39, v97
	s_delay_alu instid0(VALU_DEP_1)
	v_pk_add_f32 v[40:41], v[38:39], 0 neg_lo:[1,1] neg_hi:[1,1]
	ds_store_b64 v50, v[40:41]
.LBB54_113:                             ;   in Loop: Header=BB54_3 Depth=1
	s_or_b32 exec_lo, exec_lo, s49
	s_wait_dscnt 0x0
	s_barrier_signal -1
	s_barrier_wait -1
	s_and_saveexec_b32 s49, s98
	s_cbranch_execz .LBB54_115
; %bb.114:                              ;   in Loop: Header=BB54_3 Depth=1
	ds_load_b64 v[40:41], v51 offset:30144
	ds_load_b64 v[94:95], v50
	s_wait_dscnt 0x0
	v_pk_mul_f32 v[96:97], v[94:95], v[40:41] op_sel:[1,1] op_sel_hi:[0,1]
	s_delay_alu instid0(VALU_DEP_1) | instskip(SKIP_1) | instid1(VALU_DEP_2)
	v_pk_fma_f32 v[98:99], v[94:95], v[40:41], v[96:97] op_sel_hi:[1,0,1]
	v_pk_fma_f32 v[40:41], v[94:95], v[40:41], v[96:97] neg_lo:[0,0,1] neg_hi:[0,0,1]
	v_mov_b32_e32 v41, v99
	s_delay_alu instid0(VALU_DEP_1)
	v_pk_add_f32 v[38:39], v[38:39], v[40:41] neg_lo:[0,1] neg_hi:[0,1]
.LBB54_115:                             ;   in Loop: Header=BB54_3 Depth=1
	s_or_b32 exec_lo, exec_lo, s49
	s_barrier_signal -1
	s_barrier_wait -1
	s_and_saveexec_b32 s49, s99
	s_cbranch_execz .LBB54_117
; %bb.116:                              ;   in Loop: Header=BB54_3 Depth=1
	ds_load_b64 v[40:41], v3 offset:29640
	s_wait_dscnt 0x0
	v_pk_mul_f32 v[94:95], v[38:39], v[40:41] op_sel:[1,1] op_sel_hi:[1,0]
	s_delay_alu instid0(VALU_DEP_1) | instskip(SKIP_1) | instid1(VALU_DEP_2)
	v_pk_fma_f32 v[96:97], v[38:39], v[40:41], v[94:95] op_sel_hi:[0,1,1]
	v_pk_fma_f32 v[38:39], v[38:39], v[40:41], v[94:95] neg_lo:[0,0,1] neg_hi:[0,0,1]
	v_mov_b32_e32 v39, v97
	s_delay_alu instid0(VALU_DEP_1)
	v_pk_add_f32 v[40:41], v[38:39], 0 neg_lo:[1,1] neg_hi:[1,1]
	ds_store_b64 v50, v[40:41]
.LBB54_117:                             ;   in Loop: Header=BB54_3 Depth=1
	s_or_b32 exec_lo, exec_lo, s49
	s_wait_dscnt 0x0
	;; [unrolled: 35-line block ×3, first 2 shown]
	s_barrier_signal -1
	s_barrier_wait -1
	s_barrier_signal -1
	s_barrier_wait -1
	s_and_saveexec_b32 s49, s2
; %bb.122:                              ;   in Loop: Header=BB54_3 Depth=1
	ds_store_b64 v55, v[38:39] offset:32704
; %bb.123:                              ;   in Loop: Header=BB54_3 Depth=1
	s_or_b32 exec_lo, exec_lo, s49
	s_wait_dscnt 0x0
	s_barrier_signal -1
	s_barrier_wait -1
	s_barrier_signal -1
	s_barrier_wait -1
	s_and_saveexec_b32 s49, s101
	s_cbranch_execz .LBB54_125
; %bb.124:                              ;   in Loop: Header=BB54_3 Depth=1
	ds_load_b64 v[38:39], v68 offset:31168
	s_wait_dscnt 0x0
	ds_store_b64 v69, v[38:39] offset:29152
	ds_load_b64 v[38:39], v68 offset:31176
	s_wait_dscnt 0x0
	ds_store_b64 v69, v[38:39] offset:29664
	;; [unrolled: 3-line block ×4, first 2 shown]
.LBB54_125:                             ;   in Loop: Header=BB54_3 Depth=1
	s_or_b32 exec_lo, exec_lo, s49
	s_wait_dscnt 0x0
	s_barrier_signal -1
	s_barrier_wait -1
	s_and_saveexec_b32 s49, s14
	s_cbranch_execz .LBB54_127
; %bb.126:                              ;   in Loop: Header=BB54_3 Depth=1
	v_add_nc_u32_e64 v2, 0x1d0, 0
	ds_load_b64 v[94:95], v3 offset:30680
	ds_load_2addr_stride64_b64 v[38:41], v2 offset0:58 offset1:59
	s_wait_dscnt 0x0
	v_dual_mul_f32 v42, v95, v39 :: v_dual_mul_f32 v2, v94, v39
	s_delay_alu instid0(VALU_DEP_1) | instskip(NEXT) | instid1(VALU_DEP_2)
	v_xor_b32_e32 v42, 0x80000000, v42
	v_fmac_f32_e32 v2, v95, v38
	s_delay_alu instid0(VALU_DEP_2) | instskip(NEXT) | instid1(VALU_DEP_2)
	v_fmac_f32_e32 v42, v94, v38
	v_pk_mul_f32 v[38:39], v[2:3], v[40:41] op_sel:[0,1] op_sel_hi:[0,0]
	v_add_nc_u32_e64 v2, 0x7000, 0
	s_delay_alu instid0(VALU_DEP_2) | instskip(SKIP_1) | instid1(VALU_DEP_2)
	v_pk_fma_f32 v[94:95], v[42:43], v[40:41], v[38:39] op_sel_hi:[0,1,1]
	v_pk_fma_f32 v[38:39], v[42:43], v[40:41], v[38:39] neg_lo:[0,0,1] neg_hi:[0,0,1]
	v_mov_b32_e32 v39, v95
	ds_store_2addr_b64 v2, v[38:39], v[38:39] offset0:187 offset1:250
.LBB54_127:                             ;   in Loop: Header=BB54_3 Depth=1
	s_or_b32 exec_lo, exec_lo, s49
	v_dual_mov_b32 v38, 0 :: v_dual_mov_b32 v39, 0
	s_wait_dscnt 0x0
	s_barrier_signal -1
	s_barrier_wait -1
	global_wb scope:SCOPE_DEV
	s_wait_storecnt 0x0
	global_inv scope:SCOPE_DEV
	s_and_saveexec_b32 s65, s0
	s_cbranch_execz .LBB54_131
; %bb.128:                              ;   in Loop: Header=BB54_3 Depth=1
	ds_load_b64 v[38:39], v45 offset:30144
	ds_load_b64 v[40:41], v46 offset:30672
	s_wait_dscnt 0x0
	v_pk_mul_f32 v[94:95], v[40:41], v[38:39] op_sel:[1,1] op_sel_hi:[0,1]
	s_delay_alu instid0(VALU_DEP_1) | instskip(SKIP_1) | instid1(VALU_DEP_2)
	v_pk_fma_f32 v[96:97], v[40:41], v[38:39], v[94:95] op_sel_hi:[1,0,1]
	v_pk_fma_f32 v[38:39], v[40:41], v[38:39], v[94:95] neg_lo:[0,0,1] neg_hi:[0,0,1]
	v_mov_b32_e32 v39, v97
	s_delay_alu instid0(VALU_DEP_1)
	v_pk_add_f32 v[38:39], v[38:39], 0 op_sel_hi:[1,0]
	s_and_saveexec_b32 s49, s15
	s_cbranch_execz .LBB54_130
; %bb.129:                              ;   in Loop: Header=BB54_3 Depth=1
	ds_load_b64 v[40:41], v69 offset:30656
	ds_load_b64 v[94:95], v3 offset:30680
	s_wait_dscnt 0x0
	v_pk_mul_f32 v[96:97], v[94:95], v[40:41] op_sel:[1,1] op_sel_hi:[0,1]
	s_delay_alu instid0(VALU_DEP_1) | instskip(SKIP_1) | instid1(VALU_DEP_2)
	v_pk_fma_f32 v[98:99], v[94:95], v[40:41], v[96:97] op_sel_hi:[1,0,1]
	v_pk_fma_f32 v[40:41], v[94:95], v[40:41], v[96:97] neg_lo:[0,0,1] neg_hi:[0,0,1]
	v_mov_b32_e32 v41, v99
	s_delay_alu instid0(VALU_DEP_1)
	v_pk_add_f32 v[38:39], v[38:39], v[40:41]
.LBB54_130:                             ;   in Loop: Header=BB54_3 Depth=1
	s_or_b32 exec_lo, exec_lo, s49
.LBB54_131:                             ;   in Loop: Header=BB54_3 Depth=1
	s_delay_alu instid0(SALU_CYCLE_1)
	s_or_b32 exec_lo, exec_lo, s65
	s_and_saveexec_b32 s49, s92
	s_cbranch_execz .LBB54_133
; %bb.132:                              ;   in Loop: Header=BB54_3 Depth=1
	ds_load_b64 v[40:41], v3 offset:29640
	s_wait_dscnt 0x0
	v_pk_mul_f32 v[94:95], v[38:39], v[40:41] op_sel:[1,1] op_sel_hi:[1,0]
	s_delay_alu instid0(VALU_DEP_1) | instskip(SKIP_1) | instid1(VALU_DEP_2)
	v_pk_fma_f32 v[96:97], v[38:39], v[40:41], v[94:95] op_sel_hi:[0,1,1]
	v_pk_fma_f32 v[38:39], v[38:39], v[40:41], v[94:95] neg_lo:[0,0,1] neg_hi:[0,0,1]
	v_mov_b32_e32 v39, v97
	s_delay_alu instid0(VALU_DEP_1)
	v_pk_add_f32 v[40:41], v[38:39], 0 neg_lo:[1,1] neg_hi:[1,1]
	ds_store_b64 v5, v[40:41]
.LBB54_133:                             ;   in Loop: Header=BB54_3 Depth=1
	s_or_b32 exec_lo, exec_lo, s49
	s_wait_loadcnt_dscnt 0x0
	s_barrier_signal -1
	s_barrier_wait -1
	s_and_saveexec_b32 s49, s93
	s_cbranch_execz .LBB54_135
; %bb.134:                              ;   in Loop: Header=BB54_3 Depth=1
	ds_load_b64 v[40:41], v3 offset:29632
	ds_load_b64 v[94:95], v5
	s_wait_dscnt 0x0
	v_pk_mul_f32 v[96:97], v[94:95], v[40:41] op_sel:[1,1] op_sel_hi:[0,1]
	s_delay_alu instid0(VALU_DEP_1) | instskip(SKIP_1) | instid1(VALU_DEP_2)
	v_pk_fma_f32 v[98:99], v[94:95], v[40:41], v[96:97] op_sel_hi:[1,0,1]
	v_pk_fma_f32 v[40:41], v[94:95], v[40:41], v[96:97] neg_lo:[0,0,1] neg_hi:[0,0,1]
	v_mov_b32_e32 v41, v99
	s_delay_alu instid0(VALU_DEP_1)
	v_pk_add_f32 v[38:39], v[38:39], v[40:41] neg_lo:[0,1] neg_hi:[0,1]
.LBB54_135:                             ;   in Loop: Header=BB54_3 Depth=1
	s_or_b32 exec_lo, exec_lo, s49
	s_barrier_signal -1
	s_barrier_wait -1
	s_and_saveexec_b32 s49, s93
	s_cbranch_execz .LBB54_137
; %bb.136:                              ;   in Loop: Header=BB54_3 Depth=1
	ds_load_b64 v[40:41], v3 offset:29120
	s_wait_dscnt 0x0
	v_pk_mul_f32 v[94:95], v[38:39], v[40:41] op_sel:[1,1] op_sel_hi:[1,0]
	s_delay_alu instid0(VALU_DEP_1) | instskip(SKIP_1) | instid1(VALU_DEP_2)
	v_pk_fma_f32 v[96:97], v[38:39], v[40:41], v[94:95] op_sel_hi:[0,1,1]
	v_pk_fma_f32 v[38:39], v[38:39], v[40:41], v[94:95] neg_lo:[0,0,1] neg_hi:[0,0,1]
	v_mov_b32_e32 v39, v97
	s_delay_alu instid0(VALU_DEP_1)
	v_pk_add_f32 v[40:41], v[38:39], 0 neg_lo:[1,1] neg_hi:[1,1]
	ds_store_b64 v5, v[40:41]
.LBB54_137:                             ;   in Loop: Header=BB54_3 Depth=1
	s_or_b32 exec_lo, exec_lo, s49
	s_wait_dscnt 0x0
	s_barrier_signal -1
	s_barrier_wait -1
	s_barrier_signal -1
	s_barrier_wait -1
	s_and_saveexec_b32 s49, s0
; %bb.138:                              ;   in Loop: Header=BB54_3 Depth=1
	ds_store_b64 v48, v[38:39] offset:30656
; %bb.139:                              ;   in Loop: Header=BB54_3 Depth=1
	s_or_b32 exec_lo, exec_lo, s49
	s_wait_dscnt 0x0
	s_barrier_signal -1
	s_barrier_wait -1
	s_barrier_signal -1
	s_barrier_wait -1
	s_and_saveexec_b32 s49, s94
	s_cbranch_execz .LBB54_141
; %bb.140:                              ;   in Loop: Header=BB54_3 Depth=1
	ds_load_b64 v[38:39], v70 offset:30144
	s_wait_dscnt 0x0
	ds_store_b64 v69, v[38:39] offset:29136
	ds_load_b64 v[38:39], v70 offset:30152
	s_wait_dscnt 0x0
	ds_store_b64 v69, v[38:39] offset:29648
.LBB54_141:                             ;   in Loop: Header=BB54_3 Depth=1
	s_or_b32 exec_lo, exec_lo, s49
	s_wait_dscnt 0x0
	s_barrier_signal -1
	s_barrier_wait -1
	s_and_saveexec_b32 s49, s14
	s_cbranch_execz .LBB54_143
; %bb.142:                              ;   in Loop: Header=BB54_3 Depth=1
	v_add_nc_u32_e64 v2, 0x1c0, 0
	ds_load_b64 v[94:95], v3 offset:29640
	ds_load_2addr_stride64_b64 v[38:41], v2 offset0:56 offset1:57
	s_wait_dscnt 0x0
	v_dual_mul_f32 v42, v95, v39 :: v_dual_mul_f32 v2, v94, v39
	s_delay_alu instid0(VALU_DEP_1) | instskip(NEXT) | instid1(VALU_DEP_2)
	v_xor_b32_e32 v42, 0x80000000, v42
	v_fmac_f32_e32 v2, v95, v38
	s_delay_alu instid0(VALU_DEP_2) | instskip(NEXT) | instid1(VALU_DEP_2)
	v_fmac_f32_e32 v42, v94, v38
	v_pk_mul_f32 v[38:39], v[2:3], v[40:41] op_sel:[0,1] op_sel_hi:[0,0]
	v_add_nc_u32_e64 v2, 0x7000, 0
	s_delay_alu instid0(VALU_DEP_2) | instskip(SKIP_1) | instid1(VALU_DEP_2)
	v_pk_fma_f32 v[94:95], v[42:43], v[40:41], v[38:39] op_sel_hi:[0,1,1]
	v_pk_fma_f32 v[38:39], v[42:43], v[40:41], v[38:39] neg_lo:[0,0,1] neg_hi:[0,0,1]
	v_mov_b32_e32 v39, v95
	ds_store_2addr_b64 v2, v[38:39], v[38:39] offset0:57 offset1:120
.LBB54_143:                             ;   in Loop: Header=BB54_3 Depth=1
	s_or_b32 exec_lo, exec_lo, s49
	v_mov_b64_e32 v[38:39], 0
	s_wait_dscnt 0x0
	s_barrier_signal -1
	s_barrier_wait -1
	global_wb scope:SCOPE_DEV
	s_wait_storecnt 0x0
	global_inv scope:SCOPE_DEV
	s_and_saveexec_b32 s65, s3
	s_cbranch_execz .LBB54_153
; %bb.144:                              ;   in Loop: Header=BB54_3 Depth=1
	ds_load_b64 v[38:39], v57 offset:29056
	ds_load_b64 v[40:41], v58 offset:32704
	s_wait_dscnt 0x0
	v_dual_mul_f32 v2, v41, v39 :: v_dual_mul_f32 v39, v40, v39
	s_delay_alu instid0(VALU_DEP_1) | instskip(NEXT) | instid1(VALU_DEP_1)
	v_dual_fma_f32 v2, v40, v38, -v2 :: v_dual_fmac_f32 v39, v41, v38
	v_dual_add_f32 v38, 0, v2 :: v_dual_add_f32 v39, 0, v39
	s_and_saveexec_b32 s49, s18
	s_cbranch_execnz .LBB54_1126
; %bb.145:                              ;   in Loop: Header=BB54_3 Depth=1
	s_or_b32 exec_lo, exec_lo, s49
	s_and_saveexec_b32 s49, s19
	s_cbranch_execnz .LBB54_1127
.LBB54_146:                             ;   in Loop: Header=BB54_3 Depth=1
	s_or_b32 exec_lo, exec_lo, s49
	s_and_saveexec_b32 s49, s20
	s_cbranch_execnz .LBB54_1128
.LBB54_147:                             ;   in Loop: Header=BB54_3 Depth=1
	s_or_b32 exec_lo, exec_lo, s49
	s_and_saveexec_b32 s49, s21
	s_cbranch_execnz .LBB54_1129
.LBB54_148:                             ;   in Loop: Header=BB54_3 Depth=1
	s_or_b32 exec_lo, exec_lo, s49
	s_and_saveexec_b32 s49, s22
	s_cbranch_execnz .LBB54_1130
.LBB54_149:                             ;   in Loop: Header=BB54_3 Depth=1
	s_or_b32 exec_lo, exec_lo, s49
	s_and_saveexec_b32 s49, s2
	s_cbranch_execnz .LBB54_1131
.LBB54_150:                             ;   in Loop: Header=BB54_3 Depth=1
	s_or_b32 exec_lo, exec_lo, s49
	s_and_saveexec_b32 s49, s17
	s_cbranch_execz .LBB54_152
.LBB54_151:                             ;   in Loop: Header=BB54_3 Depth=1
	ds_load_b64 v[40:41], v71 offset:32640
	ds_load_b64 v[94:95], v3 offset:32760
	s_wait_dscnt 0x0
	v_dual_mul_f32 v2, v95, v41 :: v_dual_mul_f32 v97, v94, v41
	s_delay_alu instid0(VALU_DEP_1) | instskip(NEXT) | instid1(VALU_DEP_1)
	v_dual_fma_f32 v96, v94, v40, -v2 :: v_dual_fmac_f32 v97, v95, v40
	v_pk_add_f32 v[38:39], v[38:39], v[96:97]
.LBB54_152:                             ;   in Loop: Header=BB54_3 Depth=1
	s_or_b32 exec_lo, exec_lo, s49
.LBB54_153:                             ;   in Loop: Header=BB54_3 Depth=1
	s_delay_alu instid0(SALU_CYCLE_1)
	s_or_b32 exec_lo, exec_lo, s65
	s_and_saveexec_b32 s49, s102
	s_cbranch_execz .LBB54_155
; %bb.154:                              ;   in Loop: Header=BB54_3 Depth=1
	ds_load_b64 v[40:41], v3 offset:28600
	s_wait_dscnt 0x0
	v_pk_mul_f32 v[94:95], v[38:39], v[40:41] op_sel:[1,1] op_sel_hi:[1,0]
	s_delay_alu instid0(VALU_DEP_1) | instskip(SKIP_1) | instid1(VALU_DEP_2)
	v_pk_fma_f32 v[96:97], v[38:39], v[40:41], v[94:95] op_sel_hi:[0,1,1]
	v_pk_fma_f32 v[38:39], v[38:39], v[40:41], v[94:95] neg_lo:[0,0,1] neg_hi:[0,0,1]
	v_mov_b32_e32 v39, v97
	s_delay_alu instid0(VALU_DEP_1)
	v_pk_add_f32 v[40:41], v[38:39], 0 neg_lo:[1,1] neg_hi:[1,1]
	ds_store_b64 v56, v[40:41]
.LBB54_155:                             ;   in Loop: Header=BB54_3 Depth=1
	s_or_b32 exec_lo, exec_lo, s49
	s_wait_loadcnt_dscnt 0x0
	s_barrier_signal -1
	s_barrier_wait -1
	s_and_saveexec_b32 s49, s103
	s_cbranch_execz .LBB54_157
; %bb.156:                              ;   in Loop: Header=BB54_3 Depth=1
	ds_load_b64 v[40:41], v57 offset:28544
	ds_load_b64 v[94:95], v56
	s_wait_dscnt 0x0
	v_pk_mul_f32 v[96:97], v[94:95], v[40:41] op_sel:[1,1] op_sel_hi:[0,1]
	s_delay_alu instid0(VALU_DEP_1) | instskip(SKIP_1) | instid1(VALU_DEP_2)
	v_pk_fma_f32 v[98:99], v[94:95], v[40:41], v[96:97] op_sel_hi:[1,0,1]
	v_pk_fma_f32 v[40:41], v[94:95], v[40:41], v[96:97] neg_lo:[0,0,1] neg_hi:[0,0,1]
	v_mov_b32_e32 v41, v99
	s_delay_alu instid0(VALU_DEP_1)
	v_pk_add_f32 v[38:39], v[38:39], v[40:41] neg_lo:[0,1] neg_hi:[0,1]
.LBB54_157:                             ;   in Loop: Header=BB54_3 Depth=1
	s_or_b32 exec_lo, exec_lo, s49
	s_barrier_signal -1
	s_barrier_wait -1
	s_and_saveexec_b32 s49, s104
	s_cbranch_execz .LBB54_159
; %bb.158:                              ;   in Loop: Header=BB54_3 Depth=1
	ds_load_b64 v[40:41], v3 offset:28080
	s_wait_dscnt 0x0
	v_pk_mul_f32 v[94:95], v[38:39], v[40:41] op_sel:[1,1] op_sel_hi:[1,0]
	s_delay_alu instid0(VALU_DEP_1) | instskip(SKIP_1) | instid1(VALU_DEP_2)
	v_pk_fma_f32 v[96:97], v[38:39], v[40:41], v[94:95] op_sel_hi:[0,1,1]
	v_pk_fma_f32 v[38:39], v[38:39], v[40:41], v[94:95] neg_lo:[0,0,1] neg_hi:[0,0,1]
	v_mov_b32_e32 v39, v97
	s_delay_alu instid0(VALU_DEP_1)
	v_pk_add_f32 v[40:41], v[38:39], 0 neg_lo:[1,1] neg_hi:[1,1]
	ds_store_b64 v56, v[40:41]
.LBB54_159:                             ;   in Loop: Header=BB54_3 Depth=1
	s_or_b32 exec_lo, exec_lo, s49
	s_wait_dscnt 0x0
	s_barrier_signal -1
	s_barrier_wait -1
	s_and_saveexec_b32 s49, vcc_hi
	s_cbranch_execz .LBB54_161
; %bb.160:                              ;   in Loop: Header=BB54_3 Depth=1
	ds_load_b64 v[40:41], v57 offset:28032
	ds_load_b64 v[94:95], v56
	s_wait_dscnt 0x0
	v_pk_mul_f32 v[96:97], v[94:95], v[40:41] op_sel:[1,1] op_sel_hi:[0,1]
	s_delay_alu instid0(VALU_DEP_1) | instskip(SKIP_1) | instid1(VALU_DEP_2)
	v_pk_fma_f32 v[98:99], v[94:95], v[40:41], v[96:97] op_sel_hi:[1,0,1]
	v_pk_fma_f32 v[40:41], v[94:95], v[40:41], v[96:97] neg_lo:[0,0,1] neg_hi:[0,0,1]
	v_mov_b32_e32 v41, v99
	s_delay_alu instid0(VALU_DEP_1)
	v_pk_add_f32 v[38:39], v[38:39], v[40:41] neg_lo:[0,1] neg_hi:[0,1]
.LBB54_161:                             ;   in Loop: Header=BB54_3 Depth=1
	s_or_b32 exec_lo, exec_lo, s49
	s_barrier_signal -1
	s_barrier_wait -1
	s_and_saveexec_b32 s49, s38
	s_cbranch_execz .LBB54_163
; %bb.162:                              ;   in Loop: Header=BB54_3 Depth=1
	ds_load_b64 v[40:41], v3 offset:27560
	s_wait_dscnt 0x0
	v_pk_mul_f32 v[94:95], v[38:39], v[40:41] op_sel:[1,1] op_sel_hi:[1,0]
	s_delay_alu instid0(VALU_DEP_1) | instskip(SKIP_1) | instid1(VALU_DEP_2)
	v_pk_fma_f32 v[96:97], v[38:39], v[40:41], v[94:95] op_sel_hi:[0,1,1]
	v_pk_fma_f32 v[38:39], v[38:39], v[40:41], v[94:95] neg_lo:[0,0,1] neg_hi:[0,0,1]
	v_mov_b32_e32 v39, v97
	s_delay_alu instid0(VALU_DEP_1)
	v_pk_add_f32 v[40:41], v[38:39], 0 neg_lo:[1,1] neg_hi:[1,1]
	ds_store_b64 v56, v[40:41]
.LBB54_163:                             ;   in Loop: Header=BB54_3 Depth=1
	s_or_b32 exec_lo, exec_lo, s49
	s_wait_dscnt 0x0
	s_barrier_signal -1
	s_barrier_wait -1
	s_and_saveexec_b32 s49, s39
	s_cbranch_execz .LBB54_165
; %bb.164:                              ;   in Loop: Header=BB54_3 Depth=1
	ds_load_b64 v[40:41], v57 offset:27520
	ds_load_b64 v[94:95], v56
	s_wait_dscnt 0x0
	v_pk_mul_f32 v[96:97], v[94:95], v[40:41] op_sel:[1,1] op_sel_hi:[0,1]
	s_delay_alu instid0(VALU_DEP_1) | instskip(SKIP_1) | instid1(VALU_DEP_2)
	v_pk_fma_f32 v[98:99], v[94:95], v[40:41], v[96:97] op_sel_hi:[1,0,1]
	v_pk_fma_f32 v[40:41], v[94:95], v[40:41], v[96:97] neg_lo:[0,0,1] neg_hi:[0,0,1]
	v_mov_b32_e32 v41, v99
	s_delay_alu instid0(VALU_DEP_1)
	v_pk_add_f32 v[38:39], v[38:39], v[40:41] neg_lo:[0,1] neg_hi:[0,1]
.LBB54_165:                             ;   in Loop: Header=BB54_3 Depth=1
	s_or_b32 exec_lo, exec_lo, s49
	s_barrier_signal -1
	s_barrier_wait -1
	s_and_saveexec_b32 s49, s40
	s_cbranch_execz .LBB54_167
; %bb.166:                              ;   in Loop: Header=BB54_3 Depth=1
	ds_load_b64 v[40:41], v3 offset:27040
	s_wait_dscnt 0x0
	v_pk_mul_f32 v[94:95], v[38:39], v[40:41]
	v_pk_mul_f32 v[38:39], v[38:39], v[40:41] op_sel:[1,0] op_sel_hi:[0,1]
	s_delay_alu instid0(VALU_DEP_1) | instskip(NEXT) | instid1(VALU_DEP_3)
	v_dual_mov_b32 v40, v94 :: v_dual_mov_b32 v41, v38
	v_mov_b32_e32 v38, v95
	s_delay_alu instid0(VALU_DEP_1) | instskip(SKIP_1) | instid1(VALU_DEP_2)
	v_pk_add_f32 v[94:95], v[40:41], v[38:39]
	v_pk_add_f32 v[38:39], v[40:41], v[38:39] neg_lo:[0,1] neg_hi:[0,1]
	v_mov_b32_e32 v39, v95
	s_delay_alu instid0(VALU_DEP_1)
	v_pk_add_f32 v[40:41], v[38:39], 0 neg_lo:[1,1] neg_hi:[1,1]
	ds_store_b64 v56, v[40:41]
.LBB54_167:                             ;   in Loop: Header=BB54_3 Depth=1
	s_or_b32 exec_lo, exec_lo, s49
	s_wait_dscnt 0x0
	s_barrier_signal -1
	s_barrier_wait -1
	s_and_saveexec_b32 s49, s41
	s_cbranch_execz .LBB54_169
; %bb.168:                              ;   in Loop: Header=BB54_3 Depth=1
	ds_load_b64 v[40:41], v57 offset:27008
	ds_load_b64 v[94:95], v56
	s_wait_dscnt 0x0
	v_dual_mul_f32 v2, v95, v41 :: v_dual_mul_f32 v41, v94, v41
	s_delay_alu instid0(VALU_DEP_1) | instskip(NEXT) | instid1(VALU_DEP_1)
	v_dual_fma_f32 v2, v94, v40, -v2 :: v_dual_fmac_f32 v41, v95, v40
	v_dual_sub_f32 v38, v38, v2 :: v_dual_sub_f32 v39, v39, v41
.LBB54_169:                             ;   in Loop: Header=BB54_3 Depth=1
	s_or_b32 exec_lo, exec_lo, s49
	s_barrier_signal -1
	s_barrier_wait -1
	s_and_saveexec_b32 s49, s42
	s_cbranch_execz .LBB54_171
; %bb.170:                              ;   in Loop: Header=BB54_3 Depth=1
	ds_load_b64 v[40:41], v3 offset:26520
	s_wait_dscnt 0x0
	v_dual_mul_f32 v2, v39, v40 :: v_dual_mul_f32 v42, v39, v41
	s_delay_alu instid0(VALU_DEP_1) | instskip(NEXT) | instid1(VALU_DEP_2)
	v_pk_fma_f32 v[94:95], v[38:39], v[40:41], v[2:3] op_sel:[1,0,0] op_sel_hi:[0,1,0]
	v_pk_fma_f32 v[38:39], v[38:39], v[40:41], v[42:43] op_sel_hi:[1,1,0] neg_lo:[0,0,1] neg_hi:[0,0,1]
	s_delay_alu instid0(VALU_DEP_2) | instskip(NEXT) | instid1(VALU_DEP_1)
	v_mov_b32_e32 v39, v95
	v_pk_add_f32 v[40:41], v[38:39], 0 neg_lo:[1,1] neg_hi:[1,1]
	ds_store_b64 v56, v[40:41]
.LBB54_171:                             ;   in Loop: Header=BB54_3 Depth=1
	s_or_b32 exec_lo, exec_lo, s49
	s_wait_dscnt 0x0
	s_barrier_signal -1
	s_barrier_wait -1
	s_and_saveexec_b32 s49, s43
	s_cbranch_execz .LBB54_173
; %bb.172:                              ;   in Loop: Header=BB54_3 Depth=1
	ds_load_b64 v[40:41], v57 offset:26496
	ds_load_b64 v[94:95], v56
	s_wait_dscnt 0x0
	v_pk_mul_f32 v[96:97], v[94:95], v[40:41] op_sel:[1,1] op_sel_hi:[0,1]
	s_delay_alu instid0(VALU_DEP_1) | instskip(SKIP_1) | instid1(VALU_DEP_2)
	v_pk_fma_f32 v[98:99], v[94:95], v[40:41], v[96:97] op_sel_hi:[1,0,1]
	v_pk_fma_f32 v[40:41], v[94:95], v[40:41], v[96:97] neg_lo:[0,0,1] neg_hi:[0,0,1]
	v_mov_b32_e32 v41, v99
	s_delay_alu instid0(VALU_DEP_1)
	v_pk_add_f32 v[38:39], v[38:39], v[40:41] neg_lo:[0,1] neg_hi:[0,1]
.LBB54_173:                             ;   in Loop: Header=BB54_3 Depth=1
	s_or_b32 exec_lo, exec_lo, s49
	s_barrier_signal -1
	s_barrier_wait -1
	s_and_saveexec_b32 s49, s44
	s_cbranch_execz .LBB54_175
; %bb.174:                              ;   in Loop: Header=BB54_3 Depth=1
	ds_load_b64 v[40:41], v3 offset:26000
	s_wait_dscnt 0x0
	v_pk_mul_f32 v[94:95], v[38:39], v[40:41] op_sel:[1,1] op_sel_hi:[1,0]
	s_delay_alu instid0(VALU_DEP_1) | instskip(SKIP_1) | instid1(VALU_DEP_2)
	v_pk_fma_f32 v[96:97], v[38:39], v[40:41], v[94:95] op_sel_hi:[0,1,1]
	v_pk_fma_f32 v[38:39], v[38:39], v[40:41], v[94:95] neg_lo:[0,0,1] neg_hi:[0,0,1]
	v_mov_b32_e32 v39, v97
	s_delay_alu instid0(VALU_DEP_1)
	v_pk_add_f32 v[40:41], v[38:39], 0 neg_lo:[1,1] neg_hi:[1,1]
	ds_store_b64 v56, v[40:41]
.LBB54_175:                             ;   in Loop: Header=BB54_3 Depth=1
	s_or_b32 exec_lo, exec_lo, s49
	s_wait_dscnt 0x0
	s_barrier_signal -1
	s_barrier_wait -1
	s_and_saveexec_b32 s49, s45
	s_cbranch_execz .LBB54_177
; %bb.176:                              ;   in Loop: Header=BB54_3 Depth=1
	ds_load_b64 v[40:41], v57 offset:25984
	ds_load_b64 v[94:95], v56
	s_wait_dscnt 0x0
	v_pk_mul_f32 v[96:97], v[94:95], v[40:41] op_sel:[1,1] op_sel_hi:[0,1]
	s_delay_alu instid0(VALU_DEP_1) | instskip(SKIP_1) | instid1(VALU_DEP_2)
	v_pk_fma_f32 v[98:99], v[94:95], v[40:41], v[96:97] op_sel_hi:[1,0,1]
	v_pk_fma_f32 v[40:41], v[94:95], v[40:41], v[96:97] neg_lo:[0,0,1] neg_hi:[0,0,1]
	v_mov_b32_e32 v41, v99
	s_delay_alu instid0(VALU_DEP_1)
	v_pk_add_f32 v[38:39], v[38:39], v[40:41] neg_lo:[0,1] neg_hi:[0,1]
.LBB54_177:                             ;   in Loop: Header=BB54_3 Depth=1
	s_or_b32 exec_lo, exec_lo, s49
	s_barrier_signal -1
	s_barrier_wait -1
	s_and_saveexec_b32 s49, s46
	s_cbranch_execz .LBB54_179
; %bb.178:                              ;   in Loop: Header=BB54_3 Depth=1
	ds_load_b64 v[40:41], v3 offset:25480
	s_wait_dscnt 0x0
	v_pk_mul_f32 v[94:95], v[38:39], v[40:41] op_sel:[1,1] op_sel_hi:[1,0]
	s_delay_alu instid0(VALU_DEP_1) | instskip(SKIP_1) | instid1(VALU_DEP_2)
	v_pk_fma_f32 v[96:97], v[38:39], v[40:41], v[94:95] op_sel_hi:[0,1,1]
	v_pk_fma_f32 v[38:39], v[38:39], v[40:41], v[94:95] neg_lo:[0,0,1] neg_hi:[0,0,1]
	v_mov_b32_e32 v39, v97
	s_delay_alu instid0(VALU_DEP_1)
	v_pk_add_f32 v[40:41], v[38:39], 0 neg_lo:[1,1] neg_hi:[1,1]
	ds_store_b64 v56, v[40:41]
.LBB54_179:                             ;   in Loop: Header=BB54_3 Depth=1
	;; [unrolled: 35-line block ×3, first 2 shown]
	s_or_b32 exec_lo, exec_lo, s49
	s_wait_dscnt 0x0
	s_barrier_signal -1
	s_barrier_wait -1
	s_barrier_signal -1
	s_barrier_wait -1
	s_and_saveexec_b32 s49, s3
; %bb.184:                              ;   in Loop: Header=BB54_3 Depth=1
	ds_store_b64 v59, v[38:39] offset:32640
; %bb.185:                              ;   in Loop: Header=BB54_3 Depth=1
	s_or_b32 exec_lo, exec_lo, s49
	s_wait_dscnt 0x0
	s_barrier_signal -1
	s_barrier_wait -1
	s_barrier_signal -1
	s_barrier_wait -1
	s_and_saveexec_b32 s49, s48
	s_cbranch_execz .LBB54_187
; %bb.186:                              ;   in Loop: Header=BB54_3 Depth=1
	ds_load_b64 v[38:39], v72 offset:29056
	s_wait_dscnt 0x0
	ds_store_b64 v73, v[38:39] offset:25024
	ds_load_b64 v[38:39], v72 offset:29064
	s_wait_dscnt 0x0
	ds_store_b64 v73, v[38:39] offset:25536
	;; [unrolled: 3-line block ×8, first 2 shown]
.LBB54_187:                             ;   in Loop: Header=BB54_3 Depth=1
	s_or_b32 exec_lo, exec_lo, s49
	s_wait_dscnt 0x0
	s_barrier_signal -1
	s_barrier_wait -1
	s_and_saveexec_b32 s49, s14
	s_cbranch_execz .LBB54_189
; %bb.188:                              ;   in Loop: Header=BB54_3 Depth=1
	v_add_nc_u32_e64 v2, 0x1b0, 0
	ds_load_b64 v[94:95], v3 offset:28600
	ds_load_2addr_stride64_b64 v[38:41], v2 offset0:54 offset1:55
	s_wait_dscnt 0x0
	v_dual_mul_f32 v42, v95, v39 :: v_dual_mul_f32 v2, v94, v39
	s_delay_alu instid0(VALU_DEP_1) | instskip(NEXT) | instid1(VALU_DEP_2)
	v_xor_b32_e32 v42, 0x80000000, v42
	v_fmac_f32_e32 v2, v95, v38
	s_delay_alu instid0(VALU_DEP_2) | instskip(NEXT) | instid1(VALU_DEP_2)
	v_fmac_f32_e32 v42, v94, v38
	v_pk_mul_f32 v[38:39], v[2:3], v[40:41] op_sel:[0,1] op_sel_hi:[0,0]
	v_add_nc_u32_e64 v2, 0x6800, 0
	s_delay_alu instid0(VALU_DEP_2) | instskip(SKIP_1) | instid1(VALU_DEP_2)
	v_pk_fma_f32 v[94:95], v[42:43], v[40:41], v[38:39] op_sel_hi:[0,1,1]
	v_pk_fma_f32 v[38:39], v[42:43], v[40:41], v[38:39] neg_lo:[0,0,1] neg_hi:[0,0,1]
	v_mov_b32_e32 v39, v95
	ds_store_2addr_b64 v2, v[38:39], v[38:39] offset0:183 offset1:246
.LBB54_189:                             ;   in Loop: Header=BB54_3 Depth=1
	s_or_b32 exec_lo, exec_lo, s49
	v_dual_mov_b32 v38, 0 :: v_dual_mov_b32 v39, 0
	s_wait_dscnt 0x0
	s_barrier_signal -1
	s_barrier_wait -1
	global_wb scope:SCOPE_DEV
	s_wait_storecnt 0x0
	global_inv scope:SCOPE_DEV
	s_and_saveexec_b32 s65, s0
	s_cbranch_execz .LBB54_193
; %bb.190:                              ;   in Loop: Header=BB54_3 Depth=1
	ds_load_b64 v[38:39], v45 offset:28064
	ds_load_b64 v[40:41], v46 offset:28592
	s_wait_dscnt 0x0
	v_pk_mul_f32 v[94:95], v[40:41], v[38:39] op_sel:[1,1] op_sel_hi:[0,1]
	s_delay_alu instid0(VALU_DEP_1) | instskip(SKIP_1) | instid1(VALU_DEP_2)
	v_pk_fma_f32 v[96:97], v[40:41], v[38:39], v[94:95] op_sel_hi:[1,0,1]
	v_pk_fma_f32 v[38:39], v[40:41], v[38:39], v[94:95] neg_lo:[0,0,1] neg_hi:[0,0,1]
	v_mov_b32_e32 v39, v97
	s_delay_alu instid0(VALU_DEP_1)
	v_pk_add_f32 v[38:39], v[38:39], 0 op_sel_hi:[1,0]
	s_and_saveexec_b32 s49, s15
	s_cbranch_execz .LBB54_192
; %bb.191:                              ;   in Loop: Header=BB54_3 Depth=1
	ds_load_b64 v[40:41], v73 offset:28576
	ds_load_b64 v[94:95], v3 offset:28600
	s_wait_dscnt 0x0
	v_pk_mul_f32 v[96:97], v[94:95], v[40:41] op_sel:[1,1] op_sel_hi:[0,1]
	s_delay_alu instid0(VALU_DEP_1) | instskip(SKIP_1) | instid1(VALU_DEP_2)
	v_pk_fma_f32 v[98:99], v[94:95], v[40:41], v[96:97] op_sel_hi:[1,0,1]
	v_pk_fma_f32 v[40:41], v[94:95], v[40:41], v[96:97] neg_lo:[0,0,1] neg_hi:[0,0,1]
	v_mov_b32_e32 v41, v99
	s_delay_alu instid0(VALU_DEP_1)
	v_pk_add_f32 v[38:39], v[38:39], v[40:41]
.LBB54_192:                             ;   in Loop: Header=BB54_3 Depth=1
	s_or_b32 exec_lo, exec_lo, s49
.LBB54_193:                             ;   in Loop: Header=BB54_3 Depth=1
	s_delay_alu instid0(SALU_CYCLE_1)
	s_or_b32 exec_lo, exec_lo, s65
	s_and_saveexec_b32 s49, s92
	s_cbranch_execz .LBB54_195
; %bb.194:                              ;   in Loop: Header=BB54_3 Depth=1
	ds_load_b64 v[40:41], v3 offset:27560
	s_wait_dscnt 0x0
	v_pk_mul_f32 v[94:95], v[38:39], v[40:41] op_sel:[1,1] op_sel_hi:[1,0]
	s_delay_alu instid0(VALU_DEP_1) | instskip(SKIP_1) | instid1(VALU_DEP_2)
	v_pk_fma_f32 v[96:97], v[38:39], v[40:41], v[94:95] op_sel_hi:[0,1,1]
	v_pk_fma_f32 v[38:39], v[38:39], v[40:41], v[94:95] neg_lo:[0,0,1] neg_hi:[0,0,1]
	v_mov_b32_e32 v39, v97
	s_delay_alu instid0(VALU_DEP_1)
	v_pk_add_f32 v[40:41], v[38:39], 0 neg_lo:[1,1] neg_hi:[1,1]
	ds_store_b64 v5, v[40:41]
.LBB54_195:                             ;   in Loop: Header=BB54_3 Depth=1
	s_or_b32 exec_lo, exec_lo, s49
	s_wait_loadcnt_dscnt 0x0
	s_barrier_signal -1
	s_barrier_wait -1
	s_and_saveexec_b32 s49, s93
	s_cbranch_execz .LBB54_197
; %bb.196:                              ;   in Loop: Header=BB54_3 Depth=1
	ds_load_b64 v[40:41], v3 offset:27552
	ds_load_b64 v[94:95], v5
	s_wait_dscnt 0x0
	v_pk_mul_f32 v[96:97], v[94:95], v[40:41] op_sel:[1,1] op_sel_hi:[0,1]
	s_delay_alu instid0(VALU_DEP_1) | instskip(SKIP_1) | instid1(VALU_DEP_2)
	v_pk_fma_f32 v[98:99], v[94:95], v[40:41], v[96:97] op_sel_hi:[1,0,1]
	v_pk_fma_f32 v[40:41], v[94:95], v[40:41], v[96:97] neg_lo:[0,0,1] neg_hi:[0,0,1]
	v_mov_b32_e32 v41, v99
	s_delay_alu instid0(VALU_DEP_1)
	v_pk_add_f32 v[38:39], v[38:39], v[40:41] neg_lo:[0,1] neg_hi:[0,1]
.LBB54_197:                             ;   in Loop: Header=BB54_3 Depth=1
	s_or_b32 exec_lo, exec_lo, s49
	s_barrier_signal -1
	s_barrier_wait -1
	s_and_saveexec_b32 s49, s93
	s_cbranch_execz .LBB54_199
; %bb.198:                              ;   in Loop: Header=BB54_3 Depth=1
	ds_load_b64 v[40:41], v3 offset:27040
	s_wait_dscnt 0x0
	v_pk_mul_f32 v[94:95], v[38:39], v[40:41] op_sel:[1,1] op_sel_hi:[1,0]
	s_delay_alu instid0(VALU_DEP_1) | instskip(SKIP_1) | instid1(VALU_DEP_2)
	v_pk_fma_f32 v[96:97], v[38:39], v[40:41], v[94:95] op_sel_hi:[0,1,1]
	v_pk_fma_f32 v[38:39], v[38:39], v[40:41], v[94:95] neg_lo:[0,0,1] neg_hi:[0,0,1]
	v_mov_b32_e32 v39, v97
	s_delay_alu instid0(VALU_DEP_1)
	v_pk_add_f32 v[40:41], v[38:39], 0 neg_lo:[1,1] neg_hi:[1,1]
	ds_store_b64 v5, v[40:41]
.LBB54_199:                             ;   in Loop: Header=BB54_3 Depth=1
	s_or_b32 exec_lo, exec_lo, s49
	s_wait_dscnt 0x0
	s_barrier_signal -1
	s_barrier_wait -1
	s_barrier_signal -1
	s_barrier_wait -1
	s_and_saveexec_b32 s49, s0
; %bb.200:                              ;   in Loop: Header=BB54_3 Depth=1
	ds_store_b64 v48, v[38:39] offset:28576
; %bb.201:                              ;   in Loop: Header=BB54_3 Depth=1
	s_or_b32 exec_lo, exec_lo, s49
	s_wait_dscnt 0x0
	s_barrier_signal -1
	s_barrier_wait -1
	s_barrier_signal -1
	s_barrier_wait -1
	s_and_saveexec_b32 s49, s94
	s_cbranch_execz .LBB54_203
; %bb.202:                              ;   in Loop: Header=BB54_3 Depth=1
	ds_load_b64 v[38:39], v74 offset:28064
	s_wait_dscnt 0x0
	ds_store_b64 v73, v[38:39] offset:27056
	ds_load_b64 v[38:39], v74 offset:28072
	s_wait_dscnt 0x0
	ds_store_b64 v73, v[38:39] offset:27568
.LBB54_203:                             ;   in Loop: Header=BB54_3 Depth=1
	s_or_b32 exec_lo, exec_lo, s49
	s_wait_dscnt 0x0
	s_barrier_signal -1
	s_barrier_wait -1
	s_and_saveexec_b32 s49, s14
	s_cbranch_execz .LBB54_205
; %bb.204:                              ;   in Loop: Header=BB54_3 Depth=1
	v_add_nc_u32_e64 v2, 0x1a0, 0
	ds_load_b64 v[94:95], v3 offset:27560
	ds_load_2addr_stride64_b64 v[38:41], v2 offset0:52 offset1:53
	s_wait_dscnt 0x0
	v_dual_mul_f32 v42, v95, v39 :: v_dual_mul_f32 v2, v94, v39
	s_delay_alu instid0(VALU_DEP_1) | instskip(NEXT) | instid1(VALU_DEP_2)
	v_xor_b32_e32 v42, 0x80000000, v42
	v_fmac_f32_e32 v2, v95, v38
	s_delay_alu instid0(VALU_DEP_2) | instskip(NEXT) | instid1(VALU_DEP_2)
	v_fmac_f32_e32 v42, v94, v38
	v_pk_mul_f32 v[38:39], v[2:3], v[40:41] op_sel:[0,1] op_sel_hi:[0,0]
	v_add_nc_u32_e64 v2, 0x6800, 0
	s_delay_alu instid0(VALU_DEP_2) | instskip(SKIP_1) | instid1(VALU_DEP_2)
	v_pk_fma_f32 v[94:95], v[42:43], v[40:41], v[38:39] op_sel_hi:[0,1,1]
	v_pk_fma_f32 v[38:39], v[42:43], v[40:41], v[38:39] neg_lo:[0,0,1] neg_hi:[0,0,1]
	v_mov_b32_e32 v39, v95
	ds_store_2addr_b64 v2, v[38:39], v[38:39] offset0:53 offset1:116
.LBB54_205:                             ;   in Loop: Header=BB54_3 Depth=1
	s_or_b32 exec_lo, exec_lo, s49
	v_mov_b64_e32 v[38:39], 0
	s_wait_dscnt 0x0
	s_barrier_signal -1
	s_barrier_wait -1
	global_wb scope:SCOPE_DEV
	s_wait_storecnt 0x0
	global_inv scope:SCOPE_DEV
	s_and_saveexec_b32 s65, s2
	s_cbranch_execz .LBB54_211
; %bb.206:                              ;   in Loop: Header=BB54_3 Depth=1
	ds_load_b64 v[38:39], v51 offset:27008
	ds_load_b64 v[40:41], v52 offset:28576
	s_wait_dscnt 0x0
	v_dual_mul_f32 v2, v41, v39 :: v_dual_mul_f32 v39, v40, v39
	s_delay_alu instid0(VALU_DEP_1) | instskip(NEXT) | instid1(VALU_DEP_1)
	v_dual_fma_f32 v2, v40, v38, -v2 :: v_dual_fmac_f32 v39, v41, v38
	v_dual_add_f32 v38, 0, v2 :: v_dual_add_f32 v39, 0, v39
	s_and_saveexec_b32 s49, s16
	s_cbranch_execnz .LBB54_1132
; %bb.207:                              ;   in Loop: Header=BB54_3 Depth=1
	s_or_b32 exec_lo, exec_lo, s49
	s_and_saveexec_b32 s49, s17
	s_cbranch_execnz .LBB54_1133
.LBB54_208:                             ;   in Loop: Header=BB54_3 Depth=1
	s_or_b32 exec_lo, exec_lo, s49
	s_and_saveexec_b32 s49, s0
	s_cbranch_execz .LBB54_210
.LBB54_209:                             ;   in Loop: Header=BB54_3 Depth=1
	ds_load_b64 v[40:41], v75 offset:28544
	ds_load_b64 v[94:95], v3 offset:28600
	s_wait_dscnt 0x0
	v_dual_mul_f32 v2, v95, v41 :: v_dual_mul_f32 v41, v94, v41
	s_delay_alu instid0(VALU_DEP_1) | instskip(NEXT) | instid1(VALU_DEP_1)
	v_dual_fma_f32 v2, v94, v40, -v2 :: v_dual_fmac_f32 v41, v95, v40
	v_dual_add_f32 v38, v38, v2 :: v_dual_add_f32 v39, v39, v41
.LBB54_210:                             ;   in Loop: Header=BB54_3 Depth=1
	s_or_b32 exec_lo, exec_lo, s49
.LBB54_211:                             ;   in Loop: Header=BB54_3 Depth=1
	s_delay_alu instid0(SALU_CYCLE_1)
	s_or_b32 exec_lo, exec_lo, s65
	s_and_saveexec_b32 s49, s95
	s_cbranch_execz .LBB54_213
; %bb.212:                              ;   in Loop: Header=BB54_3 Depth=1
	ds_load_b64 v[40:41], v3 offset:26520
	s_wait_dscnt 0x0
	v_dual_mul_f32 v2, v39, v40 :: v_dual_mul_f32 v42, v39, v41
	s_delay_alu instid0(VALU_DEP_1) | instskip(NEXT) | instid1(VALU_DEP_2)
	v_pk_fma_f32 v[94:95], v[38:39], v[40:41], v[2:3] op_sel:[1,0,0] op_sel_hi:[0,1,0]
	v_pk_fma_f32 v[38:39], v[38:39], v[40:41], v[42:43] op_sel_hi:[1,1,0] neg_lo:[0,0,1] neg_hi:[0,0,1]
	s_delay_alu instid0(VALU_DEP_2) | instskip(NEXT) | instid1(VALU_DEP_1)
	v_mov_b32_e32 v39, v95
	v_pk_add_f32 v[40:41], v[38:39], 0 neg_lo:[1,1] neg_hi:[1,1]
	ds_store_b64 v50, v[40:41]
.LBB54_213:                             ;   in Loop: Header=BB54_3 Depth=1
	s_or_b32 exec_lo, exec_lo, s49
	s_wait_loadcnt_dscnt 0x0
	s_barrier_signal -1
	s_barrier_wait -1
	s_and_saveexec_b32 s49, s96
	s_cbranch_execz .LBB54_215
; %bb.214:                              ;   in Loop: Header=BB54_3 Depth=1
	ds_load_b64 v[40:41], v51 offset:26496
	ds_load_b64 v[94:95], v50
	s_wait_dscnt 0x0
	v_pk_mul_f32 v[96:97], v[94:95], v[40:41] op_sel:[1,1] op_sel_hi:[0,1]
	s_delay_alu instid0(VALU_DEP_1) | instskip(SKIP_1) | instid1(VALU_DEP_2)
	v_pk_fma_f32 v[98:99], v[94:95], v[40:41], v[96:97] op_sel_hi:[1,0,1]
	v_pk_fma_f32 v[40:41], v[94:95], v[40:41], v[96:97] neg_lo:[0,0,1] neg_hi:[0,0,1]
	v_mov_b32_e32 v41, v99
	s_delay_alu instid0(VALU_DEP_1)
	v_pk_add_f32 v[38:39], v[38:39], v[40:41] neg_lo:[0,1] neg_hi:[0,1]
.LBB54_215:                             ;   in Loop: Header=BB54_3 Depth=1
	s_or_b32 exec_lo, exec_lo, s49
	s_barrier_signal -1
	s_barrier_wait -1
	s_and_saveexec_b32 s49, s97
	s_cbranch_execz .LBB54_217
; %bb.216:                              ;   in Loop: Header=BB54_3 Depth=1
	ds_load_b64 v[40:41], v3 offset:26000
	s_wait_dscnt 0x0
	v_pk_mul_f32 v[94:95], v[38:39], v[40:41] op_sel:[1,1] op_sel_hi:[1,0]
	s_delay_alu instid0(VALU_DEP_1) | instskip(SKIP_1) | instid1(VALU_DEP_2)
	v_pk_fma_f32 v[96:97], v[38:39], v[40:41], v[94:95] op_sel_hi:[0,1,1]
	v_pk_fma_f32 v[38:39], v[38:39], v[40:41], v[94:95] neg_lo:[0,0,1] neg_hi:[0,0,1]
	v_mov_b32_e32 v39, v97
	s_delay_alu instid0(VALU_DEP_1)
	v_pk_add_f32 v[40:41], v[38:39], 0 neg_lo:[1,1] neg_hi:[1,1]
	ds_store_b64 v50, v[40:41]
.LBB54_217:                             ;   in Loop: Header=BB54_3 Depth=1
	s_or_b32 exec_lo, exec_lo, s49
	s_wait_dscnt 0x0
	s_barrier_signal -1
	s_barrier_wait -1
	s_and_saveexec_b32 s49, s98
	s_cbranch_execz .LBB54_219
; %bb.218:                              ;   in Loop: Header=BB54_3 Depth=1
	ds_load_b64 v[40:41], v51 offset:25984
	ds_load_b64 v[94:95], v50
	s_wait_dscnt 0x0
	v_pk_mul_f32 v[96:97], v[94:95], v[40:41] op_sel:[1,1] op_sel_hi:[0,1]
	s_delay_alu instid0(VALU_DEP_1) | instskip(SKIP_1) | instid1(VALU_DEP_2)
	v_pk_fma_f32 v[98:99], v[94:95], v[40:41], v[96:97] op_sel_hi:[1,0,1]
	v_pk_fma_f32 v[40:41], v[94:95], v[40:41], v[96:97] neg_lo:[0,0,1] neg_hi:[0,0,1]
	v_mov_b32_e32 v41, v99
	s_delay_alu instid0(VALU_DEP_1)
	v_pk_add_f32 v[38:39], v[38:39], v[40:41] neg_lo:[0,1] neg_hi:[0,1]
.LBB54_219:                             ;   in Loop: Header=BB54_3 Depth=1
	s_or_b32 exec_lo, exec_lo, s49
	s_barrier_signal -1
	s_barrier_wait -1
	s_and_saveexec_b32 s49, s99
	s_cbranch_execz .LBB54_221
; %bb.220:                              ;   in Loop: Header=BB54_3 Depth=1
	ds_load_b64 v[40:41], v3 offset:25480
	s_wait_dscnt 0x0
	v_pk_mul_f32 v[94:95], v[38:39], v[40:41] op_sel:[1,1] op_sel_hi:[1,0]
	s_delay_alu instid0(VALU_DEP_1) | instskip(SKIP_1) | instid1(VALU_DEP_2)
	v_pk_fma_f32 v[96:97], v[38:39], v[40:41], v[94:95] op_sel_hi:[0,1,1]
	v_pk_fma_f32 v[38:39], v[38:39], v[40:41], v[94:95] neg_lo:[0,0,1] neg_hi:[0,0,1]
	v_mov_b32_e32 v39, v97
	s_delay_alu instid0(VALU_DEP_1)
	v_pk_add_f32 v[40:41], v[38:39], 0 neg_lo:[1,1] neg_hi:[1,1]
	ds_store_b64 v50, v[40:41]
.LBB54_221:                             ;   in Loop: Header=BB54_3 Depth=1
	s_or_b32 exec_lo, exec_lo, s49
	s_wait_dscnt 0x0
	;; [unrolled: 35-line block ×3, first 2 shown]
	s_barrier_signal -1
	s_barrier_wait -1
	s_barrier_signal -1
	s_barrier_wait -1
	s_and_saveexec_b32 s49, s2
; %bb.226:                              ;   in Loop: Header=BB54_3 Depth=1
	ds_store_b64 v55, v[38:39] offset:28544
; %bb.227:                              ;   in Loop: Header=BB54_3 Depth=1
	s_or_b32 exec_lo, exec_lo, s49
	s_wait_dscnt 0x0
	s_barrier_signal -1
	s_barrier_wait -1
	s_barrier_signal -1
	s_barrier_wait -1
	s_and_saveexec_b32 s49, s101
	s_cbranch_execz .LBB54_229
; %bb.228:                              ;   in Loop: Header=BB54_3 Depth=1
	ds_load_b64 v[38:39], v79 offset:27008
	s_wait_dscnt 0x0
	ds_store_b64 v82, v[38:39] offset:24992
	ds_load_b64 v[38:39], v79 offset:27016
	s_wait_dscnt 0x0
	ds_store_b64 v82, v[38:39] offset:25504
	;; [unrolled: 3-line block ×4, first 2 shown]
.LBB54_229:                             ;   in Loop: Header=BB54_3 Depth=1
	s_or_b32 exec_lo, exec_lo, s49
	s_wait_dscnt 0x0
	s_barrier_signal -1
	s_barrier_wait -1
	s_and_saveexec_b32 s49, s14
	s_cbranch_execz .LBB54_231
; %bb.230:                              ;   in Loop: Header=BB54_3 Depth=1
	v_add_nc_u32_e64 v2, 0x190, 0
	ds_load_b64 v[94:95], v3 offset:26520
	ds_load_2addr_stride64_b64 v[38:41], v2 offset0:50 offset1:51
	s_wait_dscnt 0x0
	v_dual_mul_f32 v42, v95, v39 :: v_dual_mul_f32 v2, v94, v39
	s_delay_alu instid0(VALU_DEP_1) | instskip(NEXT) | instid1(VALU_DEP_2)
	v_xor_b32_e32 v42, 0x80000000, v42
	v_fmac_f32_e32 v2, v95, v38
	s_delay_alu instid0(VALU_DEP_2) | instskip(NEXT) | instid1(VALU_DEP_2)
	v_fmac_f32_e32 v42, v94, v38
	v_pk_mul_f32 v[38:39], v[2:3], v[40:41] op_sel:[0,1] op_sel_hi:[0,0]
	v_add_nc_u32_e64 v2, 0x6000, 0
	s_delay_alu instid0(VALU_DEP_2) | instskip(SKIP_1) | instid1(VALU_DEP_2)
	v_pk_fma_f32 v[94:95], v[42:43], v[40:41], v[38:39] op_sel_hi:[0,1,1]
	v_pk_fma_f32 v[38:39], v[42:43], v[40:41], v[38:39] neg_lo:[0,0,1] neg_hi:[0,0,1]
	v_mov_b32_e32 v39, v95
	ds_store_2addr_b64 v2, v[38:39], v[38:39] offset0:179 offset1:242
.LBB54_231:                             ;   in Loop: Header=BB54_3 Depth=1
	s_or_b32 exec_lo, exec_lo, s49
	v_dual_mov_b32 v38, 0 :: v_dual_mov_b32 v39, 0
	s_wait_dscnt 0x0
	s_barrier_signal -1
	s_barrier_wait -1
	global_wb scope:SCOPE_DEV
	s_wait_storecnt 0x0
	global_inv scope:SCOPE_DEV
	s_and_saveexec_b32 s65, s0
	s_cbranch_execz .LBB54_235
; %bb.232:                              ;   in Loop: Header=BB54_3 Depth=1
	ds_load_b64 v[38:39], v45 offset:25984
	ds_load_b64 v[40:41], v46 offset:26512
	s_wait_dscnt 0x0
	v_pk_mul_f32 v[94:95], v[40:41], v[38:39] op_sel:[1,1] op_sel_hi:[0,1]
	s_delay_alu instid0(VALU_DEP_1) | instskip(SKIP_1) | instid1(VALU_DEP_2)
	v_pk_fma_f32 v[96:97], v[40:41], v[38:39], v[94:95] op_sel_hi:[1,0,1]
	v_pk_fma_f32 v[38:39], v[40:41], v[38:39], v[94:95] neg_lo:[0,0,1] neg_hi:[0,0,1]
	v_mov_b32_e32 v39, v97
	s_delay_alu instid0(VALU_DEP_1)
	v_pk_add_f32 v[38:39], v[38:39], 0 op_sel_hi:[1,0]
	s_and_saveexec_b32 s49, s15
	s_cbranch_execz .LBB54_234
; %bb.233:                              ;   in Loop: Header=BB54_3 Depth=1
	ds_load_b64 v[40:41], v82 offset:26496
	ds_load_b64 v[94:95], v3 offset:26520
	s_wait_dscnt 0x0
	v_pk_mul_f32 v[96:97], v[94:95], v[40:41] op_sel:[1,1] op_sel_hi:[0,1]
	s_delay_alu instid0(VALU_DEP_1) | instskip(SKIP_1) | instid1(VALU_DEP_2)
	v_pk_fma_f32 v[98:99], v[94:95], v[40:41], v[96:97] op_sel_hi:[1,0,1]
	v_pk_fma_f32 v[40:41], v[94:95], v[40:41], v[96:97] neg_lo:[0,0,1] neg_hi:[0,0,1]
	v_mov_b32_e32 v41, v99
	s_delay_alu instid0(VALU_DEP_1)
	v_pk_add_f32 v[38:39], v[38:39], v[40:41]
.LBB54_234:                             ;   in Loop: Header=BB54_3 Depth=1
	s_or_b32 exec_lo, exec_lo, s49
.LBB54_235:                             ;   in Loop: Header=BB54_3 Depth=1
	s_delay_alu instid0(SALU_CYCLE_1)
	s_or_b32 exec_lo, exec_lo, s65
	s_and_saveexec_b32 s49, s92
	s_cbranch_execz .LBB54_237
; %bb.236:                              ;   in Loop: Header=BB54_3 Depth=1
	ds_load_b64 v[40:41], v3 offset:25480
	s_wait_dscnt 0x0
	v_pk_mul_f32 v[94:95], v[38:39], v[40:41] op_sel:[1,1] op_sel_hi:[1,0]
	s_delay_alu instid0(VALU_DEP_1) | instskip(SKIP_1) | instid1(VALU_DEP_2)
	v_pk_fma_f32 v[96:97], v[38:39], v[40:41], v[94:95] op_sel_hi:[0,1,1]
	v_pk_fma_f32 v[38:39], v[38:39], v[40:41], v[94:95] neg_lo:[0,0,1] neg_hi:[0,0,1]
	v_mov_b32_e32 v39, v97
	s_delay_alu instid0(VALU_DEP_1)
	v_pk_add_f32 v[40:41], v[38:39], 0 neg_lo:[1,1] neg_hi:[1,1]
	ds_store_b64 v5, v[40:41]
.LBB54_237:                             ;   in Loop: Header=BB54_3 Depth=1
	s_or_b32 exec_lo, exec_lo, s49
	s_wait_loadcnt_dscnt 0x0
	s_barrier_signal -1
	s_barrier_wait -1
	s_and_saveexec_b32 s49, s93
	s_cbranch_execz .LBB54_239
; %bb.238:                              ;   in Loop: Header=BB54_3 Depth=1
	ds_load_b64 v[40:41], v3 offset:25472
	ds_load_b64 v[94:95], v5
	s_wait_dscnt 0x0
	v_pk_mul_f32 v[96:97], v[94:95], v[40:41] op_sel:[1,1] op_sel_hi:[0,1]
	s_delay_alu instid0(VALU_DEP_1) | instskip(SKIP_1) | instid1(VALU_DEP_2)
	v_pk_fma_f32 v[98:99], v[94:95], v[40:41], v[96:97] op_sel_hi:[1,0,1]
	v_pk_fma_f32 v[40:41], v[94:95], v[40:41], v[96:97] neg_lo:[0,0,1] neg_hi:[0,0,1]
	v_mov_b32_e32 v41, v99
	s_delay_alu instid0(VALU_DEP_1)
	v_pk_add_f32 v[38:39], v[38:39], v[40:41] neg_lo:[0,1] neg_hi:[0,1]
.LBB54_239:                             ;   in Loop: Header=BB54_3 Depth=1
	s_or_b32 exec_lo, exec_lo, s49
	s_barrier_signal -1
	s_barrier_wait -1
	s_and_saveexec_b32 s49, s93
	s_cbranch_execz .LBB54_241
; %bb.240:                              ;   in Loop: Header=BB54_3 Depth=1
	ds_load_b64 v[40:41], v3 offset:24960
	s_wait_dscnt 0x0
	v_pk_mul_f32 v[94:95], v[38:39], v[40:41] op_sel:[1,1] op_sel_hi:[1,0]
	s_delay_alu instid0(VALU_DEP_1) | instskip(SKIP_1) | instid1(VALU_DEP_2)
	v_pk_fma_f32 v[96:97], v[38:39], v[40:41], v[94:95] op_sel_hi:[0,1,1]
	v_pk_fma_f32 v[38:39], v[38:39], v[40:41], v[94:95] neg_lo:[0,0,1] neg_hi:[0,0,1]
	v_mov_b32_e32 v39, v97
	s_delay_alu instid0(VALU_DEP_1)
	v_pk_add_f32 v[40:41], v[38:39], 0 neg_lo:[1,1] neg_hi:[1,1]
	ds_store_b64 v5, v[40:41]
.LBB54_241:                             ;   in Loop: Header=BB54_3 Depth=1
	s_or_b32 exec_lo, exec_lo, s49
	s_wait_dscnt 0x0
	s_barrier_signal -1
	s_barrier_wait -1
	s_barrier_signal -1
	s_barrier_wait -1
	s_and_saveexec_b32 s49, s0
; %bb.242:                              ;   in Loop: Header=BB54_3 Depth=1
	ds_store_b64 v48, v[38:39] offset:26496
; %bb.243:                              ;   in Loop: Header=BB54_3 Depth=1
	s_or_b32 exec_lo, exec_lo, s49
	s_wait_dscnt 0x0
	s_barrier_signal -1
	s_barrier_wait -1
	s_barrier_signal -1
	s_barrier_wait -1
	s_and_saveexec_b32 s49, s94
	s_cbranch_execz .LBB54_245
; %bb.244:                              ;   in Loop: Header=BB54_3 Depth=1
	ds_load_b64 v[38:39], v83 offset:25984
	s_wait_dscnt 0x0
	ds_store_b64 v82, v[38:39] offset:24976
	ds_load_b64 v[38:39], v83 offset:25992
	s_wait_dscnt 0x0
	ds_store_b64 v82, v[38:39] offset:25488
.LBB54_245:                             ;   in Loop: Header=BB54_3 Depth=1
	s_or_b32 exec_lo, exec_lo, s49
	s_wait_dscnt 0x0
	s_barrier_signal -1
	s_barrier_wait -1
	s_and_saveexec_b32 s49, s14
	s_cbranch_execz .LBB54_247
; %bb.246:                              ;   in Loop: Header=BB54_3 Depth=1
	v_add_nc_u32_e64 v2, 0x180, 0
	ds_load_b64 v[94:95], v3 offset:25480
	ds_load_2addr_stride64_b64 v[38:41], v2 offset0:48 offset1:49
	s_wait_dscnt 0x0
	v_dual_mul_f32 v42, v95, v39 :: v_dual_mul_f32 v2, v94, v39
	s_delay_alu instid0(VALU_DEP_1) | instskip(NEXT) | instid1(VALU_DEP_2)
	v_xor_b32_e32 v42, 0x80000000, v42
	v_fmac_f32_e32 v2, v95, v38
	s_delay_alu instid0(VALU_DEP_2) | instskip(NEXT) | instid1(VALU_DEP_2)
	v_fmac_f32_e32 v42, v94, v38
	v_pk_mul_f32 v[38:39], v[2:3], v[40:41] op_sel:[0,1] op_sel_hi:[0,0]
	v_add_nc_u32_e64 v2, 0x6000, 0
	s_delay_alu instid0(VALU_DEP_2) | instskip(SKIP_1) | instid1(VALU_DEP_2)
	v_pk_fma_f32 v[94:95], v[42:43], v[40:41], v[38:39] op_sel_hi:[0,1,1]
	v_pk_fma_f32 v[38:39], v[42:43], v[40:41], v[38:39] neg_lo:[0,0,1] neg_hi:[0,0,1]
	v_mov_b32_e32 v39, v95
	ds_store_2addr_b64 v2, v[38:39], v[38:39] offset0:49 offset1:112
.LBB54_247:                             ;   in Loop: Header=BB54_3 Depth=1
	s_or_b32 exec_lo, exec_lo, s49
	v_mov_b64_e32 v[38:39], 0
	s_wait_dscnt 0x0
	s_barrier_signal -1
	s_barrier_wait -1
	global_wb scope:SCOPE_DEV
	s_wait_storecnt 0x0
	global_inv scope:SCOPE_DEV
	s_and_saveexec_b32 s65, s4
	s_cbranch_execz .LBB54_275
; %bb.248:                              ;   in Loop: Header=BB54_3 Depth=1
	ds_load_b64 v[38:39], v61 offset:24832
	ds_load_b64 v[40:41], v62 offset:32640
	v_readlane_b32 s50, v107, 26
	s_wait_dscnt 0x0
	v_dual_mul_f32 v2, v41, v39 :: v_dual_mul_f32 v39, v40, v39
	s_delay_alu instid0(VALU_DEP_1) | instskip(NEXT) | instid1(VALU_DEP_1)
	v_dual_fma_f32 v2, v40, v38, -v2 :: v_dual_fmac_f32 v39, v41, v38
	v_dual_add_f32 v38, 0, v2 :: v_dual_add_f32 v39, 0, v39
	s_and_saveexec_b32 s49, s50
	s_cbranch_execz .LBB54_250
; %bb.249:                              ;   in Loop: Header=BB54_3 Depth=1
	ds_load_b64 v[40:41], v61 offset:25344
	ds_load_b64 v[94:95], v62 offset:32648
	s_wait_dscnt 0x0
	v_dual_mul_f32 v2, v95, v41 :: v_dual_mul_f32 v41, v94, v41
	s_delay_alu instid0(VALU_DEP_1) | instskip(NEXT) | instid1(VALU_DEP_1)
	v_dual_fma_f32 v2, v94, v40, -v2 :: v_dual_fmac_f32 v41, v95, v40
	v_dual_add_f32 v38, v38, v2 :: v_dual_add_f32 v39, v39, v41
.LBB54_250:                             ;   in Loop: Header=BB54_3 Depth=1
	s_or_b32 exec_lo, exec_lo, s49
	v_readlane_b32 s50, v107, 27
	s_and_saveexec_b32 s49, s50
	s_cbranch_execz .LBB54_252
; %bb.251:                              ;   in Loop: Header=BB54_3 Depth=1
	ds_load_b64 v[40:41], v61 offset:25856
	ds_load_b64 v[94:95], v62 offset:32656
	s_wait_dscnt 0x0
	v_dual_mul_f32 v2, v95, v41 :: v_dual_mul_f32 v41, v94, v41
	s_delay_alu instid0(VALU_DEP_1) | instskip(NEXT) | instid1(VALU_DEP_1)
	v_dual_fma_f32 v2, v94, v40, -v2 :: v_dual_fmac_f32 v41, v95, v40
	v_dual_add_f32 v38, v38, v2 :: v_dual_add_f32 v39, v39, v41
.LBB54_252:                             ;   in Loop: Header=BB54_3 Depth=1
	s_or_b32 exec_lo, exec_lo, s49
	v_readlane_b32 s50, v107, 28
	;; [unrolled: 13-line block ×10, first 2 shown]
	s_and_saveexec_b32 s49, s50
	s_cbranch_execnz .LBB54_1134
; %bb.269:                              ;   in Loop: Header=BB54_3 Depth=1
	s_or_b32 exec_lo, exec_lo, s49
	s_and_saveexec_b32 s49, s3
	s_cbranch_execnz .LBB54_1135
.LBB54_270:                             ;   in Loop: Header=BB54_3 Depth=1
	s_or_b32 exec_lo, exec_lo, s49
	s_and_saveexec_b32 s49, s19
	s_cbranch_execnz .LBB54_1136
.LBB54_271:                             ;   in Loop: Header=BB54_3 Depth=1
	s_or_b32 exec_lo, exec_lo, s49
	s_and_saveexec_b32 s49, s21
	s_cbranch_execnz .LBB54_1137
.LBB54_272:                             ;   in Loop: Header=BB54_3 Depth=1
	s_or_b32 exec_lo, exec_lo, s49
	s_and_saveexec_b32 s49, s2
	s_cbranch_execz .LBB54_274
.LBB54_273:                             ;   in Loop: Header=BB54_3 Depth=1
	ds_load_b64 v[40:41], v47 offset:32512
	ds_load_b64 v[94:95], v3 offset:32760
	s_wait_dscnt 0x0
	v_dual_mul_f32 v2, v95, v41 :: v_dual_mul_f32 v97, v94, v41
	s_delay_alu instid0(VALU_DEP_1) | instskip(NEXT) | instid1(VALU_DEP_1)
	v_dual_fma_f32 v96, v94, v40, -v2 :: v_dual_fmac_f32 v97, v95, v40
	v_pk_add_f32 v[38:39], v[38:39], v[96:97]
.LBB54_274:                             ;   in Loop: Header=BB54_3 Depth=1
	s_or_b32 exec_lo, exec_lo, s49
.LBB54_275:                             ;   in Loop: Header=BB54_3 Depth=1
	s_delay_alu instid0(SALU_CYCLE_1)
	s_or_b32 exec_lo, exec_lo, s65
	v_readlane_b32 s50, v107, 5
	s_and_saveexec_b32 s49, s50
	s_cbranch_execz .LBB54_277
; %bb.276:                              ;   in Loop: Header=BB54_3 Depth=1
	ds_load_b64 v[40:41], v3 offset:24440
	s_wait_dscnt 0x0
	v_pk_mul_f32 v[94:95], v[38:39], v[40:41] op_sel:[1,1] op_sel_hi:[1,0]
	s_delay_alu instid0(VALU_DEP_1) | instskip(SKIP_1) | instid1(VALU_DEP_2)
	v_pk_fma_f32 v[96:97], v[38:39], v[40:41], v[94:95] op_sel_hi:[0,1,1]
	v_pk_fma_f32 v[38:39], v[38:39], v[40:41], v[94:95] neg_lo:[0,0,1] neg_hi:[0,0,1]
	v_mov_b32_e32 v39, v97
	s_delay_alu instid0(VALU_DEP_1)
	v_pk_add_f32 v[40:41], v[38:39], 0 neg_lo:[1,1] neg_hi:[1,1]
	ds_store_b64 v60, v[40:41]
.LBB54_277:                             ;   in Loop: Header=BB54_3 Depth=1
	s_or_b32 exec_lo, exec_lo, s49
	v_readlane_b32 s50, v107, 6
	s_wait_loadcnt_dscnt 0x0
	s_barrier_signal -1
	s_barrier_wait -1
	s_and_saveexec_b32 s49, s50
	s_cbranch_execz .LBB54_279
; %bb.278:                              ;   in Loop: Header=BB54_3 Depth=1
	ds_load_b64 v[40:41], v61 offset:24320
	ds_load_b64 v[94:95], v60
	s_wait_dscnt 0x0
	v_pk_mul_f32 v[96:97], v[94:95], v[40:41] op_sel:[1,1] op_sel_hi:[0,1]
	s_delay_alu instid0(VALU_DEP_1) | instskip(SKIP_1) | instid1(VALU_DEP_2)
	v_pk_fma_f32 v[98:99], v[94:95], v[40:41], v[96:97] op_sel_hi:[1,0,1]
	v_pk_fma_f32 v[40:41], v[94:95], v[40:41], v[96:97] neg_lo:[0,0,1] neg_hi:[0,0,1]
	v_mov_b32_e32 v41, v99
	s_delay_alu instid0(VALU_DEP_1)
	v_pk_add_f32 v[38:39], v[38:39], v[40:41] neg_lo:[0,1] neg_hi:[0,1]
.LBB54_279:                             ;   in Loop: Header=BB54_3 Depth=1
	s_or_b32 exec_lo, exec_lo, s49
	v_readlane_b32 s50, v107, 7
	s_barrier_signal -1
	s_barrier_wait -1
	s_and_saveexec_b32 s49, s50
	s_cbranch_execz .LBB54_281
; %bb.280:                              ;   in Loop: Header=BB54_3 Depth=1
	ds_load_b64 v[40:41], v3 offset:23920
	s_wait_dscnt 0x0
	v_pk_mul_f32 v[94:95], v[38:39], v[40:41] op_sel:[1,1] op_sel_hi:[1,0]
	s_delay_alu instid0(VALU_DEP_1) | instskip(SKIP_1) | instid1(VALU_DEP_2)
	v_pk_fma_f32 v[96:97], v[38:39], v[40:41], v[94:95] op_sel_hi:[0,1,1]
	v_pk_fma_f32 v[38:39], v[38:39], v[40:41], v[94:95] neg_lo:[0,0,1] neg_hi:[0,0,1]
	v_mov_b32_e32 v39, v97
	s_delay_alu instid0(VALU_DEP_1)
	v_pk_add_f32 v[40:41], v[38:39], 0 neg_lo:[1,1] neg_hi:[1,1]
	ds_store_b64 v60, v[40:41]
.LBB54_281:                             ;   in Loop: Header=BB54_3 Depth=1
	s_or_b32 exec_lo, exec_lo, s49
	s_wait_dscnt 0x0
	s_barrier_signal -1
	s_barrier_wait -1
	s_and_saveexec_b32 s49, s52
	s_cbranch_execz .LBB54_283
; %bb.282:                              ;   in Loop: Header=BB54_3 Depth=1
	ds_load_b64 v[40:41], v61 offset:23808
	ds_load_b64 v[94:95], v60
	s_wait_dscnt 0x0
	v_pk_mul_f32 v[96:97], v[94:95], v[40:41] op_sel:[1,1] op_sel_hi:[0,1]
	s_delay_alu instid0(VALU_DEP_1) | instskip(SKIP_1) | instid1(VALU_DEP_2)
	v_pk_fma_f32 v[98:99], v[94:95], v[40:41], v[96:97] op_sel_hi:[1,0,1]
	v_pk_fma_f32 v[40:41], v[94:95], v[40:41], v[96:97] neg_lo:[0,0,1] neg_hi:[0,0,1]
	v_mov_b32_e32 v41, v99
	s_delay_alu instid0(VALU_DEP_1)
	v_pk_add_f32 v[38:39], v[38:39], v[40:41] neg_lo:[0,1] neg_hi:[0,1]
.LBB54_283:                             ;   in Loop: Header=BB54_3 Depth=1
	s_or_b32 exec_lo, exec_lo, s49
	s_barrier_signal -1
	s_barrier_wait -1
	s_and_saveexec_b32 s49, s53
	s_cbranch_execz .LBB54_285
; %bb.284:                              ;   in Loop: Header=BB54_3 Depth=1
	ds_load_b64 v[40:41], v3 offset:23400
	s_wait_dscnt 0x0
	v_pk_mul_f32 v[94:95], v[38:39], v[40:41] op_sel:[1,1] op_sel_hi:[1,0]
	s_delay_alu instid0(VALU_DEP_1) | instskip(SKIP_1) | instid1(VALU_DEP_2)
	v_pk_fma_f32 v[96:97], v[38:39], v[40:41], v[94:95] op_sel_hi:[0,1,1]
	v_pk_fma_f32 v[38:39], v[38:39], v[40:41], v[94:95] neg_lo:[0,0,1] neg_hi:[0,0,1]
	v_mov_b32_e32 v39, v97
	s_delay_alu instid0(VALU_DEP_1)
	v_pk_add_f32 v[40:41], v[38:39], 0 neg_lo:[1,1] neg_hi:[1,1]
	ds_store_b64 v60, v[40:41]
.LBB54_285:                             ;   in Loop: Header=BB54_3 Depth=1
	s_or_b32 exec_lo, exec_lo, s49
	s_wait_dscnt 0x0
	s_barrier_signal -1
	s_barrier_wait -1
	s_and_saveexec_b32 s49, s54
	s_cbranch_execz .LBB54_287
; %bb.286:                              ;   in Loop: Header=BB54_3 Depth=1
	ds_load_b64 v[40:41], v61 offset:23296
	ds_load_b64 v[94:95], v60
	s_wait_dscnt 0x0
	v_pk_mul_f32 v[96:97], v[94:95], v[40:41] op_sel:[1,1] op_sel_hi:[0,1]
	s_delay_alu instid0(VALU_DEP_1) | instskip(SKIP_1) | instid1(VALU_DEP_2)
	v_pk_fma_f32 v[98:99], v[94:95], v[40:41], v[96:97] op_sel_hi:[1,0,1]
	v_pk_fma_f32 v[40:41], v[94:95], v[40:41], v[96:97] neg_lo:[0,0,1] neg_hi:[0,0,1]
	v_mov_b32_e32 v41, v99
	s_delay_alu instid0(VALU_DEP_1)
	v_pk_add_f32 v[38:39], v[38:39], v[40:41] neg_lo:[0,1] neg_hi:[0,1]
.LBB54_287:                             ;   in Loop: Header=BB54_3 Depth=1
	s_or_b32 exec_lo, exec_lo, s49
	s_delay_alu instid0(VALU_DEP_1)
	v_dual_mov_b32 v40, v39 :: v_dual_mov_b32 v41, v38
	s_barrier_signal -1
	s_barrier_wait -1
	s_and_saveexec_b32 s49, s55
	s_cbranch_execz .LBB54_289
; %bb.288:                              ;   in Loop: Header=BB54_3 Depth=1
	ds_load_b64 v[94:95], v3 offset:22880
	s_wait_dscnt 0x0
	v_dual_mul_f32 v2, v41, v95 :: v_dual_mul_f32 v42, v39, v95
	s_delay_alu instid0(VALU_DEP_1) | instskip(NEXT) | instid1(VALU_DEP_2)
	v_pk_fma_f32 v[40:41], v[40:41], v[94:95], v[2:3] op_sel_hi:[1,1,0]
	v_pk_fma_f32 v[38:39], v[38:39], v[94:95], v[42:43] op_sel_hi:[1,1,0] neg_lo:[0,0,1] neg_hi:[0,0,1]
	s_delay_alu instid0(VALU_DEP_1) | instskip(NEXT) | instid1(VALU_DEP_1)
	v_dual_mov_b32 v39, v40 :: v_dual_mov_b32 v41, v38
	v_pk_add_f32 v[94:95], v[38:39], 0 neg_lo:[1,1] neg_hi:[1,1]
	ds_store_b64 v60, v[94:95]
.LBB54_289:                             ;   in Loop: Header=BB54_3 Depth=1
	s_or_b32 exec_lo, exec_lo, s49
	s_wait_dscnt 0x0
	s_barrier_signal -1
	s_barrier_wait -1
	s_and_saveexec_b32 s49, s56
	s_cbranch_execz .LBB54_291
; %bb.290:                              ;   in Loop: Header=BB54_3 Depth=1
	ds_load_b64 v[38:39], v61 offset:22784
	ds_load_b64 v[94:95], v60
	s_wait_dscnt 0x0
	v_dual_mul_f32 v2, v95, v39 :: v_dual_mul_f32 v96, v94, v39
	s_delay_alu instid0(VALU_DEP_1) | instskip(NEXT) | instid1(VALU_DEP_1)
	v_dual_fma_f32 v97, v94, v38, -v2 :: v_dual_fmac_f32 v96, v95, v38
	v_pk_add_f32 v[40:41], v[40:41], v[96:97] neg_lo:[0,1] neg_hi:[0,1]
.LBB54_291:                             ;   in Loop: Header=BB54_3 Depth=1
	s_or_b32 exec_lo, exec_lo, s49
	s_barrier_signal -1
	s_barrier_wait -1
	s_and_saveexec_b32 s49, s57
	s_cbranch_execz .LBB54_293
; %bb.292:                              ;   in Loop: Header=BB54_3 Depth=1
	ds_load_b64 v[38:39], v3 offset:22360
	s_wait_dscnt 0x0
	v_pk_mul_f32 v[94:95], v[40:41], v[38:39] op_sel_hi:[0,1]
	s_delay_alu instid0(VALU_DEP_1) | instskip(SKIP_1) | instid1(VALU_DEP_2)
	v_pk_fma_f32 v[96:97], v[40:41], v[38:39], v[94:95] op_sel:[1,1,0] op_sel_hi:[1,0,1] neg_lo:[0,0,1] neg_hi:[0,0,1]
	v_pk_fma_f32 v[40:41], v[40:41], v[38:39], v[94:95] op_sel:[1,1,0] op_sel_hi:[1,0,1]
	v_mov_b32_e32 v41, v97
	s_delay_alu instid0(VALU_DEP_2)
	v_xor_b32_e32 v39, 0x80000000, v40
	v_xor_b32_e32 v38, 0x80000000, v97
	ds_store_b64 v60, v[38:39]
.LBB54_293:                             ;   in Loop: Header=BB54_3 Depth=1
	s_or_b32 exec_lo, exec_lo, s49
	s_wait_dscnt 0x0
	s_barrier_signal -1
	s_barrier_wait -1
	s_and_saveexec_b32 s49, s58
	s_cbranch_execz .LBB54_295
; %bb.294:                              ;   in Loop: Header=BB54_3 Depth=1
	ds_load_b64 v[38:39], v61 offset:22272
	ds_load_b64 v[94:95], v60
	s_wait_dscnt 0x0
	v_pk_mul_f32 v[96:97], v[94:95], v[38:39] op_sel:[0,1]
	s_delay_alu instid0(VALU_DEP_1) | instskip(SKIP_1) | instid1(VALU_DEP_2)
	v_pk_fma_f32 v[98:99], v[94:95], v[38:39], v[96:97] op_sel:[1,0,0] op_sel_hi:[0,0,1] neg_lo:[0,0,1] neg_hi:[0,0,1]
	v_pk_fma_f32 v[38:39], v[94:95], v[38:39], v[96:97] op_sel:[1,0,0] op_sel_hi:[0,1,1]
	v_mov_b32_e32 v39, v99
	s_delay_alu instid0(VALU_DEP_1)
	v_pk_add_f32 v[40:41], v[40:41], v[38:39] neg_lo:[0,1] neg_hi:[0,1]
.LBB54_295:                             ;   in Loop: Header=BB54_3 Depth=1
	s_or_b32 exec_lo, exec_lo, s49
	s_barrier_signal -1
	s_barrier_wait -1
	s_and_saveexec_b32 s49, s59
	s_cbranch_execz .LBB54_297
; %bb.296:                              ;   in Loop: Header=BB54_3 Depth=1
	ds_load_b64 v[38:39], v3 offset:21840
	s_wait_dscnt 0x0
	v_pk_mul_f32 v[94:95], v[40:41], v[38:39] op_sel_hi:[0,1]
	s_delay_alu instid0(VALU_DEP_1) | instskip(SKIP_1) | instid1(VALU_DEP_2)
	v_pk_fma_f32 v[96:97], v[40:41], v[38:39], v[94:95] op_sel:[1,1,0] op_sel_hi:[1,0,1] neg_lo:[0,0,1] neg_hi:[0,0,1]
	v_pk_fma_f32 v[40:41], v[40:41], v[38:39], v[94:95] op_sel:[1,1,0] op_sel_hi:[1,0,1]
	v_mov_b32_e32 v41, v97
	s_delay_alu instid0(VALU_DEP_2)
	v_xor_b32_e32 v39, 0x80000000, v40
	v_xor_b32_e32 v38, 0x80000000, v97
	ds_store_b64 v60, v[38:39]
.LBB54_297:                             ;   in Loop: Header=BB54_3 Depth=1
	s_or_b32 exec_lo, exec_lo, s49
	s_wait_dscnt 0x0
	s_barrier_signal -1
	s_barrier_wait -1
	s_and_saveexec_b32 s49, s60
	s_cbranch_execz .LBB54_299
; %bb.298:                              ;   in Loop: Header=BB54_3 Depth=1
	ds_load_b64 v[38:39], v61 offset:21760
	ds_load_b64 v[94:95], v60
	s_wait_dscnt 0x0
	v_pk_mul_f32 v[96:97], v[94:95], v[38:39] op_sel:[0,1]
	s_delay_alu instid0(VALU_DEP_1) | instskip(SKIP_1) | instid1(VALU_DEP_2)
	v_pk_fma_f32 v[98:99], v[94:95], v[38:39], v[96:97] op_sel:[1,0,0] op_sel_hi:[0,0,1] neg_lo:[0,0,1] neg_hi:[0,0,1]
	v_pk_fma_f32 v[38:39], v[94:95], v[38:39], v[96:97] op_sel:[1,0,0] op_sel_hi:[0,1,1]
	v_mov_b32_e32 v39, v99
	s_delay_alu instid0(VALU_DEP_1)
	v_pk_add_f32 v[40:41], v[40:41], v[38:39] neg_lo:[0,1] neg_hi:[0,1]
.LBB54_299:                             ;   in Loop: Header=BB54_3 Depth=1
	;; [unrolled: 36-line block ×3, first 2 shown]
	s_or_b32 exec_lo, exec_lo, s49
	s_delay_alu instid0(VALU_DEP_1)
	v_dual_mov_b32 v38, v41 :: v_dual_mov_b32 v39, v40
	s_barrier_signal -1
	s_barrier_wait -1
	s_and_saveexec_b32 s49, s63
	s_cbranch_execz .LBB54_305
; %bb.304:                              ;   in Loop: Header=BB54_3 Depth=1
	ds_load_b64 v[94:95], v3 offset:20800
	s_wait_dscnt 0x0
	v_dual_mul_f32 v2, v40, v94 :: v_dual_mul_f32 v42, v39, v95
	s_delay_alu instid0(VALU_DEP_1) | instskip(NEXT) | instid1(VALU_DEP_2)
	v_pk_fma_f32 v[40:41], v[40:41], v[94:95], v[2:3] op_sel_hi:[1,1,0]
	v_pk_fma_f32 v[38:39], v[38:39], v[94:95], v[42:43] op_sel_hi:[1,1,0] neg_lo:[0,0,1] neg_hi:[0,0,1]
	s_delay_alu instid0(VALU_DEP_2) | instskip(NEXT) | instid1(VALU_DEP_1)
	v_mov_b32_e32 v39, v41
	v_pk_add_f32 v[40:41], v[38:39], 0 neg_lo:[1,1] neg_hi:[1,1]
	ds_store_b64 v60, v[40:41]
.LBB54_305:                             ;   in Loop: Header=BB54_3 Depth=1
	s_or_b32 exec_lo, exec_lo, s49
	s_wait_dscnt 0x0
	s_barrier_signal -1
	s_barrier_wait -1
	s_and_saveexec_b32 s49, s12
	s_cbranch_execz .LBB54_307
; %bb.306:                              ;   in Loop: Header=BB54_3 Depth=1
	ds_load_b64 v[40:41], v61 offset:20736
	ds_load_b64 v[94:95], v60
	s_wait_dscnt 0x0
	v_dual_mul_f32 v2, v95, v41 :: v_dual_mul_f32 v97, v94, v41
	s_delay_alu instid0(VALU_DEP_1) | instskip(NEXT) | instid1(VALU_DEP_1)
	v_dual_fma_f32 v96, v94, v40, -v2 :: v_dual_fmac_f32 v97, v95, v40
	v_pk_add_f32 v[38:39], v[38:39], v[96:97] neg_lo:[0,1] neg_hi:[0,1]
.LBB54_307:                             ;   in Loop: Header=BB54_3 Depth=1
	s_or_b32 exec_lo, exec_lo, s49
	s_barrier_signal -1
	s_barrier_wait -1
	s_and_saveexec_b32 s49, s13
	s_cbranch_execz .LBB54_309
; %bb.308:                              ;   in Loop: Header=BB54_3 Depth=1
	ds_load_b64 v[40:41], v3 offset:20280
	s_wait_dscnt 0x0
	v_pk_mul_f32 v[94:95], v[38:39], v[40:41] op_sel:[1,1] op_sel_hi:[1,0]
	s_delay_alu instid0(VALU_DEP_1) | instskip(SKIP_1) | instid1(VALU_DEP_2)
	v_pk_fma_f32 v[96:97], v[38:39], v[40:41], v[94:95] op_sel_hi:[0,1,1]
	v_pk_fma_f32 v[38:39], v[38:39], v[40:41], v[94:95] neg_lo:[0,0,1] neg_hi:[0,0,1]
	v_mov_b32_e32 v39, v97
	s_delay_alu instid0(VALU_DEP_1)
	v_pk_add_f32 v[40:41], v[38:39], 0 neg_lo:[1,1] neg_hi:[1,1]
	ds_store_b64 v60, v[40:41]
.LBB54_309:                             ;   in Loop: Header=BB54_3 Depth=1
	s_or_b32 exec_lo, exec_lo, s49
	s_wait_dscnt 0x0
	s_barrier_signal -1
	s_barrier_wait -1
	s_and_saveexec_b32 s49, s23
	s_cbranch_execz .LBB54_311
; %bb.310:                              ;   in Loop: Header=BB54_3 Depth=1
	ds_load_b64 v[40:41], v61 offset:20224
	ds_load_b64 v[94:95], v60
	s_wait_dscnt 0x0
	v_pk_mul_f32 v[96:97], v[94:95], v[40:41] op_sel:[1,1] op_sel_hi:[0,1]
	s_delay_alu instid0(VALU_DEP_1) | instskip(SKIP_1) | instid1(VALU_DEP_2)
	v_pk_fma_f32 v[98:99], v[94:95], v[40:41], v[96:97] op_sel_hi:[1,0,1]
	v_pk_fma_f32 v[40:41], v[94:95], v[40:41], v[96:97] neg_lo:[0,0,1] neg_hi:[0,0,1]
	v_mov_b32_e32 v41, v99
	s_delay_alu instid0(VALU_DEP_1)
	v_pk_add_f32 v[38:39], v[38:39], v[40:41] neg_lo:[0,1] neg_hi:[0,1]
.LBB54_311:                             ;   in Loop: Header=BB54_3 Depth=1
	s_or_b32 exec_lo, exec_lo, s49
	s_barrier_signal -1
	s_barrier_wait -1
	s_and_saveexec_b32 s49, s25
	s_cbranch_execz .LBB54_313
; %bb.312:                              ;   in Loop: Header=BB54_3 Depth=1
	ds_load_b64 v[40:41], v3 offset:19760
	s_wait_dscnt 0x0
	v_pk_mul_f32 v[94:95], v[38:39], v[40:41] op_sel:[1,1] op_sel_hi:[1,0]
	s_delay_alu instid0(VALU_DEP_1) | instskip(SKIP_1) | instid1(VALU_DEP_2)
	v_pk_fma_f32 v[96:97], v[38:39], v[40:41], v[94:95] op_sel_hi:[0,1,1]
	v_pk_fma_f32 v[38:39], v[38:39], v[40:41], v[94:95] neg_lo:[0,0,1] neg_hi:[0,0,1]
	v_mov_b32_e32 v39, v97
	s_delay_alu instid0(VALU_DEP_1)
	v_pk_add_f32 v[40:41], v[38:39], 0 neg_lo:[1,1] neg_hi:[1,1]
	ds_store_b64 v60, v[40:41]
.LBB54_313:                             ;   in Loop: Header=BB54_3 Depth=1
	s_or_b32 exec_lo, exec_lo, s49
	s_wait_dscnt 0x0
	s_barrier_signal -1
	s_barrier_wait -1
	s_and_saveexec_b32 s49, s27
	s_cbranch_execz .LBB54_315
; %bb.314:                              ;   in Loop: Header=BB54_3 Depth=1
	ds_load_b64 v[40:41], v61 offset:19712
	ds_load_b64 v[94:95], v60
	s_wait_dscnt 0x0
	v_pk_mul_f32 v[96:97], v[94:95], v[40:41] op_sel:[1,1] op_sel_hi:[0,1]
	s_delay_alu instid0(VALU_DEP_1) | instskip(SKIP_1) | instid1(VALU_DEP_2)
	v_pk_fma_f32 v[98:99], v[94:95], v[40:41], v[96:97] op_sel_hi:[1,0,1]
	v_pk_fma_f32 v[40:41], v[94:95], v[40:41], v[96:97] neg_lo:[0,0,1] neg_hi:[0,0,1]
	v_mov_b32_e32 v41, v99
	s_delay_alu instid0(VALU_DEP_1)
	v_pk_add_f32 v[38:39], v[38:39], v[40:41] neg_lo:[0,1] neg_hi:[0,1]
.LBB54_315:                             ;   in Loop: Header=BB54_3 Depth=1
	;; [unrolled: 35-line block ×3, first 2 shown]
	s_or_b32 exec_lo, exec_lo, s49
	s_barrier_signal -1
	s_barrier_wait -1
	s_and_saveexec_b32 s49, s34
	s_cbranch_execz .LBB54_321
; %bb.320:                              ;   in Loop: Header=BB54_3 Depth=1
	ds_load_b64 v[40:41], v3 offset:18720
	s_wait_dscnt 0x0
	v_pk_mul_f32 v[94:95], v[38:39], v[40:41]
	v_pk_mul_f32 v[38:39], v[38:39], v[40:41] op_sel:[1,0] op_sel_hi:[0,1]
	s_delay_alu instid0(VALU_DEP_1) | instskip(NEXT) | instid1(VALU_DEP_3)
	v_dual_mov_b32 v40, v94 :: v_dual_mov_b32 v41, v38
	v_mov_b32_e32 v38, v95
	s_delay_alu instid0(VALU_DEP_1) | instskip(SKIP_1) | instid1(VALU_DEP_2)
	v_pk_add_f32 v[94:95], v[40:41], v[38:39]
	v_pk_add_f32 v[38:39], v[40:41], v[38:39] neg_lo:[0,1] neg_hi:[0,1]
	v_mov_b32_e32 v39, v95
	s_delay_alu instid0(VALU_DEP_1)
	v_pk_add_f32 v[40:41], v[38:39], 0 neg_lo:[1,1] neg_hi:[1,1]
	ds_store_b64 v60, v[40:41]
.LBB54_321:                             ;   in Loop: Header=BB54_3 Depth=1
	s_or_b32 exec_lo, exec_lo, s49
	s_wait_dscnt 0x0
	s_barrier_signal -1
	s_barrier_wait -1
	s_and_saveexec_b32 s49, s24
	s_cbranch_execz .LBB54_323
; %bb.322:                              ;   in Loop: Header=BB54_3 Depth=1
	ds_load_b64 v[40:41], v61 offset:18688
	ds_load_b64 v[94:95], v60
	s_wait_dscnt 0x0
	v_dual_mul_f32 v2, v95, v41 :: v_dual_mul_f32 v41, v94, v41
	s_delay_alu instid0(VALU_DEP_1) | instskip(NEXT) | instid1(VALU_DEP_1)
	v_dual_fma_f32 v2, v94, v40, -v2 :: v_dual_fmac_f32 v41, v95, v40
	v_dual_sub_f32 v38, v38, v2 :: v_dual_sub_f32 v39, v39, v41
.LBB54_323:                             ;   in Loop: Header=BB54_3 Depth=1
	s_or_b32 exec_lo, exec_lo, s49
	s_barrier_signal -1
	s_barrier_wait -1
	s_and_saveexec_b32 s49, s26
	s_cbranch_execz .LBB54_325
; %bb.324:                              ;   in Loop: Header=BB54_3 Depth=1
	ds_load_b64 v[40:41], v3 offset:18200
	s_wait_dscnt 0x0
	v_dual_mul_f32 v2, v39, v40 :: v_dual_mul_f32 v42, v39, v41
	s_delay_alu instid0(VALU_DEP_1) | instskip(NEXT) | instid1(VALU_DEP_2)
	v_pk_fma_f32 v[94:95], v[38:39], v[40:41], v[2:3] op_sel:[1,0,0] op_sel_hi:[0,1,0]
	v_pk_fma_f32 v[38:39], v[38:39], v[40:41], v[42:43] op_sel_hi:[1,1,0] neg_lo:[0,0,1] neg_hi:[0,0,1]
	s_delay_alu instid0(VALU_DEP_2) | instskip(NEXT) | instid1(VALU_DEP_1)
	v_mov_b32_e32 v39, v95
	v_pk_add_f32 v[40:41], v[38:39], 0 neg_lo:[1,1] neg_hi:[1,1]
	ds_store_b64 v60, v[40:41]
.LBB54_325:                             ;   in Loop: Header=BB54_3 Depth=1
	s_or_b32 exec_lo, exec_lo, s49
	s_wait_dscnt 0x0
	s_barrier_signal -1
	s_barrier_wait -1
	s_and_saveexec_b32 s49, s28
	s_cbranch_execz .LBB54_327
; %bb.326:                              ;   in Loop: Header=BB54_3 Depth=1
	ds_load_b64 v[40:41], v61 offset:18176
	ds_load_b64 v[94:95], v60
	s_wait_dscnt 0x0
	v_pk_mul_f32 v[96:97], v[94:95], v[40:41] op_sel:[1,1] op_sel_hi:[0,1]
	s_delay_alu instid0(VALU_DEP_1) | instskip(SKIP_1) | instid1(VALU_DEP_2)
	v_pk_fma_f32 v[98:99], v[94:95], v[40:41], v[96:97] op_sel_hi:[1,0,1]
	v_pk_fma_f32 v[40:41], v[94:95], v[40:41], v[96:97] neg_lo:[0,0,1] neg_hi:[0,0,1]
	v_mov_b32_e32 v41, v99
	s_delay_alu instid0(VALU_DEP_1)
	v_pk_add_f32 v[38:39], v[38:39], v[40:41] neg_lo:[0,1] neg_hi:[0,1]
.LBB54_327:                             ;   in Loop: Header=BB54_3 Depth=1
	s_or_b32 exec_lo, exec_lo, s49
	s_barrier_signal -1
	s_barrier_wait -1
	s_and_saveexec_b32 s49, s30
	s_cbranch_execz .LBB54_329
; %bb.328:                              ;   in Loop: Header=BB54_3 Depth=1
	ds_load_b64 v[40:41], v3 offset:17680
	s_wait_dscnt 0x0
	v_pk_mul_f32 v[94:95], v[38:39], v[40:41] op_sel:[1,1] op_sel_hi:[1,0]
	s_delay_alu instid0(VALU_DEP_1) | instskip(SKIP_1) | instid1(VALU_DEP_2)
	v_pk_fma_f32 v[96:97], v[38:39], v[40:41], v[94:95] op_sel_hi:[0,1,1]
	v_pk_fma_f32 v[38:39], v[38:39], v[40:41], v[94:95] neg_lo:[0,0,1] neg_hi:[0,0,1]
	v_mov_b32_e32 v39, v97
	s_delay_alu instid0(VALU_DEP_1)
	v_pk_add_f32 v[40:41], v[38:39], 0 neg_lo:[1,1] neg_hi:[1,1]
	ds_store_b64 v60, v[40:41]
.LBB54_329:                             ;   in Loop: Header=BB54_3 Depth=1
	s_or_b32 exec_lo, exec_lo, s49
	s_wait_dscnt 0x0
	s_barrier_signal -1
	s_barrier_wait -1
	s_and_saveexec_b32 s49, s33
	s_cbranch_execz .LBB54_331
; %bb.330:                              ;   in Loop: Header=BB54_3 Depth=1
	ds_load_b64 v[40:41], v61 offset:17664
	ds_load_b64 v[94:95], v60
	s_wait_dscnt 0x0
	v_pk_mul_f32 v[96:97], v[94:95], v[40:41] op_sel:[1,1] op_sel_hi:[0,1]
	s_delay_alu instid0(VALU_DEP_1) | instskip(SKIP_1) | instid1(VALU_DEP_2)
	v_pk_fma_f32 v[98:99], v[94:95], v[40:41], v[96:97] op_sel_hi:[1,0,1]
	v_pk_fma_f32 v[40:41], v[94:95], v[40:41], v[96:97] neg_lo:[0,0,1] neg_hi:[0,0,1]
	v_mov_b32_e32 v41, v99
	s_delay_alu instid0(VALU_DEP_1)
	v_pk_add_f32 v[38:39], v[38:39], v[40:41] neg_lo:[0,1] neg_hi:[0,1]
.LBB54_331:                             ;   in Loop: Header=BB54_3 Depth=1
	s_or_b32 exec_lo, exec_lo, s49
	s_barrier_signal -1
	s_barrier_wait -1
	s_and_saveexec_b32 s49, s72
	s_cbranch_execz .LBB54_333
; %bb.332:                              ;   in Loop: Header=BB54_3 Depth=1
	ds_load_b64 v[40:41], v3 offset:17160
	s_wait_dscnt 0x0
	v_pk_mul_f32 v[94:95], v[38:39], v[40:41] op_sel:[1,1] op_sel_hi:[1,0]
	s_delay_alu instid0(VALU_DEP_1) | instskip(SKIP_1) | instid1(VALU_DEP_2)
	v_pk_fma_f32 v[96:97], v[38:39], v[40:41], v[94:95] op_sel_hi:[0,1,1]
	v_pk_fma_f32 v[38:39], v[38:39], v[40:41], v[94:95] neg_lo:[0,0,1] neg_hi:[0,0,1]
	v_mov_b32_e32 v39, v97
	s_delay_alu instid0(VALU_DEP_1)
	v_pk_add_f32 v[40:41], v[38:39], 0 neg_lo:[1,1] neg_hi:[1,1]
	ds_store_b64 v60, v[40:41]
.LBB54_333:                             ;   in Loop: Header=BB54_3 Depth=1
	;; [unrolled: 35-line block ×3, first 2 shown]
	s_or_b32 exec_lo, exec_lo, s49
	s_wait_dscnt 0x0
	s_barrier_signal -1
	s_barrier_wait -1
	s_barrier_signal -1
	s_barrier_wait -1
	s_and_saveexec_b32 s49, s4
; %bb.338:                              ;   in Loop: Header=BB54_3 Depth=1
	ds_store_b64 v63, v[38:39] offset:32512
; %bb.339:                              ;   in Loop: Header=BB54_3 Depth=1
	s_or_b32 exec_lo, exec_lo, s49
	s_wait_dscnt 0x0
	s_barrier_signal -1
	s_barrier_wait -1
	s_barrier_signal -1
	s_barrier_wait -1
	s_and_saveexec_b32 s65, s10
	s_cbranch_execz .LBB54_341
; %bb.340:                              ;   in Loop: Header=BB54_3 Depth=1
	ds_load_b64 v[38:39], v49 offset:24832
	s_wait_dscnt 0x0
	ds_store_b64 v54, v[38:39] offset:16768
	ds_load_b64 v[38:39], v49 offset:24840
	s_wait_dscnt 0x0
	ds_store_b64 v54, v[38:39] offset:17280
	;; [unrolled: 3-line block ×16, first 2 shown]
.LBB54_341:                             ;   in Loop: Header=BB54_3 Depth=1
	s_or_b32 exec_lo, exec_lo, s65
	s_wait_dscnt 0x0
	s_barrier_signal -1
	s_barrier_wait -1
	s_and_saveexec_b32 s49, s14
	s_cbranch_execz .LBB54_343
; %bb.342:                              ;   in Loop: Header=BB54_3 Depth=1
	v_add_nc_u32_e64 v2, 0x170, 0
	ds_load_b64 v[94:95], v3 offset:24440
	ds_load_2addr_stride64_b64 v[38:41], v2 offset0:46 offset1:47
	s_wait_dscnt 0x0
	v_dual_mul_f32 v42, v95, v39 :: v_dual_mul_f32 v2, v94, v39
	s_delay_alu instid0(VALU_DEP_1) | instskip(NEXT) | instid1(VALU_DEP_2)
	v_xor_b32_e32 v42, 0x80000000, v42
	v_fmac_f32_e32 v2, v95, v38
	s_delay_alu instid0(VALU_DEP_2) | instskip(NEXT) | instid1(VALU_DEP_2)
	v_fmac_f32_e32 v42, v94, v38
	v_pk_mul_f32 v[38:39], v[2:3], v[40:41] op_sel:[0,1] op_sel_hi:[0,0]
	v_add_nc_u32_e64 v2, 0x5800, 0
	s_delay_alu instid0(VALU_DEP_2) | instskip(SKIP_1) | instid1(VALU_DEP_2)
	v_pk_fma_f32 v[94:95], v[42:43], v[40:41], v[38:39] op_sel_hi:[0,1,1]
	v_pk_fma_f32 v[38:39], v[42:43], v[40:41], v[38:39] neg_lo:[0,0,1] neg_hi:[0,0,1]
	v_mov_b32_e32 v39, v95
	ds_store_2addr_b64 v2, v[38:39], v[38:39] offset0:175 offset1:238
.LBB54_343:                             ;   in Loop: Header=BB54_3 Depth=1
	s_or_b32 exec_lo, exec_lo, s49
	v_dual_mov_b32 v38, 0 :: v_dual_mov_b32 v39, 0
	s_wait_dscnt 0x0
	s_barrier_signal -1
	s_barrier_wait -1
	global_wb scope:SCOPE_DEV
	s_wait_storecnt 0x0
	global_inv scope:SCOPE_DEV
	s_and_saveexec_b32 s65, s0
	s_cbranch_execz .LBB54_347
; %bb.344:                              ;   in Loop: Header=BB54_3 Depth=1
	ds_load_b64 v[38:39], v45 offset:23904
	ds_load_b64 v[40:41], v46 offset:24432
	s_wait_dscnt 0x0
	v_pk_mul_f32 v[94:95], v[40:41], v[38:39] op_sel:[1,1] op_sel_hi:[0,1]
	s_delay_alu instid0(VALU_DEP_1) | instskip(SKIP_1) | instid1(VALU_DEP_2)
	v_pk_fma_f32 v[96:97], v[40:41], v[38:39], v[94:95] op_sel_hi:[1,0,1]
	v_pk_fma_f32 v[38:39], v[40:41], v[38:39], v[94:95] neg_lo:[0,0,1] neg_hi:[0,0,1]
	v_mov_b32_e32 v39, v97
	s_delay_alu instid0(VALU_DEP_1)
	v_pk_add_f32 v[38:39], v[38:39], 0 op_sel_hi:[1,0]
	s_and_saveexec_b32 s49, s15
	s_cbranch_execz .LBB54_346
; %bb.345:                              ;   in Loop: Header=BB54_3 Depth=1
	ds_load_b64 v[40:41], v47 offset:24416
	ds_load_b64 v[94:95], v3 offset:24440
	s_wait_dscnt 0x0
	v_pk_mul_f32 v[96:97], v[94:95], v[40:41] op_sel:[1,1] op_sel_hi:[0,1]
	s_delay_alu instid0(VALU_DEP_1) | instskip(SKIP_1) | instid1(VALU_DEP_2)
	v_pk_fma_f32 v[98:99], v[94:95], v[40:41], v[96:97] op_sel_hi:[1,0,1]
	v_pk_fma_f32 v[40:41], v[94:95], v[40:41], v[96:97] neg_lo:[0,0,1] neg_hi:[0,0,1]
	v_mov_b32_e32 v41, v99
	s_delay_alu instid0(VALU_DEP_1)
	v_pk_add_f32 v[38:39], v[38:39], v[40:41]
.LBB54_346:                             ;   in Loop: Header=BB54_3 Depth=1
	s_or_b32 exec_lo, exec_lo, s49
.LBB54_347:                             ;   in Loop: Header=BB54_3 Depth=1
	s_delay_alu instid0(SALU_CYCLE_1)
	s_or_b32 exec_lo, exec_lo, s65
	s_and_saveexec_b32 s49, s92
	s_cbranch_execz .LBB54_349
; %bb.348:                              ;   in Loop: Header=BB54_3 Depth=1
	ds_load_b64 v[40:41], v3 offset:23400
	s_wait_dscnt 0x0
	v_pk_mul_f32 v[94:95], v[38:39], v[40:41] op_sel:[1,1] op_sel_hi:[1,0]
	s_delay_alu instid0(VALU_DEP_1) | instskip(SKIP_1) | instid1(VALU_DEP_2)
	v_pk_fma_f32 v[96:97], v[38:39], v[40:41], v[94:95] op_sel_hi:[0,1,1]
	v_pk_fma_f32 v[38:39], v[38:39], v[40:41], v[94:95] neg_lo:[0,0,1] neg_hi:[0,0,1]
	v_mov_b32_e32 v39, v97
	s_delay_alu instid0(VALU_DEP_1)
	v_pk_add_f32 v[40:41], v[38:39], 0 neg_lo:[1,1] neg_hi:[1,1]
	ds_store_b64 v5, v[40:41]
.LBB54_349:                             ;   in Loop: Header=BB54_3 Depth=1
	s_or_b32 exec_lo, exec_lo, s49
	s_wait_loadcnt_dscnt 0x0
	s_barrier_signal -1
	s_barrier_wait -1
	s_and_saveexec_b32 s49, s93
	s_cbranch_execz .LBB54_351
; %bb.350:                              ;   in Loop: Header=BB54_3 Depth=1
	ds_load_b64 v[40:41], v3 offset:23392
	ds_load_b64 v[94:95], v5
	s_wait_dscnt 0x0
	v_pk_mul_f32 v[96:97], v[94:95], v[40:41] op_sel:[1,1] op_sel_hi:[0,1]
	s_delay_alu instid0(VALU_DEP_1) | instskip(SKIP_1) | instid1(VALU_DEP_2)
	v_pk_fma_f32 v[98:99], v[94:95], v[40:41], v[96:97] op_sel_hi:[1,0,1]
	v_pk_fma_f32 v[40:41], v[94:95], v[40:41], v[96:97] neg_lo:[0,0,1] neg_hi:[0,0,1]
	v_mov_b32_e32 v41, v99
	s_delay_alu instid0(VALU_DEP_1)
	v_pk_add_f32 v[38:39], v[38:39], v[40:41] neg_lo:[0,1] neg_hi:[0,1]
.LBB54_351:                             ;   in Loop: Header=BB54_3 Depth=1
	s_or_b32 exec_lo, exec_lo, s49
	s_barrier_signal -1
	s_barrier_wait -1
	s_and_saveexec_b32 s49, s93
	s_cbranch_execz .LBB54_353
; %bb.352:                              ;   in Loop: Header=BB54_3 Depth=1
	ds_load_b64 v[40:41], v3 offset:22880
	s_wait_dscnt 0x0
	v_pk_mul_f32 v[94:95], v[38:39], v[40:41] op_sel:[1,1] op_sel_hi:[1,0]
	s_delay_alu instid0(VALU_DEP_1) | instskip(SKIP_1) | instid1(VALU_DEP_2)
	v_pk_fma_f32 v[96:97], v[38:39], v[40:41], v[94:95] op_sel_hi:[0,1,1]
	v_pk_fma_f32 v[38:39], v[38:39], v[40:41], v[94:95] neg_lo:[0,0,1] neg_hi:[0,0,1]
	v_mov_b32_e32 v39, v97
	s_delay_alu instid0(VALU_DEP_1)
	v_pk_add_f32 v[40:41], v[38:39], 0 neg_lo:[1,1] neg_hi:[1,1]
	ds_store_b64 v5, v[40:41]
.LBB54_353:                             ;   in Loop: Header=BB54_3 Depth=1
	s_or_b32 exec_lo, exec_lo, s49
	s_wait_dscnt 0x0
	s_barrier_signal -1
	s_barrier_wait -1
	s_barrier_signal -1
	s_barrier_wait -1
	s_and_saveexec_b32 s49, s0
; %bb.354:                              ;   in Loop: Header=BB54_3 Depth=1
	ds_store_b64 v48, v[38:39] offset:24416
; %bb.355:                              ;   in Loop: Header=BB54_3 Depth=1
	s_or_b32 exec_lo, exec_lo, s49
	s_wait_dscnt 0x0
	s_barrier_signal -1
	s_barrier_wait -1
	s_barrier_signal -1
	s_barrier_wait -1
	s_and_saveexec_b32 s49, s94
	s_cbranch_execz .LBB54_357
; %bb.356:                              ;   in Loop: Header=BB54_3 Depth=1
	ds_load_b64 v[38:39], v49 offset:23904
	s_wait_dscnt 0x0
	ds_store_b64 v47, v[38:39] offset:22896
	ds_load_b64 v[38:39], v49 offset:23912
	s_wait_dscnt 0x0
	ds_store_b64 v47, v[38:39] offset:23408
.LBB54_357:                             ;   in Loop: Header=BB54_3 Depth=1
	s_or_b32 exec_lo, exec_lo, s49
	s_wait_dscnt 0x0
	s_barrier_signal -1
	s_barrier_wait -1
	s_and_saveexec_b32 s49, s14
	s_cbranch_execz .LBB54_359
; %bb.358:                              ;   in Loop: Header=BB54_3 Depth=1
	v_add_nc_u32_e64 v2, 0x160, 0
	ds_load_b64 v[94:95], v3 offset:23400
	ds_load_2addr_stride64_b64 v[38:41], v2 offset0:44 offset1:45
	s_wait_dscnt 0x0
	v_dual_mul_f32 v42, v95, v39 :: v_dual_mul_f32 v2, v94, v39
	s_delay_alu instid0(VALU_DEP_1) | instskip(NEXT) | instid1(VALU_DEP_2)
	v_xor_b32_e32 v42, 0x80000000, v42
	v_fmac_f32_e32 v2, v95, v38
	s_delay_alu instid0(VALU_DEP_2) | instskip(NEXT) | instid1(VALU_DEP_2)
	v_fmac_f32_e32 v42, v94, v38
	v_pk_mul_f32 v[38:39], v[2:3], v[40:41] op_sel:[0,1] op_sel_hi:[0,0]
	v_add_nc_u32_e64 v2, 0x5800, 0
	s_delay_alu instid0(VALU_DEP_2) | instskip(SKIP_1) | instid1(VALU_DEP_2)
	v_pk_fma_f32 v[94:95], v[42:43], v[40:41], v[38:39] op_sel_hi:[0,1,1]
	v_pk_fma_f32 v[38:39], v[42:43], v[40:41], v[38:39] neg_lo:[0,0,1] neg_hi:[0,0,1]
	v_mov_b32_e32 v39, v95
	ds_store_2addr_b64 v2, v[38:39], v[38:39] offset0:45 offset1:108
.LBB54_359:                             ;   in Loop: Header=BB54_3 Depth=1
	s_or_b32 exec_lo, exec_lo, s49
	v_mov_b64_e32 v[38:39], 0
	s_wait_dscnt 0x0
	s_barrier_signal -1
	s_barrier_wait -1
	global_wb scope:SCOPE_DEV
	s_wait_storecnt 0x0
	global_inv scope:SCOPE_DEV
	s_and_saveexec_b32 s65, s2
	s_cbranch_execz .LBB54_365
; %bb.360:                              ;   in Loop: Header=BB54_3 Depth=1
	ds_load_b64 v[38:39], v51 offset:22848
	ds_load_b64 v[40:41], v52 offset:24416
	s_wait_dscnt 0x0
	v_dual_mul_f32 v2, v41, v39 :: v_dual_mul_f32 v39, v40, v39
	s_delay_alu instid0(VALU_DEP_1) | instskip(NEXT) | instid1(VALU_DEP_1)
	v_dual_fma_f32 v2, v40, v38, -v2 :: v_dual_fmac_f32 v39, v41, v38
	v_dual_add_f32 v38, 0, v2 :: v_dual_add_f32 v39, 0, v39
	s_and_saveexec_b32 s49, s16
	s_cbranch_execnz .LBB54_1138
; %bb.361:                              ;   in Loop: Header=BB54_3 Depth=1
	s_or_b32 exec_lo, exec_lo, s49
	s_and_saveexec_b32 s49, s17
	s_cbranch_execnz .LBB54_1139
.LBB54_362:                             ;   in Loop: Header=BB54_3 Depth=1
	s_or_b32 exec_lo, exec_lo, s49
	s_and_saveexec_b32 s49, s0
	s_cbranch_execz .LBB54_364
.LBB54_363:                             ;   in Loop: Header=BB54_3 Depth=1
	ds_load_b64 v[40:41], v54 offset:24384
	ds_load_b64 v[94:95], v3 offset:24440
	s_wait_dscnt 0x0
	v_dual_mul_f32 v2, v95, v41 :: v_dual_mul_f32 v41, v94, v41
	s_delay_alu instid0(VALU_DEP_1) | instskip(NEXT) | instid1(VALU_DEP_1)
	v_dual_fma_f32 v2, v94, v40, -v2 :: v_dual_fmac_f32 v41, v95, v40
	v_dual_add_f32 v38, v38, v2 :: v_dual_add_f32 v39, v39, v41
.LBB54_364:                             ;   in Loop: Header=BB54_3 Depth=1
	s_or_b32 exec_lo, exec_lo, s49
.LBB54_365:                             ;   in Loop: Header=BB54_3 Depth=1
	s_delay_alu instid0(SALU_CYCLE_1)
	s_or_b32 exec_lo, exec_lo, s65
	s_and_saveexec_b32 s49, s95
	s_cbranch_execz .LBB54_367
; %bb.366:                              ;   in Loop: Header=BB54_3 Depth=1
	ds_load_b64 v[40:41], v3 offset:22360
	s_wait_dscnt 0x0
	v_dual_mul_f32 v2, v39, v40 :: v_dual_mul_f32 v42, v39, v41
	s_delay_alu instid0(VALU_DEP_1) | instskip(NEXT) | instid1(VALU_DEP_2)
	v_pk_fma_f32 v[94:95], v[38:39], v[40:41], v[2:3] op_sel:[1,0,0] op_sel_hi:[0,1,0]
	v_pk_fma_f32 v[38:39], v[38:39], v[40:41], v[42:43] op_sel_hi:[1,1,0] neg_lo:[0,0,1] neg_hi:[0,0,1]
	s_delay_alu instid0(VALU_DEP_2) | instskip(NEXT) | instid1(VALU_DEP_1)
	v_mov_b32_e32 v39, v95
	v_pk_add_f32 v[40:41], v[38:39], 0 neg_lo:[1,1] neg_hi:[1,1]
	ds_store_b64 v50, v[40:41]
.LBB54_367:                             ;   in Loop: Header=BB54_3 Depth=1
	s_or_b32 exec_lo, exec_lo, s49
	s_wait_loadcnt_dscnt 0x0
	s_barrier_signal -1
	s_barrier_wait -1
	s_and_saveexec_b32 s49, s96
	s_cbranch_execz .LBB54_369
; %bb.368:                              ;   in Loop: Header=BB54_3 Depth=1
	ds_load_b64 v[40:41], v51 offset:22336
	ds_load_b64 v[94:95], v50
	s_wait_dscnt 0x0
	v_pk_mul_f32 v[96:97], v[94:95], v[40:41] op_sel:[1,1] op_sel_hi:[0,1]
	s_delay_alu instid0(VALU_DEP_1) | instskip(SKIP_1) | instid1(VALU_DEP_2)
	v_pk_fma_f32 v[98:99], v[94:95], v[40:41], v[96:97] op_sel_hi:[1,0,1]
	v_pk_fma_f32 v[40:41], v[94:95], v[40:41], v[96:97] neg_lo:[0,0,1] neg_hi:[0,0,1]
	v_mov_b32_e32 v41, v99
	s_delay_alu instid0(VALU_DEP_1)
	v_pk_add_f32 v[38:39], v[38:39], v[40:41] neg_lo:[0,1] neg_hi:[0,1]
.LBB54_369:                             ;   in Loop: Header=BB54_3 Depth=1
	s_or_b32 exec_lo, exec_lo, s49
	s_barrier_signal -1
	s_barrier_wait -1
	s_and_saveexec_b32 s49, s97
	s_cbranch_execz .LBB54_371
; %bb.370:                              ;   in Loop: Header=BB54_3 Depth=1
	ds_load_b64 v[40:41], v3 offset:21840
	s_wait_dscnt 0x0
	v_pk_mul_f32 v[94:95], v[38:39], v[40:41] op_sel:[1,1] op_sel_hi:[1,0]
	s_delay_alu instid0(VALU_DEP_1) | instskip(SKIP_1) | instid1(VALU_DEP_2)
	v_pk_fma_f32 v[96:97], v[38:39], v[40:41], v[94:95] op_sel_hi:[0,1,1]
	v_pk_fma_f32 v[38:39], v[38:39], v[40:41], v[94:95] neg_lo:[0,0,1] neg_hi:[0,0,1]
	v_mov_b32_e32 v39, v97
	s_delay_alu instid0(VALU_DEP_1)
	v_pk_add_f32 v[40:41], v[38:39], 0 neg_lo:[1,1] neg_hi:[1,1]
	ds_store_b64 v50, v[40:41]
.LBB54_371:                             ;   in Loop: Header=BB54_3 Depth=1
	s_or_b32 exec_lo, exec_lo, s49
	s_wait_dscnt 0x0
	s_barrier_signal -1
	s_barrier_wait -1
	s_and_saveexec_b32 s49, s98
	s_cbranch_execz .LBB54_373
; %bb.372:                              ;   in Loop: Header=BB54_3 Depth=1
	ds_load_b64 v[40:41], v51 offset:21824
	ds_load_b64 v[94:95], v50
	s_wait_dscnt 0x0
	v_pk_mul_f32 v[96:97], v[94:95], v[40:41] op_sel:[1,1] op_sel_hi:[0,1]
	s_delay_alu instid0(VALU_DEP_1) | instskip(SKIP_1) | instid1(VALU_DEP_2)
	v_pk_fma_f32 v[98:99], v[94:95], v[40:41], v[96:97] op_sel_hi:[1,0,1]
	v_pk_fma_f32 v[40:41], v[94:95], v[40:41], v[96:97] neg_lo:[0,0,1] neg_hi:[0,0,1]
	v_mov_b32_e32 v41, v99
	s_delay_alu instid0(VALU_DEP_1)
	v_pk_add_f32 v[38:39], v[38:39], v[40:41] neg_lo:[0,1] neg_hi:[0,1]
.LBB54_373:                             ;   in Loop: Header=BB54_3 Depth=1
	s_or_b32 exec_lo, exec_lo, s49
	s_barrier_signal -1
	s_barrier_wait -1
	s_and_saveexec_b32 s49, s99
	s_cbranch_execz .LBB54_375
; %bb.374:                              ;   in Loop: Header=BB54_3 Depth=1
	ds_load_b64 v[40:41], v3 offset:21320
	s_wait_dscnt 0x0
	v_pk_mul_f32 v[94:95], v[38:39], v[40:41] op_sel:[1,1] op_sel_hi:[1,0]
	s_delay_alu instid0(VALU_DEP_1) | instskip(SKIP_1) | instid1(VALU_DEP_2)
	v_pk_fma_f32 v[96:97], v[38:39], v[40:41], v[94:95] op_sel_hi:[0,1,1]
	v_pk_fma_f32 v[38:39], v[38:39], v[40:41], v[94:95] neg_lo:[0,0,1] neg_hi:[0,0,1]
	v_mov_b32_e32 v39, v97
	s_delay_alu instid0(VALU_DEP_1)
	v_pk_add_f32 v[40:41], v[38:39], 0 neg_lo:[1,1] neg_hi:[1,1]
	ds_store_b64 v50, v[40:41]
.LBB54_375:                             ;   in Loop: Header=BB54_3 Depth=1
	s_or_b32 exec_lo, exec_lo, s49
	s_wait_dscnt 0x0
	;; [unrolled: 35-line block ×3, first 2 shown]
	s_barrier_signal -1
	s_barrier_wait -1
	s_barrier_signal -1
	s_barrier_wait -1
	s_and_saveexec_b32 s49, s2
; %bb.380:                              ;   in Loop: Header=BB54_3 Depth=1
	ds_store_b64 v55, v[38:39] offset:24384
; %bb.381:                              ;   in Loop: Header=BB54_3 Depth=1
	s_or_b32 exec_lo, exec_lo, s49
	s_wait_dscnt 0x0
	s_barrier_signal -1
	s_barrier_wait -1
	s_barrier_signal -1
	s_barrier_wait -1
	s_and_saveexec_b32 s49, s101
	s_cbranch_execz .LBB54_383
; %bb.382:                              ;   in Loop: Header=BB54_3 Depth=1
	ds_load_b64 v[38:39], v68 offset:22848
	s_wait_dscnt 0x0
	ds_store_b64 v69, v[38:39] offset:20832
	ds_load_b64 v[38:39], v68 offset:22856
	s_wait_dscnt 0x0
	ds_store_b64 v69, v[38:39] offset:21344
	;; [unrolled: 3-line block ×4, first 2 shown]
.LBB54_383:                             ;   in Loop: Header=BB54_3 Depth=1
	s_or_b32 exec_lo, exec_lo, s49
	s_wait_dscnt 0x0
	s_barrier_signal -1
	s_barrier_wait -1
	s_and_saveexec_b32 s49, s14
	s_cbranch_execz .LBB54_385
; %bb.384:                              ;   in Loop: Header=BB54_3 Depth=1
	v_add_nc_u32_e64 v2, 0x150, 0
	ds_load_b64 v[94:95], v3 offset:22360
	ds_load_2addr_stride64_b64 v[38:41], v2 offset0:42 offset1:43
	s_wait_dscnt 0x0
	v_dual_mul_f32 v42, v95, v39 :: v_dual_mul_f32 v2, v94, v39
	s_delay_alu instid0(VALU_DEP_1) | instskip(NEXT) | instid1(VALU_DEP_2)
	v_xor_b32_e32 v42, 0x80000000, v42
	v_fmac_f32_e32 v2, v95, v38
	s_delay_alu instid0(VALU_DEP_2) | instskip(NEXT) | instid1(VALU_DEP_2)
	v_fmac_f32_e32 v42, v94, v38
	v_pk_mul_f32 v[38:39], v[2:3], v[40:41] op_sel:[0,1] op_sel_hi:[0,0]
	v_add_nc_u32_e64 v2, 0x5000, 0
	s_delay_alu instid0(VALU_DEP_2) | instskip(SKIP_1) | instid1(VALU_DEP_2)
	v_pk_fma_f32 v[94:95], v[42:43], v[40:41], v[38:39] op_sel_hi:[0,1,1]
	v_pk_fma_f32 v[38:39], v[42:43], v[40:41], v[38:39] neg_lo:[0,0,1] neg_hi:[0,0,1]
	v_mov_b32_e32 v39, v95
	ds_store_2addr_b64 v2, v[38:39], v[38:39] offset0:171 offset1:234
.LBB54_385:                             ;   in Loop: Header=BB54_3 Depth=1
	s_or_b32 exec_lo, exec_lo, s49
	v_dual_mov_b32 v38, 0 :: v_dual_mov_b32 v39, 0
	s_wait_dscnt 0x0
	s_barrier_signal -1
	s_barrier_wait -1
	global_wb scope:SCOPE_DEV
	s_wait_storecnt 0x0
	global_inv scope:SCOPE_DEV
	s_and_saveexec_b32 s65, s0
	s_cbranch_execz .LBB54_389
; %bb.386:                              ;   in Loop: Header=BB54_3 Depth=1
	ds_load_b64 v[38:39], v45 offset:21824
	ds_load_b64 v[40:41], v46 offset:22352
	s_wait_dscnt 0x0
	v_pk_mul_f32 v[94:95], v[40:41], v[38:39] op_sel:[1,1] op_sel_hi:[0,1]
	s_delay_alu instid0(VALU_DEP_1) | instskip(SKIP_1) | instid1(VALU_DEP_2)
	v_pk_fma_f32 v[96:97], v[40:41], v[38:39], v[94:95] op_sel_hi:[1,0,1]
	v_pk_fma_f32 v[38:39], v[40:41], v[38:39], v[94:95] neg_lo:[0,0,1] neg_hi:[0,0,1]
	v_mov_b32_e32 v39, v97
	s_delay_alu instid0(VALU_DEP_1)
	v_pk_add_f32 v[38:39], v[38:39], 0 op_sel_hi:[1,0]
	s_and_saveexec_b32 s49, s15
	s_cbranch_execz .LBB54_388
; %bb.387:                              ;   in Loop: Header=BB54_3 Depth=1
	ds_load_b64 v[40:41], v69 offset:22336
	ds_load_b64 v[94:95], v3 offset:22360
	s_wait_dscnt 0x0
	v_pk_mul_f32 v[96:97], v[94:95], v[40:41] op_sel:[1,1] op_sel_hi:[0,1]
	s_delay_alu instid0(VALU_DEP_1) | instskip(SKIP_1) | instid1(VALU_DEP_2)
	v_pk_fma_f32 v[98:99], v[94:95], v[40:41], v[96:97] op_sel_hi:[1,0,1]
	v_pk_fma_f32 v[40:41], v[94:95], v[40:41], v[96:97] neg_lo:[0,0,1] neg_hi:[0,0,1]
	v_mov_b32_e32 v41, v99
	s_delay_alu instid0(VALU_DEP_1)
	v_pk_add_f32 v[38:39], v[38:39], v[40:41]
.LBB54_388:                             ;   in Loop: Header=BB54_3 Depth=1
	s_or_b32 exec_lo, exec_lo, s49
.LBB54_389:                             ;   in Loop: Header=BB54_3 Depth=1
	s_delay_alu instid0(SALU_CYCLE_1)
	s_or_b32 exec_lo, exec_lo, s65
	s_and_saveexec_b32 s49, s92
	s_cbranch_execz .LBB54_391
; %bb.390:                              ;   in Loop: Header=BB54_3 Depth=1
	ds_load_b64 v[40:41], v3 offset:21320
	s_wait_dscnt 0x0
	v_pk_mul_f32 v[94:95], v[38:39], v[40:41] op_sel:[1,1] op_sel_hi:[1,0]
	s_delay_alu instid0(VALU_DEP_1) | instskip(SKIP_1) | instid1(VALU_DEP_2)
	v_pk_fma_f32 v[96:97], v[38:39], v[40:41], v[94:95] op_sel_hi:[0,1,1]
	v_pk_fma_f32 v[38:39], v[38:39], v[40:41], v[94:95] neg_lo:[0,0,1] neg_hi:[0,0,1]
	v_mov_b32_e32 v39, v97
	s_delay_alu instid0(VALU_DEP_1)
	v_pk_add_f32 v[40:41], v[38:39], 0 neg_lo:[1,1] neg_hi:[1,1]
	ds_store_b64 v5, v[40:41]
.LBB54_391:                             ;   in Loop: Header=BB54_3 Depth=1
	s_or_b32 exec_lo, exec_lo, s49
	s_wait_loadcnt_dscnt 0x0
	s_barrier_signal -1
	s_barrier_wait -1
	s_and_saveexec_b32 s49, s93
	s_cbranch_execz .LBB54_393
; %bb.392:                              ;   in Loop: Header=BB54_3 Depth=1
	ds_load_b64 v[40:41], v3 offset:21312
	ds_load_b64 v[94:95], v5
	s_wait_dscnt 0x0
	v_pk_mul_f32 v[96:97], v[94:95], v[40:41] op_sel:[1,1] op_sel_hi:[0,1]
	s_delay_alu instid0(VALU_DEP_1) | instskip(SKIP_1) | instid1(VALU_DEP_2)
	v_pk_fma_f32 v[98:99], v[94:95], v[40:41], v[96:97] op_sel_hi:[1,0,1]
	v_pk_fma_f32 v[40:41], v[94:95], v[40:41], v[96:97] neg_lo:[0,0,1] neg_hi:[0,0,1]
	v_mov_b32_e32 v41, v99
	s_delay_alu instid0(VALU_DEP_1)
	v_pk_add_f32 v[38:39], v[38:39], v[40:41] neg_lo:[0,1] neg_hi:[0,1]
.LBB54_393:                             ;   in Loop: Header=BB54_3 Depth=1
	s_or_b32 exec_lo, exec_lo, s49
	s_barrier_signal -1
	s_barrier_wait -1
	s_and_saveexec_b32 s49, s93
	s_cbranch_execz .LBB54_395
; %bb.394:                              ;   in Loop: Header=BB54_3 Depth=1
	ds_load_b64 v[40:41], v3 offset:20800
	s_wait_dscnt 0x0
	v_pk_mul_f32 v[94:95], v[38:39], v[40:41] op_sel:[1,1] op_sel_hi:[1,0]
	s_delay_alu instid0(VALU_DEP_1) | instskip(SKIP_1) | instid1(VALU_DEP_2)
	v_pk_fma_f32 v[96:97], v[38:39], v[40:41], v[94:95] op_sel_hi:[0,1,1]
	v_pk_fma_f32 v[38:39], v[38:39], v[40:41], v[94:95] neg_lo:[0,0,1] neg_hi:[0,0,1]
	v_mov_b32_e32 v39, v97
	s_delay_alu instid0(VALU_DEP_1)
	v_pk_add_f32 v[40:41], v[38:39], 0 neg_lo:[1,1] neg_hi:[1,1]
	ds_store_b64 v5, v[40:41]
.LBB54_395:                             ;   in Loop: Header=BB54_3 Depth=1
	s_or_b32 exec_lo, exec_lo, s49
	s_wait_dscnt 0x0
	s_barrier_signal -1
	s_barrier_wait -1
	s_barrier_signal -1
	s_barrier_wait -1
	s_and_saveexec_b32 s49, s0
; %bb.396:                              ;   in Loop: Header=BB54_3 Depth=1
	ds_store_b64 v48, v[38:39] offset:22336
; %bb.397:                              ;   in Loop: Header=BB54_3 Depth=1
	s_or_b32 exec_lo, exec_lo, s49
	s_wait_dscnt 0x0
	s_barrier_signal -1
	s_barrier_wait -1
	s_barrier_signal -1
	s_barrier_wait -1
	s_and_saveexec_b32 s49, s94
	s_cbranch_execz .LBB54_399
; %bb.398:                              ;   in Loop: Header=BB54_3 Depth=1
	ds_load_b64 v[38:39], v70 offset:21824
	s_wait_dscnt 0x0
	ds_store_b64 v69, v[38:39] offset:20816
	ds_load_b64 v[38:39], v70 offset:21832
	s_wait_dscnt 0x0
	ds_store_b64 v69, v[38:39] offset:21328
.LBB54_399:                             ;   in Loop: Header=BB54_3 Depth=1
	s_or_b32 exec_lo, exec_lo, s49
	s_wait_dscnt 0x0
	s_barrier_signal -1
	s_barrier_wait -1
	s_and_saveexec_b32 s49, s14
	s_cbranch_execz .LBB54_401
; %bb.400:                              ;   in Loop: Header=BB54_3 Depth=1
	v_add_nc_u32_e64 v2, 0x140, 0
	ds_load_b64 v[94:95], v3 offset:21320
	ds_load_2addr_stride64_b64 v[38:41], v2 offset0:40 offset1:41
	s_wait_dscnt 0x0
	v_dual_mul_f32 v42, v95, v39 :: v_dual_mul_f32 v2, v94, v39
	s_delay_alu instid0(VALU_DEP_1) | instskip(NEXT) | instid1(VALU_DEP_2)
	v_xor_b32_e32 v42, 0x80000000, v42
	v_fmac_f32_e32 v2, v95, v38
	s_delay_alu instid0(VALU_DEP_2) | instskip(NEXT) | instid1(VALU_DEP_2)
	v_fmac_f32_e32 v42, v94, v38
	v_pk_mul_f32 v[38:39], v[2:3], v[40:41] op_sel:[0,1] op_sel_hi:[0,0]
	v_add_nc_u32_e64 v2, 0x5000, 0
	s_delay_alu instid0(VALU_DEP_2) | instskip(SKIP_1) | instid1(VALU_DEP_2)
	v_pk_fma_f32 v[94:95], v[42:43], v[40:41], v[38:39] op_sel_hi:[0,1,1]
	v_pk_fma_f32 v[38:39], v[42:43], v[40:41], v[38:39] neg_lo:[0,0,1] neg_hi:[0,0,1]
	v_mov_b32_e32 v39, v95
	ds_store_2addr_b64 v2, v[38:39], v[38:39] offset0:41 offset1:104
.LBB54_401:                             ;   in Loop: Header=BB54_3 Depth=1
	s_or_b32 exec_lo, exec_lo, s49
	v_mov_b64_e32 v[38:39], 0
	s_wait_dscnt 0x0
	s_barrier_signal -1
	s_barrier_wait -1
	global_wb scope:SCOPE_DEV
	s_wait_storecnt 0x0
	global_inv scope:SCOPE_DEV
	s_and_saveexec_b32 s65, s3
	s_cbranch_execz .LBB54_411
; %bb.402:                              ;   in Loop: Header=BB54_3 Depth=1
	ds_load_b64 v[38:39], v57 offset:20736
	ds_load_b64 v[40:41], v58 offset:24384
	s_wait_dscnt 0x0
	v_dual_mul_f32 v2, v41, v39 :: v_dual_mul_f32 v39, v40, v39
	s_delay_alu instid0(VALU_DEP_1) | instskip(NEXT) | instid1(VALU_DEP_1)
	v_dual_fma_f32 v2, v40, v38, -v2 :: v_dual_fmac_f32 v39, v41, v38
	v_dual_add_f32 v38, 0, v2 :: v_dual_add_f32 v39, 0, v39
	s_and_saveexec_b32 s49, s18
	s_cbranch_execnz .LBB54_1140
; %bb.403:                              ;   in Loop: Header=BB54_3 Depth=1
	s_or_b32 exec_lo, exec_lo, s49
	s_and_saveexec_b32 s49, s19
	s_cbranch_execnz .LBB54_1141
.LBB54_404:                             ;   in Loop: Header=BB54_3 Depth=1
	s_or_b32 exec_lo, exec_lo, s49
	s_and_saveexec_b32 s49, s20
	s_cbranch_execnz .LBB54_1142
.LBB54_405:                             ;   in Loop: Header=BB54_3 Depth=1
	s_or_b32 exec_lo, exec_lo, s49
	s_and_saveexec_b32 s49, s21
	s_cbranch_execnz .LBB54_1143
.LBB54_406:                             ;   in Loop: Header=BB54_3 Depth=1
	s_or_b32 exec_lo, exec_lo, s49
	s_and_saveexec_b32 s49, s22
	s_cbranch_execnz .LBB54_1144
.LBB54_407:                             ;   in Loop: Header=BB54_3 Depth=1
	s_or_b32 exec_lo, exec_lo, s49
	s_and_saveexec_b32 s49, s2
	s_cbranch_execnz .LBB54_1145
.LBB54_408:                             ;   in Loop: Header=BB54_3 Depth=1
	s_or_b32 exec_lo, exec_lo, s49
	s_and_saveexec_b32 s49, s17
	s_cbranch_execz .LBB54_410
.LBB54_409:                             ;   in Loop: Header=BB54_3 Depth=1
	ds_load_b64 v[40:41], v71 offset:24320
	ds_load_b64 v[94:95], v3 offset:24440
	s_wait_dscnt 0x0
	v_dual_mul_f32 v2, v95, v41 :: v_dual_mul_f32 v97, v94, v41
	s_delay_alu instid0(VALU_DEP_1) | instskip(NEXT) | instid1(VALU_DEP_1)
	v_dual_fma_f32 v96, v94, v40, -v2 :: v_dual_fmac_f32 v97, v95, v40
	v_pk_add_f32 v[38:39], v[38:39], v[96:97]
.LBB54_410:                             ;   in Loop: Header=BB54_3 Depth=1
	s_or_b32 exec_lo, exec_lo, s49
.LBB54_411:                             ;   in Loop: Header=BB54_3 Depth=1
	s_delay_alu instid0(SALU_CYCLE_1)
	s_or_b32 exec_lo, exec_lo, s65
	s_and_saveexec_b32 s49, s102
	s_cbranch_execz .LBB54_413
; %bb.412:                              ;   in Loop: Header=BB54_3 Depth=1
	ds_load_b64 v[40:41], v3 offset:20280
	s_wait_dscnt 0x0
	v_pk_mul_f32 v[94:95], v[38:39], v[40:41] op_sel:[1,1] op_sel_hi:[1,0]
	s_delay_alu instid0(VALU_DEP_1) | instskip(SKIP_1) | instid1(VALU_DEP_2)
	v_pk_fma_f32 v[96:97], v[38:39], v[40:41], v[94:95] op_sel_hi:[0,1,1]
	v_pk_fma_f32 v[38:39], v[38:39], v[40:41], v[94:95] neg_lo:[0,0,1] neg_hi:[0,0,1]
	v_mov_b32_e32 v39, v97
	s_delay_alu instid0(VALU_DEP_1)
	v_pk_add_f32 v[40:41], v[38:39], 0 neg_lo:[1,1] neg_hi:[1,1]
	ds_store_b64 v56, v[40:41]
.LBB54_413:                             ;   in Loop: Header=BB54_3 Depth=1
	s_or_b32 exec_lo, exec_lo, s49
	s_wait_loadcnt_dscnt 0x0
	s_barrier_signal -1
	s_barrier_wait -1
	s_and_saveexec_b32 s49, s103
	s_cbranch_execz .LBB54_415
; %bb.414:                              ;   in Loop: Header=BB54_3 Depth=1
	ds_load_b64 v[40:41], v57 offset:20224
	ds_load_b64 v[94:95], v56
	s_wait_dscnt 0x0
	v_pk_mul_f32 v[96:97], v[94:95], v[40:41] op_sel:[1,1] op_sel_hi:[0,1]
	s_delay_alu instid0(VALU_DEP_1) | instskip(SKIP_1) | instid1(VALU_DEP_2)
	v_pk_fma_f32 v[98:99], v[94:95], v[40:41], v[96:97] op_sel_hi:[1,0,1]
	v_pk_fma_f32 v[40:41], v[94:95], v[40:41], v[96:97] neg_lo:[0,0,1] neg_hi:[0,0,1]
	v_mov_b32_e32 v41, v99
	s_delay_alu instid0(VALU_DEP_1)
	v_pk_add_f32 v[38:39], v[38:39], v[40:41] neg_lo:[0,1] neg_hi:[0,1]
.LBB54_415:                             ;   in Loop: Header=BB54_3 Depth=1
	s_or_b32 exec_lo, exec_lo, s49
	s_barrier_signal -1
	s_barrier_wait -1
	s_and_saveexec_b32 s49, s104
	s_cbranch_execz .LBB54_417
; %bb.416:                              ;   in Loop: Header=BB54_3 Depth=1
	ds_load_b64 v[40:41], v3 offset:19760
	s_wait_dscnt 0x0
	v_pk_mul_f32 v[94:95], v[38:39], v[40:41] op_sel:[1,1] op_sel_hi:[1,0]
	s_delay_alu instid0(VALU_DEP_1) | instskip(SKIP_1) | instid1(VALU_DEP_2)
	v_pk_fma_f32 v[96:97], v[38:39], v[40:41], v[94:95] op_sel_hi:[0,1,1]
	v_pk_fma_f32 v[38:39], v[38:39], v[40:41], v[94:95] neg_lo:[0,0,1] neg_hi:[0,0,1]
	v_mov_b32_e32 v39, v97
	s_delay_alu instid0(VALU_DEP_1)
	v_pk_add_f32 v[40:41], v[38:39], 0 neg_lo:[1,1] neg_hi:[1,1]
	ds_store_b64 v56, v[40:41]
.LBB54_417:                             ;   in Loop: Header=BB54_3 Depth=1
	s_or_b32 exec_lo, exec_lo, s49
	s_wait_dscnt 0x0
	s_barrier_signal -1
	s_barrier_wait -1
	s_and_saveexec_b32 s49, vcc_hi
	s_cbranch_execz .LBB54_419
; %bb.418:                              ;   in Loop: Header=BB54_3 Depth=1
	ds_load_b64 v[40:41], v57 offset:19712
	ds_load_b64 v[94:95], v56
	s_wait_dscnt 0x0
	v_pk_mul_f32 v[96:97], v[94:95], v[40:41] op_sel:[1,1] op_sel_hi:[0,1]
	s_delay_alu instid0(VALU_DEP_1) | instskip(SKIP_1) | instid1(VALU_DEP_2)
	v_pk_fma_f32 v[98:99], v[94:95], v[40:41], v[96:97] op_sel_hi:[1,0,1]
	v_pk_fma_f32 v[40:41], v[94:95], v[40:41], v[96:97] neg_lo:[0,0,1] neg_hi:[0,0,1]
	v_mov_b32_e32 v41, v99
	s_delay_alu instid0(VALU_DEP_1)
	v_pk_add_f32 v[38:39], v[38:39], v[40:41] neg_lo:[0,1] neg_hi:[0,1]
.LBB54_419:                             ;   in Loop: Header=BB54_3 Depth=1
	s_or_b32 exec_lo, exec_lo, s49
	s_barrier_signal -1
	s_barrier_wait -1
	s_and_saveexec_b32 s49, s38
	s_cbranch_execz .LBB54_421
; %bb.420:                              ;   in Loop: Header=BB54_3 Depth=1
	ds_load_b64 v[40:41], v3 offset:19240
	s_wait_dscnt 0x0
	v_pk_mul_f32 v[94:95], v[38:39], v[40:41] op_sel:[1,1] op_sel_hi:[1,0]
	s_delay_alu instid0(VALU_DEP_1) | instskip(SKIP_1) | instid1(VALU_DEP_2)
	v_pk_fma_f32 v[96:97], v[38:39], v[40:41], v[94:95] op_sel_hi:[0,1,1]
	v_pk_fma_f32 v[38:39], v[38:39], v[40:41], v[94:95] neg_lo:[0,0,1] neg_hi:[0,0,1]
	v_mov_b32_e32 v39, v97
	s_delay_alu instid0(VALU_DEP_1)
	v_pk_add_f32 v[40:41], v[38:39], 0 neg_lo:[1,1] neg_hi:[1,1]
	ds_store_b64 v56, v[40:41]
.LBB54_421:                             ;   in Loop: Header=BB54_3 Depth=1
	s_or_b32 exec_lo, exec_lo, s49
	s_wait_dscnt 0x0
	s_barrier_signal -1
	s_barrier_wait -1
	s_and_saveexec_b32 s49, s39
	s_cbranch_execz .LBB54_423
; %bb.422:                              ;   in Loop: Header=BB54_3 Depth=1
	ds_load_b64 v[40:41], v57 offset:19200
	ds_load_b64 v[94:95], v56
	s_wait_dscnt 0x0
	v_pk_mul_f32 v[96:97], v[94:95], v[40:41] op_sel:[1,1] op_sel_hi:[0,1]
	s_delay_alu instid0(VALU_DEP_1) | instskip(SKIP_1) | instid1(VALU_DEP_2)
	v_pk_fma_f32 v[98:99], v[94:95], v[40:41], v[96:97] op_sel_hi:[1,0,1]
	v_pk_fma_f32 v[40:41], v[94:95], v[40:41], v[96:97] neg_lo:[0,0,1] neg_hi:[0,0,1]
	v_mov_b32_e32 v41, v99
	s_delay_alu instid0(VALU_DEP_1)
	v_pk_add_f32 v[38:39], v[38:39], v[40:41] neg_lo:[0,1] neg_hi:[0,1]
.LBB54_423:                             ;   in Loop: Header=BB54_3 Depth=1
	s_or_b32 exec_lo, exec_lo, s49
	s_barrier_signal -1
	s_barrier_wait -1
	s_and_saveexec_b32 s49, s40
	s_cbranch_execz .LBB54_425
; %bb.424:                              ;   in Loop: Header=BB54_3 Depth=1
	ds_load_b64 v[40:41], v3 offset:18720
	s_wait_dscnt 0x0
	v_pk_mul_f32 v[94:95], v[38:39], v[40:41]
	v_pk_mul_f32 v[38:39], v[38:39], v[40:41] op_sel:[1,0] op_sel_hi:[0,1]
	s_delay_alu instid0(VALU_DEP_1) | instskip(NEXT) | instid1(VALU_DEP_3)
	v_dual_mov_b32 v40, v94 :: v_dual_mov_b32 v41, v38
	v_mov_b32_e32 v38, v95
	s_delay_alu instid0(VALU_DEP_1) | instskip(SKIP_1) | instid1(VALU_DEP_2)
	v_pk_add_f32 v[94:95], v[40:41], v[38:39]
	v_pk_add_f32 v[38:39], v[40:41], v[38:39] neg_lo:[0,1] neg_hi:[0,1]
	v_mov_b32_e32 v39, v95
	s_delay_alu instid0(VALU_DEP_1)
	v_pk_add_f32 v[40:41], v[38:39], 0 neg_lo:[1,1] neg_hi:[1,1]
	ds_store_b64 v56, v[40:41]
.LBB54_425:                             ;   in Loop: Header=BB54_3 Depth=1
	s_or_b32 exec_lo, exec_lo, s49
	s_wait_dscnt 0x0
	s_barrier_signal -1
	s_barrier_wait -1
	s_and_saveexec_b32 s49, s41
	s_cbranch_execz .LBB54_427
; %bb.426:                              ;   in Loop: Header=BB54_3 Depth=1
	ds_load_b64 v[40:41], v57 offset:18688
	ds_load_b64 v[94:95], v56
	s_wait_dscnt 0x0
	v_dual_mul_f32 v2, v95, v41 :: v_dual_mul_f32 v41, v94, v41
	s_delay_alu instid0(VALU_DEP_1) | instskip(NEXT) | instid1(VALU_DEP_1)
	v_dual_fma_f32 v2, v94, v40, -v2 :: v_dual_fmac_f32 v41, v95, v40
	v_dual_sub_f32 v38, v38, v2 :: v_dual_sub_f32 v39, v39, v41
.LBB54_427:                             ;   in Loop: Header=BB54_3 Depth=1
	s_or_b32 exec_lo, exec_lo, s49
	s_barrier_signal -1
	s_barrier_wait -1
	s_and_saveexec_b32 s49, s42
	s_cbranch_execz .LBB54_429
; %bb.428:                              ;   in Loop: Header=BB54_3 Depth=1
	ds_load_b64 v[40:41], v3 offset:18200
	s_wait_dscnt 0x0
	v_dual_mul_f32 v2, v39, v40 :: v_dual_mul_f32 v42, v39, v41
	s_delay_alu instid0(VALU_DEP_1) | instskip(NEXT) | instid1(VALU_DEP_2)
	v_pk_fma_f32 v[94:95], v[38:39], v[40:41], v[2:3] op_sel:[1,0,0] op_sel_hi:[0,1,0]
	v_pk_fma_f32 v[38:39], v[38:39], v[40:41], v[42:43] op_sel_hi:[1,1,0] neg_lo:[0,0,1] neg_hi:[0,0,1]
	s_delay_alu instid0(VALU_DEP_2) | instskip(NEXT) | instid1(VALU_DEP_1)
	v_mov_b32_e32 v39, v95
	v_pk_add_f32 v[40:41], v[38:39], 0 neg_lo:[1,1] neg_hi:[1,1]
	ds_store_b64 v56, v[40:41]
.LBB54_429:                             ;   in Loop: Header=BB54_3 Depth=1
	s_or_b32 exec_lo, exec_lo, s49
	s_wait_dscnt 0x0
	s_barrier_signal -1
	s_barrier_wait -1
	s_and_saveexec_b32 s49, s43
	s_cbranch_execz .LBB54_431
; %bb.430:                              ;   in Loop: Header=BB54_3 Depth=1
	ds_load_b64 v[40:41], v57 offset:18176
	ds_load_b64 v[94:95], v56
	s_wait_dscnt 0x0
	v_pk_mul_f32 v[96:97], v[94:95], v[40:41] op_sel:[1,1] op_sel_hi:[0,1]
	s_delay_alu instid0(VALU_DEP_1) | instskip(SKIP_1) | instid1(VALU_DEP_2)
	v_pk_fma_f32 v[98:99], v[94:95], v[40:41], v[96:97] op_sel_hi:[1,0,1]
	v_pk_fma_f32 v[40:41], v[94:95], v[40:41], v[96:97] neg_lo:[0,0,1] neg_hi:[0,0,1]
	v_mov_b32_e32 v41, v99
	s_delay_alu instid0(VALU_DEP_1)
	v_pk_add_f32 v[38:39], v[38:39], v[40:41] neg_lo:[0,1] neg_hi:[0,1]
.LBB54_431:                             ;   in Loop: Header=BB54_3 Depth=1
	s_or_b32 exec_lo, exec_lo, s49
	s_barrier_signal -1
	s_barrier_wait -1
	s_and_saveexec_b32 s49, s44
	s_cbranch_execz .LBB54_433
; %bb.432:                              ;   in Loop: Header=BB54_3 Depth=1
	ds_load_b64 v[40:41], v3 offset:17680
	s_wait_dscnt 0x0
	v_pk_mul_f32 v[94:95], v[38:39], v[40:41] op_sel:[1,1] op_sel_hi:[1,0]
	s_delay_alu instid0(VALU_DEP_1) | instskip(SKIP_1) | instid1(VALU_DEP_2)
	v_pk_fma_f32 v[96:97], v[38:39], v[40:41], v[94:95] op_sel_hi:[0,1,1]
	v_pk_fma_f32 v[38:39], v[38:39], v[40:41], v[94:95] neg_lo:[0,0,1] neg_hi:[0,0,1]
	v_mov_b32_e32 v39, v97
	s_delay_alu instid0(VALU_DEP_1)
	v_pk_add_f32 v[40:41], v[38:39], 0 neg_lo:[1,1] neg_hi:[1,1]
	ds_store_b64 v56, v[40:41]
.LBB54_433:                             ;   in Loop: Header=BB54_3 Depth=1
	s_or_b32 exec_lo, exec_lo, s49
	s_wait_dscnt 0x0
	s_barrier_signal -1
	s_barrier_wait -1
	s_and_saveexec_b32 s49, s45
	s_cbranch_execz .LBB54_435
; %bb.434:                              ;   in Loop: Header=BB54_3 Depth=1
	ds_load_b64 v[40:41], v57 offset:17664
	ds_load_b64 v[94:95], v56
	s_wait_dscnt 0x0
	v_pk_mul_f32 v[96:97], v[94:95], v[40:41] op_sel:[1,1] op_sel_hi:[0,1]
	s_delay_alu instid0(VALU_DEP_1) | instskip(SKIP_1) | instid1(VALU_DEP_2)
	v_pk_fma_f32 v[98:99], v[94:95], v[40:41], v[96:97] op_sel_hi:[1,0,1]
	v_pk_fma_f32 v[40:41], v[94:95], v[40:41], v[96:97] neg_lo:[0,0,1] neg_hi:[0,0,1]
	v_mov_b32_e32 v41, v99
	s_delay_alu instid0(VALU_DEP_1)
	v_pk_add_f32 v[38:39], v[38:39], v[40:41] neg_lo:[0,1] neg_hi:[0,1]
.LBB54_435:                             ;   in Loop: Header=BB54_3 Depth=1
	s_or_b32 exec_lo, exec_lo, s49
	s_barrier_signal -1
	s_barrier_wait -1
	s_and_saveexec_b32 s49, s46
	s_cbranch_execz .LBB54_437
; %bb.436:                              ;   in Loop: Header=BB54_3 Depth=1
	ds_load_b64 v[40:41], v3 offset:17160
	s_wait_dscnt 0x0
	v_pk_mul_f32 v[94:95], v[38:39], v[40:41] op_sel:[1,1] op_sel_hi:[1,0]
	s_delay_alu instid0(VALU_DEP_1) | instskip(SKIP_1) | instid1(VALU_DEP_2)
	v_pk_fma_f32 v[96:97], v[38:39], v[40:41], v[94:95] op_sel_hi:[0,1,1]
	v_pk_fma_f32 v[38:39], v[38:39], v[40:41], v[94:95] neg_lo:[0,0,1] neg_hi:[0,0,1]
	v_mov_b32_e32 v39, v97
	s_delay_alu instid0(VALU_DEP_1)
	v_pk_add_f32 v[40:41], v[38:39], 0 neg_lo:[1,1] neg_hi:[1,1]
	ds_store_b64 v56, v[40:41]
.LBB54_437:                             ;   in Loop: Header=BB54_3 Depth=1
	;; [unrolled: 35-line block ×3, first 2 shown]
	s_or_b32 exec_lo, exec_lo, s49
	s_wait_dscnt 0x0
	s_barrier_signal -1
	s_barrier_wait -1
	s_barrier_signal -1
	s_barrier_wait -1
	s_and_saveexec_b32 s49, s3
; %bb.442:                              ;   in Loop: Header=BB54_3 Depth=1
	ds_store_b64 v59, v[38:39] offset:24320
; %bb.443:                              ;   in Loop: Header=BB54_3 Depth=1
	s_or_b32 exec_lo, exec_lo, s49
	s_wait_dscnt 0x0
	s_barrier_signal -1
	s_barrier_wait -1
	s_barrier_signal -1
	s_barrier_wait -1
	s_and_saveexec_b32 s49, s48
	s_cbranch_execz .LBB54_445
; %bb.444:                              ;   in Loop: Header=BB54_3 Depth=1
	ds_load_b64 v[38:39], v72 offset:20736
	s_wait_dscnt 0x0
	ds_store_b64 v73, v[38:39] offset:16704
	ds_load_b64 v[38:39], v72 offset:20744
	s_wait_dscnt 0x0
	ds_store_b64 v73, v[38:39] offset:17216
	;; [unrolled: 3-line block ×8, first 2 shown]
.LBB54_445:                             ;   in Loop: Header=BB54_3 Depth=1
	s_or_b32 exec_lo, exec_lo, s49
	s_wait_dscnt 0x0
	s_barrier_signal -1
	s_barrier_wait -1
	s_and_saveexec_b32 s49, s14
	s_cbranch_execz .LBB54_447
; %bb.446:                              ;   in Loop: Header=BB54_3 Depth=1
	v_add_nc_u32_e64 v2, 0x130, 0
	ds_load_b64 v[94:95], v3 offset:20280
	ds_load_2addr_stride64_b64 v[38:41], v2 offset0:38 offset1:39
	s_wait_dscnt 0x0
	v_dual_mul_f32 v42, v95, v39 :: v_dual_mul_f32 v2, v94, v39
	s_delay_alu instid0(VALU_DEP_1) | instskip(NEXT) | instid1(VALU_DEP_2)
	v_xor_b32_e32 v42, 0x80000000, v42
	v_fmac_f32_e32 v2, v95, v38
	s_delay_alu instid0(VALU_DEP_2) | instskip(NEXT) | instid1(VALU_DEP_2)
	v_fmac_f32_e32 v42, v94, v38
	v_pk_mul_f32 v[38:39], v[2:3], v[40:41] op_sel:[0,1] op_sel_hi:[0,0]
	v_add_nc_u32_e64 v2, 0x4800, 0
	s_delay_alu instid0(VALU_DEP_2) | instskip(SKIP_1) | instid1(VALU_DEP_2)
	v_pk_fma_f32 v[94:95], v[42:43], v[40:41], v[38:39] op_sel_hi:[0,1,1]
	v_pk_fma_f32 v[38:39], v[42:43], v[40:41], v[38:39] neg_lo:[0,0,1] neg_hi:[0,0,1]
	v_mov_b32_e32 v39, v95
	ds_store_2addr_b64 v2, v[38:39], v[38:39] offset0:167 offset1:230
.LBB54_447:                             ;   in Loop: Header=BB54_3 Depth=1
	s_or_b32 exec_lo, exec_lo, s49
	v_dual_mov_b32 v38, 0 :: v_dual_mov_b32 v39, 0
	s_wait_dscnt 0x0
	s_barrier_signal -1
	s_barrier_wait -1
	global_wb scope:SCOPE_DEV
	s_wait_storecnt 0x0
	global_inv scope:SCOPE_DEV
	s_and_saveexec_b32 s65, s0
	s_cbranch_execz .LBB54_451
; %bb.448:                              ;   in Loop: Header=BB54_3 Depth=1
	ds_load_b64 v[38:39], v45 offset:19744
	ds_load_b64 v[40:41], v46 offset:20272
	s_wait_dscnt 0x0
	v_pk_mul_f32 v[94:95], v[40:41], v[38:39] op_sel:[1,1] op_sel_hi:[0,1]
	s_delay_alu instid0(VALU_DEP_1) | instskip(SKIP_1) | instid1(VALU_DEP_2)
	v_pk_fma_f32 v[96:97], v[40:41], v[38:39], v[94:95] op_sel_hi:[1,0,1]
	v_pk_fma_f32 v[38:39], v[40:41], v[38:39], v[94:95] neg_lo:[0,0,1] neg_hi:[0,0,1]
	v_mov_b32_e32 v39, v97
	s_delay_alu instid0(VALU_DEP_1)
	v_pk_add_f32 v[38:39], v[38:39], 0 op_sel_hi:[1,0]
	s_and_saveexec_b32 s49, s15
	s_cbranch_execz .LBB54_450
; %bb.449:                              ;   in Loop: Header=BB54_3 Depth=1
	ds_load_b64 v[40:41], v73 offset:20256
	ds_load_b64 v[94:95], v3 offset:20280
	s_wait_dscnt 0x0
	v_pk_mul_f32 v[96:97], v[94:95], v[40:41] op_sel:[1,1] op_sel_hi:[0,1]
	s_delay_alu instid0(VALU_DEP_1) | instskip(SKIP_1) | instid1(VALU_DEP_2)
	v_pk_fma_f32 v[98:99], v[94:95], v[40:41], v[96:97] op_sel_hi:[1,0,1]
	v_pk_fma_f32 v[40:41], v[94:95], v[40:41], v[96:97] neg_lo:[0,0,1] neg_hi:[0,0,1]
	v_mov_b32_e32 v41, v99
	s_delay_alu instid0(VALU_DEP_1)
	v_pk_add_f32 v[38:39], v[38:39], v[40:41]
.LBB54_450:                             ;   in Loop: Header=BB54_3 Depth=1
	s_or_b32 exec_lo, exec_lo, s49
.LBB54_451:                             ;   in Loop: Header=BB54_3 Depth=1
	s_delay_alu instid0(SALU_CYCLE_1)
	s_or_b32 exec_lo, exec_lo, s65
	s_and_saveexec_b32 s49, s92
	s_cbranch_execz .LBB54_453
; %bb.452:                              ;   in Loop: Header=BB54_3 Depth=1
	ds_load_b64 v[40:41], v3 offset:19240
	s_wait_dscnt 0x0
	v_pk_mul_f32 v[94:95], v[38:39], v[40:41] op_sel:[1,1] op_sel_hi:[1,0]
	s_delay_alu instid0(VALU_DEP_1) | instskip(SKIP_1) | instid1(VALU_DEP_2)
	v_pk_fma_f32 v[96:97], v[38:39], v[40:41], v[94:95] op_sel_hi:[0,1,1]
	v_pk_fma_f32 v[38:39], v[38:39], v[40:41], v[94:95] neg_lo:[0,0,1] neg_hi:[0,0,1]
	v_mov_b32_e32 v39, v97
	s_delay_alu instid0(VALU_DEP_1)
	v_pk_add_f32 v[40:41], v[38:39], 0 neg_lo:[1,1] neg_hi:[1,1]
	ds_store_b64 v5, v[40:41]
.LBB54_453:                             ;   in Loop: Header=BB54_3 Depth=1
	s_or_b32 exec_lo, exec_lo, s49
	s_wait_loadcnt_dscnt 0x0
	s_barrier_signal -1
	s_barrier_wait -1
	s_and_saveexec_b32 s49, s93
	s_cbranch_execz .LBB54_455
; %bb.454:                              ;   in Loop: Header=BB54_3 Depth=1
	ds_load_b64 v[40:41], v3 offset:19232
	ds_load_b64 v[94:95], v5
	s_wait_dscnt 0x0
	v_pk_mul_f32 v[96:97], v[94:95], v[40:41] op_sel:[1,1] op_sel_hi:[0,1]
	s_delay_alu instid0(VALU_DEP_1) | instskip(SKIP_1) | instid1(VALU_DEP_2)
	v_pk_fma_f32 v[98:99], v[94:95], v[40:41], v[96:97] op_sel_hi:[1,0,1]
	v_pk_fma_f32 v[40:41], v[94:95], v[40:41], v[96:97] neg_lo:[0,0,1] neg_hi:[0,0,1]
	v_mov_b32_e32 v41, v99
	s_delay_alu instid0(VALU_DEP_1)
	v_pk_add_f32 v[38:39], v[38:39], v[40:41] neg_lo:[0,1] neg_hi:[0,1]
.LBB54_455:                             ;   in Loop: Header=BB54_3 Depth=1
	s_or_b32 exec_lo, exec_lo, s49
	s_barrier_signal -1
	s_barrier_wait -1
	s_and_saveexec_b32 s49, s93
	s_cbranch_execz .LBB54_457
; %bb.456:                              ;   in Loop: Header=BB54_3 Depth=1
	ds_load_b64 v[40:41], v3 offset:18720
	s_wait_dscnt 0x0
	v_pk_mul_f32 v[94:95], v[38:39], v[40:41] op_sel:[1,1] op_sel_hi:[1,0]
	s_delay_alu instid0(VALU_DEP_1) | instskip(SKIP_1) | instid1(VALU_DEP_2)
	v_pk_fma_f32 v[96:97], v[38:39], v[40:41], v[94:95] op_sel_hi:[0,1,1]
	v_pk_fma_f32 v[38:39], v[38:39], v[40:41], v[94:95] neg_lo:[0,0,1] neg_hi:[0,0,1]
	v_mov_b32_e32 v39, v97
	s_delay_alu instid0(VALU_DEP_1)
	v_pk_add_f32 v[40:41], v[38:39], 0 neg_lo:[1,1] neg_hi:[1,1]
	ds_store_b64 v5, v[40:41]
.LBB54_457:                             ;   in Loop: Header=BB54_3 Depth=1
	s_or_b32 exec_lo, exec_lo, s49
	s_wait_dscnt 0x0
	s_barrier_signal -1
	s_barrier_wait -1
	s_barrier_signal -1
	s_barrier_wait -1
	s_and_saveexec_b32 s49, s0
; %bb.458:                              ;   in Loop: Header=BB54_3 Depth=1
	ds_store_b64 v48, v[38:39] offset:20256
; %bb.459:                              ;   in Loop: Header=BB54_3 Depth=1
	s_or_b32 exec_lo, exec_lo, s49
	s_wait_dscnt 0x0
	s_barrier_signal -1
	s_barrier_wait -1
	s_barrier_signal -1
	s_barrier_wait -1
	s_and_saveexec_b32 s49, s94
	s_cbranch_execz .LBB54_461
; %bb.460:                              ;   in Loop: Header=BB54_3 Depth=1
	ds_load_b64 v[38:39], v74 offset:19744
	s_wait_dscnt 0x0
	ds_store_b64 v73, v[38:39] offset:18736
	ds_load_b64 v[38:39], v74 offset:19752
	s_wait_dscnt 0x0
	ds_store_b64 v73, v[38:39] offset:19248
.LBB54_461:                             ;   in Loop: Header=BB54_3 Depth=1
	s_or_b32 exec_lo, exec_lo, s49
	s_wait_dscnt 0x0
	s_barrier_signal -1
	s_barrier_wait -1
	s_and_saveexec_b32 s49, s14
	s_cbranch_execz .LBB54_463
; %bb.462:                              ;   in Loop: Header=BB54_3 Depth=1
	v_add_nc_u32_e64 v2, 0x120, 0
	ds_load_b64 v[94:95], v3 offset:19240
	ds_load_2addr_stride64_b64 v[38:41], v2 offset0:36 offset1:37
	s_wait_dscnt 0x0
	v_dual_mul_f32 v42, v95, v39 :: v_dual_mul_f32 v2, v94, v39
	s_delay_alu instid0(VALU_DEP_1) | instskip(NEXT) | instid1(VALU_DEP_2)
	v_xor_b32_e32 v42, 0x80000000, v42
	v_fmac_f32_e32 v2, v95, v38
	s_delay_alu instid0(VALU_DEP_2) | instskip(NEXT) | instid1(VALU_DEP_2)
	v_fmac_f32_e32 v42, v94, v38
	v_pk_mul_f32 v[38:39], v[2:3], v[40:41] op_sel:[0,1] op_sel_hi:[0,0]
	v_add_nc_u32_e64 v2, 0x4800, 0
	s_delay_alu instid0(VALU_DEP_2) | instskip(SKIP_1) | instid1(VALU_DEP_2)
	v_pk_fma_f32 v[94:95], v[42:43], v[40:41], v[38:39] op_sel_hi:[0,1,1]
	v_pk_fma_f32 v[38:39], v[42:43], v[40:41], v[38:39] neg_lo:[0,0,1] neg_hi:[0,0,1]
	v_mov_b32_e32 v39, v95
	ds_store_2addr_b64 v2, v[38:39], v[38:39] offset0:37 offset1:100
.LBB54_463:                             ;   in Loop: Header=BB54_3 Depth=1
	s_or_b32 exec_lo, exec_lo, s49
	v_mov_b64_e32 v[38:39], 0
	s_wait_dscnt 0x0
	s_barrier_signal -1
	s_barrier_wait -1
	global_wb scope:SCOPE_DEV
	s_wait_storecnt 0x0
	global_inv scope:SCOPE_DEV
	s_and_saveexec_b32 s65, s2
	s_cbranch_execz .LBB54_469
; %bb.464:                              ;   in Loop: Header=BB54_3 Depth=1
	ds_load_b64 v[38:39], v51 offset:18688
	ds_load_b64 v[40:41], v52 offset:20256
	s_wait_dscnt 0x0
	v_dual_mul_f32 v2, v41, v39 :: v_dual_mul_f32 v39, v40, v39
	s_delay_alu instid0(VALU_DEP_1) | instskip(NEXT) | instid1(VALU_DEP_1)
	v_dual_fma_f32 v2, v40, v38, -v2 :: v_dual_fmac_f32 v39, v41, v38
	v_dual_add_f32 v38, 0, v2 :: v_dual_add_f32 v39, 0, v39
	s_and_saveexec_b32 s49, s16
	s_cbranch_execnz .LBB54_1146
; %bb.465:                              ;   in Loop: Header=BB54_3 Depth=1
	s_or_b32 exec_lo, exec_lo, s49
	s_and_saveexec_b32 s49, s17
	s_cbranch_execnz .LBB54_1147
.LBB54_466:                             ;   in Loop: Header=BB54_3 Depth=1
	s_or_b32 exec_lo, exec_lo, s49
	s_and_saveexec_b32 s49, s0
	s_cbranch_execz .LBB54_468
.LBB54_467:                             ;   in Loop: Header=BB54_3 Depth=1
	ds_load_b64 v[40:41], v75 offset:20224
	ds_load_b64 v[94:95], v3 offset:20280
	s_wait_dscnt 0x0
	v_dual_mul_f32 v2, v95, v41 :: v_dual_mul_f32 v41, v94, v41
	s_delay_alu instid0(VALU_DEP_1) | instskip(NEXT) | instid1(VALU_DEP_1)
	v_dual_fma_f32 v2, v94, v40, -v2 :: v_dual_fmac_f32 v41, v95, v40
	v_dual_add_f32 v38, v38, v2 :: v_dual_add_f32 v39, v39, v41
.LBB54_468:                             ;   in Loop: Header=BB54_3 Depth=1
	s_or_b32 exec_lo, exec_lo, s49
.LBB54_469:                             ;   in Loop: Header=BB54_3 Depth=1
	s_delay_alu instid0(SALU_CYCLE_1)
	s_or_b32 exec_lo, exec_lo, s65
	s_and_saveexec_b32 s49, s95
	s_cbranch_execz .LBB54_471
; %bb.470:                              ;   in Loop: Header=BB54_3 Depth=1
	ds_load_b64 v[40:41], v3 offset:18200
	s_wait_dscnt 0x0
	v_dual_mul_f32 v2, v39, v40 :: v_dual_mul_f32 v42, v39, v41
	s_delay_alu instid0(VALU_DEP_1) | instskip(NEXT) | instid1(VALU_DEP_2)
	v_pk_fma_f32 v[94:95], v[38:39], v[40:41], v[2:3] op_sel:[1,0,0] op_sel_hi:[0,1,0]
	v_pk_fma_f32 v[38:39], v[38:39], v[40:41], v[42:43] op_sel_hi:[1,1,0] neg_lo:[0,0,1] neg_hi:[0,0,1]
	s_delay_alu instid0(VALU_DEP_2) | instskip(NEXT) | instid1(VALU_DEP_1)
	v_mov_b32_e32 v39, v95
	v_pk_add_f32 v[40:41], v[38:39], 0 neg_lo:[1,1] neg_hi:[1,1]
	ds_store_b64 v50, v[40:41]
.LBB54_471:                             ;   in Loop: Header=BB54_3 Depth=1
	s_or_b32 exec_lo, exec_lo, s49
	s_wait_loadcnt_dscnt 0x0
	s_barrier_signal -1
	s_barrier_wait -1
	s_and_saveexec_b32 s49, s96
	s_cbranch_execz .LBB54_473
; %bb.472:                              ;   in Loop: Header=BB54_3 Depth=1
	ds_load_b64 v[40:41], v51 offset:18176
	ds_load_b64 v[94:95], v50
	s_wait_dscnt 0x0
	v_pk_mul_f32 v[96:97], v[94:95], v[40:41] op_sel:[1,1] op_sel_hi:[0,1]
	s_delay_alu instid0(VALU_DEP_1) | instskip(SKIP_1) | instid1(VALU_DEP_2)
	v_pk_fma_f32 v[98:99], v[94:95], v[40:41], v[96:97] op_sel_hi:[1,0,1]
	v_pk_fma_f32 v[40:41], v[94:95], v[40:41], v[96:97] neg_lo:[0,0,1] neg_hi:[0,0,1]
	v_mov_b32_e32 v41, v99
	s_delay_alu instid0(VALU_DEP_1)
	v_pk_add_f32 v[38:39], v[38:39], v[40:41] neg_lo:[0,1] neg_hi:[0,1]
.LBB54_473:                             ;   in Loop: Header=BB54_3 Depth=1
	s_or_b32 exec_lo, exec_lo, s49
	s_barrier_signal -1
	s_barrier_wait -1
	s_and_saveexec_b32 s49, s97
	s_cbranch_execz .LBB54_475
; %bb.474:                              ;   in Loop: Header=BB54_3 Depth=1
	ds_load_b64 v[40:41], v3 offset:17680
	s_wait_dscnt 0x0
	v_pk_mul_f32 v[94:95], v[38:39], v[40:41] op_sel:[1,1] op_sel_hi:[1,0]
	s_delay_alu instid0(VALU_DEP_1) | instskip(SKIP_1) | instid1(VALU_DEP_2)
	v_pk_fma_f32 v[96:97], v[38:39], v[40:41], v[94:95] op_sel_hi:[0,1,1]
	v_pk_fma_f32 v[38:39], v[38:39], v[40:41], v[94:95] neg_lo:[0,0,1] neg_hi:[0,0,1]
	v_mov_b32_e32 v39, v97
	s_delay_alu instid0(VALU_DEP_1)
	v_pk_add_f32 v[40:41], v[38:39], 0 neg_lo:[1,1] neg_hi:[1,1]
	ds_store_b64 v50, v[40:41]
.LBB54_475:                             ;   in Loop: Header=BB54_3 Depth=1
	s_or_b32 exec_lo, exec_lo, s49
	s_wait_dscnt 0x0
	s_barrier_signal -1
	s_barrier_wait -1
	s_and_saveexec_b32 s49, s98
	s_cbranch_execz .LBB54_477
; %bb.476:                              ;   in Loop: Header=BB54_3 Depth=1
	ds_load_b64 v[40:41], v51 offset:17664
	ds_load_b64 v[94:95], v50
	s_wait_dscnt 0x0
	v_pk_mul_f32 v[96:97], v[94:95], v[40:41] op_sel:[1,1] op_sel_hi:[0,1]
	s_delay_alu instid0(VALU_DEP_1) | instskip(SKIP_1) | instid1(VALU_DEP_2)
	v_pk_fma_f32 v[98:99], v[94:95], v[40:41], v[96:97] op_sel_hi:[1,0,1]
	v_pk_fma_f32 v[40:41], v[94:95], v[40:41], v[96:97] neg_lo:[0,0,1] neg_hi:[0,0,1]
	v_mov_b32_e32 v41, v99
	s_delay_alu instid0(VALU_DEP_1)
	v_pk_add_f32 v[38:39], v[38:39], v[40:41] neg_lo:[0,1] neg_hi:[0,1]
.LBB54_477:                             ;   in Loop: Header=BB54_3 Depth=1
	s_or_b32 exec_lo, exec_lo, s49
	s_barrier_signal -1
	s_barrier_wait -1
	s_and_saveexec_b32 s49, s99
	s_cbranch_execz .LBB54_479
; %bb.478:                              ;   in Loop: Header=BB54_3 Depth=1
	ds_load_b64 v[40:41], v3 offset:17160
	s_wait_dscnt 0x0
	v_pk_mul_f32 v[94:95], v[38:39], v[40:41] op_sel:[1,1] op_sel_hi:[1,0]
	s_delay_alu instid0(VALU_DEP_1) | instskip(SKIP_1) | instid1(VALU_DEP_2)
	v_pk_fma_f32 v[96:97], v[38:39], v[40:41], v[94:95] op_sel_hi:[0,1,1]
	v_pk_fma_f32 v[38:39], v[38:39], v[40:41], v[94:95] neg_lo:[0,0,1] neg_hi:[0,0,1]
	v_mov_b32_e32 v39, v97
	s_delay_alu instid0(VALU_DEP_1)
	v_pk_add_f32 v[40:41], v[38:39], 0 neg_lo:[1,1] neg_hi:[1,1]
	ds_store_b64 v50, v[40:41]
.LBB54_479:                             ;   in Loop: Header=BB54_3 Depth=1
	s_or_b32 exec_lo, exec_lo, s49
	s_wait_dscnt 0x0
	;; [unrolled: 35-line block ×3, first 2 shown]
	s_barrier_signal -1
	s_barrier_wait -1
	s_barrier_signal -1
	s_barrier_wait -1
	s_and_saveexec_b32 s49, s2
; %bb.484:                              ;   in Loop: Header=BB54_3 Depth=1
	ds_store_b64 v55, v[38:39] offset:20224
; %bb.485:                              ;   in Loop: Header=BB54_3 Depth=1
	s_or_b32 exec_lo, exec_lo, s49
	s_wait_dscnt 0x0
	s_barrier_signal -1
	s_barrier_wait -1
	s_barrier_signal -1
	s_barrier_wait -1
	s_and_saveexec_b32 s49, s101
	s_cbranch_execz .LBB54_487
; %bb.486:                              ;   in Loop: Header=BB54_3 Depth=1
	ds_load_b64 v[38:39], v79 offset:18688
	s_wait_dscnt 0x0
	ds_store_b64 v82, v[38:39] offset:16672
	ds_load_b64 v[38:39], v79 offset:18696
	s_wait_dscnt 0x0
	ds_store_b64 v82, v[38:39] offset:17184
	ds_load_b64 v[38:39], v79 offset:18704
	s_wait_dscnt 0x0
	ds_store_b64 v82, v[38:39] offset:17696
	ds_load_b64 v[38:39], v79 offset:18712
	s_wait_dscnt 0x0
	ds_store_b64 v82, v[38:39] offset:18208
.LBB54_487:                             ;   in Loop: Header=BB54_3 Depth=1
	s_or_b32 exec_lo, exec_lo, s49
	s_wait_dscnt 0x0
	s_barrier_signal -1
	s_barrier_wait -1
	s_and_saveexec_b32 s49, s14
	s_cbranch_execz .LBB54_489
; %bb.488:                              ;   in Loop: Header=BB54_3 Depth=1
	v_add_nc_u32_e64 v2, 0x110, 0
	ds_load_b64 v[94:95], v3 offset:18200
	ds_load_2addr_stride64_b64 v[38:41], v2 offset0:34 offset1:35
	s_wait_dscnt 0x0
	v_dual_mul_f32 v42, v95, v39 :: v_dual_mul_f32 v2, v94, v39
	s_delay_alu instid0(VALU_DEP_1) | instskip(NEXT) | instid1(VALU_DEP_2)
	v_xor_b32_e32 v42, 0x80000000, v42
	v_fmac_f32_e32 v2, v95, v38
	s_delay_alu instid0(VALU_DEP_2) | instskip(NEXT) | instid1(VALU_DEP_2)
	v_fmac_f32_e32 v42, v94, v38
	v_pk_mul_f32 v[38:39], v[2:3], v[40:41] op_sel:[0,1] op_sel_hi:[0,0]
	v_add_nc_u32_e64 v2, 0x4000, 0
	s_delay_alu instid0(VALU_DEP_2) | instskip(SKIP_1) | instid1(VALU_DEP_2)
	v_pk_fma_f32 v[94:95], v[42:43], v[40:41], v[38:39] op_sel_hi:[0,1,1]
	v_pk_fma_f32 v[38:39], v[42:43], v[40:41], v[38:39] neg_lo:[0,0,1] neg_hi:[0,0,1]
	v_mov_b32_e32 v39, v95
	ds_store_2addr_b64 v2, v[38:39], v[38:39] offset0:163 offset1:226
.LBB54_489:                             ;   in Loop: Header=BB54_3 Depth=1
	s_or_b32 exec_lo, exec_lo, s49
	v_dual_mov_b32 v38, 0 :: v_dual_mov_b32 v39, 0
	s_wait_dscnt 0x0
	s_barrier_signal -1
	s_barrier_wait -1
	global_wb scope:SCOPE_DEV
	s_wait_storecnt 0x0
	global_inv scope:SCOPE_DEV
	s_and_saveexec_b32 s65, s0
	s_cbranch_execz .LBB54_493
; %bb.490:                              ;   in Loop: Header=BB54_3 Depth=1
	ds_load_b64 v[38:39], v45 offset:17664
	ds_load_b64 v[40:41], v46 offset:18192
	s_wait_dscnt 0x0
	v_pk_mul_f32 v[94:95], v[40:41], v[38:39] op_sel:[1,1] op_sel_hi:[0,1]
	s_delay_alu instid0(VALU_DEP_1) | instskip(SKIP_1) | instid1(VALU_DEP_2)
	v_pk_fma_f32 v[96:97], v[40:41], v[38:39], v[94:95] op_sel_hi:[1,0,1]
	v_pk_fma_f32 v[38:39], v[40:41], v[38:39], v[94:95] neg_lo:[0,0,1] neg_hi:[0,0,1]
	v_mov_b32_e32 v39, v97
	s_delay_alu instid0(VALU_DEP_1)
	v_pk_add_f32 v[38:39], v[38:39], 0 op_sel_hi:[1,0]
	s_and_saveexec_b32 s49, s15
	s_cbranch_execz .LBB54_492
; %bb.491:                              ;   in Loop: Header=BB54_3 Depth=1
	ds_load_b64 v[40:41], v82 offset:18176
	ds_load_b64 v[94:95], v3 offset:18200
	s_wait_dscnt 0x0
	v_pk_mul_f32 v[96:97], v[94:95], v[40:41] op_sel:[1,1] op_sel_hi:[0,1]
	s_delay_alu instid0(VALU_DEP_1) | instskip(SKIP_1) | instid1(VALU_DEP_2)
	v_pk_fma_f32 v[98:99], v[94:95], v[40:41], v[96:97] op_sel_hi:[1,0,1]
	v_pk_fma_f32 v[40:41], v[94:95], v[40:41], v[96:97] neg_lo:[0,0,1] neg_hi:[0,0,1]
	v_mov_b32_e32 v41, v99
	s_delay_alu instid0(VALU_DEP_1)
	v_pk_add_f32 v[38:39], v[38:39], v[40:41]
.LBB54_492:                             ;   in Loop: Header=BB54_3 Depth=1
	s_or_b32 exec_lo, exec_lo, s49
.LBB54_493:                             ;   in Loop: Header=BB54_3 Depth=1
	s_delay_alu instid0(SALU_CYCLE_1)
	s_or_b32 exec_lo, exec_lo, s65
	s_and_saveexec_b32 s49, s92
	s_cbranch_execz .LBB54_495
; %bb.494:                              ;   in Loop: Header=BB54_3 Depth=1
	ds_load_b64 v[40:41], v3 offset:17160
	s_wait_dscnt 0x0
	v_pk_mul_f32 v[94:95], v[38:39], v[40:41] op_sel:[1,1] op_sel_hi:[1,0]
	s_delay_alu instid0(VALU_DEP_1) | instskip(SKIP_1) | instid1(VALU_DEP_2)
	v_pk_fma_f32 v[96:97], v[38:39], v[40:41], v[94:95] op_sel_hi:[0,1,1]
	v_pk_fma_f32 v[38:39], v[38:39], v[40:41], v[94:95] neg_lo:[0,0,1] neg_hi:[0,0,1]
	v_mov_b32_e32 v39, v97
	s_delay_alu instid0(VALU_DEP_1)
	v_pk_add_f32 v[40:41], v[38:39], 0 neg_lo:[1,1] neg_hi:[1,1]
	ds_store_b64 v5, v[40:41]
.LBB54_495:                             ;   in Loop: Header=BB54_3 Depth=1
	s_or_b32 exec_lo, exec_lo, s49
	s_wait_loadcnt_dscnt 0x0
	s_barrier_signal -1
	s_barrier_wait -1
	s_and_saveexec_b32 s49, s93
	s_cbranch_execz .LBB54_497
; %bb.496:                              ;   in Loop: Header=BB54_3 Depth=1
	ds_load_b64 v[40:41], v3 offset:17152
	ds_load_b64 v[94:95], v5
	s_wait_dscnt 0x0
	v_pk_mul_f32 v[96:97], v[94:95], v[40:41] op_sel:[1,1] op_sel_hi:[0,1]
	s_delay_alu instid0(VALU_DEP_1) | instskip(SKIP_1) | instid1(VALU_DEP_2)
	v_pk_fma_f32 v[98:99], v[94:95], v[40:41], v[96:97] op_sel_hi:[1,0,1]
	v_pk_fma_f32 v[40:41], v[94:95], v[40:41], v[96:97] neg_lo:[0,0,1] neg_hi:[0,0,1]
	v_mov_b32_e32 v41, v99
	s_delay_alu instid0(VALU_DEP_1)
	v_pk_add_f32 v[38:39], v[38:39], v[40:41] neg_lo:[0,1] neg_hi:[0,1]
.LBB54_497:                             ;   in Loop: Header=BB54_3 Depth=1
	s_or_b32 exec_lo, exec_lo, s49
	s_barrier_signal -1
	s_barrier_wait -1
	s_and_saveexec_b32 s49, s93
	s_cbranch_execz .LBB54_499
; %bb.498:                              ;   in Loop: Header=BB54_3 Depth=1
	ds_load_b64 v[40:41], v3 offset:16640
	s_wait_dscnt 0x0
	v_pk_mul_f32 v[94:95], v[38:39], v[40:41] op_sel:[1,1] op_sel_hi:[1,0]
	s_delay_alu instid0(VALU_DEP_1) | instskip(SKIP_1) | instid1(VALU_DEP_2)
	v_pk_fma_f32 v[96:97], v[38:39], v[40:41], v[94:95] op_sel_hi:[0,1,1]
	v_pk_fma_f32 v[38:39], v[38:39], v[40:41], v[94:95] neg_lo:[0,0,1] neg_hi:[0,0,1]
	v_mov_b32_e32 v39, v97
	s_delay_alu instid0(VALU_DEP_1)
	v_pk_add_f32 v[40:41], v[38:39], 0 neg_lo:[1,1] neg_hi:[1,1]
	ds_store_b64 v5, v[40:41]
.LBB54_499:                             ;   in Loop: Header=BB54_3 Depth=1
	s_or_b32 exec_lo, exec_lo, s49
	s_wait_dscnt 0x0
	s_barrier_signal -1
	s_barrier_wait -1
	s_barrier_signal -1
	s_barrier_wait -1
	s_and_saveexec_b32 s49, s0
; %bb.500:                              ;   in Loop: Header=BB54_3 Depth=1
	ds_store_b64 v48, v[38:39] offset:18176
; %bb.501:                              ;   in Loop: Header=BB54_3 Depth=1
	s_or_b32 exec_lo, exec_lo, s49
	s_wait_dscnt 0x0
	s_barrier_signal -1
	s_barrier_wait -1
	s_barrier_signal -1
	s_barrier_wait -1
	s_and_saveexec_b32 s49, s94
	s_cbranch_execz .LBB54_503
; %bb.502:                              ;   in Loop: Header=BB54_3 Depth=1
	ds_load_b64 v[38:39], v83 offset:17664
	s_wait_dscnt 0x0
	ds_store_b64 v82, v[38:39] offset:16656
	ds_load_b64 v[38:39], v83 offset:17672
	s_wait_dscnt 0x0
	ds_store_b64 v82, v[38:39] offset:17168
.LBB54_503:                             ;   in Loop: Header=BB54_3 Depth=1
	s_or_b32 exec_lo, exec_lo, s49
	s_wait_dscnt 0x0
	s_barrier_signal -1
	s_barrier_wait -1
	s_and_saveexec_b32 s49, s14
	s_cbranch_execz .LBB54_505
; %bb.504:                              ;   in Loop: Header=BB54_3 Depth=1
	v_add_nc_u32_e64 v2, 0x100, 0
	ds_load_b64 v[94:95], v3 offset:17160
	ds_load_2addr_stride64_b64 v[38:41], v2 offset0:32 offset1:33
	s_wait_dscnt 0x0
	v_dual_mul_f32 v42, v95, v39 :: v_dual_mul_f32 v2, v94, v39
	s_delay_alu instid0(VALU_DEP_1) | instskip(NEXT) | instid1(VALU_DEP_2)
	v_xor_b32_e32 v42, 0x80000000, v42
	v_fmac_f32_e32 v2, v95, v38
	s_delay_alu instid0(VALU_DEP_2) | instskip(NEXT) | instid1(VALU_DEP_2)
	v_fmac_f32_e32 v42, v94, v38
	v_pk_mul_f32 v[38:39], v[2:3], v[40:41] op_sel:[0,1] op_sel_hi:[0,0]
	v_add_nc_u32_e64 v2, 0x4000, 0
	s_delay_alu instid0(VALU_DEP_2) | instskip(SKIP_1) | instid1(VALU_DEP_2)
	v_pk_fma_f32 v[94:95], v[42:43], v[40:41], v[38:39] op_sel_hi:[0,1,1]
	v_pk_fma_f32 v[38:39], v[42:43], v[40:41], v[38:39] neg_lo:[0,0,1] neg_hi:[0,0,1]
	v_mov_b32_e32 v39, v95
	ds_store_2addr_b64 v2, v[38:39], v[38:39] offset0:33 offset1:96
.LBB54_505:                             ;   in Loop: Header=BB54_3 Depth=1
	s_or_b32 exec_lo, exec_lo, s49
	v_mov_b64_e32 v[38:39], 0
	s_wait_dscnt 0x0
	s_barrier_signal -1
	s_barrier_wait -1
	global_wb scope:SCOPE_DEV
	s_wait_storecnt 0x0
	global_inv scope:SCOPE_DEV
	s_and_saveexec_b32 s65, s35
	s_cbranch_execz .LBB54_567
; %bb.506:                              ;   in Loop: Header=BB54_3 Depth=1
	ds_load_b64 v[38:39], v64 offset:16384
	ds_load_b64 v[40:41], v66 offset:32512
	v_readlane_b32 s50, v106, 9
	s_wait_dscnt 0x0
	v_dual_mul_f32 v2, v41, v39 :: v_dual_mul_f32 v39, v40, v39
	s_delay_alu instid0(VALU_DEP_1) | instskip(NEXT) | instid1(VALU_DEP_1)
	v_dual_fma_f32 v2, v40, v38, -v2 :: v_dual_fmac_f32 v39, v41, v38
	v_dual_add_f32 v38, 0, v2 :: v_dual_add_f32 v39, 0, v39
	s_and_saveexec_b32 s49, s50
	s_cbranch_execz .LBB54_508
; %bb.507:                              ;   in Loop: Header=BB54_3 Depth=1
	ds_load_b64 v[40:41], v64 offset:16896
	ds_load_b64 v[94:95], v66 offset:32520
	s_wait_dscnt 0x0
	v_dual_mul_f32 v2, v95, v41 :: v_dual_mul_f32 v41, v94, v41
	s_delay_alu instid0(VALU_DEP_1) | instskip(NEXT) | instid1(VALU_DEP_1)
	v_dual_fma_f32 v2, v94, v40, -v2 :: v_dual_fmac_f32 v41, v95, v40
	v_dual_add_f32 v38, v38, v2 :: v_dual_add_f32 v39, v39, v41
.LBB54_508:                             ;   in Loop: Header=BB54_3 Depth=1
	s_or_b32 exec_lo, exec_lo, s49
	v_readlane_b32 s50, v106, 10
	s_and_saveexec_b32 s49, s50
	s_cbranch_execz .LBB54_510
; %bb.509:                              ;   in Loop: Header=BB54_3 Depth=1
	ds_load_b64 v[40:41], v64 offset:17408
	ds_load_b64 v[94:95], v66 offset:32528
	s_wait_dscnt 0x0
	v_dual_mul_f32 v2, v95, v41 :: v_dual_mul_f32 v41, v94, v41
	s_delay_alu instid0(VALU_DEP_1) | instskip(NEXT) | instid1(VALU_DEP_1)
	v_dual_fma_f32 v2, v94, v40, -v2 :: v_dual_fmac_f32 v41, v95, v40
	v_dual_add_f32 v38, v38, v2 :: v_dual_add_f32 v39, v39, v41
.LBB54_510:                             ;   in Loop: Header=BB54_3 Depth=1
	s_or_b32 exec_lo, exec_lo, s49
	v_readlane_b32 s50, v106, 11
	s_and_saveexec_b32 s49, s50
	s_cbranch_execz .LBB54_512
; %bb.511:                              ;   in Loop: Header=BB54_3 Depth=1
	ds_load_b64 v[40:41], v64 offset:17920
	ds_load_b64 v[94:95], v66 offset:32536
	s_wait_dscnt 0x0
	v_dual_mul_f32 v2, v95, v41 :: v_dual_mul_f32 v41, v94, v41
	s_delay_alu instid0(VALU_DEP_1) | instskip(NEXT) | instid1(VALU_DEP_1)
	v_dual_fma_f32 v2, v94, v40, -v2 :: v_dual_fmac_f32 v41, v95, v40
	v_dual_add_f32 v38, v38, v2 :: v_dual_add_f32 v39, v39, v41
.LBB54_512:                             ;   in Loop: Header=BB54_3 Depth=1
	s_or_b32 exec_lo, exec_lo, s49
	v_readlane_b32 s50, v106, 12
	s_and_saveexec_b32 s49, s50
	s_cbranch_execz .LBB54_514
; %bb.513:                              ;   in Loop: Header=BB54_3 Depth=1
	ds_load_b64 v[40:41], v64 offset:18432
	ds_load_b64 v[94:95], v66 offset:32544
	s_wait_dscnt 0x0
	v_dual_mul_f32 v2, v95, v41 :: v_dual_mul_f32 v41, v94, v41
	s_delay_alu instid0(VALU_DEP_1) | instskip(NEXT) | instid1(VALU_DEP_1)
	v_dual_fma_f32 v2, v94, v40, -v2 :: v_dual_fmac_f32 v41, v95, v40
	v_dual_add_f32 v38, v38, v2 :: v_dual_add_f32 v39, v39, v41
.LBB54_514:                             ;   in Loop: Header=BB54_3 Depth=1
	s_or_b32 exec_lo, exec_lo, s49
	v_readlane_b32 s50, v106, 13
	s_and_saveexec_b32 s49, s50
	s_cbranch_execz .LBB54_516
; %bb.515:                              ;   in Loop: Header=BB54_3 Depth=1
	ds_load_b64 v[40:41], v64 offset:18944
	ds_load_b64 v[94:95], v66 offset:32552
	s_wait_dscnt 0x0
	v_dual_mul_f32 v2, v95, v41 :: v_dual_mul_f32 v41, v94, v41
	s_delay_alu instid0(VALU_DEP_1) | instskip(NEXT) | instid1(VALU_DEP_1)
	v_dual_fma_f32 v2, v94, v40, -v2 :: v_dual_fmac_f32 v41, v95, v40
	v_dual_add_f32 v38, v38, v2 :: v_dual_add_f32 v39, v39, v41
.LBB54_516:                             ;   in Loop: Header=BB54_3 Depth=1
	s_or_b32 exec_lo, exec_lo, s49
	v_readlane_b32 s50, v106, 14
	s_and_saveexec_b32 s49, s50
	s_cbranch_execz .LBB54_518
; %bb.517:                              ;   in Loop: Header=BB54_3 Depth=1
	ds_load_b64 v[40:41], v64 offset:19456
	ds_load_b64 v[94:95], v66 offset:32560
	s_wait_dscnt 0x0
	v_dual_mul_f32 v2, v95, v41 :: v_dual_mul_f32 v41, v94, v41
	s_delay_alu instid0(VALU_DEP_1) | instskip(NEXT) | instid1(VALU_DEP_1)
	v_dual_fma_f32 v2, v94, v40, -v2 :: v_dual_fmac_f32 v41, v95, v40
	v_dual_add_f32 v38, v38, v2 :: v_dual_add_f32 v39, v39, v41
.LBB54_518:                             ;   in Loop: Header=BB54_3 Depth=1
	s_or_b32 exec_lo, exec_lo, s49
	v_readlane_b32 s50, v106, 15
	s_and_saveexec_b32 s49, s50
	s_cbranch_execz .LBB54_520
; %bb.519:                              ;   in Loop: Header=BB54_3 Depth=1
	ds_load_b64 v[40:41], v64 offset:19968
	ds_load_b64 v[94:95], v66 offset:32568
	s_wait_dscnt 0x0
	v_dual_mul_f32 v2, v95, v41 :: v_dual_mul_f32 v41, v94, v41
	s_delay_alu instid0(VALU_DEP_1) | instskip(NEXT) | instid1(VALU_DEP_1)
	v_dual_fma_f32 v2, v94, v40, -v2 :: v_dual_fmac_f32 v41, v95, v40
	v_dual_add_f32 v38, v38, v2 :: v_dual_add_f32 v39, v39, v41
.LBB54_520:                             ;   in Loop: Header=BB54_3 Depth=1
	s_or_b32 exec_lo, exec_lo, s49
	v_readlane_b32 s50, v106, 16
	s_and_saveexec_b32 s49, s50
	s_cbranch_execz .LBB54_522
; %bb.521:                              ;   in Loop: Header=BB54_3 Depth=1
	ds_load_b64 v[40:41], v64 offset:20480
	ds_load_b64 v[94:95], v66 offset:32576
	s_wait_dscnt 0x0
	v_dual_mul_f32 v2, v95, v41 :: v_dual_mul_f32 v41, v94, v41
	s_delay_alu instid0(VALU_DEP_1) | instskip(NEXT) | instid1(VALU_DEP_1)
	v_dual_fma_f32 v2, v94, v40, -v2 :: v_dual_fmac_f32 v41, v95, v40
	v_dual_add_f32 v38, v38, v2 :: v_dual_add_f32 v39, v39, v41
.LBB54_522:                             ;   in Loop: Header=BB54_3 Depth=1
	s_or_b32 exec_lo, exec_lo, s49
	v_readlane_b32 s50, v106, 17
	s_and_saveexec_b32 s49, s50
	s_cbranch_execz .LBB54_524
; %bb.523:                              ;   in Loop: Header=BB54_3 Depth=1
	ds_load_b64 v[40:41], v64 offset:20992
	ds_load_b64 v[94:95], v66 offset:32584
	s_wait_dscnt 0x0
	v_dual_mul_f32 v2, v95, v41 :: v_dual_mul_f32 v41, v94, v41
	s_delay_alu instid0(VALU_DEP_1) | instskip(NEXT) | instid1(VALU_DEP_1)
	v_dual_fma_f32 v2, v94, v40, -v2 :: v_dual_fmac_f32 v41, v95, v40
	v_dual_add_f32 v38, v38, v2 :: v_dual_add_f32 v39, v39, v41
.LBB54_524:                             ;   in Loop: Header=BB54_3 Depth=1
	s_or_b32 exec_lo, exec_lo, s49
	v_readlane_b32 s50, v106, 18
	s_and_saveexec_b32 s49, s50
	s_cbranch_execz .LBB54_526
; %bb.525:                              ;   in Loop: Header=BB54_3 Depth=1
	ds_load_b64 v[40:41], v64 offset:21504
	ds_load_b64 v[94:95], v66 offset:32592
	s_wait_dscnt 0x0
	v_dual_mul_f32 v2, v95, v41 :: v_dual_mul_f32 v41, v94, v41
	s_delay_alu instid0(VALU_DEP_1) | instskip(NEXT) | instid1(VALU_DEP_1)
	v_dual_fma_f32 v2, v94, v40, -v2 :: v_dual_fmac_f32 v41, v95, v40
	v_dual_add_f32 v38, v38, v2 :: v_dual_add_f32 v39, v39, v41
.LBB54_526:                             ;   in Loop: Header=BB54_3 Depth=1
	s_or_b32 exec_lo, exec_lo, s49
	v_readlane_b32 s50, v106, 19
	s_and_saveexec_b32 s49, s50
	s_cbranch_execz .LBB54_528
; %bb.527:                              ;   in Loop: Header=BB54_3 Depth=1
	ds_load_b64 v[40:41], v64 offset:22016
	ds_load_b64 v[94:95], v66 offset:32600
	s_wait_dscnt 0x0
	v_dual_mul_f32 v2, v95, v41 :: v_dual_mul_f32 v41, v94, v41
	s_delay_alu instid0(VALU_DEP_1) | instskip(NEXT) | instid1(VALU_DEP_1)
	v_dual_fma_f32 v2, v94, v40, -v2 :: v_dual_fmac_f32 v41, v95, v40
	v_dual_add_f32 v38, v38, v2 :: v_dual_add_f32 v39, v39, v41
.LBB54_528:                             ;   in Loop: Header=BB54_3 Depth=1
	s_or_b32 exec_lo, exec_lo, s49
	v_readlane_b32 s50, v106, 20
	s_and_saveexec_b32 s49, s50
	s_cbranch_execz .LBB54_530
; %bb.529:                              ;   in Loop: Header=BB54_3 Depth=1
	ds_load_b64 v[40:41], v64 offset:22528
	ds_load_b64 v[94:95], v66 offset:32608
	s_wait_dscnt 0x0
	v_dual_mul_f32 v2, v95, v41 :: v_dual_mul_f32 v41, v94, v41
	s_delay_alu instid0(VALU_DEP_1) | instskip(NEXT) | instid1(VALU_DEP_1)
	v_dual_fma_f32 v2, v94, v40, -v2 :: v_dual_fmac_f32 v41, v95, v40
	v_dual_add_f32 v38, v38, v2 :: v_dual_add_f32 v39, v39, v41
.LBB54_530:                             ;   in Loop: Header=BB54_3 Depth=1
	s_or_b32 exec_lo, exec_lo, s49
	v_readlane_b32 s50, v106, 21
	s_and_saveexec_b32 s49, s50
	s_cbranch_execz .LBB54_532
; %bb.531:                              ;   in Loop: Header=BB54_3 Depth=1
	ds_load_b64 v[40:41], v64 offset:23040
	ds_load_b64 v[94:95], v66 offset:32616
	s_wait_dscnt 0x0
	v_dual_mul_f32 v2, v95, v41 :: v_dual_mul_f32 v41, v94, v41
	s_delay_alu instid0(VALU_DEP_1) | instskip(NEXT) | instid1(VALU_DEP_1)
	v_dual_fma_f32 v2, v94, v40, -v2 :: v_dual_fmac_f32 v41, v95, v40
	v_dual_add_f32 v38, v38, v2 :: v_dual_add_f32 v39, v39, v41
.LBB54_532:                             ;   in Loop: Header=BB54_3 Depth=1
	s_or_b32 exec_lo, exec_lo, s49
	v_readlane_b32 s50, v106, 22
	s_and_saveexec_b32 s49, s50
	s_cbranch_execz .LBB54_534
; %bb.533:                              ;   in Loop: Header=BB54_3 Depth=1
	ds_load_b64 v[40:41], v64 offset:23552
	ds_load_b64 v[94:95], v66 offset:32624
	s_wait_dscnt 0x0
	v_dual_mul_f32 v2, v95, v41 :: v_dual_mul_f32 v41, v94, v41
	s_delay_alu instid0(VALU_DEP_1) | instskip(NEXT) | instid1(VALU_DEP_1)
	v_dual_fma_f32 v2, v94, v40, -v2 :: v_dual_fmac_f32 v41, v95, v40
	v_dual_add_f32 v38, v38, v2 :: v_dual_add_f32 v39, v39, v41
.LBB54_534:                             ;   in Loop: Header=BB54_3 Depth=1
	s_or_b32 exec_lo, exec_lo, s49
	v_readlane_b32 s50, v106, 23
	s_and_saveexec_b32 s49, s50
	s_cbranch_execz .LBB54_536
; %bb.535:                              ;   in Loop: Header=BB54_3 Depth=1
	ds_load_b64 v[40:41], v64 offset:24064
	ds_load_b64 v[94:95], v66 offset:32632
	s_wait_dscnt 0x0
	v_dual_mul_f32 v2, v95, v41 :: v_dual_mul_f32 v41, v94, v41
	s_delay_alu instid0(VALU_DEP_1) | instskip(NEXT) | instid1(VALU_DEP_1)
	v_dual_fma_f32 v2, v94, v40, -v2 :: v_dual_fmac_f32 v41, v95, v40
	v_dual_add_f32 v38, v38, v2 :: v_dual_add_f32 v39, v39, v41
.LBB54_536:                             ;   in Loop: Header=BB54_3 Depth=1
	s_or_b32 exec_lo, exec_lo, s49
	v_readlane_b32 s50, v106, 24
	s_and_saveexec_b32 s49, s50
	s_cbranch_execz .LBB54_538
; %bb.537:                              ;   in Loop: Header=BB54_3 Depth=1
	ds_load_b64 v[40:41], v64 offset:24576
	ds_load_b64 v[94:95], v66 offset:32640
	s_wait_dscnt 0x0
	v_dual_mul_f32 v2, v95, v41 :: v_dual_mul_f32 v41, v94, v41
	s_delay_alu instid0(VALU_DEP_1) | instskip(NEXT) | instid1(VALU_DEP_1)
	v_dual_fma_f32 v2, v94, v40, -v2 :: v_dual_fmac_f32 v41, v95, v40
	v_dual_add_f32 v38, v38, v2 :: v_dual_add_f32 v39, v39, v41
.LBB54_538:                             ;   in Loop: Header=BB54_3 Depth=1
	s_or_b32 exec_lo, exec_lo, s49
	v_readlane_b32 s50, v106, 25
	s_and_saveexec_b32 s49, s50
	s_cbranch_execz .LBB54_540
; %bb.539:                              ;   in Loop: Header=BB54_3 Depth=1
	ds_load_b64 v[40:41], v64 offset:25088
	ds_load_b64 v[94:95], v66 offset:32648
	s_wait_dscnt 0x0
	v_dual_mul_f32 v2, v95, v41 :: v_dual_mul_f32 v41, v94, v41
	s_delay_alu instid0(VALU_DEP_1) | instskip(NEXT) | instid1(VALU_DEP_1)
	v_dual_fma_f32 v2, v94, v40, -v2 :: v_dual_fmac_f32 v41, v95, v40
	v_dual_add_f32 v38, v38, v2 :: v_dual_add_f32 v39, v39, v41
.LBB54_540:                             ;   in Loop: Header=BB54_3 Depth=1
	s_or_b32 exec_lo, exec_lo, s49
	v_readlane_b32 s50, v106, 26
	s_and_saveexec_b32 s49, s50
	s_cbranch_execz .LBB54_542
; %bb.541:                              ;   in Loop: Header=BB54_3 Depth=1
	ds_load_b64 v[40:41], v64 offset:25600
	ds_load_b64 v[94:95], v66 offset:32656
	s_wait_dscnt 0x0
	v_dual_mul_f32 v2, v95, v41 :: v_dual_mul_f32 v41, v94, v41
	s_delay_alu instid0(VALU_DEP_1) | instskip(NEXT) | instid1(VALU_DEP_1)
	v_dual_fma_f32 v2, v94, v40, -v2 :: v_dual_fmac_f32 v41, v95, v40
	v_dual_add_f32 v38, v38, v2 :: v_dual_add_f32 v39, v39, v41
.LBB54_542:                             ;   in Loop: Header=BB54_3 Depth=1
	s_or_b32 exec_lo, exec_lo, s49
	v_readlane_b32 s50, v106, 27
	s_and_saveexec_b32 s49, s50
	s_cbranch_execz .LBB54_544
; %bb.543:                              ;   in Loop: Header=BB54_3 Depth=1
	ds_load_b64 v[40:41], v64 offset:26112
	ds_load_b64 v[94:95], v66 offset:32664
	s_wait_dscnt 0x0
	v_dual_mul_f32 v2, v95, v41 :: v_dual_mul_f32 v41, v94, v41
	s_delay_alu instid0(VALU_DEP_1) | instskip(NEXT) | instid1(VALU_DEP_1)
	v_dual_fma_f32 v2, v94, v40, -v2 :: v_dual_fmac_f32 v41, v95, v40
	v_dual_add_f32 v38, v38, v2 :: v_dual_add_f32 v39, v39, v41
.LBB54_544:                             ;   in Loop: Header=BB54_3 Depth=1
	s_or_b32 exec_lo, exec_lo, s49
	v_readlane_b32 s50, v106, 28
	s_and_saveexec_b32 s49, s50
	s_cbranch_execz .LBB54_546
; %bb.545:                              ;   in Loop: Header=BB54_3 Depth=1
	ds_load_b64 v[40:41], v64 offset:26624
	ds_load_b64 v[94:95], v66 offset:32672
	s_wait_dscnt 0x0
	v_dual_mul_f32 v2, v95, v41 :: v_dual_mul_f32 v41, v94, v41
	s_delay_alu instid0(VALU_DEP_1) | instskip(NEXT) | instid1(VALU_DEP_1)
	v_dual_fma_f32 v2, v94, v40, -v2 :: v_dual_fmac_f32 v41, v95, v40
	v_dual_add_f32 v38, v38, v2 :: v_dual_add_f32 v39, v39, v41
.LBB54_546:                             ;   in Loop: Header=BB54_3 Depth=1
	s_or_b32 exec_lo, exec_lo, s49
	v_readlane_b32 s50, v106, 29
	s_and_saveexec_b32 s49, s50
	s_cbranch_execz .LBB54_548
; %bb.547:                              ;   in Loop: Header=BB54_3 Depth=1
	ds_load_b64 v[40:41], v64 offset:27136
	ds_load_b64 v[94:95], v66 offset:32680
	s_wait_dscnt 0x0
	v_dual_mul_f32 v2, v95, v41 :: v_dual_mul_f32 v41, v94, v41
	s_delay_alu instid0(VALU_DEP_1) | instskip(NEXT) | instid1(VALU_DEP_1)
	v_dual_fma_f32 v2, v94, v40, -v2 :: v_dual_fmac_f32 v41, v95, v40
	v_dual_add_f32 v38, v38, v2 :: v_dual_add_f32 v39, v39, v41
.LBB54_548:                             ;   in Loop: Header=BB54_3 Depth=1
	s_or_b32 exec_lo, exec_lo, s49
	v_readlane_b32 s50, v106, 30
	s_and_saveexec_b32 s49, s50
	s_cbranch_execz .LBB54_550
; %bb.549:                              ;   in Loop: Header=BB54_3 Depth=1
	ds_load_b64 v[40:41], v64 offset:27648
	ds_load_b64 v[94:95], v66 offset:32688
	s_wait_dscnt 0x0
	v_dual_mul_f32 v2, v95, v41 :: v_dual_mul_f32 v41, v94, v41
	s_delay_alu instid0(VALU_DEP_1) | instskip(NEXT) | instid1(VALU_DEP_1)
	v_dual_fma_f32 v2, v94, v40, -v2 :: v_dual_fmac_f32 v41, v95, v40
	v_dual_add_f32 v38, v38, v2 :: v_dual_add_f32 v39, v39, v41
.LBB54_550:                             ;   in Loop: Header=BB54_3 Depth=1
	s_or_b32 exec_lo, exec_lo, s49
	v_readlane_b32 s50, v106, 31
	s_and_saveexec_b32 s49, s50
	s_cbranch_execz .LBB54_552
; %bb.551:                              ;   in Loop: Header=BB54_3 Depth=1
	ds_load_b64 v[40:41], v64 offset:28160
	ds_load_b64 v[94:95], v66 offset:32696
	s_wait_dscnt 0x0
	v_dual_mul_f32 v2, v95, v41 :: v_dual_mul_f32 v41, v94, v41
	s_delay_alu instid0(VALU_DEP_1) | instskip(NEXT) | instid1(VALU_DEP_1)
	v_dual_fma_f32 v2, v94, v40, -v2 :: v_dual_fmac_f32 v41, v95, v40
	v_dual_add_f32 v38, v38, v2 :: v_dual_add_f32 v39, v39, v41
.LBB54_552:                             ;   in Loop: Header=BB54_3 Depth=1
	s_or_b32 exec_lo, exec_lo, s49
	s_and_saveexec_b32 s49, s4
	s_cbranch_execz .LBB54_554
; %bb.553:                              ;   in Loop: Header=BB54_3 Depth=1
	ds_load_b64 v[40:41], v64 offset:28672
	ds_load_b64 v[94:95], v66 offset:32704
	s_wait_dscnt 0x0
	v_dual_mul_f32 v2, v95, v41 :: v_dual_mul_f32 v41, v94, v41
	s_delay_alu instid0(VALU_DEP_1) | instskip(NEXT) | instid1(VALU_DEP_1)
	v_dual_fma_f32 v2, v94, v40, -v2 :: v_dual_fmac_f32 v41, v95, v40
	v_dual_add_f32 v38, v38, v2 :: v_dual_add_f32 v39, v39, v41
.LBB54_554:                             ;   in Loop: Header=BB54_3 Depth=1
	s_or_b32 exec_lo, exec_lo, s49
	v_readlane_b32 s50, v107, 27
	s_and_saveexec_b32 s49, s50
	s_cbranch_execz .LBB54_556
; %bb.555:                              ;   in Loop: Header=BB54_3 Depth=1
	ds_load_b64 v[40:41], v64 offset:29184
	ds_load_b64 v[94:95], v66 offset:32712
	s_wait_dscnt 0x0
	v_dual_mul_f32 v2, v95, v41 :: v_dual_mul_f32 v41, v94, v41
	s_delay_alu instid0(VALU_DEP_1) | instskip(NEXT) | instid1(VALU_DEP_1)
	v_dual_fma_f32 v2, v94, v40, -v2 :: v_dual_fmac_f32 v41, v95, v40
	v_dual_add_f32 v38, v38, v2 :: v_dual_add_f32 v39, v39, v41
.LBB54_556:                             ;   in Loop: Header=BB54_3 Depth=1
	s_or_b32 exec_lo, exec_lo, s49
	v_readlane_b32 s50, v107, 29
	;; [unrolled: 13-line block ×4, first 2 shown]
	s_and_saveexec_b32 s49, s50
	s_cbranch_execz .LBB54_562
; %bb.561:                              ;   in Loop: Header=BB54_3 Depth=1
	ds_load_b64 v[40:41], v64 offset:30720
	ds_load_b64 v[94:95], v66 offset:32736
	s_wait_dscnt 0x0
	v_dual_mul_f32 v2, v95, v41 :: v_dual_mul_f32 v97, v94, v41
	s_delay_alu instid0(VALU_DEP_1) | instskip(NEXT) | instid1(VALU_DEP_1)
	v_dual_fma_f32 v96, v94, v40, -v2 :: v_dual_fmac_f32 v97, v95, v40
	v_pk_add_f32 v[38:39], v[38:39], v[96:97]
.LBB54_562:                             ;   in Loop: Header=BB54_3 Depth=1
	s_or_b32 exec_lo, exec_lo, s49
	v_readlane_b32 s50, v106, 3
	s_and_saveexec_b32 s49, s50
	s_cbranch_execnz .LBB54_1148
; %bb.563:                              ;   in Loop: Header=BB54_3 Depth=1
	s_or_b32 exec_lo, exec_lo, s49
	s_and_saveexec_b32 s49, s3
	s_cbranch_execnz .LBB54_1149
.LBB54_564:                             ;   in Loop: Header=BB54_3 Depth=1
	s_or_b32 exec_lo, exec_lo, s49
	s_and_saveexec_b32 s49, s21
	s_delay_alu instid0(SALU_CYCLE_1)
	s_xor_b32 s49, exec_lo, s49
	s_cbranch_execz .LBB54_566
.LBB54_565:                             ;   in Loop: Header=BB54_3 Depth=1
	ds_load_b64 v[40:41], v64 offset:32256
	ds_load_b64 v[94:95], v66 offset:32760
	s_wait_dscnt 0x0
	v_pk_mul_f32 v[96:97], v[94:95], v[40:41] op_sel:[1,1] op_sel_hi:[0,1]
	s_delay_alu instid0(VALU_DEP_1) | instskip(SKIP_1) | instid1(VALU_DEP_2)
	v_pk_fma_f32 v[98:99], v[94:95], v[40:41], v[96:97] op_sel_hi:[1,0,1]
	v_pk_fma_f32 v[40:41], v[94:95], v[40:41], v[96:97] neg_lo:[0,0,1] neg_hi:[0,0,1]
	v_mov_b32_e32 v41, v99
	s_delay_alu instid0(VALU_DEP_1)
	v_pk_add_f32 v[38:39], v[38:39], v[40:41]
.LBB54_566:                             ;   in Loop: Header=BB54_3 Depth=1
	s_or_b32 exec_lo, exec_lo, s49
.LBB54_567:                             ;   in Loop: Header=BB54_3 Depth=1
	s_delay_alu instid0(SALU_CYCLE_1)
	s_or_b32 exec_lo, exec_lo, s65
	v_dual_mov_b32 v2, v93 :: v_dual_mov_b32 v40, v92
	s_mov_b32 s65, 31
	s_branch .LBB54_569
.LBB54_568:                             ;   in Loop: Header=BB54_569 Depth=2
	s_or_b32 exec_lo, exec_lo, s49
	v_add_nc_u32_e32 v40, 0xfffffc00, v40
	v_add_nc_u32_e32 v2, 2, v2
	s_add_co_i32 s65, s65, -2
	s_cmp_eq_u32 s82, 0
	s_barrier_signal -1
	s_barrier_wait -1
	s_cbranch_scc1 .LBB54_577
.LBB54_569:                             ;   Parent Loop BB54_3 Depth=1
                                        ; =>  This Inner Loop Header: Depth=2
	s_delay_alu instid0(VALU_DEP_1) | instskip(SKIP_1) | instid1(SALU_CYCLE_1)
	v_cmp_eq_u32_e32 vcc_lo, 0, v2
	s_and_b32 s82, s64, vcc_lo
	s_and_saveexec_b32 s49, s82
	s_cbranch_execz .LBB54_571
; %bb.570:                              ;   in Loop: Header=BB54_569 Depth=2
	ds_load_b64 v[94:95], v86
	s_wait_dscnt 0x0
	v_pk_mul_f32 v[96:97], v[38:39], v[94:95] op_sel:[1,1] op_sel_hi:[1,0]
	s_delay_alu instid0(VALU_DEP_1) | instskip(SKIP_1) | instid1(VALU_DEP_2)
	v_pk_fma_f32 v[98:99], v[38:39], v[94:95], v[96:97] op_sel_hi:[0,1,1]
	v_pk_fma_f32 v[38:39], v[38:39], v[94:95], v[96:97] neg_lo:[0,0,1] neg_hi:[0,0,1]
	v_mov_b32_e32 v39, v99
	s_delay_alu instid0(VALU_DEP_1)
	v_pk_add_f32 v[94:95], v[38:39], 0 neg_lo:[1,1] neg_hi:[1,1]
	ds_store_b64 v65, v[94:95]
.LBB54_571:                             ;   in Loop: Header=BB54_569 Depth=2
	s_or_b32 exec_lo, exec_lo, s49
	v_cmp_gt_u32_e32 vcc_lo, s65, v7
	s_wait_loadcnt_dscnt 0x0
	s_barrier_signal -1
	s_barrier_wait -1
	s_and_b32 s82, s64, vcc_lo
	s_delay_alu instid0(SALU_CYCLE_1)
	s_and_saveexec_b32 s49, s82
	s_cbranch_execz .LBB54_573
; %bb.572:                              ;   in Loop: Header=BB54_569 Depth=2
	ds_load_b64 v[94:95], v40 offset:512
	ds_load_b64 v[96:97], v65
	s_wait_dscnt 0x0
	v_pk_mul_f32 v[98:99], v[96:97], v[94:95] op_sel:[1,1] op_sel_hi:[0,1]
	s_delay_alu instid0(VALU_DEP_1) | instskip(SKIP_1) | instid1(VALU_DEP_2)
	v_pk_fma_f32 v[100:101], v[96:97], v[94:95], v[98:99] op_sel_hi:[1,0,1]
	v_pk_fma_f32 v[94:95], v[96:97], v[94:95], v[98:99] neg_lo:[0,0,1] neg_hi:[0,0,1]
	v_mov_b32_e32 v95, v101
	s_delay_alu instid0(VALU_DEP_1)
	v_pk_add_f32 v[38:39], v[38:39], v[94:95] neg_lo:[0,1] neg_hi:[0,1]
.LBB54_573:                             ;   in Loop: Header=BB54_569 Depth=2
	s_or_b32 exec_lo, exec_lo, s49
	s_add_co_i32 s82, s65, -1
	s_delay_alu instid0(SALU_CYCLE_1) | instskip(SKIP_3) | instid1(SALU_CYCLE_1)
	v_cmp_eq_u32_e32 vcc_lo, s82, v7
	s_barrier_signal -1
	s_barrier_wait -1
	s_and_b32 s83, s64, vcc_lo
	s_and_saveexec_b32 s49, s83
	s_cbranch_execz .LBB54_575
; %bb.574:                              ;   in Loop: Header=BB54_569 Depth=2
	ds_load_b64 v[94:95], v86
	s_wait_dscnt 0x0
	v_pk_mul_f32 v[96:97], v[38:39], v[94:95] op_sel:[1,1] op_sel_hi:[1,0]
	s_delay_alu instid0(VALU_DEP_1) | instskip(SKIP_1) | instid1(VALU_DEP_2)
	v_pk_fma_f32 v[98:99], v[38:39], v[94:95], v[96:97] op_sel_hi:[0,1,1]
	v_pk_fma_f32 v[38:39], v[38:39], v[94:95], v[96:97] neg_lo:[0,0,1] neg_hi:[0,0,1]
	v_mov_b32_e32 v39, v99
	s_delay_alu instid0(VALU_DEP_1)
	v_pk_add_f32 v[94:95], v[38:39], 0 neg_lo:[1,1] neg_hi:[1,1]
	ds_store_b64 v65, v[94:95]
.LBB54_575:                             ;   in Loop: Header=BB54_569 Depth=2
	s_or_b32 exec_lo, exec_lo, s49
	v_cmp_gt_u32_e32 vcc_lo, s82, v7
	s_wait_dscnt 0x0
	s_barrier_signal -1
	s_barrier_wait -1
	s_and_b32 s83, s64, vcc_lo
	s_delay_alu instid0(SALU_CYCLE_1)
	s_and_saveexec_b32 s49, s83
	s_cbranch_execz .LBB54_568
; %bb.576:                              ;   in Loop: Header=BB54_569 Depth=2
	ds_load_b64 v[94:95], v40
	ds_load_b64 v[96:97], v65
	s_wait_dscnt 0x0
	v_pk_mul_f32 v[98:99], v[96:97], v[94:95] op_sel:[1,1] op_sel_hi:[0,1]
	s_delay_alu instid0(VALU_DEP_1) | instskip(SKIP_1) | instid1(VALU_DEP_2)
	v_pk_fma_f32 v[100:101], v[96:97], v[94:95], v[98:99] op_sel_hi:[1,0,1]
	v_pk_fma_f32 v[94:95], v[96:97], v[94:95], v[98:99] neg_lo:[0,0,1] neg_hi:[0,0,1]
	v_mov_b32_e32 v95, v101
	s_delay_alu instid0(VALU_DEP_1)
	v_pk_add_f32 v[38:39], v[38:39], v[94:95] neg_lo:[0,1] neg_hi:[0,1]
	s_branch .LBB54_568
.LBB54_577:                             ;   in Loop: Header=BB54_3 Depth=1
	s_and_saveexec_b32 s49, s35
; %bb.578:                              ;   in Loop: Header=BB54_3 Depth=1
	ds_store_b64 v67, v[38:39] offset:32256
; %bb.579:                              ;   in Loop: Header=BB54_3 Depth=1
	s_or_b32 exec_lo, exec_lo, s49
	s_wait_dscnt 0x0
	s_barrier_signal -1
	s_barrier_wait -1
	s_barrier_signal -1
	s_barrier_wait -1
	s_mov_b32 s65, exec_lo
	v_readlane_b32 s49, v107, 8
	s_and_b32 s49, s65, s49
	s_delay_alu instid0(SALU_CYCLE_1)
	s_mov_b32 exec_lo, s49
	s_cbranch_execz .LBB54_581
; %bb.580:                              ;   in Loop: Header=BB54_3 Depth=1
	ds_load_b64 v[38:39], v83 offset:16384
	v_add_nc_u32_e32 v2, v83, v53
	s_wait_dscnt 0x0
	ds_store_b64 v2, v[38:39] offset:256
	ds_load_b64 v[38:39], v83 offset:16392
	s_wait_dscnt 0x0
	ds_store_b64 v2, v[38:39] offset:768
	ds_load_b64 v[38:39], v83 offset:16400
	;; [unrolled: 3-line block ×31, first 2 shown]
	s_wait_dscnt 0x0
	ds_store_b64 v2, v[38:39] offset:16128
.LBB54_581:                             ;   in Loop: Header=BB54_3 Depth=1
	s_or_b32 exec_lo, exec_lo, s65
	s_wait_dscnt 0x0
	s_barrier_signal -1
	s_barrier_wait -1
	s_and_saveexec_b32 s49, s14
	s_cbranch_execz .LBB54_583
; %bb.582:                              ;   in Loop: Header=BB54_3 Depth=1
	v_add_nc_u32_e64 v2, 0xf0, 0
	ds_load_b64 v[94:95], v3 offset:16120
	ds_load_2addr_stride64_b64 v[38:41], v2 offset0:30 offset1:31
	s_wait_dscnt 0x0
	v_dual_mul_f32 v42, v95, v39 :: v_dual_mul_f32 v2, v94, v39
	s_delay_alu instid0(VALU_DEP_1) | instskip(NEXT) | instid1(VALU_DEP_2)
	v_xor_b32_e32 v42, 0x80000000, v42
	v_fmac_f32_e32 v2, v95, v38
	s_delay_alu instid0(VALU_DEP_2) | instskip(NEXT) | instid1(VALU_DEP_2)
	v_fmac_f32_e32 v42, v94, v38
	v_pk_mul_f32 v[38:39], v[2:3], v[40:41] op_sel:[0,1] op_sel_hi:[0,0]
	v_add_nc_u32_e64 v2, 0x3800, 0
	s_delay_alu instid0(VALU_DEP_2) | instskip(SKIP_1) | instid1(VALU_DEP_2)
	v_pk_fma_f32 v[94:95], v[42:43], v[40:41], v[38:39] op_sel_hi:[0,1,1]
	v_pk_fma_f32 v[38:39], v[42:43], v[40:41], v[38:39] neg_lo:[0,0,1] neg_hi:[0,0,1]
	v_mov_b32_e32 v39, v95
	ds_store_2addr_b64 v2, v[38:39], v[38:39] offset0:159 offset1:222
.LBB54_583:                             ;   in Loop: Header=BB54_3 Depth=1
	s_or_b32 exec_lo, exec_lo, s49
	v_dual_mov_b32 v38, 0 :: v_dual_mov_b32 v39, 0
	s_wait_dscnt 0x0
	s_barrier_signal -1
	s_barrier_wait -1
	global_wb scope:SCOPE_DEV
	s_wait_storecnt 0x0
	global_inv scope:SCOPE_DEV
	s_and_saveexec_b32 s65, s0
	s_cbranch_execz .LBB54_587
; %bb.584:                              ;   in Loop: Header=BB54_3 Depth=1
	ds_load_b64 v[38:39], v45 offset:15584
	ds_load_b64 v[40:41], v46 offset:16112
	s_wait_dscnt 0x0
	v_pk_mul_f32 v[94:95], v[40:41], v[38:39] op_sel:[1,1] op_sel_hi:[0,1]
	s_delay_alu instid0(VALU_DEP_1) | instskip(SKIP_1) | instid1(VALU_DEP_2)
	v_pk_fma_f32 v[96:97], v[40:41], v[38:39], v[94:95] op_sel_hi:[1,0,1]
	v_pk_fma_f32 v[38:39], v[40:41], v[38:39], v[94:95] neg_lo:[0,0,1] neg_hi:[0,0,1]
	v_mov_b32_e32 v39, v97
	s_delay_alu instid0(VALU_DEP_1)
	v_pk_add_f32 v[38:39], v[38:39], 0 op_sel_hi:[1,0]
	s_and_saveexec_b32 s49, s15
	s_cbranch_execz .LBB54_586
; %bb.585:                              ;   in Loop: Header=BB54_3 Depth=1
	ds_load_b64 v[40:41], v47 offset:16096
	ds_load_b64 v[94:95], v3 offset:16120
	s_wait_dscnt 0x0
	v_pk_mul_f32 v[96:97], v[94:95], v[40:41] op_sel:[1,1] op_sel_hi:[0,1]
	s_delay_alu instid0(VALU_DEP_1) | instskip(SKIP_1) | instid1(VALU_DEP_2)
	v_pk_fma_f32 v[98:99], v[94:95], v[40:41], v[96:97] op_sel_hi:[1,0,1]
	v_pk_fma_f32 v[40:41], v[94:95], v[40:41], v[96:97] neg_lo:[0,0,1] neg_hi:[0,0,1]
	v_mov_b32_e32 v41, v99
	s_delay_alu instid0(VALU_DEP_1)
	v_pk_add_f32 v[38:39], v[38:39], v[40:41]
.LBB54_586:                             ;   in Loop: Header=BB54_3 Depth=1
	s_or_b32 exec_lo, exec_lo, s49
.LBB54_587:                             ;   in Loop: Header=BB54_3 Depth=1
	s_delay_alu instid0(SALU_CYCLE_1)
	s_or_b32 exec_lo, exec_lo, s65
	s_and_saveexec_b32 s49, s92
	s_cbranch_execz .LBB54_589
; %bb.588:                              ;   in Loop: Header=BB54_3 Depth=1
	ds_load_b64 v[40:41], v3 offset:15080
	s_wait_dscnt 0x0
	v_pk_mul_f32 v[94:95], v[38:39], v[40:41] op_sel:[1,1] op_sel_hi:[1,0]
	s_delay_alu instid0(VALU_DEP_1) | instskip(SKIP_1) | instid1(VALU_DEP_2)
	v_pk_fma_f32 v[96:97], v[38:39], v[40:41], v[94:95] op_sel_hi:[0,1,1]
	v_pk_fma_f32 v[38:39], v[38:39], v[40:41], v[94:95] neg_lo:[0,0,1] neg_hi:[0,0,1]
	v_mov_b32_e32 v39, v97
	s_delay_alu instid0(VALU_DEP_1)
	v_pk_add_f32 v[40:41], v[38:39], 0 neg_lo:[1,1] neg_hi:[1,1]
	ds_store_b64 v5, v[40:41]
.LBB54_589:                             ;   in Loop: Header=BB54_3 Depth=1
	s_or_b32 exec_lo, exec_lo, s49
	s_wait_loadcnt_dscnt 0x0
	s_barrier_signal -1
	s_barrier_wait -1
	s_and_saveexec_b32 s49, s93
	s_cbranch_execz .LBB54_591
; %bb.590:                              ;   in Loop: Header=BB54_3 Depth=1
	ds_load_b64 v[40:41], v3 offset:15072
	ds_load_b64 v[94:95], v5
	s_wait_dscnt 0x0
	v_pk_mul_f32 v[96:97], v[94:95], v[40:41] op_sel:[1,1] op_sel_hi:[0,1]
	s_delay_alu instid0(VALU_DEP_1) | instskip(SKIP_1) | instid1(VALU_DEP_2)
	v_pk_fma_f32 v[98:99], v[94:95], v[40:41], v[96:97] op_sel_hi:[1,0,1]
	v_pk_fma_f32 v[40:41], v[94:95], v[40:41], v[96:97] neg_lo:[0,0,1] neg_hi:[0,0,1]
	v_mov_b32_e32 v41, v99
	s_delay_alu instid0(VALU_DEP_1)
	v_pk_add_f32 v[38:39], v[38:39], v[40:41] neg_lo:[0,1] neg_hi:[0,1]
.LBB54_591:                             ;   in Loop: Header=BB54_3 Depth=1
	s_or_b32 exec_lo, exec_lo, s49
	s_barrier_signal -1
	s_barrier_wait -1
	s_and_saveexec_b32 s49, s93
	s_cbranch_execz .LBB54_593
; %bb.592:                              ;   in Loop: Header=BB54_3 Depth=1
	ds_load_b64 v[40:41], v3 offset:14560
	s_wait_dscnt 0x0
	v_pk_mul_f32 v[94:95], v[38:39], v[40:41] op_sel:[1,1] op_sel_hi:[1,0]
	s_delay_alu instid0(VALU_DEP_1) | instskip(SKIP_1) | instid1(VALU_DEP_2)
	v_pk_fma_f32 v[96:97], v[38:39], v[40:41], v[94:95] op_sel_hi:[0,1,1]
	v_pk_fma_f32 v[38:39], v[38:39], v[40:41], v[94:95] neg_lo:[0,0,1] neg_hi:[0,0,1]
	v_mov_b32_e32 v39, v97
	s_delay_alu instid0(VALU_DEP_1)
	v_pk_add_f32 v[40:41], v[38:39], 0 neg_lo:[1,1] neg_hi:[1,1]
	ds_store_b64 v5, v[40:41]
.LBB54_593:                             ;   in Loop: Header=BB54_3 Depth=1
	s_or_b32 exec_lo, exec_lo, s49
	s_wait_dscnt 0x0
	s_barrier_signal -1
	s_barrier_wait -1
	s_barrier_signal -1
	s_barrier_wait -1
	s_and_saveexec_b32 s49, s0
; %bb.594:                              ;   in Loop: Header=BB54_3 Depth=1
	ds_store_b64 v48, v[38:39] offset:16096
; %bb.595:                              ;   in Loop: Header=BB54_3 Depth=1
	s_or_b32 exec_lo, exec_lo, s49
	s_wait_dscnt 0x0
	s_barrier_signal -1
	s_barrier_wait -1
	s_barrier_signal -1
	s_barrier_wait -1
	s_and_saveexec_b32 s49, s94
	s_cbranch_execz .LBB54_597
; %bb.596:                              ;   in Loop: Header=BB54_3 Depth=1
	ds_load_b64 v[38:39], v49 offset:15584
	s_wait_dscnt 0x0
	ds_store_b64 v47, v[38:39] offset:14576
	ds_load_b64 v[38:39], v49 offset:15592
	s_wait_dscnt 0x0
	ds_store_b64 v47, v[38:39] offset:15088
.LBB54_597:                             ;   in Loop: Header=BB54_3 Depth=1
	s_or_b32 exec_lo, exec_lo, s49
	s_wait_dscnt 0x0
	s_barrier_signal -1
	s_barrier_wait -1
	s_and_saveexec_b32 s49, s14
	s_cbranch_execz .LBB54_599
; %bb.598:                              ;   in Loop: Header=BB54_3 Depth=1
	v_add_nc_u32_e64 v2, 0xe0, 0
	ds_load_b64 v[94:95], v3 offset:15080
	ds_load_2addr_stride64_b64 v[38:41], v2 offset0:28 offset1:29
	s_wait_dscnt 0x0
	v_dual_mul_f32 v42, v95, v39 :: v_dual_mul_f32 v2, v94, v39
	s_delay_alu instid0(VALU_DEP_1) | instskip(NEXT) | instid1(VALU_DEP_2)
	v_xor_b32_e32 v42, 0x80000000, v42
	v_fmac_f32_e32 v2, v95, v38
	s_delay_alu instid0(VALU_DEP_2) | instskip(NEXT) | instid1(VALU_DEP_2)
	v_fmac_f32_e32 v42, v94, v38
	v_pk_mul_f32 v[38:39], v[2:3], v[40:41] op_sel:[0,1] op_sel_hi:[0,0]
	v_add_nc_u32_e64 v2, 0x3800, 0
	s_delay_alu instid0(VALU_DEP_2) | instskip(SKIP_1) | instid1(VALU_DEP_2)
	v_pk_fma_f32 v[94:95], v[42:43], v[40:41], v[38:39] op_sel_hi:[0,1,1]
	v_pk_fma_f32 v[38:39], v[42:43], v[40:41], v[38:39] neg_lo:[0,0,1] neg_hi:[0,0,1]
	v_mov_b32_e32 v39, v95
	ds_store_2addr_b64 v2, v[38:39], v[38:39] offset0:29 offset1:92
.LBB54_599:                             ;   in Loop: Header=BB54_3 Depth=1
	s_or_b32 exec_lo, exec_lo, s49
	v_mov_b64_e32 v[38:39], 0
	s_wait_dscnt 0x0
	s_barrier_signal -1
	s_barrier_wait -1
	global_wb scope:SCOPE_DEV
	s_wait_storecnt 0x0
	global_inv scope:SCOPE_DEV
	s_and_saveexec_b32 s65, s2
	s_cbranch_execz .LBB54_605
; %bb.600:                              ;   in Loop: Header=BB54_3 Depth=1
	ds_load_b64 v[38:39], v51 offset:14528
	ds_load_b64 v[40:41], v52 offset:16096
	s_wait_dscnt 0x0
	v_dual_mul_f32 v2, v41, v39 :: v_dual_mul_f32 v39, v40, v39
	s_delay_alu instid0(VALU_DEP_1) | instskip(NEXT) | instid1(VALU_DEP_1)
	v_dual_fma_f32 v2, v40, v38, -v2 :: v_dual_fmac_f32 v39, v41, v38
	v_dual_add_f32 v38, 0, v2 :: v_dual_add_f32 v39, 0, v39
	s_and_saveexec_b32 s49, s16
	s_cbranch_execnz .LBB54_1150
; %bb.601:                              ;   in Loop: Header=BB54_3 Depth=1
	s_or_b32 exec_lo, exec_lo, s49
	s_and_saveexec_b32 s49, s17
	s_cbranch_execnz .LBB54_1151
.LBB54_602:                             ;   in Loop: Header=BB54_3 Depth=1
	s_or_b32 exec_lo, exec_lo, s49
	s_and_saveexec_b32 s49, s0
	s_cbranch_execz .LBB54_604
.LBB54_603:                             ;   in Loop: Header=BB54_3 Depth=1
	ds_load_b64 v[40:41], v54 offset:16064
	ds_load_b64 v[94:95], v3 offset:16120
	s_wait_dscnt 0x0
	v_dual_mul_f32 v2, v95, v41 :: v_dual_mul_f32 v41, v94, v41
	s_delay_alu instid0(VALU_DEP_1) | instskip(NEXT) | instid1(VALU_DEP_1)
	v_dual_fma_f32 v2, v94, v40, -v2 :: v_dual_fmac_f32 v41, v95, v40
	v_dual_add_f32 v38, v38, v2 :: v_dual_add_f32 v39, v39, v41
.LBB54_604:                             ;   in Loop: Header=BB54_3 Depth=1
	s_or_b32 exec_lo, exec_lo, s49
.LBB54_605:                             ;   in Loop: Header=BB54_3 Depth=1
	s_delay_alu instid0(SALU_CYCLE_1)
	s_or_b32 exec_lo, exec_lo, s65
	s_and_saveexec_b32 s49, s95
	s_cbranch_execz .LBB54_607
; %bb.606:                              ;   in Loop: Header=BB54_3 Depth=1
	ds_load_b64 v[40:41], v3 offset:14040
	s_wait_dscnt 0x0
	v_dual_mul_f32 v2, v39, v40 :: v_dual_mul_f32 v42, v39, v41
	s_delay_alu instid0(VALU_DEP_1) | instskip(NEXT) | instid1(VALU_DEP_2)
	v_pk_fma_f32 v[94:95], v[38:39], v[40:41], v[2:3] op_sel:[1,0,0] op_sel_hi:[0,1,0]
	v_pk_fma_f32 v[38:39], v[38:39], v[40:41], v[42:43] op_sel_hi:[1,1,0] neg_lo:[0,0,1] neg_hi:[0,0,1]
	s_delay_alu instid0(VALU_DEP_2) | instskip(NEXT) | instid1(VALU_DEP_1)
	v_mov_b32_e32 v39, v95
	v_pk_add_f32 v[40:41], v[38:39], 0 neg_lo:[1,1] neg_hi:[1,1]
	ds_store_b64 v50, v[40:41]
.LBB54_607:                             ;   in Loop: Header=BB54_3 Depth=1
	s_or_b32 exec_lo, exec_lo, s49
	s_wait_loadcnt_dscnt 0x0
	s_barrier_signal -1
	s_barrier_wait -1
	s_and_saveexec_b32 s49, s96
	s_cbranch_execz .LBB54_609
; %bb.608:                              ;   in Loop: Header=BB54_3 Depth=1
	ds_load_b64 v[40:41], v51 offset:14016
	ds_load_b64 v[94:95], v50
	s_wait_dscnt 0x0
	v_pk_mul_f32 v[96:97], v[94:95], v[40:41] op_sel:[1,1] op_sel_hi:[0,1]
	s_delay_alu instid0(VALU_DEP_1) | instskip(SKIP_1) | instid1(VALU_DEP_2)
	v_pk_fma_f32 v[98:99], v[94:95], v[40:41], v[96:97] op_sel_hi:[1,0,1]
	v_pk_fma_f32 v[40:41], v[94:95], v[40:41], v[96:97] neg_lo:[0,0,1] neg_hi:[0,0,1]
	v_mov_b32_e32 v41, v99
	s_delay_alu instid0(VALU_DEP_1)
	v_pk_add_f32 v[38:39], v[38:39], v[40:41] neg_lo:[0,1] neg_hi:[0,1]
.LBB54_609:                             ;   in Loop: Header=BB54_3 Depth=1
	s_or_b32 exec_lo, exec_lo, s49
	s_barrier_signal -1
	s_barrier_wait -1
	s_and_saveexec_b32 s49, s97
	s_cbranch_execz .LBB54_611
; %bb.610:                              ;   in Loop: Header=BB54_3 Depth=1
	ds_load_b64 v[40:41], v3 offset:13520
	s_wait_dscnt 0x0
	v_pk_mul_f32 v[94:95], v[38:39], v[40:41] op_sel:[1,1] op_sel_hi:[1,0]
	s_delay_alu instid0(VALU_DEP_1) | instskip(SKIP_1) | instid1(VALU_DEP_2)
	v_pk_fma_f32 v[96:97], v[38:39], v[40:41], v[94:95] op_sel_hi:[0,1,1]
	v_pk_fma_f32 v[38:39], v[38:39], v[40:41], v[94:95] neg_lo:[0,0,1] neg_hi:[0,0,1]
	v_mov_b32_e32 v39, v97
	s_delay_alu instid0(VALU_DEP_1)
	v_pk_add_f32 v[40:41], v[38:39], 0 neg_lo:[1,1] neg_hi:[1,1]
	ds_store_b64 v50, v[40:41]
.LBB54_611:                             ;   in Loop: Header=BB54_3 Depth=1
	s_or_b32 exec_lo, exec_lo, s49
	s_wait_dscnt 0x0
	s_barrier_signal -1
	s_barrier_wait -1
	s_and_saveexec_b32 s49, s98
	s_cbranch_execz .LBB54_613
; %bb.612:                              ;   in Loop: Header=BB54_3 Depth=1
	ds_load_b64 v[40:41], v51 offset:13504
	ds_load_b64 v[94:95], v50
	s_wait_dscnt 0x0
	v_pk_mul_f32 v[96:97], v[94:95], v[40:41] op_sel:[1,1] op_sel_hi:[0,1]
	s_delay_alu instid0(VALU_DEP_1) | instskip(SKIP_1) | instid1(VALU_DEP_2)
	v_pk_fma_f32 v[98:99], v[94:95], v[40:41], v[96:97] op_sel_hi:[1,0,1]
	v_pk_fma_f32 v[40:41], v[94:95], v[40:41], v[96:97] neg_lo:[0,0,1] neg_hi:[0,0,1]
	v_mov_b32_e32 v41, v99
	s_delay_alu instid0(VALU_DEP_1)
	v_pk_add_f32 v[38:39], v[38:39], v[40:41] neg_lo:[0,1] neg_hi:[0,1]
.LBB54_613:                             ;   in Loop: Header=BB54_3 Depth=1
	s_or_b32 exec_lo, exec_lo, s49
	s_barrier_signal -1
	s_barrier_wait -1
	s_and_saveexec_b32 s49, s99
	s_cbranch_execz .LBB54_615
; %bb.614:                              ;   in Loop: Header=BB54_3 Depth=1
	ds_load_b64 v[40:41], v3 offset:13000
	s_wait_dscnt 0x0
	v_pk_mul_f32 v[94:95], v[38:39], v[40:41] op_sel:[1,1] op_sel_hi:[1,0]
	s_delay_alu instid0(VALU_DEP_1) | instskip(SKIP_1) | instid1(VALU_DEP_2)
	v_pk_fma_f32 v[96:97], v[38:39], v[40:41], v[94:95] op_sel_hi:[0,1,1]
	v_pk_fma_f32 v[38:39], v[38:39], v[40:41], v[94:95] neg_lo:[0,0,1] neg_hi:[0,0,1]
	v_mov_b32_e32 v39, v97
	s_delay_alu instid0(VALU_DEP_1)
	v_pk_add_f32 v[40:41], v[38:39], 0 neg_lo:[1,1] neg_hi:[1,1]
	ds_store_b64 v50, v[40:41]
.LBB54_615:                             ;   in Loop: Header=BB54_3 Depth=1
	s_or_b32 exec_lo, exec_lo, s49
	s_wait_dscnt 0x0
	;; [unrolled: 35-line block ×3, first 2 shown]
	s_barrier_signal -1
	s_barrier_wait -1
	s_barrier_signal -1
	s_barrier_wait -1
	s_and_saveexec_b32 s49, s2
; %bb.620:                              ;   in Loop: Header=BB54_3 Depth=1
	ds_store_b64 v55, v[38:39] offset:16064
; %bb.621:                              ;   in Loop: Header=BB54_3 Depth=1
	s_or_b32 exec_lo, exec_lo, s49
	s_wait_dscnt 0x0
	s_barrier_signal -1
	s_barrier_wait -1
	s_barrier_signal -1
	s_barrier_wait -1
	s_and_saveexec_b32 s49, s101
	s_cbranch_execz .LBB54_623
; %bb.622:                              ;   in Loop: Header=BB54_3 Depth=1
	ds_load_b64 v[38:39], v68 offset:14528
	s_wait_dscnt 0x0
	ds_store_b64 v69, v[38:39] offset:12512
	ds_load_b64 v[38:39], v68 offset:14536
	s_wait_dscnt 0x0
	ds_store_b64 v69, v[38:39] offset:13024
	;; [unrolled: 3-line block ×4, first 2 shown]
.LBB54_623:                             ;   in Loop: Header=BB54_3 Depth=1
	s_or_b32 exec_lo, exec_lo, s49
	s_wait_dscnt 0x0
	s_barrier_signal -1
	s_barrier_wait -1
	s_and_saveexec_b32 s49, s14
	s_cbranch_execz .LBB54_625
; %bb.624:                              ;   in Loop: Header=BB54_3 Depth=1
	v_add_nc_u32_e64 v2, 0xd0, 0
	ds_load_b64 v[94:95], v3 offset:14040
	ds_load_2addr_stride64_b64 v[38:41], v2 offset0:26 offset1:27
	s_wait_dscnt 0x0
	v_dual_mul_f32 v42, v95, v39 :: v_dual_mul_f32 v2, v94, v39
	s_delay_alu instid0(VALU_DEP_1) | instskip(NEXT) | instid1(VALU_DEP_2)
	v_xor_b32_e32 v42, 0x80000000, v42
	v_fmac_f32_e32 v2, v95, v38
	s_delay_alu instid0(VALU_DEP_2) | instskip(NEXT) | instid1(VALU_DEP_2)
	v_fmac_f32_e32 v42, v94, v38
	v_pk_mul_f32 v[38:39], v[2:3], v[40:41] op_sel:[0,1] op_sel_hi:[0,0]
	v_add_nc_u32_e64 v2, 0x3000, 0
	s_delay_alu instid0(VALU_DEP_2) | instskip(SKIP_1) | instid1(VALU_DEP_2)
	v_pk_fma_f32 v[94:95], v[42:43], v[40:41], v[38:39] op_sel_hi:[0,1,1]
	v_pk_fma_f32 v[38:39], v[42:43], v[40:41], v[38:39] neg_lo:[0,0,1] neg_hi:[0,0,1]
	v_mov_b32_e32 v39, v95
	ds_store_2addr_b64 v2, v[38:39], v[38:39] offset0:155 offset1:218
.LBB54_625:                             ;   in Loop: Header=BB54_3 Depth=1
	s_or_b32 exec_lo, exec_lo, s49
	v_dual_mov_b32 v38, 0 :: v_dual_mov_b32 v39, 0
	s_wait_dscnt 0x0
	s_barrier_signal -1
	s_barrier_wait -1
	global_wb scope:SCOPE_DEV
	s_wait_storecnt 0x0
	global_inv scope:SCOPE_DEV
	s_and_saveexec_b32 s65, s0
	s_cbranch_execz .LBB54_629
; %bb.626:                              ;   in Loop: Header=BB54_3 Depth=1
	ds_load_b64 v[38:39], v45 offset:13504
	ds_load_b64 v[40:41], v46 offset:14032
	s_wait_dscnt 0x0
	v_pk_mul_f32 v[94:95], v[40:41], v[38:39] op_sel:[1,1] op_sel_hi:[0,1]
	s_delay_alu instid0(VALU_DEP_1) | instskip(SKIP_1) | instid1(VALU_DEP_2)
	v_pk_fma_f32 v[96:97], v[40:41], v[38:39], v[94:95] op_sel_hi:[1,0,1]
	v_pk_fma_f32 v[38:39], v[40:41], v[38:39], v[94:95] neg_lo:[0,0,1] neg_hi:[0,0,1]
	v_mov_b32_e32 v39, v97
	s_delay_alu instid0(VALU_DEP_1)
	v_pk_add_f32 v[38:39], v[38:39], 0 op_sel_hi:[1,0]
	s_and_saveexec_b32 s49, s15
	s_cbranch_execz .LBB54_628
; %bb.627:                              ;   in Loop: Header=BB54_3 Depth=1
	ds_load_b64 v[40:41], v69 offset:14016
	ds_load_b64 v[94:95], v3 offset:14040
	s_wait_dscnt 0x0
	v_pk_mul_f32 v[96:97], v[94:95], v[40:41] op_sel:[1,1] op_sel_hi:[0,1]
	s_delay_alu instid0(VALU_DEP_1) | instskip(SKIP_1) | instid1(VALU_DEP_2)
	v_pk_fma_f32 v[98:99], v[94:95], v[40:41], v[96:97] op_sel_hi:[1,0,1]
	v_pk_fma_f32 v[40:41], v[94:95], v[40:41], v[96:97] neg_lo:[0,0,1] neg_hi:[0,0,1]
	v_mov_b32_e32 v41, v99
	s_delay_alu instid0(VALU_DEP_1)
	v_pk_add_f32 v[38:39], v[38:39], v[40:41]
.LBB54_628:                             ;   in Loop: Header=BB54_3 Depth=1
	s_or_b32 exec_lo, exec_lo, s49
.LBB54_629:                             ;   in Loop: Header=BB54_3 Depth=1
	s_delay_alu instid0(SALU_CYCLE_1)
	s_or_b32 exec_lo, exec_lo, s65
	s_and_saveexec_b32 s49, s92
	s_cbranch_execz .LBB54_631
; %bb.630:                              ;   in Loop: Header=BB54_3 Depth=1
	ds_load_b64 v[40:41], v3 offset:13000
	s_wait_dscnt 0x0
	v_pk_mul_f32 v[94:95], v[38:39], v[40:41] op_sel:[1,1] op_sel_hi:[1,0]
	s_delay_alu instid0(VALU_DEP_1) | instskip(SKIP_1) | instid1(VALU_DEP_2)
	v_pk_fma_f32 v[96:97], v[38:39], v[40:41], v[94:95] op_sel_hi:[0,1,1]
	v_pk_fma_f32 v[38:39], v[38:39], v[40:41], v[94:95] neg_lo:[0,0,1] neg_hi:[0,0,1]
	v_mov_b32_e32 v39, v97
	s_delay_alu instid0(VALU_DEP_1)
	v_pk_add_f32 v[40:41], v[38:39], 0 neg_lo:[1,1] neg_hi:[1,1]
	ds_store_b64 v5, v[40:41]
.LBB54_631:                             ;   in Loop: Header=BB54_3 Depth=1
	s_or_b32 exec_lo, exec_lo, s49
	s_wait_loadcnt_dscnt 0x0
	s_barrier_signal -1
	s_barrier_wait -1
	s_and_saveexec_b32 s49, s93
	s_cbranch_execz .LBB54_633
; %bb.632:                              ;   in Loop: Header=BB54_3 Depth=1
	ds_load_b64 v[40:41], v3 offset:12992
	ds_load_b64 v[94:95], v5
	s_wait_dscnt 0x0
	v_pk_mul_f32 v[96:97], v[94:95], v[40:41] op_sel:[1,1] op_sel_hi:[0,1]
	s_delay_alu instid0(VALU_DEP_1) | instskip(SKIP_1) | instid1(VALU_DEP_2)
	v_pk_fma_f32 v[98:99], v[94:95], v[40:41], v[96:97] op_sel_hi:[1,0,1]
	v_pk_fma_f32 v[40:41], v[94:95], v[40:41], v[96:97] neg_lo:[0,0,1] neg_hi:[0,0,1]
	v_mov_b32_e32 v41, v99
	s_delay_alu instid0(VALU_DEP_1)
	v_pk_add_f32 v[38:39], v[38:39], v[40:41] neg_lo:[0,1] neg_hi:[0,1]
.LBB54_633:                             ;   in Loop: Header=BB54_3 Depth=1
	s_or_b32 exec_lo, exec_lo, s49
	s_barrier_signal -1
	s_barrier_wait -1
	s_and_saveexec_b32 s49, s93
	s_cbranch_execz .LBB54_635
; %bb.634:                              ;   in Loop: Header=BB54_3 Depth=1
	ds_load_b64 v[40:41], v3 offset:12480
	s_wait_dscnt 0x0
	v_pk_mul_f32 v[94:95], v[38:39], v[40:41] op_sel:[1,1] op_sel_hi:[1,0]
	s_delay_alu instid0(VALU_DEP_1) | instskip(SKIP_1) | instid1(VALU_DEP_2)
	v_pk_fma_f32 v[96:97], v[38:39], v[40:41], v[94:95] op_sel_hi:[0,1,1]
	v_pk_fma_f32 v[38:39], v[38:39], v[40:41], v[94:95] neg_lo:[0,0,1] neg_hi:[0,0,1]
	v_mov_b32_e32 v39, v97
	s_delay_alu instid0(VALU_DEP_1)
	v_pk_add_f32 v[40:41], v[38:39], 0 neg_lo:[1,1] neg_hi:[1,1]
	ds_store_b64 v5, v[40:41]
.LBB54_635:                             ;   in Loop: Header=BB54_3 Depth=1
	s_or_b32 exec_lo, exec_lo, s49
	s_wait_dscnt 0x0
	s_barrier_signal -1
	s_barrier_wait -1
	s_barrier_signal -1
	s_barrier_wait -1
	s_and_saveexec_b32 s49, s0
; %bb.636:                              ;   in Loop: Header=BB54_3 Depth=1
	ds_store_b64 v48, v[38:39] offset:14016
; %bb.637:                              ;   in Loop: Header=BB54_3 Depth=1
	s_or_b32 exec_lo, exec_lo, s49
	s_wait_dscnt 0x0
	s_barrier_signal -1
	s_barrier_wait -1
	s_barrier_signal -1
	s_barrier_wait -1
	s_and_saveexec_b32 s49, s94
	s_cbranch_execz .LBB54_639
; %bb.638:                              ;   in Loop: Header=BB54_3 Depth=1
	ds_load_b64 v[38:39], v70 offset:13504
	s_wait_dscnt 0x0
	ds_store_b64 v69, v[38:39] offset:12496
	ds_load_b64 v[38:39], v70 offset:13512
	s_wait_dscnt 0x0
	ds_store_b64 v69, v[38:39] offset:13008
.LBB54_639:                             ;   in Loop: Header=BB54_3 Depth=1
	s_or_b32 exec_lo, exec_lo, s49
	s_wait_dscnt 0x0
	s_barrier_signal -1
	s_barrier_wait -1
	s_and_saveexec_b32 s49, s14
	s_cbranch_execz .LBB54_641
; %bb.640:                              ;   in Loop: Header=BB54_3 Depth=1
	v_add_nc_u32_e64 v2, 0xc0, 0
	ds_load_b64 v[94:95], v3 offset:13000
	ds_load_2addr_stride64_b64 v[38:41], v2 offset0:24 offset1:25
	s_wait_dscnt 0x0
	v_dual_mul_f32 v42, v95, v39 :: v_dual_mul_f32 v2, v94, v39
	s_delay_alu instid0(VALU_DEP_1) | instskip(NEXT) | instid1(VALU_DEP_2)
	v_xor_b32_e32 v42, 0x80000000, v42
	v_fmac_f32_e32 v2, v95, v38
	s_delay_alu instid0(VALU_DEP_2) | instskip(NEXT) | instid1(VALU_DEP_2)
	v_fmac_f32_e32 v42, v94, v38
	v_pk_mul_f32 v[38:39], v[2:3], v[40:41] op_sel:[0,1] op_sel_hi:[0,0]
	v_add_nc_u32_e64 v2, 0x3000, 0
	s_delay_alu instid0(VALU_DEP_2) | instskip(SKIP_1) | instid1(VALU_DEP_2)
	v_pk_fma_f32 v[94:95], v[42:43], v[40:41], v[38:39] op_sel_hi:[0,1,1]
	v_pk_fma_f32 v[38:39], v[42:43], v[40:41], v[38:39] neg_lo:[0,0,1] neg_hi:[0,0,1]
	v_mov_b32_e32 v39, v95
	ds_store_2addr_b64 v2, v[38:39], v[38:39] offset0:25 offset1:88
.LBB54_641:                             ;   in Loop: Header=BB54_3 Depth=1
	s_or_b32 exec_lo, exec_lo, s49
	v_mov_b64_e32 v[38:39], 0
	s_wait_dscnt 0x0
	s_barrier_signal -1
	s_barrier_wait -1
	global_wb scope:SCOPE_DEV
	s_wait_storecnt 0x0
	global_inv scope:SCOPE_DEV
	s_and_saveexec_b32 s65, s3
	s_cbranch_execz .LBB54_651
; %bb.642:                              ;   in Loop: Header=BB54_3 Depth=1
	ds_load_b64 v[38:39], v57 offset:12416
	ds_load_b64 v[40:41], v58 offset:16064
	s_wait_dscnt 0x0
	v_dual_mul_f32 v2, v41, v39 :: v_dual_mul_f32 v39, v40, v39
	s_delay_alu instid0(VALU_DEP_1) | instskip(NEXT) | instid1(VALU_DEP_1)
	v_dual_fma_f32 v2, v40, v38, -v2 :: v_dual_fmac_f32 v39, v41, v38
	v_dual_add_f32 v38, 0, v2 :: v_dual_add_f32 v39, 0, v39
	s_and_saveexec_b32 s49, s18
	s_cbranch_execnz .LBB54_1152
; %bb.643:                              ;   in Loop: Header=BB54_3 Depth=1
	s_or_b32 exec_lo, exec_lo, s49
	s_and_saveexec_b32 s49, s19
	s_cbranch_execnz .LBB54_1153
.LBB54_644:                             ;   in Loop: Header=BB54_3 Depth=1
	s_or_b32 exec_lo, exec_lo, s49
	s_and_saveexec_b32 s49, s20
	s_cbranch_execnz .LBB54_1154
.LBB54_645:                             ;   in Loop: Header=BB54_3 Depth=1
	s_or_b32 exec_lo, exec_lo, s49
	s_and_saveexec_b32 s49, s21
	s_cbranch_execnz .LBB54_1155
.LBB54_646:                             ;   in Loop: Header=BB54_3 Depth=1
	s_or_b32 exec_lo, exec_lo, s49
	s_and_saveexec_b32 s49, s22
	s_cbranch_execnz .LBB54_1156
.LBB54_647:                             ;   in Loop: Header=BB54_3 Depth=1
	s_or_b32 exec_lo, exec_lo, s49
	s_and_saveexec_b32 s49, s2
	s_cbranch_execnz .LBB54_1157
.LBB54_648:                             ;   in Loop: Header=BB54_3 Depth=1
	s_or_b32 exec_lo, exec_lo, s49
	s_and_saveexec_b32 s49, s17
	s_cbranch_execz .LBB54_650
.LBB54_649:                             ;   in Loop: Header=BB54_3 Depth=1
	ds_load_b64 v[40:41], v71 offset:16000
	ds_load_b64 v[94:95], v3 offset:16120
	s_wait_dscnt 0x0
	v_dual_mul_f32 v2, v95, v41 :: v_dual_mul_f32 v97, v94, v41
	s_delay_alu instid0(VALU_DEP_1) | instskip(NEXT) | instid1(VALU_DEP_1)
	v_dual_fma_f32 v96, v94, v40, -v2 :: v_dual_fmac_f32 v97, v95, v40
	v_pk_add_f32 v[38:39], v[38:39], v[96:97]
.LBB54_650:                             ;   in Loop: Header=BB54_3 Depth=1
	s_or_b32 exec_lo, exec_lo, s49
.LBB54_651:                             ;   in Loop: Header=BB54_3 Depth=1
	s_delay_alu instid0(SALU_CYCLE_1)
	s_or_b32 exec_lo, exec_lo, s65
	s_and_saveexec_b32 s49, s102
	s_cbranch_execz .LBB54_653
; %bb.652:                              ;   in Loop: Header=BB54_3 Depth=1
	ds_load_b64 v[40:41], v3 offset:11960
	s_wait_dscnt 0x0
	v_pk_mul_f32 v[94:95], v[38:39], v[40:41] op_sel:[1,1] op_sel_hi:[1,0]
	s_delay_alu instid0(VALU_DEP_1) | instskip(SKIP_1) | instid1(VALU_DEP_2)
	v_pk_fma_f32 v[96:97], v[38:39], v[40:41], v[94:95] op_sel_hi:[0,1,1]
	v_pk_fma_f32 v[38:39], v[38:39], v[40:41], v[94:95] neg_lo:[0,0,1] neg_hi:[0,0,1]
	v_mov_b32_e32 v39, v97
	s_delay_alu instid0(VALU_DEP_1)
	v_pk_add_f32 v[40:41], v[38:39], 0 neg_lo:[1,1] neg_hi:[1,1]
	ds_store_b64 v56, v[40:41]
.LBB54_653:                             ;   in Loop: Header=BB54_3 Depth=1
	s_or_b32 exec_lo, exec_lo, s49
	s_wait_loadcnt_dscnt 0x0
	s_barrier_signal -1
	s_barrier_wait -1
	s_and_saveexec_b32 s49, s103
	s_cbranch_execz .LBB54_655
; %bb.654:                              ;   in Loop: Header=BB54_3 Depth=1
	ds_load_b64 v[40:41], v57 offset:11904
	ds_load_b64 v[94:95], v56
	s_wait_dscnt 0x0
	v_pk_mul_f32 v[96:97], v[94:95], v[40:41] op_sel:[1,1] op_sel_hi:[0,1]
	s_delay_alu instid0(VALU_DEP_1) | instskip(SKIP_1) | instid1(VALU_DEP_2)
	v_pk_fma_f32 v[98:99], v[94:95], v[40:41], v[96:97] op_sel_hi:[1,0,1]
	v_pk_fma_f32 v[40:41], v[94:95], v[40:41], v[96:97] neg_lo:[0,0,1] neg_hi:[0,0,1]
	v_mov_b32_e32 v41, v99
	s_delay_alu instid0(VALU_DEP_1)
	v_pk_add_f32 v[38:39], v[38:39], v[40:41] neg_lo:[0,1] neg_hi:[0,1]
.LBB54_655:                             ;   in Loop: Header=BB54_3 Depth=1
	s_or_b32 exec_lo, exec_lo, s49
	s_barrier_signal -1
	s_barrier_wait -1
	s_and_saveexec_b32 s49, s104
	s_cbranch_execz .LBB54_657
; %bb.656:                              ;   in Loop: Header=BB54_3 Depth=1
	ds_load_b64 v[40:41], v3 offset:11440
	s_wait_dscnt 0x0
	v_pk_mul_f32 v[94:95], v[38:39], v[40:41] op_sel:[1,1] op_sel_hi:[1,0]
	s_delay_alu instid0(VALU_DEP_1) | instskip(SKIP_1) | instid1(VALU_DEP_2)
	v_pk_fma_f32 v[96:97], v[38:39], v[40:41], v[94:95] op_sel_hi:[0,1,1]
	v_pk_fma_f32 v[38:39], v[38:39], v[40:41], v[94:95] neg_lo:[0,0,1] neg_hi:[0,0,1]
	v_mov_b32_e32 v39, v97
	s_delay_alu instid0(VALU_DEP_1)
	v_pk_add_f32 v[40:41], v[38:39], 0 neg_lo:[1,1] neg_hi:[1,1]
	ds_store_b64 v56, v[40:41]
.LBB54_657:                             ;   in Loop: Header=BB54_3 Depth=1
	s_or_b32 exec_lo, exec_lo, s49
	s_wait_dscnt 0x0
	s_barrier_signal -1
	s_barrier_wait -1
	s_and_saveexec_b32 s49, vcc_hi
	s_cbranch_execz .LBB54_659
; %bb.658:                              ;   in Loop: Header=BB54_3 Depth=1
	ds_load_b64 v[40:41], v57 offset:11392
	ds_load_b64 v[94:95], v56
	s_wait_dscnt 0x0
	v_pk_mul_f32 v[96:97], v[94:95], v[40:41] op_sel:[1,1] op_sel_hi:[0,1]
	s_delay_alu instid0(VALU_DEP_1) | instskip(SKIP_1) | instid1(VALU_DEP_2)
	v_pk_fma_f32 v[98:99], v[94:95], v[40:41], v[96:97] op_sel_hi:[1,0,1]
	v_pk_fma_f32 v[40:41], v[94:95], v[40:41], v[96:97] neg_lo:[0,0,1] neg_hi:[0,0,1]
	v_mov_b32_e32 v41, v99
	s_delay_alu instid0(VALU_DEP_1)
	v_pk_add_f32 v[38:39], v[38:39], v[40:41] neg_lo:[0,1] neg_hi:[0,1]
.LBB54_659:                             ;   in Loop: Header=BB54_3 Depth=1
	s_or_b32 exec_lo, exec_lo, s49
	s_barrier_signal -1
	s_barrier_wait -1
	s_and_saveexec_b32 s49, s38
	s_cbranch_execz .LBB54_661
; %bb.660:                              ;   in Loop: Header=BB54_3 Depth=1
	ds_load_b64 v[40:41], v3 offset:10920
	s_wait_dscnt 0x0
	v_pk_mul_f32 v[94:95], v[38:39], v[40:41] op_sel:[1,1] op_sel_hi:[1,0]
	s_delay_alu instid0(VALU_DEP_1) | instskip(SKIP_1) | instid1(VALU_DEP_2)
	v_pk_fma_f32 v[96:97], v[38:39], v[40:41], v[94:95] op_sel_hi:[0,1,1]
	v_pk_fma_f32 v[38:39], v[38:39], v[40:41], v[94:95] neg_lo:[0,0,1] neg_hi:[0,0,1]
	v_mov_b32_e32 v39, v97
	s_delay_alu instid0(VALU_DEP_1)
	v_pk_add_f32 v[40:41], v[38:39], 0 neg_lo:[1,1] neg_hi:[1,1]
	ds_store_b64 v56, v[40:41]
.LBB54_661:                             ;   in Loop: Header=BB54_3 Depth=1
	s_or_b32 exec_lo, exec_lo, s49
	s_wait_dscnt 0x0
	s_barrier_signal -1
	s_barrier_wait -1
	s_and_saveexec_b32 s49, s39
	s_cbranch_execz .LBB54_663
; %bb.662:                              ;   in Loop: Header=BB54_3 Depth=1
	ds_load_b64 v[40:41], v57 offset:10880
	ds_load_b64 v[94:95], v56
	s_wait_dscnt 0x0
	v_pk_mul_f32 v[96:97], v[94:95], v[40:41] op_sel:[1,1] op_sel_hi:[0,1]
	s_delay_alu instid0(VALU_DEP_1) | instskip(SKIP_1) | instid1(VALU_DEP_2)
	v_pk_fma_f32 v[98:99], v[94:95], v[40:41], v[96:97] op_sel_hi:[1,0,1]
	v_pk_fma_f32 v[40:41], v[94:95], v[40:41], v[96:97] neg_lo:[0,0,1] neg_hi:[0,0,1]
	v_mov_b32_e32 v41, v99
	s_delay_alu instid0(VALU_DEP_1)
	v_pk_add_f32 v[38:39], v[38:39], v[40:41] neg_lo:[0,1] neg_hi:[0,1]
.LBB54_663:                             ;   in Loop: Header=BB54_3 Depth=1
	s_or_b32 exec_lo, exec_lo, s49
	s_barrier_signal -1
	s_barrier_wait -1
	s_and_saveexec_b32 s49, s40
	s_cbranch_execz .LBB54_665
; %bb.664:                              ;   in Loop: Header=BB54_3 Depth=1
	ds_load_b64 v[40:41], v3 offset:10400
	s_wait_dscnt 0x0
	v_pk_mul_f32 v[94:95], v[38:39], v[40:41]
	v_pk_mul_f32 v[38:39], v[38:39], v[40:41] op_sel:[1,0] op_sel_hi:[0,1]
	s_delay_alu instid0(VALU_DEP_1) | instskip(NEXT) | instid1(VALU_DEP_3)
	v_dual_mov_b32 v40, v94 :: v_dual_mov_b32 v41, v38
	v_mov_b32_e32 v38, v95
	s_delay_alu instid0(VALU_DEP_1) | instskip(SKIP_1) | instid1(VALU_DEP_2)
	v_pk_add_f32 v[94:95], v[40:41], v[38:39]
	v_pk_add_f32 v[38:39], v[40:41], v[38:39] neg_lo:[0,1] neg_hi:[0,1]
	v_mov_b32_e32 v39, v95
	s_delay_alu instid0(VALU_DEP_1)
	v_pk_add_f32 v[40:41], v[38:39], 0 neg_lo:[1,1] neg_hi:[1,1]
	ds_store_b64 v56, v[40:41]
.LBB54_665:                             ;   in Loop: Header=BB54_3 Depth=1
	s_or_b32 exec_lo, exec_lo, s49
	s_wait_dscnt 0x0
	s_barrier_signal -1
	s_barrier_wait -1
	s_and_saveexec_b32 s49, s41
	s_cbranch_execz .LBB54_667
; %bb.666:                              ;   in Loop: Header=BB54_3 Depth=1
	ds_load_b64 v[40:41], v57 offset:10368
	ds_load_b64 v[94:95], v56
	s_wait_dscnt 0x0
	v_dual_mul_f32 v2, v95, v41 :: v_dual_mul_f32 v41, v94, v41
	s_delay_alu instid0(VALU_DEP_1) | instskip(NEXT) | instid1(VALU_DEP_1)
	v_dual_fma_f32 v2, v94, v40, -v2 :: v_dual_fmac_f32 v41, v95, v40
	v_dual_sub_f32 v38, v38, v2 :: v_dual_sub_f32 v39, v39, v41
.LBB54_667:                             ;   in Loop: Header=BB54_3 Depth=1
	s_or_b32 exec_lo, exec_lo, s49
	s_barrier_signal -1
	s_barrier_wait -1
	s_and_saveexec_b32 s49, s42
	s_cbranch_execz .LBB54_669
; %bb.668:                              ;   in Loop: Header=BB54_3 Depth=1
	ds_load_b64 v[40:41], v3 offset:9880
	s_wait_dscnt 0x0
	v_dual_mul_f32 v2, v39, v40 :: v_dual_mul_f32 v42, v39, v41
	s_delay_alu instid0(VALU_DEP_1) | instskip(NEXT) | instid1(VALU_DEP_2)
	v_pk_fma_f32 v[94:95], v[38:39], v[40:41], v[2:3] op_sel:[1,0,0] op_sel_hi:[0,1,0]
	v_pk_fma_f32 v[38:39], v[38:39], v[40:41], v[42:43] op_sel_hi:[1,1,0] neg_lo:[0,0,1] neg_hi:[0,0,1]
	s_delay_alu instid0(VALU_DEP_2) | instskip(NEXT) | instid1(VALU_DEP_1)
	v_mov_b32_e32 v39, v95
	v_pk_add_f32 v[40:41], v[38:39], 0 neg_lo:[1,1] neg_hi:[1,1]
	ds_store_b64 v56, v[40:41]
.LBB54_669:                             ;   in Loop: Header=BB54_3 Depth=1
	s_or_b32 exec_lo, exec_lo, s49
	s_wait_dscnt 0x0
	s_barrier_signal -1
	s_barrier_wait -1
	s_and_saveexec_b32 s49, s43
	s_cbranch_execz .LBB54_671
; %bb.670:                              ;   in Loop: Header=BB54_3 Depth=1
	ds_load_b64 v[40:41], v57 offset:9856
	ds_load_b64 v[94:95], v56
	s_wait_dscnt 0x0
	v_pk_mul_f32 v[96:97], v[94:95], v[40:41] op_sel:[1,1] op_sel_hi:[0,1]
	s_delay_alu instid0(VALU_DEP_1) | instskip(SKIP_1) | instid1(VALU_DEP_2)
	v_pk_fma_f32 v[98:99], v[94:95], v[40:41], v[96:97] op_sel_hi:[1,0,1]
	v_pk_fma_f32 v[40:41], v[94:95], v[40:41], v[96:97] neg_lo:[0,0,1] neg_hi:[0,0,1]
	v_mov_b32_e32 v41, v99
	s_delay_alu instid0(VALU_DEP_1)
	v_pk_add_f32 v[38:39], v[38:39], v[40:41] neg_lo:[0,1] neg_hi:[0,1]
.LBB54_671:                             ;   in Loop: Header=BB54_3 Depth=1
	s_or_b32 exec_lo, exec_lo, s49
	s_barrier_signal -1
	s_barrier_wait -1
	s_and_saveexec_b32 s49, s44
	s_cbranch_execz .LBB54_673
; %bb.672:                              ;   in Loop: Header=BB54_3 Depth=1
	ds_load_b64 v[40:41], v3 offset:9360
	s_wait_dscnt 0x0
	v_pk_mul_f32 v[94:95], v[38:39], v[40:41] op_sel:[1,1] op_sel_hi:[1,0]
	s_delay_alu instid0(VALU_DEP_1) | instskip(SKIP_1) | instid1(VALU_DEP_2)
	v_pk_fma_f32 v[96:97], v[38:39], v[40:41], v[94:95] op_sel_hi:[0,1,1]
	v_pk_fma_f32 v[38:39], v[38:39], v[40:41], v[94:95] neg_lo:[0,0,1] neg_hi:[0,0,1]
	v_mov_b32_e32 v39, v97
	s_delay_alu instid0(VALU_DEP_1)
	v_pk_add_f32 v[40:41], v[38:39], 0 neg_lo:[1,1] neg_hi:[1,1]
	ds_store_b64 v56, v[40:41]
.LBB54_673:                             ;   in Loop: Header=BB54_3 Depth=1
	s_or_b32 exec_lo, exec_lo, s49
	s_wait_dscnt 0x0
	s_barrier_signal -1
	s_barrier_wait -1
	s_and_saveexec_b32 s49, s45
	s_cbranch_execz .LBB54_675
; %bb.674:                              ;   in Loop: Header=BB54_3 Depth=1
	ds_load_b64 v[40:41], v57 offset:9344
	ds_load_b64 v[94:95], v56
	s_wait_dscnt 0x0
	v_pk_mul_f32 v[96:97], v[94:95], v[40:41] op_sel:[1,1] op_sel_hi:[0,1]
	s_delay_alu instid0(VALU_DEP_1) | instskip(SKIP_1) | instid1(VALU_DEP_2)
	v_pk_fma_f32 v[98:99], v[94:95], v[40:41], v[96:97] op_sel_hi:[1,0,1]
	v_pk_fma_f32 v[40:41], v[94:95], v[40:41], v[96:97] neg_lo:[0,0,1] neg_hi:[0,0,1]
	v_mov_b32_e32 v41, v99
	s_delay_alu instid0(VALU_DEP_1)
	v_pk_add_f32 v[38:39], v[38:39], v[40:41] neg_lo:[0,1] neg_hi:[0,1]
.LBB54_675:                             ;   in Loop: Header=BB54_3 Depth=1
	s_or_b32 exec_lo, exec_lo, s49
	s_barrier_signal -1
	s_barrier_wait -1
	s_and_saveexec_b32 s49, s46
	s_cbranch_execz .LBB54_677
; %bb.676:                              ;   in Loop: Header=BB54_3 Depth=1
	ds_load_b64 v[40:41], v3 offset:8840
	s_wait_dscnt 0x0
	v_pk_mul_f32 v[94:95], v[38:39], v[40:41] op_sel:[1,1] op_sel_hi:[1,0]
	s_delay_alu instid0(VALU_DEP_1) | instskip(SKIP_1) | instid1(VALU_DEP_2)
	v_pk_fma_f32 v[96:97], v[38:39], v[40:41], v[94:95] op_sel_hi:[0,1,1]
	v_pk_fma_f32 v[38:39], v[38:39], v[40:41], v[94:95] neg_lo:[0,0,1] neg_hi:[0,0,1]
	v_mov_b32_e32 v39, v97
	s_delay_alu instid0(VALU_DEP_1)
	v_pk_add_f32 v[40:41], v[38:39], 0 neg_lo:[1,1] neg_hi:[1,1]
	ds_store_b64 v56, v[40:41]
.LBB54_677:                             ;   in Loop: Header=BB54_3 Depth=1
	;; [unrolled: 35-line block ×3, first 2 shown]
	s_or_b32 exec_lo, exec_lo, s49
	s_wait_dscnt 0x0
	s_barrier_signal -1
	s_barrier_wait -1
	s_barrier_signal -1
	s_barrier_wait -1
	s_and_saveexec_b32 s49, s3
; %bb.682:                              ;   in Loop: Header=BB54_3 Depth=1
	ds_store_b64 v59, v[38:39] offset:16000
; %bb.683:                              ;   in Loop: Header=BB54_3 Depth=1
	s_or_b32 exec_lo, exec_lo, s49
	s_wait_dscnt 0x0
	s_barrier_signal -1
	s_barrier_wait -1
	s_barrier_signal -1
	s_barrier_wait -1
	s_and_saveexec_b32 s49, s48
	s_cbranch_execz .LBB54_685
; %bb.684:                              ;   in Loop: Header=BB54_3 Depth=1
	ds_load_b64 v[38:39], v72 offset:12416
	s_wait_dscnt 0x0
	ds_store_b64 v73, v[38:39] offset:8384
	ds_load_b64 v[38:39], v72 offset:12424
	s_wait_dscnt 0x0
	ds_store_b64 v73, v[38:39] offset:8896
	;; [unrolled: 3-line block ×8, first 2 shown]
.LBB54_685:                             ;   in Loop: Header=BB54_3 Depth=1
	s_or_b32 exec_lo, exec_lo, s49
	s_wait_dscnt 0x0
	s_barrier_signal -1
	s_barrier_wait -1
	s_and_saveexec_b32 s49, s14
	s_cbranch_execz .LBB54_687
; %bb.686:                              ;   in Loop: Header=BB54_3 Depth=1
	v_add_nc_u32_e64 v2, 0xb0, 0
	ds_load_b64 v[94:95], v3 offset:11960
	ds_load_2addr_stride64_b64 v[38:41], v2 offset0:22 offset1:23
	s_wait_dscnt 0x0
	v_dual_mul_f32 v42, v95, v39 :: v_dual_mul_f32 v2, v94, v39
	s_delay_alu instid0(VALU_DEP_1) | instskip(NEXT) | instid1(VALU_DEP_2)
	v_xor_b32_e32 v42, 0x80000000, v42
	v_fmac_f32_e32 v2, v95, v38
	s_delay_alu instid0(VALU_DEP_2) | instskip(NEXT) | instid1(VALU_DEP_2)
	v_fmac_f32_e32 v42, v94, v38
	v_pk_mul_f32 v[38:39], v[2:3], v[40:41] op_sel:[0,1] op_sel_hi:[0,0]
	v_add_nc_u32_e64 v2, 0x2800, 0
	s_delay_alu instid0(VALU_DEP_2) | instskip(SKIP_1) | instid1(VALU_DEP_2)
	v_pk_fma_f32 v[94:95], v[42:43], v[40:41], v[38:39] op_sel_hi:[0,1,1]
	v_pk_fma_f32 v[38:39], v[42:43], v[40:41], v[38:39] neg_lo:[0,0,1] neg_hi:[0,0,1]
	v_mov_b32_e32 v39, v95
	ds_store_2addr_b64 v2, v[38:39], v[38:39] offset0:151 offset1:214
.LBB54_687:                             ;   in Loop: Header=BB54_3 Depth=1
	s_or_b32 exec_lo, exec_lo, s49
	v_dual_mov_b32 v38, 0 :: v_dual_mov_b32 v39, 0
	s_wait_dscnt 0x0
	s_barrier_signal -1
	s_barrier_wait -1
	global_wb scope:SCOPE_DEV
	s_wait_storecnt 0x0
	global_inv scope:SCOPE_DEV
	s_and_saveexec_b32 s65, s0
	s_cbranch_execz .LBB54_691
; %bb.688:                              ;   in Loop: Header=BB54_3 Depth=1
	ds_load_b64 v[38:39], v45 offset:11424
	ds_load_b64 v[40:41], v46 offset:11952
	s_wait_dscnt 0x0
	v_pk_mul_f32 v[94:95], v[40:41], v[38:39] op_sel:[1,1] op_sel_hi:[0,1]
	s_delay_alu instid0(VALU_DEP_1) | instskip(SKIP_1) | instid1(VALU_DEP_2)
	v_pk_fma_f32 v[96:97], v[40:41], v[38:39], v[94:95] op_sel_hi:[1,0,1]
	v_pk_fma_f32 v[38:39], v[40:41], v[38:39], v[94:95] neg_lo:[0,0,1] neg_hi:[0,0,1]
	v_mov_b32_e32 v39, v97
	s_delay_alu instid0(VALU_DEP_1)
	v_pk_add_f32 v[38:39], v[38:39], 0 op_sel_hi:[1,0]
	s_and_saveexec_b32 s49, s15
	s_cbranch_execz .LBB54_690
; %bb.689:                              ;   in Loop: Header=BB54_3 Depth=1
	ds_load_b64 v[40:41], v73 offset:11936
	ds_load_b64 v[94:95], v3 offset:11960
	s_wait_dscnt 0x0
	v_pk_mul_f32 v[96:97], v[94:95], v[40:41] op_sel:[1,1] op_sel_hi:[0,1]
	s_delay_alu instid0(VALU_DEP_1) | instskip(SKIP_1) | instid1(VALU_DEP_2)
	v_pk_fma_f32 v[98:99], v[94:95], v[40:41], v[96:97] op_sel_hi:[1,0,1]
	v_pk_fma_f32 v[40:41], v[94:95], v[40:41], v[96:97] neg_lo:[0,0,1] neg_hi:[0,0,1]
	v_mov_b32_e32 v41, v99
	s_delay_alu instid0(VALU_DEP_1)
	v_pk_add_f32 v[38:39], v[38:39], v[40:41]
.LBB54_690:                             ;   in Loop: Header=BB54_3 Depth=1
	s_or_b32 exec_lo, exec_lo, s49
.LBB54_691:                             ;   in Loop: Header=BB54_3 Depth=1
	s_delay_alu instid0(SALU_CYCLE_1)
	s_or_b32 exec_lo, exec_lo, s65
	s_and_saveexec_b32 s49, s92
	s_cbranch_execz .LBB54_693
; %bb.692:                              ;   in Loop: Header=BB54_3 Depth=1
	ds_load_b64 v[40:41], v3 offset:10920
	s_wait_dscnt 0x0
	v_pk_mul_f32 v[94:95], v[38:39], v[40:41] op_sel:[1,1] op_sel_hi:[1,0]
	s_delay_alu instid0(VALU_DEP_1) | instskip(SKIP_1) | instid1(VALU_DEP_2)
	v_pk_fma_f32 v[96:97], v[38:39], v[40:41], v[94:95] op_sel_hi:[0,1,1]
	v_pk_fma_f32 v[38:39], v[38:39], v[40:41], v[94:95] neg_lo:[0,0,1] neg_hi:[0,0,1]
	v_mov_b32_e32 v39, v97
	s_delay_alu instid0(VALU_DEP_1)
	v_pk_add_f32 v[40:41], v[38:39], 0 neg_lo:[1,1] neg_hi:[1,1]
	ds_store_b64 v5, v[40:41]
.LBB54_693:                             ;   in Loop: Header=BB54_3 Depth=1
	s_or_b32 exec_lo, exec_lo, s49
	s_wait_loadcnt_dscnt 0x0
	s_barrier_signal -1
	s_barrier_wait -1
	s_and_saveexec_b32 s49, s93
	s_cbranch_execz .LBB54_695
; %bb.694:                              ;   in Loop: Header=BB54_3 Depth=1
	ds_load_b64 v[40:41], v3 offset:10912
	ds_load_b64 v[94:95], v5
	s_wait_dscnt 0x0
	v_pk_mul_f32 v[96:97], v[94:95], v[40:41] op_sel:[1,1] op_sel_hi:[0,1]
	s_delay_alu instid0(VALU_DEP_1) | instskip(SKIP_1) | instid1(VALU_DEP_2)
	v_pk_fma_f32 v[98:99], v[94:95], v[40:41], v[96:97] op_sel_hi:[1,0,1]
	v_pk_fma_f32 v[40:41], v[94:95], v[40:41], v[96:97] neg_lo:[0,0,1] neg_hi:[0,0,1]
	v_mov_b32_e32 v41, v99
	s_delay_alu instid0(VALU_DEP_1)
	v_pk_add_f32 v[38:39], v[38:39], v[40:41] neg_lo:[0,1] neg_hi:[0,1]
.LBB54_695:                             ;   in Loop: Header=BB54_3 Depth=1
	s_or_b32 exec_lo, exec_lo, s49
	s_barrier_signal -1
	s_barrier_wait -1
	s_and_saveexec_b32 s49, s93
	s_cbranch_execz .LBB54_697
; %bb.696:                              ;   in Loop: Header=BB54_3 Depth=1
	ds_load_b64 v[40:41], v3 offset:10400
	s_wait_dscnt 0x0
	v_pk_mul_f32 v[94:95], v[38:39], v[40:41] op_sel:[1,1] op_sel_hi:[1,0]
	s_delay_alu instid0(VALU_DEP_1) | instskip(SKIP_1) | instid1(VALU_DEP_2)
	v_pk_fma_f32 v[96:97], v[38:39], v[40:41], v[94:95] op_sel_hi:[0,1,1]
	v_pk_fma_f32 v[38:39], v[38:39], v[40:41], v[94:95] neg_lo:[0,0,1] neg_hi:[0,0,1]
	v_mov_b32_e32 v39, v97
	s_delay_alu instid0(VALU_DEP_1)
	v_pk_add_f32 v[40:41], v[38:39], 0 neg_lo:[1,1] neg_hi:[1,1]
	ds_store_b64 v5, v[40:41]
.LBB54_697:                             ;   in Loop: Header=BB54_3 Depth=1
	s_or_b32 exec_lo, exec_lo, s49
	s_wait_dscnt 0x0
	s_barrier_signal -1
	s_barrier_wait -1
	s_barrier_signal -1
	s_barrier_wait -1
	s_and_saveexec_b32 s49, s0
; %bb.698:                              ;   in Loop: Header=BB54_3 Depth=1
	ds_store_b64 v48, v[38:39] offset:11936
; %bb.699:                              ;   in Loop: Header=BB54_3 Depth=1
	s_or_b32 exec_lo, exec_lo, s49
	s_wait_dscnt 0x0
	s_barrier_signal -1
	s_barrier_wait -1
	s_barrier_signal -1
	s_barrier_wait -1
	s_and_saveexec_b32 s49, s94
	s_cbranch_execz .LBB54_701
; %bb.700:                              ;   in Loop: Header=BB54_3 Depth=1
	ds_load_b64 v[38:39], v74 offset:11424
	s_wait_dscnt 0x0
	ds_store_b64 v73, v[38:39] offset:10416
	ds_load_b64 v[38:39], v74 offset:11432
	s_wait_dscnt 0x0
	ds_store_b64 v73, v[38:39] offset:10928
.LBB54_701:                             ;   in Loop: Header=BB54_3 Depth=1
	s_or_b32 exec_lo, exec_lo, s49
	s_wait_dscnt 0x0
	s_barrier_signal -1
	s_barrier_wait -1
	s_and_saveexec_b32 s49, s14
	s_cbranch_execz .LBB54_703
; %bb.702:                              ;   in Loop: Header=BB54_3 Depth=1
	v_add_nc_u32_e64 v2, 0xa0, 0
	ds_load_b64 v[94:95], v3 offset:10920
	ds_load_2addr_stride64_b64 v[38:41], v2 offset0:20 offset1:21
	s_wait_dscnt 0x0
	v_dual_mul_f32 v42, v95, v39 :: v_dual_mul_f32 v2, v94, v39
	s_delay_alu instid0(VALU_DEP_1) | instskip(NEXT) | instid1(VALU_DEP_2)
	v_xor_b32_e32 v42, 0x80000000, v42
	v_fmac_f32_e32 v2, v95, v38
	s_delay_alu instid0(VALU_DEP_2) | instskip(NEXT) | instid1(VALU_DEP_2)
	v_fmac_f32_e32 v42, v94, v38
	v_pk_mul_f32 v[38:39], v[2:3], v[40:41] op_sel:[0,1] op_sel_hi:[0,0]
	v_add_nc_u32_e64 v2, 0x2800, 0
	s_delay_alu instid0(VALU_DEP_2) | instskip(SKIP_1) | instid1(VALU_DEP_2)
	v_pk_fma_f32 v[94:95], v[42:43], v[40:41], v[38:39] op_sel_hi:[0,1,1]
	v_pk_fma_f32 v[38:39], v[42:43], v[40:41], v[38:39] neg_lo:[0,0,1] neg_hi:[0,0,1]
	v_mov_b32_e32 v39, v95
	ds_store_2addr_b64 v2, v[38:39], v[38:39] offset0:21 offset1:84
.LBB54_703:                             ;   in Loop: Header=BB54_3 Depth=1
	s_or_b32 exec_lo, exec_lo, s49
	v_mov_b64_e32 v[38:39], 0
	s_wait_dscnt 0x0
	s_barrier_signal -1
	s_barrier_wait -1
	global_wb scope:SCOPE_DEV
	s_wait_storecnt 0x0
	global_inv scope:SCOPE_DEV
	s_and_saveexec_b32 s65, s2
	s_cbranch_execz .LBB54_709
; %bb.704:                              ;   in Loop: Header=BB54_3 Depth=1
	ds_load_b64 v[38:39], v51 offset:10368
	ds_load_b64 v[40:41], v52 offset:11936
	s_wait_dscnt 0x0
	v_dual_mul_f32 v2, v41, v39 :: v_dual_mul_f32 v39, v40, v39
	s_delay_alu instid0(VALU_DEP_1) | instskip(NEXT) | instid1(VALU_DEP_1)
	v_dual_fma_f32 v2, v40, v38, -v2 :: v_dual_fmac_f32 v39, v41, v38
	v_dual_add_f32 v38, 0, v2 :: v_dual_add_f32 v39, 0, v39
	s_and_saveexec_b32 s49, s16
	s_cbranch_execnz .LBB54_1158
; %bb.705:                              ;   in Loop: Header=BB54_3 Depth=1
	s_or_b32 exec_lo, exec_lo, s49
	s_and_saveexec_b32 s49, s17
	s_cbranch_execnz .LBB54_1159
.LBB54_706:                             ;   in Loop: Header=BB54_3 Depth=1
	s_or_b32 exec_lo, exec_lo, s49
	s_and_saveexec_b32 s49, s0
	s_cbranch_execz .LBB54_708
.LBB54_707:                             ;   in Loop: Header=BB54_3 Depth=1
	ds_load_b64 v[40:41], v75 offset:11904
	ds_load_b64 v[94:95], v3 offset:11960
	s_wait_dscnt 0x0
	v_dual_mul_f32 v2, v95, v41 :: v_dual_mul_f32 v41, v94, v41
	s_delay_alu instid0(VALU_DEP_1) | instskip(NEXT) | instid1(VALU_DEP_1)
	v_dual_fma_f32 v2, v94, v40, -v2 :: v_dual_fmac_f32 v41, v95, v40
	v_dual_add_f32 v38, v38, v2 :: v_dual_add_f32 v39, v39, v41
.LBB54_708:                             ;   in Loop: Header=BB54_3 Depth=1
	s_or_b32 exec_lo, exec_lo, s49
.LBB54_709:                             ;   in Loop: Header=BB54_3 Depth=1
	s_delay_alu instid0(SALU_CYCLE_1)
	s_or_b32 exec_lo, exec_lo, s65
	s_and_saveexec_b32 s49, s95
	s_cbranch_execz .LBB54_711
; %bb.710:                              ;   in Loop: Header=BB54_3 Depth=1
	ds_load_b64 v[40:41], v3 offset:9880
	s_wait_dscnt 0x0
	v_dual_mul_f32 v2, v39, v40 :: v_dual_mul_f32 v42, v39, v41
	s_delay_alu instid0(VALU_DEP_1) | instskip(NEXT) | instid1(VALU_DEP_2)
	v_pk_fma_f32 v[94:95], v[38:39], v[40:41], v[2:3] op_sel:[1,0,0] op_sel_hi:[0,1,0]
	v_pk_fma_f32 v[38:39], v[38:39], v[40:41], v[42:43] op_sel_hi:[1,1,0] neg_lo:[0,0,1] neg_hi:[0,0,1]
	s_delay_alu instid0(VALU_DEP_2) | instskip(NEXT) | instid1(VALU_DEP_1)
	v_mov_b32_e32 v39, v95
	v_pk_add_f32 v[40:41], v[38:39], 0 neg_lo:[1,1] neg_hi:[1,1]
	ds_store_b64 v50, v[40:41]
.LBB54_711:                             ;   in Loop: Header=BB54_3 Depth=1
	s_or_b32 exec_lo, exec_lo, s49
	s_wait_loadcnt_dscnt 0x0
	s_barrier_signal -1
	s_barrier_wait -1
	s_and_saveexec_b32 s49, s96
	s_cbranch_execz .LBB54_713
; %bb.712:                              ;   in Loop: Header=BB54_3 Depth=1
	ds_load_b64 v[40:41], v51 offset:9856
	ds_load_b64 v[94:95], v50
	s_wait_dscnt 0x0
	v_pk_mul_f32 v[96:97], v[94:95], v[40:41] op_sel:[1,1] op_sel_hi:[0,1]
	s_delay_alu instid0(VALU_DEP_1) | instskip(SKIP_1) | instid1(VALU_DEP_2)
	v_pk_fma_f32 v[98:99], v[94:95], v[40:41], v[96:97] op_sel_hi:[1,0,1]
	v_pk_fma_f32 v[40:41], v[94:95], v[40:41], v[96:97] neg_lo:[0,0,1] neg_hi:[0,0,1]
	v_mov_b32_e32 v41, v99
	s_delay_alu instid0(VALU_DEP_1)
	v_pk_add_f32 v[38:39], v[38:39], v[40:41] neg_lo:[0,1] neg_hi:[0,1]
.LBB54_713:                             ;   in Loop: Header=BB54_3 Depth=1
	s_or_b32 exec_lo, exec_lo, s49
	s_barrier_signal -1
	s_barrier_wait -1
	s_and_saveexec_b32 s49, s97
	s_cbranch_execz .LBB54_715
; %bb.714:                              ;   in Loop: Header=BB54_3 Depth=1
	ds_load_b64 v[40:41], v3 offset:9360
	s_wait_dscnt 0x0
	v_pk_mul_f32 v[94:95], v[38:39], v[40:41] op_sel:[1,1] op_sel_hi:[1,0]
	s_delay_alu instid0(VALU_DEP_1) | instskip(SKIP_1) | instid1(VALU_DEP_2)
	v_pk_fma_f32 v[96:97], v[38:39], v[40:41], v[94:95] op_sel_hi:[0,1,1]
	v_pk_fma_f32 v[38:39], v[38:39], v[40:41], v[94:95] neg_lo:[0,0,1] neg_hi:[0,0,1]
	v_mov_b32_e32 v39, v97
	s_delay_alu instid0(VALU_DEP_1)
	v_pk_add_f32 v[40:41], v[38:39], 0 neg_lo:[1,1] neg_hi:[1,1]
	ds_store_b64 v50, v[40:41]
.LBB54_715:                             ;   in Loop: Header=BB54_3 Depth=1
	s_or_b32 exec_lo, exec_lo, s49
	s_wait_dscnt 0x0
	s_barrier_signal -1
	s_barrier_wait -1
	s_and_saveexec_b32 s49, s98
	s_cbranch_execz .LBB54_717
; %bb.716:                              ;   in Loop: Header=BB54_3 Depth=1
	ds_load_b64 v[40:41], v51 offset:9344
	ds_load_b64 v[94:95], v50
	s_wait_dscnt 0x0
	v_pk_mul_f32 v[96:97], v[94:95], v[40:41] op_sel:[1,1] op_sel_hi:[0,1]
	s_delay_alu instid0(VALU_DEP_1) | instskip(SKIP_1) | instid1(VALU_DEP_2)
	v_pk_fma_f32 v[98:99], v[94:95], v[40:41], v[96:97] op_sel_hi:[1,0,1]
	v_pk_fma_f32 v[40:41], v[94:95], v[40:41], v[96:97] neg_lo:[0,0,1] neg_hi:[0,0,1]
	v_mov_b32_e32 v41, v99
	s_delay_alu instid0(VALU_DEP_1)
	v_pk_add_f32 v[38:39], v[38:39], v[40:41] neg_lo:[0,1] neg_hi:[0,1]
.LBB54_717:                             ;   in Loop: Header=BB54_3 Depth=1
	s_or_b32 exec_lo, exec_lo, s49
	s_barrier_signal -1
	s_barrier_wait -1
	s_and_saveexec_b32 s49, s99
	s_cbranch_execz .LBB54_719
; %bb.718:                              ;   in Loop: Header=BB54_3 Depth=1
	ds_load_b64 v[40:41], v3 offset:8840
	s_wait_dscnt 0x0
	v_pk_mul_f32 v[94:95], v[38:39], v[40:41] op_sel:[1,1] op_sel_hi:[1,0]
	s_delay_alu instid0(VALU_DEP_1) | instskip(SKIP_1) | instid1(VALU_DEP_2)
	v_pk_fma_f32 v[96:97], v[38:39], v[40:41], v[94:95] op_sel_hi:[0,1,1]
	v_pk_fma_f32 v[38:39], v[38:39], v[40:41], v[94:95] neg_lo:[0,0,1] neg_hi:[0,0,1]
	v_mov_b32_e32 v39, v97
	s_delay_alu instid0(VALU_DEP_1)
	v_pk_add_f32 v[40:41], v[38:39], 0 neg_lo:[1,1] neg_hi:[1,1]
	ds_store_b64 v50, v[40:41]
.LBB54_719:                             ;   in Loop: Header=BB54_3 Depth=1
	s_or_b32 exec_lo, exec_lo, s49
	s_wait_dscnt 0x0
	;; [unrolled: 35-line block ×3, first 2 shown]
	s_barrier_signal -1
	s_barrier_wait -1
	s_barrier_signal -1
	s_barrier_wait -1
	s_and_saveexec_b32 s49, s2
; %bb.724:                              ;   in Loop: Header=BB54_3 Depth=1
	ds_store_b64 v55, v[38:39] offset:11904
; %bb.725:                              ;   in Loop: Header=BB54_3 Depth=1
	s_or_b32 exec_lo, exec_lo, s49
	s_wait_dscnt 0x0
	s_barrier_signal -1
	s_barrier_wait -1
	s_barrier_signal -1
	s_barrier_wait -1
	s_and_saveexec_b32 s49, s101
	s_cbranch_execz .LBB54_727
; %bb.726:                              ;   in Loop: Header=BB54_3 Depth=1
	ds_load_b64 v[38:39], v79 offset:10368
	s_wait_dscnt 0x0
	ds_store_b64 v82, v[38:39] offset:8352
	ds_load_b64 v[38:39], v79 offset:10376
	s_wait_dscnt 0x0
	ds_store_b64 v82, v[38:39] offset:8864
	;; [unrolled: 3-line block ×4, first 2 shown]
.LBB54_727:                             ;   in Loop: Header=BB54_3 Depth=1
	s_or_b32 exec_lo, exec_lo, s49
	s_wait_dscnt 0x0
	s_barrier_signal -1
	s_barrier_wait -1
	s_and_saveexec_b32 s49, s14
	s_cbranch_execz .LBB54_729
; %bb.728:                              ;   in Loop: Header=BB54_3 Depth=1
	v_add_nc_u32_e64 v2, 0x90, 0
	ds_load_b64 v[94:95], v3 offset:9880
	ds_load_2addr_stride64_b64 v[38:41], v2 offset0:18 offset1:19
	s_wait_dscnt 0x0
	v_dual_mul_f32 v42, v95, v39 :: v_dual_mul_f32 v2, v94, v39
	s_delay_alu instid0(VALU_DEP_1) | instskip(NEXT) | instid1(VALU_DEP_2)
	v_xor_b32_e32 v42, 0x80000000, v42
	v_fmac_f32_e32 v2, v95, v38
	s_delay_alu instid0(VALU_DEP_2) | instskip(NEXT) | instid1(VALU_DEP_2)
	v_fmac_f32_e32 v42, v94, v38
	v_pk_mul_f32 v[38:39], v[2:3], v[40:41] op_sel:[0,1] op_sel_hi:[0,0]
	v_add_nc_u32_e64 v2, 0x2000, 0
	s_delay_alu instid0(VALU_DEP_2) | instskip(SKIP_1) | instid1(VALU_DEP_2)
	v_pk_fma_f32 v[94:95], v[42:43], v[40:41], v[38:39] op_sel_hi:[0,1,1]
	v_pk_fma_f32 v[38:39], v[42:43], v[40:41], v[38:39] neg_lo:[0,0,1] neg_hi:[0,0,1]
	v_mov_b32_e32 v39, v95
	ds_store_2addr_b64 v2, v[38:39], v[38:39] offset0:147 offset1:210
.LBB54_729:                             ;   in Loop: Header=BB54_3 Depth=1
	s_or_b32 exec_lo, exec_lo, s49
	v_dual_mov_b32 v38, 0 :: v_dual_mov_b32 v39, 0
	s_wait_dscnt 0x0
	s_barrier_signal -1
	s_barrier_wait -1
	global_wb scope:SCOPE_DEV
	s_wait_storecnt 0x0
	global_inv scope:SCOPE_DEV
	s_and_saveexec_b32 s65, s0
	s_cbranch_execz .LBB54_733
; %bb.730:                              ;   in Loop: Header=BB54_3 Depth=1
	ds_load_b64 v[38:39], v45 offset:9344
	ds_load_b64 v[40:41], v46 offset:9872
	s_wait_dscnt 0x0
	v_pk_mul_f32 v[94:95], v[40:41], v[38:39] op_sel:[1,1] op_sel_hi:[0,1]
	s_delay_alu instid0(VALU_DEP_1) | instskip(SKIP_1) | instid1(VALU_DEP_2)
	v_pk_fma_f32 v[96:97], v[40:41], v[38:39], v[94:95] op_sel_hi:[1,0,1]
	v_pk_fma_f32 v[38:39], v[40:41], v[38:39], v[94:95] neg_lo:[0,0,1] neg_hi:[0,0,1]
	v_mov_b32_e32 v39, v97
	s_delay_alu instid0(VALU_DEP_1)
	v_pk_add_f32 v[38:39], v[38:39], 0 op_sel_hi:[1,0]
	s_and_saveexec_b32 s49, s15
	s_cbranch_execz .LBB54_732
; %bb.731:                              ;   in Loop: Header=BB54_3 Depth=1
	ds_load_b64 v[40:41], v82 offset:9856
	ds_load_b64 v[94:95], v3 offset:9880
	s_wait_dscnt 0x0
	v_pk_mul_f32 v[96:97], v[94:95], v[40:41] op_sel:[1,1] op_sel_hi:[0,1]
	s_delay_alu instid0(VALU_DEP_1) | instskip(SKIP_1) | instid1(VALU_DEP_2)
	v_pk_fma_f32 v[98:99], v[94:95], v[40:41], v[96:97] op_sel_hi:[1,0,1]
	v_pk_fma_f32 v[40:41], v[94:95], v[40:41], v[96:97] neg_lo:[0,0,1] neg_hi:[0,0,1]
	v_mov_b32_e32 v41, v99
	s_delay_alu instid0(VALU_DEP_1)
	v_pk_add_f32 v[38:39], v[38:39], v[40:41]
.LBB54_732:                             ;   in Loop: Header=BB54_3 Depth=1
	s_or_b32 exec_lo, exec_lo, s49
.LBB54_733:                             ;   in Loop: Header=BB54_3 Depth=1
	s_delay_alu instid0(SALU_CYCLE_1)
	s_or_b32 exec_lo, exec_lo, s65
	s_and_saveexec_b32 s49, s92
	s_cbranch_execz .LBB54_735
; %bb.734:                              ;   in Loop: Header=BB54_3 Depth=1
	ds_load_b64 v[40:41], v3 offset:8840
	s_wait_dscnt 0x0
	v_pk_mul_f32 v[94:95], v[38:39], v[40:41] op_sel:[1,1] op_sel_hi:[1,0]
	s_delay_alu instid0(VALU_DEP_1) | instskip(SKIP_1) | instid1(VALU_DEP_2)
	v_pk_fma_f32 v[96:97], v[38:39], v[40:41], v[94:95] op_sel_hi:[0,1,1]
	v_pk_fma_f32 v[38:39], v[38:39], v[40:41], v[94:95] neg_lo:[0,0,1] neg_hi:[0,0,1]
	v_mov_b32_e32 v39, v97
	s_delay_alu instid0(VALU_DEP_1)
	v_pk_add_f32 v[40:41], v[38:39], 0 neg_lo:[1,1] neg_hi:[1,1]
	ds_store_b64 v5, v[40:41]
.LBB54_735:                             ;   in Loop: Header=BB54_3 Depth=1
	s_or_b32 exec_lo, exec_lo, s49
	s_wait_loadcnt_dscnt 0x0
	s_barrier_signal -1
	s_barrier_wait -1
	s_and_saveexec_b32 s49, s93
	s_cbranch_execz .LBB54_737
; %bb.736:                              ;   in Loop: Header=BB54_3 Depth=1
	ds_load_b64 v[40:41], v3 offset:8832
	ds_load_b64 v[94:95], v5
	s_wait_dscnt 0x0
	v_pk_mul_f32 v[96:97], v[94:95], v[40:41] op_sel:[1,1] op_sel_hi:[0,1]
	s_delay_alu instid0(VALU_DEP_1) | instskip(SKIP_1) | instid1(VALU_DEP_2)
	v_pk_fma_f32 v[98:99], v[94:95], v[40:41], v[96:97] op_sel_hi:[1,0,1]
	v_pk_fma_f32 v[40:41], v[94:95], v[40:41], v[96:97] neg_lo:[0,0,1] neg_hi:[0,0,1]
	v_mov_b32_e32 v41, v99
	s_delay_alu instid0(VALU_DEP_1)
	v_pk_add_f32 v[38:39], v[38:39], v[40:41] neg_lo:[0,1] neg_hi:[0,1]
.LBB54_737:                             ;   in Loop: Header=BB54_3 Depth=1
	s_or_b32 exec_lo, exec_lo, s49
	s_barrier_signal -1
	s_barrier_wait -1
	s_and_saveexec_b32 s49, s93
	s_cbranch_execz .LBB54_739
; %bb.738:                              ;   in Loop: Header=BB54_3 Depth=1
	ds_load_b64 v[40:41], v3 offset:8320
	s_wait_dscnt 0x0
	v_pk_mul_f32 v[94:95], v[38:39], v[40:41] op_sel:[1,1] op_sel_hi:[1,0]
	s_delay_alu instid0(VALU_DEP_1) | instskip(SKIP_1) | instid1(VALU_DEP_2)
	v_pk_fma_f32 v[96:97], v[38:39], v[40:41], v[94:95] op_sel_hi:[0,1,1]
	v_pk_fma_f32 v[38:39], v[38:39], v[40:41], v[94:95] neg_lo:[0,0,1] neg_hi:[0,0,1]
	v_mov_b32_e32 v39, v97
	s_delay_alu instid0(VALU_DEP_1)
	v_pk_add_f32 v[40:41], v[38:39], 0 neg_lo:[1,1] neg_hi:[1,1]
	ds_store_b64 v5, v[40:41]
.LBB54_739:                             ;   in Loop: Header=BB54_3 Depth=1
	s_or_b32 exec_lo, exec_lo, s49
	s_wait_dscnt 0x0
	s_barrier_signal -1
	s_barrier_wait -1
	s_barrier_signal -1
	s_barrier_wait -1
	s_and_saveexec_b32 s49, s0
; %bb.740:                              ;   in Loop: Header=BB54_3 Depth=1
	ds_store_b64 v48, v[38:39] offset:9856
; %bb.741:                              ;   in Loop: Header=BB54_3 Depth=1
	s_or_b32 exec_lo, exec_lo, s49
	s_wait_dscnt 0x0
	s_barrier_signal -1
	s_barrier_wait -1
	s_barrier_signal -1
	s_barrier_wait -1
	s_and_saveexec_b32 s49, s94
	s_cbranch_execz .LBB54_743
; %bb.742:                              ;   in Loop: Header=BB54_3 Depth=1
	ds_load_b64 v[38:39], v83 offset:9344
	s_wait_dscnt 0x0
	ds_store_b64 v82, v[38:39] offset:8336
	ds_load_b64 v[38:39], v83 offset:9352
	s_wait_dscnt 0x0
	ds_store_b64 v82, v[38:39] offset:8848
.LBB54_743:                             ;   in Loop: Header=BB54_3 Depth=1
	s_or_b32 exec_lo, exec_lo, s49
	s_wait_dscnt 0x0
	s_barrier_signal -1
	s_barrier_wait -1
	s_and_saveexec_b32 s49, s14
	s_cbranch_execz .LBB54_745
; %bb.744:                              ;   in Loop: Header=BB54_3 Depth=1
	v_add_nc_u32_e64 v2, 0x80, 0
	ds_load_b64 v[94:95], v3 offset:8840
	ds_load_2addr_stride64_b64 v[38:41], v2 offset0:16 offset1:17
	s_wait_dscnt 0x0
	v_dual_mul_f32 v42, v95, v39 :: v_dual_mul_f32 v2, v94, v39
	s_delay_alu instid0(VALU_DEP_1) | instskip(NEXT) | instid1(VALU_DEP_2)
	v_xor_b32_e32 v42, 0x80000000, v42
	v_fmac_f32_e32 v2, v95, v38
	s_delay_alu instid0(VALU_DEP_2) | instskip(NEXT) | instid1(VALU_DEP_2)
	v_fmac_f32_e32 v42, v94, v38
	v_pk_mul_f32 v[38:39], v[2:3], v[40:41] op_sel:[0,1] op_sel_hi:[0,0]
	v_add_nc_u32_e64 v2, 0x2000, 0
	s_delay_alu instid0(VALU_DEP_2) | instskip(SKIP_1) | instid1(VALU_DEP_2)
	v_pk_fma_f32 v[94:95], v[42:43], v[40:41], v[38:39] op_sel_hi:[0,1,1]
	v_pk_fma_f32 v[38:39], v[42:43], v[40:41], v[38:39] neg_lo:[0,0,1] neg_hi:[0,0,1]
	v_mov_b32_e32 v39, v95
	ds_store_2addr_b64 v2, v[38:39], v[38:39] offset0:17 offset1:80
.LBB54_745:                             ;   in Loop: Header=BB54_3 Depth=1
	s_or_b32 exec_lo, exec_lo, s49
	v_mov_b64_e32 v[38:39], 0
	s_wait_dscnt 0x0
	s_barrier_signal -1
	s_barrier_wait -1
	global_wb scope:SCOPE_DEV
	s_wait_storecnt 0x0
	global_inv scope:SCOPE_DEV
	s_and_saveexec_b32 s65, s4
	s_cbranch_execz .LBB54_773
; %bb.746:                              ;   in Loop: Header=BB54_3 Depth=1
	ds_load_b64 v[38:39], v61 offset:8192
	ds_load_b64 v[40:41], v62 offset:16000
	v_readlane_b32 s50, v107, 26
	s_wait_dscnt 0x0
	v_dual_mul_f32 v2, v41, v39 :: v_dual_mul_f32 v39, v40, v39
	s_delay_alu instid0(VALU_DEP_1) | instskip(NEXT) | instid1(VALU_DEP_1)
	v_dual_fma_f32 v2, v40, v38, -v2 :: v_dual_fmac_f32 v39, v41, v38
	v_dual_add_f32 v38, 0, v2 :: v_dual_add_f32 v39, 0, v39
	s_and_saveexec_b32 s49, s50
	s_cbranch_execz .LBB54_748
; %bb.747:                              ;   in Loop: Header=BB54_3 Depth=1
	ds_load_b64 v[40:41], v61 offset:8704
	ds_load_b64 v[94:95], v62 offset:16008
	s_wait_dscnt 0x0
	v_dual_mul_f32 v2, v95, v41 :: v_dual_mul_f32 v41, v94, v41
	s_delay_alu instid0(VALU_DEP_1) | instskip(NEXT) | instid1(VALU_DEP_1)
	v_dual_fma_f32 v2, v94, v40, -v2 :: v_dual_fmac_f32 v41, v95, v40
	v_dual_add_f32 v38, v38, v2 :: v_dual_add_f32 v39, v39, v41
.LBB54_748:                             ;   in Loop: Header=BB54_3 Depth=1
	s_or_b32 exec_lo, exec_lo, s49
	v_readlane_b32 s50, v107, 27
	s_and_saveexec_b32 s49, s50
	s_cbranch_execz .LBB54_750
; %bb.749:                              ;   in Loop: Header=BB54_3 Depth=1
	ds_load_b64 v[40:41], v61 offset:9216
	ds_load_b64 v[94:95], v62 offset:16016
	s_wait_dscnt 0x0
	v_dual_mul_f32 v2, v95, v41 :: v_dual_mul_f32 v41, v94, v41
	s_delay_alu instid0(VALU_DEP_1) | instskip(NEXT) | instid1(VALU_DEP_1)
	v_dual_fma_f32 v2, v94, v40, -v2 :: v_dual_fmac_f32 v41, v95, v40
	v_dual_add_f32 v38, v38, v2 :: v_dual_add_f32 v39, v39, v41
.LBB54_750:                             ;   in Loop: Header=BB54_3 Depth=1
	s_or_b32 exec_lo, exec_lo, s49
	v_readlane_b32 s50, v107, 28
	;; [unrolled: 13-line block ×10, first 2 shown]
	s_and_saveexec_b32 s49, s50
	s_cbranch_execnz .LBB54_1160
; %bb.767:                              ;   in Loop: Header=BB54_3 Depth=1
	s_or_b32 exec_lo, exec_lo, s49
	s_and_saveexec_b32 s49, s3
	s_cbranch_execnz .LBB54_1161
.LBB54_768:                             ;   in Loop: Header=BB54_3 Depth=1
	s_or_b32 exec_lo, exec_lo, s49
	s_and_saveexec_b32 s49, s19
	s_cbranch_execnz .LBB54_1162
.LBB54_769:                             ;   in Loop: Header=BB54_3 Depth=1
	s_or_b32 exec_lo, exec_lo, s49
	s_and_saveexec_b32 s49, s21
	s_cbranch_execnz .LBB54_1163
.LBB54_770:                             ;   in Loop: Header=BB54_3 Depth=1
	s_or_b32 exec_lo, exec_lo, s49
	s_and_saveexec_b32 s49, s2
	s_cbranch_execz .LBB54_772
.LBB54_771:                             ;   in Loop: Header=BB54_3 Depth=1
	ds_load_b64 v[40:41], v47 offset:15872
	ds_load_b64 v[94:95], v3 offset:16120
	s_wait_dscnt 0x0
	v_dual_mul_f32 v2, v95, v41 :: v_dual_mul_f32 v97, v94, v41
	s_delay_alu instid0(VALU_DEP_1) | instskip(NEXT) | instid1(VALU_DEP_1)
	v_dual_fma_f32 v96, v94, v40, -v2 :: v_dual_fmac_f32 v97, v95, v40
	v_pk_add_f32 v[38:39], v[38:39], v[96:97]
.LBB54_772:                             ;   in Loop: Header=BB54_3 Depth=1
	s_or_b32 exec_lo, exec_lo, s49
.LBB54_773:                             ;   in Loop: Header=BB54_3 Depth=1
	s_delay_alu instid0(SALU_CYCLE_1)
	s_or_b32 exec_lo, exec_lo, s65
	v_readlane_b32 s50, v107, 5
	s_and_saveexec_b32 s49, s50
	s_cbranch_execz .LBB54_775
; %bb.774:                              ;   in Loop: Header=BB54_3 Depth=1
	ds_load_b64 v[40:41], v3 offset:7800
	s_wait_dscnt 0x0
	v_pk_mul_f32 v[94:95], v[38:39], v[40:41] op_sel:[1,1] op_sel_hi:[1,0]
	s_delay_alu instid0(VALU_DEP_1) | instskip(SKIP_1) | instid1(VALU_DEP_2)
	v_pk_fma_f32 v[96:97], v[38:39], v[40:41], v[94:95] op_sel_hi:[0,1,1]
	v_pk_fma_f32 v[38:39], v[38:39], v[40:41], v[94:95] neg_lo:[0,0,1] neg_hi:[0,0,1]
	v_mov_b32_e32 v39, v97
	s_delay_alu instid0(VALU_DEP_1)
	v_pk_add_f32 v[40:41], v[38:39], 0 neg_lo:[1,1] neg_hi:[1,1]
	ds_store_b64 v60, v[40:41]
.LBB54_775:                             ;   in Loop: Header=BB54_3 Depth=1
	s_or_b32 exec_lo, exec_lo, s49
	v_readlane_b32 s50, v107, 6
	s_wait_loadcnt_dscnt 0x0
	s_barrier_signal -1
	s_barrier_wait -1
	s_and_saveexec_b32 s49, s50
	s_cbranch_execz .LBB54_777
; %bb.776:                              ;   in Loop: Header=BB54_3 Depth=1
	ds_load_b64 v[40:41], v61 offset:7680
	ds_load_b64 v[94:95], v60
	s_wait_dscnt 0x0
	v_pk_mul_f32 v[96:97], v[94:95], v[40:41] op_sel:[1,1] op_sel_hi:[0,1]
	s_delay_alu instid0(VALU_DEP_1) | instskip(SKIP_1) | instid1(VALU_DEP_2)
	v_pk_fma_f32 v[98:99], v[94:95], v[40:41], v[96:97] op_sel_hi:[1,0,1]
	v_pk_fma_f32 v[40:41], v[94:95], v[40:41], v[96:97] neg_lo:[0,0,1] neg_hi:[0,0,1]
	v_mov_b32_e32 v41, v99
	s_delay_alu instid0(VALU_DEP_1)
	v_pk_add_f32 v[38:39], v[38:39], v[40:41] neg_lo:[0,1] neg_hi:[0,1]
.LBB54_777:                             ;   in Loop: Header=BB54_3 Depth=1
	s_or_b32 exec_lo, exec_lo, s49
	v_readlane_b32 s50, v107, 7
	s_barrier_signal -1
	s_barrier_wait -1
	s_and_saveexec_b32 s49, s50
	s_cbranch_execz .LBB54_779
; %bb.778:                              ;   in Loop: Header=BB54_3 Depth=1
	ds_load_b64 v[40:41], v3 offset:7280
	s_wait_dscnt 0x0
	v_pk_mul_f32 v[94:95], v[38:39], v[40:41] op_sel:[1,1] op_sel_hi:[1,0]
	s_delay_alu instid0(VALU_DEP_1) | instskip(SKIP_1) | instid1(VALU_DEP_2)
	v_pk_fma_f32 v[96:97], v[38:39], v[40:41], v[94:95] op_sel_hi:[0,1,1]
	v_pk_fma_f32 v[38:39], v[38:39], v[40:41], v[94:95] neg_lo:[0,0,1] neg_hi:[0,0,1]
	v_mov_b32_e32 v39, v97
	s_delay_alu instid0(VALU_DEP_1)
	v_pk_add_f32 v[40:41], v[38:39], 0 neg_lo:[1,1] neg_hi:[1,1]
	ds_store_b64 v60, v[40:41]
.LBB54_779:                             ;   in Loop: Header=BB54_3 Depth=1
	s_or_b32 exec_lo, exec_lo, s49
	s_wait_dscnt 0x0
	s_barrier_signal -1
	s_barrier_wait -1
	s_and_saveexec_b32 s49, s52
	s_cbranch_execz .LBB54_781
; %bb.780:                              ;   in Loop: Header=BB54_3 Depth=1
	ds_load_b64 v[40:41], v61 offset:7168
	ds_load_b64 v[94:95], v60
	s_wait_dscnt 0x0
	v_pk_mul_f32 v[96:97], v[94:95], v[40:41] op_sel:[1,1] op_sel_hi:[0,1]
	s_delay_alu instid0(VALU_DEP_1) | instskip(SKIP_1) | instid1(VALU_DEP_2)
	v_pk_fma_f32 v[98:99], v[94:95], v[40:41], v[96:97] op_sel_hi:[1,0,1]
	v_pk_fma_f32 v[40:41], v[94:95], v[40:41], v[96:97] neg_lo:[0,0,1] neg_hi:[0,0,1]
	v_mov_b32_e32 v41, v99
	s_delay_alu instid0(VALU_DEP_1)
	v_pk_add_f32 v[38:39], v[38:39], v[40:41] neg_lo:[0,1] neg_hi:[0,1]
.LBB54_781:                             ;   in Loop: Header=BB54_3 Depth=1
	s_or_b32 exec_lo, exec_lo, s49
	s_barrier_signal -1
	s_barrier_wait -1
	s_and_saveexec_b32 s49, s53
	s_cbranch_execz .LBB54_783
; %bb.782:                              ;   in Loop: Header=BB54_3 Depth=1
	ds_load_b64 v[40:41], v3 offset:6760
	s_wait_dscnt 0x0
	v_pk_mul_f32 v[94:95], v[38:39], v[40:41] op_sel:[1,1] op_sel_hi:[1,0]
	s_delay_alu instid0(VALU_DEP_1) | instskip(SKIP_1) | instid1(VALU_DEP_2)
	v_pk_fma_f32 v[96:97], v[38:39], v[40:41], v[94:95] op_sel_hi:[0,1,1]
	v_pk_fma_f32 v[38:39], v[38:39], v[40:41], v[94:95] neg_lo:[0,0,1] neg_hi:[0,0,1]
	v_mov_b32_e32 v39, v97
	s_delay_alu instid0(VALU_DEP_1)
	v_pk_add_f32 v[40:41], v[38:39], 0 neg_lo:[1,1] neg_hi:[1,1]
	ds_store_b64 v60, v[40:41]
.LBB54_783:                             ;   in Loop: Header=BB54_3 Depth=1
	s_or_b32 exec_lo, exec_lo, s49
	s_wait_dscnt 0x0
	s_barrier_signal -1
	s_barrier_wait -1
	s_and_saveexec_b32 s49, s54
	s_cbranch_execz .LBB54_785
; %bb.784:                              ;   in Loop: Header=BB54_3 Depth=1
	ds_load_b64 v[40:41], v61 offset:6656
	ds_load_b64 v[94:95], v60
	s_wait_dscnt 0x0
	v_pk_mul_f32 v[96:97], v[94:95], v[40:41] op_sel:[1,1] op_sel_hi:[0,1]
	s_delay_alu instid0(VALU_DEP_1) | instskip(SKIP_1) | instid1(VALU_DEP_2)
	v_pk_fma_f32 v[98:99], v[94:95], v[40:41], v[96:97] op_sel_hi:[1,0,1]
	v_pk_fma_f32 v[40:41], v[94:95], v[40:41], v[96:97] neg_lo:[0,0,1] neg_hi:[0,0,1]
	v_mov_b32_e32 v41, v99
	s_delay_alu instid0(VALU_DEP_1)
	v_pk_add_f32 v[38:39], v[38:39], v[40:41] neg_lo:[0,1] neg_hi:[0,1]
.LBB54_785:                             ;   in Loop: Header=BB54_3 Depth=1
	s_or_b32 exec_lo, exec_lo, s49
	s_delay_alu instid0(VALU_DEP_1)
	v_dual_mov_b32 v40, v39 :: v_dual_mov_b32 v41, v38
	s_barrier_signal -1
	s_barrier_wait -1
	s_and_saveexec_b32 s49, s55
	s_cbranch_execz .LBB54_787
; %bb.786:                              ;   in Loop: Header=BB54_3 Depth=1
	ds_load_b64 v[94:95], v3 offset:6240
	s_wait_dscnt 0x0
	v_dual_mul_f32 v2, v41, v95 :: v_dual_mul_f32 v42, v39, v95
	s_delay_alu instid0(VALU_DEP_1) | instskip(NEXT) | instid1(VALU_DEP_2)
	v_pk_fma_f32 v[40:41], v[40:41], v[94:95], v[2:3] op_sel_hi:[1,1,0]
	v_pk_fma_f32 v[38:39], v[38:39], v[94:95], v[42:43] op_sel_hi:[1,1,0] neg_lo:[0,0,1] neg_hi:[0,0,1]
	s_delay_alu instid0(VALU_DEP_1) | instskip(NEXT) | instid1(VALU_DEP_1)
	v_dual_mov_b32 v39, v40 :: v_dual_mov_b32 v41, v38
	v_pk_add_f32 v[94:95], v[38:39], 0 neg_lo:[1,1] neg_hi:[1,1]
	ds_store_b64 v60, v[94:95]
.LBB54_787:                             ;   in Loop: Header=BB54_3 Depth=1
	s_or_b32 exec_lo, exec_lo, s49
	s_wait_dscnt 0x0
	s_barrier_signal -1
	s_barrier_wait -1
	s_and_saveexec_b32 s49, s56
	s_cbranch_execz .LBB54_789
; %bb.788:                              ;   in Loop: Header=BB54_3 Depth=1
	ds_load_b64 v[38:39], v61 offset:6144
	ds_load_b64 v[94:95], v60
	s_wait_dscnt 0x0
	v_dual_mul_f32 v2, v95, v39 :: v_dual_mul_f32 v96, v94, v39
	s_delay_alu instid0(VALU_DEP_1) | instskip(NEXT) | instid1(VALU_DEP_1)
	v_dual_fma_f32 v97, v94, v38, -v2 :: v_dual_fmac_f32 v96, v95, v38
	v_pk_add_f32 v[40:41], v[40:41], v[96:97] neg_lo:[0,1] neg_hi:[0,1]
.LBB54_789:                             ;   in Loop: Header=BB54_3 Depth=1
	s_or_b32 exec_lo, exec_lo, s49
	s_barrier_signal -1
	s_barrier_wait -1
	s_and_saveexec_b32 s49, s57
	s_cbranch_execz .LBB54_791
; %bb.790:                              ;   in Loop: Header=BB54_3 Depth=1
	ds_load_b64 v[38:39], v3 offset:5720
	s_wait_dscnt 0x0
	v_pk_mul_f32 v[94:95], v[40:41], v[38:39] op_sel_hi:[0,1]
	s_delay_alu instid0(VALU_DEP_1) | instskip(SKIP_1) | instid1(VALU_DEP_2)
	v_pk_fma_f32 v[96:97], v[40:41], v[38:39], v[94:95] op_sel:[1,1,0] op_sel_hi:[1,0,1] neg_lo:[0,0,1] neg_hi:[0,0,1]
	v_pk_fma_f32 v[40:41], v[40:41], v[38:39], v[94:95] op_sel:[1,1,0] op_sel_hi:[1,0,1]
	v_mov_b32_e32 v41, v97
	s_delay_alu instid0(VALU_DEP_2)
	v_xor_b32_e32 v39, 0x80000000, v40
	v_xor_b32_e32 v38, 0x80000000, v97
	ds_store_b64 v60, v[38:39]
.LBB54_791:                             ;   in Loop: Header=BB54_3 Depth=1
	s_or_b32 exec_lo, exec_lo, s49
	s_wait_dscnt 0x0
	s_barrier_signal -1
	s_barrier_wait -1
	s_and_saveexec_b32 s49, s58
	s_cbranch_execz .LBB54_793
; %bb.792:                              ;   in Loop: Header=BB54_3 Depth=1
	ds_load_b64 v[38:39], v61 offset:5632
	ds_load_b64 v[94:95], v60
	s_wait_dscnt 0x0
	v_pk_mul_f32 v[96:97], v[94:95], v[38:39] op_sel:[0,1]
	s_delay_alu instid0(VALU_DEP_1) | instskip(SKIP_1) | instid1(VALU_DEP_2)
	v_pk_fma_f32 v[98:99], v[94:95], v[38:39], v[96:97] op_sel:[1,0,0] op_sel_hi:[0,0,1] neg_lo:[0,0,1] neg_hi:[0,0,1]
	v_pk_fma_f32 v[38:39], v[94:95], v[38:39], v[96:97] op_sel:[1,0,0] op_sel_hi:[0,1,1]
	v_mov_b32_e32 v39, v99
	s_delay_alu instid0(VALU_DEP_1)
	v_pk_add_f32 v[40:41], v[40:41], v[38:39] neg_lo:[0,1] neg_hi:[0,1]
.LBB54_793:                             ;   in Loop: Header=BB54_3 Depth=1
	s_or_b32 exec_lo, exec_lo, s49
	s_barrier_signal -1
	s_barrier_wait -1
	s_and_saveexec_b32 s49, s59
	s_cbranch_execz .LBB54_795
; %bb.794:                              ;   in Loop: Header=BB54_3 Depth=1
	ds_load_b64 v[38:39], v3 offset:5200
	s_wait_dscnt 0x0
	v_pk_mul_f32 v[94:95], v[40:41], v[38:39] op_sel_hi:[0,1]
	s_delay_alu instid0(VALU_DEP_1) | instskip(SKIP_1) | instid1(VALU_DEP_2)
	v_pk_fma_f32 v[96:97], v[40:41], v[38:39], v[94:95] op_sel:[1,1,0] op_sel_hi:[1,0,1] neg_lo:[0,0,1] neg_hi:[0,0,1]
	v_pk_fma_f32 v[40:41], v[40:41], v[38:39], v[94:95] op_sel:[1,1,0] op_sel_hi:[1,0,1]
	v_mov_b32_e32 v41, v97
	s_delay_alu instid0(VALU_DEP_2)
	v_xor_b32_e32 v39, 0x80000000, v40
	v_xor_b32_e32 v38, 0x80000000, v97
	ds_store_b64 v60, v[38:39]
.LBB54_795:                             ;   in Loop: Header=BB54_3 Depth=1
	s_or_b32 exec_lo, exec_lo, s49
	s_wait_dscnt 0x0
	s_barrier_signal -1
	s_barrier_wait -1
	s_and_saveexec_b32 s49, s60
	s_cbranch_execz .LBB54_797
; %bb.796:                              ;   in Loop: Header=BB54_3 Depth=1
	ds_load_b64 v[38:39], v61 offset:5120
	ds_load_b64 v[94:95], v60
	s_wait_dscnt 0x0
	v_pk_mul_f32 v[96:97], v[94:95], v[38:39] op_sel:[0,1]
	s_delay_alu instid0(VALU_DEP_1) | instskip(SKIP_1) | instid1(VALU_DEP_2)
	v_pk_fma_f32 v[98:99], v[94:95], v[38:39], v[96:97] op_sel:[1,0,0] op_sel_hi:[0,0,1] neg_lo:[0,0,1] neg_hi:[0,0,1]
	v_pk_fma_f32 v[38:39], v[94:95], v[38:39], v[96:97] op_sel:[1,0,0] op_sel_hi:[0,1,1]
	v_mov_b32_e32 v39, v99
	s_delay_alu instid0(VALU_DEP_1)
	v_pk_add_f32 v[40:41], v[40:41], v[38:39] neg_lo:[0,1] neg_hi:[0,1]
.LBB54_797:                             ;   in Loop: Header=BB54_3 Depth=1
	;; [unrolled: 36-line block ×3, first 2 shown]
	s_or_b32 exec_lo, exec_lo, s49
	s_delay_alu instid0(VALU_DEP_1)
	v_dual_mov_b32 v38, v41 :: v_dual_mov_b32 v39, v40
	s_barrier_signal -1
	s_barrier_wait -1
	s_and_saveexec_b32 s49, s63
	s_cbranch_execz .LBB54_803
; %bb.802:                              ;   in Loop: Header=BB54_3 Depth=1
	ds_load_b64 v[94:95], v3 offset:4160
	s_wait_dscnt 0x0
	v_dual_mul_f32 v2, v40, v94 :: v_dual_mul_f32 v42, v39, v95
	s_delay_alu instid0(VALU_DEP_1) | instskip(NEXT) | instid1(VALU_DEP_2)
	v_pk_fma_f32 v[40:41], v[40:41], v[94:95], v[2:3] op_sel_hi:[1,1,0]
	v_pk_fma_f32 v[38:39], v[38:39], v[94:95], v[42:43] op_sel_hi:[1,1,0] neg_lo:[0,0,1] neg_hi:[0,0,1]
	s_delay_alu instid0(VALU_DEP_2) | instskip(NEXT) | instid1(VALU_DEP_1)
	v_mov_b32_e32 v39, v41
	v_pk_add_f32 v[40:41], v[38:39], 0 neg_lo:[1,1] neg_hi:[1,1]
	ds_store_b64 v60, v[40:41]
.LBB54_803:                             ;   in Loop: Header=BB54_3 Depth=1
	s_or_b32 exec_lo, exec_lo, s49
	s_wait_dscnt 0x0
	s_barrier_signal -1
	s_barrier_wait -1
	s_and_saveexec_b32 s49, s12
	s_cbranch_execz .LBB54_805
; %bb.804:                              ;   in Loop: Header=BB54_3 Depth=1
	ds_load_b64 v[40:41], v61 offset:4096
	ds_load_b64 v[94:95], v60
	s_wait_dscnt 0x0
	v_dual_mul_f32 v2, v95, v41 :: v_dual_mul_f32 v97, v94, v41
	s_delay_alu instid0(VALU_DEP_1) | instskip(NEXT) | instid1(VALU_DEP_1)
	v_dual_fma_f32 v96, v94, v40, -v2 :: v_dual_fmac_f32 v97, v95, v40
	v_pk_add_f32 v[38:39], v[38:39], v[96:97] neg_lo:[0,1] neg_hi:[0,1]
.LBB54_805:                             ;   in Loop: Header=BB54_3 Depth=1
	s_or_b32 exec_lo, exec_lo, s49
	s_barrier_signal -1
	s_barrier_wait -1
	s_and_saveexec_b32 s49, s13
	s_cbranch_execz .LBB54_807
; %bb.806:                              ;   in Loop: Header=BB54_3 Depth=1
	ds_load_b64 v[40:41], v3 offset:3640
	s_wait_dscnt 0x0
	v_pk_mul_f32 v[94:95], v[38:39], v[40:41] op_sel:[1,1] op_sel_hi:[1,0]
	s_delay_alu instid0(VALU_DEP_1) | instskip(SKIP_1) | instid1(VALU_DEP_2)
	v_pk_fma_f32 v[96:97], v[38:39], v[40:41], v[94:95] op_sel_hi:[0,1,1]
	v_pk_fma_f32 v[38:39], v[38:39], v[40:41], v[94:95] neg_lo:[0,0,1] neg_hi:[0,0,1]
	v_mov_b32_e32 v39, v97
	s_delay_alu instid0(VALU_DEP_1)
	v_pk_add_f32 v[40:41], v[38:39], 0 neg_lo:[1,1] neg_hi:[1,1]
	ds_store_b64 v60, v[40:41]
.LBB54_807:                             ;   in Loop: Header=BB54_3 Depth=1
	s_or_b32 exec_lo, exec_lo, s49
	s_wait_dscnt 0x0
	s_barrier_signal -1
	s_barrier_wait -1
	s_and_saveexec_b32 s49, s23
	s_cbranch_execz .LBB54_809
; %bb.808:                              ;   in Loop: Header=BB54_3 Depth=1
	ds_load_b64 v[40:41], v61 offset:3584
	ds_load_b64 v[94:95], v60
	s_wait_dscnt 0x0
	v_pk_mul_f32 v[96:97], v[94:95], v[40:41] op_sel:[1,1] op_sel_hi:[0,1]
	s_delay_alu instid0(VALU_DEP_1) | instskip(SKIP_1) | instid1(VALU_DEP_2)
	v_pk_fma_f32 v[98:99], v[94:95], v[40:41], v[96:97] op_sel_hi:[1,0,1]
	v_pk_fma_f32 v[40:41], v[94:95], v[40:41], v[96:97] neg_lo:[0,0,1] neg_hi:[0,0,1]
	v_mov_b32_e32 v41, v99
	s_delay_alu instid0(VALU_DEP_1)
	v_pk_add_f32 v[38:39], v[38:39], v[40:41] neg_lo:[0,1] neg_hi:[0,1]
.LBB54_809:                             ;   in Loop: Header=BB54_3 Depth=1
	s_or_b32 exec_lo, exec_lo, s49
	s_barrier_signal -1
	s_barrier_wait -1
	s_and_saveexec_b32 s49, s25
	s_cbranch_execz .LBB54_811
; %bb.810:                              ;   in Loop: Header=BB54_3 Depth=1
	ds_load_b64 v[40:41], v3 offset:3120
	s_wait_dscnt 0x0
	v_pk_mul_f32 v[94:95], v[38:39], v[40:41] op_sel:[1,1] op_sel_hi:[1,0]
	s_delay_alu instid0(VALU_DEP_1) | instskip(SKIP_1) | instid1(VALU_DEP_2)
	v_pk_fma_f32 v[96:97], v[38:39], v[40:41], v[94:95] op_sel_hi:[0,1,1]
	v_pk_fma_f32 v[38:39], v[38:39], v[40:41], v[94:95] neg_lo:[0,0,1] neg_hi:[0,0,1]
	v_mov_b32_e32 v39, v97
	s_delay_alu instid0(VALU_DEP_1)
	v_pk_add_f32 v[40:41], v[38:39], 0 neg_lo:[1,1] neg_hi:[1,1]
	ds_store_b64 v60, v[40:41]
.LBB54_811:                             ;   in Loop: Header=BB54_3 Depth=1
	s_or_b32 exec_lo, exec_lo, s49
	s_wait_dscnt 0x0
	s_barrier_signal -1
	s_barrier_wait -1
	s_and_saveexec_b32 s49, s27
	s_cbranch_execz .LBB54_813
; %bb.812:                              ;   in Loop: Header=BB54_3 Depth=1
	ds_load_b64 v[40:41], v61 offset:3072
	ds_load_b64 v[94:95], v60
	s_wait_dscnt 0x0
	v_pk_mul_f32 v[96:97], v[94:95], v[40:41] op_sel:[1,1] op_sel_hi:[0,1]
	s_delay_alu instid0(VALU_DEP_1) | instskip(SKIP_1) | instid1(VALU_DEP_2)
	v_pk_fma_f32 v[98:99], v[94:95], v[40:41], v[96:97] op_sel_hi:[1,0,1]
	v_pk_fma_f32 v[40:41], v[94:95], v[40:41], v[96:97] neg_lo:[0,0,1] neg_hi:[0,0,1]
	v_mov_b32_e32 v41, v99
	s_delay_alu instid0(VALU_DEP_1)
	v_pk_add_f32 v[38:39], v[38:39], v[40:41] neg_lo:[0,1] neg_hi:[0,1]
.LBB54_813:                             ;   in Loop: Header=BB54_3 Depth=1
	;; [unrolled: 35-line block ×3, first 2 shown]
	s_or_b32 exec_lo, exec_lo, s49
	s_barrier_signal -1
	s_barrier_wait -1
	s_and_saveexec_b32 s49, s34
	s_cbranch_execz .LBB54_819
; %bb.818:                              ;   in Loop: Header=BB54_3 Depth=1
	ds_load_b64 v[40:41], v3 offset:2080
	s_wait_dscnt 0x0
	v_pk_mul_f32 v[94:95], v[38:39], v[40:41]
	v_pk_mul_f32 v[38:39], v[38:39], v[40:41] op_sel:[1,0] op_sel_hi:[0,1]
	s_delay_alu instid0(VALU_DEP_1) | instskip(NEXT) | instid1(VALU_DEP_3)
	v_dual_mov_b32 v40, v94 :: v_dual_mov_b32 v41, v38
	v_mov_b32_e32 v38, v95
	s_delay_alu instid0(VALU_DEP_1) | instskip(SKIP_1) | instid1(VALU_DEP_2)
	v_pk_add_f32 v[94:95], v[40:41], v[38:39]
	v_pk_add_f32 v[38:39], v[40:41], v[38:39] neg_lo:[0,1] neg_hi:[0,1]
	v_mov_b32_e32 v39, v95
	s_delay_alu instid0(VALU_DEP_1)
	v_pk_add_f32 v[40:41], v[38:39], 0 neg_lo:[1,1] neg_hi:[1,1]
	ds_store_b64 v60, v[40:41]
.LBB54_819:                             ;   in Loop: Header=BB54_3 Depth=1
	s_or_b32 exec_lo, exec_lo, s49
	s_wait_dscnt 0x0
	s_barrier_signal -1
	s_barrier_wait -1
	s_and_saveexec_b32 s49, s24
	s_cbranch_execz .LBB54_821
; %bb.820:                              ;   in Loop: Header=BB54_3 Depth=1
	ds_load_b64 v[40:41], v61 offset:2048
	ds_load_b64 v[94:95], v60
	s_wait_dscnt 0x0
	v_dual_mul_f32 v2, v95, v41 :: v_dual_mul_f32 v41, v94, v41
	s_delay_alu instid0(VALU_DEP_1) | instskip(NEXT) | instid1(VALU_DEP_1)
	v_dual_fma_f32 v2, v94, v40, -v2 :: v_dual_fmac_f32 v41, v95, v40
	v_dual_sub_f32 v38, v38, v2 :: v_dual_sub_f32 v39, v39, v41
.LBB54_821:                             ;   in Loop: Header=BB54_3 Depth=1
	s_or_b32 exec_lo, exec_lo, s49
	s_barrier_signal -1
	s_barrier_wait -1
	s_and_saveexec_b32 s49, s26
	s_cbranch_execz .LBB54_823
; %bb.822:                              ;   in Loop: Header=BB54_3 Depth=1
	ds_load_b64 v[40:41], v3 offset:1560
	s_wait_dscnt 0x0
	v_dual_mul_f32 v2, v39, v40 :: v_dual_mul_f32 v42, v39, v41
	s_delay_alu instid0(VALU_DEP_1) | instskip(NEXT) | instid1(VALU_DEP_2)
	v_pk_fma_f32 v[94:95], v[38:39], v[40:41], v[2:3] op_sel:[1,0,0] op_sel_hi:[0,1,0]
	v_pk_fma_f32 v[38:39], v[38:39], v[40:41], v[42:43] op_sel_hi:[1,1,0] neg_lo:[0,0,1] neg_hi:[0,0,1]
	s_delay_alu instid0(VALU_DEP_2) | instskip(NEXT) | instid1(VALU_DEP_1)
	v_mov_b32_e32 v39, v95
	v_pk_add_f32 v[40:41], v[38:39], 0 neg_lo:[1,1] neg_hi:[1,1]
	ds_store_b64 v60, v[40:41]
.LBB54_823:                             ;   in Loop: Header=BB54_3 Depth=1
	s_or_b32 exec_lo, exec_lo, s49
	s_wait_dscnt 0x0
	s_barrier_signal -1
	s_barrier_wait -1
	s_and_saveexec_b32 s49, s28
	s_cbranch_execz .LBB54_825
; %bb.824:                              ;   in Loop: Header=BB54_3 Depth=1
	ds_load_b64 v[40:41], v61 offset:1536
	ds_load_b64 v[94:95], v60
	s_wait_dscnt 0x0
	v_pk_mul_f32 v[96:97], v[94:95], v[40:41] op_sel:[1,1] op_sel_hi:[0,1]
	s_delay_alu instid0(VALU_DEP_1) | instskip(SKIP_1) | instid1(VALU_DEP_2)
	v_pk_fma_f32 v[98:99], v[94:95], v[40:41], v[96:97] op_sel_hi:[1,0,1]
	v_pk_fma_f32 v[40:41], v[94:95], v[40:41], v[96:97] neg_lo:[0,0,1] neg_hi:[0,0,1]
	v_mov_b32_e32 v41, v99
	s_delay_alu instid0(VALU_DEP_1)
	v_pk_add_f32 v[38:39], v[38:39], v[40:41] neg_lo:[0,1] neg_hi:[0,1]
.LBB54_825:                             ;   in Loop: Header=BB54_3 Depth=1
	s_or_b32 exec_lo, exec_lo, s49
	s_barrier_signal -1
	s_barrier_wait -1
	s_and_saveexec_b32 s49, s30
	s_cbranch_execz .LBB54_827
; %bb.826:                              ;   in Loop: Header=BB54_3 Depth=1
	ds_load_b64 v[40:41], v3 offset:1040
	s_wait_dscnt 0x0
	v_pk_mul_f32 v[94:95], v[38:39], v[40:41] op_sel:[1,1] op_sel_hi:[1,0]
	s_delay_alu instid0(VALU_DEP_1) | instskip(SKIP_1) | instid1(VALU_DEP_2)
	v_pk_fma_f32 v[96:97], v[38:39], v[40:41], v[94:95] op_sel_hi:[0,1,1]
	v_pk_fma_f32 v[38:39], v[38:39], v[40:41], v[94:95] neg_lo:[0,0,1] neg_hi:[0,0,1]
	v_mov_b32_e32 v39, v97
	s_delay_alu instid0(VALU_DEP_1)
	v_pk_add_f32 v[40:41], v[38:39], 0 neg_lo:[1,1] neg_hi:[1,1]
	ds_store_b64 v60, v[40:41]
.LBB54_827:                             ;   in Loop: Header=BB54_3 Depth=1
	s_or_b32 exec_lo, exec_lo, s49
	s_wait_dscnt 0x0
	s_barrier_signal -1
	s_barrier_wait -1
	s_and_saveexec_b32 s49, s33
	s_cbranch_execz .LBB54_829
; %bb.828:                              ;   in Loop: Header=BB54_3 Depth=1
	ds_load_b64 v[40:41], v61 offset:1024
	ds_load_b64 v[94:95], v60
	s_wait_dscnt 0x0
	v_pk_mul_f32 v[96:97], v[94:95], v[40:41] op_sel:[1,1] op_sel_hi:[0,1]
	s_delay_alu instid0(VALU_DEP_1) | instskip(SKIP_1) | instid1(VALU_DEP_2)
	v_pk_fma_f32 v[98:99], v[94:95], v[40:41], v[96:97] op_sel_hi:[1,0,1]
	v_pk_fma_f32 v[40:41], v[94:95], v[40:41], v[96:97] neg_lo:[0,0,1] neg_hi:[0,0,1]
	v_mov_b32_e32 v41, v99
	s_delay_alu instid0(VALU_DEP_1)
	v_pk_add_f32 v[38:39], v[38:39], v[40:41] neg_lo:[0,1] neg_hi:[0,1]
.LBB54_829:                             ;   in Loop: Header=BB54_3 Depth=1
	s_or_b32 exec_lo, exec_lo, s49
	s_barrier_signal -1
	s_barrier_wait -1
	s_and_saveexec_b32 s49, s72
	s_cbranch_execz .LBB54_831
; %bb.830:                              ;   in Loop: Header=BB54_3 Depth=1
	ds_load_b64 v[40:41], v3 offset:520
	s_wait_dscnt 0x0
	v_pk_mul_f32 v[94:95], v[38:39], v[40:41] op_sel:[1,1] op_sel_hi:[1,0]
	s_delay_alu instid0(VALU_DEP_1) | instskip(SKIP_1) | instid1(VALU_DEP_2)
	v_pk_fma_f32 v[96:97], v[38:39], v[40:41], v[94:95] op_sel_hi:[0,1,1]
	v_pk_fma_f32 v[38:39], v[38:39], v[40:41], v[94:95] neg_lo:[0,0,1] neg_hi:[0,0,1]
	v_mov_b32_e32 v39, v97
	s_delay_alu instid0(VALU_DEP_1)
	v_pk_add_f32 v[40:41], v[38:39], 0 neg_lo:[1,1] neg_hi:[1,1]
	ds_store_b64 v60, v[40:41]
.LBB54_831:                             ;   in Loop: Header=BB54_3 Depth=1
	s_or_b32 exec_lo, exec_lo, s49
	s_wait_dscnt 0x0
	s_barrier_signal -1
	s_barrier_wait -1
	s_and_saveexec_b32 s49, s73
	s_cbranch_execz .LBB54_833
; %bb.832:                              ;   in Loop: Header=BB54_3 Depth=1
	ds_load_b64 v[40:41], v3 offset:512
	ds_load_b64 v[94:95], v60
	s_wait_dscnt 0x0
	v_pk_mul_f32 v[96:97], v[94:95], v[40:41] op_sel:[1,1] op_sel_hi:[0,1]
	s_delay_alu instid0(VALU_DEP_1) | instskip(SKIP_1) | instid1(VALU_DEP_2)
	v_pk_fma_f32 v[98:99], v[94:95], v[40:41], v[96:97] op_sel_hi:[1,0,1]
	v_pk_fma_f32 v[40:41], v[94:95], v[40:41], v[96:97] neg_lo:[0,0,1] neg_hi:[0,0,1]
	v_mov_b32_e32 v41, v99
	s_delay_alu instid0(VALU_DEP_1)
	v_pk_add_f32 v[38:39], v[38:39], v[40:41] neg_lo:[0,1] neg_hi:[0,1]
.LBB54_833:                             ;   in Loop: Header=BB54_3 Depth=1
	s_or_b32 exec_lo, exec_lo, s49
	s_barrier_signal -1
	s_barrier_wait -1
	s_and_saveexec_b32 s49, s73
	s_cbranch_execz .LBB54_835
; %bb.834:                              ;   in Loop: Header=BB54_3 Depth=1
	ds_load_b64 v[40:41], v3
	s_wait_dscnt 0x0
	v_pk_mul_f32 v[94:95], v[38:39], v[40:41] op_sel:[1,1] op_sel_hi:[1,0]
	s_delay_alu instid0(VALU_DEP_1) | instskip(SKIP_1) | instid1(VALU_DEP_2)
	v_pk_fma_f32 v[96:97], v[38:39], v[40:41], v[94:95] op_sel_hi:[0,1,1]
	v_pk_fma_f32 v[38:39], v[38:39], v[40:41], v[94:95] neg_lo:[0,0,1] neg_hi:[0,0,1]
	v_mov_b32_e32 v39, v97
	s_delay_alu instid0(VALU_DEP_1)
	v_pk_add_f32 v[40:41], v[38:39], 0 neg_lo:[1,1] neg_hi:[1,1]
	ds_store_b64 v60, v[40:41]
.LBB54_835:                             ;   in Loop: Header=BB54_3 Depth=1
	s_or_b32 exec_lo, exec_lo, s49
	s_wait_dscnt 0x0
	s_barrier_signal -1
	s_barrier_wait -1
	s_barrier_signal -1
	s_barrier_wait -1
	s_and_saveexec_b32 s49, s4
; %bb.836:                              ;   in Loop: Header=BB54_3 Depth=1
	ds_store_b64 v63, v[38:39] offset:15872
; %bb.837:                              ;   in Loop: Header=BB54_3 Depth=1
	s_or_b32 exec_lo, exec_lo, s49
	s_wait_dscnt 0x0
	s_barrier_signal -1
	s_barrier_wait -1
	s_barrier_signal -1
	s_barrier_wait -1
	s_and_saveexec_b32 s65, s10
	s_cbranch_execz .LBB54_839
; %bb.838:                              ;   in Loop: Header=BB54_3 Depth=1
	ds_load_b64 v[38:39], v49 offset:8192
	s_wait_dscnt 0x0
	ds_store_b64 v54, v[38:39] offset:128
	ds_load_b64 v[38:39], v49 offset:8200
	s_wait_dscnt 0x0
	ds_store_b64 v54, v[38:39] offset:640
	;; [unrolled: 3-line block ×16, first 2 shown]
.LBB54_839:                             ;   in Loop: Header=BB54_3 Depth=1
	s_or_b32 exec_lo, exec_lo, s65
	s_wait_dscnt 0x0
	s_barrier_signal -1
	s_barrier_wait -1
	s_and_saveexec_b32 s49, s14
	s_cbranch_execz .LBB54_841
; %bb.840:                              ;   in Loop: Header=BB54_3 Depth=1
	v_add_nc_u32_e64 v2, 0x70, 0
	ds_load_b64 v[94:95], v3 offset:7800
	ds_load_2addr_stride64_b64 v[38:41], v2 offset0:14 offset1:15
	s_wait_dscnt 0x0
	v_dual_mul_f32 v42, v95, v39 :: v_dual_mul_f32 v2, v94, v39
	s_delay_alu instid0(VALU_DEP_1) | instskip(NEXT) | instid1(VALU_DEP_2)
	v_xor_b32_e32 v42, 0x80000000, v42
	v_fmac_f32_e32 v2, v95, v38
	s_delay_alu instid0(VALU_DEP_2) | instskip(NEXT) | instid1(VALU_DEP_2)
	v_fmac_f32_e32 v42, v94, v38
	v_pk_mul_f32 v[38:39], v[2:3], v[40:41] op_sel:[0,1] op_sel_hi:[0,0]
	v_add_nc_u32_e64 v2, 0x1800, 0
	s_delay_alu instid0(VALU_DEP_2) | instskip(SKIP_1) | instid1(VALU_DEP_2)
	v_pk_fma_f32 v[94:95], v[42:43], v[40:41], v[38:39] op_sel_hi:[0,1,1]
	v_pk_fma_f32 v[38:39], v[42:43], v[40:41], v[38:39] neg_lo:[0,0,1] neg_hi:[0,0,1]
	v_mov_b32_e32 v39, v95
	ds_store_2addr_b64 v2, v[38:39], v[38:39] offset0:143 offset1:206
.LBB54_841:                             ;   in Loop: Header=BB54_3 Depth=1
	s_or_b32 exec_lo, exec_lo, s49
	v_dual_mov_b32 v38, 0 :: v_dual_mov_b32 v39, 0
	s_wait_dscnt 0x0
	s_barrier_signal -1
	s_barrier_wait -1
	global_wb scope:SCOPE_DEV
	s_wait_storecnt 0x0
	global_inv scope:SCOPE_DEV
	s_and_saveexec_b32 s65, s0
	s_cbranch_execz .LBB54_845
; %bb.842:                              ;   in Loop: Header=BB54_3 Depth=1
	ds_load_b64 v[38:39], v45 offset:7264
	ds_load_b64 v[40:41], v46 offset:7792
	s_wait_dscnt 0x0
	v_pk_mul_f32 v[94:95], v[40:41], v[38:39] op_sel:[1,1] op_sel_hi:[0,1]
	s_delay_alu instid0(VALU_DEP_1) | instskip(SKIP_1) | instid1(VALU_DEP_2)
	v_pk_fma_f32 v[96:97], v[40:41], v[38:39], v[94:95] op_sel_hi:[1,0,1]
	v_pk_fma_f32 v[38:39], v[40:41], v[38:39], v[94:95] neg_lo:[0,0,1] neg_hi:[0,0,1]
	v_mov_b32_e32 v39, v97
	s_delay_alu instid0(VALU_DEP_1)
	v_pk_add_f32 v[38:39], v[38:39], 0 op_sel_hi:[1,0]
	s_and_saveexec_b32 s49, s15
	s_cbranch_execz .LBB54_844
; %bb.843:                              ;   in Loop: Header=BB54_3 Depth=1
	ds_load_b64 v[40:41], v47 offset:7776
	ds_load_b64 v[94:95], v3 offset:7800
	s_wait_dscnt 0x0
	v_pk_mul_f32 v[96:97], v[94:95], v[40:41] op_sel:[1,1] op_sel_hi:[0,1]
	s_delay_alu instid0(VALU_DEP_1) | instskip(SKIP_1) | instid1(VALU_DEP_2)
	v_pk_fma_f32 v[98:99], v[94:95], v[40:41], v[96:97] op_sel_hi:[1,0,1]
	v_pk_fma_f32 v[40:41], v[94:95], v[40:41], v[96:97] neg_lo:[0,0,1] neg_hi:[0,0,1]
	v_mov_b32_e32 v41, v99
	s_delay_alu instid0(VALU_DEP_1)
	v_pk_add_f32 v[38:39], v[38:39], v[40:41]
.LBB54_844:                             ;   in Loop: Header=BB54_3 Depth=1
	s_or_b32 exec_lo, exec_lo, s49
.LBB54_845:                             ;   in Loop: Header=BB54_3 Depth=1
	s_delay_alu instid0(SALU_CYCLE_1)
	s_or_b32 exec_lo, exec_lo, s65
	s_and_saveexec_b32 s49, s92
	s_cbranch_execz .LBB54_847
; %bb.846:                              ;   in Loop: Header=BB54_3 Depth=1
	ds_load_b64 v[40:41], v3 offset:6760
	s_wait_dscnt 0x0
	v_pk_mul_f32 v[94:95], v[38:39], v[40:41] op_sel:[1,1] op_sel_hi:[1,0]
	s_delay_alu instid0(VALU_DEP_1) | instskip(SKIP_1) | instid1(VALU_DEP_2)
	v_pk_fma_f32 v[96:97], v[38:39], v[40:41], v[94:95] op_sel_hi:[0,1,1]
	v_pk_fma_f32 v[38:39], v[38:39], v[40:41], v[94:95] neg_lo:[0,0,1] neg_hi:[0,0,1]
	v_mov_b32_e32 v39, v97
	s_delay_alu instid0(VALU_DEP_1)
	v_pk_add_f32 v[40:41], v[38:39], 0 neg_lo:[1,1] neg_hi:[1,1]
	ds_store_b64 v5, v[40:41]
.LBB54_847:                             ;   in Loop: Header=BB54_3 Depth=1
	s_or_b32 exec_lo, exec_lo, s49
	s_wait_loadcnt_dscnt 0x0
	s_barrier_signal -1
	s_barrier_wait -1
	s_and_saveexec_b32 s49, s93
	s_cbranch_execz .LBB54_849
; %bb.848:                              ;   in Loop: Header=BB54_3 Depth=1
	ds_load_b64 v[40:41], v3 offset:6752
	ds_load_b64 v[94:95], v5
	s_wait_dscnt 0x0
	v_pk_mul_f32 v[96:97], v[94:95], v[40:41] op_sel:[1,1] op_sel_hi:[0,1]
	s_delay_alu instid0(VALU_DEP_1) | instskip(SKIP_1) | instid1(VALU_DEP_2)
	v_pk_fma_f32 v[98:99], v[94:95], v[40:41], v[96:97] op_sel_hi:[1,0,1]
	v_pk_fma_f32 v[40:41], v[94:95], v[40:41], v[96:97] neg_lo:[0,0,1] neg_hi:[0,0,1]
	v_mov_b32_e32 v41, v99
	s_delay_alu instid0(VALU_DEP_1)
	v_pk_add_f32 v[38:39], v[38:39], v[40:41] neg_lo:[0,1] neg_hi:[0,1]
.LBB54_849:                             ;   in Loop: Header=BB54_3 Depth=1
	s_or_b32 exec_lo, exec_lo, s49
	s_barrier_signal -1
	s_barrier_wait -1
	s_and_saveexec_b32 s49, s93
	s_cbranch_execz .LBB54_851
; %bb.850:                              ;   in Loop: Header=BB54_3 Depth=1
	ds_load_b64 v[40:41], v3 offset:6240
	s_wait_dscnt 0x0
	v_pk_mul_f32 v[94:95], v[38:39], v[40:41] op_sel:[1,1] op_sel_hi:[1,0]
	s_delay_alu instid0(VALU_DEP_1) | instskip(SKIP_1) | instid1(VALU_DEP_2)
	v_pk_fma_f32 v[96:97], v[38:39], v[40:41], v[94:95] op_sel_hi:[0,1,1]
	v_pk_fma_f32 v[38:39], v[38:39], v[40:41], v[94:95] neg_lo:[0,0,1] neg_hi:[0,0,1]
	v_mov_b32_e32 v39, v97
	s_delay_alu instid0(VALU_DEP_1)
	v_pk_add_f32 v[40:41], v[38:39], 0 neg_lo:[1,1] neg_hi:[1,1]
	ds_store_b64 v5, v[40:41]
.LBB54_851:                             ;   in Loop: Header=BB54_3 Depth=1
	s_or_b32 exec_lo, exec_lo, s49
	s_wait_dscnt 0x0
	s_barrier_signal -1
	s_barrier_wait -1
	s_barrier_signal -1
	s_barrier_wait -1
	s_and_saveexec_b32 s49, s0
; %bb.852:                              ;   in Loop: Header=BB54_3 Depth=1
	ds_store_b64 v48, v[38:39] offset:7776
; %bb.853:                              ;   in Loop: Header=BB54_3 Depth=1
	s_or_b32 exec_lo, exec_lo, s49
	s_wait_dscnt 0x0
	s_barrier_signal -1
	s_barrier_wait -1
	s_barrier_signal -1
	s_barrier_wait -1
	s_and_saveexec_b32 s49, s94
	s_cbranch_execz .LBB54_855
; %bb.854:                              ;   in Loop: Header=BB54_3 Depth=1
	ds_load_b64 v[38:39], v49 offset:7264
	s_wait_dscnt 0x0
	ds_store_b64 v47, v[38:39] offset:6256
	ds_load_b64 v[38:39], v49 offset:7272
	s_wait_dscnt 0x0
	ds_store_b64 v47, v[38:39] offset:6768
.LBB54_855:                             ;   in Loop: Header=BB54_3 Depth=1
	s_or_b32 exec_lo, exec_lo, s49
	s_wait_dscnt 0x0
	s_barrier_signal -1
	s_barrier_wait -1
	s_and_saveexec_b32 s49, s14
	s_cbranch_execz .LBB54_857
; %bb.856:                              ;   in Loop: Header=BB54_3 Depth=1
	v_add_nc_u32_e64 v2, 0x60, 0
	ds_load_b64 v[94:95], v3 offset:6760
	ds_load_2addr_stride64_b64 v[38:41], v2 offset0:12 offset1:13
	s_wait_dscnt 0x0
	v_dual_mul_f32 v42, v95, v39 :: v_dual_mul_f32 v2, v94, v39
	s_delay_alu instid0(VALU_DEP_1) | instskip(NEXT) | instid1(VALU_DEP_2)
	v_xor_b32_e32 v42, 0x80000000, v42
	v_fmac_f32_e32 v2, v95, v38
	s_delay_alu instid0(VALU_DEP_2) | instskip(NEXT) | instid1(VALU_DEP_2)
	v_fmac_f32_e32 v42, v94, v38
	v_pk_mul_f32 v[38:39], v[2:3], v[40:41] op_sel:[0,1] op_sel_hi:[0,0]
	v_add_nc_u32_e64 v2, 0x1800, 0
	s_delay_alu instid0(VALU_DEP_2) | instskip(SKIP_1) | instid1(VALU_DEP_2)
	v_pk_fma_f32 v[94:95], v[42:43], v[40:41], v[38:39] op_sel_hi:[0,1,1]
	v_pk_fma_f32 v[38:39], v[42:43], v[40:41], v[38:39] neg_lo:[0,0,1] neg_hi:[0,0,1]
	v_mov_b32_e32 v39, v95
	ds_store_2addr_b64 v2, v[38:39], v[38:39] offset0:13 offset1:76
.LBB54_857:                             ;   in Loop: Header=BB54_3 Depth=1
	s_or_b32 exec_lo, exec_lo, s49
	v_mov_b64_e32 v[38:39], 0
	s_wait_dscnt 0x0
	s_barrier_signal -1
	s_barrier_wait -1
	global_wb scope:SCOPE_DEV
	s_wait_storecnt 0x0
	global_inv scope:SCOPE_DEV
	s_and_saveexec_b32 s65, s2
	s_cbranch_execz .LBB54_863
; %bb.858:                              ;   in Loop: Header=BB54_3 Depth=1
	ds_load_b64 v[38:39], v51 offset:6208
	ds_load_b64 v[40:41], v52 offset:7776
	s_wait_dscnt 0x0
	v_dual_mul_f32 v2, v41, v39 :: v_dual_mul_f32 v39, v40, v39
	s_delay_alu instid0(VALU_DEP_1) | instskip(NEXT) | instid1(VALU_DEP_1)
	v_dual_fma_f32 v2, v40, v38, -v2 :: v_dual_fmac_f32 v39, v41, v38
	v_dual_add_f32 v38, 0, v2 :: v_dual_add_f32 v39, 0, v39
	s_and_saveexec_b32 s49, s16
	s_cbranch_execnz .LBB54_1164
; %bb.859:                              ;   in Loop: Header=BB54_3 Depth=1
	s_or_b32 exec_lo, exec_lo, s49
	s_and_saveexec_b32 s49, s17
	s_cbranch_execnz .LBB54_1165
.LBB54_860:                             ;   in Loop: Header=BB54_3 Depth=1
	s_or_b32 exec_lo, exec_lo, s49
	s_and_saveexec_b32 s49, s0
	s_cbranch_execz .LBB54_862
.LBB54_861:                             ;   in Loop: Header=BB54_3 Depth=1
	ds_load_b64 v[40:41], v54 offset:7744
	ds_load_b64 v[94:95], v3 offset:7800
	s_wait_dscnt 0x0
	v_dual_mul_f32 v2, v95, v41 :: v_dual_mul_f32 v41, v94, v41
	s_delay_alu instid0(VALU_DEP_1) | instskip(NEXT) | instid1(VALU_DEP_1)
	v_dual_fma_f32 v2, v94, v40, -v2 :: v_dual_fmac_f32 v41, v95, v40
	v_dual_add_f32 v38, v38, v2 :: v_dual_add_f32 v39, v39, v41
.LBB54_862:                             ;   in Loop: Header=BB54_3 Depth=1
	s_or_b32 exec_lo, exec_lo, s49
.LBB54_863:                             ;   in Loop: Header=BB54_3 Depth=1
	s_delay_alu instid0(SALU_CYCLE_1)
	s_or_b32 exec_lo, exec_lo, s65
	s_and_saveexec_b32 s49, s95
	s_cbranch_execz .LBB54_865
; %bb.864:                              ;   in Loop: Header=BB54_3 Depth=1
	ds_load_b64 v[40:41], v3 offset:5720
	s_wait_dscnt 0x0
	v_dual_mul_f32 v2, v39, v40 :: v_dual_mul_f32 v42, v39, v41
	s_delay_alu instid0(VALU_DEP_1) | instskip(NEXT) | instid1(VALU_DEP_2)
	v_pk_fma_f32 v[94:95], v[38:39], v[40:41], v[2:3] op_sel:[1,0,0] op_sel_hi:[0,1,0]
	v_pk_fma_f32 v[38:39], v[38:39], v[40:41], v[42:43] op_sel_hi:[1,1,0] neg_lo:[0,0,1] neg_hi:[0,0,1]
	s_delay_alu instid0(VALU_DEP_2) | instskip(NEXT) | instid1(VALU_DEP_1)
	v_mov_b32_e32 v39, v95
	v_pk_add_f32 v[40:41], v[38:39], 0 neg_lo:[1,1] neg_hi:[1,1]
	ds_store_b64 v50, v[40:41]
.LBB54_865:                             ;   in Loop: Header=BB54_3 Depth=1
	s_or_b32 exec_lo, exec_lo, s49
	s_wait_loadcnt_dscnt 0x0
	s_barrier_signal -1
	s_barrier_wait -1
	s_and_saveexec_b32 s49, s96
	s_cbranch_execz .LBB54_867
; %bb.866:                              ;   in Loop: Header=BB54_3 Depth=1
	ds_load_b64 v[40:41], v51 offset:5696
	ds_load_b64 v[94:95], v50
	s_wait_dscnt 0x0
	v_pk_mul_f32 v[96:97], v[94:95], v[40:41] op_sel:[1,1] op_sel_hi:[0,1]
	s_delay_alu instid0(VALU_DEP_1) | instskip(SKIP_1) | instid1(VALU_DEP_2)
	v_pk_fma_f32 v[98:99], v[94:95], v[40:41], v[96:97] op_sel_hi:[1,0,1]
	v_pk_fma_f32 v[40:41], v[94:95], v[40:41], v[96:97] neg_lo:[0,0,1] neg_hi:[0,0,1]
	v_mov_b32_e32 v41, v99
	s_delay_alu instid0(VALU_DEP_1)
	v_pk_add_f32 v[38:39], v[38:39], v[40:41] neg_lo:[0,1] neg_hi:[0,1]
.LBB54_867:                             ;   in Loop: Header=BB54_3 Depth=1
	s_or_b32 exec_lo, exec_lo, s49
	s_barrier_signal -1
	s_barrier_wait -1
	s_and_saveexec_b32 s49, s97
	s_cbranch_execz .LBB54_869
; %bb.868:                              ;   in Loop: Header=BB54_3 Depth=1
	ds_load_b64 v[40:41], v3 offset:5200
	s_wait_dscnt 0x0
	v_pk_mul_f32 v[94:95], v[38:39], v[40:41] op_sel:[1,1] op_sel_hi:[1,0]
	s_delay_alu instid0(VALU_DEP_1) | instskip(SKIP_1) | instid1(VALU_DEP_2)
	v_pk_fma_f32 v[96:97], v[38:39], v[40:41], v[94:95] op_sel_hi:[0,1,1]
	v_pk_fma_f32 v[38:39], v[38:39], v[40:41], v[94:95] neg_lo:[0,0,1] neg_hi:[0,0,1]
	v_mov_b32_e32 v39, v97
	s_delay_alu instid0(VALU_DEP_1)
	v_pk_add_f32 v[40:41], v[38:39], 0 neg_lo:[1,1] neg_hi:[1,1]
	ds_store_b64 v50, v[40:41]
.LBB54_869:                             ;   in Loop: Header=BB54_3 Depth=1
	s_or_b32 exec_lo, exec_lo, s49
	s_wait_dscnt 0x0
	s_barrier_signal -1
	s_barrier_wait -1
	s_and_saveexec_b32 s49, s98
	s_cbranch_execz .LBB54_871
; %bb.870:                              ;   in Loop: Header=BB54_3 Depth=1
	ds_load_b64 v[40:41], v51 offset:5184
	ds_load_b64 v[94:95], v50
	s_wait_dscnt 0x0
	v_pk_mul_f32 v[96:97], v[94:95], v[40:41] op_sel:[1,1] op_sel_hi:[0,1]
	s_delay_alu instid0(VALU_DEP_1) | instskip(SKIP_1) | instid1(VALU_DEP_2)
	v_pk_fma_f32 v[98:99], v[94:95], v[40:41], v[96:97] op_sel_hi:[1,0,1]
	v_pk_fma_f32 v[40:41], v[94:95], v[40:41], v[96:97] neg_lo:[0,0,1] neg_hi:[0,0,1]
	v_mov_b32_e32 v41, v99
	s_delay_alu instid0(VALU_DEP_1)
	v_pk_add_f32 v[38:39], v[38:39], v[40:41] neg_lo:[0,1] neg_hi:[0,1]
.LBB54_871:                             ;   in Loop: Header=BB54_3 Depth=1
	s_or_b32 exec_lo, exec_lo, s49
	s_barrier_signal -1
	s_barrier_wait -1
	s_and_saveexec_b32 s49, s99
	s_cbranch_execz .LBB54_873
; %bb.872:                              ;   in Loop: Header=BB54_3 Depth=1
	ds_load_b64 v[40:41], v3 offset:4680
	s_wait_dscnt 0x0
	v_pk_mul_f32 v[94:95], v[38:39], v[40:41] op_sel:[1,1] op_sel_hi:[1,0]
	s_delay_alu instid0(VALU_DEP_1) | instskip(SKIP_1) | instid1(VALU_DEP_2)
	v_pk_fma_f32 v[96:97], v[38:39], v[40:41], v[94:95] op_sel_hi:[0,1,1]
	v_pk_fma_f32 v[38:39], v[38:39], v[40:41], v[94:95] neg_lo:[0,0,1] neg_hi:[0,0,1]
	v_mov_b32_e32 v39, v97
	s_delay_alu instid0(VALU_DEP_1)
	v_pk_add_f32 v[40:41], v[38:39], 0 neg_lo:[1,1] neg_hi:[1,1]
	ds_store_b64 v50, v[40:41]
.LBB54_873:                             ;   in Loop: Header=BB54_3 Depth=1
	s_or_b32 exec_lo, exec_lo, s49
	s_wait_dscnt 0x0
	;; [unrolled: 35-line block ×3, first 2 shown]
	s_barrier_signal -1
	s_barrier_wait -1
	s_barrier_signal -1
	s_barrier_wait -1
	s_and_saveexec_b32 s49, s2
; %bb.878:                              ;   in Loop: Header=BB54_3 Depth=1
	ds_store_b64 v55, v[38:39] offset:7744
; %bb.879:                              ;   in Loop: Header=BB54_3 Depth=1
	s_or_b32 exec_lo, exec_lo, s49
	s_wait_dscnt 0x0
	s_barrier_signal -1
	s_barrier_wait -1
	s_barrier_signal -1
	s_barrier_wait -1
	s_and_saveexec_b32 s49, s101
	s_cbranch_execz .LBB54_881
; %bb.880:                              ;   in Loop: Header=BB54_3 Depth=1
	ds_load_b64 v[38:39], v68 offset:6208
	s_wait_dscnt 0x0
	ds_store_b64 v69, v[38:39] offset:4192
	ds_load_b64 v[38:39], v68 offset:6216
	s_wait_dscnt 0x0
	ds_store_b64 v69, v[38:39] offset:4704
	;; [unrolled: 3-line block ×4, first 2 shown]
.LBB54_881:                             ;   in Loop: Header=BB54_3 Depth=1
	s_or_b32 exec_lo, exec_lo, s49
	s_wait_dscnt 0x0
	s_barrier_signal -1
	s_barrier_wait -1
	s_and_saveexec_b32 s49, s14
	s_cbranch_execz .LBB54_883
; %bb.882:                              ;   in Loop: Header=BB54_3 Depth=1
	v_add_nc_u32_e64 v2, 0x50, 0
	ds_load_b64 v[94:95], v3 offset:5720
	ds_load_2addr_stride64_b64 v[38:41], v2 offset0:10 offset1:11
	s_wait_dscnt 0x0
	v_dual_mul_f32 v42, v95, v39 :: v_dual_mul_f32 v2, v94, v39
	s_delay_alu instid0(VALU_DEP_1) | instskip(NEXT) | instid1(VALU_DEP_2)
	v_xor_b32_e32 v42, 0x80000000, v42
	v_fmac_f32_e32 v2, v95, v38
	s_delay_alu instid0(VALU_DEP_2) | instskip(NEXT) | instid1(VALU_DEP_2)
	v_fmac_f32_e32 v42, v94, v38
	v_pk_mul_f32 v[38:39], v[2:3], v[40:41] op_sel:[0,1] op_sel_hi:[0,0]
	v_add_nc_u32_e64 v2, 0x1000, 0
	s_delay_alu instid0(VALU_DEP_2) | instskip(SKIP_1) | instid1(VALU_DEP_2)
	v_pk_fma_f32 v[94:95], v[42:43], v[40:41], v[38:39] op_sel_hi:[0,1,1]
	v_pk_fma_f32 v[38:39], v[42:43], v[40:41], v[38:39] neg_lo:[0,0,1] neg_hi:[0,0,1]
	v_mov_b32_e32 v39, v95
	ds_store_2addr_b64 v2, v[38:39], v[38:39] offset0:139 offset1:202
.LBB54_883:                             ;   in Loop: Header=BB54_3 Depth=1
	s_or_b32 exec_lo, exec_lo, s49
	v_dual_mov_b32 v38, 0 :: v_dual_mov_b32 v39, 0
	s_wait_dscnt 0x0
	s_barrier_signal -1
	s_barrier_wait -1
	global_wb scope:SCOPE_DEV
	s_wait_storecnt 0x0
	global_inv scope:SCOPE_DEV
	s_and_saveexec_b32 s65, s0
	s_cbranch_execz .LBB54_887
; %bb.884:                              ;   in Loop: Header=BB54_3 Depth=1
	ds_load_b64 v[38:39], v45 offset:5184
	ds_load_b64 v[40:41], v46 offset:5712
	s_wait_dscnt 0x0
	v_pk_mul_f32 v[94:95], v[40:41], v[38:39] op_sel:[1,1] op_sel_hi:[0,1]
	s_delay_alu instid0(VALU_DEP_1) | instskip(SKIP_1) | instid1(VALU_DEP_2)
	v_pk_fma_f32 v[96:97], v[40:41], v[38:39], v[94:95] op_sel_hi:[1,0,1]
	v_pk_fma_f32 v[38:39], v[40:41], v[38:39], v[94:95] neg_lo:[0,0,1] neg_hi:[0,0,1]
	v_mov_b32_e32 v39, v97
	s_delay_alu instid0(VALU_DEP_1)
	v_pk_add_f32 v[38:39], v[38:39], 0 op_sel_hi:[1,0]
	s_and_saveexec_b32 s49, s15
	s_cbranch_execz .LBB54_886
; %bb.885:                              ;   in Loop: Header=BB54_3 Depth=1
	ds_load_b64 v[40:41], v69 offset:5696
	ds_load_b64 v[94:95], v3 offset:5720
	s_wait_dscnt 0x0
	v_pk_mul_f32 v[96:97], v[94:95], v[40:41] op_sel:[1,1] op_sel_hi:[0,1]
	s_delay_alu instid0(VALU_DEP_1) | instskip(SKIP_1) | instid1(VALU_DEP_2)
	v_pk_fma_f32 v[98:99], v[94:95], v[40:41], v[96:97] op_sel_hi:[1,0,1]
	v_pk_fma_f32 v[40:41], v[94:95], v[40:41], v[96:97] neg_lo:[0,0,1] neg_hi:[0,0,1]
	v_mov_b32_e32 v41, v99
	s_delay_alu instid0(VALU_DEP_1)
	v_pk_add_f32 v[38:39], v[38:39], v[40:41]
.LBB54_886:                             ;   in Loop: Header=BB54_3 Depth=1
	s_or_b32 exec_lo, exec_lo, s49
.LBB54_887:                             ;   in Loop: Header=BB54_3 Depth=1
	s_delay_alu instid0(SALU_CYCLE_1)
	s_or_b32 exec_lo, exec_lo, s65
	s_and_saveexec_b32 s49, s92
	s_cbranch_execz .LBB54_889
; %bb.888:                              ;   in Loop: Header=BB54_3 Depth=1
	ds_load_b64 v[40:41], v3 offset:4680
	s_wait_dscnt 0x0
	v_pk_mul_f32 v[94:95], v[38:39], v[40:41] op_sel:[1,1] op_sel_hi:[1,0]
	s_delay_alu instid0(VALU_DEP_1) | instskip(SKIP_1) | instid1(VALU_DEP_2)
	v_pk_fma_f32 v[96:97], v[38:39], v[40:41], v[94:95] op_sel_hi:[0,1,1]
	v_pk_fma_f32 v[38:39], v[38:39], v[40:41], v[94:95] neg_lo:[0,0,1] neg_hi:[0,0,1]
	v_mov_b32_e32 v39, v97
	s_delay_alu instid0(VALU_DEP_1)
	v_pk_add_f32 v[40:41], v[38:39], 0 neg_lo:[1,1] neg_hi:[1,1]
	ds_store_b64 v5, v[40:41]
.LBB54_889:                             ;   in Loop: Header=BB54_3 Depth=1
	s_or_b32 exec_lo, exec_lo, s49
	s_wait_loadcnt_dscnt 0x0
	s_barrier_signal -1
	s_barrier_wait -1
	s_and_saveexec_b32 s49, s93
	s_cbranch_execz .LBB54_891
; %bb.890:                              ;   in Loop: Header=BB54_3 Depth=1
	ds_load_b64 v[40:41], v3 offset:4672
	ds_load_b64 v[94:95], v5
	s_wait_dscnt 0x0
	v_pk_mul_f32 v[96:97], v[94:95], v[40:41] op_sel:[1,1] op_sel_hi:[0,1]
	s_delay_alu instid0(VALU_DEP_1) | instskip(SKIP_1) | instid1(VALU_DEP_2)
	v_pk_fma_f32 v[98:99], v[94:95], v[40:41], v[96:97] op_sel_hi:[1,0,1]
	v_pk_fma_f32 v[40:41], v[94:95], v[40:41], v[96:97] neg_lo:[0,0,1] neg_hi:[0,0,1]
	v_mov_b32_e32 v41, v99
	s_delay_alu instid0(VALU_DEP_1)
	v_pk_add_f32 v[38:39], v[38:39], v[40:41] neg_lo:[0,1] neg_hi:[0,1]
.LBB54_891:                             ;   in Loop: Header=BB54_3 Depth=1
	s_or_b32 exec_lo, exec_lo, s49
	s_barrier_signal -1
	s_barrier_wait -1
	s_and_saveexec_b32 s49, s93
	s_cbranch_execz .LBB54_893
; %bb.892:                              ;   in Loop: Header=BB54_3 Depth=1
	ds_load_b64 v[40:41], v3 offset:4160
	s_wait_dscnt 0x0
	v_pk_mul_f32 v[94:95], v[38:39], v[40:41] op_sel:[1,1] op_sel_hi:[1,0]
	s_delay_alu instid0(VALU_DEP_1) | instskip(SKIP_1) | instid1(VALU_DEP_2)
	v_pk_fma_f32 v[96:97], v[38:39], v[40:41], v[94:95] op_sel_hi:[0,1,1]
	v_pk_fma_f32 v[38:39], v[38:39], v[40:41], v[94:95] neg_lo:[0,0,1] neg_hi:[0,0,1]
	v_mov_b32_e32 v39, v97
	s_delay_alu instid0(VALU_DEP_1)
	v_pk_add_f32 v[40:41], v[38:39], 0 neg_lo:[1,1] neg_hi:[1,1]
	ds_store_b64 v5, v[40:41]
.LBB54_893:                             ;   in Loop: Header=BB54_3 Depth=1
	s_or_b32 exec_lo, exec_lo, s49
	s_wait_dscnt 0x0
	s_barrier_signal -1
	s_barrier_wait -1
	s_barrier_signal -1
	s_barrier_wait -1
	s_and_saveexec_b32 s49, s0
; %bb.894:                              ;   in Loop: Header=BB54_3 Depth=1
	ds_store_b64 v48, v[38:39] offset:5696
; %bb.895:                              ;   in Loop: Header=BB54_3 Depth=1
	s_or_b32 exec_lo, exec_lo, s49
	s_wait_dscnt 0x0
	s_barrier_signal -1
	s_barrier_wait -1
	s_barrier_signal -1
	s_barrier_wait -1
	s_and_saveexec_b32 s49, s94
	s_cbranch_execz .LBB54_897
; %bb.896:                              ;   in Loop: Header=BB54_3 Depth=1
	ds_load_b64 v[38:39], v70 offset:5184
	s_wait_dscnt 0x0
	ds_store_b64 v69, v[38:39] offset:4176
	ds_load_b64 v[38:39], v70 offset:5192
	s_wait_dscnt 0x0
	ds_store_b64 v69, v[38:39] offset:4688
.LBB54_897:                             ;   in Loop: Header=BB54_3 Depth=1
	s_or_b32 exec_lo, exec_lo, s49
	s_wait_dscnt 0x0
	s_barrier_signal -1
	s_barrier_wait -1
	s_and_saveexec_b32 s49, s14
	s_cbranch_execz .LBB54_899
; %bb.898:                              ;   in Loop: Header=BB54_3 Depth=1
	v_add_nc_u32_e64 v2, 64, 0
	ds_load_b64 v[94:95], v3 offset:4680
	ds_load_2addr_stride64_b64 v[38:41], v2 offset0:8 offset1:9
	s_wait_dscnt 0x0
	v_dual_mul_f32 v42, v95, v39 :: v_dual_mul_f32 v2, v94, v39
	s_delay_alu instid0(VALU_DEP_1) | instskip(NEXT) | instid1(VALU_DEP_2)
	v_xor_b32_e32 v42, 0x80000000, v42
	v_fmac_f32_e32 v2, v95, v38
	s_delay_alu instid0(VALU_DEP_2) | instskip(NEXT) | instid1(VALU_DEP_2)
	v_fmac_f32_e32 v42, v94, v38
	v_pk_mul_f32 v[38:39], v[2:3], v[40:41] op_sel:[0,1] op_sel_hi:[0,0]
	v_add_nc_u32_e64 v2, 0x1000, 0
	s_delay_alu instid0(VALU_DEP_2) | instskip(SKIP_1) | instid1(VALU_DEP_2)
	v_pk_fma_f32 v[94:95], v[42:43], v[40:41], v[38:39] op_sel_hi:[0,1,1]
	v_pk_fma_f32 v[38:39], v[42:43], v[40:41], v[38:39] neg_lo:[0,0,1] neg_hi:[0,0,1]
	v_mov_b32_e32 v39, v95
	ds_store_2addr_b64 v2, v[38:39], v[38:39] offset0:9 offset1:72
.LBB54_899:                             ;   in Loop: Header=BB54_3 Depth=1
	s_or_b32 exec_lo, exec_lo, s49
	v_mov_b64_e32 v[38:39], 0
	s_wait_dscnt 0x0
	s_barrier_signal -1
	s_barrier_wait -1
	global_wb scope:SCOPE_DEV
	s_wait_storecnt 0x0
	global_inv scope:SCOPE_DEV
	s_and_saveexec_b32 s65, s3
	s_cbranch_execz .LBB54_909
; %bb.900:                              ;   in Loop: Header=BB54_3 Depth=1
	ds_load_b64 v[38:39], v57 offset:4096
	ds_load_b64 v[40:41], v58 offset:7744
	s_wait_dscnt 0x0
	v_dual_mul_f32 v2, v41, v39 :: v_dual_mul_f32 v39, v40, v39
	s_delay_alu instid0(VALU_DEP_1) | instskip(NEXT) | instid1(VALU_DEP_1)
	v_dual_fma_f32 v2, v40, v38, -v2 :: v_dual_fmac_f32 v39, v41, v38
	v_dual_add_f32 v38, 0, v2 :: v_dual_add_f32 v39, 0, v39
	s_and_saveexec_b32 s49, s18
	s_cbranch_execnz .LBB54_1166
; %bb.901:                              ;   in Loop: Header=BB54_3 Depth=1
	s_or_b32 exec_lo, exec_lo, s49
	s_and_saveexec_b32 s49, s19
	s_cbranch_execnz .LBB54_1167
.LBB54_902:                             ;   in Loop: Header=BB54_3 Depth=1
	s_or_b32 exec_lo, exec_lo, s49
	s_and_saveexec_b32 s49, s20
	s_cbranch_execnz .LBB54_1168
.LBB54_903:                             ;   in Loop: Header=BB54_3 Depth=1
	s_or_b32 exec_lo, exec_lo, s49
	s_and_saveexec_b32 s49, s21
	s_cbranch_execnz .LBB54_1169
.LBB54_904:                             ;   in Loop: Header=BB54_3 Depth=1
	s_or_b32 exec_lo, exec_lo, s49
	s_and_saveexec_b32 s49, s22
	s_cbranch_execnz .LBB54_1170
.LBB54_905:                             ;   in Loop: Header=BB54_3 Depth=1
	s_or_b32 exec_lo, exec_lo, s49
	s_and_saveexec_b32 s49, s2
	s_cbranch_execnz .LBB54_1171
.LBB54_906:                             ;   in Loop: Header=BB54_3 Depth=1
	s_or_b32 exec_lo, exec_lo, s49
	s_and_saveexec_b32 s49, s17
	s_cbranch_execz .LBB54_908
.LBB54_907:                             ;   in Loop: Header=BB54_3 Depth=1
	ds_load_b64 v[40:41], v71 offset:7680
	ds_load_b64 v[94:95], v3 offset:7800
	s_wait_dscnt 0x0
	v_dual_mul_f32 v2, v95, v41 :: v_dual_mul_f32 v97, v94, v41
	s_delay_alu instid0(VALU_DEP_1) | instskip(NEXT) | instid1(VALU_DEP_1)
	v_dual_fma_f32 v96, v94, v40, -v2 :: v_dual_fmac_f32 v97, v95, v40
	v_pk_add_f32 v[38:39], v[38:39], v[96:97]
.LBB54_908:                             ;   in Loop: Header=BB54_3 Depth=1
	s_or_b32 exec_lo, exec_lo, s49
.LBB54_909:                             ;   in Loop: Header=BB54_3 Depth=1
	s_delay_alu instid0(SALU_CYCLE_1)
	s_or_b32 exec_lo, exec_lo, s65
	s_and_saveexec_b32 s49, s102
	s_cbranch_execz .LBB54_911
; %bb.910:                              ;   in Loop: Header=BB54_3 Depth=1
	ds_load_b64 v[40:41], v3 offset:3640
	s_wait_dscnt 0x0
	v_pk_mul_f32 v[94:95], v[38:39], v[40:41] op_sel:[1,1] op_sel_hi:[1,0]
	s_delay_alu instid0(VALU_DEP_1) | instskip(SKIP_1) | instid1(VALU_DEP_2)
	v_pk_fma_f32 v[96:97], v[38:39], v[40:41], v[94:95] op_sel_hi:[0,1,1]
	v_pk_fma_f32 v[38:39], v[38:39], v[40:41], v[94:95] neg_lo:[0,0,1] neg_hi:[0,0,1]
	v_mov_b32_e32 v39, v97
	s_delay_alu instid0(VALU_DEP_1)
	v_pk_add_f32 v[40:41], v[38:39], 0 neg_lo:[1,1] neg_hi:[1,1]
	ds_store_b64 v56, v[40:41]
.LBB54_911:                             ;   in Loop: Header=BB54_3 Depth=1
	s_or_b32 exec_lo, exec_lo, s49
	s_wait_loadcnt_dscnt 0x0
	s_barrier_signal -1
	s_barrier_wait -1
	s_and_saveexec_b32 s49, s103
	s_cbranch_execz .LBB54_913
; %bb.912:                              ;   in Loop: Header=BB54_3 Depth=1
	ds_load_b64 v[40:41], v57 offset:3584
	ds_load_b64 v[94:95], v56
	s_wait_dscnt 0x0
	v_pk_mul_f32 v[96:97], v[94:95], v[40:41] op_sel:[1,1] op_sel_hi:[0,1]
	s_delay_alu instid0(VALU_DEP_1) | instskip(SKIP_1) | instid1(VALU_DEP_2)
	v_pk_fma_f32 v[98:99], v[94:95], v[40:41], v[96:97] op_sel_hi:[1,0,1]
	v_pk_fma_f32 v[40:41], v[94:95], v[40:41], v[96:97] neg_lo:[0,0,1] neg_hi:[0,0,1]
	v_mov_b32_e32 v41, v99
	s_delay_alu instid0(VALU_DEP_1)
	v_pk_add_f32 v[38:39], v[38:39], v[40:41] neg_lo:[0,1] neg_hi:[0,1]
.LBB54_913:                             ;   in Loop: Header=BB54_3 Depth=1
	s_or_b32 exec_lo, exec_lo, s49
	s_barrier_signal -1
	s_barrier_wait -1
	s_and_saveexec_b32 s49, s104
	s_cbranch_execz .LBB54_915
; %bb.914:                              ;   in Loop: Header=BB54_3 Depth=1
	ds_load_b64 v[40:41], v3 offset:3120
	s_wait_dscnt 0x0
	v_pk_mul_f32 v[94:95], v[38:39], v[40:41] op_sel:[1,1] op_sel_hi:[1,0]
	s_delay_alu instid0(VALU_DEP_1) | instskip(SKIP_1) | instid1(VALU_DEP_2)
	v_pk_fma_f32 v[96:97], v[38:39], v[40:41], v[94:95] op_sel_hi:[0,1,1]
	v_pk_fma_f32 v[38:39], v[38:39], v[40:41], v[94:95] neg_lo:[0,0,1] neg_hi:[0,0,1]
	v_mov_b32_e32 v39, v97
	s_delay_alu instid0(VALU_DEP_1)
	v_pk_add_f32 v[40:41], v[38:39], 0 neg_lo:[1,1] neg_hi:[1,1]
	ds_store_b64 v56, v[40:41]
.LBB54_915:                             ;   in Loop: Header=BB54_3 Depth=1
	s_or_b32 exec_lo, exec_lo, s49
	s_wait_dscnt 0x0
	s_barrier_signal -1
	s_barrier_wait -1
	s_and_saveexec_b32 s49, vcc_hi
	s_cbranch_execz .LBB54_917
; %bb.916:                              ;   in Loop: Header=BB54_3 Depth=1
	ds_load_b64 v[40:41], v57 offset:3072
	ds_load_b64 v[94:95], v56
	s_wait_dscnt 0x0
	v_pk_mul_f32 v[96:97], v[94:95], v[40:41] op_sel:[1,1] op_sel_hi:[0,1]
	s_delay_alu instid0(VALU_DEP_1) | instskip(SKIP_1) | instid1(VALU_DEP_2)
	v_pk_fma_f32 v[98:99], v[94:95], v[40:41], v[96:97] op_sel_hi:[1,0,1]
	v_pk_fma_f32 v[40:41], v[94:95], v[40:41], v[96:97] neg_lo:[0,0,1] neg_hi:[0,0,1]
	v_mov_b32_e32 v41, v99
	s_delay_alu instid0(VALU_DEP_1)
	v_pk_add_f32 v[38:39], v[38:39], v[40:41] neg_lo:[0,1] neg_hi:[0,1]
.LBB54_917:                             ;   in Loop: Header=BB54_3 Depth=1
	s_or_b32 exec_lo, exec_lo, s49
	s_barrier_signal -1
	s_barrier_wait -1
	s_and_saveexec_b32 s49, s38
	s_cbranch_execz .LBB54_919
; %bb.918:                              ;   in Loop: Header=BB54_3 Depth=1
	ds_load_b64 v[40:41], v3 offset:2600
	s_wait_dscnt 0x0
	v_pk_mul_f32 v[94:95], v[38:39], v[40:41] op_sel:[1,1] op_sel_hi:[1,0]
	s_delay_alu instid0(VALU_DEP_1) | instskip(SKIP_1) | instid1(VALU_DEP_2)
	v_pk_fma_f32 v[96:97], v[38:39], v[40:41], v[94:95] op_sel_hi:[0,1,1]
	v_pk_fma_f32 v[38:39], v[38:39], v[40:41], v[94:95] neg_lo:[0,0,1] neg_hi:[0,0,1]
	v_mov_b32_e32 v39, v97
	s_delay_alu instid0(VALU_DEP_1)
	v_pk_add_f32 v[40:41], v[38:39], 0 neg_lo:[1,1] neg_hi:[1,1]
	ds_store_b64 v56, v[40:41]
.LBB54_919:                             ;   in Loop: Header=BB54_3 Depth=1
	s_or_b32 exec_lo, exec_lo, s49
	s_wait_dscnt 0x0
	s_barrier_signal -1
	s_barrier_wait -1
	s_and_saveexec_b32 s49, s39
	s_cbranch_execz .LBB54_921
; %bb.920:                              ;   in Loop: Header=BB54_3 Depth=1
	ds_load_b64 v[40:41], v57 offset:2560
	ds_load_b64 v[94:95], v56
	s_wait_dscnt 0x0
	v_pk_mul_f32 v[96:97], v[94:95], v[40:41] op_sel:[1,1] op_sel_hi:[0,1]
	s_delay_alu instid0(VALU_DEP_1) | instskip(SKIP_1) | instid1(VALU_DEP_2)
	v_pk_fma_f32 v[98:99], v[94:95], v[40:41], v[96:97] op_sel_hi:[1,0,1]
	v_pk_fma_f32 v[40:41], v[94:95], v[40:41], v[96:97] neg_lo:[0,0,1] neg_hi:[0,0,1]
	v_mov_b32_e32 v41, v99
	s_delay_alu instid0(VALU_DEP_1)
	v_pk_add_f32 v[38:39], v[38:39], v[40:41] neg_lo:[0,1] neg_hi:[0,1]
.LBB54_921:                             ;   in Loop: Header=BB54_3 Depth=1
	s_or_b32 exec_lo, exec_lo, s49
	s_barrier_signal -1
	s_barrier_wait -1
	s_and_saveexec_b32 s49, s40
	s_cbranch_execz .LBB54_923
; %bb.922:                              ;   in Loop: Header=BB54_3 Depth=1
	ds_load_b64 v[40:41], v3 offset:2080
	s_wait_dscnt 0x0
	v_pk_mul_f32 v[94:95], v[38:39], v[40:41]
	v_pk_mul_f32 v[38:39], v[38:39], v[40:41] op_sel:[1,0] op_sel_hi:[0,1]
	s_delay_alu instid0(VALU_DEP_1) | instskip(NEXT) | instid1(VALU_DEP_3)
	v_dual_mov_b32 v40, v94 :: v_dual_mov_b32 v41, v38
	v_mov_b32_e32 v38, v95
	s_delay_alu instid0(VALU_DEP_1) | instskip(SKIP_1) | instid1(VALU_DEP_2)
	v_pk_add_f32 v[94:95], v[40:41], v[38:39]
	v_pk_add_f32 v[38:39], v[40:41], v[38:39] neg_lo:[0,1] neg_hi:[0,1]
	v_mov_b32_e32 v39, v95
	s_delay_alu instid0(VALU_DEP_1)
	v_pk_add_f32 v[40:41], v[38:39], 0 neg_lo:[1,1] neg_hi:[1,1]
	ds_store_b64 v56, v[40:41]
.LBB54_923:                             ;   in Loop: Header=BB54_3 Depth=1
	s_or_b32 exec_lo, exec_lo, s49
	s_wait_dscnt 0x0
	s_barrier_signal -1
	s_barrier_wait -1
	s_and_saveexec_b32 s49, s41
	s_cbranch_execz .LBB54_925
; %bb.924:                              ;   in Loop: Header=BB54_3 Depth=1
	ds_load_b64 v[40:41], v57 offset:2048
	ds_load_b64 v[94:95], v56
	s_wait_dscnt 0x0
	v_dual_mul_f32 v2, v95, v41 :: v_dual_mul_f32 v41, v94, v41
	s_delay_alu instid0(VALU_DEP_1) | instskip(NEXT) | instid1(VALU_DEP_1)
	v_dual_fma_f32 v2, v94, v40, -v2 :: v_dual_fmac_f32 v41, v95, v40
	v_dual_sub_f32 v38, v38, v2 :: v_dual_sub_f32 v39, v39, v41
.LBB54_925:                             ;   in Loop: Header=BB54_3 Depth=1
	s_or_b32 exec_lo, exec_lo, s49
	s_barrier_signal -1
	s_barrier_wait -1
	s_and_saveexec_b32 s49, s42
	s_cbranch_execz .LBB54_927
; %bb.926:                              ;   in Loop: Header=BB54_3 Depth=1
	ds_load_b64 v[40:41], v3 offset:1560
	s_wait_dscnt 0x0
	v_dual_mul_f32 v2, v39, v40 :: v_dual_mul_f32 v42, v39, v41
	s_delay_alu instid0(VALU_DEP_1) | instskip(NEXT) | instid1(VALU_DEP_2)
	v_pk_fma_f32 v[94:95], v[38:39], v[40:41], v[2:3] op_sel:[1,0,0] op_sel_hi:[0,1,0]
	v_pk_fma_f32 v[38:39], v[38:39], v[40:41], v[42:43] op_sel_hi:[1,1,0] neg_lo:[0,0,1] neg_hi:[0,0,1]
	s_delay_alu instid0(VALU_DEP_2) | instskip(NEXT) | instid1(VALU_DEP_1)
	v_mov_b32_e32 v39, v95
	v_pk_add_f32 v[40:41], v[38:39], 0 neg_lo:[1,1] neg_hi:[1,1]
	ds_store_b64 v56, v[40:41]
.LBB54_927:                             ;   in Loop: Header=BB54_3 Depth=1
	s_or_b32 exec_lo, exec_lo, s49
	s_wait_dscnt 0x0
	s_barrier_signal -1
	s_barrier_wait -1
	s_and_saveexec_b32 s49, s43
	s_cbranch_execz .LBB54_929
; %bb.928:                              ;   in Loop: Header=BB54_3 Depth=1
	ds_load_b64 v[40:41], v57 offset:1536
	ds_load_b64 v[94:95], v56
	s_wait_dscnt 0x0
	v_pk_mul_f32 v[96:97], v[94:95], v[40:41] op_sel:[1,1] op_sel_hi:[0,1]
	s_delay_alu instid0(VALU_DEP_1) | instskip(SKIP_1) | instid1(VALU_DEP_2)
	v_pk_fma_f32 v[98:99], v[94:95], v[40:41], v[96:97] op_sel_hi:[1,0,1]
	v_pk_fma_f32 v[40:41], v[94:95], v[40:41], v[96:97] neg_lo:[0,0,1] neg_hi:[0,0,1]
	v_mov_b32_e32 v41, v99
	s_delay_alu instid0(VALU_DEP_1)
	v_pk_add_f32 v[38:39], v[38:39], v[40:41] neg_lo:[0,1] neg_hi:[0,1]
.LBB54_929:                             ;   in Loop: Header=BB54_3 Depth=1
	s_or_b32 exec_lo, exec_lo, s49
	s_barrier_signal -1
	s_barrier_wait -1
	s_and_saveexec_b32 s49, s44
	s_cbranch_execz .LBB54_931
; %bb.930:                              ;   in Loop: Header=BB54_3 Depth=1
	ds_load_b64 v[40:41], v3 offset:1040
	s_wait_dscnt 0x0
	v_pk_mul_f32 v[94:95], v[38:39], v[40:41] op_sel:[1,1] op_sel_hi:[1,0]
	s_delay_alu instid0(VALU_DEP_1) | instskip(SKIP_1) | instid1(VALU_DEP_2)
	v_pk_fma_f32 v[96:97], v[38:39], v[40:41], v[94:95] op_sel_hi:[0,1,1]
	v_pk_fma_f32 v[38:39], v[38:39], v[40:41], v[94:95] neg_lo:[0,0,1] neg_hi:[0,0,1]
	v_mov_b32_e32 v39, v97
	s_delay_alu instid0(VALU_DEP_1)
	v_pk_add_f32 v[40:41], v[38:39], 0 neg_lo:[1,1] neg_hi:[1,1]
	ds_store_b64 v56, v[40:41]
.LBB54_931:                             ;   in Loop: Header=BB54_3 Depth=1
	s_or_b32 exec_lo, exec_lo, s49
	s_wait_dscnt 0x0
	s_barrier_signal -1
	s_barrier_wait -1
	s_and_saveexec_b32 s49, s45
	s_cbranch_execz .LBB54_933
; %bb.932:                              ;   in Loop: Header=BB54_3 Depth=1
	ds_load_b64 v[40:41], v57 offset:1024
	ds_load_b64 v[94:95], v56
	s_wait_dscnt 0x0
	v_pk_mul_f32 v[96:97], v[94:95], v[40:41] op_sel:[1,1] op_sel_hi:[0,1]
	s_delay_alu instid0(VALU_DEP_1) | instskip(SKIP_1) | instid1(VALU_DEP_2)
	v_pk_fma_f32 v[98:99], v[94:95], v[40:41], v[96:97] op_sel_hi:[1,0,1]
	v_pk_fma_f32 v[40:41], v[94:95], v[40:41], v[96:97] neg_lo:[0,0,1] neg_hi:[0,0,1]
	v_mov_b32_e32 v41, v99
	s_delay_alu instid0(VALU_DEP_1)
	v_pk_add_f32 v[38:39], v[38:39], v[40:41] neg_lo:[0,1] neg_hi:[0,1]
.LBB54_933:                             ;   in Loop: Header=BB54_3 Depth=1
	s_or_b32 exec_lo, exec_lo, s49
	s_barrier_signal -1
	s_barrier_wait -1
	s_and_saveexec_b32 s49, s46
	s_cbranch_execz .LBB54_935
; %bb.934:                              ;   in Loop: Header=BB54_3 Depth=1
	ds_load_b64 v[40:41], v3 offset:520
	s_wait_dscnt 0x0
	v_pk_mul_f32 v[94:95], v[38:39], v[40:41] op_sel:[1,1] op_sel_hi:[1,0]
	s_delay_alu instid0(VALU_DEP_1) | instskip(SKIP_1) | instid1(VALU_DEP_2)
	v_pk_fma_f32 v[96:97], v[38:39], v[40:41], v[94:95] op_sel_hi:[0,1,1]
	v_pk_fma_f32 v[38:39], v[38:39], v[40:41], v[94:95] neg_lo:[0,0,1] neg_hi:[0,0,1]
	v_mov_b32_e32 v39, v97
	s_delay_alu instid0(VALU_DEP_1)
	v_pk_add_f32 v[40:41], v[38:39], 0 neg_lo:[1,1] neg_hi:[1,1]
	ds_store_b64 v56, v[40:41]
.LBB54_935:                             ;   in Loop: Header=BB54_3 Depth=1
	s_or_b32 exec_lo, exec_lo, s49
	s_wait_dscnt 0x0
	s_barrier_signal -1
	s_barrier_wait -1
	s_and_saveexec_b32 s49, s47
	s_cbranch_execz .LBB54_937
; %bb.936:                              ;   in Loop: Header=BB54_3 Depth=1
	ds_load_b64 v[40:41], v3 offset:512
	ds_load_b64 v[94:95], v56
	s_wait_dscnt 0x0
	v_pk_mul_f32 v[96:97], v[94:95], v[40:41] op_sel:[1,1] op_sel_hi:[0,1]
	s_delay_alu instid0(VALU_DEP_1) | instskip(SKIP_1) | instid1(VALU_DEP_2)
	v_pk_fma_f32 v[98:99], v[94:95], v[40:41], v[96:97] op_sel_hi:[1,0,1]
	v_pk_fma_f32 v[40:41], v[94:95], v[40:41], v[96:97] neg_lo:[0,0,1] neg_hi:[0,0,1]
	v_mov_b32_e32 v41, v99
	s_delay_alu instid0(VALU_DEP_1)
	v_pk_add_f32 v[38:39], v[38:39], v[40:41] neg_lo:[0,1] neg_hi:[0,1]
.LBB54_937:                             ;   in Loop: Header=BB54_3 Depth=1
	s_or_b32 exec_lo, exec_lo, s49
	s_barrier_signal -1
	s_barrier_wait -1
	s_and_saveexec_b32 s49, s47
	s_cbranch_execz .LBB54_939
; %bb.938:                              ;   in Loop: Header=BB54_3 Depth=1
	ds_load_b64 v[40:41], v3
	s_wait_dscnt 0x0
	v_pk_mul_f32 v[94:95], v[38:39], v[40:41] op_sel:[1,1] op_sel_hi:[1,0]
	s_delay_alu instid0(VALU_DEP_1) | instskip(SKIP_1) | instid1(VALU_DEP_2)
	v_pk_fma_f32 v[96:97], v[38:39], v[40:41], v[94:95] op_sel_hi:[0,1,1]
	v_pk_fma_f32 v[38:39], v[38:39], v[40:41], v[94:95] neg_lo:[0,0,1] neg_hi:[0,0,1]
	v_mov_b32_e32 v39, v97
	s_delay_alu instid0(VALU_DEP_1)
	v_pk_add_f32 v[40:41], v[38:39], 0 neg_lo:[1,1] neg_hi:[1,1]
	ds_store_b64 v56, v[40:41]
.LBB54_939:                             ;   in Loop: Header=BB54_3 Depth=1
	s_or_b32 exec_lo, exec_lo, s49
	s_wait_dscnt 0x0
	s_barrier_signal -1
	s_barrier_wait -1
	s_barrier_signal -1
	s_barrier_wait -1
	s_and_saveexec_b32 s49, s3
; %bb.940:                              ;   in Loop: Header=BB54_3 Depth=1
	ds_store_b64 v59, v[38:39] offset:7680
; %bb.941:                              ;   in Loop: Header=BB54_3 Depth=1
	s_or_b32 exec_lo, exec_lo, s49
	s_wait_dscnt 0x0
	s_barrier_signal -1
	s_barrier_wait -1
	s_barrier_signal -1
	s_barrier_wait -1
	s_and_saveexec_b32 s49, s48
	s_cbranch_execz .LBB54_943
; %bb.942:                              ;   in Loop: Header=BB54_3 Depth=1
	ds_load_b64 v[38:39], v72 offset:4096
	s_wait_dscnt 0x0
	ds_store_b64 v73, v[38:39] offset:64
	ds_load_b64 v[38:39], v72 offset:4104
	s_wait_dscnt 0x0
	ds_store_b64 v73, v[38:39] offset:576
	;; [unrolled: 3-line block ×8, first 2 shown]
.LBB54_943:                             ;   in Loop: Header=BB54_3 Depth=1
	s_or_b32 exec_lo, exec_lo, s49
	s_wait_dscnt 0x0
	s_barrier_signal -1
	s_barrier_wait -1
	s_and_saveexec_b32 s49, s14
	s_cbranch_execz .LBB54_945
; %bb.944:                              ;   in Loop: Header=BB54_3 Depth=1
	v_add_nc_u32_e64 v2, 48, 0
	ds_load_b64 v[94:95], v3 offset:3640
	ds_load_2addr_stride64_b64 v[38:41], v2 offset0:6 offset1:7
	s_wait_dscnt 0x0
	v_dual_mul_f32 v42, v95, v39 :: v_dual_mul_f32 v2, v94, v39
	s_delay_alu instid0(VALU_DEP_1) | instskip(NEXT) | instid1(VALU_DEP_2)
	v_xor_b32_e32 v42, 0x80000000, v42
	v_fmac_f32_e32 v2, v95, v38
	s_delay_alu instid0(VALU_DEP_2) | instskip(NEXT) | instid1(VALU_DEP_2)
	v_fmac_f32_e32 v42, v94, v38
	v_pk_mul_f32 v[38:39], v[2:3], v[40:41] op_sel:[0,1] op_sel_hi:[0,0]
	v_add_nc_u32_e64 v2, 0x800, 0
	s_delay_alu instid0(VALU_DEP_2) | instskip(SKIP_1) | instid1(VALU_DEP_2)
	v_pk_fma_f32 v[94:95], v[42:43], v[40:41], v[38:39] op_sel_hi:[0,1,1]
	v_pk_fma_f32 v[38:39], v[42:43], v[40:41], v[38:39] neg_lo:[0,0,1] neg_hi:[0,0,1]
	v_mov_b32_e32 v39, v95
	ds_store_2addr_b64 v2, v[38:39], v[38:39] offset0:135 offset1:198
.LBB54_945:                             ;   in Loop: Header=BB54_3 Depth=1
	s_or_b32 exec_lo, exec_lo, s49
	v_dual_mov_b32 v38, 0 :: v_dual_mov_b32 v39, 0
	s_wait_dscnt 0x0
	s_barrier_signal -1
	s_barrier_wait -1
	global_wb scope:SCOPE_DEV
	s_wait_storecnt 0x0
	global_inv scope:SCOPE_DEV
	s_and_saveexec_b32 s65, s0
	s_cbranch_execz .LBB54_949
; %bb.946:                              ;   in Loop: Header=BB54_3 Depth=1
	ds_load_b64 v[38:39], v45 offset:3104
	ds_load_b64 v[40:41], v46 offset:3632
	s_wait_dscnt 0x0
	v_pk_mul_f32 v[94:95], v[40:41], v[38:39] op_sel:[1,1] op_sel_hi:[0,1]
	s_delay_alu instid0(VALU_DEP_1) | instskip(SKIP_1) | instid1(VALU_DEP_2)
	v_pk_fma_f32 v[96:97], v[40:41], v[38:39], v[94:95] op_sel_hi:[1,0,1]
	v_pk_fma_f32 v[38:39], v[40:41], v[38:39], v[94:95] neg_lo:[0,0,1] neg_hi:[0,0,1]
	v_mov_b32_e32 v39, v97
	s_delay_alu instid0(VALU_DEP_1)
	v_pk_add_f32 v[38:39], v[38:39], 0 op_sel_hi:[1,0]
	s_and_saveexec_b32 s49, s15
	s_cbranch_execz .LBB54_948
; %bb.947:                              ;   in Loop: Header=BB54_3 Depth=1
	ds_load_b64 v[40:41], v73 offset:3616
	ds_load_b64 v[94:95], v3 offset:3640
	s_wait_dscnt 0x0
	v_pk_mul_f32 v[96:97], v[94:95], v[40:41] op_sel:[1,1] op_sel_hi:[0,1]
	s_delay_alu instid0(VALU_DEP_1) | instskip(SKIP_1) | instid1(VALU_DEP_2)
	v_pk_fma_f32 v[98:99], v[94:95], v[40:41], v[96:97] op_sel_hi:[1,0,1]
	v_pk_fma_f32 v[40:41], v[94:95], v[40:41], v[96:97] neg_lo:[0,0,1] neg_hi:[0,0,1]
	v_mov_b32_e32 v41, v99
	s_delay_alu instid0(VALU_DEP_1)
	v_pk_add_f32 v[38:39], v[38:39], v[40:41]
.LBB54_948:                             ;   in Loop: Header=BB54_3 Depth=1
	s_or_b32 exec_lo, exec_lo, s49
.LBB54_949:                             ;   in Loop: Header=BB54_3 Depth=1
	s_delay_alu instid0(SALU_CYCLE_1)
	s_or_b32 exec_lo, exec_lo, s65
	s_and_saveexec_b32 s49, s92
	s_cbranch_execz .LBB54_951
; %bb.950:                              ;   in Loop: Header=BB54_3 Depth=1
	ds_load_b64 v[40:41], v3 offset:2600
	s_wait_dscnt 0x0
	v_pk_mul_f32 v[94:95], v[38:39], v[40:41] op_sel:[1,1] op_sel_hi:[1,0]
	s_delay_alu instid0(VALU_DEP_1) | instskip(SKIP_1) | instid1(VALU_DEP_2)
	v_pk_fma_f32 v[96:97], v[38:39], v[40:41], v[94:95] op_sel_hi:[0,1,1]
	v_pk_fma_f32 v[38:39], v[38:39], v[40:41], v[94:95] neg_lo:[0,0,1] neg_hi:[0,0,1]
	v_mov_b32_e32 v39, v97
	s_delay_alu instid0(VALU_DEP_1)
	v_pk_add_f32 v[40:41], v[38:39], 0 neg_lo:[1,1] neg_hi:[1,1]
	ds_store_b64 v5, v[40:41]
.LBB54_951:                             ;   in Loop: Header=BB54_3 Depth=1
	s_or_b32 exec_lo, exec_lo, s49
	s_wait_loadcnt_dscnt 0x0
	s_barrier_signal -1
	s_barrier_wait -1
	s_and_saveexec_b32 s49, s93
	s_cbranch_execz .LBB54_953
; %bb.952:                              ;   in Loop: Header=BB54_3 Depth=1
	ds_load_b64 v[40:41], v3 offset:2592
	ds_load_b64 v[94:95], v5
	s_wait_dscnt 0x0
	v_pk_mul_f32 v[96:97], v[94:95], v[40:41] op_sel:[1,1] op_sel_hi:[0,1]
	s_delay_alu instid0(VALU_DEP_1) | instskip(SKIP_1) | instid1(VALU_DEP_2)
	v_pk_fma_f32 v[98:99], v[94:95], v[40:41], v[96:97] op_sel_hi:[1,0,1]
	v_pk_fma_f32 v[40:41], v[94:95], v[40:41], v[96:97] neg_lo:[0,0,1] neg_hi:[0,0,1]
	v_mov_b32_e32 v41, v99
	s_delay_alu instid0(VALU_DEP_1)
	v_pk_add_f32 v[38:39], v[38:39], v[40:41] neg_lo:[0,1] neg_hi:[0,1]
.LBB54_953:                             ;   in Loop: Header=BB54_3 Depth=1
	s_or_b32 exec_lo, exec_lo, s49
	s_barrier_signal -1
	s_barrier_wait -1
	s_and_saveexec_b32 s49, s93
	s_cbranch_execz .LBB54_955
; %bb.954:                              ;   in Loop: Header=BB54_3 Depth=1
	ds_load_b64 v[40:41], v3 offset:2080
	s_wait_dscnt 0x0
	v_pk_mul_f32 v[94:95], v[38:39], v[40:41] op_sel:[1,1] op_sel_hi:[1,0]
	s_delay_alu instid0(VALU_DEP_1) | instskip(SKIP_1) | instid1(VALU_DEP_2)
	v_pk_fma_f32 v[96:97], v[38:39], v[40:41], v[94:95] op_sel_hi:[0,1,1]
	v_pk_fma_f32 v[38:39], v[38:39], v[40:41], v[94:95] neg_lo:[0,0,1] neg_hi:[0,0,1]
	v_mov_b32_e32 v39, v97
	s_delay_alu instid0(VALU_DEP_1)
	v_pk_add_f32 v[40:41], v[38:39], 0 neg_lo:[1,1] neg_hi:[1,1]
	ds_store_b64 v5, v[40:41]
.LBB54_955:                             ;   in Loop: Header=BB54_3 Depth=1
	s_or_b32 exec_lo, exec_lo, s49
	s_wait_dscnt 0x0
	s_barrier_signal -1
	s_barrier_wait -1
	s_barrier_signal -1
	s_barrier_wait -1
	s_and_saveexec_b32 s49, s0
; %bb.956:                              ;   in Loop: Header=BB54_3 Depth=1
	ds_store_b64 v48, v[38:39] offset:3616
; %bb.957:                              ;   in Loop: Header=BB54_3 Depth=1
	s_or_b32 exec_lo, exec_lo, s49
	s_wait_dscnt 0x0
	s_barrier_signal -1
	s_barrier_wait -1
	s_barrier_signal -1
	s_barrier_wait -1
	s_and_saveexec_b32 s49, s94
	s_cbranch_execz .LBB54_959
; %bb.958:                              ;   in Loop: Header=BB54_3 Depth=1
	ds_load_b64 v[38:39], v74 offset:3104
	s_wait_dscnt 0x0
	ds_store_b64 v73, v[38:39] offset:2096
	ds_load_b64 v[38:39], v74 offset:3112
	s_wait_dscnt 0x0
	ds_store_b64 v73, v[38:39] offset:2608
.LBB54_959:                             ;   in Loop: Header=BB54_3 Depth=1
	s_or_b32 exec_lo, exec_lo, s49
	s_wait_dscnt 0x0
	s_barrier_signal -1
	s_barrier_wait -1
	s_and_saveexec_b32 s49, s14
	s_cbranch_execz .LBB54_961
; %bb.960:                              ;   in Loop: Header=BB54_3 Depth=1
	v_add_nc_u32_e64 v2, 32, 0
	ds_load_b64 v[94:95], v3 offset:2600
	ds_load_2addr_stride64_b64 v[38:41], v2 offset0:4 offset1:5
	s_wait_dscnt 0x0
	v_dual_mul_f32 v42, v95, v39 :: v_dual_mul_f32 v2, v94, v39
	s_delay_alu instid0(VALU_DEP_1) | instskip(NEXT) | instid1(VALU_DEP_2)
	v_xor_b32_e32 v42, 0x80000000, v42
	v_fmac_f32_e32 v2, v95, v38
	s_delay_alu instid0(VALU_DEP_2) | instskip(NEXT) | instid1(VALU_DEP_2)
	v_fmac_f32_e32 v42, v94, v38
	v_pk_mul_f32 v[38:39], v[2:3], v[40:41] op_sel:[0,1] op_sel_hi:[0,0]
	v_add_nc_u32_e64 v2, 0x800, 0
	s_delay_alu instid0(VALU_DEP_2) | instskip(SKIP_1) | instid1(VALU_DEP_2)
	v_pk_fma_f32 v[94:95], v[42:43], v[40:41], v[38:39] op_sel_hi:[0,1,1]
	v_pk_fma_f32 v[38:39], v[42:43], v[40:41], v[38:39] neg_lo:[0,0,1] neg_hi:[0,0,1]
	v_mov_b32_e32 v39, v95
	ds_store_2addr_b64 v2, v[38:39], v[38:39] offset0:5 offset1:68
.LBB54_961:                             ;   in Loop: Header=BB54_3 Depth=1
	s_or_b32 exec_lo, exec_lo, s49
	v_mov_b64_e32 v[38:39], 0
	s_wait_dscnt 0x0
	s_barrier_signal -1
	s_barrier_wait -1
	global_wb scope:SCOPE_DEV
	s_wait_storecnt 0x0
	global_inv scope:SCOPE_DEV
	s_and_saveexec_b32 s65, s2
	s_cbranch_execz .LBB54_967
; %bb.962:                              ;   in Loop: Header=BB54_3 Depth=1
	ds_load_b64 v[38:39], v51 offset:2048
	ds_load_b64 v[40:41], v52 offset:3616
	s_wait_dscnt 0x0
	v_dual_mul_f32 v2, v41, v39 :: v_dual_mul_f32 v39, v40, v39
	s_delay_alu instid0(VALU_DEP_1) | instskip(NEXT) | instid1(VALU_DEP_1)
	v_dual_fma_f32 v2, v40, v38, -v2 :: v_dual_fmac_f32 v39, v41, v38
	v_dual_add_f32 v38, 0, v2 :: v_dual_add_f32 v39, 0, v39
	s_and_saveexec_b32 s49, s16
	s_cbranch_execnz .LBB54_1172
; %bb.963:                              ;   in Loop: Header=BB54_3 Depth=1
	s_or_b32 exec_lo, exec_lo, s49
	s_and_saveexec_b32 s49, s17
	s_cbranch_execnz .LBB54_1173
.LBB54_964:                             ;   in Loop: Header=BB54_3 Depth=1
	s_or_b32 exec_lo, exec_lo, s49
	s_and_saveexec_b32 s49, s0
	s_cbranch_execz .LBB54_966
.LBB54_965:                             ;   in Loop: Header=BB54_3 Depth=1
	ds_load_b64 v[40:41], v75 offset:3584
	ds_load_b64 v[94:95], v3 offset:3640
	s_wait_dscnt 0x0
	v_dual_mul_f32 v2, v95, v41 :: v_dual_mul_f32 v41, v94, v41
	s_delay_alu instid0(VALU_DEP_1) | instskip(NEXT) | instid1(VALU_DEP_1)
	v_dual_fma_f32 v2, v94, v40, -v2 :: v_dual_fmac_f32 v41, v95, v40
	v_dual_add_f32 v38, v38, v2 :: v_dual_add_f32 v39, v39, v41
.LBB54_966:                             ;   in Loop: Header=BB54_3 Depth=1
	s_or_b32 exec_lo, exec_lo, s49
.LBB54_967:                             ;   in Loop: Header=BB54_3 Depth=1
	s_delay_alu instid0(SALU_CYCLE_1)
	s_or_b32 exec_lo, exec_lo, s65
	s_and_saveexec_b32 s49, s95
	s_cbranch_execz .LBB54_969
; %bb.968:                              ;   in Loop: Header=BB54_3 Depth=1
	ds_load_b64 v[40:41], v3 offset:1560
	s_wait_dscnt 0x0
	v_dual_mul_f32 v2, v39, v40 :: v_dual_mul_f32 v42, v39, v41
	s_delay_alu instid0(VALU_DEP_1) | instskip(NEXT) | instid1(VALU_DEP_2)
	v_pk_fma_f32 v[94:95], v[38:39], v[40:41], v[2:3] op_sel:[1,0,0] op_sel_hi:[0,1,0]
	v_pk_fma_f32 v[38:39], v[38:39], v[40:41], v[42:43] op_sel_hi:[1,1,0] neg_lo:[0,0,1] neg_hi:[0,0,1]
	s_delay_alu instid0(VALU_DEP_2) | instskip(NEXT) | instid1(VALU_DEP_1)
	v_mov_b32_e32 v39, v95
	v_pk_add_f32 v[40:41], v[38:39], 0 neg_lo:[1,1] neg_hi:[1,1]
	ds_store_b64 v50, v[40:41]
.LBB54_969:                             ;   in Loop: Header=BB54_3 Depth=1
	s_or_b32 exec_lo, exec_lo, s49
	s_wait_loadcnt_dscnt 0x0
	s_barrier_signal -1
	s_barrier_wait -1
	s_and_saveexec_b32 s49, s96
	s_cbranch_execz .LBB54_971
; %bb.970:                              ;   in Loop: Header=BB54_3 Depth=1
	ds_load_b64 v[40:41], v51 offset:1536
	ds_load_b64 v[94:95], v50
	s_wait_dscnt 0x0
	v_pk_mul_f32 v[96:97], v[94:95], v[40:41] op_sel:[1,1] op_sel_hi:[0,1]
	s_delay_alu instid0(VALU_DEP_1) | instskip(SKIP_1) | instid1(VALU_DEP_2)
	v_pk_fma_f32 v[98:99], v[94:95], v[40:41], v[96:97] op_sel_hi:[1,0,1]
	v_pk_fma_f32 v[40:41], v[94:95], v[40:41], v[96:97] neg_lo:[0,0,1] neg_hi:[0,0,1]
	v_mov_b32_e32 v41, v99
	s_delay_alu instid0(VALU_DEP_1)
	v_pk_add_f32 v[38:39], v[38:39], v[40:41] neg_lo:[0,1] neg_hi:[0,1]
.LBB54_971:                             ;   in Loop: Header=BB54_3 Depth=1
	s_or_b32 exec_lo, exec_lo, s49
	s_barrier_signal -1
	s_barrier_wait -1
	s_and_saveexec_b32 s49, s97
	s_cbranch_execz .LBB54_973
; %bb.972:                              ;   in Loop: Header=BB54_3 Depth=1
	ds_load_b64 v[40:41], v3 offset:1040
	s_wait_dscnt 0x0
	v_pk_mul_f32 v[94:95], v[38:39], v[40:41] op_sel:[1,1] op_sel_hi:[1,0]
	s_delay_alu instid0(VALU_DEP_1) | instskip(SKIP_1) | instid1(VALU_DEP_2)
	v_pk_fma_f32 v[96:97], v[38:39], v[40:41], v[94:95] op_sel_hi:[0,1,1]
	v_pk_fma_f32 v[38:39], v[38:39], v[40:41], v[94:95] neg_lo:[0,0,1] neg_hi:[0,0,1]
	v_mov_b32_e32 v39, v97
	s_delay_alu instid0(VALU_DEP_1)
	v_pk_add_f32 v[40:41], v[38:39], 0 neg_lo:[1,1] neg_hi:[1,1]
	ds_store_b64 v50, v[40:41]
.LBB54_973:                             ;   in Loop: Header=BB54_3 Depth=1
	s_or_b32 exec_lo, exec_lo, s49
	s_wait_dscnt 0x0
	s_barrier_signal -1
	s_barrier_wait -1
	s_and_saveexec_b32 s49, s98
	s_cbranch_execz .LBB54_975
; %bb.974:                              ;   in Loop: Header=BB54_3 Depth=1
	ds_load_b64 v[40:41], v51 offset:1024
	ds_load_b64 v[94:95], v50
	s_wait_dscnt 0x0
	v_pk_mul_f32 v[96:97], v[94:95], v[40:41] op_sel:[1,1] op_sel_hi:[0,1]
	s_delay_alu instid0(VALU_DEP_1) | instskip(SKIP_1) | instid1(VALU_DEP_2)
	v_pk_fma_f32 v[98:99], v[94:95], v[40:41], v[96:97] op_sel_hi:[1,0,1]
	v_pk_fma_f32 v[40:41], v[94:95], v[40:41], v[96:97] neg_lo:[0,0,1] neg_hi:[0,0,1]
	v_mov_b32_e32 v41, v99
	s_delay_alu instid0(VALU_DEP_1)
	v_pk_add_f32 v[38:39], v[38:39], v[40:41] neg_lo:[0,1] neg_hi:[0,1]
.LBB54_975:                             ;   in Loop: Header=BB54_3 Depth=1
	s_or_b32 exec_lo, exec_lo, s49
	s_barrier_signal -1
	s_barrier_wait -1
	s_and_saveexec_b32 s49, s99
	s_cbranch_execz .LBB54_977
; %bb.976:                              ;   in Loop: Header=BB54_3 Depth=1
	ds_load_b64 v[40:41], v3 offset:520
	s_wait_dscnt 0x0
	v_pk_mul_f32 v[94:95], v[38:39], v[40:41] op_sel:[1,1] op_sel_hi:[1,0]
	s_delay_alu instid0(VALU_DEP_1) | instskip(SKIP_1) | instid1(VALU_DEP_2)
	v_pk_fma_f32 v[96:97], v[38:39], v[40:41], v[94:95] op_sel_hi:[0,1,1]
	v_pk_fma_f32 v[38:39], v[38:39], v[40:41], v[94:95] neg_lo:[0,0,1] neg_hi:[0,0,1]
	v_mov_b32_e32 v39, v97
	s_delay_alu instid0(VALU_DEP_1)
	v_pk_add_f32 v[40:41], v[38:39], 0 neg_lo:[1,1] neg_hi:[1,1]
	ds_store_b64 v50, v[40:41]
.LBB54_977:                             ;   in Loop: Header=BB54_3 Depth=1
	s_or_b32 exec_lo, exec_lo, s49
	s_wait_dscnt 0x0
	s_barrier_signal -1
	s_barrier_wait -1
	s_and_saveexec_b32 s49, s100
	s_cbranch_execz .LBB54_979
; %bb.978:                              ;   in Loop: Header=BB54_3 Depth=1
	ds_load_b64 v[40:41], v3 offset:512
	ds_load_b64 v[94:95], v50
	s_wait_dscnt 0x0
	v_pk_mul_f32 v[96:97], v[94:95], v[40:41] op_sel:[1,1] op_sel_hi:[0,1]
	s_delay_alu instid0(VALU_DEP_1) | instskip(SKIP_1) | instid1(VALU_DEP_2)
	v_pk_fma_f32 v[98:99], v[94:95], v[40:41], v[96:97] op_sel_hi:[1,0,1]
	v_pk_fma_f32 v[40:41], v[94:95], v[40:41], v[96:97] neg_lo:[0,0,1] neg_hi:[0,0,1]
	v_mov_b32_e32 v41, v99
	s_delay_alu instid0(VALU_DEP_1)
	v_pk_add_f32 v[38:39], v[38:39], v[40:41] neg_lo:[0,1] neg_hi:[0,1]
.LBB54_979:                             ;   in Loop: Header=BB54_3 Depth=1
	s_or_b32 exec_lo, exec_lo, s49
	s_barrier_signal -1
	s_barrier_wait -1
	s_and_saveexec_b32 s49, s100
	s_cbranch_execz .LBB54_981
; %bb.980:                              ;   in Loop: Header=BB54_3 Depth=1
	ds_load_b64 v[40:41], v3
	s_wait_dscnt 0x0
	v_pk_mul_f32 v[94:95], v[38:39], v[40:41] op_sel:[1,1] op_sel_hi:[1,0]
	s_delay_alu instid0(VALU_DEP_1) | instskip(SKIP_1) | instid1(VALU_DEP_2)
	v_pk_fma_f32 v[96:97], v[38:39], v[40:41], v[94:95] op_sel_hi:[0,1,1]
	v_pk_fma_f32 v[38:39], v[38:39], v[40:41], v[94:95] neg_lo:[0,0,1] neg_hi:[0,0,1]
	v_mov_b32_e32 v39, v97
	s_delay_alu instid0(VALU_DEP_1)
	v_pk_add_f32 v[40:41], v[38:39], 0 neg_lo:[1,1] neg_hi:[1,1]
	ds_store_b64 v50, v[40:41]
.LBB54_981:                             ;   in Loop: Header=BB54_3 Depth=1
	s_or_b32 exec_lo, exec_lo, s49
	s_wait_dscnt 0x0
	s_barrier_signal -1
	s_barrier_wait -1
	s_barrier_signal -1
	s_barrier_wait -1
	s_and_saveexec_b32 s49, s2
; %bb.982:                              ;   in Loop: Header=BB54_3 Depth=1
	ds_store_b64 v55, v[38:39] offset:3584
; %bb.983:                              ;   in Loop: Header=BB54_3 Depth=1
	s_or_b32 exec_lo, exec_lo, s49
	s_wait_dscnt 0x0
	s_barrier_signal -1
	s_barrier_wait -1
	s_barrier_signal -1
	s_barrier_wait -1
	s_and_saveexec_b32 s49, s101
	s_cbranch_execz .LBB54_985
; %bb.984:                              ;   in Loop: Header=BB54_3 Depth=1
	ds_load_b64 v[38:39], v79 offset:2048
	s_wait_dscnt 0x0
	ds_store_b64 v82, v[38:39] offset:32
	ds_load_b64 v[38:39], v79 offset:2056
	s_wait_dscnt 0x0
	ds_store_b64 v82, v[38:39] offset:544
	;; [unrolled: 3-line block ×4, first 2 shown]
.LBB54_985:                             ;   in Loop: Header=BB54_3 Depth=1
	s_or_b32 exec_lo, exec_lo, s49
	s_wait_dscnt 0x0
	s_barrier_signal -1
	s_barrier_wait -1
	s_and_saveexec_b32 s49, s14
	s_cbranch_execz .LBB54_987
; %bb.986:                              ;   in Loop: Header=BB54_3 Depth=1
	ds_load_2addr_b64 v[38:41], v3 offset0:130 offset1:194
	ds_load_b64 v[94:95], v3 offset:1560
	s_wait_dscnt 0x0
	v_dual_mul_f32 v42, v95, v39 :: v_dual_mul_f32 v2, v94, v39
	s_delay_alu instid0(VALU_DEP_1) | instskip(NEXT) | instid1(VALU_DEP_2)
	v_xor_b32_e32 v42, 0x80000000, v42
	v_fmac_f32_e32 v2, v95, v38
	s_delay_alu instid0(VALU_DEP_2) | instskip(NEXT) | instid1(VALU_DEP_2)
	v_fmac_f32_e32 v42, v94, v38
	v_pk_mul_f32 v[38:39], v[2:3], v[40:41] op_sel:[0,1] op_sel_hi:[0,0]
	s_delay_alu instid0(VALU_DEP_1) | instskip(SKIP_1) | instid1(VALU_DEP_2)
	v_pk_fma_f32 v[94:95], v[42:43], v[40:41], v[38:39] op_sel_hi:[0,1,1]
	v_pk_fma_f32 v[38:39], v[42:43], v[40:41], v[38:39] neg_lo:[0,0,1] neg_hi:[0,0,1]
	v_mov_b32_e32 v39, v95
	ds_store_2addr_b64 v3, v[38:39], v[38:39] offset0:131 offset1:194
.LBB54_987:                             ;   in Loop: Header=BB54_3 Depth=1
	s_or_b32 exec_lo, exec_lo, s49
	v_dual_mov_b32 v38, 0 :: v_dual_mov_b32 v39, 0
	s_wait_dscnt 0x0
	s_barrier_signal -1
	s_barrier_wait -1
	global_wb scope:SCOPE_DEV
	s_wait_storecnt 0x0
	global_inv scope:SCOPE_DEV
	s_and_saveexec_b32 s65, s0
	s_cbranch_execz .LBB54_991
; %bb.988:                              ;   in Loop: Header=BB54_3 Depth=1
	ds_load_b64 v[38:39], v45 offset:1024
	ds_load_b64 v[40:41], v46 offset:1552
	s_wait_dscnt 0x0
	v_pk_mul_f32 v[94:95], v[40:41], v[38:39] op_sel:[1,1] op_sel_hi:[0,1]
	s_delay_alu instid0(VALU_DEP_1) | instskip(SKIP_1) | instid1(VALU_DEP_2)
	v_pk_fma_f32 v[96:97], v[40:41], v[38:39], v[94:95] op_sel_hi:[1,0,1]
	v_pk_fma_f32 v[38:39], v[40:41], v[38:39], v[94:95] neg_lo:[0,0,1] neg_hi:[0,0,1]
	v_mov_b32_e32 v39, v97
	s_delay_alu instid0(VALU_DEP_1)
	v_pk_add_f32 v[38:39], v[38:39], 0 op_sel_hi:[1,0]
	s_and_saveexec_b32 s49, s15
	s_cbranch_execz .LBB54_990
; %bb.989:                              ;   in Loop: Header=BB54_3 Depth=1
	ds_load_b64 v[40:41], v82 offset:1536
	ds_load_b64 v[94:95], v3 offset:1560
	s_wait_dscnt 0x0
	v_pk_mul_f32 v[96:97], v[94:95], v[40:41] op_sel:[1,1] op_sel_hi:[0,1]
	s_delay_alu instid0(VALU_DEP_1) | instskip(SKIP_1) | instid1(VALU_DEP_2)
	v_pk_fma_f32 v[98:99], v[94:95], v[40:41], v[96:97] op_sel_hi:[1,0,1]
	v_pk_fma_f32 v[40:41], v[94:95], v[40:41], v[96:97] neg_lo:[0,0,1] neg_hi:[0,0,1]
	v_mov_b32_e32 v41, v99
	s_delay_alu instid0(VALU_DEP_1)
	v_pk_add_f32 v[38:39], v[38:39], v[40:41]
.LBB54_990:                             ;   in Loop: Header=BB54_3 Depth=1
	s_or_b32 exec_lo, exec_lo, s49
.LBB54_991:                             ;   in Loop: Header=BB54_3 Depth=1
	s_delay_alu instid0(SALU_CYCLE_1)
	s_or_b32 exec_lo, exec_lo, s65
	s_and_saveexec_b32 s49, s92
	s_cbranch_execz .LBB54_993
; %bb.992:                              ;   in Loop: Header=BB54_3 Depth=1
	ds_load_b64 v[40:41], v3 offset:520
	s_wait_dscnt 0x0
	v_pk_mul_f32 v[94:95], v[38:39], v[40:41] op_sel:[1,1] op_sel_hi:[1,0]
	s_delay_alu instid0(VALU_DEP_1) | instskip(SKIP_1) | instid1(VALU_DEP_2)
	v_pk_fma_f32 v[96:97], v[38:39], v[40:41], v[94:95] op_sel_hi:[0,1,1]
	v_pk_fma_f32 v[38:39], v[38:39], v[40:41], v[94:95] neg_lo:[0,0,1] neg_hi:[0,0,1]
	v_mov_b32_e32 v39, v97
	s_delay_alu instid0(VALU_DEP_1)
	v_pk_add_f32 v[40:41], v[38:39], 0 neg_lo:[1,1] neg_hi:[1,1]
	ds_store_b64 v5, v[40:41]
.LBB54_993:                             ;   in Loop: Header=BB54_3 Depth=1
	s_or_b32 exec_lo, exec_lo, s49
	s_wait_loadcnt_dscnt 0x0
	s_barrier_signal -1
	s_barrier_wait -1
	s_and_saveexec_b32 s49, s93
	s_cbranch_execz .LBB54_995
; %bb.994:                              ;   in Loop: Header=BB54_3 Depth=1
	ds_load_b64 v[40:41], v3 offset:512
	ds_load_b64 v[94:95], v5
	s_wait_dscnt 0x0
	v_pk_mul_f32 v[96:97], v[94:95], v[40:41] op_sel:[1,1] op_sel_hi:[0,1]
	s_delay_alu instid0(VALU_DEP_1) | instskip(SKIP_1) | instid1(VALU_DEP_2)
	v_pk_fma_f32 v[98:99], v[94:95], v[40:41], v[96:97] op_sel_hi:[1,0,1]
	v_pk_fma_f32 v[40:41], v[94:95], v[40:41], v[96:97] neg_lo:[0,0,1] neg_hi:[0,0,1]
	v_mov_b32_e32 v41, v99
	s_delay_alu instid0(VALU_DEP_1)
	v_pk_add_f32 v[38:39], v[38:39], v[40:41] neg_lo:[0,1] neg_hi:[0,1]
.LBB54_995:                             ;   in Loop: Header=BB54_3 Depth=1
	s_or_b32 exec_lo, exec_lo, s49
	s_barrier_signal -1
	s_barrier_wait -1
	s_and_saveexec_b32 s49, s93
	s_cbranch_execz .LBB54_997
; %bb.996:                              ;   in Loop: Header=BB54_3 Depth=1
	ds_load_b64 v[40:41], v3
	s_wait_dscnt 0x0
	v_pk_mul_f32 v[94:95], v[38:39], v[40:41] op_sel:[1,1] op_sel_hi:[1,0]
	s_delay_alu instid0(VALU_DEP_1) | instskip(SKIP_1) | instid1(VALU_DEP_2)
	v_pk_fma_f32 v[96:97], v[38:39], v[40:41], v[94:95] op_sel_hi:[0,1,1]
	v_pk_fma_f32 v[38:39], v[38:39], v[40:41], v[94:95] neg_lo:[0,0,1] neg_hi:[0,0,1]
	v_mov_b32_e32 v39, v97
	s_delay_alu instid0(VALU_DEP_1)
	v_pk_add_f32 v[40:41], v[38:39], 0 neg_lo:[1,1] neg_hi:[1,1]
	ds_store_b64 v5, v[40:41]
.LBB54_997:                             ;   in Loop: Header=BB54_3 Depth=1
	s_or_b32 exec_lo, exec_lo, s49
	s_wait_dscnt 0x0
	s_barrier_signal -1
	s_barrier_wait -1
	s_barrier_signal -1
	s_barrier_wait -1
	s_and_saveexec_b32 s49, s0
; %bb.998:                              ;   in Loop: Header=BB54_3 Depth=1
	ds_store_b64 v48, v[38:39] offset:1536
; %bb.999:                              ;   in Loop: Header=BB54_3 Depth=1
	s_or_b32 exec_lo, exec_lo, s49
	s_wait_dscnt 0x0
	s_barrier_signal -1
	s_barrier_wait -1
	s_barrier_signal -1
	s_barrier_wait -1
	s_and_saveexec_b32 s49, s94
	s_cbranch_execz .LBB54_1001
; %bb.1000:                             ;   in Loop: Header=BB54_3 Depth=1
	ds_load_b64 v[38:39], v83 offset:1024
	s_wait_dscnt 0x0
	ds_store_b64 v82, v[38:39] offset:16
	ds_load_b64 v[38:39], v83 offset:1032
	s_wait_dscnt 0x0
	ds_store_b64 v82, v[38:39] offset:528
.LBB54_1001:                            ;   in Loop: Header=BB54_3 Depth=1
	s_or_b32 exec_lo, exec_lo, s49
	s_wait_dscnt 0x0
	s_barrier_signal -1
	s_barrier_wait -1
	s_and_saveexec_b32 s49, s14
	s_cbranch_execz .LBB54_1003
; %bb.1002:                             ;   in Loop: Header=BB54_3 Depth=1
	ds_load_2addr_stride64_b64 v[38:41], v3 offset1:1
	ds_load_b64 v[94:95], v3 offset:520
	s_wait_dscnt 0x0
	v_dual_mul_f32 v42, v95, v39 :: v_dual_mul_f32 v2, v94, v39
	s_delay_alu instid0(VALU_DEP_1) | instskip(NEXT) | instid1(VALU_DEP_2)
	v_xor_b32_e32 v42, 0x80000000, v42
	v_fmac_f32_e32 v2, v95, v38
	s_delay_alu instid0(VALU_DEP_2) | instskip(NEXT) | instid1(VALU_DEP_2)
	v_fmac_f32_e32 v42, v94, v38
	v_pk_mul_f32 v[38:39], v[2:3], v[40:41] op_sel:[0,1] op_sel_hi:[0,0]
	s_delay_alu instid0(VALU_DEP_1) | instskip(SKIP_1) | instid1(VALU_DEP_2)
	v_pk_fma_f32 v[94:95], v[42:43], v[40:41], v[38:39] op_sel_hi:[0,1,1]
	v_pk_fma_f32 v[38:39], v[42:43], v[40:41], v[38:39] neg_lo:[0,0,1] neg_hi:[0,0,1]
	v_mov_b32_e32 v39, v95
	ds_store_2addr_b64 v3, v[38:39], v[38:39] offset0:1 offset1:64
.LBB54_1003:                            ;   in Loop: Header=BB54_3 Depth=1
	s_or_b32 exec_lo, exec_lo, s49
.LBB54_1004:                            ;   in Loop: Header=BB54_3 Depth=1
	v_readlane_b32 s50, v107, 2
	v_mov_b64_e32 v[38:39], 0
	v_readlane_b32 s51, v107, 3
	s_mul_u64 s[82:83], s[76:77], s[80:81]
	s_wait_dscnt 0x0
	s_lshl_b64 s[82:83], s[82:83], 3
	s_barrier_signal -1
	s_add_nc_u64 s[82:83], s[50:51], s[82:83]
	s_barrier_wait -1
	s_and_saveexec_b32 s49, s70
	s_cbranch_execz .LBB54_1006
; %bb.1005:                             ;   in Loop: Header=BB54_3 Depth=1
	v_lshl_add_u64 v[38:39], v[0:1], 3, s[82:83]
	global_load_b64 v[38:39], v[38:39], off
	s_wait_loadcnt 0x0
	v_pk_mul_f32 v[40:41], v[36:37], v[38:39] op_sel:[1,0] neg_lo:[1,0]
	s_delay_alu instid0(VALU_DEP_1)
	v_pk_fma_f32 v[38:39], v[36:37], v[38:39], v[40:41] op_sel:[0,0,1] op_sel_hi:[0,1,0] neg_lo:[1,0,0] neg_hi:[1,0,0]
.LBB54_1006:                            ;   in Loop: Header=BB54_3 Depth=1
	s_or_b32 exec_lo, exec_lo, s49
	s_delay_alu instid0(SALU_CYCLE_1)
	s_and_not1_b32 vcc_lo, exec_lo, s71
	s_cbranch_vccnz .LBB54_1041
; %bb.1007:                             ;   in Loop: Header=BB54_3 Depth=1
	v_mov_b32_e32 v94, -1
	s_lshl_b64 s[84:85], s[80:81], 2
	s_mov_b32 s89, 0
	s_add_nc_u64 s[84:85], s[78:79], s[84:85]
	s_branch .LBB54_1010
.LBB54_1008:                            ;   in Loop: Header=BB54_1010 Depth=2
	s_wait_xcnt 0x0
	ds_load_b64 v[36:37], v84 offset:384
	s_wait_loadcnt_dscnt 0x0
	v_pk_mul_f32 v[40:41], v[40:41], v[36:37] op_sel:[0,1] op_sel_hi:[0,0]
	s_delay_alu instid0(VALU_DEP_1) | instskip(SKIP_1) | instid1(VALU_DEP_2)
	v_pk_fma_f32 v[96:97], v[2:3], v[36:37], v[40:41] op_sel_hi:[0,1,1] neg_lo:[0,0,1] neg_hi:[0,0,1]
	v_pk_fma_f32 v[36:37], v[2:3], v[36:37], v[40:41]
	v_mov_b32_e32 v37, v97
	s_delay_alu instid0(VALU_DEP_1)
	v_pk_add_f32 v[38:39], v[38:39], v[36:37]
.LBB54_1009:                            ;   in Loop: Header=BB54_1010 Depth=2
	s_or_b32 exec_lo, exec_lo, s65
	s_add_co_i32 s89, s89, 1
	s_delay_alu instid0(SALU_CYCLE_1)
	s_cmp_eq_u32 s89, s88
	s_cbranch_scc1 .LBB54_1041
.LBB54_1010:                            ;   Parent Loop BB54_3 Depth=1
                                        ; =>  This Loop Header: Depth=2
                                        ;       Child Loop BB54_1012 Depth 3
	v_cmp_gt_i32_e32 vcc_lo, s89, v94
	s_and_b32 s65, s36, vcc_lo
	s_delay_alu instid0(SALU_CYCLE_1)
	s_and_saveexec_b32 s49, s65
	s_cbranch_execz .LBB54_1013
; %bb.1011:                             ;   in Loop: Header=BB54_1010 Depth=2
	global_load_b32 v94, v3, s[84:85]
	s_wait_loadcnt 0x0
	v_cmp_le_i32_e32 vcc_lo, s89, v94
	s_cbranch_vccnz .LBB54_1013
.LBB54_1012:                            ;   Parent Loop BB54_3 Depth=1
                                        ;     Parent Loop BB54_1010 Depth=2
                                        ; =>    This Inner Loop Header: Depth=3
	global_wb scope:SCOPE_DEV
	s_wait_storecnt 0x0
	global_inv scope:SCOPE_DEV
	global_load_b32 v94, v3, s[84:85]
	s_wait_loadcnt 0x0
	v_cmp_gt_i32_e32 vcc_lo, s89, v94
	s_cbranch_vccnz .LBB54_1012
.LBB54_1013:                            ;   in Loop: Header=BB54_1010 Depth=2
	s_or_b32 exec_lo, exec_lo, s49
	s_lshl_b32 s65, s89, 6
	global_wb scope:SCOPE_DEV
	s_wait_storecnt 0x0
	global_inv scope:SCOPE_DEV
	s_wait_loadcnt 0x0
	s_barrier_signal -1
	s_barrier_wait -1
	s_and_saveexec_b32 s49, s37
	s_cbranch_execz .LBB54_1018
; %bb.1014:                             ;   in Loop: Header=BB54_1010 Depth=2
	v_or_b32_e32 v2, s65, v6
	s_delay_alu instid0(VALU_DEP_1) | instskip(SKIP_1) | instid1(SALU_CYCLE_1)
	v_cmp_le_i32_e32 vcc_lo, s87, v2
	s_and_saveexec_b32 s50, vcc_lo
	s_xor_b32 vcc_lo, exec_lo, s50
; %bb.1015:                             ;   in Loop: Header=BB54_1010 Depth=2
	ds_store_b64 v87, v[24:25]
; %bb.1016:                             ;   in Loop: Header=BB54_1010 Depth=2
	s_and_not1_saveexec_b32 s50, vcc_lo
	s_cbranch_execz .LBB54_1018
; %bb.1017:                             ;   in Loop: Header=BB54_1010 Depth=2
	v_mul_u64_e32 v[36:37], s[74:75], v[2:3]
	s_delay_alu instid0(VALU_DEP_1)
	v_lshl_add_u64 v[36:37], v[36:37], 3, s[82:83]
	global_load_b64 v[36:37], v[36:37], off
	s_wait_loadcnt 0x0
	ds_store_b64 v87, v[36:37]
.LBB54_1018:                            ;   in Loop: Header=BB54_1010 Depth=2
	s_or_b32 exec_lo, exec_lo, s49
	v_add_nc_u32_e32 v2, s65, v43
	v_cmp_ne_u32_e32 vcc_lo, s89, v44
	s_wait_dscnt 0x0
	s_barrier_signal -1
	s_barrier_wait -1
	v_cmp_gt_i32_e64 s65, s87, v2
	v_lshl_add_u64 v[36:37], v[2:3], 3, v[34:35]
	v_cndmask_b32_e64 v95, 0, 1, vcc_lo
	s_and_b32 s49, s65, s5
	s_delay_alu instid0(SALU_CYCLE_1)
	s_and_saveexec_b32 s65, s49
	s_cbranch_execz .LBB54_1024
; %bb.1019:                             ;   in Loop: Header=BB54_1010 Depth=2
	v_mov_b32_e32 v40, v26
	s_and_not1_b32 vcc_lo, exec_lo, vcc_lo
	s_cbranch_vccnz .LBB54_1021
; %bb.1020:                             ;   in Loop: Header=BB54_1010 Depth=2
	global_load_b32 v40, v[36:37], off
.LBB54_1021:                            ;   in Loop: Header=BB54_1010 Depth=2
	v_cmp_ne_u32_e32 vcc_lo, 1, v95
	v_mov_b32_e32 v42, v27
	s_cbranch_vccnz .LBB54_1023
; %bb.1022:                             ;   in Loop: Header=BB54_1010 Depth=2
	global_load_b32 v42, v[36:37], off offset:4
.LBB54_1023:                            ;   in Loop: Header=BB54_1010 Depth=2
	ds_load_b64 v[96:97], v84
	s_wait_loadcnt_dscnt 0x0
	v_pk_mul_f32 v[98:99], v[42:43], v[96:97] op_sel:[0,1] op_sel_hi:[0,0]
	s_delay_alu instid0(VALU_DEP_1) | instskip(SKIP_1) | instid1(VALU_DEP_2)
	v_pk_fma_f32 v[100:101], v[40:41], v[96:97], v[98:99] op_sel_hi:[0,1,1] neg_lo:[0,0,1] neg_hi:[0,0,1]
	v_pk_fma_f32 v[40:41], v[40:41], v[96:97], v[98:99]
	v_mov_b32_e32 v41, v101
	s_delay_alu instid0(VALU_DEP_1)
	v_pk_add_f32 v[38:39], v[38:39], v[40:41]
.LBB54_1024:                            ;   in Loop: Header=BB54_1010 Depth=2
	s_or_b32 exec_lo, exec_lo, s65
	v_add_nc_u32_e32 v40, 16, v2
	s_delay_alu instid0(VALU_DEP_1) | instskip(SKIP_1) | instid1(SALU_CYCLE_1)
	v_cmp_gt_i32_e32 vcc_lo, s87, v40
	s_and_b32 s49, vcc_lo, s5
	s_and_saveexec_b32 s65, s49
	s_cbranch_execz .LBB54_1030
; %bb.1025:                             ;   in Loop: Header=BB54_1010 Depth=2
	v_cmp_ne_u32_e32 vcc_lo, 1, v95
	v_mov_b32_e32 v40, v28
	s_cbranch_vccnz .LBB54_1027
; %bb.1026:                             ;   in Loop: Header=BB54_1010 Depth=2
	global_load_b32 v40, v[36:37], off offset:128
.LBB54_1027:                            ;   in Loop: Header=BB54_1010 Depth=2
	v_cmp_ne_u32_e32 vcc_lo, 1, v95
	v_mov_b32_e32 v41, v29
	s_cbranch_vccnz .LBB54_1029
; %bb.1028:                             ;   in Loop: Header=BB54_1010 Depth=2
	global_load_b32 v41, v[36:37], off offset:132
.LBB54_1029:                            ;   in Loop: Header=BB54_1010 Depth=2
	ds_load_b64 v[96:97], v84 offset:128
	s_wait_loadcnt 0x0
	v_dual_mov_b32 v98, v41 :: v_dual_mov_b32 v99, v40
	s_wait_dscnt 0x0
	v_dual_mul_f32 v42, v41, v96 :: v_dual_mul_f32 v100, v41, v97
	s_delay_alu instid0(VALU_DEP_1) | instskip(NEXT) | instid1(VALU_DEP_2)
	v_pk_fma_f32 v[98:99], v[98:99], v[96:97], v[42:43] op_sel_hi:[1,1,0] neg_lo:[0,0,1] neg_hi:[0,0,1]
	v_pk_fma_f32 v[40:41], v[40:41], v[96:97], v[100:101] op_sel_hi:[1,1,0]
	s_delay_alu instid0(VALU_DEP_2) | instskip(NEXT) | instid1(VALU_DEP_1)
	v_mov_b32_e32 v41, v99
	v_pk_add_f32 v[38:39], v[38:39], v[40:41]
.LBB54_1030:                            ;   in Loop: Header=BB54_1010 Depth=2
	s_or_b32 exec_lo, exec_lo, s65
	v_add_nc_u32_e32 v40, 32, v2
	s_delay_alu instid0(VALU_DEP_1) | instskip(SKIP_1) | instid1(SALU_CYCLE_1)
	v_cmp_gt_i32_e32 vcc_lo, s87, v40
	s_and_b32 s49, vcc_lo, s5
	s_and_saveexec_b32 s65, s49
	s_cbranch_execz .LBB54_1036
; %bb.1031:                             ;   in Loop: Header=BB54_1010 Depth=2
	v_cmp_ne_u32_e32 vcc_lo, 1, v95
	v_mov_b32_e32 v40, v30
	s_cbranch_vccnz .LBB54_1033
; %bb.1032:                             ;   in Loop: Header=BB54_1010 Depth=2
	global_load_b32 v40, v[36:37], off offset:256
.LBB54_1033:                            ;   in Loop: Header=BB54_1010 Depth=2
	v_cmp_ne_u32_e32 vcc_lo, 1, v95
	v_mov_b32_e32 v42, v31
	s_cbranch_vccnz .LBB54_1035
; %bb.1034:                             ;   in Loop: Header=BB54_1010 Depth=2
	global_load_b32 v42, v[36:37], off offset:260
.LBB54_1035:                            ;   in Loop: Header=BB54_1010 Depth=2
	ds_load_b64 v[96:97], v84 offset:256
	s_wait_loadcnt_dscnt 0x0
	v_pk_mul_f32 v[98:99], v[42:43], v[96:97] op_sel:[0,1] op_sel_hi:[0,0]
	s_delay_alu instid0(VALU_DEP_1) | instskip(SKIP_1) | instid1(VALU_DEP_2)
	v_pk_fma_f32 v[100:101], v[40:41], v[96:97], v[98:99] op_sel_hi:[0,1,1] neg_lo:[0,0,1] neg_hi:[0,0,1]
	v_pk_fma_f32 v[40:41], v[40:41], v[96:97], v[98:99]
	v_mov_b32_e32 v41, v101
	s_delay_alu instid0(VALU_DEP_1)
	v_pk_add_f32 v[38:39], v[38:39], v[40:41]
.LBB54_1036:                            ;   in Loop: Header=BB54_1010 Depth=2
	s_or_b32 exec_lo, exec_lo, s65
	v_add_nc_u32_e32 v2, 48, v2
	s_delay_alu instid0(VALU_DEP_1) | instskip(SKIP_1) | instid1(SALU_CYCLE_1)
	v_cmp_gt_i32_e32 vcc_lo, s87, v2
	s_and_b32 s49, vcc_lo, s5
	s_and_saveexec_b32 s65, s49
	s_cbranch_execz .LBB54_1009
; %bb.1037:                             ;   in Loop: Header=BB54_1010 Depth=2
	v_cmp_ne_u32_e32 vcc_lo, 1, v95
	v_mov_b32_e32 v2, v32
	s_cbranch_vccnz .LBB54_1039
; %bb.1038:                             ;   in Loop: Header=BB54_1010 Depth=2
	global_load_b32 v2, v[36:37], off offset:384
.LBB54_1039:                            ;   in Loop: Header=BB54_1010 Depth=2
	v_cmp_ne_u32_e32 vcc_lo, 1, v95
	v_mov_b32_e32 v40, v33
	s_cbranch_vccnz .LBB54_1008
; %bb.1040:                             ;   in Loop: Header=BB54_1010 Depth=2
	global_load_b32 v40, v[36:37], off offset:388
	s_branch .LBB54_1008
.LBB54_1041:                            ;   in Loop: Header=BB54_3 Depth=1
	ds_store_b64 v88, v[38:39]
	s_wait_dscnt 0x0
	s_barrier_signal -1
	s_barrier_wait -1
	s_and_saveexec_b32 s65, s1
	s_cbranch_execz .LBB54_1043
; %bb.1042:                             ;   in Loop: Header=BB54_3 Depth=1
	ds_load_2addr_stride64_b64 v[34:37], v89 offset0:1 offset1:2
	ds_load_2addr_stride64_b64 v[94:97], v89 offset0:3 offset1:4
	;; [unrolled: 1-line block ×3, first 2 shown]
	s_wait_dscnt 0x2
	v_pk_add_f32 v[34:35], v[38:39], v[34:35]
	s_delay_alu instid0(VALU_DEP_1) | instskip(SKIP_3) | instid1(VALU_DEP_1)
	v_pk_add_f32 v[38:39], v[34:35], v[36:37]
	ds_load_2addr_stride64_b64 v[34:37], v89 offset0:7 offset1:8
	s_wait_dscnt 0x2
	v_pk_add_f32 v[38:39], v[38:39], v[94:95]
	v_pk_add_f32 v[94:95], v[38:39], v[96:97]
	ds_load_2addr_stride64_b64 v[38:41], v89 offset0:9 offset1:10
	s_wait_dscnt 0x2
	v_pk_add_f32 v[94:95], v[94:95], v[98:99]
	s_delay_alu instid0(VALU_DEP_1) | instskip(SKIP_3) | instid1(VALU_DEP_1)
	v_pk_add_f32 v[98:99], v[94:95], v[100:101]
	ds_load_2addr_stride64_b64 v[94:97], v89 offset0:11 offset1:12
	s_wait_dscnt 0x2
	v_pk_add_f32 v[34:35], v[98:99], v[34:35]
	v_pk_add_f32 v[98:99], v[34:35], v[36:37]
	ds_load_2addr_stride64_b64 v[34:37], v89 offset0:13 offset1:14
	s_wait_dscnt 0x2
	v_pk_add_f32 v[38:39], v[98:99], v[38:39]
	s_delay_alu instid0(VALU_DEP_1) | instskip(SKIP_3) | instid1(VALU_DEP_1)
	v_pk_add_f32 v[38:39], v[38:39], v[40:41]
	ds_load_b64 v[40:41], v89 offset:7680
	s_wait_dscnt 0x2
	v_pk_add_f32 v[38:39], v[38:39], v[94:95]
	v_pk_add_f32 v[38:39], v[38:39], v[96:97]
	s_wait_dscnt 0x1
	s_delay_alu instid0(VALU_DEP_1) | instskip(NEXT) | instid1(VALU_DEP_1)
	v_pk_add_f32 v[34:35], v[38:39], v[34:35]
	v_pk_add_f32 v[34:35], v[34:35], v[36:37]
	s_wait_dscnt 0x0
	s_delay_alu instid0(VALU_DEP_1) | instskip(NEXT) | instid1(VALU_DEP_1)
	v_pk_add_f32 v[34:35], v[34:35], v[40:41]
	v_cndmask_b32_e64 v39, -v35, 0, s11
	s_delay_alu instid0(VALU_DEP_2)
	v_cndmask_b32_e64 v38, -v34, 0, s11
.LBB54_1043:                            ;   in Loop: Header=BB54_3 Depth=1
	s_or_b32 exec_lo, exec_lo, s65
	s_delay_alu instid0(SALU_CYCLE_1)
	s_and_not1_b32 vcc_lo, exec_lo, s91
	s_cbranch_vccnz .LBB54_1053
; %bb.1044:                             ;   in Loop: Header=BB54_3 Depth=1
	s_and_saveexec_b32 s49, s1
; %bb.1045:                             ;   in Loop: Header=BB54_3 Depth=1
	ds_store_b64 v91, v[38:39]
; %bb.1046:                             ;   in Loop: Header=BB54_3 Depth=1
	s_or_b32 exec_lo, exec_lo, s49
	v_mov_b64_e32 v[34:35], 0
	s_wait_dscnt 0x0
	s_barrier_signal -1
	s_barrier_wait -1
	s_and_saveexec_b32 s49, s6
	s_cbranch_execnz .LBB54_1116
; %bb.1047:                             ;   in Loop: Header=BB54_3 Depth=1
	s_or_b32 exec_lo, exec_lo, s49
	s_and_saveexec_b32 s49, s7
	s_cbranch_execnz .LBB54_1117
.LBB54_1048:                            ;   in Loop: Header=BB54_3 Depth=1
	s_or_b32 exec_lo, exec_lo, s49
	s_and_saveexec_b32 s49, s8
	s_cbranch_execnz .LBB54_1118
.LBB54_1049:                            ;   in Loop: Header=BB54_3 Depth=1
	s_or_b32 exec_lo, exec_lo, s49
	s_and_saveexec_b32 s49, s9
	s_cbranch_execz .LBB54_1051
.LBB54_1050:                            ;   in Loop: Header=BB54_3 Depth=1
	ds_load_b64 v[36:37], v90 offset:24576
	ds_load_b64 v[40:41], v84 offset:384
	s_wait_dscnt 0x0
	v_pk_mul_f32 v[94:95], v[40:41], v[36:37] op_sel:[1,1] op_sel_hi:[0,1]
	s_delay_alu instid0(VALU_DEP_1) | instskip(SKIP_1) | instid1(VALU_DEP_2)
	v_pk_fma_f32 v[96:97], v[40:41], v[36:37], v[94:95] op_sel_hi:[1,0,1]
	v_pk_fma_f32 v[36:37], v[40:41], v[36:37], v[94:95] neg_lo:[0,0,1] neg_hi:[0,0,1]
	v_mov_b32_e32 v37, v97
	s_delay_alu instid0(VALU_DEP_1)
	v_pk_add_f32 v[34:35], v[34:35], v[36:37]
.LBB54_1051:                            ;   in Loop: Header=BB54_3 Depth=1
	s_or_b32 exec_lo, exec_lo, s49
	s_mov_b32 s84, 0
	s_mov_b32 s65, 0
	ds_store_b64 v88, v[34:35]
	s_wait_dscnt 0x0
	s_barrier_signal -1
	s_barrier_wait -1
                                        ; implicit-def: $vgpr36_vgpr37
	s_and_saveexec_b32 s85, s1
	s_cbranch_execz .LBB54_1119
; %bb.1052:                             ;   in Loop: Header=BB54_3 Depth=1
	ds_load_2addr_stride64_b64 v[94:97], v89 offset0:1 offset1:2
	ds_load_2addr_stride64_b64 v[98:101], v89 offset0:3 offset1:4
	;; [unrolled: 1-line block ×3, first 2 shown]
	s_mov_b32 s65, exec_lo
	s_wait_dscnt 0x2
	v_pk_add_f32 v[34:35], v[34:35], v[94:95]
	s_delay_alu instid0(VALU_DEP_1) | instskip(SKIP_4) | instid1(VALU_DEP_1)
	v_pk_add_f32 v[40:41], v[34:35], v[96:97]
	ds_load_2addr_stride64_b64 v[34:37], v89 offset0:7 offset1:8
	ds_load_2addr_stride64_b64 v[94:97], v89 offset0:9 offset1:10
	s_wait_dscnt 0x3
	v_pk_add_f32 v[40:41], v[40:41], v[98:99]
	v_pk_add_f32 v[40:41], v[40:41], v[100:101]
	ds_load_2addr_stride64_b64 v[98:101], v89 offset0:11 offset1:12
	s_wait_dscnt 0x3
	v_pk_add_f32 v[40:41], v[40:41], v[102:103]
	s_delay_alu instid0(VALU_DEP_1) | instskip(SKIP_1) | instid1(VALU_DEP_1)
	v_pk_add_f32 v[40:41], v[40:41], v[104:105]
	s_wait_dscnt 0x2
	v_pk_add_f32 v[34:35], v[40:41], v[34:35]
	s_delay_alu instid0(VALU_DEP_1) | instskip(SKIP_1) | instid1(VALU_DEP_1)
	v_pk_add_f32 v[34:35], v[34:35], v[36:37]
	s_wait_dscnt 0x1
	v_pk_add_f32 v[40:41], v[34:35], v[94:95]
	ds_load_2addr_stride64_b64 v[34:37], v89 offset0:13 offset1:14
	ds_load_b64 v[94:95], v89 offset:7680
	v_pk_add_f32 v[40:41], v[40:41], v[96:97]
	s_wait_dscnt 0x2
	s_delay_alu instid0(VALU_DEP_1) | instskip(NEXT) | instid1(VALU_DEP_1)
	v_pk_add_f32 v[40:41], v[40:41], v[98:99]
	v_pk_add_f32 v[40:41], v[40:41], v[100:101]
	s_wait_dscnt 0x1
	s_delay_alu instid0(VALU_DEP_1) | instskip(NEXT) | instid1(VALU_DEP_1)
	v_pk_add_f32 v[34:35], v[40:41], v[34:35]
	v_pk_add_f32 v[34:35], v[34:35], v[36:37]
	s_wait_dscnt 0x0
	s_delay_alu instid0(VALU_DEP_1) | instskip(SKIP_1) | instid1(SALU_CYCLE_1)
	v_pk_add_f32 v[36:37], v[34:35], v[94:95]
	s_or_b32 exec_lo, exec_lo, s85
	s_and_b32 vcc_lo, exec_lo, s84
	s_cbranch_vccnz .LBB54_1054
	s_branch .LBB54_1120
.LBB54_1053:                            ;   in Loop: Header=BB54_3 Depth=1
	s_mov_b32 s65, 0
                                        ; implicit-def: $vgpr36_vgpr37
	s_cbranch_execz .LBB54_1120
.LBB54_1054:                            ;   in Loop: Header=BB54_3 Depth=1
	v_dual_mov_b32 v2, v4 :: v_dual_mov_b32 v34, v78
	s_mov_b32 s84, 0
	s_branch .LBB54_1056
.LBB54_1055:                            ;   in Loop: Header=BB54_1056 Depth=2
	s_or_b32 exec_lo, exec_lo, s49
	v_add_nc_u32_e32 v34, 0x400, v34
	v_add_nc_u32_e32 v2, -2, v2
	s_add_co_i32 s84, s84, 2
	s_delay_alu instid0(SALU_CYCLE_1)
	s_cmp_lg_u32 s84, 64
	s_barrier_signal -1
	s_barrier_wait -1
	s_cbranch_scc0 .LBB54_1064
.LBB54_1056:                            ;   Parent Loop BB54_3 Depth=1
                                        ; =>  This Inner Loop Header: Depth=2
	s_delay_alu instid0(VALU_DEP_1) | instskip(SKIP_2) | instid1(SALU_CYCLE_1)
	v_cmp_eq_u32_e32 vcc_lo, 0, v2
	v_add_nc_u32_e32 v35, v83, v47
	s_and_b32 s50, s1, vcc_lo
	s_and_saveexec_b32 s49, s50
	s_cbranch_execz .LBB54_1058
; %bb.1057:                             ;   in Loop: Header=BB54_1056 Depth=2
	ds_load_b64 v[36:37], v35
	s_wait_dscnt 0x0
	v_pk_mul_f32 v[40:41], v[38:39], v[36:37] op_sel:[1,1] op_sel_hi:[1,0]
	s_delay_alu instid0(VALU_DEP_1) | instskip(SKIP_1) | instid1(VALU_DEP_2)
	v_pk_fma_f32 v[94:95], v[38:39], v[36:37], v[40:41] op_sel_hi:[0,1,1]
	v_pk_fma_f32 v[36:37], v[38:39], v[36:37], v[40:41] neg_lo:[0,0,1] neg_hi:[0,0,1]
	v_mov_b32_e32 v37, v95
	s_delay_alu instid0(VALU_DEP_1)
	v_mov_b64_e32 v[38:39], v[36:37]
	ds_store_b64 v3, v[36:37] offset:41472
.LBB54_1058:                            ;   in Loop: Header=BB54_1056 Depth=2
	s_or_b32 exec_lo, exec_lo, s49
	v_cmp_lt_u32_e32 vcc_lo, s84, v4
	s_wait_dscnt 0x0
	s_barrier_signal -1
	s_barrier_wait -1
	s_and_b32 s50, s1, vcc_lo
	s_delay_alu instid0(SALU_CYCLE_1)
	s_and_saveexec_b32 s49, s50
	s_cbranch_execz .LBB54_1060
; %bb.1059:                             ;   in Loop: Header=BB54_1056 Depth=2
	ds_load_b64 v[36:37], v34
	ds_load_b64 v[40:41], v3 offset:41472
	s_wait_dscnt 0x0
	v_pk_mul_f32 v[94:95], v[40:41], v[36:37] op_sel:[1,1] op_sel_hi:[0,1]
	s_delay_alu instid0(VALU_DEP_1) | instskip(SKIP_1) | instid1(VALU_DEP_2)
	v_pk_fma_f32 v[96:97], v[40:41], v[36:37], v[94:95] op_sel_hi:[1,0,1]
	v_pk_fma_f32 v[36:37], v[40:41], v[36:37], v[94:95] neg_lo:[0,0,1] neg_hi:[0,0,1]
	v_mov_b32_e32 v37, v97
	s_delay_alu instid0(VALU_DEP_1)
	v_pk_add_f32 v[38:39], v[38:39], v[36:37]
.LBB54_1060:                            ;   in Loop: Header=BB54_1056 Depth=2
	s_or_b32 exec_lo, exec_lo, s49
	s_or_b32 s49, s84, 1
	s_delay_alu instid0(SALU_CYCLE_1) | instskip(SKIP_3) | instid1(SALU_CYCLE_1)
	v_cmp_eq_u32_e32 vcc_lo, s49, v4
	s_barrier_signal -1
	s_barrier_wait -1
	s_and_b32 s50, s1, vcc_lo
	s_and_saveexec_b32 s85, s50
	s_cbranch_execz .LBB54_1062
; %bb.1061:                             ;   in Loop: Header=BB54_1056 Depth=2
	ds_load_b64 v[36:37], v35
	s_wait_dscnt 0x0
	v_pk_mul_f32 v[40:41], v[38:39], v[36:37] op_sel:[1,1] op_sel_hi:[1,0]
	s_delay_alu instid0(VALU_DEP_1) | instskip(SKIP_1) | instid1(VALU_DEP_2)
	v_pk_fma_f32 v[94:95], v[38:39], v[36:37], v[40:41] op_sel_hi:[0,1,1]
	v_pk_fma_f32 v[36:37], v[38:39], v[36:37], v[40:41] neg_lo:[0,0,1] neg_hi:[0,0,1]
	v_mov_b32_e32 v37, v95
	s_delay_alu instid0(VALU_DEP_1)
	v_mov_b64_e32 v[38:39], v[36:37]
	ds_store_b64 v3, v[36:37] offset:41472
.LBB54_1062:                            ;   in Loop: Header=BB54_1056 Depth=2
	s_or_b32 exec_lo, exec_lo, s85
	v_cmp_lt_u32_e32 vcc_lo, s49, v4
	s_wait_dscnt 0x0
	s_barrier_signal -1
	s_barrier_wait -1
	s_and_b32 s50, s1, vcc_lo
	s_delay_alu instid0(SALU_CYCLE_1)
	s_and_saveexec_b32 s49, s50
	s_cbranch_execz .LBB54_1055
; %bb.1063:                             ;   in Loop: Header=BB54_1056 Depth=2
	ds_load_b64 v[36:37], v34 offset:512
	ds_load_b64 v[40:41], v3 offset:41472
	s_wait_dscnt 0x0
	v_pk_mul_f32 v[94:95], v[40:41], v[36:37] op_sel:[1,1] op_sel_hi:[0,1]
	s_delay_alu instid0(VALU_DEP_1) | instskip(SKIP_1) | instid1(VALU_DEP_2)
	v_pk_fma_f32 v[96:97], v[40:41], v[36:37], v[94:95] op_sel_hi:[1,0,1]
	v_pk_fma_f32 v[36:37], v[40:41], v[36:37], v[94:95] neg_lo:[0,0,1] neg_hi:[0,0,1]
	v_mov_b32_e32 v37, v97
	s_delay_alu instid0(VALU_DEP_1)
	v_pk_add_f32 v[38:39], v[38:39], v[36:37]
	s_branch .LBB54_1055
.LBB54_1064:                            ;   in Loop: Header=BB54_3 Depth=1
	s_and_b32 vcc_lo, exec_lo, s90
	s_mov_b32 s49, -1
	s_cbranch_vccz .LBB54_1066
; %bb.1065:                             ;   in Loop: Header=BB54_3 Depth=1
	s_and_not1_b32 s50, s65, exec_lo
	s_and_b32 s51, s1, exec_lo
	s_mov_b32 s49, 0
	s_or_b32 s65, s50, s51
.LBB54_1066:                            ;   in Loop: Header=BB54_3 Depth=1
	s_and_not1_b32 vcc_lo, exec_lo, s49
	s_cbranch_vccnz .LBB54_1068
; %bb.1067:                             ;   in Loop: Header=BB54_3 Depth=1
	v_readlane_b32 s50, v107, 9
	s_and_not1_b32 s49, s65, exec_lo
	s_and_b32 s50, s50, exec_lo
	s_delay_alu instid0(SALU_CYCLE_1)
	s_or_b32 s65, s49, s50
.LBB54_1068:                            ;   in Loop: Header=BB54_3 Depth=1
	v_mov_b64_e32 v[34:35], v[12:13]
	s_and_saveexec_b32 s49, s65
	s_cbranch_execnz .LBB54_1121
	s_branch .LBB54_1122
.LBB54_1069:                            ;   in Loop: Header=BB54_3 Depth=1
	v_readlane_b32 s50, v107, 18
	s_and_saveexec_b32 s49, s50
	s_delay_alu instid0(SALU_CYCLE_1)
	s_xor_b32 s49, exec_lo, s49
	s_cbranch_execz .LBB54_1073
; %bb.1070:                             ;   in Loop: Header=BB54_3 Depth=1
	v_readlane_b32 s50, v106, 5
	s_and_saveexec_b32 s84, s50
; %bb.1071:                             ;   in Loop: Header=BB54_3 Depth=1
	ds_store_b64 v76, v[24:25]
; %bb.1072:                             ;   in Loop: Header=BB54_3 Depth=1
	s_or_b32 exec_lo, exec_lo, s84
.LBB54_1073:                            ;   in Loop: Header=BB54_3 Depth=1
	s_and_not1_saveexec_b32 s84, s49
	s_cbranch_execz .LBB54_1079
; %bb.1074:                             ;   in Loop: Header=BB54_3 Depth=1
	v_lshl_add_u64 v[38:39], v[14:15], 3, s[82:83]
	s_mov_b32 s85, exec_lo
                                        ; implicit-def: $vgpr40_vgpr41
	global_load_b64 v[38:39], v[38:39], off
	s_wait_loadcnt 0x0
	v_cmpx_ngt_f32_e64 |v38|, |v39|
	s_xor_b32 s85, exec_lo, s85
	s_cbranch_execz .LBB54_1076
; %bb.1075:                             ;   in Loop: Header=BB54_3 Depth=1
	v_div_scale_f32 v2, null, -v39, -v39, v38
	v_div_scale_f32 v42, vcc_lo, v38, -v39, v38
	s_delay_alu instid0(VALU_DEP_2) | instskip(SKIP_1) | instid1(TRANS32_DEP_1)
	v_rcp_f32_e32 v40, v2
	v_nop
	v_fma_f32 v41, -v2, v40, 1.0
	s_delay_alu instid0(VALU_DEP_1) | instskip(NEXT) | instid1(VALU_DEP_1)
	v_fmac_f32_e32 v40, v41, v40
	v_mul_f32_e32 v41, v42, v40
	s_delay_alu instid0(VALU_DEP_1) | instskip(NEXT) | instid1(VALU_DEP_1)
	v_fma_f32 v94, -v2, v41, v42
	v_fmac_f32_e32 v41, v94, v40
	s_delay_alu instid0(VALU_DEP_1) | instskip(NEXT) | instid1(VALU_DEP_1)
	v_fma_f32 v2, -v2, v41, v42
	v_div_fmas_f32 v2, v2, v40, v41
	s_delay_alu instid0(VALU_DEP_1) | instskip(NEXT) | instid1(VALU_DEP_1)
	v_div_fixup_f32 v2, v2, -v39, v38
	v_fma_f32 v38, v38, v2, -v39
	s_delay_alu instid0(VALU_DEP_1) | instskip(SKIP_1) | instid1(VALU_DEP_2)
	v_div_scale_f32 v39, null, v38, v38, 1.0
	v_div_scale_f32 v42, vcc_lo, 1.0, v38, 1.0
	v_rcp_f32_e32 v40, v39
	v_nop
	s_delay_alu instid0(TRANS32_DEP_1) | instskip(NEXT) | instid1(VALU_DEP_1)
	v_fma_f32 v41, -v39, v40, 1.0
	v_fmac_f32_e32 v40, v41, v40
	s_delay_alu instid0(VALU_DEP_1) | instskip(NEXT) | instid1(VALU_DEP_1)
	v_mul_f32_e32 v41, v42, v40
	v_fma_f32 v94, -v39, v41, v42
	s_delay_alu instid0(VALU_DEP_1) | instskip(NEXT) | instid1(VALU_DEP_1)
	v_fmac_f32_e32 v41, v94, v40
	v_fma_f32 v39, -v39, v41, v42
	s_delay_alu instid0(VALU_DEP_1) | instskip(NEXT) | instid1(VALU_DEP_1)
	v_div_fmas_f32 v39, v39, v40, v41
	v_div_fixup_f32 v38, v39, v38, 1.0
	s_delay_alu instid0(VALU_DEP_1)
	v_mul_f32_e32 v40, v2, v38
	v_xor_b32_e32 v41, 0x80000000, v38
                                        ; implicit-def: $vgpr38_vgpr39
.LBB54_1076:                            ;   in Loop: Header=BB54_3 Depth=1
	s_and_not1_saveexec_b32 s85, s85
	s_cbranch_execz .LBB54_1078
; %bb.1077:                             ;   in Loop: Header=BB54_3 Depth=1
	v_div_scale_f32 v2, null, v38, v38, -v39
	v_div_scale_f32 v42, vcc_lo, -v39, v38, -v39
	s_delay_alu instid0(VALU_DEP_2) | instskip(SKIP_1) | instid1(TRANS32_DEP_1)
	v_rcp_f32_e32 v40, v2
	v_nop
	v_fma_f32 v41, -v2, v40, 1.0
	s_delay_alu instid0(VALU_DEP_1) | instskip(NEXT) | instid1(VALU_DEP_1)
	v_fmac_f32_e32 v40, v41, v40
	v_mul_f32_e32 v41, v42, v40
	s_delay_alu instid0(VALU_DEP_1) | instskip(NEXT) | instid1(VALU_DEP_1)
	v_fma_f32 v94, -v2, v41, v42
	v_fmac_f32_e32 v41, v94, v40
	s_delay_alu instid0(VALU_DEP_1) | instskip(NEXT) | instid1(VALU_DEP_1)
	v_fma_f32 v2, -v2, v41, v42
	v_div_fmas_f32 v2, v2, v40, v41
	s_delay_alu instid0(VALU_DEP_1) | instskip(NEXT) | instid1(VALU_DEP_1)
	v_div_fixup_f32 v2, v2, v38, -v39
	v_fma_f32 v38, -v39, v2, v38
	s_delay_alu instid0(VALU_DEP_1) | instskip(NEXT) | instid1(VALU_DEP_1)
	v_div_scale_f32 v39, null, v38, v38, 1.0
	v_rcp_f32_e32 v40, v39
	v_nop
	s_delay_alu instid0(TRANS32_DEP_1) | instskip(NEXT) | instid1(VALU_DEP_1)
	v_fma_f32 v41, -v39, v40, 1.0
	v_fmac_f32_e32 v40, v41, v40
	v_div_scale_f32 v41, vcc_lo, 1.0, v38, 1.0
	s_delay_alu instid0(VALU_DEP_1) | instskip(NEXT) | instid1(VALU_DEP_1)
	v_mul_f32_e32 v42, v41, v40
	v_fma_f32 v94, -v39, v42, v41
	s_delay_alu instid0(VALU_DEP_1) | instskip(NEXT) | instid1(VALU_DEP_1)
	v_fmac_f32_e32 v42, v94, v40
	v_fma_f32 v39, -v39, v42, v41
	s_delay_alu instid0(VALU_DEP_1) | instskip(NEXT) | instid1(VALU_DEP_1)
	v_div_fmas_f32 v39, v39, v40, v42
	v_div_fixup_f32 v40, v39, v38, 1.0
	s_delay_alu instid0(VALU_DEP_1)
	v_mul_f32_e64 v41, v2, -v40
.LBB54_1078:                            ;   in Loop: Header=BB54_3 Depth=1
	s_or_b32 exec_lo, exec_lo, s85
	ds_store_b64 v76, v[40:41]
.LBB54_1079:                            ;   in Loop: Header=BB54_3 Depth=1
	s_or_b32 exec_lo, exec_lo, s84
	s_and_not1_saveexec_b32 s49, s65
	s_cbranch_execz .LBB54_17
.LBB54_1080:                            ;   in Loop: Header=BB54_3 Depth=1
	v_lshl_add_u64 v[38:39], v[14:15], 3, s[82:83]
	global_load_b64 v[38:39], v[38:39], off
	s_wait_loadcnt 0x0
	v_xor_b32_e32 v38, 0x80000000, v38
	ds_store_b64 v76, v[38:39]
	s_or_b32 exec_lo, exec_lo, s49
	s_and_saveexec_b32 s49, s7
	s_delay_alu instid0(SALU_CYCLE_1)
	s_xor_b32 s65, exec_lo, s49
	s_cbranch_execz .LBB54_18
.LBB54_1081:                            ;   in Loop: Header=BB54_3 Depth=1
	v_readlane_b32 s50, v107, 20
	s_and_saveexec_b32 s49, s50
	s_delay_alu instid0(SALU_CYCLE_1)
	s_xor_b32 s49, exec_lo, s49
	s_cbranch_execz .LBB54_1085
; %bb.1082:                             ;   in Loop: Header=BB54_3 Depth=1
	v_readlane_b32 s50, v106, 6
	s_and_saveexec_b32 s84, s50
; %bb.1083:                             ;   in Loop: Header=BB54_3 Depth=1
	ds_store_b64 v77, v[24:25]
; %bb.1084:                             ;   in Loop: Header=BB54_3 Depth=1
	s_or_b32 exec_lo, exec_lo, s84
.LBB54_1085:                            ;   in Loop: Header=BB54_3 Depth=1
	s_and_not1_saveexec_b32 s84, s49
	s_cbranch_execz .LBB54_1091
; %bb.1086:                             ;   in Loop: Header=BB54_3 Depth=1
	v_lshl_add_u64 v[38:39], v[16:17], 3, s[82:83]
	s_mov_b32 s85, exec_lo
                                        ; implicit-def: $vgpr40_vgpr41
	global_load_b64 v[38:39], v[38:39], off
	s_wait_loadcnt 0x0
	v_cmpx_ngt_f32_e64 |v38|, |v39|
	s_xor_b32 s85, exec_lo, s85
	s_cbranch_execz .LBB54_1088
; %bb.1087:                             ;   in Loop: Header=BB54_3 Depth=1
	v_div_scale_f32 v2, null, -v39, -v39, v38
	v_div_scale_f32 v42, vcc_lo, v38, -v39, v38
	s_delay_alu instid0(VALU_DEP_2) | instskip(SKIP_1) | instid1(TRANS32_DEP_1)
	v_rcp_f32_e32 v40, v2
	v_nop
	v_fma_f32 v41, -v2, v40, 1.0
	s_delay_alu instid0(VALU_DEP_1) | instskip(NEXT) | instid1(VALU_DEP_1)
	v_fmac_f32_e32 v40, v41, v40
	v_mul_f32_e32 v41, v42, v40
	s_delay_alu instid0(VALU_DEP_1) | instskip(NEXT) | instid1(VALU_DEP_1)
	v_fma_f32 v94, -v2, v41, v42
	v_fmac_f32_e32 v41, v94, v40
	s_delay_alu instid0(VALU_DEP_1) | instskip(NEXT) | instid1(VALU_DEP_1)
	v_fma_f32 v2, -v2, v41, v42
	v_div_fmas_f32 v2, v2, v40, v41
	s_delay_alu instid0(VALU_DEP_1) | instskip(NEXT) | instid1(VALU_DEP_1)
	v_div_fixup_f32 v2, v2, -v39, v38
	v_fma_f32 v38, v38, v2, -v39
	s_delay_alu instid0(VALU_DEP_1) | instskip(SKIP_1) | instid1(VALU_DEP_2)
	v_div_scale_f32 v39, null, v38, v38, 1.0
	v_div_scale_f32 v42, vcc_lo, 1.0, v38, 1.0
	v_rcp_f32_e32 v40, v39
	v_nop
	s_delay_alu instid0(TRANS32_DEP_1) | instskip(NEXT) | instid1(VALU_DEP_1)
	v_fma_f32 v41, -v39, v40, 1.0
	v_fmac_f32_e32 v40, v41, v40
	s_delay_alu instid0(VALU_DEP_1) | instskip(NEXT) | instid1(VALU_DEP_1)
	v_mul_f32_e32 v41, v42, v40
	v_fma_f32 v94, -v39, v41, v42
	s_delay_alu instid0(VALU_DEP_1) | instskip(NEXT) | instid1(VALU_DEP_1)
	v_fmac_f32_e32 v41, v94, v40
	v_fma_f32 v39, -v39, v41, v42
	s_delay_alu instid0(VALU_DEP_1) | instskip(NEXT) | instid1(VALU_DEP_1)
	v_div_fmas_f32 v39, v39, v40, v41
	v_div_fixup_f32 v38, v39, v38, 1.0
	s_delay_alu instid0(VALU_DEP_1)
	v_mul_f32_e32 v40, v2, v38
	v_xor_b32_e32 v41, 0x80000000, v38
                                        ; implicit-def: $vgpr38_vgpr39
.LBB54_1088:                            ;   in Loop: Header=BB54_3 Depth=1
	s_and_not1_saveexec_b32 s85, s85
	s_cbranch_execz .LBB54_1090
; %bb.1089:                             ;   in Loop: Header=BB54_3 Depth=1
	v_div_scale_f32 v2, null, v38, v38, -v39
	v_div_scale_f32 v42, vcc_lo, -v39, v38, -v39
	s_delay_alu instid0(VALU_DEP_2) | instskip(SKIP_1) | instid1(TRANS32_DEP_1)
	v_rcp_f32_e32 v40, v2
	v_nop
	v_fma_f32 v41, -v2, v40, 1.0
	s_delay_alu instid0(VALU_DEP_1) | instskip(NEXT) | instid1(VALU_DEP_1)
	v_fmac_f32_e32 v40, v41, v40
	v_mul_f32_e32 v41, v42, v40
	s_delay_alu instid0(VALU_DEP_1) | instskip(NEXT) | instid1(VALU_DEP_1)
	v_fma_f32 v94, -v2, v41, v42
	v_fmac_f32_e32 v41, v94, v40
	s_delay_alu instid0(VALU_DEP_1) | instskip(NEXT) | instid1(VALU_DEP_1)
	v_fma_f32 v2, -v2, v41, v42
	v_div_fmas_f32 v2, v2, v40, v41
	s_delay_alu instid0(VALU_DEP_1) | instskip(NEXT) | instid1(VALU_DEP_1)
	v_div_fixup_f32 v2, v2, v38, -v39
	v_fma_f32 v38, -v39, v2, v38
	s_delay_alu instid0(VALU_DEP_1) | instskip(NEXT) | instid1(VALU_DEP_1)
	v_div_scale_f32 v39, null, v38, v38, 1.0
	v_rcp_f32_e32 v40, v39
	v_nop
	s_delay_alu instid0(TRANS32_DEP_1) | instskip(NEXT) | instid1(VALU_DEP_1)
	v_fma_f32 v41, -v39, v40, 1.0
	v_fmac_f32_e32 v40, v41, v40
	v_div_scale_f32 v41, vcc_lo, 1.0, v38, 1.0
	s_delay_alu instid0(VALU_DEP_1) | instskip(NEXT) | instid1(VALU_DEP_1)
	v_mul_f32_e32 v42, v41, v40
	v_fma_f32 v94, -v39, v42, v41
	s_delay_alu instid0(VALU_DEP_1) | instskip(NEXT) | instid1(VALU_DEP_1)
	v_fmac_f32_e32 v42, v94, v40
	v_fma_f32 v39, -v39, v42, v41
	s_delay_alu instid0(VALU_DEP_1) | instskip(NEXT) | instid1(VALU_DEP_1)
	v_div_fmas_f32 v39, v39, v40, v42
	v_div_fixup_f32 v40, v39, v38, 1.0
	s_delay_alu instid0(VALU_DEP_1)
	v_mul_f32_e64 v41, v2, -v40
.LBB54_1090:                            ;   in Loop: Header=BB54_3 Depth=1
	s_or_b32 exec_lo, exec_lo, s85
	ds_store_b64 v77, v[40:41]
.LBB54_1091:                            ;   in Loop: Header=BB54_3 Depth=1
	s_or_b32 exec_lo, exec_lo, s84
	s_and_not1_saveexec_b32 s49, s65
	s_cbranch_execz .LBB54_19
.LBB54_1092:                            ;   in Loop: Header=BB54_3 Depth=1
	v_lshl_add_u64 v[38:39], v[16:17], 3, s[82:83]
	global_load_b64 v[38:39], v[38:39], off
	s_wait_loadcnt 0x0
	v_xor_b32_e32 v38, 0x80000000, v38
	ds_store_b64 v77, v[38:39]
	s_or_b32 exec_lo, exec_lo, s49
	s_and_saveexec_b32 s49, s8
	s_delay_alu instid0(SALU_CYCLE_1)
	s_xor_b32 s65, exec_lo, s49
	s_cbranch_execz .LBB54_20
.LBB54_1093:                            ;   in Loop: Header=BB54_3 Depth=1
	v_readlane_b32 s50, v107, 22
	s_and_saveexec_b32 s49, s50
	s_delay_alu instid0(SALU_CYCLE_1)
	s_xor_b32 s49, exec_lo, s49
	s_cbranch_execz .LBB54_1097
; %bb.1094:                             ;   in Loop: Header=BB54_3 Depth=1
	v_readlane_b32 s50, v106, 7
	s_and_saveexec_b32 s84, s50
; %bb.1095:                             ;   in Loop: Header=BB54_3 Depth=1
	ds_store_b64 v80, v[24:25]
; %bb.1096:                             ;   in Loop: Header=BB54_3 Depth=1
	s_or_b32 exec_lo, exec_lo, s84
.LBB54_1097:                            ;   in Loop: Header=BB54_3 Depth=1
	s_and_not1_saveexec_b32 s84, s49
	s_cbranch_execz .LBB54_1103
; %bb.1098:                             ;   in Loop: Header=BB54_3 Depth=1
	v_lshl_add_u64 v[38:39], v[18:19], 3, s[82:83]
	s_mov_b32 s85, exec_lo
                                        ; implicit-def: $vgpr40_vgpr41
	global_load_b64 v[38:39], v[38:39], off
	s_wait_loadcnt 0x0
	v_cmpx_ngt_f32_e64 |v38|, |v39|
	s_xor_b32 s85, exec_lo, s85
	s_cbranch_execz .LBB54_1100
; %bb.1099:                             ;   in Loop: Header=BB54_3 Depth=1
	v_div_scale_f32 v2, null, -v39, -v39, v38
	v_div_scale_f32 v42, vcc_lo, v38, -v39, v38
	s_delay_alu instid0(VALU_DEP_2) | instskip(SKIP_1) | instid1(TRANS32_DEP_1)
	v_rcp_f32_e32 v40, v2
	v_nop
	v_fma_f32 v41, -v2, v40, 1.0
	s_delay_alu instid0(VALU_DEP_1) | instskip(NEXT) | instid1(VALU_DEP_1)
	v_fmac_f32_e32 v40, v41, v40
	v_mul_f32_e32 v41, v42, v40
	s_delay_alu instid0(VALU_DEP_1) | instskip(NEXT) | instid1(VALU_DEP_1)
	v_fma_f32 v94, -v2, v41, v42
	v_fmac_f32_e32 v41, v94, v40
	s_delay_alu instid0(VALU_DEP_1) | instskip(NEXT) | instid1(VALU_DEP_1)
	v_fma_f32 v2, -v2, v41, v42
	v_div_fmas_f32 v2, v2, v40, v41
	s_delay_alu instid0(VALU_DEP_1) | instskip(NEXT) | instid1(VALU_DEP_1)
	v_div_fixup_f32 v2, v2, -v39, v38
	v_fma_f32 v38, v38, v2, -v39
	s_delay_alu instid0(VALU_DEP_1) | instskip(SKIP_1) | instid1(VALU_DEP_2)
	v_div_scale_f32 v39, null, v38, v38, 1.0
	v_div_scale_f32 v42, vcc_lo, 1.0, v38, 1.0
	v_rcp_f32_e32 v40, v39
	v_nop
	s_delay_alu instid0(TRANS32_DEP_1) | instskip(NEXT) | instid1(VALU_DEP_1)
	v_fma_f32 v41, -v39, v40, 1.0
	v_fmac_f32_e32 v40, v41, v40
	s_delay_alu instid0(VALU_DEP_1) | instskip(NEXT) | instid1(VALU_DEP_1)
	v_mul_f32_e32 v41, v42, v40
	v_fma_f32 v94, -v39, v41, v42
	s_delay_alu instid0(VALU_DEP_1) | instskip(NEXT) | instid1(VALU_DEP_1)
	v_fmac_f32_e32 v41, v94, v40
	v_fma_f32 v39, -v39, v41, v42
	s_delay_alu instid0(VALU_DEP_1) | instskip(NEXT) | instid1(VALU_DEP_1)
	v_div_fmas_f32 v39, v39, v40, v41
	v_div_fixup_f32 v38, v39, v38, 1.0
	s_delay_alu instid0(VALU_DEP_1)
	v_mul_f32_e32 v40, v2, v38
	v_xor_b32_e32 v41, 0x80000000, v38
                                        ; implicit-def: $vgpr38_vgpr39
.LBB54_1100:                            ;   in Loop: Header=BB54_3 Depth=1
	s_and_not1_saveexec_b32 s85, s85
	s_cbranch_execz .LBB54_1102
; %bb.1101:                             ;   in Loop: Header=BB54_3 Depth=1
	v_div_scale_f32 v2, null, v38, v38, -v39
	v_div_scale_f32 v42, vcc_lo, -v39, v38, -v39
	s_delay_alu instid0(VALU_DEP_2) | instskip(SKIP_1) | instid1(TRANS32_DEP_1)
	v_rcp_f32_e32 v40, v2
	v_nop
	v_fma_f32 v41, -v2, v40, 1.0
	s_delay_alu instid0(VALU_DEP_1) | instskip(NEXT) | instid1(VALU_DEP_1)
	v_fmac_f32_e32 v40, v41, v40
	v_mul_f32_e32 v41, v42, v40
	s_delay_alu instid0(VALU_DEP_1) | instskip(NEXT) | instid1(VALU_DEP_1)
	v_fma_f32 v94, -v2, v41, v42
	v_fmac_f32_e32 v41, v94, v40
	s_delay_alu instid0(VALU_DEP_1) | instskip(NEXT) | instid1(VALU_DEP_1)
	v_fma_f32 v2, -v2, v41, v42
	v_div_fmas_f32 v2, v2, v40, v41
	s_delay_alu instid0(VALU_DEP_1) | instskip(NEXT) | instid1(VALU_DEP_1)
	v_div_fixup_f32 v2, v2, v38, -v39
	v_fma_f32 v38, -v39, v2, v38
	s_delay_alu instid0(VALU_DEP_1) | instskip(NEXT) | instid1(VALU_DEP_1)
	v_div_scale_f32 v39, null, v38, v38, 1.0
	v_rcp_f32_e32 v40, v39
	v_nop
	s_delay_alu instid0(TRANS32_DEP_1) | instskip(NEXT) | instid1(VALU_DEP_1)
	v_fma_f32 v41, -v39, v40, 1.0
	v_fmac_f32_e32 v40, v41, v40
	v_div_scale_f32 v41, vcc_lo, 1.0, v38, 1.0
	s_delay_alu instid0(VALU_DEP_1) | instskip(NEXT) | instid1(VALU_DEP_1)
	v_mul_f32_e32 v42, v41, v40
	v_fma_f32 v94, -v39, v42, v41
	s_delay_alu instid0(VALU_DEP_1) | instskip(NEXT) | instid1(VALU_DEP_1)
	v_fmac_f32_e32 v42, v94, v40
	v_fma_f32 v39, -v39, v42, v41
	s_delay_alu instid0(VALU_DEP_1) | instskip(NEXT) | instid1(VALU_DEP_1)
	v_div_fmas_f32 v39, v39, v40, v42
	v_div_fixup_f32 v40, v39, v38, 1.0
	s_delay_alu instid0(VALU_DEP_1)
	v_mul_f32_e64 v41, v2, -v40
.LBB54_1102:                            ;   in Loop: Header=BB54_3 Depth=1
	s_or_b32 exec_lo, exec_lo, s85
	ds_store_b64 v80, v[40:41]
.LBB54_1103:                            ;   in Loop: Header=BB54_3 Depth=1
	s_or_b32 exec_lo, exec_lo, s84
	s_and_not1_saveexec_b32 s49, s65
	s_cbranch_execz .LBB54_21
.LBB54_1104:                            ;   in Loop: Header=BB54_3 Depth=1
	v_lshl_add_u64 v[38:39], v[18:19], 3, s[82:83]
	global_load_b64 v[38:39], v[38:39], off
	s_wait_loadcnt 0x0
	v_xor_b32_e32 v38, 0x80000000, v38
	ds_store_b64 v80, v[38:39]
	s_or_b32 exec_lo, exec_lo, s49
	s_and_saveexec_b32 s49, s9
	s_delay_alu instid0(SALU_CYCLE_1)
	s_xor_b32 s65, exec_lo, s49
	s_cbranch_execz .LBB54_22
.LBB54_1105:                            ;   in Loop: Header=BB54_3 Depth=1
	v_readlane_b32 s50, v107, 24
	s_and_saveexec_b32 s49, s50
	s_delay_alu instid0(SALU_CYCLE_1)
	s_xor_b32 s49, exec_lo, s49
	s_cbranch_execz .LBB54_1109
; %bb.1106:                             ;   in Loop: Header=BB54_3 Depth=1
	v_readlane_b32 s50, v106, 8
	s_and_saveexec_b32 s84, s50
; %bb.1107:                             ;   in Loop: Header=BB54_3 Depth=1
	ds_store_b64 v81, v[24:25]
; %bb.1108:                             ;   in Loop: Header=BB54_3 Depth=1
	s_or_b32 exec_lo, exec_lo, s84
.LBB54_1109:                            ;   in Loop: Header=BB54_3 Depth=1
	s_and_not1_saveexec_b32 s84, s49
	s_cbranch_execz .LBB54_1115
; %bb.1110:                             ;   in Loop: Header=BB54_3 Depth=1
	v_lshl_add_u64 v[38:39], v[20:21], 3, s[82:83]
	s_mov_b32 s85, exec_lo
                                        ; implicit-def: $vgpr40_vgpr41
	global_load_b64 v[38:39], v[38:39], off
	s_wait_loadcnt 0x0
	v_cmpx_ngt_f32_e64 |v38|, |v39|
	s_xor_b32 s85, exec_lo, s85
	s_cbranch_execz .LBB54_1112
; %bb.1111:                             ;   in Loop: Header=BB54_3 Depth=1
	v_div_scale_f32 v2, null, -v39, -v39, v38
	v_div_scale_f32 v42, vcc_lo, v38, -v39, v38
	s_delay_alu instid0(VALU_DEP_2) | instskip(SKIP_1) | instid1(TRANS32_DEP_1)
	v_rcp_f32_e32 v40, v2
	v_nop
	v_fma_f32 v41, -v2, v40, 1.0
	s_delay_alu instid0(VALU_DEP_1) | instskip(NEXT) | instid1(VALU_DEP_1)
	v_fmac_f32_e32 v40, v41, v40
	v_mul_f32_e32 v41, v42, v40
	s_delay_alu instid0(VALU_DEP_1) | instskip(NEXT) | instid1(VALU_DEP_1)
	v_fma_f32 v94, -v2, v41, v42
	v_fmac_f32_e32 v41, v94, v40
	s_delay_alu instid0(VALU_DEP_1) | instskip(NEXT) | instid1(VALU_DEP_1)
	v_fma_f32 v2, -v2, v41, v42
	v_div_fmas_f32 v2, v2, v40, v41
	s_delay_alu instid0(VALU_DEP_1) | instskip(NEXT) | instid1(VALU_DEP_1)
	v_div_fixup_f32 v2, v2, -v39, v38
	v_fma_f32 v38, v38, v2, -v39
	s_delay_alu instid0(VALU_DEP_1) | instskip(SKIP_1) | instid1(VALU_DEP_2)
	v_div_scale_f32 v39, null, v38, v38, 1.0
	v_div_scale_f32 v42, vcc_lo, 1.0, v38, 1.0
	v_rcp_f32_e32 v40, v39
	v_nop
	s_delay_alu instid0(TRANS32_DEP_1) | instskip(NEXT) | instid1(VALU_DEP_1)
	v_fma_f32 v41, -v39, v40, 1.0
	v_fmac_f32_e32 v40, v41, v40
	s_delay_alu instid0(VALU_DEP_1) | instskip(NEXT) | instid1(VALU_DEP_1)
	v_mul_f32_e32 v41, v42, v40
	v_fma_f32 v94, -v39, v41, v42
	s_delay_alu instid0(VALU_DEP_1) | instskip(NEXT) | instid1(VALU_DEP_1)
	v_fmac_f32_e32 v41, v94, v40
	v_fma_f32 v39, -v39, v41, v42
	s_delay_alu instid0(VALU_DEP_1) | instskip(NEXT) | instid1(VALU_DEP_1)
	v_div_fmas_f32 v39, v39, v40, v41
	v_div_fixup_f32 v38, v39, v38, 1.0
	s_delay_alu instid0(VALU_DEP_1)
	v_mul_f32_e32 v40, v2, v38
	v_xor_b32_e32 v41, 0x80000000, v38
                                        ; implicit-def: $vgpr38_vgpr39
.LBB54_1112:                            ;   in Loop: Header=BB54_3 Depth=1
	s_and_not1_saveexec_b32 s85, s85
	s_cbranch_execz .LBB54_1114
; %bb.1113:                             ;   in Loop: Header=BB54_3 Depth=1
	v_div_scale_f32 v2, null, v38, v38, -v39
	v_div_scale_f32 v42, vcc_lo, -v39, v38, -v39
	s_delay_alu instid0(VALU_DEP_2) | instskip(SKIP_1) | instid1(TRANS32_DEP_1)
	v_rcp_f32_e32 v40, v2
	v_nop
	v_fma_f32 v41, -v2, v40, 1.0
	s_delay_alu instid0(VALU_DEP_1) | instskip(NEXT) | instid1(VALU_DEP_1)
	v_fmac_f32_e32 v40, v41, v40
	v_mul_f32_e32 v41, v42, v40
	s_delay_alu instid0(VALU_DEP_1) | instskip(NEXT) | instid1(VALU_DEP_1)
	v_fma_f32 v94, -v2, v41, v42
	v_fmac_f32_e32 v41, v94, v40
	s_delay_alu instid0(VALU_DEP_1) | instskip(NEXT) | instid1(VALU_DEP_1)
	v_fma_f32 v2, -v2, v41, v42
	v_div_fmas_f32 v2, v2, v40, v41
	s_delay_alu instid0(VALU_DEP_1) | instskip(NEXT) | instid1(VALU_DEP_1)
	v_div_fixup_f32 v2, v2, v38, -v39
	v_fma_f32 v38, -v39, v2, v38
	s_delay_alu instid0(VALU_DEP_1) | instskip(NEXT) | instid1(VALU_DEP_1)
	v_div_scale_f32 v39, null, v38, v38, 1.0
	v_rcp_f32_e32 v40, v39
	v_nop
	s_delay_alu instid0(TRANS32_DEP_1) | instskip(NEXT) | instid1(VALU_DEP_1)
	v_fma_f32 v41, -v39, v40, 1.0
	v_fmac_f32_e32 v40, v41, v40
	v_div_scale_f32 v41, vcc_lo, 1.0, v38, 1.0
	s_delay_alu instid0(VALU_DEP_1) | instskip(NEXT) | instid1(VALU_DEP_1)
	v_mul_f32_e32 v42, v41, v40
	v_fma_f32 v94, -v39, v42, v41
	s_delay_alu instid0(VALU_DEP_1) | instskip(NEXT) | instid1(VALU_DEP_1)
	v_fmac_f32_e32 v42, v94, v40
	v_fma_f32 v39, -v39, v42, v41
	s_delay_alu instid0(VALU_DEP_1) | instskip(NEXT) | instid1(VALU_DEP_1)
	v_div_fmas_f32 v39, v39, v40, v42
	v_div_fixup_f32 v40, v39, v38, 1.0
	s_delay_alu instid0(VALU_DEP_1)
	v_mul_f32_e64 v41, v2, -v40
.LBB54_1114:                            ;   in Loop: Header=BB54_3 Depth=1
	s_or_b32 exec_lo, exec_lo, s85
	ds_store_b64 v81, v[40:41]
.LBB54_1115:                            ;   in Loop: Header=BB54_3 Depth=1
	s_or_b32 exec_lo, exec_lo, s84
	s_and_not1_saveexec_b32 s49, s65
	s_cbranch_execnz .LBB54_23
	s_branch .LBB54_24
.LBB54_1116:                            ;   in Loop: Header=BB54_3 Depth=1
	ds_load_b64 v[34:35], v90
	ds_load_b64 v[36:37], v84
	s_wait_dscnt 0x0
	v_dual_mul_f32 v2, v37, v35 :: v_dual_mul_f32 v35, v36, v35
	s_delay_alu instid0(VALU_DEP_1) | instskip(NEXT) | instid1(VALU_DEP_1)
	v_dual_fma_f32 v2, v36, v34, -v2 :: v_dual_fmac_f32 v35, v37, v34
	v_dual_add_f32 v34, 0, v2 :: v_dual_add_f32 v35, 0, v35
	s_or_b32 exec_lo, exec_lo, s49
	s_and_saveexec_b32 s49, s7
	s_cbranch_execz .LBB54_1048
.LBB54_1117:                            ;   in Loop: Header=BB54_3 Depth=1
	ds_load_b64 v[36:37], v90 offset:8192
	ds_load_b64 v[40:41], v84 offset:128
	s_wait_dscnt 0x0
	v_dual_mul_f32 v2, v41, v37 :: v_dual_mul_f32 v95, v40, v37
	s_delay_alu instid0(VALU_DEP_1) | instskip(NEXT) | instid1(VALU_DEP_1)
	v_dual_fma_f32 v94, v40, v36, -v2 :: v_dual_fmac_f32 v95, v41, v36
	v_pk_add_f32 v[34:35], v[34:35], v[94:95]
	s_or_b32 exec_lo, exec_lo, s49
	s_and_saveexec_b32 s49, s8
	s_cbranch_execz .LBB54_1049
.LBB54_1118:                            ;   in Loop: Header=BB54_3 Depth=1
	ds_load_b64 v[36:37], v90 offset:16384
	ds_load_b64 v[40:41], v84 offset:256
	s_wait_dscnt 0x0
	v_pk_mul_f32 v[94:95], v[40:41], v[36:37] op_sel:[1,1] op_sel_hi:[0,1]
	s_delay_alu instid0(VALU_DEP_1) | instskip(SKIP_1) | instid1(VALU_DEP_2)
	v_pk_fma_f32 v[96:97], v[40:41], v[36:37], v[94:95] op_sel_hi:[1,0,1]
	v_pk_fma_f32 v[36:37], v[40:41], v[36:37], v[94:95] neg_lo:[0,0,1] neg_hi:[0,0,1]
	v_mov_b32_e32 v37, v97
	s_delay_alu instid0(VALU_DEP_1)
	v_pk_add_f32 v[34:35], v[34:35], v[36:37]
	s_or_b32 exec_lo, exec_lo, s49
	s_and_saveexec_b32 s49, s9
	s_cbranch_execnz .LBB54_1050
	s_branch .LBB54_1051
.LBB54_1119:                            ;   in Loop: Header=BB54_3 Depth=1
	s_or_b32 exec_lo, exec_lo, s85
	s_delay_alu instid0(SALU_CYCLE_1)
	s_and_b32 vcc_lo, exec_lo, s84
	s_cbranch_vccnz .LBB54_1054
.LBB54_1120:                            ;   in Loop: Header=BB54_3 Depth=1
	v_mov_b64_e32 v[38:39], v[36:37]
	v_mov_b64_e32 v[34:35], v[22:23]
	s_and_saveexec_b32 s49, s65
	s_cbranch_execz .LBB54_1122
.LBB54_1121:                            ;   in Loop: Header=BB54_3 Depth=1
	s_delay_alu instid0(VALU_DEP_1)
	v_lshl_add_u64 v[34:35], v[34:35], 3, s[82:83]
	global_store_b64 v[34:35], v[38:39], off
.LBB54_1122:                            ;   in Loop: Header=BB54_3 Depth=1
	s_wait_xcnt 0x0
	s_or_b32 exec_lo, exec_lo, s49
	global_wb scope:SCOPE_DEV
	s_wait_storecnt 0x0
	global_inv scope:SCOPE_DEV
	s_wait_loadcnt 0x0
	s_barrier_signal -1
	s_barrier_wait -1
	s_and_saveexec_b32 s49, s36
	s_cbranch_execz .LBB54_2
; %bb.1123:                             ;   in Loop: Header=BB54_3 Depth=1
	s_lshl_b64 s[82:83], s[80:81], 2
	s_delay_alu instid0(SALU_CYCLE_1)
	s_add_nc_u64 s[82:83], s[78:79], s[82:83]
	global_load_b32 v2, v3, s[82:83]
	s_wait_loadcnt 0x0
	v_add_nc_u32_e32 v2, 1, v2
	global_store_b32 v3, v2, s[82:83]
	s_branch .LBB54_2
.LBB54_1124:                            ;   in Loop: Header=BB54_3 Depth=1
	ds_load_b64 v[40:41], v51 offset:31680
	ds_load_b64 v[94:95], v52 offset:32744
	s_wait_dscnt 0x0
	v_dual_mul_f32 v2, v95, v41 :: v_dual_mul_f32 v41, v94, v41
	s_delay_alu instid0(VALU_DEP_1) | instskip(NEXT) | instid1(VALU_DEP_1)
	v_dual_fma_f32 v2, v94, v40, -v2 :: v_dual_fmac_f32 v41, v95, v40
	v_dual_add_f32 v38, v38, v2 :: v_dual_add_f32 v39, v39, v41
	s_or_b32 exec_lo, exec_lo, s49
	s_and_saveexec_b32 s49, s17
	s_cbranch_execz .LBB54_104
.LBB54_1125:                            ;   in Loop: Header=BB54_3 Depth=1
	ds_load_b64 v[40:41], v51 offset:32192
	ds_load_b64 v[94:95], v52 offset:32752
	s_wait_dscnt 0x0
	v_dual_mul_f32 v2, v95, v41 :: v_dual_mul_f32 v41, v94, v41
	s_delay_alu instid0(VALU_DEP_1) | instskip(NEXT) | instid1(VALU_DEP_1)
	v_dual_fma_f32 v2, v94, v40, -v2 :: v_dual_fmac_f32 v41, v95, v40
	v_dual_add_f32 v38, v38, v2 :: v_dual_add_f32 v39, v39, v41
	s_or_b32 exec_lo, exec_lo, s49
	s_and_saveexec_b32 s49, s0
	s_cbranch_execnz .LBB54_105
	s_branch .LBB54_106
.LBB54_1126:                            ;   in Loop: Header=BB54_3 Depth=1
	ds_load_b64 v[40:41], v57 offset:29568
	ds_load_b64 v[94:95], v58 offset:32712
	s_wait_dscnt 0x0
	v_dual_mul_f32 v2, v95, v41 :: v_dual_mul_f32 v41, v94, v41
	s_delay_alu instid0(VALU_DEP_1) | instskip(NEXT) | instid1(VALU_DEP_1)
	v_dual_fma_f32 v2, v94, v40, -v2 :: v_dual_fmac_f32 v41, v95, v40
	v_dual_add_f32 v38, v38, v2 :: v_dual_add_f32 v39, v39, v41
	s_or_b32 exec_lo, exec_lo, s49
	s_and_saveexec_b32 s49, s19
	s_cbranch_execz .LBB54_146
.LBB54_1127:                            ;   in Loop: Header=BB54_3 Depth=1
	ds_load_b64 v[40:41], v57 offset:30080
	ds_load_b64 v[94:95], v58 offset:32720
	s_wait_dscnt 0x0
	v_dual_mul_f32 v2, v95, v41 :: v_dual_mul_f32 v41, v94, v41
	s_delay_alu instid0(VALU_DEP_1) | instskip(NEXT) | instid1(VALU_DEP_1)
	v_dual_fma_f32 v2, v94, v40, -v2 :: v_dual_fmac_f32 v41, v95, v40
	v_dual_add_f32 v38, v38, v2 :: v_dual_add_f32 v39, v39, v41
	s_or_b32 exec_lo, exec_lo, s49
	s_and_saveexec_b32 s49, s20
	s_cbranch_execz .LBB54_147
.LBB54_1128:                            ;   in Loop: Header=BB54_3 Depth=1
	ds_load_b64 v[40:41], v57 offset:30592
	ds_load_b64 v[94:95], v58 offset:32728
	s_wait_dscnt 0x0
	v_dual_mul_f32 v2, v95, v41 :: v_dual_mul_f32 v41, v94, v41
	s_delay_alu instid0(VALU_DEP_1) | instskip(NEXT) | instid1(VALU_DEP_1)
	v_dual_fma_f32 v2, v94, v40, -v2 :: v_dual_fmac_f32 v41, v95, v40
	v_dual_add_f32 v38, v38, v2 :: v_dual_add_f32 v39, v39, v41
	s_or_b32 exec_lo, exec_lo, s49
	s_and_saveexec_b32 s49, s21
	s_cbranch_execz .LBB54_148
.LBB54_1129:                            ;   in Loop: Header=BB54_3 Depth=1
	ds_load_b64 v[40:41], v57 offset:31104
	ds_load_b64 v[94:95], v58 offset:32736
	s_wait_dscnt 0x0
	v_dual_mul_f32 v2, v95, v41 :: v_dual_mul_f32 v41, v94, v41
	s_delay_alu instid0(VALU_DEP_1) | instskip(NEXT) | instid1(VALU_DEP_1)
	v_dual_fma_f32 v2, v94, v40, -v2 :: v_dual_fmac_f32 v41, v95, v40
	v_dual_add_f32 v38, v38, v2 :: v_dual_add_f32 v39, v39, v41
	s_or_b32 exec_lo, exec_lo, s49
	s_and_saveexec_b32 s49, s22
	s_cbranch_execz .LBB54_149
.LBB54_1130:                            ;   in Loop: Header=BB54_3 Depth=1
	ds_load_b64 v[40:41], v57 offset:31616
	ds_load_b64 v[94:95], v58 offset:32744
	s_wait_dscnt 0x0
	v_dual_mul_f32 v2, v95, v41 :: v_dual_mul_f32 v41, v94, v41
	s_delay_alu instid0(VALU_DEP_1) | instskip(NEXT) | instid1(VALU_DEP_1)
	v_dual_fma_f32 v2, v94, v40, -v2 :: v_dual_fmac_f32 v41, v95, v40
	v_dual_add_f32 v38, v38, v2 :: v_dual_add_f32 v39, v39, v41
	s_or_b32 exec_lo, exec_lo, s49
	s_and_saveexec_b32 s49, s2
	s_cbranch_execz .LBB54_150
.LBB54_1131:                            ;   in Loop: Header=BB54_3 Depth=1
	ds_load_b64 v[40:41], v57 offset:32128
	ds_load_b64 v[94:95], v58 offset:32752
	s_wait_dscnt 0x0
	v_dual_mul_f32 v2, v95, v41 :: v_dual_mul_f32 v41, v94, v41
	s_delay_alu instid0(VALU_DEP_1) | instskip(NEXT) | instid1(VALU_DEP_1)
	v_dual_fma_f32 v2, v94, v40, -v2 :: v_dual_fmac_f32 v41, v95, v40
	v_dual_add_f32 v38, v38, v2 :: v_dual_add_f32 v39, v39, v41
	s_or_b32 exec_lo, exec_lo, s49
	s_and_saveexec_b32 s49, s17
	s_cbranch_execnz .LBB54_151
	s_branch .LBB54_152
.LBB54_1132:                            ;   in Loop: Header=BB54_3 Depth=1
	ds_load_b64 v[40:41], v51 offset:27520
	ds_load_b64 v[94:95], v52 offset:28584
	s_wait_dscnt 0x0
	v_dual_mul_f32 v2, v95, v41 :: v_dual_mul_f32 v41, v94, v41
	s_delay_alu instid0(VALU_DEP_1) | instskip(NEXT) | instid1(VALU_DEP_1)
	v_dual_fma_f32 v2, v94, v40, -v2 :: v_dual_fmac_f32 v41, v95, v40
	v_dual_add_f32 v38, v38, v2 :: v_dual_add_f32 v39, v39, v41
	s_or_b32 exec_lo, exec_lo, s49
	s_and_saveexec_b32 s49, s17
	s_cbranch_execz .LBB54_208
.LBB54_1133:                            ;   in Loop: Header=BB54_3 Depth=1
	ds_load_b64 v[40:41], v51 offset:28032
	ds_load_b64 v[94:95], v52 offset:28592
	s_wait_dscnt 0x0
	v_dual_mul_f32 v2, v95, v41 :: v_dual_mul_f32 v41, v94, v41
	s_delay_alu instid0(VALU_DEP_1) | instskip(NEXT) | instid1(VALU_DEP_1)
	v_dual_fma_f32 v2, v94, v40, -v2 :: v_dual_fmac_f32 v41, v95, v40
	v_dual_add_f32 v38, v38, v2 :: v_dual_add_f32 v39, v39, v41
	s_or_b32 exec_lo, exec_lo, s49
	s_and_saveexec_b32 s49, s0
	s_cbranch_execnz .LBB54_209
	s_branch .LBB54_210
.LBB54_1134:                            ;   in Loop: Header=BB54_3 Depth=1
	ds_load_b64 v[40:41], v61 offset:30464
	ds_load_b64 v[94:95], v62 offset:32728
	s_wait_dscnt 0x0
	v_dual_mul_f32 v2, v95, v41 :: v_dual_mul_f32 v41, v94, v41
	s_delay_alu instid0(VALU_DEP_1) | instskip(NEXT) | instid1(VALU_DEP_1)
	v_dual_fma_f32 v2, v94, v40, -v2 :: v_dual_fmac_f32 v41, v95, v40
	v_dual_add_f32 v38, v38, v2 :: v_dual_add_f32 v39, v39, v41
	s_or_b32 exec_lo, exec_lo, s49
	s_and_saveexec_b32 s49, s3
	s_cbranch_execz .LBB54_270
.LBB54_1135:                            ;   in Loop: Header=BB54_3 Depth=1
	ds_load_b64 v[40:41], v61 offset:30976
	ds_load_b64 v[94:95], v62 offset:32736
	s_wait_dscnt 0x0
	v_dual_mul_f32 v2, v95, v41 :: v_dual_mul_f32 v41, v94, v41
	s_delay_alu instid0(VALU_DEP_1) | instskip(NEXT) | instid1(VALU_DEP_1)
	v_dual_fma_f32 v2, v94, v40, -v2 :: v_dual_fmac_f32 v41, v95, v40
	v_dual_add_f32 v38, v38, v2 :: v_dual_add_f32 v39, v39, v41
	s_or_b32 exec_lo, exec_lo, s49
	s_and_saveexec_b32 s49, s19
	s_cbranch_execz .LBB54_271
.LBB54_1136:                            ;   in Loop: Header=BB54_3 Depth=1
	ds_load_b64 v[40:41], v61 offset:31488
	ds_load_b64 v[94:95], v62 offset:32744
	s_wait_dscnt 0x0
	v_dual_mul_f32 v2, v95, v41 :: v_dual_mul_f32 v41, v94, v41
	s_delay_alu instid0(VALU_DEP_1) | instskip(NEXT) | instid1(VALU_DEP_1)
	v_dual_fma_f32 v2, v94, v40, -v2 :: v_dual_fmac_f32 v41, v95, v40
	v_dual_add_f32 v38, v38, v2 :: v_dual_add_f32 v39, v39, v41
	s_or_b32 exec_lo, exec_lo, s49
	s_and_saveexec_b32 s49, s21
	s_cbranch_execz .LBB54_272
.LBB54_1137:                            ;   in Loop: Header=BB54_3 Depth=1
	ds_load_b64 v[40:41], v61 offset:32000
	ds_load_b64 v[94:95], v62 offset:32752
	s_wait_dscnt 0x0
	v_dual_mul_f32 v2, v95, v41 :: v_dual_mul_f32 v41, v94, v41
	s_delay_alu instid0(VALU_DEP_1) | instskip(NEXT) | instid1(VALU_DEP_1)
	v_dual_fma_f32 v2, v94, v40, -v2 :: v_dual_fmac_f32 v41, v95, v40
	v_dual_add_f32 v38, v38, v2 :: v_dual_add_f32 v39, v39, v41
	s_or_b32 exec_lo, exec_lo, s49
	s_and_saveexec_b32 s49, s2
	s_cbranch_execnz .LBB54_273
	s_branch .LBB54_274
.LBB54_1138:                            ;   in Loop: Header=BB54_3 Depth=1
	ds_load_b64 v[40:41], v51 offset:23360
	ds_load_b64 v[94:95], v52 offset:24424
	s_wait_dscnt 0x0
	v_dual_mul_f32 v2, v95, v41 :: v_dual_mul_f32 v41, v94, v41
	s_delay_alu instid0(VALU_DEP_1) | instskip(NEXT) | instid1(VALU_DEP_1)
	v_dual_fma_f32 v2, v94, v40, -v2 :: v_dual_fmac_f32 v41, v95, v40
	v_dual_add_f32 v38, v38, v2 :: v_dual_add_f32 v39, v39, v41
	s_or_b32 exec_lo, exec_lo, s49
	s_and_saveexec_b32 s49, s17
	s_cbranch_execz .LBB54_362
.LBB54_1139:                            ;   in Loop: Header=BB54_3 Depth=1
	ds_load_b64 v[40:41], v51 offset:23872
	ds_load_b64 v[94:95], v52 offset:24432
	s_wait_dscnt 0x0
	v_dual_mul_f32 v2, v95, v41 :: v_dual_mul_f32 v41, v94, v41
	s_delay_alu instid0(VALU_DEP_1) | instskip(NEXT) | instid1(VALU_DEP_1)
	v_dual_fma_f32 v2, v94, v40, -v2 :: v_dual_fmac_f32 v41, v95, v40
	v_dual_add_f32 v38, v38, v2 :: v_dual_add_f32 v39, v39, v41
	s_or_b32 exec_lo, exec_lo, s49
	s_and_saveexec_b32 s49, s0
	s_cbranch_execnz .LBB54_363
	s_branch .LBB54_364
.LBB54_1140:                            ;   in Loop: Header=BB54_3 Depth=1
	ds_load_b64 v[40:41], v57 offset:21248
	ds_load_b64 v[94:95], v58 offset:24392
	s_wait_dscnt 0x0
	v_dual_mul_f32 v2, v95, v41 :: v_dual_mul_f32 v41, v94, v41
	s_delay_alu instid0(VALU_DEP_1) | instskip(NEXT) | instid1(VALU_DEP_1)
	v_dual_fma_f32 v2, v94, v40, -v2 :: v_dual_fmac_f32 v41, v95, v40
	v_dual_add_f32 v38, v38, v2 :: v_dual_add_f32 v39, v39, v41
	s_or_b32 exec_lo, exec_lo, s49
	s_and_saveexec_b32 s49, s19
	s_cbranch_execz .LBB54_404
.LBB54_1141:                            ;   in Loop: Header=BB54_3 Depth=1
	ds_load_b64 v[40:41], v57 offset:21760
	ds_load_b64 v[94:95], v58 offset:24400
	s_wait_dscnt 0x0
	v_dual_mul_f32 v2, v95, v41 :: v_dual_mul_f32 v41, v94, v41
	s_delay_alu instid0(VALU_DEP_1) | instskip(NEXT) | instid1(VALU_DEP_1)
	v_dual_fma_f32 v2, v94, v40, -v2 :: v_dual_fmac_f32 v41, v95, v40
	v_dual_add_f32 v38, v38, v2 :: v_dual_add_f32 v39, v39, v41
	s_or_b32 exec_lo, exec_lo, s49
	s_and_saveexec_b32 s49, s20
	s_cbranch_execz .LBB54_405
.LBB54_1142:                            ;   in Loop: Header=BB54_3 Depth=1
	ds_load_b64 v[40:41], v57 offset:22272
	ds_load_b64 v[94:95], v58 offset:24408
	s_wait_dscnt 0x0
	v_dual_mul_f32 v2, v95, v41 :: v_dual_mul_f32 v41, v94, v41
	s_delay_alu instid0(VALU_DEP_1) | instskip(NEXT) | instid1(VALU_DEP_1)
	v_dual_fma_f32 v2, v94, v40, -v2 :: v_dual_fmac_f32 v41, v95, v40
	v_dual_add_f32 v38, v38, v2 :: v_dual_add_f32 v39, v39, v41
	s_or_b32 exec_lo, exec_lo, s49
	s_and_saveexec_b32 s49, s21
	s_cbranch_execz .LBB54_406
.LBB54_1143:                            ;   in Loop: Header=BB54_3 Depth=1
	ds_load_b64 v[40:41], v57 offset:22784
	ds_load_b64 v[94:95], v58 offset:24416
	s_wait_dscnt 0x0
	v_dual_mul_f32 v2, v95, v41 :: v_dual_mul_f32 v41, v94, v41
	s_delay_alu instid0(VALU_DEP_1) | instskip(NEXT) | instid1(VALU_DEP_1)
	v_dual_fma_f32 v2, v94, v40, -v2 :: v_dual_fmac_f32 v41, v95, v40
	v_dual_add_f32 v38, v38, v2 :: v_dual_add_f32 v39, v39, v41
	s_or_b32 exec_lo, exec_lo, s49
	s_and_saveexec_b32 s49, s22
	s_cbranch_execz .LBB54_407
.LBB54_1144:                            ;   in Loop: Header=BB54_3 Depth=1
	ds_load_b64 v[40:41], v57 offset:23296
	ds_load_b64 v[94:95], v58 offset:24424
	s_wait_dscnt 0x0
	v_dual_mul_f32 v2, v95, v41 :: v_dual_mul_f32 v41, v94, v41
	s_delay_alu instid0(VALU_DEP_1) | instskip(NEXT) | instid1(VALU_DEP_1)
	v_dual_fma_f32 v2, v94, v40, -v2 :: v_dual_fmac_f32 v41, v95, v40
	v_dual_add_f32 v38, v38, v2 :: v_dual_add_f32 v39, v39, v41
	s_or_b32 exec_lo, exec_lo, s49
	s_and_saveexec_b32 s49, s2
	s_cbranch_execz .LBB54_408
.LBB54_1145:                            ;   in Loop: Header=BB54_3 Depth=1
	ds_load_b64 v[40:41], v57 offset:23808
	ds_load_b64 v[94:95], v58 offset:24432
	s_wait_dscnt 0x0
	v_dual_mul_f32 v2, v95, v41 :: v_dual_mul_f32 v41, v94, v41
	s_delay_alu instid0(VALU_DEP_1) | instskip(NEXT) | instid1(VALU_DEP_1)
	v_dual_fma_f32 v2, v94, v40, -v2 :: v_dual_fmac_f32 v41, v95, v40
	v_dual_add_f32 v38, v38, v2 :: v_dual_add_f32 v39, v39, v41
	s_or_b32 exec_lo, exec_lo, s49
	s_and_saveexec_b32 s49, s17
	s_cbranch_execnz .LBB54_409
	s_branch .LBB54_410
.LBB54_1146:                            ;   in Loop: Header=BB54_3 Depth=1
	ds_load_b64 v[40:41], v51 offset:19200
	ds_load_b64 v[94:95], v52 offset:20264
	s_wait_dscnt 0x0
	v_dual_mul_f32 v2, v95, v41 :: v_dual_mul_f32 v41, v94, v41
	s_delay_alu instid0(VALU_DEP_1) | instskip(NEXT) | instid1(VALU_DEP_1)
	v_dual_fma_f32 v2, v94, v40, -v2 :: v_dual_fmac_f32 v41, v95, v40
	v_dual_add_f32 v38, v38, v2 :: v_dual_add_f32 v39, v39, v41
	s_or_b32 exec_lo, exec_lo, s49
	s_and_saveexec_b32 s49, s17
	s_cbranch_execz .LBB54_466
.LBB54_1147:                            ;   in Loop: Header=BB54_3 Depth=1
	ds_load_b64 v[40:41], v51 offset:19712
	ds_load_b64 v[94:95], v52 offset:20272
	s_wait_dscnt 0x0
	v_dual_mul_f32 v2, v95, v41 :: v_dual_mul_f32 v41, v94, v41
	s_delay_alu instid0(VALU_DEP_1) | instskip(NEXT) | instid1(VALU_DEP_1)
	v_dual_fma_f32 v2, v94, v40, -v2 :: v_dual_fmac_f32 v41, v95, v40
	v_dual_add_f32 v38, v38, v2 :: v_dual_add_f32 v39, v39, v41
	s_or_b32 exec_lo, exec_lo, s49
	s_and_saveexec_b32 s49, s0
	s_cbranch_execnz .LBB54_467
	s_branch .LBB54_468
.LBB54_1148:                            ;   in Loop: Header=BB54_3 Depth=1
	ds_load_b64 v[40:41], v64 offset:31232
	ds_load_b64 v[94:95], v66 offset:32744
	s_wait_dscnt 0x0
	v_pk_mul_f32 v[96:97], v[94:95], v[40:41] op_sel:[1,1] op_sel_hi:[0,1]
	s_delay_alu instid0(VALU_DEP_1) | instskip(SKIP_1) | instid1(VALU_DEP_2)
	v_pk_fma_f32 v[98:99], v[94:95], v[40:41], v[96:97] op_sel_hi:[1,0,1]
	v_pk_fma_f32 v[40:41], v[94:95], v[40:41], v[96:97] neg_lo:[0,0,1] neg_hi:[0,0,1]
	v_mov_b32_e32 v41, v99
	s_delay_alu instid0(VALU_DEP_1)
	v_pk_add_f32 v[38:39], v[38:39], v[40:41]
	s_or_b32 exec_lo, exec_lo, s49
	s_and_saveexec_b32 s49, s3
	s_cbranch_execz .LBB54_564
.LBB54_1149:                            ;   in Loop: Header=BB54_3 Depth=1
	ds_load_b64 v[40:41], v64 offset:31744
	ds_load_b64 v[94:95], v66 offset:32752
	s_wait_dscnt 0x0
	v_pk_mul_f32 v[96:97], v[94:95], v[40:41] op_sel:[1,1] op_sel_hi:[0,1]
	s_delay_alu instid0(VALU_DEP_1) | instskip(SKIP_1) | instid1(VALU_DEP_2)
	v_pk_fma_f32 v[98:99], v[94:95], v[40:41], v[96:97] op_sel_hi:[1,0,1]
	v_pk_fma_f32 v[40:41], v[94:95], v[40:41], v[96:97] neg_lo:[0,0,1] neg_hi:[0,0,1]
	v_mov_b32_e32 v41, v99
	s_delay_alu instid0(VALU_DEP_1) | instskip(SKIP_2) | instid1(SALU_CYCLE_1)
	v_pk_add_f32 v[38:39], v[38:39], v[40:41]
	s_or_b32 exec_lo, exec_lo, s49
	s_and_saveexec_b32 s49, s21
	s_xor_b32 s49, exec_lo, s49
	s_cbranch_execnz .LBB54_565
	s_branch .LBB54_566
.LBB54_1150:                            ;   in Loop: Header=BB54_3 Depth=1
	ds_load_b64 v[40:41], v51 offset:15040
	ds_load_b64 v[94:95], v52 offset:16104
	s_wait_dscnt 0x0
	v_dual_mul_f32 v2, v95, v41 :: v_dual_mul_f32 v41, v94, v41
	s_delay_alu instid0(VALU_DEP_1) | instskip(NEXT) | instid1(VALU_DEP_1)
	v_dual_fma_f32 v2, v94, v40, -v2 :: v_dual_fmac_f32 v41, v95, v40
	v_dual_add_f32 v38, v38, v2 :: v_dual_add_f32 v39, v39, v41
	s_or_b32 exec_lo, exec_lo, s49
	s_and_saveexec_b32 s49, s17
	s_cbranch_execz .LBB54_602
.LBB54_1151:                            ;   in Loop: Header=BB54_3 Depth=1
	ds_load_b64 v[40:41], v51 offset:15552
	ds_load_b64 v[94:95], v52 offset:16112
	s_wait_dscnt 0x0
	v_dual_mul_f32 v2, v95, v41 :: v_dual_mul_f32 v41, v94, v41
	s_delay_alu instid0(VALU_DEP_1) | instskip(NEXT) | instid1(VALU_DEP_1)
	v_dual_fma_f32 v2, v94, v40, -v2 :: v_dual_fmac_f32 v41, v95, v40
	v_dual_add_f32 v38, v38, v2 :: v_dual_add_f32 v39, v39, v41
	s_or_b32 exec_lo, exec_lo, s49
	s_and_saveexec_b32 s49, s0
	s_cbranch_execnz .LBB54_603
	s_branch .LBB54_604
.LBB54_1152:                            ;   in Loop: Header=BB54_3 Depth=1
	ds_load_b64 v[40:41], v57 offset:12928
	ds_load_b64 v[94:95], v58 offset:16072
	s_wait_dscnt 0x0
	v_dual_mul_f32 v2, v95, v41 :: v_dual_mul_f32 v41, v94, v41
	s_delay_alu instid0(VALU_DEP_1) | instskip(NEXT) | instid1(VALU_DEP_1)
	v_dual_fma_f32 v2, v94, v40, -v2 :: v_dual_fmac_f32 v41, v95, v40
	v_dual_add_f32 v38, v38, v2 :: v_dual_add_f32 v39, v39, v41
	s_or_b32 exec_lo, exec_lo, s49
	s_and_saveexec_b32 s49, s19
	s_cbranch_execz .LBB54_644
.LBB54_1153:                            ;   in Loop: Header=BB54_3 Depth=1
	ds_load_b64 v[40:41], v57 offset:13440
	ds_load_b64 v[94:95], v58 offset:16080
	s_wait_dscnt 0x0
	v_dual_mul_f32 v2, v95, v41 :: v_dual_mul_f32 v41, v94, v41
	s_delay_alu instid0(VALU_DEP_1) | instskip(NEXT) | instid1(VALU_DEP_1)
	v_dual_fma_f32 v2, v94, v40, -v2 :: v_dual_fmac_f32 v41, v95, v40
	v_dual_add_f32 v38, v38, v2 :: v_dual_add_f32 v39, v39, v41
	s_or_b32 exec_lo, exec_lo, s49
	s_and_saveexec_b32 s49, s20
	s_cbranch_execz .LBB54_645
.LBB54_1154:                            ;   in Loop: Header=BB54_3 Depth=1
	ds_load_b64 v[40:41], v57 offset:13952
	ds_load_b64 v[94:95], v58 offset:16088
	s_wait_dscnt 0x0
	v_dual_mul_f32 v2, v95, v41 :: v_dual_mul_f32 v41, v94, v41
	s_delay_alu instid0(VALU_DEP_1) | instskip(NEXT) | instid1(VALU_DEP_1)
	v_dual_fma_f32 v2, v94, v40, -v2 :: v_dual_fmac_f32 v41, v95, v40
	v_dual_add_f32 v38, v38, v2 :: v_dual_add_f32 v39, v39, v41
	s_or_b32 exec_lo, exec_lo, s49
	s_and_saveexec_b32 s49, s21
	s_cbranch_execz .LBB54_646
.LBB54_1155:                            ;   in Loop: Header=BB54_3 Depth=1
	ds_load_b64 v[40:41], v57 offset:14464
	ds_load_b64 v[94:95], v58 offset:16096
	s_wait_dscnt 0x0
	v_dual_mul_f32 v2, v95, v41 :: v_dual_mul_f32 v41, v94, v41
	s_delay_alu instid0(VALU_DEP_1) | instskip(NEXT) | instid1(VALU_DEP_1)
	v_dual_fma_f32 v2, v94, v40, -v2 :: v_dual_fmac_f32 v41, v95, v40
	v_dual_add_f32 v38, v38, v2 :: v_dual_add_f32 v39, v39, v41
	s_or_b32 exec_lo, exec_lo, s49
	s_and_saveexec_b32 s49, s22
	s_cbranch_execz .LBB54_647
.LBB54_1156:                            ;   in Loop: Header=BB54_3 Depth=1
	ds_load_b64 v[40:41], v57 offset:14976
	ds_load_b64 v[94:95], v58 offset:16104
	s_wait_dscnt 0x0
	v_dual_mul_f32 v2, v95, v41 :: v_dual_mul_f32 v41, v94, v41
	s_delay_alu instid0(VALU_DEP_1) | instskip(NEXT) | instid1(VALU_DEP_1)
	v_dual_fma_f32 v2, v94, v40, -v2 :: v_dual_fmac_f32 v41, v95, v40
	v_dual_add_f32 v38, v38, v2 :: v_dual_add_f32 v39, v39, v41
	s_or_b32 exec_lo, exec_lo, s49
	s_and_saveexec_b32 s49, s2
	s_cbranch_execz .LBB54_648
.LBB54_1157:                            ;   in Loop: Header=BB54_3 Depth=1
	ds_load_b64 v[40:41], v57 offset:15488
	ds_load_b64 v[94:95], v58 offset:16112
	s_wait_dscnt 0x0
	v_dual_mul_f32 v2, v95, v41 :: v_dual_mul_f32 v41, v94, v41
	s_delay_alu instid0(VALU_DEP_1) | instskip(NEXT) | instid1(VALU_DEP_1)
	v_dual_fma_f32 v2, v94, v40, -v2 :: v_dual_fmac_f32 v41, v95, v40
	v_dual_add_f32 v38, v38, v2 :: v_dual_add_f32 v39, v39, v41
	s_or_b32 exec_lo, exec_lo, s49
	s_and_saveexec_b32 s49, s17
	s_cbranch_execnz .LBB54_649
	s_branch .LBB54_650
.LBB54_1158:                            ;   in Loop: Header=BB54_3 Depth=1
	ds_load_b64 v[40:41], v51 offset:10880
	ds_load_b64 v[94:95], v52 offset:11944
	s_wait_dscnt 0x0
	v_dual_mul_f32 v2, v95, v41 :: v_dual_mul_f32 v41, v94, v41
	s_delay_alu instid0(VALU_DEP_1) | instskip(NEXT) | instid1(VALU_DEP_1)
	v_dual_fma_f32 v2, v94, v40, -v2 :: v_dual_fmac_f32 v41, v95, v40
	v_dual_add_f32 v38, v38, v2 :: v_dual_add_f32 v39, v39, v41
	s_or_b32 exec_lo, exec_lo, s49
	s_and_saveexec_b32 s49, s17
	s_cbranch_execz .LBB54_706
.LBB54_1159:                            ;   in Loop: Header=BB54_3 Depth=1
	ds_load_b64 v[40:41], v51 offset:11392
	ds_load_b64 v[94:95], v52 offset:11952
	s_wait_dscnt 0x0
	v_dual_mul_f32 v2, v95, v41 :: v_dual_mul_f32 v41, v94, v41
	s_delay_alu instid0(VALU_DEP_1) | instskip(NEXT) | instid1(VALU_DEP_1)
	v_dual_fma_f32 v2, v94, v40, -v2 :: v_dual_fmac_f32 v41, v95, v40
	v_dual_add_f32 v38, v38, v2 :: v_dual_add_f32 v39, v39, v41
	s_or_b32 exec_lo, exec_lo, s49
	s_and_saveexec_b32 s49, s0
	s_cbranch_execnz .LBB54_707
	s_branch .LBB54_708
.LBB54_1160:                            ;   in Loop: Header=BB54_3 Depth=1
	ds_load_b64 v[40:41], v61 offset:13824
	ds_load_b64 v[94:95], v62 offset:16088
	s_wait_dscnt 0x0
	v_dual_mul_f32 v2, v95, v41 :: v_dual_mul_f32 v41, v94, v41
	s_delay_alu instid0(VALU_DEP_1) | instskip(NEXT) | instid1(VALU_DEP_1)
	v_dual_fma_f32 v2, v94, v40, -v2 :: v_dual_fmac_f32 v41, v95, v40
	v_dual_add_f32 v38, v38, v2 :: v_dual_add_f32 v39, v39, v41
	s_or_b32 exec_lo, exec_lo, s49
	s_and_saveexec_b32 s49, s3
	s_cbranch_execz .LBB54_768
.LBB54_1161:                            ;   in Loop: Header=BB54_3 Depth=1
	ds_load_b64 v[40:41], v61 offset:14336
	ds_load_b64 v[94:95], v62 offset:16096
	s_wait_dscnt 0x0
	v_dual_mul_f32 v2, v95, v41 :: v_dual_mul_f32 v41, v94, v41
	s_delay_alu instid0(VALU_DEP_1) | instskip(NEXT) | instid1(VALU_DEP_1)
	v_dual_fma_f32 v2, v94, v40, -v2 :: v_dual_fmac_f32 v41, v95, v40
	v_dual_add_f32 v38, v38, v2 :: v_dual_add_f32 v39, v39, v41
	s_or_b32 exec_lo, exec_lo, s49
	s_and_saveexec_b32 s49, s19
	s_cbranch_execz .LBB54_769
.LBB54_1162:                            ;   in Loop: Header=BB54_3 Depth=1
	ds_load_b64 v[40:41], v61 offset:14848
	ds_load_b64 v[94:95], v62 offset:16104
	s_wait_dscnt 0x0
	v_dual_mul_f32 v2, v95, v41 :: v_dual_mul_f32 v41, v94, v41
	s_delay_alu instid0(VALU_DEP_1) | instskip(NEXT) | instid1(VALU_DEP_1)
	v_dual_fma_f32 v2, v94, v40, -v2 :: v_dual_fmac_f32 v41, v95, v40
	v_dual_add_f32 v38, v38, v2 :: v_dual_add_f32 v39, v39, v41
	s_or_b32 exec_lo, exec_lo, s49
	s_and_saveexec_b32 s49, s21
	s_cbranch_execz .LBB54_770
.LBB54_1163:                            ;   in Loop: Header=BB54_3 Depth=1
	ds_load_b64 v[40:41], v61 offset:15360
	ds_load_b64 v[94:95], v62 offset:16112
	s_wait_dscnt 0x0
	v_dual_mul_f32 v2, v95, v41 :: v_dual_mul_f32 v41, v94, v41
	s_delay_alu instid0(VALU_DEP_1) | instskip(NEXT) | instid1(VALU_DEP_1)
	v_dual_fma_f32 v2, v94, v40, -v2 :: v_dual_fmac_f32 v41, v95, v40
	v_dual_add_f32 v38, v38, v2 :: v_dual_add_f32 v39, v39, v41
	s_or_b32 exec_lo, exec_lo, s49
	s_and_saveexec_b32 s49, s2
	s_cbranch_execnz .LBB54_771
	s_branch .LBB54_772
.LBB54_1164:                            ;   in Loop: Header=BB54_3 Depth=1
	ds_load_b64 v[40:41], v51 offset:6720
	ds_load_b64 v[94:95], v52 offset:7784
	s_wait_dscnt 0x0
	v_dual_mul_f32 v2, v95, v41 :: v_dual_mul_f32 v41, v94, v41
	s_delay_alu instid0(VALU_DEP_1) | instskip(NEXT) | instid1(VALU_DEP_1)
	v_dual_fma_f32 v2, v94, v40, -v2 :: v_dual_fmac_f32 v41, v95, v40
	v_dual_add_f32 v38, v38, v2 :: v_dual_add_f32 v39, v39, v41
	s_or_b32 exec_lo, exec_lo, s49
	s_and_saveexec_b32 s49, s17
	s_cbranch_execz .LBB54_860
.LBB54_1165:                            ;   in Loop: Header=BB54_3 Depth=1
	ds_load_b64 v[40:41], v51 offset:7232
	ds_load_b64 v[94:95], v52 offset:7792
	s_wait_dscnt 0x0
	v_dual_mul_f32 v2, v95, v41 :: v_dual_mul_f32 v41, v94, v41
	s_delay_alu instid0(VALU_DEP_1) | instskip(NEXT) | instid1(VALU_DEP_1)
	v_dual_fma_f32 v2, v94, v40, -v2 :: v_dual_fmac_f32 v41, v95, v40
	v_dual_add_f32 v38, v38, v2 :: v_dual_add_f32 v39, v39, v41
	s_or_b32 exec_lo, exec_lo, s49
	s_and_saveexec_b32 s49, s0
	s_cbranch_execnz .LBB54_861
	s_branch .LBB54_862
.LBB54_1166:                            ;   in Loop: Header=BB54_3 Depth=1
	ds_load_b64 v[40:41], v57 offset:4608
	ds_load_b64 v[94:95], v58 offset:7752
	s_wait_dscnt 0x0
	v_dual_mul_f32 v2, v95, v41 :: v_dual_mul_f32 v41, v94, v41
	s_delay_alu instid0(VALU_DEP_1) | instskip(NEXT) | instid1(VALU_DEP_1)
	v_dual_fma_f32 v2, v94, v40, -v2 :: v_dual_fmac_f32 v41, v95, v40
	v_dual_add_f32 v38, v38, v2 :: v_dual_add_f32 v39, v39, v41
	s_or_b32 exec_lo, exec_lo, s49
	s_and_saveexec_b32 s49, s19
	s_cbranch_execz .LBB54_902
.LBB54_1167:                            ;   in Loop: Header=BB54_3 Depth=1
	ds_load_b64 v[40:41], v57 offset:5120
	ds_load_b64 v[94:95], v58 offset:7760
	s_wait_dscnt 0x0
	v_dual_mul_f32 v2, v95, v41 :: v_dual_mul_f32 v41, v94, v41
	s_delay_alu instid0(VALU_DEP_1) | instskip(NEXT) | instid1(VALU_DEP_1)
	v_dual_fma_f32 v2, v94, v40, -v2 :: v_dual_fmac_f32 v41, v95, v40
	v_dual_add_f32 v38, v38, v2 :: v_dual_add_f32 v39, v39, v41
	s_or_b32 exec_lo, exec_lo, s49
	s_and_saveexec_b32 s49, s20
	s_cbranch_execz .LBB54_903
.LBB54_1168:                            ;   in Loop: Header=BB54_3 Depth=1
	ds_load_b64 v[40:41], v57 offset:5632
	ds_load_b64 v[94:95], v58 offset:7768
	s_wait_dscnt 0x0
	v_dual_mul_f32 v2, v95, v41 :: v_dual_mul_f32 v41, v94, v41
	s_delay_alu instid0(VALU_DEP_1) | instskip(NEXT) | instid1(VALU_DEP_1)
	v_dual_fma_f32 v2, v94, v40, -v2 :: v_dual_fmac_f32 v41, v95, v40
	v_dual_add_f32 v38, v38, v2 :: v_dual_add_f32 v39, v39, v41
	s_or_b32 exec_lo, exec_lo, s49
	s_and_saveexec_b32 s49, s21
	s_cbranch_execz .LBB54_904
.LBB54_1169:                            ;   in Loop: Header=BB54_3 Depth=1
	ds_load_b64 v[40:41], v57 offset:6144
	ds_load_b64 v[94:95], v58 offset:7776
	s_wait_dscnt 0x0
	v_dual_mul_f32 v2, v95, v41 :: v_dual_mul_f32 v41, v94, v41
	s_delay_alu instid0(VALU_DEP_1) | instskip(NEXT) | instid1(VALU_DEP_1)
	v_dual_fma_f32 v2, v94, v40, -v2 :: v_dual_fmac_f32 v41, v95, v40
	v_dual_add_f32 v38, v38, v2 :: v_dual_add_f32 v39, v39, v41
	s_or_b32 exec_lo, exec_lo, s49
	s_and_saveexec_b32 s49, s22
	s_cbranch_execz .LBB54_905
.LBB54_1170:                            ;   in Loop: Header=BB54_3 Depth=1
	ds_load_b64 v[40:41], v57 offset:6656
	ds_load_b64 v[94:95], v58 offset:7784
	s_wait_dscnt 0x0
	v_dual_mul_f32 v2, v95, v41 :: v_dual_mul_f32 v41, v94, v41
	s_delay_alu instid0(VALU_DEP_1) | instskip(NEXT) | instid1(VALU_DEP_1)
	v_dual_fma_f32 v2, v94, v40, -v2 :: v_dual_fmac_f32 v41, v95, v40
	v_dual_add_f32 v38, v38, v2 :: v_dual_add_f32 v39, v39, v41
	s_or_b32 exec_lo, exec_lo, s49
	s_and_saveexec_b32 s49, s2
	s_cbranch_execz .LBB54_906
.LBB54_1171:                            ;   in Loop: Header=BB54_3 Depth=1
	ds_load_b64 v[40:41], v57 offset:7168
	ds_load_b64 v[94:95], v58 offset:7792
	s_wait_dscnt 0x0
	v_dual_mul_f32 v2, v95, v41 :: v_dual_mul_f32 v41, v94, v41
	s_delay_alu instid0(VALU_DEP_1) | instskip(NEXT) | instid1(VALU_DEP_1)
	v_dual_fma_f32 v2, v94, v40, -v2 :: v_dual_fmac_f32 v41, v95, v40
	v_dual_add_f32 v38, v38, v2 :: v_dual_add_f32 v39, v39, v41
	s_or_b32 exec_lo, exec_lo, s49
	s_and_saveexec_b32 s49, s17
	s_cbranch_execnz .LBB54_907
	s_branch .LBB54_908
.LBB54_1172:                            ;   in Loop: Header=BB54_3 Depth=1
	ds_load_b64 v[40:41], v51 offset:2560
	ds_load_b64 v[94:95], v52 offset:3624
	s_wait_dscnt 0x0
	v_dual_mul_f32 v2, v95, v41 :: v_dual_mul_f32 v41, v94, v41
	s_delay_alu instid0(VALU_DEP_1) | instskip(NEXT) | instid1(VALU_DEP_1)
	v_dual_fma_f32 v2, v94, v40, -v2 :: v_dual_fmac_f32 v41, v95, v40
	v_dual_add_f32 v38, v38, v2 :: v_dual_add_f32 v39, v39, v41
	s_or_b32 exec_lo, exec_lo, s49
	s_and_saveexec_b32 s49, s17
	s_cbranch_execz .LBB54_964
.LBB54_1173:                            ;   in Loop: Header=BB54_3 Depth=1
	ds_load_b64 v[40:41], v51 offset:3072
	ds_load_b64 v[94:95], v52 offset:3632
	s_wait_dscnt 0x0
	v_dual_mul_f32 v2, v95, v41 :: v_dual_mul_f32 v41, v94, v41
	s_delay_alu instid0(VALU_DEP_1) | instskip(NEXT) | instid1(VALU_DEP_1)
	v_dual_fma_f32 v2, v94, v40, -v2 :: v_dual_fmac_f32 v41, v95, v40
	v_dual_add_f32 v38, v38, v2 :: v_dual_add_f32 v39, v39, v41
	s_or_b32 exec_lo, exec_lo, s49
	s_and_saveexec_b32 s49, s0
	s_cbranch_execnz .LBB54_965
	s_branch .LBB54_966
.LBB54_1174:
	s_endpgm
	.section	.rodata,"a",@progbits
	.p2align	6, 0x0
	.amdhsa_kernel _ZL19rocblas_trsv_deviceILi64ELi16ELb0ELb1ELb1ELb0E19rocblas_complex_numIfEPKS1_S3_PS1_EviT7_lllT6_T8_lllPii
		.amdhsa_group_segment_fixed_size 41480
		.amdhsa_private_segment_fixed_size 0
		.amdhsa_kernarg_size 352
		.amdhsa_user_sgpr_count 2
		.amdhsa_user_sgpr_dispatch_ptr 0
		.amdhsa_user_sgpr_queue_ptr 0
		.amdhsa_user_sgpr_kernarg_segment_ptr 1
		.amdhsa_user_sgpr_dispatch_id 0
		.amdhsa_user_sgpr_kernarg_preload_length 0
		.amdhsa_user_sgpr_kernarg_preload_offset 0
		.amdhsa_user_sgpr_private_segment_size 0
		.amdhsa_wavefront_size32 1
		.amdhsa_uses_dynamic_stack 0
		.amdhsa_enable_private_segment 0
		.amdhsa_system_sgpr_workgroup_id_x 1
		.amdhsa_system_sgpr_workgroup_id_y 0
		.amdhsa_system_sgpr_workgroup_id_z 1
		.amdhsa_system_sgpr_workgroup_info 0
		.amdhsa_system_vgpr_workitem_id 1
		.amdhsa_next_free_vgpr 108
		.amdhsa_next_free_sgpr 105
		.amdhsa_named_barrier_count 0
		.amdhsa_reserve_vcc 1
		.amdhsa_float_round_mode_32 0
		.amdhsa_float_round_mode_16_64 0
		.amdhsa_float_denorm_mode_32 3
		.amdhsa_float_denorm_mode_16_64 3
		.amdhsa_fp16_overflow 0
		.amdhsa_memory_ordered 1
		.amdhsa_forward_progress 1
		.amdhsa_inst_pref_size 255
		.amdhsa_round_robin_scheduling 0
		.amdhsa_exception_fp_ieee_invalid_op 0
		.amdhsa_exception_fp_denorm_src 0
		.amdhsa_exception_fp_ieee_div_zero 0
		.amdhsa_exception_fp_ieee_overflow 0
		.amdhsa_exception_fp_ieee_underflow 0
		.amdhsa_exception_fp_ieee_inexact 0
		.amdhsa_exception_int_div_zero 0
	.end_amdhsa_kernel
	.section	.text._ZL19rocblas_trsv_deviceILi64ELi16ELb0ELb1ELb1ELb0E19rocblas_complex_numIfEPKS1_S3_PS1_EviT7_lllT6_T8_lllPii,"axG",@progbits,_ZL19rocblas_trsv_deviceILi64ELi16ELb0ELb1ELb1ELb0E19rocblas_complex_numIfEPKS1_S3_PS1_EviT7_lllT6_T8_lllPii,comdat
.Lfunc_end54:
	.size	_ZL19rocblas_trsv_deviceILi64ELi16ELb0ELb1ELb1ELb0E19rocblas_complex_numIfEPKS1_S3_PS1_EviT7_lllT6_T8_lllPii, .Lfunc_end54-_ZL19rocblas_trsv_deviceILi64ELi16ELb0ELb1ELb1ELb0E19rocblas_complex_numIfEPKS1_S3_PS1_EviT7_lllT6_T8_lllPii
                                        ; -- End function
	.set _ZL19rocblas_trsv_deviceILi64ELi16ELb0ELb1ELb1ELb0E19rocblas_complex_numIfEPKS1_S3_PS1_EviT7_lllT6_T8_lllPii.num_vgpr, 108
	.set _ZL19rocblas_trsv_deviceILi64ELi16ELb0ELb1ELb1ELb0E19rocblas_complex_numIfEPKS1_S3_PS1_EviT7_lllT6_T8_lllPii.num_agpr, 0
	.set _ZL19rocblas_trsv_deviceILi64ELi16ELb0ELb1ELb1ELb0E19rocblas_complex_numIfEPKS1_S3_PS1_EviT7_lllT6_T8_lllPii.numbered_sgpr, 105
	.set _ZL19rocblas_trsv_deviceILi64ELi16ELb0ELb1ELb1ELb0E19rocblas_complex_numIfEPKS1_S3_PS1_EviT7_lllT6_T8_lllPii.num_named_barrier, 0
	.set _ZL19rocblas_trsv_deviceILi64ELi16ELb0ELb1ELb1ELb0E19rocblas_complex_numIfEPKS1_S3_PS1_EviT7_lllT6_T8_lllPii.private_seg_size, 0
	.set _ZL19rocblas_trsv_deviceILi64ELi16ELb0ELb1ELb1ELb0E19rocblas_complex_numIfEPKS1_S3_PS1_EviT7_lllT6_T8_lllPii.uses_vcc, 1
	.set _ZL19rocblas_trsv_deviceILi64ELi16ELb0ELb1ELb1ELb0E19rocblas_complex_numIfEPKS1_S3_PS1_EviT7_lllT6_T8_lllPii.uses_flat_scratch, 0
	.set _ZL19rocblas_trsv_deviceILi64ELi16ELb0ELb1ELb1ELb0E19rocblas_complex_numIfEPKS1_S3_PS1_EviT7_lllT6_T8_lllPii.has_dyn_sized_stack, 0
	.set _ZL19rocblas_trsv_deviceILi64ELi16ELb0ELb1ELb1ELb0E19rocblas_complex_numIfEPKS1_S3_PS1_EviT7_lllT6_T8_lllPii.has_recursion, 0
	.set _ZL19rocblas_trsv_deviceILi64ELi16ELb0ELb1ELb1ELb0E19rocblas_complex_numIfEPKS1_S3_PS1_EviT7_lllT6_T8_lllPii.has_indirect_call, 0
	.section	.AMDGPU.csdata,"",@progbits
; Kernel info:
; codeLenInByte = 54356
; TotalNumSgprs: 107
; NumVgprs: 108
; ScratchSize: 0
; MemoryBound: 0
; FloatMode: 240
; IeeeMode: 1
; LDSByteSize: 41480 bytes/workgroup (compile time only)
; SGPRBlocks: 0
; VGPRBlocks: 6
; NumSGPRsForWavesPerEU: 107
; NumVGPRsForWavesPerEU: 108
; NamedBarCnt: 0
; Occupancy: 9
; WaveLimiterHint : 0
; COMPUTE_PGM_RSRC2:SCRATCH_EN: 0
; COMPUTE_PGM_RSRC2:USER_SGPR: 2
; COMPUTE_PGM_RSRC2:TRAP_HANDLER: 0
; COMPUTE_PGM_RSRC2:TGID_X_EN: 1
; COMPUTE_PGM_RSRC2:TGID_Y_EN: 0
; COMPUTE_PGM_RSRC2:TGID_Z_EN: 1
; COMPUTE_PGM_RSRC2:TIDIG_COMP_CNT: 1
	.section	.text._ZL19rocblas_trsv_deviceILi64ELi16ELb1ELb0ELb0ELb1E19rocblas_complex_numIfEPKS1_S3_PS1_EviT7_lllT6_T8_lllPii,"axG",@progbits,_ZL19rocblas_trsv_deviceILi64ELi16ELb1ELb0ELb0ELb1E19rocblas_complex_numIfEPKS1_S3_PS1_EviT7_lllT6_T8_lllPii,comdat
	.globl	_ZL19rocblas_trsv_deviceILi64ELi16ELb1ELb0ELb0ELb1E19rocblas_complex_numIfEPKS1_S3_PS1_EviT7_lllT6_T8_lllPii ; -- Begin function _ZL19rocblas_trsv_deviceILi64ELi16ELb1ELb0ELb0ELb1E19rocblas_complex_numIfEPKS1_S3_PS1_EviT7_lllT6_T8_lllPii
	.p2align	8
	.type	_ZL19rocblas_trsv_deviceILi64ELi16ELb1ELb0ELb0ELb1E19rocblas_complex_numIfEPKS1_S3_PS1_EviT7_lllT6_T8_lllPii,@function
_ZL19rocblas_trsv_deviceILi64ELi16ELb1ELb0ELb0ELb1E19rocblas_complex_numIfEPKS1_S3_PS1_EviT7_lllT6_T8_lllPii: ; @_ZL19rocblas_trsv_deviceILi64ELi16ELb1ELb0ELb0ELb1E19rocblas_complex_numIfEPKS1_S3_PS1_EviT7_lllT6_T8_lllPii
; %bb.0:
	s_load_b32 s98, s[0:1], 0x58
	s_bfe_u32 s2, ttmp6, 0x40014
	s_lshr_b32 s3, ttmp7, 16
	s_add_co_i32 s2, s2, 1
	s_bfe_u32 s5, ttmp6, 0x40008
	s_mul_i32 s4, s3, s2
	s_getreg_b32 s2, hwreg(HW_REG_IB_STS2, 6, 4)
	s_add_co_i32 s5, s5, s4
	s_cmp_eq_u32 s2, 0
	s_mov_b32 s85, 0
	s_cselect_b32 s84, s3, s5
	s_wait_kmcnt 0x0
	s_cmp_ge_u32 s84, s98
	s_cbranch_scc1 .LBB55_1050
; %bb.1:
	s_clause 0x2
	s_load_b512 s[64:79], s[0:1], 0x8
	s_load_b32 s3, s[0:1], 0x6c
	s_load_b32 s99, s[0:1], 0x0
	s_bfe_u32 s4, ttmp6, 0x4000c
	s_and_b32 s5, ttmp6, 15
	s_add_co_i32 s4, s4, 1
	v_bfe_u32 v2, v0, 10, 10
	s_mul_i32 s4, ttmp9, s4
                                        ; implicit-def: $vgpr92 : SGPR spill to VGPR lane
	v_and_b32_e32 v4, 0x3ff, v0
	s_add_co_i32 s8, s5, s4
	s_delay_alu instid0(VALU_DEP_2) | instskip(SKIP_3) | instid1(VALU_DEP_3)
	v_dual_mov_b32 v1, 0 :: v_dual_lshlrev_b32 v13, 6, v2
	v_lshl_add_u32 v73, v2, 3, 0xa000
	v_dual_add_nc_u32 v40, 32, v2 :: v_dual_add_nc_u32 v44, 48, v2
                                        ; implicit-def: $vgpr91 : SGPR spill to VGPR lane
	s_load_b128 s[80:83], s[0:1], 0x48
	v_dual_add_nc_u32 v46, v13, v4 :: v_dual_bitop2_b32 v12, v13, v4 bitop3:0x40
	v_lshlrev_b32_e32 v51, 3, v4
	s_delay_alu instid0(VALU_DEP_3)
	v_cmp_le_u32_e64 s16, v4, v40
	s_wait_kmcnt 0x0
	s_lshl_b64 s[4:5], s[66:67], 3
	s_lshl_b64 s[6:7], s[76:77], 3
	s_cmp_eq_u32 s2, 0
	s_add_nc_u64 s[4:5], s[64:65], s[4:5]
	s_cselect_b32 s100, ttmp9, s8
	s_add_co_i32 s2, s99, -1
	s_and_b32 s8, s3, 0xffff
	s_ashr_i32 s3, s99, 31
	s_ashr_i32 s9, s2, 31
	s_lshr_b32 s3, s3, 26
	s_lshr_b32 s9, s9, 26
	s_add_co_i32 s3, s99, s3
	s_add_co_i32 s2, s2, s9
	s_and_not1_b32 s3, s3, 63
	s_ashr_i32 s2, s2, 6
	s_sub_co_i32 s12, s99, s3
	v_writelane_b32 v92, s4, 0
	s_cmp_eq_u32 s2, s100
	s_add_nc_u64 s[6:7], s[74:75], s[6:7]
	s_cselect_b32 s9, -1, 0
	s_cmp_lg_u32 s12, 0
	v_writelane_b32 v92, s5, 1
	s_cselect_b32 s4, -1, 0
	s_lshl_b32 s10, s100, 6
	s_delay_alu instid0(SALU_CYCLE_1) | instskip(SKIP_3) | instid1(VALU_DEP_3)
	v_dual_add_nc_u32 v8, s10, v4 :: v_dual_bitop2_b32 v3, v13, v4 bitop3:0x14
	v_mov_b32_e32 v7, v1
	s_and_b32 s13, s4, s9
	v_writelane_b32 v92, s6, 2
	v_lshrrev_b16 v14, 1, v3
	v_add_nc_u32_e32 v3, s10, v2
	v_sub_co_u32 v5, s5, s100, 1
	s_xor_b32 s5, s5, -1
	v_add_nc_u16 v15, v12, v14
	v_subrev_nc_u32_e32 v16, 64, v3
	v_dual_lshrrev_b32 v14, 10, v0 :: v_dual_bitop2_b32 v12, 1, v0 bitop3:0x40
	s_ashr_i32 s11, s10, 31
	s_delay_alu instid0(VALU_DEP_3) | instskip(NEXT) | instid1(VALU_DEP_3)
	v_and_b32_e32 v13, 0xffff, v15
	v_ashrrev_i32_e32 v17, 31, v16
	s_xor_b32 s102, s13, -1
	v_lshlrev_b32_e32 v15, 3, v12
	v_cmp_eq_u32_e64 s4, 1, v12
	v_lshrrev_b32_e32 v12, 2, v46
	v_bitop3_b32 v47, v0, v14, 0x3ff bitop3:0xa8
	v_lshl_add_u32 v48, v13, 3, 0x8000
	v_mul_u32_u24_e32 v50, 0x208, v13
	s_add_nc_u64 s[2:3], s[68:69], 1
	v_lshlrev_b32_e32 v14, 3, v12
	v_lshl_or_b32 v49, v13, 9, v15
	v_mul_u32_u24_e32 v53, 0x208, v12
	v_and_b32_e32 v13, 3, v0
	s_cmp_gt_i32 s100, 4
	v_writelane_b32 v92, s7, 3
	s_mul_u64 s[14:15], s[2:3], s[10:11]
	s_cselect_b32 s3, -1, 0
	v_dual_ashrrev_i32 v9, 31, v8 :: v_dual_lshlrev_b32 v52, 3, v13
	s_and_b32 s103, s3, s102
	v_cmp_gt_u32_e64 s3, 4, v46
	v_writelane_b32 v92, s5, 4
	s_xor_b32 s5, s4, -1
	v_lshl_or_b32 v55, v12, 9, v52
	v_sub_nc_u32_e32 v12, v53, v14
	s_and_b32 s104, s5, s3
	s_and_b32 vcc_hi, s4, s3
	v_cmp_gt_u32_e64 s4, 16, v46
	v_cmp_eq_u32_e64 s5, 0, v13
	v_cmp_ne_u32_e64 s6, 0, v13
	v_mad_u32_u24 v6, v2, s8, v4
	v_add_nc_u32_e32 v54, 0x8000, v14
	v_cmp_eq_u32_e64 s7, 1, v13
	v_cmp_lt_u32_e64 s8, 1, v13
	s_and_b32 s45, s5, s4
	s_and_b32 s46, s6, s4
	v_cmp_eq_u32_e64 s5, 2, v13
	v_cmp_eq_u32_e64 s6, 3, v13
	v_and_b32_e32 v14, 0x1fff8, v46
	v_and_b32_e32 v13, 7, v0
	v_dual_add_nc_u32 v56, v12, v52 :: v_dual_lshrrev_b32 v12, 3, v46
	s_and_b32 s47, s7, s4
	s_and_b32 s49, s5, s4
	;; [unrolled: 1-line block ×3, first 2 shown]
	v_cmp_gt_u32_e64 s5, 64, v46
	v_mul_u32_u24_e32 v57, 0x208, v12
	s_and_b32 s48, s8, s4
	v_cmp_gt_i32_e32 vcc_lo, s12, v4
	v_cmp_gt_i32_e64 s2, s99, v8
	v_dual_mov_b32 v32, 0 :: v_dual_add_nc_u32 v59, 0x8000, v14
	v_sub_nc_u32_e32 v15, v57, v14
	v_cmp_eq_u32_e64 s6, 0, v13
	v_cmp_ne_u32_e64 s7, 0, v13
	v_lshlrev_b32_e32 v58, 3, v13
	v_cmp_eq_u32_e64 s8, 2, v13
	v_cmp_lt_u32_e64 s9, 2, v13
	s_and_b32 s51, s6, s5
	v_cmp_eq_u32_e64 s6, 1, v13
	s_and_b32 s52, s7, s5
	v_cmp_lt_u32_e64 s7, 1, v13
	v_add_nc_u32_e32 v61, v15, v58
	s_and_b32 s55, s8, s5
	s_and_b32 s53, s6, s5
	v_cmp_eq_u32_e64 s6, 3, v13
	s_and_b32 s54, s7, s5
	v_cmp_lt_u32_e64 s7, 3, v13
	s_and_b32 s56, s9, s5
	v_cmp_lt_u32_e64 s8, 4, v13
	s_and_b32 s57, s6, s5
	v_cmp_eq_u32_e64 s6, 4, v13
	s_and_b32 s58, s7, s5
	v_cmp_lt_u32_e64 s7, 5, v13
	v_cmp_eq_u32_e64 s9, 5, v13
	s_and_b32 s60, s8, s5
	s_and_b32 s59, s6, s5
	v_cmp_eq_u32_e64 s6, 6, v13
	s_and_b32 s62, s7, s5
	v_cmp_eq_u32_e64 s7, 7, v13
	v_and_b32_e32 v13, 15, v0
	s_and_b32 s61, s9, s5
	s_and_b32 s63, s6, s5
	v_cmp_gt_u32_e64 s6, 0x100, v46
	s_and_b32 s64, s7, s5
	v_cmp_eq_u32_e64 s7, 0, v13
	v_cmp_ne_u32_e64 s8, 0, v13
	v_cmp_eq_u32_e64 s9, 1, v13
	v_lshl_or_b32 v60, v12, 9, v58
	v_dual_lshrrev_b32 v12, 4, v46 :: v_dual_lshlrev_b32 v63, 3, v13
	s_and_b32 s7, s7, s6
	s_and_b32 s8, s8, s6
	v_writelane_b32 v92, s7, 5
	s_and_b32 s9, s9, s6
	v_cmp_lt_u32_e64 s7, 1, v13
	v_lshlrev_b32_e32 v14, 3, v12
	v_mul_u32_u24_e32 v62, 0x208, v12
	v_writelane_b32 v92, s8, 6
	v_cmp_eq_u32_e64 s8, 2, v13
	s_and_b32 s7, s7, s6
	v_add_nc_u64_e32 v[18:19], s[10:11], v[6:7]
	v_subrev_nc_u32_e32 v7, 48, v3
	v_writelane_b32 v92, s9, 7
	v_cmp_lt_u32_e64 s9, 2, v13
	s_and_b32 s8, s8, s6
	v_mul_u64_e32 v[10:11], s[68:69], v[16:17]
	v_dual_sub_nc_u32 v15, v62, v14 :: v_dual_bitop2_b32 v67, 31, v0 bitop3:0x40
	s_and_b32 s25, s9, s6
	v_cmp_eq_u32_e64 s9, 4, v13
	v_writelane_b32 v92, s7, 8
	v_cmp_eq_u32_e64 s7, 3, v13
	v_dual_add_nc_u32 v78, v73, v51 :: v_dual_add_nc_u32 v42, 16, v2
	s_and_b32 s31, s9, s6
	v_cmp_lt_u32_e64 s9, 5, v13
	v_writelane_b32 v92, s8, 9
	v_cmp_lt_u32_e64 s8, 3, v13
	s_and_b32 s27, s7, s6
	v_cmp_lt_u32_e64 s7, 4, v13
	s_and_b32 s38, s9, s6
	v_cmp_eq_u32_e64 s9, 7, v13
	s_and_b32 s29, s8, s6
	v_cmp_eq_u32_e64 s8, 5, v13
	;; [unrolled: 2-line block ×3, first 2 shown]
	s_and_b32 s41, s9, s6
	v_cmp_lt_u32_e64 s9, 8, v13
	s_and_b32 s37, s8, s6
	v_cmp_lt_u32_e64 s8, 6, v13
	s_and_b32 s39, s7, s6
	v_cmp_lt_u32_e64 s7, 7, v13
	s_and_b32 s44, s9, s6
	v_cmp_eq_u32_e64 s9, 10, v13
	s_and_b32 s40, s8, s6
	v_cmp_eq_u32_e64 s8, 8, v13
	;; [unrolled: 2-line block ×3, first 2 shown]
	s_and_b32 s26, s9, s6
	v_cmp_lt_u32_e64 s9, 11, v13
	s_and_b32 s43, s8, s6
	v_cmp_lt_u32_e64 s8, 9, v13
	;; [unrolled: 2-line block ×3, first 2 shown]
	s_and_b32 s76, s9, s6
	v_cmp_eq_u32_e64 s9, 13, v13
	s_and_b32 s24, s8, s6
	v_cmp_eq_u32_e64 s8, 11, v13
	;; [unrolled: 2-line block ×4, first 2 shown]
	s_and_b32 s30, s8, s6
	v_cmp_lt_u32_e64 s8, 12, v13
	s_and_b32 s77, s7, s6
	v_cmp_lt_u32_e64 s7, 13, v13
	s_and_b32 s66, s9, s6
	v_cmp_le_i32_e64 s9, s12, v4
	s_and_b32 s74, s8, s6
	v_cmp_eq_u32_e64 s8, 14, v13
	s_and_b32 s101, s7, s6
	v_cmp_eq_u32_e64 s7, 0, v2
	s_and_b32 s67, s9, s13
	v_dual_add_nc_u32 v0, s10, v6 :: v_dual_bitop2_b32 v81, v42, v4 bitop3:0x54
	s_and_b32 s65, s8, s6
	s_xor_b32 s8, s67, -1
	v_subrev_nc_u32_e32 v17, 32, v3
	s_and_b32 s21, s7, s8
	s_cmp_gt_i32 s100, 0
	v_cmp_gt_i32_e64 s8, s99, v16
	s_cselect_b32 s23, -1, 0
	s_and_b32 s13, s7, vcc_lo
	v_cmp_gt_i32_e64 s10, s99, v7
	v_writelane_b32 v92, s13, 10
	s_and_b32 s8, s2, s8
	v_cmp_gt_i32_e64 s11, s99, v17
	v_cmp_le_u32_e64 s13, v4, v2
	v_cmp_le_i32_e32 vcc_lo, s12, v2
	v_writelane_b32 v92, s8, 11
	s_and_b32 s8, s2, s10
	v_cmp_le_i32_e64 s10, s12, v42
	v_cmp_le_u32_e64 s17, v4, v44
	v_lshl_or_b32 v65, v12, 9, v63
	v_writelane_b32 v92, s8, 12
	s_and_b32 s8, s2, s11
	v_cmp_le_i32_e64 s11, s12, v40
	v_cmp_le_i32_e64 s12, s12, v44
	s_or_b32 s10, s10, s9
	v_writelane_b32 v92, s8, 13
	s_or_b32 s8, vcc_lo, s9
	s_or_b32 s11, s11, s9
	s_or_b32 s8, s8, s13
	;; [unrolled: 1-line block ×3, first 2 shown]
	v_writelane_b32 v92, s13, 14
	v_cmp_le_u32_e64 s12, v4, v42
	v_add_nc_u32_e32 v66, v15, v63
	v_dual_mov_b32 v43, v1 :: v_dual_add_nc_u32 v64, 0x8000, v14
	v_writelane_b32 v92, s8, 15
	s_or_b32 s8, s10, s12
	v_dual_lshrrev_b32 v12, 5, v46 :: v_dual_lshlrev_b32 v70, 3, v67
	v_mul_u64_e32 v[14:15], s[78:79], v[0:1]
	v_writelane_b32 v92, s12, 16
	v_add_max_i32_e64 v0, v3, -16, v8
	s_delay_alu instid0(VALU_DEP_4) | instskip(SKIP_3) | instid1(VALU_DEP_3)
	v_dual_lshlrev_b32 v68, 3, v12 :: v_dual_lshlrev_b32 v69, 9, v12
	v_mbcnt_lo_u32_b32 v7, -1, 0
	v_writelane_b32 v92, s8, 17
	s_or_b32 s8, s11, s16
	v_add_nc_u32_e32 v71, 0x8000, v68
	s_delay_alu instid0(VALU_DEP_3) | instskip(SKIP_3) | instid1(VALU_DEP_4)
	v_dual_lshlrev_b32 v33, 20, v7 :: v_dual_bitop2_b32 v72, v69, v70 bitop3:0x54
	v_writelane_b32 v92, s16, 18
	v_dual_mov_b32 v41, v1 :: v_dual_add_nc_u32 v76, 0x8000, v51
	v_mul_u64_e32 v[20:21], s[68:69], v[42:43]
	v_add_nc_u64_e32 v[22:23], src_flat_scratch_base_lo, v[32:33]
	v_writelane_b32 v92, s8, 19
	s_or_b32 s8, s9, s17
	v_dual_mov_b32 v32, 8 :: v_dual_bitop2_b32 v43, v40, v4 bitop3:0x54
	v_mov_b32_e32 v45, v1
	v_writelane_b32 v92, s17, 20
	v_mul_u64_e32 v[24:25], s[68:69], v[40:41]
	s_delay_alu instid0(VALU_DEP_4)
	v_add_nc_u64_e32 v[26:27], src_flat_scratch_base_lo, v[32:33]
	v_dual_mov_b32 v32, 16 :: v_dual_bitop2_b32 v41, v44, v4 bitop3:0x54
	v_writelane_b32 v92, s8, 21
	v_cmp_gt_u32_e64 s8, 0xf0, v46
	v_mov_b32_e32 v3, v1
	v_mul_u64_e32 v[12:13], s[78:79], v[8:9]
	v_mul_u64_e32 v[16:17], s[78:79], v[18:19]
	;; [unrolled: 1-line block ×3, first 2 shown]
	v_writelane_b32 v92, s8, 22
	v_cmp_gt_u32_e64 s8, 0xe0, v46
	v_mul_u64_e32 v[18:19], s[68:69], v[2:3]
	v_add_nc_u64_e32 v[30:31], src_flat_scratch_base_lo, v[32:33]
	v_dual_mov_b32 v32, 24 :: v_dual_lshlrev_b32 v34, 3, v4
	s_delay_alu instid0(VALU_DEP_4) | instskip(SKIP_2) | instid1(VALU_DEP_4)
	v_writelane_b32 v92, s8, 23
	v_cmp_gt_u32_e64 s8, 0xd0, v46
	v_mov_b64_e32 v[36:37], 0
	v_add_nc_u64_e32 v[32:33], src_flat_scratch_base_lo, v[32:33]
	v_mov_b64_e32 v[38:39], 0x3f800000
	v_cmp_lt_u32_e32 vcc_lo, 0x3ff, v46
	v_writelane_b32 v92, s8, 24
	v_cmp_gt_u32_e64 s8, 0xc0, v46
	v_lshl_add_u32 v74, v6, 3, 0xa000
	v_lshl_add_u32 v75, v46, 3, 0x8000
	;; [unrolled: 1-line block ×4, first 2 shown]
	v_writelane_b32 v92, s8, 25
	v_cmp_gt_u32_e64 s8, 0xb0, v46
	v_lshl_add_u32 v7, v40, 9, v51
	v_lshl_add_u32 v79, v44, 9, v51
	v_or_b32_e32 v80, 0x4100, v70
	s_lshl_b64 s[86:87], s[14:15], 3
	v_writelane_b32 v92, s8, 26
	v_cmp_gt_u32_e64 s8, 0xa0, v46
	v_mov_b32_e32 v35, v1
	v_cmp_eq_u32_e64 s12, 0, v47
	v_cmp_gt_u32_e64 s13, 2, v46
	v_cmp_gt_u32_e64 s14, 12, v46
	v_writelane_b32 v92, s8, 27
	v_cmp_gt_u32_e64 s8, 0x90, v46
	v_cmp_gt_u32_e64 s15, 8, v46
	;; [unrolled: 1-line block ×5, first 2 shown]
	v_writelane_b32 v92, s8, 28
	v_cmp_gt_u32_e64 s8, 0x80, v46
	v_cmp_gt_u32_e64 s19, 32, v46
	;; [unrolled: 1-line block ×4, first 2 shown]
	v_cmp_eq_u32_e64 s34, 0, v6
	v_writelane_b32 v92, s8, 29
	v_cmp_gt_u32_e64 s8, 0x70, v46
	v_cmp_gt_u32_e64 s35, 64, v6
	s_xor_b32 s9, vcc_lo, -1
	s_lshl_b64 s[88:89], s[68:69], 7
	s_lshl_b64 s[90:91], s[68:69], 8
	v_writelane_b32 v92, s8, 30
	v_cmp_gt_u32_e64 s8, 0x60, v46
	s_mul_u64 s[92:93], s[68:69], 0x180
                                        ; implicit-def: $vgpr90 : SGPR spill to VGPR lane
	v_writelane_b32 v92, s8, 31
	v_cmp_gt_u32_e64 s8, 0x50, v46
	s_delay_alu instid0(VALU_DEP_1) | instskip(SKIP_1) | instid1(VALU_DEP_1)
	v_writelane_b32 v91, s8, 0
	v_cmp_ge_u32_e64 s8, v4, v2
	v_writelane_b32 v91, s8, 1
	v_cmp_ge_u32_e64 s8, v4, v42
	s_delay_alu instid0(VALU_DEP_1) | instskip(SKIP_1) | instid1(VALU_DEP_1)
	v_writelane_b32 v91, s8, 2
	v_cmp_ge_u32_e64 s8, v4, v40
	v_writelane_b32 v91, s8, 3
	v_cmp_ge_u32_e64 s8, v4, v44
	s_delay_alu instid0(VALU_DEP_1) | instskip(SKIP_1) | instid1(VALU_DEP_1)
	v_writelane_b32 v91, s8, 4
	v_cmp_le_i32_e64 s8, s99, v0
	v_writelane_b32 v91, s8, 5
	v_cmp_gt_u32_e64 s8, 64, v47
	s_delay_alu instid0(VALU_DEP_1) | instskip(SKIP_1) | instid1(VALU_DEP_1)
	v_writelane_b32 v91, s8, 6
	v_cmp_gt_u32_e64 s8, 64, v81
	v_writelane_b32 v91, s8, 7
	v_cmp_gt_u32_e64 s8, 64, v43
	s_delay_alu instid0(VALU_DEP_1) | instskip(SKIP_1) | instid1(VALU_DEP_1)
	v_writelane_b32 v91, s8, 8
	v_cmp_gt_u32_e64 s8, 64, v41
	;; [unrolled: 5-line block ×13, first 2 shown]
	v_writelane_b32 v91, s8, 31
	v_cmp_gt_u32_e64 s8, 0x120, v46
	s_delay_alu instid0(VALU_DEP_1)
	v_writelane_b32 v90, s8, 0
	s_branch .LBB55_3
.LBB55_2:                               ;   in Loop: Header=BB55_3 Depth=1
	s_wait_xcnt 0x0
	s_or_b32 exec_lo, exec_lo, s0
	s_add_co_i32 s84, s84, 0x10000
	global_wb scope:SCOPE_DEV
	s_wait_storecnt 0x0
	global_inv scope:SCOPE_DEV
	s_cmp_lt_u32 s84, s98
	s_cbranch_scc0 .LBB55_1050
.LBB55_3:                               ; =>This Loop Header: Depth=1
                                        ;     Child Loop BB55_524 Depth 2
                                        ;     Child Loop BB55_940 Depth 2
                                        ;       Child Loop BB55_942 Depth 3
                                        ;     Child Loop BB55_974 Depth 2
	global_load_b64 v[40:41], v1, s[72:73]
	v_readlane_b32 s10, v92, 0
	v_readlane_b32 s8, v92, 4
	;; [unrolled: 1-line block ×3, first 2 shown]
	s_mul_u64 s[0:1], s[70:71], s[84:85]
	s_delay_alu instid0(SALU_CYCLE_1)
	s_lshl_b64 s[0:1], s[0:1], 3
	s_and_not1_b32 vcc_lo, exec_lo, s8
	s_add_nc_u64 s[0:1], s[10:11], s[0:1]
	s_cbranch_vccnz .LBB55_15
; %bb.4:                                ;   in Loop: Header=BB55_3 Depth=1
	v_lshl_add_u64 v[42:43], v[10:11], 3, s[0:1]
	v_dual_mov_b32 v44, 0 :: v_dual_mov_b32 v46, 0
	v_mov_b32_e32 v47, 0
	v_readlane_b32 s8, v92, 11
	s_delay_alu instid0(VALU_DEP_4)
	v_lshl_add_u64 v[42:43], v[8:9], 3, v[42:43]
	s_wait_loadcnt 0x0
	s_barrier_signal -1
	s_barrier_wait -1
	s_wait_xcnt 0x0
	s_and_saveexec_b32 s10, s8
	s_cbranch_execz .LBB55_6
; %bb.5:                                ;   in Loop: Header=BB55_3 Depth=1
	global_load_b64 v[46:47], v[42:43], off
.LBB55_6:                               ;   in Loop: Header=BB55_3 Depth=1
	s_wait_xcnt 0x0
	s_or_b32 exec_lo, exec_lo, s10
	v_mov_b32_e32 v45, 0
	v_readlane_b32 s8, v92, 12
	s_wait_loadcnt 0x0
	scratch_store_b64 off, v[46:47], off
	s_wait_storecnt 0x0
	s_barrier_signal -1
	s_barrier_wait -1
	s_wait_xcnt 0x0
	s_and_saveexec_b32 s10, s8
	s_cbranch_execz .LBB55_8
; %bb.7:                                ;   in Loop: Header=BB55_3 Depth=1
	v_add_nc_u64_e32 v[44:45], s[88:89], v[42:43]
	global_load_b64 v[44:45], v[44:45], off
.LBB55_8:                               ;   in Loop: Header=BB55_3 Depth=1
	s_wait_xcnt 0x0
	s_or_b32 exec_lo, exec_lo, s10
	s_wait_loadcnt 0x0
	scratch_store_b64 off, v[44:45], off offset:8
	s_wait_xcnt 0x0
	v_dual_mov_b32 v44, 0 :: v_dual_mov_b32 v45, 0
	v_readlane_b32 s8, v92, 13
	s_wait_storecnt 0x0
	s_barrier_signal -1
	s_barrier_wait -1
	s_and_saveexec_b32 s10, s8
	s_cbranch_execz .LBB55_10
; %bb.9:                                ;   in Loop: Header=BB55_3 Depth=1
	v_add_nc_u64_e32 v[44:45], s[90:91], v[42:43]
	global_load_b64 v[44:45], v[44:45], off
.LBB55_10:                              ;   in Loop: Header=BB55_3 Depth=1
	s_wait_xcnt 0x0
	s_or_b32 exec_lo, exec_lo, s10
	v_readlane_b32 s8, v91, 5
	s_wait_loadcnt 0x0
	scratch_store_b64 off, v[44:45], off offset:16
	s_wait_storecnt 0x0
	s_barrier_signal -1
	s_barrier_wait -1
	s_wait_xcnt 0x0
	s_and_saveexec_b32 s10, s8
	s_delay_alu instid0(SALU_CYCLE_1)
	s_xor_b32 s10, exec_lo, s10
	s_cbranch_execz .LBB55_12
; %bb.11:                               ;   in Loop: Header=BB55_3 Depth=1
	scratch_store_b64 off, v[36:37], off offset:24
                                        ; implicit-def: $vgpr42_vgpr43
.LBB55_12:                              ;   in Loop: Header=BB55_3 Depth=1
	s_wait_xcnt 0x0
	s_and_not1_saveexec_b32 s10, s10
	s_cbranch_execz .LBB55_14
; %bb.13:                               ;   in Loop: Header=BB55_3 Depth=1
	v_add_nc_u64_e32 v[42:43], s[92:93], v[42:43]
	global_load_b64 v[42:43], v[42:43], off
	s_wait_loadcnt 0x0
	scratch_store_b64 off, v[42:43], off offset:24
.LBB55_14:                              ;   in Loop: Header=BB55_3 Depth=1
	s_wait_xcnt 0x0
	s_or_b32 exec_lo, exec_lo, s10
.LBB55_15:                              ;   in Loop: Header=BB55_3 Depth=1
	s_add_nc_u64 s[94:95], s[0:1], s[86:87]
	s_and_not1_b32 vcc_lo, exec_lo, s102
	v_add_nc_u64_e32 v[42:43], s[94:95], v[34:35]
	s_mov_b32 s10, -1
	s_cbranch_vccnz .LBB55_41
; %bb.16:                               ;   in Loop: Header=BB55_3 Depth=1
	v_readlane_b32 s8, v92, 14
	s_wait_xcnt 0x0
	s_and_saveexec_b32 s10, s8
	s_delay_alu instid0(SALU_CYCLE_1)
	s_xor_b32 s10, exec_lo, s10
	s_cbranch_execz .LBB55_20
; %bb.17:                               ;   in Loop: Header=BB55_3 Depth=1
	v_readlane_b32 s8, v91, 6
	s_and_saveexec_b32 s94, s8
; %bb.18:                               ;   in Loop: Header=BB55_3 Depth=1
	ds_store_b64 v77, v[36:37]
; %bb.19:                               ;   in Loop: Header=BB55_3 Depth=1
	s_or_b32 exec_lo, exec_lo, s94
.LBB55_20:                              ;   in Loop: Header=BB55_3 Depth=1
	s_and_not1_saveexec_b32 s10, s10
	s_cbranch_execz .LBB55_22
; %bb.21:                               ;   in Loop: Header=BB55_3 Depth=1
	v_lshl_add_u64 v[44:45], v[18:19], 3, v[42:43]
	global_load_b64 v[44:45], v[44:45], off
	s_wait_loadcnt 0x0
	v_pk_add_f32 v[44:45], v[44:45], 0 neg_lo:[1,1] neg_hi:[1,1]
	ds_store_b64 v77, v[44:45]
.LBB55_22:                              ;   in Loop: Header=BB55_3 Depth=1
	s_or_b32 exec_lo, exec_lo, s10
	v_readlane_b32 s8, v92, 16
	s_and_saveexec_b32 s10, s8
	s_delay_alu instid0(SALU_CYCLE_1)
	s_xor_b32 s10, exec_lo, s10
	s_cbranch_execz .LBB55_26
; %bb.23:                               ;   in Loop: Header=BB55_3 Depth=1
	v_readlane_b32 s8, v91, 7
	s_and_saveexec_b32 s94, s8
; %bb.24:                               ;   in Loop: Header=BB55_3 Depth=1
	ds_store_b64 v3, v[36:37]
; %bb.25:                               ;   in Loop: Header=BB55_3 Depth=1
	s_or_b32 exec_lo, exec_lo, s94
.LBB55_26:                              ;   in Loop: Header=BB55_3 Depth=1
	s_and_not1_saveexec_b32 s10, s10
	s_cbranch_execz .LBB55_28
; %bb.27:                               ;   in Loop: Header=BB55_3 Depth=1
	v_lshl_add_u64 v[44:45], v[20:21], 3, v[42:43]
	global_load_b64 v[44:45], v[44:45], off
	s_wait_loadcnt 0x0
	v_pk_add_f32 v[44:45], v[44:45], 0 neg_lo:[1,1] neg_hi:[1,1]
	ds_store_b64 v3, v[44:45]
.LBB55_28:                              ;   in Loop: Header=BB55_3 Depth=1
	s_or_b32 exec_lo, exec_lo, s10
	v_readlane_b32 s8, v92, 18
	;; [unrolled: 23-line block ×3, first 2 shown]
	s_and_saveexec_b32 s10, s8
	s_delay_alu instid0(SALU_CYCLE_1)
	s_xor_b32 s10, exec_lo, s10
	s_cbranch_execz .LBB55_38
; %bb.35:                               ;   in Loop: Header=BB55_3 Depth=1
	v_readlane_b32 s8, v91, 9
	s_and_saveexec_b32 s94, s8
; %bb.36:                               ;   in Loop: Header=BB55_3 Depth=1
	ds_store_b64 v79, v[36:37]
; %bb.37:                               ;   in Loop: Header=BB55_3 Depth=1
	s_or_b32 exec_lo, exec_lo, s94
.LBB55_38:                              ;   in Loop: Header=BB55_3 Depth=1
	s_and_not1_saveexec_b32 s10, s10
	s_cbranch_execz .LBB55_40
; %bb.39:                               ;   in Loop: Header=BB55_3 Depth=1
	v_lshl_add_u64 v[44:45], v[28:29], 3, v[42:43]
	global_load_b64 v[44:45], v[44:45], off
	s_wait_loadcnt 0x0
	v_pk_add_f32 v[44:45], v[44:45], 0 neg_lo:[1,1] neg_hi:[1,1]
	ds_store_b64 v79, v[44:45]
.LBB55_40:                              ;   in Loop: Header=BB55_3 Depth=1
	s_or_b32 exec_lo, exec_lo, s10
	s_mov_b32 s10, 0
.LBB55_41:                              ;   in Loop: Header=BB55_3 Depth=1
	s_delay_alu instid0(SALU_CYCLE_1)
	s_and_b32 vcc_lo, exec_lo, s10
	s_cbranch_vccz .LBB55_67
; %bb.42:                               ;   in Loop: Header=BB55_3 Depth=1
	v_readlane_b32 s8, v92, 15
	s_wait_xcnt 0x0
	s_and_saveexec_b32 s10, s8
	s_delay_alu instid0(SALU_CYCLE_1)
	s_xor_b32 s10, exec_lo, s10
	s_cbranch_execz .LBB55_46
; %bb.43:                               ;   in Loop: Header=BB55_3 Depth=1
	v_readlane_b32 s8, v91, 6
	s_and_saveexec_b32 s94, s8
; %bb.44:                               ;   in Loop: Header=BB55_3 Depth=1
	ds_store_b64 v77, v[36:37]
; %bb.45:                               ;   in Loop: Header=BB55_3 Depth=1
	s_or_b32 exec_lo, exec_lo, s94
.LBB55_46:                              ;   in Loop: Header=BB55_3 Depth=1
	s_and_not1_saveexec_b32 s10, s10
	s_cbranch_execz .LBB55_48
; %bb.47:                               ;   in Loop: Header=BB55_3 Depth=1
	v_lshl_add_u64 v[44:45], v[18:19], 3, v[42:43]
	global_load_b64 v[44:45], v[44:45], off
	s_wait_loadcnt 0x0
	v_pk_add_f32 v[44:45], v[44:45], 0 neg_lo:[1,1] neg_hi:[1,1]
	ds_store_b64 v77, v[44:45]
.LBB55_48:                              ;   in Loop: Header=BB55_3 Depth=1
	s_or_b32 exec_lo, exec_lo, s10
	v_readlane_b32 s8, v92, 17
	s_and_saveexec_b32 s10, s8
	s_delay_alu instid0(SALU_CYCLE_1)
	s_xor_b32 s10, exec_lo, s10
	s_cbranch_execz .LBB55_52
; %bb.49:                               ;   in Loop: Header=BB55_3 Depth=1
	v_readlane_b32 s8, v91, 7
	s_and_saveexec_b32 s94, s8
; %bb.50:                               ;   in Loop: Header=BB55_3 Depth=1
	ds_store_b64 v3, v[36:37]
; %bb.51:                               ;   in Loop: Header=BB55_3 Depth=1
	s_or_b32 exec_lo, exec_lo, s94
.LBB55_52:                              ;   in Loop: Header=BB55_3 Depth=1
	s_and_not1_saveexec_b32 s10, s10
	s_cbranch_execz .LBB55_54
; %bb.53:                               ;   in Loop: Header=BB55_3 Depth=1
	v_lshl_add_u64 v[44:45], v[20:21], 3, v[42:43]
	global_load_b64 v[44:45], v[44:45], off
	s_wait_loadcnt 0x0
	v_pk_add_f32 v[44:45], v[44:45], 0 neg_lo:[1,1] neg_hi:[1,1]
	ds_store_b64 v3, v[44:45]
.LBB55_54:                              ;   in Loop: Header=BB55_3 Depth=1
	s_or_b32 exec_lo, exec_lo, s10
	v_readlane_b32 s8, v92, 19
	;; [unrolled: 23-line block ×3, first 2 shown]
	s_and_saveexec_b32 s10, s8
	s_delay_alu instid0(SALU_CYCLE_1)
	s_xor_b32 s10, exec_lo, s10
	s_cbranch_execz .LBB55_64
; %bb.61:                               ;   in Loop: Header=BB55_3 Depth=1
	v_readlane_b32 s8, v91, 9
	s_and_saveexec_b32 s94, s8
; %bb.62:                               ;   in Loop: Header=BB55_3 Depth=1
	ds_store_b64 v79, v[36:37]
; %bb.63:                               ;   in Loop: Header=BB55_3 Depth=1
	s_or_b32 exec_lo, exec_lo, s94
                                        ; implicit-def: $vgpr42_vgpr43
.LBB55_64:                              ;   in Loop: Header=BB55_3 Depth=1
	s_and_not1_saveexec_b32 s10, s10
	s_cbranch_execz .LBB55_66
; %bb.65:                               ;   in Loop: Header=BB55_3 Depth=1
	v_lshl_add_u64 v[42:43], v[28:29], 3, v[42:43]
	global_load_b64 v[42:43], v[42:43], off
	s_wait_loadcnt 0x0
	v_pk_add_f32 v[42:43], v[42:43], 0 neg_lo:[1,1] neg_hi:[1,1]
	ds_store_b64 v79, v[42:43]
.LBB55_66:                              ;   in Loop: Header=BB55_3 Depth=1
	s_or_b32 exec_lo, exec_lo, s10
.LBB55_67:                              ;   in Loop: Header=BB55_3 Depth=1
	s_delay_alu instid0(SALU_CYCLE_1)
	s_and_not1_b32 vcc_lo, exec_lo, s103
	s_wait_storecnt 0x0
	s_wait_loadcnt_dscnt 0x0
	s_barrier_signal -1
	s_barrier_wait -1
	s_cbranch_vccnz .LBB55_935
; %bb.68:                               ;   in Loop: Header=BB55_3 Depth=1
	s_and_saveexec_b32 s10, s12
; %bb.69:                               ;   in Loop: Header=BB55_3 Depth=1
	ds_store_2addr_b64 v1, v[38:39], v[38:39] offset1:65
; %bb.70:                               ;   in Loop: Header=BB55_3 Depth=1
	s_or_b32 exec_lo, exec_lo, s10
	v_mov_b64_e32 v[42:43], 0
	s_wait_dscnt 0x0
	s_barrier_signal -1
	s_barrier_wait -1
	s_and_saveexec_b32 s94, s3
	s_cbranch_execz .LBB55_74
; %bb.71:                               ;   in Loop: Header=BB55_3 Depth=1
	ds_load_b64 v[42:43], v49 offset:16
	ds_load_b64 v[44:45], v50
	s_wait_dscnt 0x0
	v_pk_mul_f32 v[46:47], v[44:45], v[42:43] op_sel:[1,1] op_sel_hi:[0,1]
	s_delay_alu instid0(VALU_DEP_1) | instskip(SKIP_1) | instid1(VALU_DEP_2)
	v_pk_fma_f32 v[82:83], v[44:45], v[42:43], v[46:47] op_sel_hi:[1,0,1]
	v_pk_fma_f32 v[42:43], v[44:45], v[42:43], v[46:47] neg_lo:[0,0,1] neg_hi:[0,0,1]
	v_mov_b32_e32 v43, v83
	s_delay_alu instid0(VALU_DEP_1)
	v_pk_add_f32 v[42:43], v[42:43], 0 op_sel_hi:[1,0]
	s_and_saveexec_b32 s10, s13
	s_cbranch_execz .LBB55_73
; %bb.72:                               ;   in Loop: Header=BB55_3 Depth=1
	ds_load_b64 v[44:45], v51 offset:528
	ds_load_b64 v[46:47], v1 offset:8
	s_wait_dscnt 0x0
	v_pk_mul_f32 v[82:83], v[46:47], v[44:45] op_sel:[1,1] op_sel_hi:[0,1]
	s_delay_alu instid0(VALU_DEP_1) | instskip(SKIP_1) | instid1(VALU_DEP_2)
	v_pk_fma_f32 v[84:85], v[46:47], v[44:45], v[82:83] op_sel_hi:[1,0,1]
	v_pk_fma_f32 v[44:45], v[46:47], v[44:45], v[82:83] neg_lo:[0,0,1] neg_hi:[0,0,1]
	v_mov_b32_e32 v45, v85
	s_delay_alu instid0(VALU_DEP_1)
	v_pk_add_f32 v[42:43], v[42:43], v[44:45]
.LBB55_73:                              ;   in Loop: Header=BB55_3 Depth=1
	s_or_b32 exec_lo, exec_lo, s10
	s_delay_alu instid0(VALU_DEP_1)
	v_pk_add_f32 v[42:43], v[42:43], 0 neg_lo:[1,1] neg_hi:[1,1]
.LBB55_74:                              ;   in Loop: Header=BB55_3 Depth=1
	s_or_b32 exec_lo, exec_lo, s94
	s_and_saveexec_b32 s10, s104
; %bb.75:                               ;   in Loop: Header=BB55_3 Depth=1
	ds_store_b64 v48, v[42:43]
; %bb.76:                               ;   in Loop: Header=BB55_3 Depth=1
	s_or_b32 exec_lo, exec_lo, s10
	s_wait_dscnt 0x0
	s_barrier_signal -1
	s_barrier_wait -1
	s_and_saveexec_b32 s10, vcc_hi
	s_cbranch_execz .LBB55_78
; %bb.77:                               ;   in Loop: Header=BB55_3 Depth=1
	ds_load_b64 v[44:45], v1 offset:1048
	ds_load_b64 v[46:47], v48
	s_wait_dscnt 0x0
	v_pk_mul_f32 v[82:83], v[46:47], v[44:45] op_sel:[1,1] op_sel_hi:[0,1]
	s_delay_alu instid0(VALU_DEP_1) | instskip(SKIP_1) | instid1(VALU_DEP_2)
	v_pk_fma_f32 v[84:85], v[46:47], v[44:45], v[82:83] op_sel_hi:[1,0,1]
	v_pk_fma_f32 v[44:45], v[46:47], v[44:45], v[82:83] neg_lo:[0,0,1] neg_hi:[0,0,1]
	v_mov_b32_e32 v45, v85
	s_delay_alu instid0(VALU_DEP_1)
	v_pk_add_f32 v[42:43], v[42:43], v[44:45]
.LBB55_78:                              ;   in Loop: Header=BB55_3 Depth=1
	s_or_b32 exec_lo, exec_lo, s10
	s_barrier_signal -1
	s_barrier_wait -1
	s_and_saveexec_b32 s10, vcc_hi
; %bb.79:                               ;   in Loop: Header=BB55_3 Depth=1
	ds_store_b64 v48, v[42:43]
; %bb.80:                               ;   in Loop: Header=BB55_3 Depth=1
	s_or_b32 exec_lo, exec_lo, s10
	s_wait_dscnt 0x0
	s_barrier_signal -1
	s_barrier_wait -1
	s_barrier_signal -1
	s_barrier_wait -1
	s_and_saveexec_b32 s10, s3
; %bb.81:                               ;   in Loop: Header=BB55_3 Depth=1
	v_pk_add_f32 v[42:43], v[42:43], 0 neg_lo:[1,1] neg_hi:[1,1]
	ds_store_b64 v49, v[42:43] offset:16
; %bb.82:                               ;   in Loop: Header=BB55_3 Depth=1
	s_or_b32 exec_lo, exec_lo, s10
	s_wait_dscnt 0x0
	s_barrier_signal -1
	s_barrier_wait -1
	s_barrier_signal -1
	s_barrier_wait -1
	s_and_saveexec_b32 s10, s12
; %bb.83:                               ;   in Loop: Header=BB55_3 Depth=1
	ds_store_2addr_b64 v1, v[38:39], v[38:39] offset0:130 offset1:195
; %bb.84:                               ;   in Loop: Header=BB55_3 Depth=1
	s_or_b32 exec_lo, exec_lo, s10
	v_mov_b64_e32 v[42:43], 0
	s_wait_dscnt 0x0
	s_barrier_signal -1
	s_barrier_wait -1
	s_and_saveexec_b32 s94, s4
	s_cbranch_execz .LBB55_90
; %bb.85:                               ;   in Loop: Header=BB55_3 Depth=1
	ds_load_b64 v[42:43], v55 offset:32
	ds_load_b64 v[44:45], v53
	s_wait_dscnt 0x0
	v_dual_mul_f32 v0, v45, v43 :: v_dual_mul_f32 v43, v44, v43
	s_delay_alu instid0(VALU_DEP_1) | instskip(NEXT) | instid1(VALU_DEP_1)
	v_dual_fma_f32 v0, v44, v42, -v0 :: v_dual_fmac_f32 v43, v45, v42
	v_dual_add_f32 v42, 0, v0 :: v_dual_add_f32 v43, 0, v43
	s_and_saveexec_b32 s10, s14
	s_cbranch_execnz .LBB55_1000
; %bb.86:                               ;   in Loop: Header=BB55_3 Depth=1
	s_or_b32 exec_lo, exec_lo, s10
	s_and_saveexec_b32 s10, s15
	s_cbranch_execnz .LBB55_1001
.LBB55_87:                              ;   in Loop: Header=BB55_3 Depth=1
	s_or_b32 exec_lo, exec_lo, s10
	s_and_saveexec_b32 s10, s3
	s_cbranch_execz .LBB55_89
.LBB55_88:                              ;   in Loop: Header=BB55_3 Depth=1
	ds_load_b64 v[44:45], v51 offset:1568
	ds_load_b64 v[46:47], v1 offset:24
	s_wait_dscnt 0x0
	v_dual_mul_f32 v0, v47, v45 :: v_dual_mul_f32 v83, v46, v45
	s_delay_alu instid0(VALU_DEP_1) | instskip(NEXT) | instid1(VALU_DEP_1)
	v_dual_fma_f32 v82, v46, v44, -v0 :: v_dual_fmac_f32 v83, v47, v44
	v_pk_add_f32 v[42:43], v[42:43], v[82:83]
.LBB55_89:                              ;   in Loop: Header=BB55_3 Depth=1
	s_or_b32 exec_lo, exec_lo, s10
	s_delay_alu instid0(VALU_DEP_1)
	v_pk_add_f32 v[42:43], v[42:43], 0 neg_lo:[1,1] neg_hi:[1,1]
.LBB55_90:                              ;   in Loop: Header=BB55_3 Depth=1
	s_or_b32 exec_lo, exec_lo, s94
	s_and_saveexec_b32 s10, s45
; %bb.91:                               ;   in Loop: Header=BB55_3 Depth=1
	ds_store_b64 v54, v[42:43]
; %bb.92:                               ;   in Loop: Header=BB55_3 Depth=1
	s_or_b32 exec_lo, exec_lo, s10
	s_wait_dscnt 0x0
	s_barrier_signal -1
	s_barrier_wait -1
	s_and_saveexec_b32 s10, s46
	s_cbranch_execz .LBB55_94
; %bb.93:                               ;   in Loop: Header=BB55_3 Depth=1
	ds_load_b64 v[44:45], v52 offset:2080
	ds_load_b64 v[46:47], v54
	s_wait_dscnt 0x0
	v_pk_mul_f32 v[82:83], v[46:47], v[44:45] op_sel:[1,1] op_sel_hi:[0,1]
	s_delay_alu instid0(VALU_DEP_1) | instskip(SKIP_1) | instid1(VALU_DEP_2)
	v_pk_fma_f32 v[84:85], v[46:47], v[44:45], v[82:83] op_sel_hi:[1,0,1]
	v_pk_fma_f32 v[44:45], v[46:47], v[44:45], v[82:83] neg_lo:[0,0,1] neg_hi:[0,0,1]
	v_mov_b32_e32 v45, v85
	s_delay_alu instid0(VALU_DEP_1)
	v_pk_add_f32 v[42:43], v[42:43], v[44:45]
.LBB55_94:                              ;   in Loop: Header=BB55_3 Depth=1
	s_or_b32 exec_lo, exec_lo, s10
	s_barrier_signal -1
	s_barrier_wait -1
	s_and_saveexec_b32 s10, s47
; %bb.95:                               ;   in Loop: Header=BB55_3 Depth=1
	ds_store_b64 v54, v[42:43]
; %bb.96:                               ;   in Loop: Header=BB55_3 Depth=1
	s_or_b32 exec_lo, exec_lo, s10
	s_wait_dscnt 0x0
	s_barrier_signal -1
	s_barrier_wait -1
	s_and_saveexec_b32 s10, s48
	s_cbranch_execz .LBB55_98
; %bb.97:                               ;   in Loop: Header=BB55_3 Depth=1
	ds_load_b64 v[44:45], v52 offset:2592
	ds_load_b64 v[46:47], v54
	s_wait_dscnt 0x0
	v_pk_mul_f32 v[82:83], v[46:47], v[44:45] op_sel:[1,1] op_sel_hi:[0,1]
	s_delay_alu instid0(VALU_DEP_1) | instskip(SKIP_1) | instid1(VALU_DEP_2)
	v_pk_fma_f32 v[84:85], v[46:47], v[44:45], v[82:83] op_sel_hi:[1,0,1]
	v_pk_fma_f32 v[44:45], v[46:47], v[44:45], v[82:83] neg_lo:[0,0,1] neg_hi:[0,0,1]
	v_mov_b32_e32 v45, v85
	s_delay_alu instid0(VALU_DEP_1)
	v_pk_add_f32 v[42:43], v[42:43], v[44:45]
.LBB55_98:                              ;   in Loop: Header=BB55_3 Depth=1
	s_or_b32 exec_lo, exec_lo, s10
	s_barrier_signal -1
	s_barrier_wait -1
	s_and_saveexec_b32 s10, s49
; %bb.99:                               ;   in Loop: Header=BB55_3 Depth=1
	ds_store_b64 v54, v[42:43]
; %bb.100:                              ;   in Loop: Header=BB55_3 Depth=1
	s_or_b32 exec_lo, exec_lo, s10
	s_wait_dscnt 0x0
	s_barrier_signal -1
	s_barrier_wait -1
	s_and_saveexec_b32 s10, s50
	s_cbranch_execz .LBB55_102
; %bb.101:                              ;   in Loop: Header=BB55_3 Depth=1
	ds_load_b64 v[44:45], v1 offset:3128
	ds_load_b64 v[46:47], v54
	s_wait_dscnt 0x0
	v_pk_mul_f32 v[82:83], v[46:47], v[44:45] op_sel:[1,1] op_sel_hi:[0,1]
	s_delay_alu instid0(VALU_DEP_1) | instskip(SKIP_1) | instid1(VALU_DEP_2)
	v_pk_fma_f32 v[84:85], v[46:47], v[44:45], v[82:83] op_sel_hi:[1,0,1]
	v_pk_fma_f32 v[44:45], v[46:47], v[44:45], v[82:83] neg_lo:[0,0,1] neg_hi:[0,0,1]
	v_mov_b32_e32 v45, v85
	s_delay_alu instid0(VALU_DEP_1)
	v_pk_add_f32 v[42:43], v[42:43], v[44:45]
.LBB55_102:                             ;   in Loop: Header=BB55_3 Depth=1
	s_or_b32 exec_lo, exec_lo, s10
	s_barrier_signal -1
	s_barrier_wait -1
	s_and_saveexec_b32 s10, s50
; %bb.103:                              ;   in Loop: Header=BB55_3 Depth=1
	ds_store_b64 v54, v[42:43]
; %bb.104:                              ;   in Loop: Header=BB55_3 Depth=1
	s_or_b32 exec_lo, exec_lo, s10
	s_wait_dscnt 0x0
	s_barrier_signal -1
	s_barrier_wait -1
	s_barrier_signal -1
	s_barrier_wait -1
	s_and_saveexec_b32 s10, s4
; %bb.105:                              ;   in Loop: Header=BB55_3 Depth=1
	v_pk_add_f32 v[42:43], v[42:43], 0 neg_lo:[1,1] neg_hi:[1,1]
	ds_store_b64 v55, v[42:43] offset:32
; %bb.106:                              ;   in Loop: Header=BB55_3 Depth=1
	s_or_b32 exec_lo, exec_lo, s10
	s_wait_dscnt 0x0
	s_barrier_signal -1
	s_barrier_wait -1
	s_barrier_signal -1
	s_barrier_wait -1
	s_and_saveexec_b32 s10, s12
; %bb.107:                              ;   in Loop: Header=BB55_3 Depth=1
	v_add_nc_u32_e64 v0, 0x800, 0
	ds_store_2addr_b64 v0, v[38:39], v[38:39] offset0:4 offset1:69
; %bb.108:                              ;   in Loop: Header=BB55_3 Depth=1
	s_or_b32 exec_lo, exec_lo, s10
	v_mov_b64_e32 v[42:43], 0
	s_wait_dscnt 0x0
	s_barrier_signal -1
	s_barrier_wait -1
	s_and_saveexec_b32 s94, s3
	s_cbranch_execz .LBB55_112
; %bb.109:                              ;   in Loop: Header=BB55_3 Depth=1
	ds_load_b64 v[42:43], v49 offset:2096
	ds_load_b64 v[44:45], v50 offset:2080
	s_wait_dscnt 0x0
	v_pk_mul_f32 v[46:47], v[44:45], v[42:43] op_sel:[1,1] op_sel_hi:[0,1]
	s_delay_alu instid0(VALU_DEP_1) | instskip(SKIP_1) | instid1(VALU_DEP_2)
	v_pk_fma_f32 v[82:83], v[44:45], v[42:43], v[46:47] op_sel_hi:[1,0,1]
	v_pk_fma_f32 v[42:43], v[44:45], v[42:43], v[46:47] neg_lo:[0,0,1] neg_hi:[0,0,1]
	v_mov_b32_e32 v43, v83
	s_delay_alu instid0(VALU_DEP_1)
	v_pk_add_f32 v[42:43], v[42:43], 0 op_sel_hi:[1,0]
	s_and_saveexec_b32 s10, s13
	s_cbranch_execz .LBB55_111
; %bb.110:                              ;   in Loop: Header=BB55_3 Depth=1
	ds_load_b64 v[44:45], v51 offset:2608
	ds_load_b64 v[46:47], v1 offset:2088
	s_wait_dscnt 0x0
	v_pk_mul_f32 v[82:83], v[46:47], v[44:45] op_sel:[1,1] op_sel_hi:[0,1]
	s_delay_alu instid0(VALU_DEP_1) | instskip(SKIP_1) | instid1(VALU_DEP_2)
	v_pk_fma_f32 v[84:85], v[46:47], v[44:45], v[82:83] op_sel_hi:[1,0,1]
	v_pk_fma_f32 v[44:45], v[46:47], v[44:45], v[82:83] neg_lo:[0,0,1] neg_hi:[0,0,1]
	v_mov_b32_e32 v45, v85
	s_delay_alu instid0(VALU_DEP_1)
	v_pk_add_f32 v[42:43], v[42:43], v[44:45]
.LBB55_111:                             ;   in Loop: Header=BB55_3 Depth=1
	s_or_b32 exec_lo, exec_lo, s10
	s_delay_alu instid0(VALU_DEP_1)
	v_pk_add_f32 v[42:43], v[42:43], 0 neg_lo:[1,1] neg_hi:[1,1]
.LBB55_112:                             ;   in Loop: Header=BB55_3 Depth=1
	s_or_b32 exec_lo, exec_lo, s94
	s_and_saveexec_b32 s10, s104
; %bb.113:                              ;   in Loop: Header=BB55_3 Depth=1
	ds_store_b64 v48, v[42:43]
; %bb.114:                              ;   in Loop: Header=BB55_3 Depth=1
	s_or_b32 exec_lo, exec_lo, s10
	s_wait_dscnt 0x0
	s_barrier_signal -1
	s_barrier_wait -1
	s_and_saveexec_b32 s10, vcc_hi
	s_cbranch_execz .LBB55_116
; %bb.115:                              ;   in Loop: Header=BB55_3 Depth=1
	ds_load_b64 v[44:45], v1 offset:3128
	ds_load_b64 v[46:47], v48
	s_wait_dscnt 0x0
	v_pk_mul_f32 v[82:83], v[46:47], v[44:45] op_sel:[1,1] op_sel_hi:[0,1]
	s_delay_alu instid0(VALU_DEP_1) | instskip(SKIP_1) | instid1(VALU_DEP_2)
	v_pk_fma_f32 v[84:85], v[46:47], v[44:45], v[82:83] op_sel_hi:[1,0,1]
	v_pk_fma_f32 v[44:45], v[46:47], v[44:45], v[82:83] neg_lo:[0,0,1] neg_hi:[0,0,1]
	v_mov_b32_e32 v45, v85
	s_delay_alu instid0(VALU_DEP_1)
	v_pk_add_f32 v[42:43], v[42:43], v[44:45]
.LBB55_116:                             ;   in Loop: Header=BB55_3 Depth=1
	s_or_b32 exec_lo, exec_lo, s10
	s_barrier_signal -1
	s_barrier_wait -1
	s_and_saveexec_b32 s10, vcc_hi
; %bb.117:                              ;   in Loop: Header=BB55_3 Depth=1
	ds_store_b64 v48, v[42:43]
; %bb.118:                              ;   in Loop: Header=BB55_3 Depth=1
	s_or_b32 exec_lo, exec_lo, s10
	s_wait_dscnt 0x0
	s_barrier_signal -1
	s_barrier_wait -1
	s_barrier_signal -1
	s_barrier_wait -1
	s_and_saveexec_b32 s10, s3
; %bb.119:                              ;   in Loop: Header=BB55_3 Depth=1
	v_pk_add_f32 v[42:43], v[42:43], 0 neg_lo:[1,1] neg_hi:[1,1]
	ds_store_b64 v49, v[42:43] offset:2096
; %bb.120:                              ;   in Loop: Header=BB55_3 Depth=1
	s_or_b32 exec_lo, exec_lo, s10
	s_wait_dscnt 0x0
	s_barrier_signal -1
	s_barrier_wait -1
	s_barrier_signal -1
	s_barrier_wait -1
	s_and_saveexec_b32 s10, s12
; %bb.121:                              ;   in Loop: Header=BB55_3 Depth=1
	v_add_nc_u32_e64 v0, 0x800, 0
	ds_store_2addr_b64 v0, v[38:39], v[38:39] offset0:134 offset1:199
; %bb.122:                              ;   in Loop: Header=BB55_3 Depth=1
	s_or_b32 exec_lo, exec_lo, s10
	v_mov_b64_e32 v[42:43], 0
	s_wait_dscnt 0x0
	s_barrier_signal -1
	s_barrier_wait -1
	s_and_saveexec_b32 s94, s5
	s_cbranch_execz .LBB55_132
; %bb.123:                              ;   in Loop: Header=BB55_3 Depth=1
	ds_load_b64 v[42:43], v60 offset:64
	ds_load_b64 v[44:45], v57
	s_wait_dscnt 0x0
	v_dual_mul_f32 v0, v45, v43 :: v_dual_mul_f32 v43, v44, v43
	s_delay_alu instid0(VALU_DEP_1) | instskip(NEXT) | instid1(VALU_DEP_1)
	v_dual_fma_f32 v0, v44, v42, -v0 :: v_dual_fmac_f32 v43, v45, v42
	v_dual_add_f32 v42, 0, v0 :: v_dual_add_f32 v43, 0, v43
	s_and_saveexec_b32 s10, s16
	s_cbranch_execnz .LBB55_1002
; %bb.124:                              ;   in Loop: Header=BB55_3 Depth=1
	s_or_b32 exec_lo, exec_lo, s10
	s_and_saveexec_b32 s10, s17
	s_cbranch_execnz .LBB55_1003
.LBB55_125:                             ;   in Loop: Header=BB55_3 Depth=1
	s_or_b32 exec_lo, exec_lo, s10
	s_and_saveexec_b32 s10, s18
	s_cbranch_execnz .LBB55_1004
.LBB55_126:                             ;   in Loop: Header=BB55_3 Depth=1
	s_or_b32 exec_lo, exec_lo, s10
	s_and_saveexec_b32 s10, s19
	s_cbranch_execnz .LBB55_1005
.LBB55_127:                             ;   in Loop: Header=BB55_3 Depth=1
	s_or_b32 exec_lo, exec_lo, s10
	s_and_saveexec_b32 s10, s20
	s_cbranch_execnz .LBB55_1006
.LBB55_128:                             ;   in Loop: Header=BB55_3 Depth=1
	s_or_b32 exec_lo, exec_lo, s10
	s_and_saveexec_b32 s10, s4
	s_cbranch_execnz .LBB55_1007
.LBB55_129:                             ;   in Loop: Header=BB55_3 Depth=1
	s_or_b32 exec_lo, exec_lo, s10
	s_and_saveexec_b32 s10, s15
	s_cbranch_execz .LBB55_131
.LBB55_130:                             ;   in Loop: Header=BB55_3 Depth=1
	ds_load_b64 v[44:45], v51 offset:3648
	ds_load_b64 v[46:47], v1 offset:56
	s_wait_dscnt 0x0
	v_pk_mul_f32 v[82:83], v[46:47], v[44:45] op_sel:[1,1] op_sel_hi:[0,1]
	s_delay_alu instid0(VALU_DEP_1) | instskip(SKIP_1) | instid1(VALU_DEP_2)
	v_pk_fma_f32 v[84:85], v[46:47], v[44:45], v[82:83] op_sel_hi:[1,0,1]
	v_pk_fma_f32 v[44:45], v[46:47], v[44:45], v[82:83] neg_lo:[0,0,1] neg_hi:[0,0,1]
	v_mov_b32_e32 v45, v85
	s_delay_alu instid0(VALU_DEP_1)
	v_pk_add_f32 v[42:43], v[42:43], v[44:45]
.LBB55_131:                             ;   in Loop: Header=BB55_3 Depth=1
	s_or_b32 exec_lo, exec_lo, s10
	s_delay_alu instid0(VALU_DEP_1)
	v_pk_add_f32 v[42:43], v[42:43], 0 neg_lo:[1,1] neg_hi:[1,1]
.LBB55_132:                             ;   in Loop: Header=BB55_3 Depth=1
	s_or_b32 exec_lo, exec_lo, s94
	s_and_saveexec_b32 s10, s51
; %bb.133:                              ;   in Loop: Header=BB55_3 Depth=1
	ds_store_b64 v59, v[42:43]
; %bb.134:                              ;   in Loop: Header=BB55_3 Depth=1
	s_or_b32 exec_lo, exec_lo, s10
	s_wait_dscnt 0x0
	s_barrier_signal -1
	s_barrier_wait -1
	s_and_saveexec_b32 s10, s52
	s_cbranch_execz .LBB55_136
; %bb.135:                              ;   in Loop: Header=BB55_3 Depth=1
	ds_load_b64 v[44:45], v58 offset:4160
	ds_load_b64 v[46:47], v59
	s_wait_dscnt 0x0
	v_pk_mul_f32 v[82:83], v[46:47], v[44:45] op_sel:[1,1] op_sel_hi:[0,1]
	s_delay_alu instid0(VALU_DEP_1) | instskip(SKIP_1) | instid1(VALU_DEP_2)
	v_pk_fma_f32 v[84:85], v[46:47], v[44:45], v[82:83] op_sel_hi:[1,0,1]
	v_pk_fma_f32 v[44:45], v[46:47], v[44:45], v[82:83] neg_lo:[0,0,1] neg_hi:[0,0,1]
	v_mov_b32_e32 v45, v85
	s_delay_alu instid0(VALU_DEP_1)
	v_pk_add_f32 v[42:43], v[42:43], v[44:45]
.LBB55_136:                             ;   in Loop: Header=BB55_3 Depth=1
	s_or_b32 exec_lo, exec_lo, s10
	s_barrier_signal -1
	s_barrier_wait -1
	s_and_saveexec_b32 s10, s53
; %bb.137:                              ;   in Loop: Header=BB55_3 Depth=1
	ds_store_b64 v59, v[42:43]
; %bb.138:                              ;   in Loop: Header=BB55_3 Depth=1
	s_or_b32 exec_lo, exec_lo, s10
	s_wait_dscnt 0x0
	s_barrier_signal -1
	s_barrier_wait -1
	s_and_saveexec_b32 s10, s54
	s_cbranch_execz .LBB55_140
; %bb.139:                              ;   in Loop: Header=BB55_3 Depth=1
	ds_load_b64 v[44:45], v58 offset:4672
	ds_load_b64 v[46:47], v59
	s_wait_dscnt 0x0
	v_dual_mul_f32 v0, v47, v45 :: v_dual_mul_f32 v45, v46, v45
	s_delay_alu instid0(VALU_DEP_1) | instskip(NEXT) | instid1(VALU_DEP_1)
	v_dual_fma_f32 v0, v46, v44, -v0 :: v_dual_fmac_f32 v45, v47, v44
	v_dual_add_f32 v42, v42, v0 :: v_dual_add_f32 v43, v43, v45
.LBB55_140:                             ;   in Loop: Header=BB55_3 Depth=1
	s_or_b32 exec_lo, exec_lo, s10
	s_barrier_signal -1
	s_barrier_wait -1
	s_and_saveexec_b32 s10, s55
; %bb.141:                              ;   in Loop: Header=BB55_3 Depth=1
	ds_store_b64 v59, v[42:43]
; %bb.142:                              ;   in Loop: Header=BB55_3 Depth=1
	s_or_b32 exec_lo, exec_lo, s10
	s_wait_dscnt 0x0
	s_barrier_signal -1
	s_barrier_wait -1
	s_and_saveexec_b32 s10, s56
	s_cbranch_execz .LBB55_144
; %bb.143:                              ;   in Loop: Header=BB55_3 Depth=1
	ds_load_b64 v[44:45], v58 offset:5184
	ds_load_b64 v[46:47], v59
	s_wait_dscnt 0x0
	v_dual_mul_f32 v0, v47, v45 :: v_dual_mul_f32 v83, v46, v45
	s_delay_alu instid0(VALU_DEP_1) | instskip(NEXT) | instid1(VALU_DEP_1)
	v_dual_fma_f32 v82, v46, v44, -v0 :: v_dual_fmac_f32 v83, v47, v44
	v_pk_add_f32 v[42:43], v[42:43], v[82:83]
.LBB55_144:                             ;   in Loop: Header=BB55_3 Depth=1
	s_or_b32 exec_lo, exec_lo, s10
	s_barrier_signal -1
	s_barrier_wait -1
	s_and_saveexec_b32 s10, s57
; %bb.145:                              ;   in Loop: Header=BB55_3 Depth=1
	ds_store_b64 v59, v[42:43]
; %bb.146:                              ;   in Loop: Header=BB55_3 Depth=1
	s_or_b32 exec_lo, exec_lo, s10
	s_wait_dscnt 0x0
	s_barrier_signal -1
	s_barrier_wait -1
	s_and_saveexec_b32 s10, s58
	s_cbranch_execz .LBB55_148
; %bb.147:                              ;   in Loop: Header=BB55_3 Depth=1
	ds_load_b64 v[44:45], v58 offset:5696
	ds_load_b64 v[46:47], v59
	s_wait_dscnt 0x0
	v_pk_mul_f32 v[82:83], v[46:47], v[44:45] op_sel:[1,1] op_sel_hi:[0,1]
	s_delay_alu instid0(VALU_DEP_1) | instskip(SKIP_1) | instid1(VALU_DEP_2)
	v_pk_fma_f32 v[84:85], v[46:47], v[44:45], v[82:83] op_sel_hi:[1,0,1]
	v_pk_fma_f32 v[44:45], v[46:47], v[44:45], v[82:83] neg_lo:[0,0,1] neg_hi:[0,0,1]
	v_mov_b32_e32 v45, v85
	s_delay_alu instid0(VALU_DEP_1)
	v_pk_add_f32 v[42:43], v[42:43], v[44:45]
.LBB55_148:                             ;   in Loop: Header=BB55_3 Depth=1
	s_or_b32 exec_lo, exec_lo, s10
	s_barrier_signal -1
	s_barrier_wait -1
	s_and_saveexec_b32 s10, s59
; %bb.149:                              ;   in Loop: Header=BB55_3 Depth=1
	ds_store_b64 v59, v[42:43]
; %bb.150:                              ;   in Loop: Header=BB55_3 Depth=1
	s_or_b32 exec_lo, exec_lo, s10
	s_wait_dscnt 0x0
	s_barrier_signal -1
	s_barrier_wait -1
	s_and_saveexec_b32 s10, s60
	s_cbranch_execz .LBB55_152
; %bb.151:                              ;   in Loop: Header=BB55_3 Depth=1
	ds_load_b64 v[44:45], v58 offset:6208
	ds_load_b64 v[46:47], v59
	s_wait_dscnt 0x0
	v_pk_mul_f32 v[82:83], v[46:47], v[44:45] op_sel:[1,1] op_sel_hi:[0,1]
	s_delay_alu instid0(VALU_DEP_1) | instskip(SKIP_1) | instid1(VALU_DEP_2)
	v_pk_fma_f32 v[84:85], v[46:47], v[44:45], v[82:83] op_sel_hi:[1,0,1]
	v_pk_fma_f32 v[44:45], v[46:47], v[44:45], v[82:83] neg_lo:[0,0,1] neg_hi:[0,0,1]
	v_mov_b32_e32 v45, v85
	s_delay_alu instid0(VALU_DEP_1)
	v_pk_add_f32 v[42:43], v[42:43], v[44:45]
.LBB55_152:                             ;   in Loop: Header=BB55_3 Depth=1
	;; [unrolled: 25-line block ×4, first 2 shown]
	s_or_b32 exec_lo, exec_lo, s10
	s_barrier_signal -1
	s_barrier_wait -1
	s_and_saveexec_b32 s10, s64
; %bb.161:                              ;   in Loop: Header=BB55_3 Depth=1
	ds_store_b64 v59, v[42:43]
; %bb.162:                              ;   in Loop: Header=BB55_3 Depth=1
	s_or_b32 exec_lo, exec_lo, s10
	s_wait_dscnt 0x0
	s_barrier_signal -1
	s_barrier_wait -1
	s_barrier_signal -1
	s_barrier_wait -1
	s_and_saveexec_b32 s10, s5
; %bb.163:                              ;   in Loop: Header=BB55_3 Depth=1
	v_pk_add_f32 v[42:43], v[42:43], 0 neg_lo:[1,1] neg_hi:[1,1]
	ds_store_b64 v60, v[42:43] offset:64
; %bb.164:                              ;   in Loop: Header=BB55_3 Depth=1
	s_or_b32 exec_lo, exec_lo, s10
	s_wait_dscnt 0x0
	s_barrier_signal -1
	s_barrier_wait -1
	s_barrier_signal -1
	s_barrier_wait -1
	s_and_saveexec_b32 s10, s12
; %bb.165:                              ;   in Loop: Header=BB55_3 Depth=1
	v_add_nc_u32_e64 v0, 0x1000, 0
	ds_store_2addr_b64 v0, v[38:39], v[38:39] offset0:8 offset1:73
; %bb.166:                              ;   in Loop: Header=BB55_3 Depth=1
	s_or_b32 exec_lo, exec_lo, s10
	v_mov_b64_e32 v[42:43], 0
	s_wait_dscnt 0x0
	s_barrier_signal -1
	s_barrier_wait -1
	s_and_saveexec_b32 s94, s3
	s_cbranch_execz .LBB55_170
; %bb.167:                              ;   in Loop: Header=BB55_3 Depth=1
	ds_load_b64 v[42:43], v49 offset:4176
	ds_load_b64 v[44:45], v50 offset:4160
	s_wait_dscnt 0x0
	v_pk_mul_f32 v[46:47], v[44:45], v[42:43] op_sel:[1,1] op_sel_hi:[0,1]
	s_delay_alu instid0(VALU_DEP_1) | instskip(SKIP_1) | instid1(VALU_DEP_2)
	v_pk_fma_f32 v[82:83], v[44:45], v[42:43], v[46:47] op_sel_hi:[1,0,1]
	v_pk_fma_f32 v[42:43], v[44:45], v[42:43], v[46:47] neg_lo:[0,0,1] neg_hi:[0,0,1]
	v_mov_b32_e32 v43, v83
	s_delay_alu instid0(VALU_DEP_1)
	v_pk_add_f32 v[42:43], v[42:43], 0 op_sel_hi:[1,0]
	s_and_saveexec_b32 s10, s13
	s_cbranch_execz .LBB55_169
; %bb.168:                              ;   in Loop: Header=BB55_3 Depth=1
	ds_load_b64 v[44:45], v51 offset:4688
	ds_load_b64 v[46:47], v1 offset:4168
	s_wait_dscnt 0x0
	v_pk_mul_f32 v[82:83], v[46:47], v[44:45] op_sel:[1,1] op_sel_hi:[0,1]
	s_delay_alu instid0(VALU_DEP_1) | instskip(SKIP_1) | instid1(VALU_DEP_2)
	v_pk_fma_f32 v[84:85], v[46:47], v[44:45], v[82:83] op_sel_hi:[1,0,1]
	v_pk_fma_f32 v[44:45], v[46:47], v[44:45], v[82:83] neg_lo:[0,0,1] neg_hi:[0,0,1]
	v_mov_b32_e32 v45, v85
	s_delay_alu instid0(VALU_DEP_1)
	v_pk_add_f32 v[42:43], v[42:43], v[44:45]
.LBB55_169:                             ;   in Loop: Header=BB55_3 Depth=1
	s_or_b32 exec_lo, exec_lo, s10
	s_delay_alu instid0(VALU_DEP_1)
	v_pk_add_f32 v[42:43], v[42:43], 0 neg_lo:[1,1] neg_hi:[1,1]
.LBB55_170:                             ;   in Loop: Header=BB55_3 Depth=1
	s_or_b32 exec_lo, exec_lo, s94
	s_and_saveexec_b32 s10, s104
; %bb.171:                              ;   in Loop: Header=BB55_3 Depth=1
	ds_store_b64 v48, v[42:43]
; %bb.172:                              ;   in Loop: Header=BB55_3 Depth=1
	s_or_b32 exec_lo, exec_lo, s10
	s_wait_dscnt 0x0
	s_barrier_signal -1
	s_barrier_wait -1
	s_and_saveexec_b32 s10, vcc_hi
	s_cbranch_execz .LBB55_174
; %bb.173:                              ;   in Loop: Header=BB55_3 Depth=1
	ds_load_b64 v[44:45], v1 offset:5208
	ds_load_b64 v[46:47], v48
	s_wait_dscnt 0x0
	v_pk_mul_f32 v[82:83], v[46:47], v[44:45] op_sel:[1,1] op_sel_hi:[0,1]
	s_delay_alu instid0(VALU_DEP_1) | instskip(SKIP_1) | instid1(VALU_DEP_2)
	v_pk_fma_f32 v[84:85], v[46:47], v[44:45], v[82:83] op_sel_hi:[1,0,1]
	v_pk_fma_f32 v[44:45], v[46:47], v[44:45], v[82:83] neg_lo:[0,0,1] neg_hi:[0,0,1]
	v_mov_b32_e32 v45, v85
	s_delay_alu instid0(VALU_DEP_1)
	v_pk_add_f32 v[42:43], v[42:43], v[44:45]
.LBB55_174:                             ;   in Loop: Header=BB55_3 Depth=1
	s_or_b32 exec_lo, exec_lo, s10
	s_barrier_signal -1
	s_barrier_wait -1
	s_and_saveexec_b32 s10, vcc_hi
; %bb.175:                              ;   in Loop: Header=BB55_3 Depth=1
	ds_store_b64 v48, v[42:43]
; %bb.176:                              ;   in Loop: Header=BB55_3 Depth=1
	s_or_b32 exec_lo, exec_lo, s10
	s_wait_dscnt 0x0
	s_barrier_signal -1
	s_barrier_wait -1
	s_barrier_signal -1
	s_barrier_wait -1
	s_and_saveexec_b32 s10, s3
; %bb.177:                              ;   in Loop: Header=BB55_3 Depth=1
	v_pk_add_f32 v[42:43], v[42:43], 0 neg_lo:[1,1] neg_hi:[1,1]
	ds_store_b64 v49, v[42:43] offset:4176
; %bb.178:                              ;   in Loop: Header=BB55_3 Depth=1
	s_or_b32 exec_lo, exec_lo, s10
	s_wait_dscnt 0x0
	s_barrier_signal -1
	s_barrier_wait -1
	s_barrier_signal -1
	s_barrier_wait -1
	s_and_saveexec_b32 s10, s12
; %bb.179:                              ;   in Loop: Header=BB55_3 Depth=1
	v_add_nc_u32_e64 v0, 0x1000, 0
	ds_store_2addr_b64 v0, v[38:39], v[38:39] offset0:138 offset1:203
; %bb.180:                              ;   in Loop: Header=BB55_3 Depth=1
	s_or_b32 exec_lo, exec_lo, s10
	v_mov_b64_e32 v[42:43], 0
	s_wait_dscnt 0x0
	s_barrier_signal -1
	s_barrier_wait -1
	s_and_saveexec_b32 s94, s4
	s_cbranch_execz .LBB55_186
; %bb.181:                              ;   in Loop: Header=BB55_3 Depth=1
	ds_load_b64 v[42:43], v55 offset:4192
	ds_load_b64 v[44:45], v53 offset:4160
	s_wait_dscnt 0x0
	v_dual_mul_f32 v0, v45, v43 :: v_dual_mul_f32 v43, v44, v43
	s_delay_alu instid0(VALU_DEP_1) | instskip(NEXT) | instid1(VALU_DEP_1)
	v_dual_fma_f32 v0, v44, v42, -v0 :: v_dual_fmac_f32 v43, v45, v42
	v_dual_add_f32 v42, 0, v0 :: v_dual_add_f32 v43, 0, v43
	s_and_saveexec_b32 s10, s14
	s_cbranch_execnz .LBB55_1008
; %bb.182:                              ;   in Loop: Header=BB55_3 Depth=1
	s_or_b32 exec_lo, exec_lo, s10
	s_and_saveexec_b32 s10, s15
	s_cbranch_execnz .LBB55_1009
.LBB55_183:                             ;   in Loop: Header=BB55_3 Depth=1
	s_or_b32 exec_lo, exec_lo, s10
	s_and_saveexec_b32 s10, s3
	s_cbranch_execz .LBB55_185
.LBB55_184:                             ;   in Loop: Header=BB55_3 Depth=1
	ds_load_b64 v[44:45], v51 offset:5728
	ds_load_b64 v[46:47], v1 offset:4184
	s_wait_dscnt 0x0
	v_dual_mul_f32 v0, v47, v45 :: v_dual_mul_f32 v83, v46, v45
	s_delay_alu instid0(VALU_DEP_1) | instskip(NEXT) | instid1(VALU_DEP_1)
	v_dual_fma_f32 v82, v46, v44, -v0 :: v_dual_fmac_f32 v83, v47, v44
	v_pk_add_f32 v[42:43], v[42:43], v[82:83]
.LBB55_185:                             ;   in Loop: Header=BB55_3 Depth=1
	s_or_b32 exec_lo, exec_lo, s10
	s_delay_alu instid0(VALU_DEP_1)
	v_pk_add_f32 v[42:43], v[42:43], 0 neg_lo:[1,1] neg_hi:[1,1]
.LBB55_186:                             ;   in Loop: Header=BB55_3 Depth=1
	s_or_b32 exec_lo, exec_lo, s94
	s_and_saveexec_b32 s10, s45
; %bb.187:                              ;   in Loop: Header=BB55_3 Depth=1
	ds_store_b64 v54, v[42:43]
; %bb.188:                              ;   in Loop: Header=BB55_3 Depth=1
	s_or_b32 exec_lo, exec_lo, s10
	s_wait_dscnt 0x0
	s_barrier_signal -1
	s_barrier_wait -1
	s_and_saveexec_b32 s10, s46
	s_cbranch_execz .LBB55_190
; %bb.189:                              ;   in Loop: Header=BB55_3 Depth=1
	ds_load_b64 v[44:45], v52 offset:6240
	ds_load_b64 v[46:47], v54
	s_wait_dscnt 0x0
	v_pk_mul_f32 v[82:83], v[46:47], v[44:45] op_sel:[1,1] op_sel_hi:[0,1]
	s_delay_alu instid0(VALU_DEP_1) | instskip(SKIP_1) | instid1(VALU_DEP_2)
	v_pk_fma_f32 v[84:85], v[46:47], v[44:45], v[82:83] op_sel_hi:[1,0,1]
	v_pk_fma_f32 v[44:45], v[46:47], v[44:45], v[82:83] neg_lo:[0,0,1] neg_hi:[0,0,1]
	v_mov_b32_e32 v45, v85
	s_delay_alu instid0(VALU_DEP_1)
	v_pk_add_f32 v[42:43], v[42:43], v[44:45]
.LBB55_190:                             ;   in Loop: Header=BB55_3 Depth=1
	s_or_b32 exec_lo, exec_lo, s10
	s_barrier_signal -1
	s_barrier_wait -1
	s_and_saveexec_b32 s10, s47
; %bb.191:                              ;   in Loop: Header=BB55_3 Depth=1
	ds_store_b64 v54, v[42:43]
; %bb.192:                              ;   in Loop: Header=BB55_3 Depth=1
	s_or_b32 exec_lo, exec_lo, s10
	s_wait_dscnt 0x0
	s_barrier_signal -1
	s_barrier_wait -1
	s_and_saveexec_b32 s10, s48
	s_cbranch_execz .LBB55_194
; %bb.193:                              ;   in Loop: Header=BB55_3 Depth=1
	ds_load_b64 v[44:45], v52 offset:6752
	ds_load_b64 v[46:47], v54
	s_wait_dscnt 0x0
	v_pk_mul_f32 v[82:83], v[46:47], v[44:45] op_sel:[1,1] op_sel_hi:[0,1]
	s_delay_alu instid0(VALU_DEP_1) | instskip(SKIP_1) | instid1(VALU_DEP_2)
	v_pk_fma_f32 v[84:85], v[46:47], v[44:45], v[82:83] op_sel_hi:[1,0,1]
	v_pk_fma_f32 v[44:45], v[46:47], v[44:45], v[82:83] neg_lo:[0,0,1] neg_hi:[0,0,1]
	v_mov_b32_e32 v45, v85
	s_delay_alu instid0(VALU_DEP_1)
	v_pk_add_f32 v[42:43], v[42:43], v[44:45]
.LBB55_194:                             ;   in Loop: Header=BB55_3 Depth=1
	s_or_b32 exec_lo, exec_lo, s10
	s_barrier_signal -1
	s_barrier_wait -1
	;; [unrolled: 25-line block ×3, first 2 shown]
	s_and_saveexec_b32 s10, s50
; %bb.199:                              ;   in Loop: Header=BB55_3 Depth=1
	ds_store_b64 v54, v[42:43]
; %bb.200:                              ;   in Loop: Header=BB55_3 Depth=1
	s_or_b32 exec_lo, exec_lo, s10
	s_wait_dscnt 0x0
	s_barrier_signal -1
	s_barrier_wait -1
	s_barrier_signal -1
	s_barrier_wait -1
	s_and_saveexec_b32 s10, s4
; %bb.201:                              ;   in Loop: Header=BB55_3 Depth=1
	v_pk_add_f32 v[42:43], v[42:43], 0 neg_lo:[1,1] neg_hi:[1,1]
	ds_store_b64 v55, v[42:43] offset:4192
; %bb.202:                              ;   in Loop: Header=BB55_3 Depth=1
	s_or_b32 exec_lo, exec_lo, s10
	s_wait_dscnt 0x0
	s_barrier_signal -1
	s_barrier_wait -1
	s_barrier_signal -1
	s_barrier_wait -1
	s_and_saveexec_b32 s10, s12
; %bb.203:                              ;   in Loop: Header=BB55_3 Depth=1
	v_add_nc_u32_e64 v0, 0x1800, 0
	ds_store_2addr_b64 v0, v[38:39], v[38:39] offset0:12 offset1:77
; %bb.204:                              ;   in Loop: Header=BB55_3 Depth=1
	s_or_b32 exec_lo, exec_lo, s10
	v_mov_b64_e32 v[42:43], 0
	s_wait_dscnt 0x0
	s_barrier_signal -1
	s_barrier_wait -1
	s_and_saveexec_b32 s94, s3
	s_cbranch_execz .LBB55_208
; %bb.205:                              ;   in Loop: Header=BB55_3 Depth=1
	ds_load_b64 v[42:43], v49 offset:6256
	ds_load_b64 v[44:45], v50 offset:6240
	s_wait_dscnt 0x0
	v_pk_mul_f32 v[46:47], v[44:45], v[42:43] op_sel:[1,1] op_sel_hi:[0,1]
	s_delay_alu instid0(VALU_DEP_1) | instskip(SKIP_1) | instid1(VALU_DEP_2)
	v_pk_fma_f32 v[82:83], v[44:45], v[42:43], v[46:47] op_sel_hi:[1,0,1]
	v_pk_fma_f32 v[42:43], v[44:45], v[42:43], v[46:47] neg_lo:[0,0,1] neg_hi:[0,0,1]
	v_mov_b32_e32 v43, v83
	s_delay_alu instid0(VALU_DEP_1)
	v_pk_add_f32 v[42:43], v[42:43], 0 op_sel_hi:[1,0]
	s_and_saveexec_b32 s10, s13
	s_cbranch_execz .LBB55_207
; %bb.206:                              ;   in Loop: Header=BB55_3 Depth=1
	ds_load_b64 v[44:45], v51 offset:6768
	ds_load_b64 v[46:47], v1 offset:6248
	s_wait_dscnt 0x0
	v_pk_mul_f32 v[82:83], v[46:47], v[44:45] op_sel:[1,1] op_sel_hi:[0,1]
	s_delay_alu instid0(VALU_DEP_1) | instskip(SKIP_1) | instid1(VALU_DEP_2)
	v_pk_fma_f32 v[84:85], v[46:47], v[44:45], v[82:83] op_sel_hi:[1,0,1]
	v_pk_fma_f32 v[44:45], v[46:47], v[44:45], v[82:83] neg_lo:[0,0,1] neg_hi:[0,0,1]
	v_mov_b32_e32 v45, v85
	s_delay_alu instid0(VALU_DEP_1)
	v_pk_add_f32 v[42:43], v[42:43], v[44:45]
.LBB55_207:                             ;   in Loop: Header=BB55_3 Depth=1
	s_or_b32 exec_lo, exec_lo, s10
	s_delay_alu instid0(VALU_DEP_1)
	v_pk_add_f32 v[42:43], v[42:43], 0 neg_lo:[1,1] neg_hi:[1,1]
.LBB55_208:                             ;   in Loop: Header=BB55_3 Depth=1
	s_or_b32 exec_lo, exec_lo, s94
	s_and_saveexec_b32 s10, s104
; %bb.209:                              ;   in Loop: Header=BB55_3 Depth=1
	ds_store_b64 v48, v[42:43]
; %bb.210:                              ;   in Loop: Header=BB55_3 Depth=1
	s_or_b32 exec_lo, exec_lo, s10
	s_wait_dscnt 0x0
	s_barrier_signal -1
	s_barrier_wait -1
	s_and_saveexec_b32 s10, vcc_hi
	s_cbranch_execz .LBB55_212
; %bb.211:                              ;   in Loop: Header=BB55_3 Depth=1
	ds_load_b64 v[44:45], v1 offset:7288
	ds_load_b64 v[46:47], v48
	s_wait_dscnt 0x0
	v_pk_mul_f32 v[82:83], v[46:47], v[44:45] op_sel:[1,1] op_sel_hi:[0,1]
	s_delay_alu instid0(VALU_DEP_1) | instskip(SKIP_1) | instid1(VALU_DEP_2)
	v_pk_fma_f32 v[84:85], v[46:47], v[44:45], v[82:83] op_sel_hi:[1,0,1]
	v_pk_fma_f32 v[44:45], v[46:47], v[44:45], v[82:83] neg_lo:[0,0,1] neg_hi:[0,0,1]
	v_mov_b32_e32 v45, v85
	s_delay_alu instid0(VALU_DEP_1)
	v_pk_add_f32 v[42:43], v[42:43], v[44:45]
.LBB55_212:                             ;   in Loop: Header=BB55_3 Depth=1
	s_or_b32 exec_lo, exec_lo, s10
	s_barrier_signal -1
	s_barrier_wait -1
	s_and_saveexec_b32 s10, vcc_hi
; %bb.213:                              ;   in Loop: Header=BB55_3 Depth=1
	ds_store_b64 v48, v[42:43]
; %bb.214:                              ;   in Loop: Header=BB55_3 Depth=1
	s_or_b32 exec_lo, exec_lo, s10
	s_wait_dscnt 0x0
	s_barrier_signal -1
	s_barrier_wait -1
	s_barrier_signal -1
	s_barrier_wait -1
	s_and_saveexec_b32 s10, s3
; %bb.215:                              ;   in Loop: Header=BB55_3 Depth=1
	v_pk_add_f32 v[42:43], v[42:43], 0 neg_lo:[1,1] neg_hi:[1,1]
	ds_store_b64 v49, v[42:43] offset:6256
; %bb.216:                              ;   in Loop: Header=BB55_3 Depth=1
	s_or_b32 exec_lo, exec_lo, s10
	s_wait_dscnt 0x0
	s_barrier_signal -1
	s_barrier_wait -1
	s_barrier_signal -1
	s_barrier_wait -1
	s_and_saveexec_b32 s10, s12
; %bb.217:                              ;   in Loop: Header=BB55_3 Depth=1
	v_add_nc_u32_e64 v0, 0x1800, 0
	ds_store_2addr_b64 v0, v[38:39], v[38:39] offset0:142 offset1:207
; %bb.218:                              ;   in Loop: Header=BB55_3 Depth=1
	s_or_b32 exec_lo, exec_lo, s10
	v_mov_b64_e32 v[42:43], 0
	s_wait_dscnt 0x0
	s_barrier_signal -1
	s_barrier_wait -1
	s_and_saveexec_b32 s94, s6
	s_cbranch_execz .LBB55_246
; %bb.219:                              ;   in Loop: Header=BB55_3 Depth=1
	ds_load_b64 v[42:43], v65 offset:128
	ds_load_b64 v[44:45], v62
	v_readlane_b32 s8, v92, 22
	s_wait_dscnt 0x0
	v_dual_mul_f32 v0, v45, v43 :: v_dual_mul_f32 v43, v44, v43
	s_delay_alu instid0(VALU_DEP_1) | instskip(NEXT) | instid1(VALU_DEP_1)
	v_dual_fma_f32 v0, v44, v42, -v0 :: v_dual_fmac_f32 v43, v45, v42
	v_dual_add_f32 v42, 0, v0 :: v_dual_add_f32 v43, 0, v43
	s_and_saveexec_b32 s10, s8
	s_cbranch_execz .LBB55_221
; %bb.220:                              ;   in Loop: Header=BB55_3 Depth=1
	ds_load_b64 v[44:45], v66 offset:640
	ds_load_b64 v[46:47], v62 offset:8
	s_wait_dscnt 0x0
	v_dual_mul_f32 v0, v47, v45 :: v_dual_mul_f32 v45, v46, v45
	s_delay_alu instid0(VALU_DEP_1) | instskip(NEXT) | instid1(VALU_DEP_1)
	v_dual_fma_f32 v0, v46, v44, -v0 :: v_dual_fmac_f32 v45, v47, v44
	v_dual_add_f32 v42, v42, v0 :: v_dual_add_f32 v43, v43, v45
.LBB55_221:                             ;   in Loop: Header=BB55_3 Depth=1
	s_or_b32 exec_lo, exec_lo, s10
	v_readlane_b32 s8, v92, 23
	s_and_saveexec_b32 s10, s8
	s_cbranch_execz .LBB55_223
; %bb.222:                              ;   in Loop: Header=BB55_3 Depth=1
	ds_load_b64 v[44:45], v66 offset:1152
	ds_load_b64 v[46:47], v62 offset:16
	s_wait_dscnt 0x0
	v_dual_mul_f32 v0, v47, v45 :: v_dual_mul_f32 v45, v46, v45
	s_delay_alu instid0(VALU_DEP_1) | instskip(NEXT) | instid1(VALU_DEP_1)
	v_dual_fma_f32 v0, v46, v44, -v0 :: v_dual_fmac_f32 v45, v47, v44
	v_dual_add_f32 v42, v42, v0 :: v_dual_add_f32 v43, v43, v45
.LBB55_223:                             ;   in Loop: Header=BB55_3 Depth=1
	s_or_b32 exec_lo, exec_lo, s10
	v_readlane_b32 s8, v92, 24
	;; [unrolled: 13-line block ×10, first 2 shown]
	s_and_saveexec_b32 s10, s8
	s_cbranch_execnz .LBB55_1010
; %bb.240:                              ;   in Loop: Header=BB55_3 Depth=1
	s_or_b32 exec_lo, exec_lo, s10
	s_and_saveexec_b32 s10, s5
	s_cbranch_execnz .LBB55_1011
.LBB55_241:                             ;   in Loop: Header=BB55_3 Depth=1
	s_or_b32 exec_lo, exec_lo, s10
	s_and_saveexec_b32 s10, s17
	s_cbranch_execnz .LBB55_1012
.LBB55_242:                             ;   in Loop: Header=BB55_3 Depth=1
	s_or_b32 exec_lo, exec_lo, s10
	s_and_saveexec_b32 s10, s19
	s_cbranch_execnz .LBB55_1013
.LBB55_243:                             ;   in Loop: Header=BB55_3 Depth=1
	s_or_b32 exec_lo, exec_lo, s10
	s_and_saveexec_b32 s10, s4
	s_cbranch_execz .LBB55_245
.LBB55_244:                             ;   in Loop: Header=BB55_3 Depth=1
	ds_load_b64 v[44:45], v51 offset:7808
	ds_load_b64 v[46:47], v1 offset:120
	s_wait_dscnt 0x0
	v_dual_mul_f32 v0, v47, v45 :: v_dual_mul_f32 v83, v46, v45
	s_delay_alu instid0(VALU_DEP_1) | instskip(NEXT) | instid1(VALU_DEP_1)
	v_dual_fma_f32 v82, v46, v44, -v0 :: v_dual_fmac_f32 v83, v47, v44
	v_pk_add_f32 v[42:43], v[42:43], v[82:83]
.LBB55_245:                             ;   in Loop: Header=BB55_3 Depth=1
	s_or_b32 exec_lo, exec_lo, s10
	s_delay_alu instid0(VALU_DEP_1)
	v_pk_add_f32 v[42:43], v[42:43], 0 neg_lo:[1,1] neg_hi:[1,1]
.LBB55_246:                             ;   in Loop: Header=BB55_3 Depth=1
	s_or_b32 exec_lo, exec_lo, s94
	v_readlane_b32 s8, v92, 5
	s_and_saveexec_b32 s10, s8
; %bb.247:                              ;   in Loop: Header=BB55_3 Depth=1
	ds_store_b64 v64, v[42:43]
; %bb.248:                              ;   in Loop: Header=BB55_3 Depth=1
	s_or_b32 exec_lo, exec_lo, s10
	v_readlane_b32 s8, v92, 6
	s_wait_dscnt 0x0
	s_barrier_signal -1
	s_barrier_wait -1
	s_and_saveexec_b32 s10, s8
	s_cbranch_execz .LBB55_250
; %bb.249:                              ;   in Loop: Header=BB55_3 Depth=1
	ds_load_b64 v[44:45], v63 offset:8320
	ds_load_b64 v[46:47], v64
	s_wait_dscnt 0x0
	v_pk_mul_f32 v[82:83], v[46:47], v[44:45] op_sel:[1,1] op_sel_hi:[0,1]
	s_delay_alu instid0(VALU_DEP_1) | instskip(SKIP_1) | instid1(VALU_DEP_2)
	v_pk_fma_f32 v[84:85], v[46:47], v[44:45], v[82:83] op_sel_hi:[1,0,1]
	v_pk_fma_f32 v[44:45], v[46:47], v[44:45], v[82:83] neg_lo:[0,0,1] neg_hi:[0,0,1]
	v_mov_b32_e32 v45, v85
	s_delay_alu instid0(VALU_DEP_1)
	v_pk_add_f32 v[42:43], v[42:43], v[44:45]
.LBB55_250:                             ;   in Loop: Header=BB55_3 Depth=1
	s_or_b32 exec_lo, exec_lo, s10
	v_readlane_b32 s8, v92, 7
	s_barrier_signal -1
	s_barrier_wait -1
	s_and_saveexec_b32 s10, s8
; %bb.251:                              ;   in Loop: Header=BB55_3 Depth=1
	ds_store_b64 v64, v[42:43]
; %bb.252:                              ;   in Loop: Header=BB55_3 Depth=1
	s_or_b32 exec_lo, exec_lo, s10
	v_readlane_b32 s8, v92, 8
	s_wait_dscnt 0x0
	s_barrier_signal -1
	s_barrier_wait -1
	s_and_saveexec_b32 s10, s8
	s_cbranch_execz .LBB55_254
; %bb.253:                              ;   in Loop: Header=BB55_3 Depth=1
	ds_load_b64 v[44:45], v63 offset:8832
	ds_load_b64 v[46:47], v64
	s_wait_dscnt 0x0
	v_pk_mul_f32 v[82:83], v[46:47], v[44:45] op_sel:[1,1] op_sel_hi:[0,1]
	s_delay_alu instid0(VALU_DEP_1) | instskip(SKIP_1) | instid1(VALU_DEP_2)
	v_pk_fma_f32 v[84:85], v[46:47], v[44:45], v[82:83] op_sel_hi:[1,0,1]
	v_pk_fma_f32 v[44:45], v[46:47], v[44:45], v[82:83] neg_lo:[0,0,1] neg_hi:[0,0,1]
	v_mov_b32_e32 v45, v85
	s_delay_alu instid0(VALU_DEP_1)
	v_pk_add_f32 v[42:43], v[42:43], v[44:45]
.LBB55_254:                             ;   in Loop: Header=BB55_3 Depth=1
	s_or_b32 exec_lo, exec_lo, s10
	v_readlane_b32 s8, v92, 9
	s_barrier_signal -1
	s_barrier_wait -1
	s_and_saveexec_b32 s10, s8
; %bb.255:                              ;   in Loop: Header=BB55_3 Depth=1
	ds_store_b64 v64, v[42:43]
; %bb.256:                              ;   in Loop: Header=BB55_3 Depth=1
	s_or_b32 exec_lo, exec_lo, s10
	s_wait_dscnt 0x0
	s_barrier_signal -1
	s_barrier_wait -1
	s_and_saveexec_b32 s10, s25
	s_cbranch_execz .LBB55_258
; %bb.257:                              ;   in Loop: Header=BB55_3 Depth=1
	ds_load_b64 v[44:45], v63 offset:9344
	ds_load_b64 v[46:47], v64
	s_wait_dscnt 0x0
	v_pk_mul_f32 v[82:83], v[46:47], v[44:45] op_sel:[1,1] op_sel_hi:[0,1]
	s_delay_alu instid0(VALU_DEP_1) | instskip(SKIP_1) | instid1(VALU_DEP_2)
	v_pk_fma_f32 v[84:85], v[46:47], v[44:45], v[82:83] op_sel_hi:[1,0,1]
	v_pk_fma_f32 v[44:45], v[46:47], v[44:45], v[82:83] neg_lo:[0,0,1] neg_hi:[0,0,1]
	v_mov_b32_e32 v45, v85
	s_delay_alu instid0(VALU_DEP_1)
	v_pk_add_f32 v[42:43], v[42:43], v[44:45]
.LBB55_258:                             ;   in Loop: Header=BB55_3 Depth=1
	s_or_b32 exec_lo, exec_lo, s10
	s_barrier_signal -1
	s_barrier_wait -1
	s_and_saveexec_b32 s10, s27
; %bb.259:                              ;   in Loop: Header=BB55_3 Depth=1
	ds_store_b64 v64, v[42:43]
; %bb.260:                              ;   in Loop: Header=BB55_3 Depth=1
	s_or_b32 exec_lo, exec_lo, s10
	s_wait_dscnt 0x0
	s_barrier_signal -1
	s_barrier_wait -1
	s_and_saveexec_b32 s10, s29
	s_cbranch_execz .LBB55_262
; %bb.261:                              ;   in Loop: Header=BB55_3 Depth=1
	ds_load_b64 v[44:45], v63 offset:9856
	ds_load_b64 v[46:47], v64
	s_wait_dscnt 0x0
	v_dual_mul_f32 v0, v47, v45 :: v_dual_mul_f32 v45, v46, v45
	s_delay_alu instid0(VALU_DEP_1) | instskip(NEXT) | instid1(VALU_DEP_1)
	v_dual_fma_f32 v0, v46, v44, -v0 :: v_dual_fmac_f32 v45, v47, v44
	v_dual_add_f32 v42, v42, v0 :: v_dual_add_f32 v43, v43, v45
.LBB55_262:                             ;   in Loop: Header=BB55_3 Depth=1
	s_or_b32 exec_lo, exec_lo, s10
	s_barrier_signal -1
	s_barrier_wait -1
	s_and_saveexec_b32 s10, s31
; %bb.263:                              ;   in Loop: Header=BB55_3 Depth=1
	ds_store_b64 v64, v[42:43]
; %bb.264:                              ;   in Loop: Header=BB55_3 Depth=1
	s_or_b32 exec_lo, exec_lo, s10
	s_wait_dscnt 0x0
	s_barrier_signal -1
	s_barrier_wait -1
	s_and_saveexec_b32 s10, s36
	s_cbranch_execz .LBB55_266
; %bb.265:                              ;   in Loop: Header=BB55_3 Depth=1
	ds_load_b64 v[44:45], v63 offset:10368
	ds_load_b64 v[46:47], v64
	s_wait_dscnt 0x0
	v_dual_mul_f32 v0, v47, v45 :: v_dual_mul_f32 v83, v46, v45
	s_delay_alu instid0(VALU_DEP_1) | instskip(NEXT) | instid1(VALU_DEP_1)
	v_dual_fma_f32 v82, v46, v44, -v0 :: v_dual_fmac_f32 v83, v47, v44
	v_pk_add_f32 v[42:43], v[42:43], v[82:83]
.LBB55_266:                             ;   in Loop: Header=BB55_3 Depth=1
	s_or_b32 exec_lo, exec_lo, s10
	s_barrier_signal -1
	s_barrier_wait -1
	s_and_saveexec_b32 s10, s37
; %bb.267:                              ;   in Loop: Header=BB55_3 Depth=1
	ds_store_b64 v64, v[42:43]
; %bb.268:                              ;   in Loop: Header=BB55_3 Depth=1
	s_or_b32 exec_lo, exec_lo, s10
	s_wait_dscnt 0x0
	s_barrier_signal -1
	s_barrier_wait -1
	s_and_saveexec_b32 s10, s38
	s_cbranch_execz .LBB55_270
; %bb.269:                              ;   in Loop: Header=BB55_3 Depth=1
	ds_load_b64 v[44:45], v63 offset:10880
	ds_load_b64 v[46:47], v64
	s_wait_dscnt 0x0
	v_pk_mul_f32 v[82:83], v[46:47], v[44:45] op_sel:[1,1] op_sel_hi:[0,1]
	s_delay_alu instid0(VALU_DEP_1) | instskip(SKIP_1) | instid1(VALU_DEP_2)
	v_pk_fma_f32 v[84:85], v[46:47], v[44:45], v[82:83] op_sel_hi:[1,0,1]
	v_pk_fma_f32 v[44:45], v[46:47], v[44:45], v[82:83] neg_lo:[0,0,1] neg_hi:[0,0,1]
	v_mov_b32_e32 v45, v85
	s_delay_alu instid0(VALU_DEP_1)
	v_pk_add_f32 v[42:43], v[42:43], v[44:45]
.LBB55_270:                             ;   in Loop: Header=BB55_3 Depth=1
	s_or_b32 exec_lo, exec_lo, s10
	s_barrier_signal -1
	s_barrier_wait -1
	s_and_saveexec_b32 s10, s39
; %bb.271:                              ;   in Loop: Header=BB55_3 Depth=1
	ds_store_b64 v64, v[42:43]
; %bb.272:                              ;   in Loop: Header=BB55_3 Depth=1
	s_or_b32 exec_lo, exec_lo, s10
	s_wait_dscnt 0x0
	s_barrier_signal -1
	s_barrier_wait -1
	s_and_saveexec_b32 s10, s40
	s_cbranch_execz .LBB55_274
; %bb.273:                              ;   in Loop: Header=BB55_3 Depth=1
	ds_load_b64 v[44:45], v63 offset:11392
	ds_load_b64 v[46:47], v64
	s_wait_dscnt 0x0
	v_pk_mul_f32 v[82:83], v[46:47], v[44:45] op_sel:[1,1] op_sel_hi:[0,1]
	s_delay_alu instid0(VALU_DEP_1) | instskip(SKIP_1) | instid1(VALU_DEP_2)
	v_pk_fma_f32 v[84:85], v[46:47], v[44:45], v[82:83] op_sel_hi:[1,0,1]
	v_pk_fma_f32 v[44:45], v[46:47], v[44:45], v[82:83] neg_lo:[0,0,1] neg_hi:[0,0,1]
	v_mov_b32_e32 v45, v85
	s_delay_alu instid0(VALU_DEP_1)
	v_pk_add_f32 v[42:43], v[42:43], v[44:45]
.LBB55_274:                             ;   in Loop: Header=BB55_3 Depth=1
	;; [unrolled: 25-line block ×4, first 2 shown]
	s_or_b32 exec_lo, exec_lo, s10
	s_barrier_signal -1
	s_barrier_wait -1
	s_and_saveexec_b32 s10, s22
; %bb.283:                              ;   in Loop: Header=BB55_3 Depth=1
	ds_store_b64 v64, v[42:43]
; %bb.284:                              ;   in Loop: Header=BB55_3 Depth=1
	s_or_b32 exec_lo, exec_lo, s10
	s_wait_dscnt 0x0
	s_barrier_signal -1
	s_barrier_wait -1
	s_and_saveexec_b32 s10, s24
	s_cbranch_execz .LBB55_286
; %bb.285:                              ;   in Loop: Header=BB55_3 Depth=1
	ds_load_b64 v[44:45], v63 offset:12928
	ds_load_b64 v[46:47], v64
	s_wait_dscnt 0x0
	v_dual_mul_f32 v0, v47, v45 :: v_dual_mul_f32 v45, v46, v45
	s_delay_alu instid0(VALU_DEP_1) | instskip(NEXT) | instid1(VALU_DEP_1)
	v_dual_fma_f32 v0, v46, v44, -v0 :: v_dual_fmac_f32 v45, v47, v44
	v_dual_add_f32 v42, v42, v0 :: v_dual_add_f32 v43, v43, v45
.LBB55_286:                             ;   in Loop: Header=BB55_3 Depth=1
	s_or_b32 exec_lo, exec_lo, s10
	s_barrier_signal -1
	s_barrier_wait -1
	s_and_saveexec_b32 s10, s26
; %bb.287:                              ;   in Loop: Header=BB55_3 Depth=1
	ds_store_b64 v64, v[42:43]
; %bb.288:                              ;   in Loop: Header=BB55_3 Depth=1
	s_or_b32 exec_lo, exec_lo, s10
	s_wait_dscnt 0x0
	s_barrier_signal -1
	s_barrier_wait -1
	s_and_saveexec_b32 s10, s28
	s_cbranch_execz .LBB55_290
; %bb.289:                              ;   in Loop: Header=BB55_3 Depth=1
	ds_load_b64 v[44:45], v63 offset:13440
	ds_load_b64 v[46:47], v64
	s_wait_dscnt 0x0
	v_dual_mul_f32 v0, v47, v45 :: v_dual_mul_f32 v83, v46, v45
	s_delay_alu instid0(VALU_DEP_1) | instskip(NEXT) | instid1(VALU_DEP_1)
	v_dual_fma_f32 v82, v46, v44, -v0 :: v_dual_fmac_f32 v83, v47, v44
	v_pk_add_f32 v[42:43], v[42:43], v[82:83]
.LBB55_290:                             ;   in Loop: Header=BB55_3 Depth=1
	s_or_b32 exec_lo, exec_lo, s10
	s_barrier_signal -1
	s_barrier_wait -1
	s_and_saveexec_b32 s10, s30
; %bb.291:                              ;   in Loop: Header=BB55_3 Depth=1
	ds_store_b64 v64, v[42:43]
; %bb.292:                              ;   in Loop: Header=BB55_3 Depth=1
	s_or_b32 exec_lo, exec_lo, s10
	s_wait_dscnt 0x0
	s_barrier_signal -1
	s_barrier_wait -1
	s_and_saveexec_b32 s10, s76
	s_cbranch_execz .LBB55_294
; %bb.293:                              ;   in Loop: Header=BB55_3 Depth=1
	ds_load_b64 v[44:45], v63 offset:13952
	ds_load_b64 v[46:47], v64
	s_wait_dscnt 0x0
	v_pk_mul_f32 v[82:83], v[46:47], v[44:45] op_sel:[1,1] op_sel_hi:[0,1]
	s_delay_alu instid0(VALU_DEP_1) | instskip(SKIP_1) | instid1(VALU_DEP_2)
	v_pk_fma_f32 v[84:85], v[46:47], v[44:45], v[82:83] op_sel_hi:[1,0,1]
	v_pk_fma_f32 v[44:45], v[46:47], v[44:45], v[82:83] neg_lo:[0,0,1] neg_hi:[0,0,1]
	v_mov_b32_e32 v45, v85
	s_delay_alu instid0(VALU_DEP_1)
	v_pk_add_f32 v[42:43], v[42:43], v[44:45]
.LBB55_294:                             ;   in Loop: Header=BB55_3 Depth=1
	s_or_b32 exec_lo, exec_lo, s10
	s_barrier_signal -1
	s_barrier_wait -1
	s_and_saveexec_b32 s10, s77
; %bb.295:                              ;   in Loop: Header=BB55_3 Depth=1
	ds_store_b64 v64, v[42:43]
; %bb.296:                              ;   in Loop: Header=BB55_3 Depth=1
	s_or_b32 exec_lo, exec_lo, s10
	s_wait_dscnt 0x0
	s_barrier_signal -1
	s_barrier_wait -1
	s_and_saveexec_b32 s10, s74
	s_cbranch_execz .LBB55_298
; %bb.297:                              ;   in Loop: Header=BB55_3 Depth=1
	ds_load_b64 v[44:45], v63 offset:14464
	ds_load_b64 v[46:47], v64
	s_wait_dscnt 0x0
	v_pk_mul_f32 v[82:83], v[46:47], v[44:45] op_sel:[1,1] op_sel_hi:[0,1]
	s_delay_alu instid0(VALU_DEP_1) | instskip(SKIP_1) | instid1(VALU_DEP_2)
	v_pk_fma_f32 v[84:85], v[46:47], v[44:45], v[82:83] op_sel_hi:[1,0,1]
	v_pk_fma_f32 v[44:45], v[46:47], v[44:45], v[82:83] neg_lo:[0,0,1] neg_hi:[0,0,1]
	v_mov_b32_e32 v45, v85
	s_delay_alu instid0(VALU_DEP_1)
	v_pk_add_f32 v[42:43], v[42:43], v[44:45]
.LBB55_298:                             ;   in Loop: Header=BB55_3 Depth=1
	;; [unrolled: 25-line block ×4, first 2 shown]
	s_or_b32 exec_lo, exec_lo, s10
	s_barrier_signal -1
	s_barrier_wait -1
	s_and_saveexec_b32 s10, s66
; %bb.307:                              ;   in Loop: Header=BB55_3 Depth=1
	ds_store_b64 v64, v[42:43]
; %bb.308:                              ;   in Loop: Header=BB55_3 Depth=1
	s_or_b32 exec_lo, exec_lo, s10
	s_wait_dscnt 0x0
	s_barrier_signal -1
	s_barrier_wait -1
	s_barrier_signal -1
	s_barrier_wait -1
	s_and_saveexec_b32 s10, s6
; %bb.309:                              ;   in Loop: Header=BB55_3 Depth=1
	v_pk_add_f32 v[42:43], v[42:43], 0 neg_lo:[1,1] neg_hi:[1,1]
	ds_store_b64 v65, v[42:43] offset:128
; %bb.310:                              ;   in Loop: Header=BB55_3 Depth=1
	s_or_b32 exec_lo, exec_lo, s10
	s_wait_dscnt 0x0
	s_barrier_signal -1
	s_barrier_wait -1
	s_barrier_signal -1
	s_barrier_wait -1
	s_and_saveexec_b32 s10, s12
; %bb.311:                              ;   in Loop: Header=BB55_3 Depth=1
	v_add_nc_u32_e64 v0, 0x2000, 0
	ds_store_2addr_b64 v0, v[38:39], v[38:39] offset0:16 offset1:81
; %bb.312:                              ;   in Loop: Header=BB55_3 Depth=1
	s_or_b32 exec_lo, exec_lo, s10
	v_mov_b64_e32 v[42:43], 0
	s_wait_dscnt 0x0
	s_barrier_signal -1
	s_barrier_wait -1
	s_and_saveexec_b32 s94, s3
	s_cbranch_execz .LBB55_316
; %bb.313:                              ;   in Loop: Header=BB55_3 Depth=1
	ds_load_b64 v[42:43], v49 offset:8336
	ds_load_b64 v[44:45], v50 offset:8320
	s_wait_dscnt 0x0
	v_pk_mul_f32 v[46:47], v[44:45], v[42:43] op_sel:[1,1] op_sel_hi:[0,1]
	s_delay_alu instid0(VALU_DEP_1) | instskip(SKIP_1) | instid1(VALU_DEP_2)
	v_pk_fma_f32 v[82:83], v[44:45], v[42:43], v[46:47] op_sel_hi:[1,0,1]
	v_pk_fma_f32 v[42:43], v[44:45], v[42:43], v[46:47] neg_lo:[0,0,1] neg_hi:[0,0,1]
	v_mov_b32_e32 v43, v83
	s_delay_alu instid0(VALU_DEP_1)
	v_pk_add_f32 v[42:43], v[42:43], 0 op_sel_hi:[1,0]
	s_and_saveexec_b32 s10, s13
	s_cbranch_execz .LBB55_315
; %bb.314:                              ;   in Loop: Header=BB55_3 Depth=1
	ds_load_b64 v[44:45], v51 offset:8848
	ds_load_b64 v[46:47], v1 offset:8328
	s_wait_dscnt 0x0
	v_pk_mul_f32 v[82:83], v[46:47], v[44:45] op_sel:[1,1] op_sel_hi:[0,1]
	s_delay_alu instid0(VALU_DEP_1) | instskip(SKIP_1) | instid1(VALU_DEP_2)
	v_pk_fma_f32 v[84:85], v[46:47], v[44:45], v[82:83] op_sel_hi:[1,0,1]
	v_pk_fma_f32 v[44:45], v[46:47], v[44:45], v[82:83] neg_lo:[0,0,1] neg_hi:[0,0,1]
	v_mov_b32_e32 v45, v85
	s_delay_alu instid0(VALU_DEP_1)
	v_pk_add_f32 v[42:43], v[42:43], v[44:45]
.LBB55_315:                             ;   in Loop: Header=BB55_3 Depth=1
	s_or_b32 exec_lo, exec_lo, s10
	s_delay_alu instid0(VALU_DEP_1)
	v_pk_add_f32 v[42:43], v[42:43], 0 neg_lo:[1,1] neg_hi:[1,1]
.LBB55_316:                             ;   in Loop: Header=BB55_3 Depth=1
	s_or_b32 exec_lo, exec_lo, s94
	s_and_saveexec_b32 s10, s104
; %bb.317:                              ;   in Loop: Header=BB55_3 Depth=1
	ds_store_b64 v48, v[42:43]
; %bb.318:                              ;   in Loop: Header=BB55_3 Depth=1
	s_or_b32 exec_lo, exec_lo, s10
	s_wait_dscnt 0x0
	s_barrier_signal -1
	s_barrier_wait -1
	s_and_saveexec_b32 s10, vcc_hi
	s_cbranch_execz .LBB55_320
; %bb.319:                              ;   in Loop: Header=BB55_3 Depth=1
	ds_load_b64 v[44:45], v1 offset:9368
	ds_load_b64 v[46:47], v48
	s_wait_dscnt 0x0
	v_pk_mul_f32 v[82:83], v[46:47], v[44:45] op_sel:[1,1] op_sel_hi:[0,1]
	s_delay_alu instid0(VALU_DEP_1) | instskip(SKIP_1) | instid1(VALU_DEP_2)
	v_pk_fma_f32 v[84:85], v[46:47], v[44:45], v[82:83] op_sel_hi:[1,0,1]
	v_pk_fma_f32 v[44:45], v[46:47], v[44:45], v[82:83] neg_lo:[0,0,1] neg_hi:[0,0,1]
	v_mov_b32_e32 v45, v85
	s_delay_alu instid0(VALU_DEP_1)
	v_pk_add_f32 v[42:43], v[42:43], v[44:45]
.LBB55_320:                             ;   in Loop: Header=BB55_3 Depth=1
	s_or_b32 exec_lo, exec_lo, s10
	s_barrier_signal -1
	s_barrier_wait -1
	s_and_saveexec_b32 s10, vcc_hi
; %bb.321:                              ;   in Loop: Header=BB55_3 Depth=1
	ds_store_b64 v48, v[42:43]
; %bb.322:                              ;   in Loop: Header=BB55_3 Depth=1
	s_or_b32 exec_lo, exec_lo, s10
	s_wait_dscnt 0x0
	s_barrier_signal -1
	s_barrier_wait -1
	s_barrier_signal -1
	s_barrier_wait -1
	s_and_saveexec_b32 s10, s3
; %bb.323:                              ;   in Loop: Header=BB55_3 Depth=1
	v_pk_add_f32 v[42:43], v[42:43], 0 neg_lo:[1,1] neg_hi:[1,1]
	ds_store_b64 v49, v[42:43] offset:8336
; %bb.324:                              ;   in Loop: Header=BB55_3 Depth=1
	s_or_b32 exec_lo, exec_lo, s10
	s_wait_dscnt 0x0
	s_barrier_signal -1
	s_barrier_wait -1
	s_barrier_signal -1
	s_barrier_wait -1
	s_and_saveexec_b32 s10, s12
; %bb.325:                              ;   in Loop: Header=BB55_3 Depth=1
	v_add_nc_u32_e64 v0, 0x2000, 0
	ds_store_2addr_b64 v0, v[38:39], v[38:39] offset0:146 offset1:211
; %bb.326:                              ;   in Loop: Header=BB55_3 Depth=1
	s_or_b32 exec_lo, exec_lo, s10
	v_mov_b64_e32 v[42:43], 0
	s_wait_dscnt 0x0
	s_barrier_signal -1
	s_barrier_wait -1
	s_and_saveexec_b32 s94, s4
	s_cbranch_execz .LBB55_332
; %bb.327:                              ;   in Loop: Header=BB55_3 Depth=1
	ds_load_b64 v[42:43], v55 offset:8352
	ds_load_b64 v[44:45], v53 offset:8320
	s_wait_dscnt 0x0
	v_dual_mul_f32 v0, v45, v43 :: v_dual_mul_f32 v43, v44, v43
	s_delay_alu instid0(VALU_DEP_1) | instskip(NEXT) | instid1(VALU_DEP_1)
	v_dual_fma_f32 v0, v44, v42, -v0 :: v_dual_fmac_f32 v43, v45, v42
	v_dual_add_f32 v42, 0, v0 :: v_dual_add_f32 v43, 0, v43
	s_and_saveexec_b32 s10, s14
	s_cbranch_execnz .LBB55_1014
; %bb.328:                              ;   in Loop: Header=BB55_3 Depth=1
	s_or_b32 exec_lo, exec_lo, s10
	s_and_saveexec_b32 s10, s15
	s_cbranch_execnz .LBB55_1015
.LBB55_329:                             ;   in Loop: Header=BB55_3 Depth=1
	s_or_b32 exec_lo, exec_lo, s10
	s_and_saveexec_b32 s10, s3
	s_cbranch_execz .LBB55_331
.LBB55_330:                             ;   in Loop: Header=BB55_3 Depth=1
	ds_load_b64 v[44:45], v51 offset:9888
	ds_load_b64 v[46:47], v1 offset:8344
	s_wait_dscnt 0x0
	v_dual_mul_f32 v0, v47, v45 :: v_dual_mul_f32 v83, v46, v45
	s_delay_alu instid0(VALU_DEP_1) | instskip(NEXT) | instid1(VALU_DEP_1)
	v_dual_fma_f32 v82, v46, v44, -v0 :: v_dual_fmac_f32 v83, v47, v44
	v_pk_add_f32 v[42:43], v[42:43], v[82:83]
.LBB55_331:                             ;   in Loop: Header=BB55_3 Depth=1
	s_or_b32 exec_lo, exec_lo, s10
	s_delay_alu instid0(VALU_DEP_1)
	v_pk_add_f32 v[42:43], v[42:43], 0 neg_lo:[1,1] neg_hi:[1,1]
.LBB55_332:                             ;   in Loop: Header=BB55_3 Depth=1
	s_or_b32 exec_lo, exec_lo, s94
	s_and_saveexec_b32 s10, s45
; %bb.333:                              ;   in Loop: Header=BB55_3 Depth=1
	ds_store_b64 v54, v[42:43]
; %bb.334:                              ;   in Loop: Header=BB55_3 Depth=1
	s_or_b32 exec_lo, exec_lo, s10
	s_wait_dscnt 0x0
	s_barrier_signal -1
	s_barrier_wait -1
	s_and_saveexec_b32 s10, s46
	s_cbranch_execz .LBB55_336
; %bb.335:                              ;   in Loop: Header=BB55_3 Depth=1
	ds_load_b64 v[44:45], v52 offset:10400
	ds_load_b64 v[46:47], v54
	s_wait_dscnt 0x0
	v_pk_mul_f32 v[82:83], v[46:47], v[44:45] op_sel:[1,1] op_sel_hi:[0,1]
	s_delay_alu instid0(VALU_DEP_1) | instskip(SKIP_1) | instid1(VALU_DEP_2)
	v_pk_fma_f32 v[84:85], v[46:47], v[44:45], v[82:83] op_sel_hi:[1,0,1]
	v_pk_fma_f32 v[44:45], v[46:47], v[44:45], v[82:83] neg_lo:[0,0,1] neg_hi:[0,0,1]
	v_mov_b32_e32 v45, v85
	s_delay_alu instid0(VALU_DEP_1)
	v_pk_add_f32 v[42:43], v[42:43], v[44:45]
.LBB55_336:                             ;   in Loop: Header=BB55_3 Depth=1
	s_or_b32 exec_lo, exec_lo, s10
	s_barrier_signal -1
	s_barrier_wait -1
	s_and_saveexec_b32 s10, s47
; %bb.337:                              ;   in Loop: Header=BB55_3 Depth=1
	ds_store_b64 v54, v[42:43]
; %bb.338:                              ;   in Loop: Header=BB55_3 Depth=1
	s_or_b32 exec_lo, exec_lo, s10
	s_wait_dscnt 0x0
	s_barrier_signal -1
	s_barrier_wait -1
	s_and_saveexec_b32 s10, s48
	s_cbranch_execz .LBB55_340
; %bb.339:                              ;   in Loop: Header=BB55_3 Depth=1
	ds_load_b64 v[44:45], v52 offset:10912
	ds_load_b64 v[46:47], v54
	s_wait_dscnt 0x0
	v_pk_mul_f32 v[82:83], v[46:47], v[44:45] op_sel:[1,1] op_sel_hi:[0,1]
	s_delay_alu instid0(VALU_DEP_1) | instskip(SKIP_1) | instid1(VALU_DEP_2)
	v_pk_fma_f32 v[84:85], v[46:47], v[44:45], v[82:83] op_sel_hi:[1,0,1]
	v_pk_fma_f32 v[44:45], v[46:47], v[44:45], v[82:83] neg_lo:[0,0,1] neg_hi:[0,0,1]
	v_mov_b32_e32 v45, v85
	s_delay_alu instid0(VALU_DEP_1)
	v_pk_add_f32 v[42:43], v[42:43], v[44:45]
.LBB55_340:                             ;   in Loop: Header=BB55_3 Depth=1
	s_or_b32 exec_lo, exec_lo, s10
	s_barrier_signal -1
	s_barrier_wait -1
	s_and_saveexec_b32 s10, s49
; %bb.341:                              ;   in Loop: Header=BB55_3 Depth=1
	ds_store_b64 v54, v[42:43]
; %bb.342:                              ;   in Loop: Header=BB55_3 Depth=1
	s_or_b32 exec_lo, exec_lo, s10
	s_wait_dscnt 0x0
	s_barrier_signal -1
	s_barrier_wait -1
	s_and_saveexec_b32 s10, s50
	s_cbranch_execz .LBB55_344
; %bb.343:                              ;   in Loop: Header=BB55_3 Depth=1
	ds_load_b64 v[44:45], v1 offset:11448
	ds_load_b64 v[46:47], v54
	s_wait_dscnt 0x0
	v_pk_mul_f32 v[82:83], v[46:47], v[44:45] op_sel:[1,1] op_sel_hi:[0,1]
	s_delay_alu instid0(VALU_DEP_1) | instskip(SKIP_1) | instid1(VALU_DEP_2)
	v_pk_fma_f32 v[84:85], v[46:47], v[44:45], v[82:83] op_sel_hi:[1,0,1]
	v_pk_fma_f32 v[44:45], v[46:47], v[44:45], v[82:83] neg_lo:[0,0,1] neg_hi:[0,0,1]
	v_mov_b32_e32 v45, v85
	s_delay_alu instid0(VALU_DEP_1)
	v_pk_add_f32 v[42:43], v[42:43], v[44:45]
.LBB55_344:                             ;   in Loop: Header=BB55_3 Depth=1
	s_or_b32 exec_lo, exec_lo, s10
	s_barrier_signal -1
	s_barrier_wait -1
	s_and_saveexec_b32 s10, s50
; %bb.345:                              ;   in Loop: Header=BB55_3 Depth=1
	ds_store_b64 v54, v[42:43]
; %bb.346:                              ;   in Loop: Header=BB55_3 Depth=1
	s_or_b32 exec_lo, exec_lo, s10
	s_wait_dscnt 0x0
	s_barrier_signal -1
	s_barrier_wait -1
	s_barrier_signal -1
	s_barrier_wait -1
	s_and_saveexec_b32 s10, s4
; %bb.347:                              ;   in Loop: Header=BB55_3 Depth=1
	v_pk_add_f32 v[42:43], v[42:43], 0 neg_lo:[1,1] neg_hi:[1,1]
	ds_store_b64 v55, v[42:43] offset:8352
; %bb.348:                              ;   in Loop: Header=BB55_3 Depth=1
	s_or_b32 exec_lo, exec_lo, s10
	s_wait_dscnt 0x0
	s_barrier_signal -1
	s_barrier_wait -1
	s_barrier_signal -1
	s_barrier_wait -1
	s_and_saveexec_b32 s10, s12
; %bb.349:                              ;   in Loop: Header=BB55_3 Depth=1
	v_add_nc_u32_e64 v0, 0x2800, 0
	ds_store_2addr_b64 v0, v[38:39], v[38:39] offset0:20 offset1:85
; %bb.350:                              ;   in Loop: Header=BB55_3 Depth=1
	s_or_b32 exec_lo, exec_lo, s10
	v_mov_b64_e32 v[42:43], 0
	s_wait_dscnt 0x0
	s_barrier_signal -1
	s_barrier_wait -1
	s_and_saveexec_b32 s94, s3
	s_cbranch_execz .LBB55_354
; %bb.351:                              ;   in Loop: Header=BB55_3 Depth=1
	ds_load_b64 v[42:43], v49 offset:10416
	ds_load_b64 v[44:45], v50 offset:10400
	s_wait_dscnt 0x0
	v_pk_mul_f32 v[46:47], v[44:45], v[42:43] op_sel:[1,1] op_sel_hi:[0,1]
	s_delay_alu instid0(VALU_DEP_1) | instskip(SKIP_1) | instid1(VALU_DEP_2)
	v_pk_fma_f32 v[82:83], v[44:45], v[42:43], v[46:47] op_sel_hi:[1,0,1]
	v_pk_fma_f32 v[42:43], v[44:45], v[42:43], v[46:47] neg_lo:[0,0,1] neg_hi:[0,0,1]
	v_mov_b32_e32 v43, v83
	s_delay_alu instid0(VALU_DEP_1)
	v_pk_add_f32 v[42:43], v[42:43], 0 op_sel_hi:[1,0]
	s_and_saveexec_b32 s10, s13
	s_cbranch_execz .LBB55_353
; %bb.352:                              ;   in Loop: Header=BB55_3 Depth=1
	ds_load_b64 v[44:45], v51 offset:10928
	ds_load_b64 v[46:47], v1 offset:10408
	s_wait_dscnt 0x0
	v_pk_mul_f32 v[82:83], v[46:47], v[44:45] op_sel:[1,1] op_sel_hi:[0,1]
	s_delay_alu instid0(VALU_DEP_1) | instskip(SKIP_1) | instid1(VALU_DEP_2)
	v_pk_fma_f32 v[84:85], v[46:47], v[44:45], v[82:83] op_sel_hi:[1,0,1]
	v_pk_fma_f32 v[44:45], v[46:47], v[44:45], v[82:83] neg_lo:[0,0,1] neg_hi:[0,0,1]
	v_mov_b32_e32 v45, v85
	s_delay_alu instid0(VALU_DEP_1)
	v_pk_add_f32 v[42:43], v[42:43], v[44:45]
.LBB55_353:                             ;   in Loop: Header=BB55_3 Depth=1
	s_or_b32 exec_lo, exec_lo, s10
	s_delay_alu instid0(VALU_DEP_1)
	v_pk_add_f32 v[42:43], v[42:43], 0 neg_lo:[1,1] neg_hi:[1,1]
.LBB55_354:                             ;   in Loop: Header=BB55_3 Depth=1
	s_or_b32 exec_lo, exec_lo, s94
	s_and_saveexec_b32 s10, s104
; %bb.355:                              ;   in Loop: Header=BB55_3 Depth=1
	ds_store_b64 v48, v[42:43]
; %bb.356:                              ;   in Loop: Header=BB55_3 Depth=1
	s_or_b32 exec_lo, exec_lo, s10
	s_wait_dscnt 0x0
	s_barrier_signal -1
	s_barrier_wait -1
	s_and_saveexec_b32 s10, vcc_hi
	s_cbranch_execz .LBB55_358
; %bb.357:                              ;   in Loop: Header=BB55_3 Depth=1
	ds_load_b64 v[44:45], v1 offset:11448
	ds_load_b64 v[46:47], v48
	s_wait_dscnt 0x0
	v_pk_mul_f32 v[82:83], v[46:47], v[44:45] op_sel:[1,1] op_sel_hi:[0,1]
	s_delay_alu instid0(VALU_DEP_1) | instskip(SKIP_1) | instid1(VALU_DEP_2)
	v_pk_fma_f32 v[84:85], v[46:47], v[44:45], v[82:83] op_sel_hi:[1,0,1]
	v_pk_fma_f32 v[44:45], v[46:47], v[44:45], v[82:83] neg_lo:[0,0,1] neg_hi:[0,0,1]
	v_mov_b32_e32 v45, v85
	s_delay_alu instid0(VALU_DEP_1)
	v_pk_add_f32 v[42:43], v[42:43], v[44:45]
.LBB55_358:                             ;   in Loop: Header=BB55_3 Depth=1
	s_or_b32 exec_lo, exec_lo, s10
	s_barrier_signal -1
	s_barrier_wait -1
	s_and_saveexec_b32 s10, vcc_hi
; %bb.359:                              ;   in Loop: Header=BB55_3 Depth=1
	ds_store_b64 v48, v[42:43]
; %bb.360:                              ;   in Loop: Header=BB55_3 Depth=1
	s_or_b32 exec_lo, exec_lo, s10
	s_wait_dscnt 0x0
	s_barrier_signal -1
	s_barrier_wait -1
	s_barrier_signal -1
	s_barrier_wait -1
	s_and_saveexec_b32 s10, s3
; %bb.361:                              ;   in Loop: Header=BB55_3 Depth=1
	v_pk_add_f32 v[42:43], v[42:43], 0 neg_lo:[1,1] neg_hi:[1,1]
	ds_store_b64 v49, v[42:43] offset:10416
; %bb.362:                              ;   in Loop: Header=BB55_3 Depth=1
	s_or_b32 exec_lo, exec_lo, s10
	s_wait_dscnt 0x0
	s_barrier_signal -1
	s_barrier_wait -1
	s_barrier_signal -1
	s_barrier_wait -1
	s_and_saveexec_b32 s10, s12
; %bb.363:                              ;   in Loop: Header=BB55_3 Depth=1
	v_add_nc_u32_e64 v0, 0x2800, 0
	ds_store_2addr_b64 v0, v[38:39], v[38:39] offset0:150 offset1:215
; %bb.364:                              ;   in Loop: Header=BB55_3 Depth=1
	s_or_b32 exec_lo, exec_lo, s10
	v_mov_b64_e32 v[42:43], 0
	s_wait_dscnt 0x0
	s_barrier_signal -1
	s_barrier_wait -1
	s_and_saveexec_b32 s94, s5
	s_cbranch_execz .LBB55_374
; %bb.365:                              ;   in Loop: Header=BB55_3 Depth=1
	ds_load_b64 v[42:43], v60 offset:8384
	ds_load_b64 v[44:45], v57 offset:8320
	s_wait_dscnt 0x0
	v_dual_mul_f32 v0, v45, v43 :: v_dual_mul_f32 v43, v44, v43
	s_delay_alu instid0(VALU_DEP_1) | instskip(NEXT) | instid1(VALU_DEP_1)
	v_dual_fma_f32 v0, v44, v42, -v0 :: v_dual_fmac_f32 v43, v45, v42
	v_dual_add_f32 v42, 0, v0 :: v_dual_add_f32 v43, 0, v43
	s_and_saveexec_b32 s10, s16
	s_cbranch_execnz .LBB55_1016
; %bb.366:                              ;   in Loop: Header=BB55_3 Depth=1
	s_or_b32 exec_lo, exec_lo, s10
	s_and_saveexec_b32 s10, s17
	s_cbranch_execnz .LBB55_1017
.LBB55_367:                             ;   in Loop: Header=BB55_3 Depth=1
	s_or_b32 exec_lo, exec_lo, s10
	s_and_saveexec_b32 s10, s18
	s_cbranch_execnz .LBB55_1018
.LBB55_368:                             ;   in Loop: Header=BB55_3 Depth=1
	s_or_b32 exec_lo, exec_lo, s10
	s_and_saveexec_b32 s10, s19
	s_cbranch_execnz .LBB55_1019
.LBB55_369:                             ;   in Loop: Header=BB55_3 Depth=1
	s_or_b32 exec_lo, exec_lo, s10
	s_and_saveexec_b32 s10, s20
	s_cbranch_execnz .LBB55_1020
.LBB55_370:                             ;   in Loop: Header=BB55_3 Depth=1
	s_or_b32 exec_lo, exec_lo, s10
	s_and_saveexec_b32 s10, s4
	s_cbranch_execnz .LBB55_1021
.LBB55_371:                             ;   in Loop: Header=BB55_3 Depth=1
	s_or_b32 exec_lo, exec_lo, s10
	s_and_saveexec_b32 s10, s15
	s_cbranch_execz .LBB55_373
.LBB55_372:                             ;   in Loop: Header=BB55_3 Depth=1
	ds_load_b64 v[44:45], v51 offset:11968
	ds_load_b64 v[46:47], v1 offset:8376
	s_wait_dscnt 0x0
	v_pk_mul_f32 v[82:83], v[46:47], v[44:45] op_sel:[1,1] op_sel_hi:[0,1]
	s_delay_alu instid0(VALU_DEP_1) | instskip(SKIP_1) | instid1(VALU_DEP_2)
	v_pk_fma_f32 v[84:85], v[46:47], v[44:45], v[82:83] op_sel_hi:[1,0,1]
	v_pk_fma_f32 v[44:45], v[46:47], v[44:45], v[82:83] neg_lo:[0,0,1] neg_hi:[0,0,1]
	v_mov_b32_e32 v45, v85
	s_delay_alu instid0(VALU_DEP_1)
	v_pk_add_f32 v[42:43], v[42:43], v[44:45]
.LBB55_373:                             ;   in Loop: Header=BB55_3 Depth=1
	s_or_b32 exec_lo, exec_lo, s10
	s_delay_alu instid0(VALU_DEP_1)
	v_pk_add_f32 v[42:43], v[42:43], 0 neg_lo:[1,1] neg_hi:[1,1]
.LBB55_374:                             ;   in Loop: Header=BB55_3 Depth=1
	s_or_b32 exec_lo, exec_lo, s94
	s_and_saveexec_b32 s10, s51
; %bb.375:                              ;   in Loop: Header=BB55_3 Depth=1
	ds_store_b64 v59, v[42:43]
; %bb.376:                              ;   in Loop: Header=BB55_3 Depth=1
	s_or_b32 exec_lo, exec_lo, s10
	s_wait_dscnt 0x0
	s_barrier_signal -1
	s_barrier_wait -1
	s_and_saveexec_b32 s10, s52
	s_cbranch_execz .LBB55_378
; %bb.377:                              ;   in Loop: Header=BB55_3 Depth=1
	ds_load_b64 v[44:45], v58 offset:12480
	ds_load_b64 v[46:47], v59
	s_wait_dscnt 0x0
	v_pk_mul_f32 v[82:83], v[46:47], v[44:45] op_sel:[1,1] op_sel_hi:[0,1]
	s_delay_alu instid0(VALU_DEP_1) | instskip(SKIP_1) | instid1(VALU_DEP_2)
	v_pk_fma_f32 v[84:85], v[46:47], v[44:45], v[82:83] op_sel_hi:[1,0,1]
	v_pk_fma_f32 v[44:45], v[46:47], v[44:45], v[82:83] neg_lo:[0,0,1] neg_hi:[0,0,1]
	v_mov_b32_e32 v45, v85
	s_delay_alu instid0(VALU_DEP_1)
	v_pk_add_f32 v[42:43], v[42:43], v[44:45]
.LBB55_378:                             ;   in Loop: Header=BB55_3 Depth=1
	s_or_b32 exec_lo, exec_lo, s10
	s_barrier_signal -1
	s_barrier_wait -1
	s_and_saveexec_b32 s10, s53
; %bb.379:                              ;   in Loop: Header=BB55_3 Depth=1
	ds_store_b64 v59, v[42:43]
; %bb.380:                              ;   in Loop: Header=BB55_3 Depth=1
	s_or_b32 exec_lo, exec_lo, s10
	s_wait_dscnt 0x0
	s_barrier_signal -1
	s_barrier_wait -1
	s_and_saveexec_b32 s10, s54
	s_cbranch_execz .LBB55_382
; %bb.381:                              ;   in Loop: Header=BB55_3 Depth=1
	ds_load_b64 v[44:45], v58 offset:12992
	ds_load_b64 v[46:47], v59
	s_wait_dscnt 0x0
	v_dual_mul_f32 v0, v47, v45 :: v_dual_mul_f32 v45, v46, v45
	s_delay_alu instid0(VALU_DEP_1) | instskip(NEXT) | instid1(VALU_DEP_1)
	v_dual_fma_f32 v0, v46, v44, -v0 :: v_dual_fmac_f32 v45, v47, v44
	v_dual_add_f32 v42, v42, v0 :: v_dual_add_f32 v43, v43, v45
.LBB55_382:                             ;   in Loop: Header=BB55_3 Depth=1
	s_or_b32 exec_lo, exec_lo, s10
	s_barrier_signal -1
	s_barrier_wait -1
	s_and_saveexec_b32 s10, s55
; %bb.383:                              ;   in Loop: Header=BB55_3 Depth=1
	ds_store_b64 v59, v[42:43]
; %bb.384:                              ;   in Loop: Header=BB55_3 Depth=1
	s_or_b32 exec_lo, exec_lo, s10
	s_wait_dscnt 0x0
	s_barrier_signal -1
	s_barrier_wait -1
	s_and_saveexec_b32 s10, s56
	s_cbranch_execz .LBB55_386
; %bb.385:                              ;   in Loop: Header=BB55_3 Depth=1
	ds_load_b64 v[44:45], v58 offset:13504
	ds_load_b64 v[46:47], v59
	s_wait_dscnt 0x0
	v_dual_mul_f32 v0, v47, v45 :: v_dual_mul_f32 v83, v46, v45
	s_delay_alu instid0(VALU_DEP_1) | instskip(NEXT) | instid1(VALU_DEP_1)
	v_dual_fma_f32 v82, v46, v44, -v0 :: v_dual_fmac_f32 v83, v47, v44
	v_pk_add_f32 v[42:43], v[42:43], v[82:83]
.LBB55_386:                             ;   in Loop: Header=BB55_3 Depth=1
	s_or_b32 exec_lo, exec_lo, s10
	s_barrier_signal -1
	s_barrier_wait -1
	s_and_saveexec_b32 s10, s57
; %bb.387:                              ;   in Loop: Header=BB55_3 Depth=1
	ds_store_b64 v59, v[42:43]
; %bb.388:                              ;   in Loop: Header=BB55_3 Depth=1
	s_or_b32 exec_lo, exec_lo, s10
	s_wait_dscnt 0x0
	s_barrier_signal -1
	s_barrier_wait -1
	s_and_saveexec_b32 s10, s58
	s_cbranch_execz .LBB55_390
; %bb.389:                              ;   in Loop: Header=BB55_3 Depth=1
	ds_load_b64 v[44:45], v58 offset:14016
	ds_load_b64 v[46:47], v59
	s_wait_dscnt 0x0
	v_pk_mul_f32 v[82:83], v[46:47], v[44:45] op_sel:[1,1] op_sel_hi:[0,1]
	s_delay_alu instid0(VALU_DEP_1) | instskip(SKIP_1) | instid1(VALU_DEP_2)
	v_pk_fma_f32 v[84:85], v[46:47], v[44:45], v[82:83] op_sel_hi:[1,0,1]
	v_pk_fma_f32 v[44:45], v[46:47], v[44:45], v[82:83] neg_lo:[0,0,1] neg_hi:[0,0,1]
	v_mov_b32_e32 v45, v85
	s_delay_alu instid0(VALU_DEP_1)
	v_pk_add_f32 v[42:43], v[42:43], v[44:45]
.LBB55_390:                             ;   in Loop: Header=BB55_3 Depth=1
	s_or_b32 exec_lo, exec_lo, s10
	s_barrier_signal -1
	s_barrier_wait -1
	s_and_saveexec_b32 s10, s59
; %bb.391:                              ;   in Loop: Header=BB55_3 Depth=1
	ds_store_b64 v59, v[42:43]
; %bb.392:                              ;   in Loop: Header=BB55_3 Depth=1
	s_or_b32 exec_lo, exec_lo, s10
	s_wait_dscnt 0x0
	s_barrier_signal -1
	s_barrier_wait -1
	s_and_saveexec_b32 s10, s60
	s_cbranch_execz .LBB55_394
; %bb.393:                              ;   in Loop: Header=BB55_3 Depth=1
	ds_load_b64 v[44:45], v58 offset:14528
	ds_load_b64 v[46:47], v59
	s_wait_dscnt 0x0
	v_pk_mul_f32 v[82:83], v[46:47], v[44:45] op_sel:[1,1] op_sel_hi:[0,1]
	s_delay_alu instid0(VALU_DEP_1) | instskip(SKIP_1) | instid1(VALU_DEP_2)
	v_pk_fma_f32 v[84:85], v[46:47], v[44:45], v[82:83] op_sel_hi:[1,0,1]
	v_pk_fma_f32 v[44:45], v[46:47], v[44:45], v[82:83] neg_lo:[0,0,1] neg_hi:[0,0,1]
	v_mov_b32_e32 v45, v85
	s_delay_alu instid0(VALU_DEP_1)
	v_pk_add_f32 v[42:43], v[42:43], v[44:45]
.LBB55_394:                             ;   in Loop: Header=BB55_3 Depth=1
	;; [unrolled: 25-line block ×4, first 2 shown]
	s_or_b32 exec_lo, exec_lo, s10
	s_barrier_signal -1
	s_barrier_wait -1
	s_and_saveexec_b32 s10, s64
; %bb.403:                              ;   in Loop: Header=BB55_3 Depth=1
	ds_store_b64 v59, v[42:43]
; %bb.404:                              ;   in Loop: Header=BB55_3 Depth=1
	s_or_b32 exec_lo, exec_lo, s10
	s_wait_dscnt 0x0
	s_barrier_signal -1
	s_barrier_wait -1
	s_barrier_signal -1
	s_barrier_wait -1
	s_and_saveexec_b32 s10, s5
; %bb.405:                              ;   in Loop: Header=BB55_3 Depth=1
	v_pk_add_f32 v[42:43], v[42:43], 0 neg_lo:[1,1] neg_hi:[1,1]
	ds_store_b64 v60, v[42:43] offset:8384
; %bb.406:                              ;   in Loop: Header=BB55_3 Depth=1
	s_or_b32 exec_lo, exec_lo, s10
	s_wait_dscnt 0x0
	s_barrier_signal -1
	s_barrier_wait -1
	s_barrier_signal -1
	s_barrier_wait -1
	s_and_saveexec_b32 s10, s12
; %bb.407:                              ;   in Loop: Header=BB55_3 Depth=1
	v_add_nc_u32_e64 v0, 0x3000, 0
	ds_store_2addr_b64 v0, v[38:39], v[38:39] offset0:24 offset1:89
; %bb.408:                              ;   in Loop: Header=BB55_3 Depth=1
	s_or_b32 exec_lo, exec_lo, s10
	v_mov_b64_e32 v[42:43], 0
	s_wait_dscnt 0x0
	s_barrier_signal -1
	s_barrier_wait -1
	s_and_saveexec_b32 s94, s3
	s_cbranch_execz .LBB55_412
; %bb.409:                              ;   in Loop: Header=BB55_3 Depth=1
	ds_load_b64 v[42:43], v49 offset:12496
	ds_load_b64 v[44:45], v50 offset:12480
	s_wait_dscnt 0x0
	v_pk_mul_f32 v[46:47], v[44:45], v[42:43] op_sel:[1,1] op_sel_hi:[0,1]
	s_delay_alu instid0(VALU_DEP_1) | instskip(SKIP_1) | instid1(VALU_DEP_2)
	v_pk_fma_f32 v[82:83], v[44:45], v[42:43], v[46:47] op_sel_hi:[1,0,1]
	v_pk_fma_f32 v[42:43], v[44:45], v[42:43], v[46:47] neg_lo:[0,0,1] neg_hi:[0,0,1]
	v_mov_b32_e32 v43, v83
	s_delay_alu instid0(VALU_DEP_1)
	v_pk_add_f32 v[42:43], v[42:43], 0 op_sel_hi:[1,0]
	s_and_saveexec_b32 s10, s13
	s_cbranch_execz .LBB55_411
; %bb.410:                              ;   in Loop: Header=BB55_3 Depth=1
	ds_load_b64 v[44:45], v51 offset:13008
	ds_load_b64 v[46:47], v1 offset:12488
	s_wait_dscnt 0x0
	v_pk_mul_f32 v[82:83], v[46:47], v[44:45] op_sel:[1,1] op_sel_hi:[0,1]
	s_delay_alu instid0(VALU_DEP_1) | instskip(SKIP_1) | instid1(VALU_DEP_2)
	v_pk_fma_f32 v[84:85], v[46:47], v[44:45], v[82:83] op_sel_hi:[1,0,1]
	v_pk_fma_f32 v[44:45], v[46:47], v[44:45], v[82:83] neg_lo:[0,0,1] neg_hi:[0,0,1]
	v_mov_b32_e32 v45, v85
	s_delay_alu instid0(VALU_DEP_1)
	v_pk_add_f32 v[42:43], v[42:43], v[44:45]
.LBB55_411:                             ;   in Loop: Header=BB55_3 Depth=1
	s_or_b32 exec_lo, exec_lo, s10
	s_delay_alu instid0(VALU_DEP_1)
	v_pk_add_f32 v[42:43], v[42:43], 0 neg_lo:[1,1] neg_hi:[1,1]
.LBB55_412:                             ;   in Loop: Header=BB55_3 Depth=1
	s_or_b32 exec_lo, exec_lo, s94
	s_and_saveexec_b32 s10, s104
; %bb.413:                              ;   in Loop: Header=BB55_3 Depth=1
	ds_store_b64 v48, v[42:43]
; %bb.414:                              ;   in Loop: Header=BB55_3 Depth=1
	s_or_b32 exec_lo, exec_lo, s10
	s_wait_dscnt 0x0
	s_barrier_signal -1
	s_barrier_wait -1
	s_and_saveexec_b32 s10, vcc_hi
	s_cbranch_execz .LBB55_416
; %bb.415:                              ;   in Loop: Header=BB55_3 Depth=1
	ds_load_b64 v[44:45], v1 offset:13528
	ds_load_b64 v[46:47], v48
	s_wait_dscnt 0x0
	v_pk_mul_f32 v[82:83], v[46:47], v[44:45] op_sel:[1,1] op_sel_hi:[0,1]
	s_delay_alu instid0(VALU_DEP_1) | instskip(SKIP_1) | instid1(VALU_DEP_2)
	v_pk_fma_f32 v[84:85], v[46:47], v[44:45], v[82:83] op_sel_hi:[1,0,1]
	v_pk_fma_f32 v[44:45], v[46:47], v[44:45], v[82:83] neg_lo:[0,0,1] neg_hi:[0,0,1]
	v_mov_b32_e32 v45, v85
	s_delay_alu instid0(VALU_DEP_1)
	v_pk_add_f32 v[42:43], v[42:43], v[44:45]
.LBB55_416:                             ;   in Loop: Header=BB55_3 Depth=1
	s_or_b32 exec_lo, exec_lo, s10
	s_barrier_signal -1
	s_barrier_wait -1
	s_and_saveexec_b32 s10, vcc_hi
; %bb.417:                              ;   in Loop: Header=BB55_3 Depth=1
	ds_store_b64 v48, v[42:43]
; %bb.418:                              ;   in Loop: Header=BB55_3 Depth=1
	s_or_b32 exec_lo, exec_lo, s10
	s_wait_dscnt 0x0
	s_barrier_signal -1
	s_barrier_wait -1
	s_barrier_signal -1
	s_barrier_wait -1
	s_and_saveexec_b32 s10, s3
; %bb.419:                              ;   in Loop: Header=BB55_3 Depth=1
	v_pk_add_f32 v[42:43], v[42:43], 0 neg_lo:[1,1] neg_hi:[1,1]
	ds_store_b64 v49, v[42:43] offset:12496
; %bb.420:                              ;   in Loop: Header=BB55_3 Depth=1
	s_or_b32 exec_lo, exec_lo, s10
	s_wait_dscnt 0x0
	s_barrier_signal -1
	s_barrier_wait -1
	s_barrier_signal -1
	s_barrier_wait -1
	s_and_saveexec_b32 s10, s12
; %bb.421:                              ;   in Loop: Header=BB55_3 Depth=1
	v_add_nc_u32_e64 v0, 0x3000, 0
	ds_store_2addr_b64 v0, v[38:39], v[38:39] offset0:154 offset1:219
; %bb.422:                              ;   in Loop: Header=BB55_3 Depth=1
	s_or_b32 exec_lo, exec_lo, s10
	v_mov_b64_e32 v[42:43], 0
	s_wait_dscnt 0x0
	s_barrier_signal -1
	s_barrier_wait -1
	s_and_saveexec_b32 s94, s4
	s_cbranch_execz .LBB55_428
; %bb.423:                              ;   in Loop: Header=BB55_3 Depth=1
	ds_load_b64 v[42:43], v55 offset:12512
	ds_load_b64 v[44:45], v53 offset:12480
	s_wait_dscnt 0x0
	v_dual_mul_f32 v0, v45, v43 :: v_dual_mul_f32 v43, v44, v43
	s_delay_alu instid0(VALU_DEP_1) | instskip(NEXT) | instid1(VALU_DEP_1)
	v_dual_fma_f32 v0, v44, v42, -v0 :: v_dual_fmac_f32 v43, v45, v42
	v_dual_add_f32 v42, 0, v0 :: v_dual_add_f32 v43, 0, v43
	s_and_saveexec_b32 s10, s14
	s_cbranch_execnz .LBB55_1022
; %bb.424:                              ;   in Loop: Header=BB55_3 Depth=1
	s_or_b32 exec_lo, exec_lo, s10
	s_and_saveexec_b32 s10, s15
	s_cbranch_execnz .LBB55_1023
.LBB55_425:                             ;   in Loop: Header=BB55_3 Depth=1
	s_or_b32 exec_lo, exec_lo, s10
	s_and_saveexec_b32 s10, s3
	s_cbranch_execz .LBB55_427
.LBB55_426:                             ;   in Loop: Header=BB55_3 Depth=1
	ds_load_b64 v[44:45], v51 offset:14048
	ds_load_b64 v[46:47], v1 offset:12504
	s_wait_dscnt 0x0
	v_dual_mul_f32 v0, v47, v45 :: v_dual_mul_f32 v83, v46, v45
	s_delay_alu instid0(VALU_DEP_1) | instskip(NEXT) | instid1(VALU_DEP_1)
	v_dual_fma_f32 v82, v46, v44, -v0 :: v_dual_fmac_f32 v83, v47, v44
	v_pk_add_f32 v[42:43], v[42:43], v[82:83]
.LBB55_427:                             ;   in Loop: Header=BB55_3 Depth=1
	s_or_b32 exec_lo, exec_lo, s10
	s_delay_alu instid0(VALU_DEP_1)
	v_pk_add_f32 v[42:43], v[42:43], 0 neg_lo:[1,1] neg_hi:[1,1]
.LBB55_428:                             ;   in Loop: Header=BB55_3 Depth=1
	s_or_b32 exec_lo, exec_lo, s94
	s_and_saveexec_b32 s10, s45
; %bb.429:                              ;   in Loop: Header=BB55_3 Depth=1
	ds_store_b64 v54, v[42:43]
; %bb.430:                              ;   in Loop: Header=BB55_3 Depth=1
	s_or_b32 exec_lo, exec_lo, s10
	s_wait_dscnt 0x0
	s_barrier_signal -1
	s_barrier_wait -1
	s_and_saveexec_b32 s10, s46
	s_cbranch_execz .LBB55_432
; %bb.431:                              ;   in Loop: Header=BB55_3 Depth=1
	ds_load_b64 v[44:45], v52 offset:14560
	ds_load_b64 v[46:47], v54
	s_wait_dscnt 0x0
	v_pk_mul_f32 v[82:83], v[46:47], v[44:45] op_sel:[1,1] op_sel_hi:[0,1]
	s_delay_alu instid0(VALU_DEP_1) | instskip(SKIP_1) | instid1(VALU_DEP_2)
	v_pk_fma_f32 v[84:85], v[46:47], v[44:45], v[82:83] op_sel_hi:[1,0,1]
	v_pk_fma_f32 v[44:45], v[46:47], v[44:45], v[82:83] neg_lo:[0,0,1] neg_hi:[0,0,1]
	v_mov_b32_e32 v45, v85
	s_delay_alu instid0(VALU_DEP_1)
	v_pk_add_f32 v[42:43], v[42:43], v[44:45]
.LBB55_432:                             ;   in Loop: Header=BB55_3 Depth=1
	s_or_b32 exec_lo, exec_lo, s10
	s_barrier_signal -1
	s_barrier_wait -1
	s_and_saveexec_b32 s10, s47
; %bb.433:                              ;   in Loop: Header=BB55_3 Depth=1
	ds_store_b64 v54, v[42:43]
; %bb.434:                              ;   in Loop: Header=BB55_3 Depth=1
	s_or_b32 exec_lo, exec_lo, s10
	s_wait_dscnt 0x0
	s_barrier_signal -1
	s_barrier_wait -1
	s_and_saveexec_b32 s10, s48
	s_cbranch_execz .LBB55_436
; %bb.435:                              ;   in Loop: Header=BB55_3 Depth=1
	ds_load_b64 v[44:45], v52 offset:15072
	ds_load_b64 v[46:47], v54
	s_wait_dscnt 0x0
	v_pk_mul_f32 v[82:83], v[46:47], v[44:45] op_sel:[1,1] op_sel_hi:[0,1]
	s_delay_alu instid0(VALU_DEP_1) | instskip(SKIP_1) | instid1(VALU_DEP_2)
	v_pk_fma_f32 v[84:85], v[46:47], v[44:45], v[82:83] op_sel_hi:[1,0,1]
	v_pk_fma_f32 v[44:45], v[46:47], v[44:45], v[82:83] neg_lo:[0,0,1] neg_hi:[0,0,1]
	v_mov_b32_e32 v45, v85
	s_delay_alu instid0(VALU_DEP_1)
	v_pk_add_f32 v[42:43], v[42:43], v[44:45]
.LBB55_436:                             ;   in Loop: Header=BB55_3 Depth=1
	s_or_b32 exec_lo, exec_lo, s10
	s_barrier_signal -1
	s_barrier_wait -1
	s_and_saveexec_b32 s10, s49
; %bb.437:                              ;   in Loop: Header=BB55_3 Depth=1
	ds_store_b64 v54, v[42:43]
; %bb.438:                              ;   in Loop: Header=BB55_3 Depth=1
	s_or_b32 exec_lo, exec_lo, s10
	s_wait_dscnt 0x0
	s_barrier_signal -1
	s_barrier_wait -1
	s_and_saveexec_b32 s10, s50
	s_cbranch_execz .LBB55_440
; %bb.439:                              ;   in Loop: Header=BB55_3 Depth=1
	ds_load_b64 v[44:45], v1 offset:15608
	ds_load_b64 v[46:47], v54
	s_wait_dscnt 0x0
	v_pk_mul_f32 v[82:83], v[46:47], v[44:45] op_sel:[1,1] op_sel_hi:[0,1]
	s_delay_alu instid0(VALU_DEP_1) | instskip(SKIP_1) | instid1(VALU_DEP_2)
	v_pk_fma_f32 v[84:85], v[46:47], v[44:45], v[82:83] op_sel_hi:[1,0,1]
	v_pk_fma_f32 v[44:45], v[46:47], v[44:45], v[82:83] neg_lo:[0,0,1] neg_hi:[0,0,1]
	v_mov_b32_e32 v45, v85
	s_delay_alu instid0(VALU_DEP_1)
	v_pk_add_f32 v[42:43], v[42:43], v[44:45]
.LBB55_440:                             ;   in Loop: Header=BB55_3 Depth=1
	s_or_b32 exec_lo, exec_lo, s10
	s_barrier_signal -1
	s_barrier_wait -1
	s_and_saveexec_b32 s10, s50
; %bb.441:                              ;   in Loop: Header=BB55_3 Depth=1
	ds_store_b64 v54, v[42:43]
; %bb.442:                              ;   in Loop: Header=BB55_3 Depth=1
	s_or_b32 exec_lo, exec_lo, s10
	s_wait_dscnt 0x0
	s_barrier_signal -1
	s_barrier_wait -1
	s_barrier_signal -1
	s_barrier_wait -1
	s_and_saveexec_b32 s10, s4
; %bb.443:                              ;   in Loop: Header=BB55_3 Depth=1
	v_pk_add_f32 v[42:43], v[42:43], 0 neg_lo:[1,1] neg_hi:[1,1]
	ds_store_b64 v55, v[42:43] offset:12512
; %bb.444:                              ;   in Loop: Header=BB55_3 Depth=1
	s_or_b32 exec_lo, exec_lo, s10
	s_wait_dscnt 0x0
	s_barrier_signal -1
	s_barrier_wait -1
	s_barrier_signal -1
	s_barrier_wait -1
	s_and_saveexec_b32 s10, s12
; %bb.445:                              ;   in Loop: Header=BB55_3 Depth=1
	v_add_nc_u32_e64 v0, 0x3800, 0
	ds_store_2addr_b64 v0, v[38:39], v[38:39] offset0:28 offset1:93
; %bb.446:                              ;   in Loop: Header=BB55_3 Depth=1
	s_or_b32 exec_lo, exec_lo, s10
	v_mov_b64_e32 v[42:43], 0
	s_wait_dscnt 0x0
	s_barrier_signal -1
	s_barrier_wait -1
	s_and_saveexec_b32 s94, s3
	s_cbranch_execz .LBB55_450
; %bb.447:                              ;   in Loop: Header=BB55_3 Depth=1
	ds_load_b64 v[42:43], v49 offset:14576
	ds_load_b64 v[44:45], v50 offset:14560
	s_wait_dscnt 0x0
	v_pk_mul_f32 v[46:47], v[44:45], v[42:43] op_sel:[1,1] op_sel_hi:[0,1]
	s_delay_alu instid0(VALU_DEP_1) | instskip(SKIP_1) | instid1(VALU_DEP_2)
	v_pk_fma_f32 v[82:83], v[44:45], v[42:43], v[46:47] op_sel_hi:[1,0,1]
	v_pk_fma_f32 v[42:43], v[44:45], v[42:43], v[46:47] neg_lo:[0,0,1] neg_hi:[0,0,1]
	v_mov_b32_e32 v43, v83
	s_delay_alu instid0(VALU_DEP_1)
	v_pk_add_f32 v[42:43], v[42:43], 0 op_sel_hi:[1,0]
	s_and_saveexec_b32 s10, s13
	s_cbranch_execz .LBB55_449
; %bb.448:                              ;   in Loop: Header=BB55_3 Depth=1
	ds_load_b64 v[44:45], v51 offset:15088
	ds_load_b64 v[46:47], v1 offset:14568
	s_wait_dscnt 0x0
	v_pk_mul_f32 v[82:83], v[46:47], v[44:45] op_sel:[1,1] op_sel_hi:[0,1]
	s_delay_alu instid0(VALU_DEP_1) | instskip(SKIP_1) | instid1(VALU_DEP_2)
	v_pk_fma_f32 v[84:85], v[46:47], v[44:45], v[82:83] op_sel_hi:[1,0,1]
	v_pk_fma_f32 v[44:45], v[46:47], v[44:45], v[82:83] neg_lo:[0,0,1] neg_hi:[0,0,1]
	v_mov_b32_e32 v45, v85
	s_delay_alu instid0(VALU_DEP_1)
	v_pk_add_f32 v[42:43], v[42:43], v[44:45]
.LBB55_449:                             ;   in Loop: Header=BB55_3 Depth=1
	s_or_b32 exec_lo, exec_lo, s10
	s_delay_alu instid0(VALU_DEP_1)
	v_pk_add_f32 v[42:43], v[42:43], 0 neg_lo:[1,1] neg_hi:[1,1]
.LBB55_450:                             ;   in Loop: Header=BB55_3 Depth=1
	s_or_b32 exec_lo, exec_lo, s94
	s_and_saveexec_b32 s10, s104
; %bb.451:                              ;   in Loop: Header=BB55_3 Depth=1
	ds_store_b64 v48, v[42:43]
; %bb.452:                              ;   in Loop: Header=BB55_3 Depth=1
	s_or_b32 exec_lo, exec_lo, s10
	s_wait_dscnt 0x0
	s_barrier_signal -1
	s_barrier_wait -1
	s_and_saveexec_b32 s10, vcc_hi
	s_cbranch_execz .LBB55_454
; %bb.453:                              ;   in Loop: Header=BB55_3 Depth=1
	ds_load_b64 v[44:45], v1 offset:15608
	ds_load_b64 v[46:47], v48
	s_wait_dscnt 0x0
	v_pk_mul_f32 v[82:83], v[46:47], v[44:45] op_sel:[1,1] op_sel_hi:[0,1]
	s_delay_alu instid0(VALU_DEP_1) | instskip(SKIP_1) | instid1(VALU_DEP_2)
	v_pk_fma_f32 v[84:85], v[46:47], v[44:45], v[82:83] op_sel_hi:[1,0,1]
	v_pk_fma_f32 v[44:45], v[46:47], v[44:45], v[82:83] neg_lo:[0,0,1] neg_hi:[0,0,1]
	v_mov_b32_e32 v45, v85
	s_delay_alu instid0(VALU_DEP_1)
	v_pk_add_f32 v[42:43], v[42:43], v[44:45]
.LBB55_454:                             ;   in Loop: Header=BB55_3 Depth=1
	s_or_b32 exec_lo, exec_lo, s10
	s_barrier_signal -1
	s_barrier_wait -1
	s_and_saveexec_b32 s10, vcc_hi
; %bb.455:                              ;   in Loop: Header=BB55_3 Depth=1
	ds_store_b64 v48, v[42:43]
; %bb.456:                              ;   in Loop: Header=BB55_3 Depth=1
	s_or_b32 exec_lo, exec_lo, s10
	s_wait_dscnt 0x0
	s_barrier_signal -1
	s_barrier_wait -1
	s_barrier_signal -1
	s_barrier_wait -1
	s_and_saveexec_b32 s10, s3
; %bb.457:                              ;   in Loop: Header=BB55_3 Depth=1
	v_pk_add_f32 v[42:43], v[42:43], 0 neg_lo:[1,1] neg_hi:[1,1]
	ds_store_b64 v49, v[42:43] offset:14576
; %bb.458:                              ;   in Loop: Header=BB55_3 Depth=1
	s_or_b32 exec_lo, exec_lo, s10
	s_wait_dscnt 0x0
	s_barrier_signal -1
	s_barrier_wait -1
	s_barrier_signal -1
	s_barrier_wait -1
	s_and_saveexec_b32 s10, s12
; %bb.459:                              ;   in Loop: Header=BB55_3 Depth=1
	v_add_nc_u32_e64 v0, 0x3800, 0
	ds_store_2addr_b64 v0, v[38:39], v[38:39] offset0:158 offset1:223
; %bb.460:                              ;   in Loop: Header=BB55_3 Depth=1
	s_or_b32 exec_lo, exec_lo, s10
	v_mov_b64_e32 v[42:43], 0
	s_wait_dscnt 0x0
	s_barrier_signal -1
	s_barrier_wait -1
	s_and_saveexec_b32 s94, s33
	s_cbranch_execz .LBB55_522
; %bb.461:                              ;   in Loop: Header=BB55_3 Depth=1
	v_dual_add_nc_u32 v44, v70, v69 :: v_dual_add_nc_u32 v0, v69, v68
	v_readlane_b32 s8, v91, 10
	ds_load_b64 v[42:43], v44 offset:256
	ds_load_b64 v[46:47], v0
	s_wait_dscnt 0x0
	v_pk_mul_f32 v[82:83], v[46:47], v[42:43] op_sel:[1,1] op_sel_hi:[0,1]
	s_delay_alu instid0(VALU_DEP_1) | instskip(SKIP_1) | instid1(VALU_DEP_2)
	v_pk_fma_f32 v[84:85], v[46:47], v[42:43], v[82:83] op_sel_hi:[1,0,1]
	v_pk_fma_f32 v[42:43], v[46:47], v[42:43], v[82:83] neg_lo:[0,0,1] neg_hi:[0,0,1]
	v_mov_b32_e32 v43, v85
	s_delay_alu instid0(VALU_DEP_1)
	v_pk_add_f32 v[42:43], v[42:43], 0 op_sel_hi:[1,0]
	s_and_saveexec_b32 s10, s8
	s_cbranch_execz .LBB55_463
; %bb.462:                              ;   in Loop: Header=BB55_3 Depth=1
	ds_load_b64 v[46:47], v44 offset:768
	ds_load_b64 v[82:83], v0 offset:8
	s_wait_dscnt 0x0
	v_pk_mul_f32 v[84:85], v[82:83], v[46:47] op_sel:[1,1] op_sel_hi:[0,1]
	s_delay_alu instid0(VALU_DEP_1) | instskip(SKIP_1) | instid1(VALU_DEP_2)
	v_pk_fma_f32 v[86:87], v[82:83], v[46:47], v[84:85] op_sel_hi:[1,0,1]
	v_pk_fma_f32 v[46:47], v[82:83], v[46:47], v[84:85] neg_lo:[0,0,1] neg_hi:[0,0,1]
	v_mov_b32_e32 v47, v87
	s_delay_alu instid0(VALU_DEP_1)
	v_pk_add_f32 v[42:43], v[42:43], v[46:47]
.LBB55_463:                             ;   in Loop: Header=BB55_3 Depth=1
	s_or_b32 exec_lo, exec_lo, s10
	v_readlane_b32 s8, v91, 11
	s_and_saveexec_b32 s10, s8
	s_cbranch_execz .LBB55_465
; %bb.464:                              ;   in Loop: Header=BB55_3 Depth=1
	ds_load_b64 v[46:47], v44 offset:1280
	ds_load_b64 v[82:83], v0 offset:16
	s_wait_dscnt 0x0
	v_pk_mul_f32 v[84:85], v[82:83], v[46:47] op_sel:[1,1] op_sel_hi:[0,1]
	s_delay_alu instid0(VALU_DEP_1) | instskip(SKIP_1) | instid1(VALU_DEP_2)
	v_pk_fma_f32 v[86:87], v[82:83], v[46:47], v[84:85] op_sel_hi:[1,0,1]
	v_pk_fma_f32 v[46:47], v[82:83], v[46:47], v[84:85] neg_lo:[0,0,1] neg_hi:[0,0,1]
	v_mov_b32_e32 v47, v87
	s_delay_alu instid0(VALU_DEP_1)
	v_pk_add_f32 v[42:43], v[42:43], v[46:47]
.LBB55_465:                             ;   in Loop: Header=BB55_3 Depth=1
	s_or_b32 exec_lo, exec_lo, s10
	v_readlane_b32 s8, v91, 12
	;; [unrolled: 16-line block ×22, first 2 shown]
	s_and_saveexec_b32 s10, s8
	s_cbranch_execz .LBB55_507
; %bb.506:                              ;   in Loop: Header=BB55_3 Depth=1
	ds_load_b64 v[46:47], v44 offset:12032
	ds_load_b64 v[82:83], v0 offset:184
	s_wait_dscnt 0x0
	v_pk_mul_f32 v[84:85], v[82:83], v[46:47] op_sel:[1,1] op_sel_hi:[0,1]
	s_delay_alu instid0(VALU_DEP_1) | instskip(SKIP_1) | instid1(VALU_DEP_2)
	v_pk_fma_f32 v[86:87], v[82:83], v[46:47], v[84:85] op_sel_hi:[1,0,1]
	v_pk_fma_f32 v[46:47], v[82:83], v[46:47], v[84:85] neg_lo:[0,0,1] neg_hi:[0,0,1]
	v_mov_b32_e32 v47, v87
	s_delay_alu instid0(VALU_DEP_1)
	v_pk_add_f32 v[42:43], v[42:43], v[46:47]
.LBB55_507:                             ;   in Loop: Header=BB55_3 Depth=1
	s_or_b32 exec_lo, exec_lo, s10
	s_and_saveexec_b32 s10, s6
	s_cbranch_execz .LBB55_509
; %bb.508:                              ;   in Loop: Header=BB55_3 Depth=1
	ds_load_b64 v[46:47], v44 offset:12544
	ds_load_b64 v[82:83], v0 offset:192
	s_wait_dscnt 0x0
	v_pk_mul_f32 v[84:85], v[82:83], v[46:47] op_sel:[1,1] op_sel_hi:[0,1]
	s_delay_alu instid0(VALU_DEP_1) | instskip(SKIP_1) | instid1(VALU_DEP_2)
	v_pk_fma_f32 v[86:87], v[82:83], v[46:47], v[84:85] op_sel_hi:[1,0,1]
	v_pk_fma_f32 v[46:47], v[82:83], v[46:47], v[84:85] neg_lo:[0,0,1] neg_hi:[0,0,1]
	v_mov_b32_e32 v47, v87
	s_delay_alu instid0(VALU_DEP_1)
	v_pk_add_f32 v[42:43], v[42:43], v[46:47]
.LBB55_509:                             ;   in Loop: Header=BB55_3 Depth=1
	s_or_b32 exec_lo, exec_lo, s10
	v_readlane_b32 s8, v92, 23
	s_and_saveexec_b32 s10, s8
	s_cbranch_execz .LBB55_511
; %bb.510:                              ;   in Loop: Header=BB55_3 Depth=1
	ds_load_b64 v[46:47], v44 offset:13056
	ds_load_b64 v[82:83], v0 offset:200
	s_wait_dscnt 0x0
	v_pk_mul_f32 v[84:85], v[82:83], v[46:47] op_sel:[1,1] op_sel_hi:[0,1]
	s_delay_alu instid0(VALU_DEP_1) | instskip(SKIP_1) | instid1(VALU_DEP_2)
	v_pk_fma_f32 v[86:87], v[82:83], v[46:47], v[84:85] op_sel_hi:[1,0,1]
	v_pk_fma_f32 v[46:47], v[82:83], v[46:47], v[84:85] neg_lo:[0,0,1] neg_hi:[0,0,1]
	v_mov_b32_e32 v47, v87
	s_delay_alu instid0(VALU_DEP_1)
	v_pk_add_f32 v[42:43], v[42:43], v[46:47]
.LBB55_511:                             ;   in Loop: Header=BB55_3 Depth=1
	s_or_b32 exec_lo, exec_lo, s10
	v_readlane_b32 s8, v92, 25
	;; [unrolled: 16-line block ×5, first 2 shown]
	s_and_saveexec_b32 s10, s8
	s_cbranch_execnz .LBB55_1024
; %bb.518:                              ;   in Loop: Header=BB55_3 Depth=1
	s_or_b32 exec_lo, exec_lo, s10
	s_and_saveexec_b32 s10, s5
	s_cbranch_execnz .LBB55_1025
.LBB55_519:                             ;   in Loop: Header=BB55_3 Depth=1
	s_or_b32 exec_lo, exec_lo, s10
	s_and_saveexec_b32 s10, s19
	s_cbranch_execz .LBB55_521
.LBB55_520:                             ;   in Loop: Header=BB55_3 Depth=1
	ds_load_b64 v[44:45], v70 offset:16128
	ds_load_b64 v[46:47], v0 offset:248
	s_wait_dscnt 0x0
	v_pk_mul_f32 v[82:83], v[46:47], v[44:45] op_sel:[1,1] op_sel_hi:[0,1]
	s_delay_alu instid0(VALU_DEP_1) | instskip(SKIP_1) | instid1(VALU_DEP_2)
	v_pk_fma_f32 v[84:85], v[46:47], v[44:45], v[82:83] op_sel_hi:[1,0,1]
	v_pk_fma_f32 v[44:45], v[46:47], v[44:45], v[82:83] neg_lo:[0,0,1] neg_hi:[0,0,1]
	v_mov_b32_e32 v45, v85
	s_delay_alu instid0(VALU_DEP_1)
	v_pk_add_f32 v[42:43], v[42:43], v[44:45]
.LBB55_521:                             ;   in Loop: Header=BB55_3 Depth=1
	s_or_b32 exec_lo, exec_lo, s10
	s_delay_alu instid0(VALU_DEP_1)
	v_pk_add_f32 v[42:43], v[42:43], 0 neg_lo:[1,1] neg_hi:[1,1]
.LBB55_522:                             ;   in Loop: Header=BB55_3 Depth=1
	s_or_b32 exec_lo, exec_lo, s94
	v_dual_mov_b32 v0, v67 :: v_dual_mov_b32 v44, v80
	s_mov_b32 s94, 0
	s_branch .LBB55_524
.LBB55_523:                             ;   in Loop: Header=BB55_524 Depth=2
	s_or_b32 exec_lo, exec_lo, s10
	v_add_nc_u32_e32 v44, 0x800, v44
	v_add_nc_u32_e32 v0, -4, v0
	s_add_co_i32 s94, s94, 4
	s_delay_alu instid0(SALU_CYCLE_1)
	s_cmp_eq_u32 s94, 32
	s_barrier_signal -1
	s_barrier_wait -1
	s_cbranch_scc1 .LBB55_540
.LBB55_524:                             ;   Parent Loop BB55_3 Depth=1
                                        ; =>  This Inner Loop Header: Depth=2
	s_delay_alu instid0(VALU_DEP_1) | instskip(SKIP_1) | instid1(SALU_CYCLE_1)
	v_cmp_eq_u32_e32 vcc_lo, 0, v0
	s_and_b32 s95, s9, vcc_lo
	s_and_saveexec_b32 s10, s95
; %bb.525:                              ;   in Loop: Header=BB55_524 Depth=2
	ds_store_b64 v71, v[42:43]
; %bb.526:                              ;   in Loop: Header=BB55_524 Depth=2
	s_or_b32 exec_lo, exec_lo, s10
	v_cmp_lt_u32_e32 vcc_lo, s94, v67
	s_wait_dscnt 0x0
	s_barrier_signal -1
	s_barrier_wait -1
	s_and_b32 s95, s9, vcc_lo
	s_delay_alu instid0(SALU_CYCLE_1)
	s_and_saveexec_b32 s10, s95
	s_cbranch_execz .LBB55_528
; %bb.527:                              ;   in Loop: Header=BB55_524 Depth=2
	ds_load_b64 v[46:47], v44
	ds_load_b64 v[82:83], v71
	s_wait_dscnt 0x0
	v_pk_mul_f32 v[84:85], v[82:83], v[46:47] op_sel:[1,1] op_sel_hi:[0,1]
	s_delay_alu instid0(VALU_DEP_1) | instskip(SKIP_1) | instid1(VALU_DEP_2)
	v_pk_fma_f32 v[86:87], v[82:83], v[46:47], v[84:85] op_sel_hi:[1,0,1]
	v_pk_fma_f32 v[46:47], v[82:83], v[46:47], v[84:85] neg_lo:[0,0,1] neg_hi:[0,0,1]
	v_mov_b32_e32 v47, v87
	s_delay_alu instid0(VALU_DEP_1)
	v_pk_add_f32 v[42:43], v[42:43], v[46:47]
.LBB55_528:                             ;   in Loop: Header=BB55_524 Depth=2
	s_or_b32 exec_lo, exec_lo, s10
	s_or_b32 s10, s94, 1
	s_delay_alu instid0(SALU_CYCLE_1) | instskip(SKIP_3) | instid1(SALU_CYCLE_1)
	v_cmp_eq_u32_e32 vcc_lo, s10, v67
	s_barrier_signal -1
	s_barrier_wait -1
	s_and_b32 s96, s9, vcc_lo
	s_and_saveexec_b32 s95, s96
; %bb.529:                              ;   in Loop: Header=BB55_524 Depth=2
	ds_store_b64 v71, v[42:43]
; %bb.530:                              ;   in Loop: Header=BB55_524 Depth=2
	s_or_b32 exec_lo, exec_lo, s95
	v_cmp_lt_u32_e32 vcc_lo, s10, v67
	s_wait_dscnt 0x0
	s_barrier_signal -1
	s_barrier_wait -1
	s_and_b32 s95, s9, vcc_lo
	s_delay_alu instid0(SALU_CYCLE_1)
	s_and_saveexec_b32 s10, s95
	s_cbranch_execz .LBB55_532
; %bb.531:                              ;   in Loop: Header=BB55_524 Depth=2
	ds_load_b64 v[46:47], v44 offset:512
	ds_load_b64 v[82:83], v71
	s_wait_dscnt 0x0
	v_pk_mul_f32 v[84:85], v[82:83], v[46:47] op_sel:[1,1] op_sel_hi:[0,1]
	s_delay_alu instid0(VALU_DEP_1) | instskip(SKIP_1) | instid1(VALU_DEP_2)
	v_pk_fma_f32 v[86:87], v[82:83], v[46:47], v[84:85] op_sel_hi:[1,0,1]
	v_pk_fma_f32 v[46:47], v[82:83], v[46:47], v[84:85] neg_lo:[0,0,1] neg_hi:[0,0,1]
	v_mov_b32_e32 v47, v87
	s_delay_alu instid0(VALU_DEP_1)
	v_pk_add_f32 v[42:43], v[42:43], v[46:47]
.LBB55_532:                             ;   in Loop: Header=BB55_524 Depth=2
	s_or_b32 exec_lo, exec_lo, s10
	s_or_b32 s10, s94, 2
	s_delay_alu instid0(SALU_CYCLE_1) | instskip(SKIP_3) | instid1(SALU_CYCLE_1)
	v_cmp_eq_u32_e32 vcc_lo, s10, v67
	s_barrier_signal -1
	s_barrier_wait -1
	s_and_b32 s96, s9, vcc_lo
	s_and_saveexec_b32 s95, s96
; %bb.533:                              ;   in Loop: Header=BB55_524 Depth=2
	ds_store_b64 v71, v[42:43]
; %bb.534:                              ;   in Loop: Header=BB55_524 Depth=2
	s_or_b32 exec_lo, exec_lo, s95
	v_cmp_lt_u32_e32 vcc_lo, s10, v67
	s_wait_dscnt 0x0
	s_barrier_signal -1
	s_barrier_wait -1
	s_and_b32 s95, s9, vcc_lo
	s_delay_alu instid0(SALU_CYCLE_1)
	s_and_saveexec_b32 s10, s95
	s_cbranch_execz .LBB55_536
; %bb.535:                              ;   in Loop: Header=BB55_524 Depth=2
	ds_load_b64 v[46:47], v44 offset:1024
	ds_load_b64 v[82:83], v71
	s_wait_dscnt 0x0
	v_pk_mul_f32 v[84:85], v[82:83], v[46:47] op_sel:[1,1] op_sel_hi:[0,1]
	s_delay_alu instid0(VALU_DEP_1) | instskip(SKIP_1) | instid1(VALU_DEP_2)
	v_pk_fma_f32 v[86:87], v[82:83], v[46:47], v[84:85] op_sel_hi:[1,0,1]
	v_pk_fma_f32 v[46:47], v[82:83], v[46:47], v[84:85] neg_lo:[0,0,1] neg_hi:[0,0,1]
	v_mov_b32_e32 v47, v87
	s_delay_alu instid0(VALU_DEP_1)
	v_pk_add_f32 v[42:43], v[42:43], v[46:47]
.LBB55_536:                             ;   in Loop: Header=BB55_524 Depth=2
	s_or_b32 exec_lo, exec_lo, s10
	s_or_b32 s10, s94, 3
	s_delay_alu instid0(SALU_CYCLE_1) | instskip(SKIP_3) | instid1(SALU_CYCLE_1)
	v_cmp_eq_u32_e32 vcc_lo, s10, v67
	s_barrier_signal -1
	s_barrier_wait -1
	s_and_b32 s96, s9, vcc_lo
	s_and_saveexec_b32 s95, s96
; %bb.537:                              ;   in Loop: Header=BB55_524 Depth=2
	ds_store_b64 v71, v[42:43]
; %bb.538:                              ;   in Loop: Header=BB55_524 Depth=2
	s_or_b32 exec_lo, exec_lo, s95
	v_cmp_lt_u32_e32 vcc_lo, s10, v67
	s_wait_dscnt 0x0
	s_barrier_signal -1
	s_barrier_wait -1
	s_and_b32 s95, s9, vcc_lo
	s_delay_alu instid0(SALU_CYCLE_1)
	s_and_saveexec_b32 s10, s95
	s_cbranch_execz .LBB55_523
; %bb.539:                              ;   in Loop: Header=BB55_524 Depth=2
	ds_load_b64 v[46:47], v44 offset:1536
	ds_load_b64 v[82:83], v71
	s_wait_dscnt 0x0
	v_pk_mul_f32 v[84:85], v[82:83], v[46:47] op_sel:[1,1] op_sel_hi:[0,1]
	s_delay_alu instid0(VALU_DEP_1) | instskip(SKIP_1) | instid1(VALU_DEP_2)
	v_pk_fma_f32 v[86:87], v[82:83], v[46:47], v[84:85] op_sel_hi:[1,0,1]
	v_pk_fma_f32 v[46:47], v[82:83], v[46:47], v[84:85] neg_lo:[0,0,1] neg_hi:[0,0,1]
	v_mov_b32_e32 v47, v87
	s_delay_alu instid0(VALU_DEP_1)
	v_pk_add_f32 v[42:43], v[42:43], v[46:47]
	s_branch .LBB55_523
.LBB55_540:                             ;   in Loop: Header=BB55_3 Depth=1
	s_and_saveexec_b32 s10, s33
; %bb.541:                              ;   in Loop: Header=BB55_3 Depth=1
	v_pk_add_f32 v[42:43], v[42:43], 0 neg_lo:[1,1] neg_hi:[1,1]
	ds_store_b64 v72, v[42:43] offset:256
; %bb.542:                              ;   in Loop: Header=BB55_3 Depth=1
	s_or_b32 exec_lo, exec_lo, s10
	s_wait_dscnt 0x0
	s_barrier_signal -1
	s_barrier_wait -1
	s_barrier_signal -1
	s_barrier_wait -1
	s_and_saveexec_b32 s10, s12
; %bb.543:                              ;   in Loop: Header=BB55_3 Depth=1
	v_add_nc_u32_e64 v0, 0x4000, 0
	ds_store_2addr_b64 v0, v[38:39], v[38:39] offset0:32 offset1:97
; %bb.544:                              ;   in Loop: Header=BB55_3 Depth=1
	s_or_b32 exec_lo, exec_lo, s10
	v_mov_b64_e32 v[42:43], 0
	s_wait_dscnt 0x0
	s_barrier_signal -1
	s_barrier_wait -1
	s_and_saveexec_b32 s94, s3
	s_cbranch_execz .LBB55_548
; %bb.545:                              ;   in Loop: Header=BB55_3 Depth=1
	ds_load_b64 v[42:43], v49 offset:16656
	ds_load_b64 v[44:45], v50 offset:16640
	s_wait_dscnt 0x0
	v_pk_mul_f32 v[46:47], v[44:45], v[42:43] op_sel:[1,1] op_sel_hi:[0,1]
	s_delay_alu instid0(VALU_DEP_1) | instskip(SKIP_1) | instid1(VALU_DEP_2)
	v_pk_fma_f32 v[82:83], v[44:45], v[42:43], v[46:47] op_sel_hi:[1,0,1]
	v_pk_fma_f32 v[42:43], v[44:45], v[42:43], v[46:47] neg_lo:[0,0,1] neg_hi:[0,0,1]
	v_mov_b32_e32 v43, v83
	s_delay_alu instid0(VALU_DEP_1)
	v_pk_add_f32 v[42:43], v[42:43], 0 op_sel_hi:[1,0]
	s_and_saveexec_b32 s10, s13
	s_cbranch_execz .LBB55_547
; %bb.546:                              ;   in Loop: Header=BB55_3 Depth=1
	ds_load_b64 v[44:45], v51 offset:17168
	ds_load_b64 v[46:47], v1 offset:16648
	s_wait_dscnt 0x0
	v_pk_mul_f32 v[82:83], v[46:47], v[44:45] op_sel:[1,1] op_sel_hi:[0,1]
	s_delay_alu instid0(VALU_DEP_1) | instskip(SKIP_1) | instid1(VALU_DEP_2)
	v_pk_fma_f32 v[84:85], v[46:47], v[44:45], v[82:83] op_sel_hi:[1,0,1]
	v_pk_fma_f32 v[44:45], v[46:47], v[44:45], v[82:83] neg_lo:[0,0,1] neg_hi:[0,0,1]
	v_mov_b32_e32 v45, v85
	s_delay_alu instid0(VALU_DEP_1)
	v_pk_add_f32 v[42:43], v[42:43], v[44:45]
.LBB55_547:                             ;   in Loop: Header=BB55_3 Depth=1
	s_or_b32 exec_lo, exec_lo, s10
	s_delay_alu instid0(VALU_DEP_1)
	v_pk_add_f32 v[42:43], v[42:43], 0 neg_lo:[1,1] neg_hi:[1,1]
.LBB55_548:                             ;   in Loop: Header=BB55_3 Depth=1
	s_or_b32 exec_lo, exec_lo, s94
	s_and_saveexec_b32 s10, s104
; %bb.549:                              ;   in Loop: Header=BB55_3 Depth=1
	ds_store_b64 v48, v[42:43]
; %bb.550:                              ;   in Loop: Header=BB55_3 Depth=1
	s_or_b32 exec_lo, exec_lo, s10
	s_wait_dscnt 0x0
	s_barrier_signal -1
	s_barrier_wait -1
	s_and_saveexec_b32 s10, vcc_hi
	s_cbranch_execz .LBB55_552
; %bb.551:                              ;   in Loop: Header=BB55_3 Depth=1
	ds_load_b64 v[44:45], v1 offset:17688
	ds_load_b64 v[46:47], v48
	s_wait_dscnt 0x0
	v_pk_mul_f32 v[82:83], v[46:47], v[44:45] op_sel:[1,1] op_sel_hi:[0,1]
	s_delay_alu instid0(VALU_DEP_1) | instskip(SKIP_1) | instid1(VALU_DEP_2)
	v_pk_fma_f32 v[84:85], v[46:47], v[44:45], v[82:83] op_sel_hi:[1,0,1]
	v_pk_fma_f32 v[44:45], v[46:47], v[44:45], v[82:83] neg_lo:[0,0,1] neg_hi:[0,0,1]
	v_mov_b32_e32 v45, v85
	s_delay_alu instid0(VALU_DEP_1)
	v_pk_add_f32 v[42:43], v[42:43], v[44:45]
.LBB55_552:                             ;   in Loop: Header=BB55_3 Depth=1
	s_or_b32 exec_lo, exec_lo, s10
	s_barrier_signal -1
	s_barrier_wait -1
	s_and_saveexec_b32 s10, vcc_hi
; %bb.553:                              ;   in Loop: Header=BB55_3 Depth=1
	ds_store_b64 v48, v[42:43]
; %bb.554:                              ;   in Loop: Header=BB55_3 Depth=1
	s_or_b32 exec_lo, exec_lo, s10
	s_wait_dscnt 0x0
	s_barrier_signal -1
	s_barrier_wait -1
	s_barrier_signal -1
	s_barrier_wait -1
	s_and_saveexec_b32 s10, s3
; %bb.555:                              ;   in Loop: Header=BB55_3 Depth=1
	v_pk_add_f32 v[42:43], v[42:43], 0 neg_lo:[1,1] neg_hi:[1,1]
	ds_store_b64 v49, v[42:43] offset:16656
; %bb.556:                              ;   in Loop: Header=BB55_3 Depth=1
	s_or_b32 exec_lo, exec_lo, s10
	s_wait_dscnt 0x0
	s_barrier_signal -1
	s_barrier_wait -1
	s_barrier_signal -1
	s_barrier_wait -1
	s_and_saveexec_b32 s10, s12
; %bb.557:                              ;   in Loop: Header=BB55_3 Depth=1
	v_add_nc_u32_e64 v0, 0x4000, 0
	ds_store_2addr_b64 v0, v[38:39], v[38:39] offset0:162 offset1:227
; %bb.558:                              ;   in Loop: Header=BB55_3 Depth=1
	s_or_b32 exec_lo, exec_lo, s10
	v_mov_b64_e32 v[42:43], 0
	s_wait_dscnt 0x0
	s_barrier_signal -1
	s_barrier_wait -1
	s_and_saveexec_b32 s94, s4
	s_cbranch_execz .LBB55_564
; %bb.559:                              ;   in Loop: Header=BB55_3 Depth=1
	ds_load_b64 v[42:43], v55 offset:16672
	ds_load_b64 v[44:45], v53 offset:16640
	s_wait_dscnt 0x0
	v_dual_mul_f32 v0, v45, v43 :: v_dual_mul_f32 v43, v44, v43
	s_delay_alu instid0(VALU_DEP_1) | instskip(NEXT) | instid1(VALU_DEP_1)
	v_dual_fma_f32 v0, v44, v42, -v0 :: v_dual_fmac_f32 v43, v45, v42
	v_dual_add_f32 v42, 0, v0 :: v_dual_add_f32 v43, 0, v43
	s_and_saveexec_b32 s10, s14
	s_cbranch_execnz .LBB55_1026
; %bb.560:                              ;   in Loop: Header=BB55_3 Depth=1
	s_or_b32 exec_lo, exec_lo, s10
	s_and_saveexec_b32 s10, s15
	s_cbranch_execnz .LBB55_1027
.LBB55_561:                             ;   in Loop: Header=BB55_3 Depth=1
	s_or_b32 exec_lo, exec_lo, s10
	s_and_saveexec_b32 s10, s3
	s_cbranch_execz .LBB55_563
.LBB55_562:                             ;   in Loop: Header=BB55_3 Depth=1
	ds_load_b64 v[44:45], v51 offset:18208
	ds_load_b64 v[46:47], v1 offset:16664
	s_wait_dscnt 0x0
	v_dual_mul_f32 v0, v47, v45 :: v_dual_mul_f32 v83, v46, v45
	s_delay_alu instid0(VALU_DEP_1) | instskip(NEXT) | instid1(VALU_DEP_1)
	v_dual_fma_f32 v82, v46, v44, -v0 :: v_dual_fmac_f32 v83, v47, v44
	v_pk_add_f32 v[42:43], v[42:43], v[82:83]
.LBB55_563:                             ;   in Loop: Header=BB55_3 Depth=1
	s_or_b32 exec_lo, exec_lo, s10
	s_delay_alu instid0(VALU_DEP_1)
	v_pk_add_f32 v[42:43], v[42:43], 0 neg_lo:[1,1] neg_hi:[1,1]
.LBB55_564:                             ;   in Loop: Header=BB55_3 Depth=1
	s_or_b32 exec_lo, exec_lo, s94
	s_and_saveexec_b32 s10, s45
; %bb.565:                              ;   in Loop: Header=BB55_3 Depth=1
	ds_store_b64 v54, v[42:43]
; %bb.566:                              ;   in Loop: Header=BB55_3 Depth=1
	s_or_b32 exec_lo, exec_lo, s10
	s_wait_dscnt 0x0
	s_barrier_signal -1
	s_barrier_wait -1
	s_and_saveexec_b32 s10, s46
	s_cbranch_execz .LBB55_568
; %bb.567:                              ;   in Loop: Header=BB55_3 Depth=1
	ds_load_b64 v[44:45], v52 offset:18720
	ds_load_b64 v[46:47], v54
	s_wait_dscnt 0x0
	v_pk_mul_f32 v[82:83], v[46:47], v[44:45] op_sel:[1,1] op_sel_hi:[0,1]
	s_delay_alu instid0(VALU_DEP_1) | instskip(SKIP_1) | instid1(VALU_DEP_2)
	v_pk_fma_f32 v[84:85], v[46:47], v[44:45], v[82:83] op_sel_hi:[1,0,1]
	v_pk_fma_f32 v[44:45], v[46:47], v[44:45], v[82:83] neg_lo:[0,0,1] neg_hi:[0,0,1]
	v_mov_b32_e32 v45, v85
	s_delay_alu instid0(VALU_DEP_1)
	v_pk_add_f32 v[42:43], v[42:43], v[44:45]
.LBB55_568:                             ;   in Loop: Header=BB55_3 Depth=1
	s_or_b32 exec_lo, exec_lo, s10
	s_barrier_signal -1
	s_barrier_wait -1
	s_and_saveexec_b32 s10, s47
; %bb.569:                              ;   in Loop: Header=BB55_3 Depth=1
	ds_store_b64 v54, v[42:43]
; %bb.570:                              ;   in Loop: Header=BB55_3 Depth=1
	s_or_b32 exec_lo, exec_lo, s10
	s_wait_dscnt 0x0
	s_barrier_signal -1
	s_barrier_wait -1
	s_and_saveexec_b32 s10, s48
	s_cbranch_execz .LBB55_572
; %bb.571:                              ;   in Loop: Header=BB55_3 Depth=1
	ds_load_b64 v[44:45], v52 offset:19232
	ds_load_b64 v[46:47], v54
	s_wait_dscnt 0x0
	v_pk_mul_f32 v[82:83], v[46:47], v[44:45] op_sel:[1,1] op_sel_hi:[0,1]
	s_delay_alu instid0(VALU_DEP_1) | instskip(SKIP_1) | instid1(VALU_DEP_2)
	v_pk_fma_f32 v[84:85], v[46:47], v[44:45], v[82:83] op_sel_hi:[1,0,1]
	v_pk_fma_f32 v[44:45], v[46:47], v[44:45], v[82:83] neg_lo:[0,0,1] neg_hi:[0,0,1]
	v_mov_b32_e32 v45, v85
	s_delay_alu instid0(VALU_DEP_1)
	v_pk_add_f32 v[42:43], v[42:43], v[44:45]
.LBB55_572:                             ;   in Loop: Header=BB55_3 Depth=1
	s_or_b32 exec_lo, exec_lo, s10
	s_barrier_signal -1
	s_barrier_wait -1
	;; [unrolled: 25-line block ×3, first 2 shown]
	s_and_saveexec_b32 s10, s50
; %bb.577:                              ;   in Loop: Header=BB55_3 Depth=1
	ds_store_b64 v54, v[42:43]
; %bb.578:                              ;   in Loop: Header=BB55_3 Depth=1
	s_or_b32 exec_lo, exec_lo, s10
	s_wait_dscnt 0x0
	s_barrier_signal -1
	s_barrier_wait -1
	s_barrier_signal -1
	s_barrier_wait -1
	s_and_saveexec_b32 s10, s4
; %bb.579:                              ;   in Loop: Header=BB55_3 Depth=1
	v_pk_add_f32 v[42:43], v[42:43], 0 neg_lo:[1,1] neg_hi:[1,1]
	ds_store_b64 v55, v[42:43] offset:16672
; %bb.580:                              ;   in Loop: Header=BB55_3 Depth=1
	s_or_b32 exec_lo, exec_lo, s10
	s_wait_dscnt 0x0
	s_barrier_signal -1
	s_barrier_wait -1
	s_barrier_signal -1
	s_barrier_wait -1
	s_and_saveexec_b32 s10, s12
; %bb.581:                              ;   in Loop: Header=BB55_3 Depth=1
	v_add_nc_u32_e64 v0, 0x4800, 0
	ds_store_2addr_b64 v0, v[38:39], v[38:39] offset0:36 offset1:101
; %bb.582:                              ;   in Loop: Header=BB55_3 Depth=1
	s_or_b32 exec_lo, exec_lo, s10
	v_mov_b64_e32 v[42:43], 0
	s_wait_dscnt 0x0
	s_barrier_signal -1
	s_barrier_wait -1
	s_and_saveexec_b32 s94, s3
	s_cbranch_execz .LBB55_586
; %bb.583:                              ;   in Loop: Header=BB55_3 Depth=1
	ds_load_b64 v[42:43], v49 offset:18736
	ds_load_b64 v[44:45], v50 offset:18720
	s_wait_dscnt 0x0
	v_pk_mul_f32 v[46:47], v[44:45], v[42:43] op_sel:[1,1] op_sel_hi:[0,1]
	s_delay_alu instid0(VALU_DEP_1) | instskip(SKIP_1) | instid1(VALU_DEP_2)
	v_pk_fma_f32 v[82:83], v[44:45], v[42:43], v[46:47] op_sel_hi:[1,0,1]
	v_pk_fma_f32 v[42:43], v[44:45], v[42:43], v[46:47] neg_lo:[0,0,1] neg_hi:[0,0,1]
	v_mov_b32_e32 v43, v83
	s_delay_alu instid0(VALU_DEP_1)
	v_pk_add_f32 v[42:43], v[42:43], 0 op_sel_hi:[1,0]
	s_and_saveexec_b32 s10, s13
	s_cbranch_execz .LBB55_585
; %bb.584:                              ;   in Loop: Header=BB55_3 Depth=1
	ds_load_b64 v[44:45], v51 offset:19248
	ds_load_b64 v[46:47], v1 offset:18728
	s_wait_dscnt 0x0
	v_pk_mul_f32 v[82:83], v[46:47], v[44:45] op_sel:[1,1] op_sel_hi:[0,1]
	s_delay_alu instid0(VALU_DEP_1) | instskip(SKIP_1) | instid1(VALU_DEP_2)
	v_pk_fma_f32 v[84:85], v[46:47], v[44:45], v[82:83] op_sel_hi:[1,0,1]
	v_pk_fma_f32 v[44:45], v[46:47], v[44:45], v[82:83] neg_lo:[0,0,1] neg_hi:[0,0,1]
	v_mov_b32_e32 v45, v85
	s_delay_alu instid0(VALU_DEP_1)
	v_pk_add_f32 v[42:43], v[42:43], v[44:45]
.LBB55_585:                             ;   in Loop: Header=BB55_3 Depth=1
	s_or_b32 exec_lo, exec_lo, s10
	s_delay_alu instid0(VALU_DEP_1)
	v_pk_add_f32 v[42:43], v[42:43], 0 neg_lo:[1,1] neg_hi:[1,1]
.LBB55_586:                             ;   in Loop: Header=BB55_3 Depth=1
	s_or_b32 exec_lo, exec_lo, s94
	s_and_saveexec_b32 s10, s104
; %bb.587:                              ;   in Loop: Header=BB55_3 Depth=1
	ds_store_b64 v48, v[42:43]
; %bb.588:                              ;   in Loop: Header=BB55_3 Depth=1
	s_or_b32 exec_lo, exec_lo, s10
	s_wait_dscnt 0x0
	s_barrier_signal -1
	s_barrier_wait -1
	s_and_saveexec_b32 s10, vcc_hi
	s_cbranch_execz .LBB55_590
; %bb.589:                              ;   in Loop: Header=BB55_3 Depth=1
	ds_load_b64 v[44:45], v1 offset:19768
	ds_load_b64 v[46:47], v48
	s_wait_dscnt 0x0
	v_pk_mul_f32 v[82:83], v[46:47], v[44:45] op_sel:[1,1] op_sel_hi:[0,1]
	s_delay_alu instid0(VALU_DEP_1) | instskip(SKIP_1) | instid1(VALU_DEP_2)
	v_pk_fma_f32 v[84:85], v[46:47], v[44:45], v[82:83] op_sel_hi:[1,0,1]
	v_pk_fma_f32 v[44:45], v[46:47], v[44:45], v[82:83] neg_lo:[0,0,1] neg_hi:[0,0,1]
	v_mov_b32_e32 v45, v85
	s_delay_alu instid0(VALU_DEP_1)
	v_pk_add_f32 v[42:43], v[42:43], v[44:45]
.LBB55_590:                             ;   in Loop: Header=BB55_3 Depth=1
	s_or_b32 exec_lo, exec_lo, s10
	s_barrier_signal -1
	s_barrier_wait -1
	s_and_saveexec_b32 s10, vcc_hi
; %bb.591:                              ;   in Loop: Header=BB55_3 Depth=1
	ds_store_b64 v48, v[42:43]
; %bb.592:                              ;   in Loop: Header=BB55_3 Depth=1
	s_or_b32 exec_lo, exec_lo, s10
	s_wait_dscnt 0x0
	s_barrier_signal -1
	s_barrier_wait -1
	s_barrier_signal -1
	s_barrier_wait -1
	s_and_saveexec_b32 s10, s3
; %bb.593:                              ;   in Loop: Header=BB55_3 Depth=1
	v_pk_add_f32 v[42:43], v[42:43], 0 neg_lo:[1,1] neg_hi:[1,1]
	ds_store_b64 v49, v[42:43] offset:18736
; %bb.594:                              ;   in Loop: Header=BB55_3 Depth=1
	s_or_b32 exec_lo, exec_lo, s10
	s_wait_dscnt 0x0
	s_barrier_signal -1
	s_barrier_wait -1
	s_barrier_signal -1
	s_barrier_wait -1
	s_and_saveexec_b32 s10, s12
; %bb.595:                              ;   in Loop: Header=BB55_3 Depth=1
	v_add_nc_u32_e64 v0, 0x4800, 0
	ds_store_2addr_b64 v0, v[38:39], v[38:39] offset0:166 offset1:231
; %bb.596:                              ;   in Loop: Header=BB55_3 Depth=1
	s_or_b32 exec_lo, exec_lo, s10
	v_mov_b64_e32 v[42:43], 0
	s_wait_dscnt 0x0
	s_barrier_signal -1
	s_barrier_wait -1
	s_and_saveexec_b32 s94, s5
	s_cbranch_execz .LBB55_606
; %bb.597:                              ;   in Loop: Header=BB55_3 Depth=1
	ds_load_b64 v[42:43], v60 offset:16704
	ds_load_b64 v[44:45], v57 offset:16640
	s_wait_dscnt 0x0
	v_dual_mul_f32 v0, v45, v43 :: v_dual_mul_f32 v43, v44, v43
	s_delay_alu instid0(VALU_DEP_1) | instskip(NEXT) | instid1(VALU_DEP_1)
	v_dual_fma_f32 v0, v44, v42, -v0 :: v_dual_fmac_f32 v43, v45, v42
	v_dual_add_f32 v42, 0, v0 :: v_dual_add_f32 v43, 0, v43
	s_and_saveexec_b32 s10, s16
	s_cbranch_execnz .LBB55_1028
; %bb.598:                              ;   in Loop: Header=BB55_3 Depth=1
	s_or_b32 exec_lo, exec_lo, s10
	s_and_saveexec_b32 s10, s17
	s_cbranch_execnz .LBB55_1029
.LBB55_599:                             ;   in Loop: Header=BB55_3 Depth=1
	s_or_b32 exec_lo, exec_lo, s10
	s_and_saveexec_b32 s10, s18
	s_cbranch_execnz .LBB55_1030
.LBB55_600:                             ;   in Loop: Header=BB55_3 Depth=1
	s_or_b32 exec_lo, exec_lo, s10
	s_and_saveexec_b32 s10, s19
	s_cbranch_execnz .LBB55_1031
.LBB55_601:                             ;   in Loop: Header=BB55_3 Depth=1
	s_or_b32 exec_lo, exec_lo, s10
	s_and_saveexec_b32 s10, s20
	s_cbranch_execnz .LBB55_1032
.LBB55_602:                             ;   in Loop: Header=BB55_3 Depth=1
	s_or_b32 exec_lo, exec_lo, s10
	s_and_saveexec_b32 s10, s4
	s_cbranch_execnz .LBB55_1033
.LBB55_603:                             ;   in Loop: Header=BB55_3 Depth=1
	s_or_b32 exec_lo, exec_lo, s10
	s_and_saveexec_b32 s10, s15
	s_cbranch_execz .LBB55_605
.LBB55_604:                             ;   in Loop: Header=BB55_3 Depth=1
	ds_load_b64 v[44:45], v51 offset:20288
	ds_load_b64 v[46:47], v1 offset:16696
	s_wait_dscnt 0x0
	v_pk_mul_f32 v[82:83], v[46:47], v[44:45] op_sel:[1,1] op_sel_hi:[0,1]
	s_delay_alu instid0(VALU_DEP_1) | instskip(SKIP_1) | instid1(VALU_DEP_2)
	v_pk_fma_f32 v[84:85], v[46:47], v[44:45], v[82:83] op_sel_hi:[1,0,1]
	v_pk_fma_f32 v[44:45], v[46:47], v[44:45], v[82:83] neg_lo:[0,0,1] neg_hi:[0,0,1]
	v_mov_b32_e32 v45, v85
	s_delay_alu instid0(VALU_DEP_1)
	v_pk_add_f32 v[42:43], v[42:43], v[44:45]
.LBB55_605:                             ;   in Loop: Header=BB55_3 Depth=1
	s_or_b32 exec_lo, exec_lo, s10
	s_delay_alu instid0(VALU_DEP_1)
	v_pk_add_f32 v[42:43], v[42:43], 0 neg_lo:[1,1] neg_hi:[1,1]
.LBB55_606:                             ;   in Loop: Header=BB55_3 Depth=1
	s_or_b32 exec_lo, exec_lo, s94
	s_and_saveexec_b32 s10, s51
; %bb.607:                              ;   in Loop: Header=BB55_3 Depth=1
	ds_store_b64 v59, v[42:43]
; %bb.608:                              ;   in Loop: Header=BB55_3 Depth=1
	s_or_b32 exec_lo, exec_lo, s10
	s_wait_dscnt 0x0
	s_barrier_signal -1
	s_barrier_wait -1
	s_and_saveexec_b32 s10, s52
	s_cbranch_execz .LBB55_610
; %bb.609:                              ;   in Loop: Header=BB55_3 Depth=1
	ds_load_b64 v[44:45], v58 offset:20800
	ds_load_b64 v[46:47], v59
	s_wait_dscnt 0x0
	v_pk_mul_f32 v[82:83], v[46:47], v[44:45] op_sel:[1,1] op_sel_hi:[0,1]
	s_delay_alu instid0(VALU_DEP_1) | instskip(SKIP_1) | instid1(VALU_DEP_2)
	v_pk_fma_f32 v[84:85], v[46:47], v[44:45], v[82:83] op_sel_hi:[1,0,1]
	v_pk_fma_f32 v[44:45], v[46:47], v[44:45], v[82:83] neg_lo:[0,0,1] neg_hi:[0,0,1]
	v_mov_b32_e32 v45, v85
	s_delay_alu instid0(VALU_DEP_1)
	v_pk_add_f32 v[42:43], v[42:43], v[44:45]
.LBB55_610:                             ;   in Loop: Header=BB55_3 Depth=1
	s_or_b32 exec_lo, exec_lo, s10
	s_barrier_signal -1
	s_barrier_wait -1
	s_and_saveexec_b32 s10, s53
; %bb.611:                              ;   in Loop: Header=BB55_3 Depth=1
	ds_store_b64 v59, v[42:43]
; %bb.612:                              ;   in Loop: Header=BB55_3 Depth=1
	s_or_b32 exec_lo, exec_lo, s10
	s_wait_dscnt 0x0
	s_barrier_signal -1
	s_barrier_wait -1
	s_and_saveexec_b32 s10, s54
	s_cbranch_execz .LBB55_614
; %bb.613:                              ;   in Loop: Header=BB55_3 Depth=1
	ds_load_b64 v[44:45], v58 offset:21312
	ds_load_b64 v[46:47], v59
	s_wait_dscnt 0x0
	v_dual_mul_f32 v0, v47, v45 :: v_dual_mul_f32 v45, v46, v45
	s_delay_alu instid0(VALU_DEP_1) | instskip(NEXT) | instid1(VALU_DEP_1)
	v_dual_fma_f32 v0, v46, v44, -v0 :: v_dual_fmac_f32 v45, v47, v44
	v_dual_add_f32 v42, v42, v0 :: v_dual_add_f32 v43, v43, v45
.LBB55_614:                             ;   in Loop: Header=BB55_3 Depth=1
	s_or_b32 exec_lo, exec_lo, s10
	s_barrier_signal -1
	s_barrier_wait -1
	s_and_saveexec_b32 s10, s55
; %bb.615:                              ;   in Loop: Header=BB55_3 Depth=1
	ds_store_b64 v59, v[42:43]
; %bb.616:                              ;   in Loop: Header=BB55_3 Depth=1
	s_or_b32 exec_lo, exec_lo, s10
	s_wait_dscnt 0x0
	s_barrier_signal -1
	s_barrier_wait -1
	s_and_saveexec_b32 s10, s56
	s_cbranch_execz .LBB55_618
; %bb.617:                              ;   in Loop: Header=BB55_3 Depth=1
	ds_load_b64 v[44:45], v58 offset:21824
	ds_load_b64 v[46:47], v59
	s_wait_dscnt 0x0
	v_dual_mul_f32 v0, v47, v45 :: v_dual_mul_f32 v83, v46, v45
	s_delay_alu instid0(VALU_DEP_1) | instskip(NEXT) | instid1(VALU_DEP_1)
	v_dual_fma_f32 v82, v46, v44, -v0 :: v_dual_fmac_f32 v83, v47, v44
	v_pk_add_f32 v[42:43], v[42:43], v[82:83]
.LBB55_618:                             ;   in Loop: Header=BB55_3 Depth=1
	s_or_b32 exec_lo, exec_lo, s10
	s_barrier_signal -1
	s_barrier_wait -1
	s_and_saveexec_b32 s10, s57
; %bb.619:                              ;   in Loop: Header=BB55_3 Depth=1
	ds_store_b64 v59, v[42:43]
; %bb.620:                              ;   in Loop: Header=BB55_3 Depth=1
	s_or_b32 exec_lo, exec_lo, s10
	s_wait_dscnt 0x0
	s_barrier_signal -1
	s_barrier_wait -1
	s_and_saveexec_b32 s10, s58
	s_cbranch_execz .LBB55_622
; %bb.621:                              ;   in Loop: Header=BB55_3 Depth=1
	ds_load_b64 v[44:45], v58 offset:22336
	ds_load_b64 v[46:47], v59
	s_wait_dscnt 0x0
	v_pk_mul_f32 v[82:83], v[46:47], v[44:45] op_sel:[1,1] op_sel_hi:[0,1]
	s_delay_alu instid0(VALU_DEP_1) | instskip(SKIP_1) | instid1(VALU_DEP_2)
	v_pk_fma_f32 v[84:85], v[46:47], v[44:45], v[82:83] op_sel_hi:[1,0,1]
	v_pk_fma_f32 v[44:45], v[46:47], v[44:45], v[82:83] neg_lo:[0,0,1] neg_hi:[0,0,1]
	v_mov_b32_e32 v45, v85
	s_delay_alu instid0(VALU_DEP_1)
	v_pk_add_f32 v[42:43], v[42:43], v[44:45]
.LBB55_622:                             ;   in Loop: Header=BB55_3 Depth=1
	s_or_b32 exec_lo, exec_lo, s10
	s_barrier_signal -1
	s_barrier_wait -1
	s_and_saveexec_b32 s10, s59
; %bb.623:                              ;   in Loop: Header=BB55_3 Depth=1
	ds_store_b64 v59, v[42:43]
; %bb.624:                              ;   in Loop: Header=BB55_3 Depth=1
	s_or_b32 exec_lo, exec_lo, s10
	s_wait_dscnt 0x0
	s_barrier_signal -1
	s_barrier_wait -1
	s_and_saveexec_b32 s10, s60
	s_cbranch_execz .LBB55_626
; %bb.625:                              ;   in Loop: Header=BB55_3 Depth=1
	ds_load_b64 v[44:45], v58 offset:22848
	ds_load_b64 v[46:47], v59
	s_wait_dscnt 0x0
	v_pk_mul_f32 v[82:83], v[46:47], v[44:45] op_sel:[1,1] op_sel_hi:[0,1]
	s_delay_alu instid0(VALU_DEP_1) | instskip(SKIP_1) | instid1(VALU_DEP_2)
	v_pk_fma_f32 v[84:85], v[46:47], v[44:45], v[82:83] op_sel_hi:[1,0,1]
	v_pk_fma_f32 v[44:45], v[46:47], v[44:45], v[82:83] neg_lo:[0,0,1] neg_hi:[0,0,1]
	v_mov_b32_e32 v45, v85
	s_delay_alu instid0(VALU_DEP_1)
	v_pk_add_f32 v[42:43], v[42:43], v[44:45]
.LBB55_626:                             ;   in Loop: Header=BB55_3 Depth=1
	;; [unrolled: 25-line block ×4, first 2 shown]
	s_or_b32 exec_lo, exec_lo, s10
	s_barrier_signal -1
	s_barrier_wait -1
	s_and_saveexec_b32 s10, s64
; %bb.635:                              ;   in Loop: Header=BB55_3 Depth=1
	ds_store_b64 v59, v[42:43]
; %bb.636:                              ;   in Loop: Header=BB55_3 Depth=1
	s_or_b32 exec_lo, exec_lo, s10
	s_wait_dscnt 0x0
	s_barrier_signal -1
	s_barrier_wait -1
	s_barrier_signal -1
	s_barrier_wait -1
	s_and_saveexec_b32 s10, s5
; %bb.637:                              ;   in Loop: Header=BB55_3 Depth=1
	v_pk_add_f32 v[42:43], v[42:43], 0 neg_lo:[1,1] neg_hi:[1,1]
	ds_store_b64 v60, v[42:43] offset:16704
; %bb.638:                              ;   in Loop: Header=BB55_3 Depth=1
	s_or_b32 exec_lo, exec_lo, s10
	s_wait_dscnt 0x0
	s_barrier_signal -1
	s_barrier_wait -1
	s_barrier_signal -1
	s_barrier_wait -1
	s_and_saveexec_b32 s10, s12
; %bb.639:                              ;   in Loop: Header=BB55_3 Depth=1
	v_add_nc_u32_e64 v0, 0x5000, 0
	ds_store_2addr_b64 v0, v[38:39], v[38:39] offset0:40 offset1:105
; %bb.640:                              ;   in Loop: Header=BB55_3 Depth=1
	s_or_b32 exec_lo, exec_lo, s10
	v_mov_b64_e32 v[42:43], 0
	s_wait_dscnt 0x0
	s_barrier_signal -1
	s_barrier_wait -1
	s_and_saveexec_b32 s94, s3
	s_cbranch_execz .LBB55_644
; %bb.641:                              ;   in Loop: Header=BB55_3 Depth=1
	ds_load_b64 v[42:43], v49 offset:20816
	ds_load_b64 v[44:45], v50 offset:20800
	s_wait_dscnt 0x0
	v_pk_mul_f32 v[46:47], v[44:45], v[42:43] op_sel:[1,1] op_sel_hi:[0,1]
	s_delay_alu instid0(VALU_DEP_1) | instskip(SKIP_1) | instid1(VALU_DEP_2)
	v_pk_fma_f32 v[82:83], v[44:45], v[42:43], v[46:47] op_sel_hi:[1,0,1]
	v_pk_fma_f32 v[42:43], v[44:45], v[42:43], v[46:47] neg_lo:[0,0,1] neg_hi:[0,0,1]
	v_mov_b32_e32 v43, v83
	s_delay_alu instid0(VALU_DEP_1)
	v_pk_add_f32 v[42:43], v[42:43], 0 op_sel_hi:[1,0]
	s_and_saveexec_b32 s10, s13
	s_cbranch_execz .LBB55_643
; %bb.642:                              ;   in Loop: Header=BB55_3 Depth=1
	ds_load_b64 v[44:45], v51 offset:21328
	ds_load_b64 v[46:47], v1 offset:20808
	s_wait_dscnt 0x0
	v_pk_mul_f32 v[82:83], v[46:47], v[44:45] op_sel:[1,1] op_sel_hi:[0,1]
	s_delay_alu instid0(VALU_DEP_1) | instskip(SKIP_1) | instid1(VALU_DEP_2)
	v_pk_fma_f32 v[84:85], v[46:47], v[44:45], v[82:83] op_sel_hi:[1,0,1]
	v_pk_fma_f32 v[44:45], v[46:47], v[44:45], v[82:83] neg_lo:[0,0,1] neg_hi:[0,0,1]
	v_mov_b32_e32 v45, v85
	s_delay_alu instid0(VALU_DEP_1)
	v_pk_add_f32 v[42:43], v[42:43], v[44:45]
.LBB55_643:                             ;   in Loop: Header=BB55_3 Depth=1
	s_or_b32 exec_lo, exec_lo, s10
	s_delay_alu instid0(VALU_DEP_1)
	v_pk_add_f32 v[42:43], v[42:43], 0 neg_lo:[1,1] neg_hi:[1,1]
.LBB55_644:                             ;   in Loop: Header=BB55_3 Depth=1
	s_or_b32 exec_lo, exec_lo, s94
	s_and_saveexec_b32 s10, s104
; %bb.645:                              ;   in Loop: Header=BB55_3 Depth=1
	ds_store_b64 v48, v[42:43]
; %bb.646:                              ;   in Loop: Header=BB55_3 Depth=1
	s_or_b32 exec_lo, exec_lo, s10
	s_wait_dscnt 0x0
	s_barrier_signal -1
	s_barrier_wait -1
	s_and_saveexec_b32 s10, vcc_hi
	s_cbranch_execz .LBB55_648
; %bb.647:                              ;   in Loop: Header=BB55_3 Depth=1
	ds_load_b64 v[44:45], v1 offset:21848
	ds_load_b64 v[46:47], v48
	s_wait_dscnt 0x0
	v_pk_mul_f32 v[82:83], v[46:47], v[44:45] op_sel:[1,1] op_sel_hi:[0,1]
	s_delay_alu instid0(VALU_DEP_1) | instskip(SKIP_1) | instid1(VALU_DEP_2)
	v_pk_fma_f32 v[84:85], v[46:47], v[44:45], v[82:83] op_sel_hi:[1,0,1]
	v_pk_fma_f32 v[44:45], v[46:47], v[44:45], v[82:83] neg_lo:[0,0,1] neg_hi:[0,0,1]
	v_mov_b32_e32 v45, v85
	s_delay_alu instid0(VALU_DEP_1)
	v_pk_add_f32 v[42:43], v[42:43], v[44:45]
.LBB55_648:                             ;   in Loop: Header=BB55_3 Depth=1
	s_or_b32 exec_lo, exec_lo, s10
	s_barrier_signal -1
	s_barrier_wait -1
	s_and_saveexec_b32 s10, vcc_hi
; %bb.649:                              ;   in Loop: Header=BB55_3 Depth=1
	ds_store_b64 v48, v[42:43]
; %bb.650:                              ;   in Loop: Header=BB55_3 Depth=1
	s_or_b32 exec_lo, exec_lo, s10
	s_wait_dscnt 0x0
	s_barrier_signal -1
	s_barrier_wait -1
	s_barrier_signal -1
	s_barrier_wait -1
	s_and_saveexec_b32 s10, s3
; %bb.651:                              ;   in Loop: Header=BB55_3 Depth=1
	v_pk_add_f32 v[42:43], v[42:43], 0 neg_lo:[1,1] neg_hi:[1,1]
	ds_store_b64 v49, v[42:43] offset:20816
; %bb.652:                              ;   in Loop: Header=BB55_3 Depth=1
	s_or_b32 exec_lo, exec_lo, s10
	s_wait_dscnt 0x0
	s_barrier_signal -1
	s_barrier_wait -1
	s_barrier_signal -1
	s_barrier_wait -1
	s_and_saveexec_b32 s10, s12
; %bb.653:                              ;   in Loop: Header=BB55_3 Depth=1
	v_add_nc_u32_e64 v0, 0x5000, 0
	ds_store_2addr_b64 v0, v[38:39], v[38:39] offset0:170 offset1:235
; %bb.654:                              ;   in Loop: Header=BB55_3 Depth=1
	s_or_b32 exec_lo, exec_lo, s10
	v_mov_b64_e32 v[42:43], 0
	s_wait_dscnt 0x0
	s_barrier_signal -1
	s_barrier_wait -1
	s_and_saveexec_b32 s94, s4
	s_cbranch_execz .LBB55_660
; %bb.655:                              ;   in Loop: Header=BB55_3 Depth=1
	ds_load_b64 v[42:43], v55 offset:20832
	ds_load_b64 v[44:45], v53 offset:20800
	s_wait_dscnt 0x0
	v_dual_mul_f32 v0, v45, v43 :: v_dual_mul_f32 v43, v44, v43
	s_delay_alu instid0(VALU_DEP_1) | instskip(NEXT) | instid1(VALU_DEP_1)
	v_dual_fma_f32 v0, v44, v42, -v0 :: v_dual_fmac_f32 v43, v45, v42
	v_dual_add_f32 v42, 0, v0 :: v_dual_add_f32 v43, 0, v43
	s_and_saveexec_b32 s10, s14
	s_cbranch_execnz .LBB55_1034
; %bb.656:                              ;   in Loop: Header=BB55_3 Depth=1
	s_or_b32 exec_lo, exec_lo, s10
	s_and_saveexec_b32 s10, s15
	s_cbranch_execnz .LBB55_1035
.LBB55_657:                             ;   in Loop: Header=BB55_3 Depth=1
	s_or_b32 exec_lo, exec_lo, s10
	s_and_saveexec_b32 s10, s3
	s_cbranch_execz .LBB55_659
.LBB55_658:                             ;   in Loop: Header=BB55_3 Depth=1
	ds_load_b64 v[44:45], v51 offset:22368
	ds_load_b64 v[46:47], v1 offset:20824
	s_wait_dscnt 0x0
	v_dual_mul_f32 v0, v47, v45 :: v_dual_mul_f32 v83, v46, v45
	s_delay_alu instid0(VALU_DEP_1) | instskip(NEXT) | instid1(VALU_DEP_1)
	v_dual_fma_f32 v82, v46, v44, -v0 :: v_dual_fmac_f32 v83, v47, v44
	v_pk_add_f32 v[42:43], v[42:43], v[82:83]
.LBB55_659:                             ;   in Loop: Header=BB55_3 Depth=1
	s_or_b32 exec_lo, exec_lo, s10
	s_delay_alu instid0(VALU_DEP_1)
	v_pk_add_f32 v[42:43], v[42:43], 0 neg_lo:[1,1] neg_hi:[1,1]
.LBB55_660:                             ;   in Loop: Header=BB55_3 Depth=1
	s_or_b32 exec_lo, exec_lo, s94
	s_and_saveexec_b32 s10, s45
; %bb.661:                              ;   in Loop: Header=BB55_3 Depth=1
	ds_store_b64 v54, v[42:43]
; %bb.662:                              ;   in Loop: Header=BB55_3 Depth=1
	s_or_b32 exec_lo, exec_lo, s10
	s_wait_dscnt 0x0
	s_barrier_signal -1
	s_barrier_wait -1
	s_and_saveexec_b32 s10, s46
	s_cbranch_execz .LBB55_664
; %bb.663:                              ;   in Loop: Header=BB55_3 Depth=1
	ds_load_b64 v[44:45], v52 offset:22880
	ds_load_b64 v[46:47], v54
	s_wait_dscnt 0x0
	v_pk_mul_f32 v[82:83], v[46:47], v[44:45] op_sel:[1,1] op_sel_hi:[0,1]
	s_delay_alu instid0(VALU_DEP_1) | instskip(SKIP_1) | instid1(VALU_DEP_2)
	v_pk_fma_f32 v[84:85], v[46:47], v[44:45], v[82:83] op_sel_hi:[1,0,1]
	v_pk_fma_f32 v[44:45], v[46:47], v[44:45], v[82:83] neg_lo:[0,0,1] neg_hi:[0,0,1]
	v_mov_b32_e32 v45, v85
	s_delay_alu instid0(VALU_DEP_1)
	v_pk_add_f32 v[42:43], v[42:43], v[44:45]
.LBB55_664:                             ;   in Loop: Header=BB55_3 Depth=1
	s_or_b32 exec_lo, exec_lo, s10
	s_barrier_signal -1
	s_barrier_wait -1
	s_and_saveexec_b32 s10, s47
; %bb.665:                              ;   in Loop: Header=BB55_3 Depth=1
	ds_store_b64 v54, v[42:43]
; %bb.666:                              ;   in Loop: Header=BB55_3 Depth=1
	s_or_b32 exec_lo, exec_lo, s10
	s_wait_dscnt 0x0
	s_barrier_signal -1
	s_barrier_wait -1
	s_and_saveexec_b32 s10, s48
	s_cbranch_execz .LBB55_668
; %bb.667:                              ;   in Loop: Header=BB55_3 Depth=1
	ds_load_b64 v[44:45], v52 offset:23392
	ds_load_b64 v[46:47], v54
	s_wait_dscnt 0x0
	v_pk_mul_f32 v[82:83], v[46:47], v[44:45] op_sel:[1,1] op_sel_hi:[0,1]
	s_delay_alu instid0(VALU_DEP_1) | instskip(SKIP_1) | instid1(VALU_DEP_2)
	v_pk_fma_f32 v[84:85], v[46:47], v[44:45], v[82:83] op_sel_hi:[1,0,1]
	v_pk_fma_f32 v[44:45], v[46:47], v[44:45], v[82:83] neg_lo:[0,0,1] neg_hi:[0,0,1]
	v_mov_b32_e32 v45, v85
	s_delay_alu instid0(VALU_DEP_1)
	v_pk_add_f32 v[42:43], v[42:43], v[44:45]
.LBB55_668:                             ;   in Loop: Header=BB55_3 Depth=1
	s_or_b32 exec_lo, exec_lo, s10
	s_barrier_signal -1
	s_barrier_wait -1
	;; [unrolled: 25-line block ×3, first 2 shown]
	s_and_saveexec_b32 s10, s50
; %bb.673:                              ;   in Loop: Header=BB55_3 Depth=1
	ds_store_b64 v54, v[42:43]
; %bb.674:                              ;   in Loop: Header=BB55_3 Depth=1
	s_or_b32 exec_lo, exec_lo, s10
	s_wait_dscnt 0x0
	s_barrier_signal -1
	s_barrier_wait -1
	s_barrier_signal -1
	s_barrier_wait -1
	s_and_saveexec_b32 s10, s4
; %bb.675:                              ;   in Loop: Header=BB55_3 Depth=1
	v_pk_add_f32 v[42:43], v[42:43], 0 neg_lo:[1,1] neg_hi:[1,1]
	ds_store_b64 v55, v[42:43] offset:20832
; %bb.676:                              ;   in Loop: Header=BB55_3 Depth=1
	s_or_b32 exec_lo, exec_lo, s10
	s_wait_dscnt 0x0
	s_barrier_signal -1
	s_barrier_wait -1
	s_barrier_signal -1
	s_barrier_wait -1
	s_and_saveexec_b32 s10, s12
; %bb.677:                              ;   in Loop: Header=BB55_3 Depth=1
	v_add_nc_u32_e64 v0, 0x5800, 0
	ds_store_2addr_b64 v0, v[38:39], v[38:39] offset0:44 offset1:109
; %bb.678:                              ;   in Loop: Header=BB55_3 Depth=1
	s_or_b32 exec_lo, exec_lo, s10
	v_mov_b64_e32 v[42:43], 0
	s_wait_dscnt 0x0
	s_barrier_signal -1
	s_barrier_wait -1
	s_and_saveexec_b32 s94, s3
	s_cbranch_execz .LBB55_682
; %bb.679:                              ;   in Loop: Header=BB55_3 Depth=1
	ds_load_b64 v[42:43], v49 offset:22896
	ds_load_b64 v[44:45], v50 offset:22880
	s_wait_dscnt 0x0
	v_pk_mul_f32 v[46:47], v[44:45], v[42:43] op_sel:[1,1] op_sel_hi:[0,1]
	s_delay_alu instid0(VALU_DEP_1) | instskip(SKIP_1) | instid1(VALU_DEP_2)
	v_pk_fma_f32 v[82:83], v[44:45], v[42:43], v[46:47] op_sel_hi:[1,0,1]
	v_pk_fma_f32 v[42:43], v[44:45], v[42:43], v[46:47] neg_lo:[0,0,1] neg_hi:[0,0,1]
	v_mov_b32_e32 v43, v83
	s_delay_alu instid0(VALU_DEP_1)
	v_pk_add_f32 v[42:43], v[42:43], 0 op_sel_hi:[1,0]
	s_and_saveexec_b32 s10, s13
	s_cbranch_execz .LBB55_681
; %bb.680:                              ;   in Loop: Header=BB55_3 Depth=1
	ds_load_b64 v[44:45], v51 offset:23408
	ds_load_b64 v[46:47], v1 offset:22888
	s_wait_dscnt 0x0
	v_pk_mul_f32 v[82:83], v[46:47], v[44:45] op_sel:[1,1] op_sel_hi:[0,1]
	s_delay_alu instid0(VALU_DEP_1) | instskip(SKIP_1) | instid1(VALU_DEP_2)
	v_pk_fma_f32 v[84:85], v[46:47], v[44:45], v[82:83] op_sel_hi:[1,0,1]
	v_pk_fma_f32 v[44:45], v[46:47], v[44:45], v[82:83] neg_lo:[0,0,1] neg_hi:[0,0,1]
	v_mov_b32_e32 v45, v85
	s_delay_alu instid0(VALU_DEP_1)
	v_pk_add_f32 v[42:43], v[42:43], v[44:45]
.LBB55_681:                             ;   in Loop: Header=BB55_3 Depth=1
	s_or_b32 exec_lo, exec_lo, s10
	s_delay_alu instid0(VALU_DEP_1)
	v_pk_add_f32 v[42:43], v[42:43], 0 neg_lo:[1,1] neg_hi:[1,1]
.LBB55_682:                             ;   in Loop: Header=BB55_3 Depth=1
	s_or_b32 exec_lo, exec_lo, s94
	s_and_saveexec_b32 s10, s104
; %bb.683:                              ;   in Loop: Header=BB55_3 Depth=1
	ds_store_b64 v48, v[42:43]
; %bb.684:                              ;   in Loop: Header=BB55_3 Depth=1
	s_or_b32 exec_lo, exec_lo, s10
	s_wait_dscnt 0x0
	s_barrier_signal -1
	s_barrier_wait -1
	s_and_saveexec_b32 s10, vcc_hi
	s_cbranch_execz .LBB55_686
; %bb.685:                              ;   in Loop: Header=BB55_3 Depth=1
	ds_load_b64 v[44:45], v1 offset:23928
	ds_load_b64 v[46:47], v48
	s_wait_dscnt 0x0
	v_pk_mul_f32 v[82:83], v[46:47], v[44:45] op_sel:[1,1] op_sel_hi:[0,1]
	s_delay_alu instid0(VALU_DEP_1) | instskip(SKIP_1) | instid1(VALU_DEP_2)
	v_pk_fma_f32 v[84:85], v[46:47], v[44:45], v[82:83] op_sel_hi:[1,0,1]
	v_pk_fma_f32 v[44:45], v[46:47], v[44:45], v[82:83] neg_lo:[0,0,1] neg_hi:[0,0,1]
	v_mov_b32_e32 v45, v85
	s_delay_alu instid0(VALU_DEP_1)
	v_pk_add_f32 v[42:43], v[42:43], v[44:45]
.LBB55_686:                             ;   in Loop: Header=BB55_3 Depth=1
	s_or_b32 exec_lo, exec_lo, s10
	s_barrier_signal -1
	s_barrier_wait -1
	s_and_saveexec_b32 s10, vcc_hi
; %bb.687:                              ;   in Loop: Header=BB55_3 Depth=1
	ds_store_b64 v48, v[42:43]
; %bb.688:                              ;   in Loop: Header=BB55_3 Depth=1
	s_or_b32 exec_lo, exec_lo, s10
	s_wait_dscnt 0x0
	s_barrier_signal -1
	s_barrier_wait -1
	s_barrier_signal -1
	s_barrier_wait -1
	s_and_saveexec_b32 s10, s3
; %bb.689:                              ;   in Loop: Header=BB55_3 Depth=1
	v_pk_add_f32 v[42:43], v[42:43], 0 neg_lo:[1,1] neg_hi:[1,1]
	ds_store_b64 v49, v[42:43] offset:22896
; %bb.690:                              ;   in Loop: Header=BB55_3 Depth=1
	s_or_b32 exec_lo, exec_lo, s10
	s_wait_dscnt 0x0
	s_barrier_signal -1
	s_barrier_wait -1
	s_barrier_signal -1
	s_barrier_wait -1
	s_and_saveexec_b32 s10, s12
; %bb.691:                              ;   in Loop: Header=BB55_3 Depth=1
	v_add_nc_u32_e64 v0, 0x5800, 0
	ds_store_2addr_b64 v0, v[38:39], v[38:39] offset0:174 offset1:239
; %bb.692:                              ;   in Loop: Header=BB55_3 Depth=1
	s_or_b32 exec_lo, exec_lo, s10
	v_mov_b64_e32 v[42:43], 0
	s_wait_dscnt 0x0
	s_barrier_signal -1
	s_barrier_wait -1
	s_and_saveexec_b32 s94, s6
	s_cbranch_execz .LBB55_720
; %bb.693:                              ;   in Loop: Header=BB55_3 Depth=1
	ds_load_b64 v[42:43], v65 offset:16768
	ds_load_b64 v[44:45], v62 offset:16640
	v_readlane_b32 s8, v92, 22
	s_wait_dscnt 0x0
	v_dual_mul_f32 v0, v45, v43 :: v_dual_mul_f32 v43, v44, v43
	s_delay_alu instid0(VALU_DEP_1) | instskip(NEXT) | instid1(VALU_DEP_1)
	v_dual_fma_f32 v0, v44, v42, -v0 :: v_dual_fmac_f32 v43, v45, v42
	v_dual_add_f32 v42, 0, v0 :: v_dual_add_f32 v43, 0, v43
	s_and_saveexec_b32 s10, s8
	s_cbranch_execz .LBB55_695
; %bb.694:                              ;   in Loop: Header=BB55_3 Depth=1
	ds_load_b64 v[44:45], v66 offset:17280
	ds_load_b64 v[46:47], v62 offset:16648
	s_wait_dscnt 0x0
	v_dual_mul_f32 v0, v47, v45 :: v_dual_mul_f32 v45, v46, v45
	s_delay_alu instid0(VALU_DEP_1) | instskip(NEXT) | instid1(VALU_DEP_1)
	v_dual_fma_f32 v0, v46, v44, -v0 :: v_dual_fmac_f32 v45, v47, v44
	v_dual_add_f32 v42, v42, v0 :: v_dual_add_f32 v43, v43, v45
.LBB55_695:                             ;   in Loop: Header=BB55_3 Depth=1
	s_or_b32 exec_lo, exec_lo, s10
	v_readlane_b32 s8, v92, 23
	s_and_saveexec_b32 s10, s8
	s_cbranch_execz .LBB55_697
; %bb.696:                              ;   in Loop: Header=BB55_3 Depth=1
	ds_load_b64 v[44:45], v66 offset:17792
	ds_load_b64 v[46:47], v62 offset:16656
	s_wait_dscnt 0x0
	v_dual_mul_f32 v0, v47, v45 :: v_dual_mul_f32 v45, v46, v45
	s_delay_alu instid0(VALU_DEP_1) | instskip(NEXT) | instid1(VALU_DEP_1)
	v_dual_fma_f32 v0, v46, v44, -v0 :: v_dual_fmac_f32 v45, v47, v44
	v_dual_add_f32 v42, v42, v0 :: v_dual_add_f32 v43, v43, v45
.LBB55_697:                             ;   in Loop: Header=BB55_3 Depth=1
	s_or_b32 exec_lo, exec_lo, s10
	v_readlane_b32 s8, v92, 24
	s_and_saveexec_b32 s10, s8
	s_cbranch_execz .LBB55_699
; %bb.698:                              ;   in Loop: Header=BB55_3 Depth=1
	ds_load_b64 v[44:45], v66 offset:18304
	ds_load_b64 v[46:47], v62 offset:16664
	s_wait_dscnt 0x0
	v_dual_mul_f32 v0, v47, v45 :: v_dual_mul_f32 v45, v46, v45
	s_delay_alu instid0(VALU_DEP_1) | instskip(NEXT) | instid1(VALU_DEP_1)
	v_dual_fma_f32 v0, v46, v44, -v0 :: v_dual_fmac_f32 v45, v47, v44
	v_dual_add_f32 v42, v42, v0 :: v_dual_add_f32 v43, v43, v45
.LBB55_699:                             ;   in Loop: Header=BB55_3 Depth=1
	s_or_b32 exec_lo, exec_lo, s10
	v_readlane_b32 s8, v92, 25
	s_and_saveexec_b32 s10, s8
	s_cbranch_execz .LBB55_701
; %bb.700:                              ;   in Loop: Header=BB55_3 Depth=1
	ds_load_b64 v[44:45], v66 offset:18816
	ds_load_b64 v[46:47], v62 offset:16672
	s_wait_dscnt 0x0
	v_dual_mul_f32 v0, v47, v45 :: v_dual_mul_f32 v45, v46, v45
	s_delay_alu instid0(VALU_DEP_1) | instskip(NEXT) | instid1(VALU_DEP_1)
	v_dual_fma_f32 v0, v46, v44, -v0 :: v_dual_fmac_f32 v45, v47, v44
	v_dual_add_f32 v42, v42, v0 :: v_dual_add_f32 v43, v43, v45
.LBB55_701:                             ;   in Loop: Header=BB55_3 Depth=1
	s_or_b32 exec_lo, exec_lo, s10
	v_readlane_b32 s8, v92, 26
	s_and_saveexec_b32 s10, s8
	s_cbranch_execz .LBB55_703
; %bb.702:                              ;   in Loop: Header=BB55_3 Depth=1
	ds_load_b64 v[44:45], v66 offset:19328
	ds_load_b64 v[46:47], v62 offset:16680
	s_wait_dscnt 0x0
	v_dual_mul_f32 v0, v47, v45 :: v_dual_mul_f32 v45, v46, v45
	s_delay_alu instid0(VALU_DEP_1) | instskip(NEXT) | instid1(VALU_DEP_1)
	v_dual_fma_f32 v0, v46, v44, -v0 :: v_dual_fmac_f32 v45, v47, v44
	v_dual_add_f32 v42, v42, v0 :: v_dual_add_f32 v43, v43, v45
.LBB55_703:                             ;   in Loop: Header=BB55_3 Depth=1
	s_or_b32 exec_lo, exec_lo, s10
	v_readlane_b32 s8, v92, 27
	s_and_saveexec_b32 s10, s8
	s_cbranch_execz .LBB55_705
; %bb.704:                              ;   in Loop: Header=BB55_3 Depth=1
	ds_load_b64 v[44:45], v66 offset:19840
	ds_load_b64 v[46:47], v62 offset:16688
	s_wait_dscnt 0x0
	v_dual_mul_f32 v0, v47, v45 :: v_dual_mul_f32 v45, v46, v45
	s_delay_alu instid0(VALU_DEP_1) | instskip(NEXT) | instid1(VALU_DEP_1)
	v_dual_fma_f32 v0, v46, v44, -v0 :: v_dual_fmac_f32 v45, v47, v44
	v_dual_add_f32 v42, v42, v0 :: v_dual_add_f32 v43, v43, v45
.LBB55_705:                             ;   in Loop: Header=BB55_3 Depth=1
	s_or_b32 exec_lo, exec_lo, s10
	v_readlane_b32 s8, v92, 28
	s_and_saveexec_b32 s10, s8
	s_cbranch_execz .LBB55_707
; %bb.706:                              ;   in Loop: Header=BB55_3 Depth=1
	ds_load_b64 v[44:45], v66 offset:20352
	ds_load_b64 v[46:47], v62 offset:16696
	s_wait_dscnt 0x0
	v_dual_mul_f32 v0, v47, v45 :: v_dual_mul_f32 v45, v46, v45
	s_delay_alu instid0(VALU_DEP_1) | instskip(NEXT) | instid1(VALU_DEP_1)
	v_dual_fma_f32 v0, v46, v44, -v0 :: v_dual_fmac_f32 v45, v47, v44
	v_dual_add_f32 v42, v42, v0 :: v_dual_add_f32 v43, v43, v45
.LBB55_707:                             ;   in Loop: Header=BB55_3 Depth=1
	s_or_b32 exec_lo, exec_lo, s10
	v_readlane_b32 s8, v92, 29
	s_and_saveexec_b32 s10, s8
	s_cbranch_execz .LBB55_709
; %bb.708:                              ;   in Loop: Header=BB55_3 Depth=1
	ds_load_b64 v[44:45], v65 offset:20864
	ds_load_b64 v[46:47], v62 offset:16704
	s_wait_dscnt 0x0
	v_dual_mul_f32 v0, v47, v45 :: v_dual_mul_f32 v45, v46, v45
	s_delay_alu instid0(VALU_DEP_1) | instskip(NEXT) | instid1(VALU_DEP_1)
	v_dual_fma_f32 v0, v46, v44, -v0 :: v_dual_fmac_f32 v45, v47, v44
	v_dual_add_f32 v42, v42, v0 :: v_dual_add_f32 v43, v43, v45
.LBB55_709:                             ;   in Loop: Header=BB55_3 Depth=1
	s_or_b32 exec_lo, exec_lo, s10
	v_readlane_b32 s8, v92, 30
	s_and_saveexec_b32 s10, s8
	s_cbranch_execz .LBB55_711
; %bb.710:                              ;   in Loop: Header=BB55_3 Depth=1
	ds_load_b64 v[44:45], v66 offset:21376
	ds_load_b64 v[46:47], v62 offset:16712
	s_wait_dscnt 0x0
	v_dual_mul_f32 v0, v47, v45 :: v_dual_mul_f32 v45, v46, v45
	s_delay_alu instid0(VALU_DEP_1) | instskip(NEXT) | instid1(VALU_DEP_1)
	v_dual_fma_f32 v0, v46, v44, -v0 :: v_dual_fmac_f32 v45, v47, v44
	v_dual_add_f32 v42, v42, v0 :: v_dual_add_f32 v43, v43, v45
.LBB55_711:                             ;   in Loop: Header=BB55_3 Depth=1
	s_or_b32 exec_lo, exec_lo, s10
	v_readlane_b32 s8, v92, 31
	s_and_saveexec_b32 s10, s8
	s_cbranch_execz .LBB55_713
; %bb.712:                              ;   in Loop: Header=BB55_3 Depth=1
	ds_load_b64 v[44:45], v66 offset:21888
	ds_load_b64 v[46:47], v62 offset:16720
	s_wait_dscnt 0x0
	v_dual_mul_f32 v0, v47, v45 :: v_dual_mul_f32 v45, v46, v45
	s_delay_alu instid0(VALU_DEP_1) | instskip(NEXT) | instid1(VALU_DEP_1)
	v_dual_fma_f32 v0, v46, v44, -v0 :: v_dual_fmac_f32 v45, v47, v44
	v_dual_add_f32 v42, v42, v0 :: v_dual_add_f32 v43, v43, v45
.LBB55_713:                             ;   in Loop: Header=BB55_3 Depth=1
	s_or_b32 exec_lo, exec_lo, s10
	v_readlane_b32 s8, v91, 0
	s_and_saveexec_b32 s10, s8
	s_cbranch_execnz .LBB55_1036
; %bb.714:                              ;   in Loop: Header=BB55_3 Depth=1
	s_or_b32 exec_lo, exec_lo, s10
	s_and_saveexec_b32 s10, s5
	s_cbranch_execnz .LBB55_1037
.LBB55_715:                             ;   in Loop: Header=BB55_3 Depth=1
	s_or_b32 exec_lo, exec_lo, s10
	s_and_saveexec_b32 s10, s17
	s_cbranch_execnz .LBB55_1038
.LBB55_716:                             ;   in Loop: Header=BB55_3 Depth=1
	s_or_b32 exec_lo, exec_lo, s10
	s_and_saveexec_b32 s10, s19
	s_cbranch_execnz .LBB55_1039
.LBB55_717:                             ;   in Loop: Header=BB55_3 Depth=1
	s_or_b32 exec_lo, exec_lo, s10
	s_and_saveexec_b32 s10, s4
	s_cbranch_execz .LBB55_719
.LBB55_718:                             ;   in Loop: Header=BB55_3 Depth=1
	ds_load_b64 v[44:45], v51 offset:24448
	ds_load_b64 v[46:47], v1 offset:16760
	s_wait_dscnt 0x0
	v_dual_mul_f32 v0, v47, v45 :: v_dual_mul_f32 v83, v46, v45
	s_delay_alu instid0(VALU_DEP_1) | instskip(NEXT) | instid1(VALU_DEP_1)
	v_dual_fma_f32 v82, v46, v44, -v0 :: v_dual_fmac_f32 v83, v47, v44
	v_pk_add_f32 v[42:43], v[42:43], v[82:83]
.LBB55_719:                             ;   in Loop: Header=BB55_3 Depth=1
	s_or_b32 exec_lo, exec_lo, s10
	s_delay_alu instid0(VALU_DEP_1)
	v_pk_add_f32 v[42:43], v[42:43], 0 neg_lo:[1,1] neg_hi:[1,1]
.LBB55_720:                             ;   in Loop: Header=BB55_3 Depth=1
	s_or_b32 exec_lo, exec_lo, s94
	v_readlane_b32 s8, v92, 5
	s_and_saveexec_b32 s10, s8
; %bb.721:                              ;   in Loop: Header=BB55_3 Depth=1
	ds_store_b64 v64, v[42:43]
; %bb.722:                              ;   in Loop: Header=BB55_3 Depth=1
	s_or_b32 exec_lo, exec_lo, s10
	v_readlane_b32 s8, v92, 6
	s_wait_dscnt 0x0
	s_barrier_signal -1
	s_barrier_wait -1
	s_and_saveexec_b32 s10, s8
	s_cbranch_execz .LBB55_724
; %bb.723:                              ;   in Loop: Header=BB55_3 Depth=1
	ds_load_b64 v[44:45], v63 offset:24960
	ds_load_b64 v[46:47], v64
	s_wait_dscnt 0x0
	v_pk_mul_f32 v[82:83], v[46:47], v[44:45] op_sel:[1,1] op_sel_hi:[0,1]
	s_delay_alu instid0(VALU_DEP_1) | instskip(SKIP_1) | instid1(VALU_DEP_2)
	v_pk_fma_f32 v[84:85], v[46:47], v[44:45], v[82:83] op_sel_hi:[1,0,1]
	v_pk_fma_f32 v[44:45], v[46:47], v[44:45], v[82:83] neg_lo:[0,0,1] neg_hi:[0,0,1]
	v_mov_b32_e32 v45, v85
	s_delay_alu instid0(VALU_DEP_1)
	v_pk_add_f32 v[42:43], v[42:43], v[44:45]
.LBB55_724:                             ;   in Loop: Header=BB55_3 Depth=1
	s_or_b32 exec_lo, exec_lo, s10
	v_readlane_b32 s8, v92, 7
	s_barrier_signal -1
	s_barrier_wait -1
	s_and_saveexec_b32 s10, s8
; %bb.725:                              ;   in Loop: Header=BB55_3 Depth=1
	ds_store_b64 v64, v[42:43]
; %bb.726:                              ;   in Loop: Header=BB55_3 Depth=1
	s_or_b32 exec_lo, exec_lo, s10
	v_readlane_b32 s8, v92, 8
	s_wait_dscnt 0x0
	s_barrier_signal -1
	s_barrier_wait -1
	s_and_saveexec_b32 s10, s8
	s_cbranch_execz .LBB55_728
; %bb.727:                              ;   in Loop: Header=BB55_3 Depth=1
	ds_load_b64 v[44:45], v63 offset:25472
	ds_load_b64 v[46:47], v64
	s_wait_dscnt 0x0
	v_pk_mul_f32 v[82:83], v[46:47], v[44:45] op_sel:[1,1] op_sel_hi:[0,1]
	s_delay_alu instid0(VALU_DEP_1) | instskip(SKIP_1) | instid1(VALU_DEP_2)
	v_pk_fma_f32 v[84:85], v[46:47], v[44:45], v[82:83] op_sel_hi:[1,0,1]
	v_pk_fma_f32 v[44:45], v[46:47], v[44:45], v[82:83] neg_lo:[0,0,1] neg_hi:[0,0,1]
	v_mov_b32_e32 v45, v85
	s_delay_alu instid0(VALU_DEP_1)
	v_pk_add_f32 v[42:43], v[42:43], v[44:45]
.LBB55_728:                             ;   in Loop: Header=BB55_3 Depth=1
	s_or_b32 exec_lo, exec_lo, s10
	v_readlane_b32 s8, v92, 9
	s_barrier_signal -1
	s_barrier_wait -1
	s_and_saveexec_b32 s10, s8
; %bb.729:                              ;   in Loop: Header=BB55_3 Depth=1
	ds_store_b64 v64, v[42:43]
; %bb.730:                              ;   in Loop: Header=BB55_3 Depth=1
	s_or_b32 exec_lo, exec_lo, s10
	s_wait_dscnt 0x0
	s_barrier_signal -1
	s_barrier_wait -1
	s_and_saveexec_b32 s10, s25
	s_cbranch_execz .LBB55_732
; %bb.731:                              ;   in Loop: Header=BB55_3 Depth=1
	ds_load_b64 v[44:45], v63 offset:25984
	ds_load_b64 v[46:47], v64
	s_wait_dscnt 0x0
	v_pk_mul_f32 v[82:83], v[46:47], v[44:45] op_sel:[1,1] op_sel_hi:[0,1]
	s_delay_alu instid0(VALU_DEP_1) | instskip(SKIP_1) | instid1(VALU_DEP_2)
	v_pk_fma_f32 v[84:85], v[46:47], v[44:45], v[82:83] op_sel_hi:[1,0,1]
	v_pk_fma_f32 v[44:45], v[46:47], v[44:45], v[82:83] neg_lo:[0,0,1] neg_hi:[0,0,1]
	v_mov_b32_e32 v45, v85
	s_delay_alu instid0(VALU_DEP_1)
	v_pk_add_f32 v[42:43], v[42:43], v[44:45]
.LBB55_732:                             ;   in Loop: Header=BB55_3 Depth=1
	s_or_b32 exec_lo, exec_lo, s10
	s_barrier_signal -1
	s_barrier_wait -1
	s_and_saveexec_b32 s10, s27
; %bb.733:                              ;   in Loop: Header=BB55_3 Depth=1
	ds_store_b64 v64, v[42:43]
; %bb.734:                              ;   in Loop: Header=BB55_3 Depth=1
	s_or_b32 exec_lo, exec_lo, s10
	s_wait_dscnt 0x0
	s_barrier_signal -1
	s_barrier_wait -1
	s_and_saveexec_b32 s10, s29
	s_cbranch_execz .LBB55_736
; %bb.735:                              ;   in Loop: Header=BB55_3 Depth=1
	ds_load_b64 v[44:45], v63 offset:26496
	ds_load_b64 v[46:47], v64
	s_wait_dscnt 0x0
	v_dual_mul_f32 v0, v47, v45 :: v_dual_mul_f32 v45, v46, v45
	s_delay_alu instid0(VALU_DEP_1) | instskip(NEXT) | instid1(VALU_DEP_1)
	v_dual_fma_f32 v0, v46, v44, -v0 :: v_dual_fmac_f32 v45, v47, v44
	v_dual_add_f32 v42, v42, v0 :: v_dual_add_f32 v43, v43, v45
.LBB55_736:                             ;   in Loop: Header=BB55_3 Depth=1
	s_or_b32 exec_lo, exec_lo, s10
	s_barrier_signal -1
	s_barrier_wait -1
	s_and_saveexec_b32 s10, s31
; %bb.737:                              ;   in Loop: Header=BB55_3 Depth=1
	ds_store_b64 v64, v[42:43]
; %bb.738:                              ;   in Loop: Header=BB55_3 Depth=1
	s_or_b32 exec_lo, exec_lo, s10
	s_wait_dscnt 0x0
	s_barrier_signal -1
	s_barrier_wait -1
	s_and_saveexec_b32 s10, s36
	s_cbranch_execz .LBB55_740
; %bb.739:                              ;   in Loop: Header=BB55_3 Depth=1
	ds_load_b64 v[44:45], v63 offset:27008
	ds_load_b64 v[46:47], v64
	s_wait_dscnt 0x0
	v_dual_mul_f32 v0, v47, v45 :: v_dual_mul_f32 v83, v46, v45
	s_delay_alu instid0(VALU_DEP_1) | instskip(NEXT) | instid1(VALU_DEP_1)
	v_dual_fma_f32 v82, v46, v44, -v0 :: v_dual_fmac_f32 v83, v47, v44
	v_pk_add_f32 v[42:43], v[42:43], v[82:83]
.LBB55_740:                             ;   in Loop: Header=BB55_3 Depth=1
	s_or_b32 exec_lo, exec_lo, s10
	s_barrier_signal -1
	s_barrier_wait -1
	s_and_saveexec_b32 s10, s37
; %bb.741:                              ;   in Loop: Header=BB55_3 Depth=1
	ds_store_b64 v64, v[42:43]
; %bb.742:                              ;   in Loop: Header=BB55_3 Depth=1
	s_or_b32 exec_lo, exec_lo, s10
	s_wait_dscnt 0x0
	s_barrier_signal -1
	s_barrier_wait -1
	s_and_saveexec_b32 s10, s38
	s_cbranch_execz .LBB55_744
; %bb.743:                              ;   in Loop: Header=BB55_3 Depth=1
	ds_load_b64 v[44:45], v63 offset:27520
	ds_load_b64 v[46:47], v64
	s_wait_dscnt 0x0
	v_pk_mul_f32 v[82:83], v[46:47], v[44:45] op_sel:[1,1] op_sel_hi:[0,1]
	s_delay_alu instid0(VALU_DEP_1) | instskip(SKIP_1) | instid1(VALU_DEP_2)
	v_pk_fma_f32 v[84:85], v[46:47], v[44:45], v[82:83] op_sel_hi:[1,0,1]
	v_pk_fma_f32 v[44:45], v[46:47], v[44:45], v[82:83] neg_lo:[0,0,1] neg_hi:[0,0,1]
	v_mov_b32_e32 v45, v85
	s_delay_alu instid0(VALU_DEP_1)
	v_pk_add_f32 v[42:43], v[42:43], v[44:45]
.LBB55_744:                             ;   in Loop: Header=BB55_3 Depth=1
	s_or_b32 exec_lo, exec_lo, s10
	s_barrier_signal -1
	s_barrier_wait -1
	s_and_saveexec_b32 s10, s39
; %bb.745:                              ;   in Loop: Header=BB55_3 Depth=1
	ds_store_b64 v64, v[42:43]
; %bb.746:                              ;   in Loop: Header=BB55_3 Depth=1
	s_or_b32 exec_lo, exec_lo, s10
	s_wait_dscnt 0x0
	s_barrier_signal -1
	s_barrier_wait -1
	s_and_saveexec_b32 s10, s40
	s_cbranch_execz .LBB55_748
; %bb.747:                              ;   in Loop: Header=BB55_3 Depth=1
	ds_load_b64 v[44:45], v63 offset:28032
	ds_load_b64 v[46:47], v64
	s_wait_dscnt 0x0
	v_pk_mul_f32 v[82:83], v[46:47], v[44:45] op_sel:[1,1] op_sel_hi:[0,1]
	s_delay_alu instid0(VALU_DEP_1) | instskip(SKIP_1) | instid1(VALU_DEP_2)
	v_pk_fma_f32 v[84:85], v[46:47], v[44:45], v[82:83] op_sel_hi:[1,0,1]
	v_pk_fma_f32 v[44:45], v[46:47], v[44:45], v[82:83] neg_lo:[0,0,1] neg_hi:[0,0,1]
	v_mov_b32_e32 v45, v85
	s_delay_alu instid0(VALU_DEP_1)
	v_pk_add_f32 v[42:43], v[42:43], v[44:45]
.LBB55_748:                             ;   in Loop: Header=BB55_3 Depth=1
	;; [unrolled: 25-line block ×4, first 2 shown]
	s_or_b32 exec_lo, exec_lo, s10
	s_barrier_signal -1
	s_barrier_wait -1
	s_and_saveexec_b32 s10, s22
; %bb.757:                              ;   in Loop: Header=BB55_3 Depth=1
	ds_store_b64 v64, v[42:43]
; %bb.758:                              ;   in Loop: Header=BB55_3 Depth=1
	s_or_b32 exec_lo, exec_lo, s10
	s_wait_dscnt 0x0
	s_barrier_signal -1
	s_barrier_wait -1
	s_and_saveexec_b32 s10, s24
	s_cbranch_execz .LBB55_760
; %bb.759:                              ;   in Loop: Header=BB55_3 Depth=1
	ds_load_b64 v[44:45], v63 offset:29568
	ds_load_b64 v[46:47], v64
	s_wait_dscnt 0x0
	v_dual_mul_f32 v0, v47, v45 :: v_dual_mul_f32 v45, v46, v45
	s_delay_alu instid0(VALU_DEP_1) | instskip(NEXT) | instid1(VALU_DEP_1)
	v_dual_fma_f32 v0, v46, v44, -v0 :: v_dual_fmac_f32 v45, v47, v44
	v_dual_add_f32 v42, v42, v0 :: v_dual_add_f32 v43, v43, v45
.LBB55_760:                             ;   in Loop: Header=BB55_3 Depth=1
	s_or_b32 exec_lo, exec_lo, s10
	s_barrier_signal -1
	s_barrier_wait -1
	s_and_saveexec_b32 s10, s26
; %bb.761:                              ;   in Loop: Header=BB55_3 Depth=1
	ds_store_b64 v64, v[42:43]
; %bb.762:                              ;   in Loop: Header=BB55_3 Depth=1
	s_or_b32 exec_lo, exec_lo, s10
	s_wait_dscnt 0x0
	s_barrier_signal -1
	s_barrier_wait -1
	s_and_saveexec_b32 s10, s28
	s_cbranch_execz .LBB55_764
; %bb.763:                              ;   in Loop: Header=BB55_3 Depth=1
	ds_load_b64 v[44:45], v63 offset:30080
	ds_load_b64 v[46:47], v64
	s_wait_dscnt 0x0
	v_dual_mul_f32 v0, v47, v45 :: v_dual_mul_f32 v83, v46, v45
	s_delay_alu instid0(VALU_DEP_1) | instskip(NEXT) | instid1(VALU_DEP_1)
	v_dual_fma_f32 v82, v46, v44, -v0 :: v_dual_fmac_f32 v83, v47, v44
	v_pk_add_f32 v[42:43], v[42:43], v[82:83]
.LBB55_764:                             ;   in Loop: Header=BB55_3 Depth=1
	s_or_b32 exec_lo, exec_lo, s10
	s_barrier_signal -1
	s_barrier_wait -1
	s_and_saveexec_b32 s10, s30
; %bb.765:                              ;   in Loop: Header=BB55_3 Depth=1
	ds_store_b64 v64, v[42:43]
; %bb.766:                              ;   in Loop: Header=BB55_3 Depth=1
	s_or_b32 exec_lo, exec_lo, s10
	s_wait_dscnt 0x0
	s_barrier_signal -1
	s_barrier_wait -1
	s_and_saveexec_b32 s10, s76
	s_cbranch_execz .LBB55_768
; %bb.767:                              ;   in Loop: Header=BB55_3 Depth=1
	ds_load_b64 v[44:45], v63 offset:30592
	ds_load_b64 v[46:47], v64
	s_wait_dscnt 0x0
	v_pk_mul_f32 v[82:83], v[46:47], v[44:45] op_sel:[1,1] op_sel_hi:[0,1]
	s_delay_alu instid0(VALU_DEP_1) | instskip(SKIP_1) | instid1(VALU_DEP_2)
	v_pk_fma_f32 v[84:85], v[46:47], v[44:45], v[82:83] op_sel_hi:[1,0,1]
	v_pk_fma_f32 v[44:45], v[46:47], v[44:45], v[82:83] neg_lo:[0,0,1] neg_hi:[0,0,1]
	v_mov_b32_e32 v45, v85
	s_delay_alu instid0(VALU_DEP_1)
	v_pk_add_f32 v[42:43], v[42:43], v[44:45]
.LBB55_768:                             ;   in Loop: Header=BB55_3 Depth=1
	s_or_b32 exec_lo, exec_lo, s10
	s_barrier_signal -1
	s_barrier_wait -1
	s_and_saveexec_b32 s10, s77
; %bb.769:                              ;   in Loop: Header=BB55_3 Depth=1
	ds_store_b64 v64, v[42:43]
; %bb.770:                              ;   in Loop: Header=BB55_3 Depth=1
	s_or_b32 exec_lo, exec_lo, s10
	s_wait_dscnt 0x0
	s_barrier_signal -1
	s_barrier_wait -1
	s_and_saveexec_b32 s10, s74
	s_cbranch_execz .LBB55_772
; %bb.771:                              ;   in Loop: Header=BB55_3 Depth=1
	ds_load_b64 v[44:45], v63 offset:31104
	ds_load_b64 v[46:47], v64
	s_wait_dscnt 0x0
	v_pk_mul_f32 v[82:83], v[46:47], v[44:45] op_sel:[1,1] op_sel_hi:[0,1]
	s_delay_alu instid0(VALU_DEP_1) | instskip(SKIP_1) | instid1(VALU_DEP_2)
	v_pk_fma_f32 v[84:85], v[46:47], v[44:45], v[82:83] op_sel_hi:[1,0,1]
	v_pk_fma_f32 v[44:45], v[46:47], v[44:45], v[82:83] neg_lo:[0,0,1] neg_hi:[0,0,1]
	v_mov_b32_e32 v45, v85
	s_delay_alu instid0(VALU_DEP_1)
	v_pk_add_f32 v[42:43], v[42:43], v[44:45]
.LBB55_772:                             ;   in Loop: Header=BB55_3 Depth=1
	;; [unrolled: 25-line block ×4, first 2 shown]
	s_or_b32 exec_lo, exec_lo, s10
	s_barrier_signal -1
	s_barrier_wait -1
	s_and_saveexec_b32 s10, s66
; %bb.781:                              ;   in Loop: Header=BB55_3 Depth=1
	ds_store_b64 v64, v[42:43]
; %bb.782:                              ;   in Loop: Header=BB55_3 Depth=1
	s_or_b32 exec_lo, exec_lo, s10
	s_wait_dscnt 0x0
	s_barrier_signal -1
	s_barrier_wait -1
	s_barrier_signal -1
	s_barrier_wait -1
	s_and_saveexec_b32 s10, s6
; %bb.783:                              ;   in Loop: Header=BB55_3 Depth=1
	v_pk_add_f32 v[42:43], v[42:43], 0 neg_lo:[1,1] neg_hi:[1,1]
	ds_store_b64 v65, v[42:43] offset:16768
; %bb.784:                              ;   in Loop: Header=BB55_3 Depth=1
	s_or_b32 exec_lo, exec_lo, s10
	s_wait_dscnt 0x0
	s_barrier_signal -1
	s_barrier_wait -1
	s_barrier_signal -1
	s_barrier_wait -1
	s_and_saveexec_b32 s10, s12
; %bb.785:                              ;   in Loop: Header=BB55_3 Depth=1
	v_add_nc_u32_e64 v0, 0x6000, 0
	ds_store_2addr_b64 v0, v[38:39], v[38:39] offset0:48 offset1:113
; %bb.786:                              ;   in Loop: Header=BB55_3 Depth=1
	s_or_b32 exec_lo, exec_lo, s10
	v_mov_b64_e32 v[42:43], 0
	s_wait_dscnt 0x0
	s_barrier_signal -1
	s_barrier_wait -1
	s_and_saveexec_b32 s94, s3
	s_cbranch_execz .LBB55_790
; %bb.787:                              ;   in Loop: Header=BB55_3 Depth=1
	ds_load_b64 v[42:43], v49 offset:24976
	ds_load_b64 v[44:45], v50 offset:24960
	s_wait_dscnt 0x0
	v_pk_mul_f32 v[46:47], v[44:45], v[42:43] op_sel:[1,1] op_sel_hi:[0,1]
	s_delay_alu instid0(VALU_DEP_1) | instskip(SKIP_1) | instid1(VALU_DEP_2)
	v_pk_fma_f32 v[82:83], v[44:45], v[42:43], v[46:47] op_sel_hi:[1,0,1]
	v_pk_fma_f32 v[42:43], v[44:45], v[42:43], v[46:47] neg_lo:[0,0,1] neg_hi:[0,0,1]
	v_mov_b32_e32 v43, v83
	s_delay_alu instid0(VALU_DEP_1)
	v_pk_add_f32 v[42:43], v[42:43], 0 op_sel_hi:[1,0]
	s_and_saveexec_b32 s10, s13
	s_cbranch_execz .LBB55_789
; %bb.788:                              ;   in Loop: Header=BB55_3 Depth=1
	ds_load_b64 v[44:45], v51 offset:25488
	ds_load_b64 v[46:47], v1 offset:24968
	s_wait_dscnt 0x0
	v_pk_mul_f32 v[82:83], v[46:47], v[44:45] op_sel:[1,1] op_sel_hi:[0,1]
	s_delay_alu instid0(VALU_DEP_1) | instskip(SKIP_1) | instid1(VALU_DEP_2)
	v_pk_fma_f32 v[84:85], v[46:47], v[44:45], v[82:83] op_sel_hi:[1,0,1]
	v_pk_fma_f32 v[44:45], v[46:47], v[44:45], v[82:83] neg_lo:[0,0,1] neg_hi:[0,0,1]
	v_mov_b32_e32 v45, v85
	s_delay_alu instid0(VALU_DEP_1)
	v_pk_add_f32 v[42:43], v[42:43], v[44:45]
.LBB55_789:                             ;   in Loop: Header=BB55_3 Depth=1
	s_or_b32 exec_lo, exec_lo, s10
	s_delay_alu instid0(VALU_DEP_1)
	v_pk_add_f32 v[42:43], v[42:43], 0 neg_lo:[1,1] neg_hi:[1,1]
.LBB55_790:                             ;   in Loop: Header=BB55_3 Depth=1
	s_or_b32 exec_lo, exec_lo, s94
	s_and_saveexec_b32 s10, s104
; %bb.791:                              ;   in Loop: Header=BB55_3 Depth=1
	ds_store_b64 v48, v[42:43]
; %bb.792:                              ;   in Loop: Header=BB55_3 Depth=1
	s_or_b32 exec_lo, exec_lo, s10
	s_wait_dscnt 0x0
	s_barrier_signal -1
	s_barrier_wait -1
	s_and_saveexec_b32 s10, vcc_hi
	s_cbranch_execz .LBB55_794
; %bb.793:                              ;   in Loop: Header=BB55_3 Depth=1
	ds_load_b64 v[44:45], v1 offset:26008
	ds_load_b64 v[46:47], v48
	s_wait_dscnt 0x0
	v_pk_mul_f32 v[82:83], v[46:47], v[44:45] op_sel:[1,1] op_sel_hi:[0,1]
	s_delay_alu instid0(VALU_DEP_1) | instskip(SKIP_1) | instid1(VALU_DEP_2)
	v_pk_fma_f32 v[84:85], v[46:47], v[44:45], v[82:83] op_sel_hi:[1,0,1]
	v_pk_fma_f32 v[44:45], v[46:47], v[44:45], v[82:83] neg_lo:[0,0,1] neg_hi:[0,0,1]
	v_mov_b32_e32 v45, v85
	s_delay_alu instid0(VALU_DEP_1)
	v_pk_add_f32 v[42:43], v[42:43], v[44:45]
.LBB55_794:                             ;   in Loop: Header=BB55_3 Depth=1
	s_or_b32 exec_lo, exec_lo, s10
	s_barrier_signal -1
	s_barrier_wait -1
	s_and_saveexec_b32 s10, vcc_hi
; %bb.795:                              ;   in Loop: Header=BB55_3 Depth=1
	ds_store_b64 v48, v[42:43]
; %bb.796:                              ;   in Loop: Header=BB55_3 Depth=1
	s_or_b32 exec_lo, exec_lo, s10
	s_wait_dscnt 0x0
	s_barrier_signal -1
	s_barrier_wait -1
	s_barrier_signal -1
	s_barrier_wait -1
	s_and_saveexec_b32 s10, s3
; %bb.797:                              ;   in Loop: Header=BB55_3 Depth=1
	v_pk_add_f32 v[42:43], v[42:43], 0 neg_lo:[1,1] neg_hi:[1,1]
	ds_store_b64 v49, v[42:43] offset:24976
; %bb.798:                              ;   in Loop: Header=BB55_3 Depth=1
	s_or_b32 exec_lo, exec_lo, s10
	s_wait_dscnt 0x0
	s_barrier_signal -1
	s_barrier_wait -1
	s_barrier_signal -1
	s_barrier_wait -1
	s_and_saveexec_b32 s10, s12
; %bb.799:                              ;   in Loop: Header=BB55_3 Depth=1
	v_add_nc_u32_e64 v0, 0x6000, 0
	ds_store_2addr_b64 v0, v[38:39], v[38:39] offset0:178 offset1:243
; %bb.800:                              ;   in Loop: Header=BB55_3 Depth=1
	s_or_b32 exec_lo, exec_lo, s10
	v_mov_b64_e32 v[42:43], 0
	s_wait_dscnt 0x0
	s_barrier_signal -1
	s_barrier_wait -1
	s_and_saveexec_b32 s94, s4
	s_cbranch_execz .LBB55_806
; %bb.801:                              ;   in Loop: Header=BB55_3 Depth=1
	ds_load_b64 v[42:43], v55 offset:24992
	ds_load_b64 v[44:45], v53 offset:24960
	s_wait_dscnt 0x0
	v_dual_mul_f32 v0, v45, v43 :: v_dual_mul_f32 v43, v44, v43
	s_delay_alu instid0(VALU_DEP_1) | instskip(NEXT) | instid1(VALU_DEP_1)
	v_dual_fma_f32 v0, v44, v42, -v0 :: v_dual_fmac_f32 v43, v45, v42
	v_dual_add_f32 v42, 0, v0 :: v_dual_add_f32 v43, 0, v43
	s_and_saveexec_b32 s10, s14
	s_cbranch_execnz .LBB55_1040
; %bb.802:                              ;   in Loop: Header=BB55_3 Depth=1
	s_or_b32 exec_lo, exec_lo, s10
	s_and_saveexec_b32 s10, s15
	s_cbranch_execnz .LBB55_1041
.LBB55_803:                             ;   in Loop: Header=BB55_3 Depth=1
	s_or_b32 exec_lo, exec_lo, s10
	s_and_saveexec_b32 s10, s3
	s_cbranch_execz .LBB55_805
.LBB55_804:                             ;   in Loop: Header=BB55_3 Depth=1
	ds_load_b64 v[44:45], v51 offset:26528
	ds_load_b64 v[46:47], v1 offset:24984
	s_wait_dscnt 0x0
	v_dual_mul_f32 v0, v47, v45 :: v_dual_mul_f32 v83, v46, v45
	s_delay_alu instid0(VALU_DEP_1) | instskip(NEXT) | instid1(VALU_DEP_1)
	v_dual_fma_f32 v82, v46, v44, -v0 :: v_dual_fmac_f32 v83, v47, v44
	v_pk_add_f32 v[42:43], v[42:43], v[82:83]
.LBB55_805:                             ;   in Loop: Header=BB55_3 Depth=1
	s_or_b32 exec_lo, exec_lo, s10
	s_delay_alu instid0(VALU_DEP_1)
	v_pk_add_f32 v[42:43], v[42:43], 0 neg_lo:[1,1] neg_hi:[1,1]
.LBB55_806:                             ;   in Loop: Header=BB55_3 Depth=1
	s_or_b32 exec_lo, exec_lo, s94
	s_and_saveexec_b32 s10, s45
; %bb.807:                              ;   in Loop: Header=BB55_3 Depth=1
	ds_store_b64 v54, v[42:43]
; %bb.808:                              ;   in Loop: Header=BB55_3 Depth=1
	s_or_b32 exec_lo, exec_lo, s10
	s_wait_dscnt 0x0
	s_barrier_signal -1
	s_barrier_wait -1
	s_and_saveexec_b32 s10, s46
	s_cbranch_execz .LBB55_810
; %bb.809:                              ;   in Loop: Header=BB55_3 Depth=1
	ds_load_b64 v[44:45], v52 offset:27040
	ds_load_b64 v[46:47], v54
	s_wait_dscnt 0x0
	v_pk_mul_f32 v[82:83], v[46:47], v[44:45] op_sel:[1,1] op_sel_hi:[0,1]
	s_delay_alu instid0(VALU_DEP_1) | instskip(SKIP_1) | instid1(VALU_DEP_2)
	v_pk_fma_f32 v[84:85], v[46:47], v[44:45], v[82:83] op_sel_hi:[1,0,1]
	v_pk_fma_f32 v[44:45], v[46:47], v[44:45], v[82:83] neg_lo:[0,0,1] neg_hi:[0,0,1]
	v_mov_b32_e32 v45, v85
	s_delay_alu instid0(VALU_DEP_1)
	v_pk_add_f32 v[42:43], v[42:43], v[44:45]
.LBB55_810:                             ;   in Loop: Header=BB55_3 Depth=1
	s_or_b32 exec_lo, exec_lo, s10
	s_barrier_signal -1
	s_barrier_wait -1
	s_and_saveexec_b32 s10, s47
; %bb.811:                              ;   in Loop: Header=BB55_3 Depth=1
	ds_store_b64 v54, v[42:43]
; %bb.812:                              ;   in Loop: Header=BB55_3 Depth=1
	s_or_b32 exec_lo, exec_lo, s10
	s_wait_dscnt 0x0
	s_barrier_signal -1
	s_barrier_wait -1
	s_and_saveexec_b32 s10, s48
	s_cbranch_execz .LBB55_814
; %bb.813:                              ;   in Loop: Header=BB55_3 Depth=1
	ds_load_b64 v[44:45], v52 offset:27552
	ds_load_b64 v[46:47], v54
	s_wait_dscnt 0x0
	v_pk_mul_f32 v[82:83], v[46:47], v[44:45] op_sel:[1,1] op_sel_hi:[0,1]
	s_delay_alu instid0(VALU_DEP_1) | instskip(SKIP_1) | instid1(VALU_DEP_2)
	v_pk_fma_f32 v[84:85], v[46:47], v[44:45], v[82:83] op_sel_hi:[1,0,1]
	v_pk_fma_f32 v[44:45], v[46:47], v[44:45], v[82:83] neg_lo:[0,0,1] neg_hi:[0,0,1]
	v_mov_b32_e32 v45, v85
	s_delay_alu instid0(VALU_DEP_1)
	v_pk_add_f32 v[42:43], v[42:43], v[44:45]
.LBB55_814:                             ;   in Loop: Header=BB55_3 Depth=1
	s_or_b32 exec_lo, exec_lo, s10
	s_barrier_signal -1
	s_barrier_wait -1
	;; [unrolled: 25-line block ×3, first 2 shown]
	s_and_saveexec_b32 s10, s50
; %bb.819:                              ;   in Loop: Header=BB55_3 Depth=1
	ds_store_b64 v54, v[42:43]
; %bb.820:                              ;   in Loop: Header=BB55_3 Depth=1
	s_or_b32 exec_lo, exec_lo, s10
	s_wait_dscnt 0x0
	s_barrier_signal -1
	s_barrier_wait -1
	s_barrier_signal -1
	s_barrier_wait -1
	s_and_saveexec_b32 s10, s4
; %bb.821:                              ;   in Loop: Header=BB55_3 Depth=1
	v_pk_add_f32 v[42:43], v[42:43], 0 neg_lo:[1,1] neg_hi:[1,1]
	ds_store_b64 v55, v[42:43] offset:24992
; %bb.822:                              ;   in Loop: Header=BB55_3 Depth=1
	s_or_b32 exec_lo, exec_lo, s10
	s_wait_dscnt 0x0
	s_barrier_signal -1
	s_barrier_wait -1
	s_barrier_signal -1
	s_barrier_wait -1
	s_and_saveexec_b32 s10, s12
; %bb.823:                              ;   in Loop: Header=BB55_3 Depth=1
	v_add_nc_u32_e64 v0, 0x6800, 0
	ds_store_2addr_b64 v0, v[38:39], v[38:39] offset0:52 offset1:117
; %bb.824:                              ;   in Loop: Header=BB55_3 Depth=1
	s_or_b32 exec_lo, exec_lo, s10
	v_mov_b64_e32 v[42:43], 0
	s_wait_dscnt 0x0
	s_barrier_signal -1
	s_barrier_wait -1
	s_and_saveexec_b32 s94, s3
	s_cbranch_execz .LBB55_828
; %bb.825:                              ;   in Loop: Header=BB55_3 Depth=1
	ds_load_b64 v[42:43], v49 offset:27056
	ds_load_b64 v[44:45], v50 offset:27040
	s_wait_dscnt 0x0
	v_pk_mul_f32 v[46:47], v[44:45], v[42:43] op_sel:[1,1] op_sel_hi:[0,1]
	s_delay_alu instid0(VALU_DEP_1) | instskip(SKIP_1) | instid1(VALU_DEP_2)
	v_pk_fma_f32 v[82:83], v[44:45], v[42:43], v[46:47] op_sel_hi:[1,0,1]
	v_pk_fma_f32 v[42:43], v[44:45], v[42:43], v[46:47] neg_lo:[0,0,1] neg_hi:[0,0,1]
	v_mov_b32_e32 v43, v83
	s_delay_alu instid0(VALU_DEP_1)
	v_pk_add_f32 v[42:43], v[42:43], 0 op_sel_hi:[1,0]
	s_and_saveexec_b32 s10, s13
	s_cbranch_execz .LBB55_827
; %bb.826:                              ;   in Loop: Header=BB55_3 Depth=1
	ds_load_b64 v[44:45], v51 offset:27568
	ds_load_b64 v[46:47], v1 offset:27048
	s_wait_dscnt 0x0
	v_pk_mul_f32 v[82:83], v[46:47], v[44:45] op_sel:[1,1] op_sel_hi:[0,1]
	s_delay_alu instid0(VALU_DEP_1) | instskip(SKIP_1) | instid1(VALU_DEP_2)
	v_pk_fma_f32 v[84:85], v[46:47], v[44:45], v[82:83] op_sel_hi:[1,0,1]
	v_pk_fma_f32 v[44:45], v[46:47], v[44:45], v[82:83] neg_lo:[0,0,1] neg_hi:[0,0,1]
	v_mov_b32_e32 v45, v85
	s_delay_alu instid0(VALU_DEP_1)
	v_pk_add_f32 v[42:43], v[42:43], v[44:45]
.LBB55_827:                             ;   in Loop: Header=BB55_3 Depth=1
	s_or_b32 exec_lo, exec_lo, s10
	s_delay_alu instid0(VALU_DEP_1)
	v_pk_add_f32 v[42:43], v[42:43], 0 neg_lo:[1,1] neg_hi:[1,1]
.LBB55_828:                             ;   in Loop: Header=BB55_3 Depth=1
	s_or_b32 exec_lo, exec_lo, s94
	s_and_saveexec_b32 s10, s104
; %bb.829:                              ;   in Loop: Header=BB55_3 Depth=1
	ds_store_b64 v48, v[42:43]
; %bb.830:                              ;   in Loop: Header=BB55_3 Depth=1
	s_or_b32 exec_lo, exec_lo, s10
	s_wait_dscnt 0x0
	s_barrier_signal -1
	s_barrier_wait -1
	s_and_saveexec_b32 s10, vcc_hi
	s_cbranch_execz .LBB55_832
; %bb.831:                              ;   in Loop: Header=BB55_3 Depth=1
	ds_load_b64 v[44:45], v1 offset:28088
	ds_load_b64 v[46:47], v48
	s_wait_dscnt 0x0
	v_pk_mul_f32 v[82:83], v[46:47], v[44:45] op_sel:[1,1] op_sel_hi:[0,1]
	s_delay_alu instid0(VALU_DEP_1) | instskip(SKIP_1) | instid1(VALU_DEP_2)
	v_pk_fma_f32 v[84:85], v[46:47], v[44:45], v[82:83] op_sel_hi:[1,0,1]
	v_pk_fma_f32 v[44:45], v[46:47], v[44:45], v[82:83] neg_lo:[0,0,1] neg_hi:[0,0,1]
	v_mov_b32_e32 v45, v85
	s_delay_alu instid0(VALU_DEP_1)
	v_pk_add_f32 v[42:43], v[42:43], v[44:45]
.LBB55_832:                             ;   in Loop: Header=BB55_3 Depth=1
	s_or_b32 exec_lo, exec_lo, s10
	s_barrier_signal -1
	s_barrier_wait -1
	s_and_saveexec_b32 s10, vcc_hi
; %bb.833:                              ;   in Loop: Header=BB55_3 Depth=1
	ds_store_b64 v48, v[42:43]
; %bb.834:                              ;   in Loop: Header=BB55_3 Depth=1
	s_or_b32 exec_lo, exec_lo, s10
	s_wait_dscnt 0x0
	s_barrier_signal -1
	s_barrier_wait -1
	s_barrier_signal -1
	s_barrier_wait -1
	s_and_saveexec_b32 s10, s3
; %bb.835:                              ;   in Loop: Header=BB55_3 Depth=1
	v_pk_add_f32 v[42:43], v[42:43], 0 neg_lo:[1,1] neg_hi:[1,1]
	ds_store_b64 v49, v[42:43] offset:27056
; %bb.836:                              ;   in Loop: Header=BB55_3 Depth=1
	s_or_b32 exec_lo, exec_lo, s10
	s_wait_dscnt 0x0
	s_barrier_signal -1
	s_barrier_wait -1
	s_barrier_signal -1
	s_barrier_wait -1
	s_and_saveexec_b32 s10, s12
; %bb.837:                              ;   in Loop: Header=BB55_3 Depth=1
	v_add_nc_u32_e64 v0, 0x6800, 0
	ds_store_2addr_b64 v0, v[38:39], v[38:39] offset0:182 offset1:247
; %bb.838:                              ;   in Loop: Header=BB55_3 Depth=1
	s_or_b32 exec_lo, exec_lo, s10
	v_mov_b64_e32 v[42:43], 0
	s_wait_dscnt 0x0
	s_barrier_signal -1
	s_barrier_wait -1
	s_and_saveexec_b32 s94, s5
	s_cbranch_execz .LBB55_848
; %bb.839:                              ;   in Loop: Header=BB55_3 Depth=1
	ds_load_b64 v[42:43], v60 offset:25024
	ds_load_b64 v[44:45], v57 offset:24960
	s_wait_dscnt 0x0
	v_dual_mul_f32 v0, v45, v43 :: v_dual_mul_f32 v43, v44, v43
	s_delay_alu instid0(VALU_DEP_1) | instskip(NEXT) | instid1(VALU_DEP_1)
	v_dual_fma_f32 v0, v44, v42, -v0 :: v_dual_fmac_f32 v43, v45, v42
	v_dual_add_f32 v42, 0, v0 :: v_dual_add_f32 v43, 0, v43
	s_and_saveexec_b32 s10, s16
	s_cbranch_execnz .LBB55_1042
; %bb.840:                              ;   in Loop: Header=BB55_3 Depth=1
	s_or_b32 exec_lo, exec_lo, s10
	s_and_saveexec_b32 s10, s17
	s_cbranch_execnz .LBB55_1043
.LBB55_841:                             ;   in Loop: Header=BB55_3 Depth=1
	s_or_b32 exec_lo, exec_lo, s10
	s_and_saveexec_b32 s10, s18
	s_cbranch_execnz .LBB55_1044
.LBB55_842:                             ;   in Loop: Header=BB55_3 Depth=1
	s_or_b32 exec_lo, exec_lo, s10
	s_and_saveexec_b32 s10, s19
	s_cbranch_execnz .LBB55_1045
.LBB55_843:                             ;   in Loop: Header=BB55_3 Depth=1
	s_or_b32 exec_lo, exec_lo, s10
	s_and_saveexec_b32 s10, s20
	s_cbranch_execnz .LBB55_1046
.LBB55_844:                             ;   in Loop: Header=BB55_3 Depth=1
	s_or_b32 exec_lo, exec_lo, s10
	s_and_saveexec_b32 s10, s4
	s_cbranch_execnz .LBB55_1047
.LBB55_845:                             ;   in Loop: Header=BB55_3 Depth=1
	s_or_b32 exec_lo, exec_lo, s10
	s_and_saveexec_b32 s10, s15
	s_cbranch_execz .LBB55_847
.LBB55_846:                             ;   in Loop: Header=BB55_3 Depth=1
	ds_load_b64 v[44:45], v51 offset:28608
	ds_load_b64 v[46:47], v1 offset:25016
	s_wait_dscnt 0x0
	v_pk_mul_f32 v[82:83], v[46:47], v[44:45] op_sel:[1,1] op_sel_hi:[0,1]
	s_delay_alu instid0(VALU_DEP_1) | instskip(SKIP_1) | instid1(VALU_DEP_2)
	v_pk_fma_f32 v[84:85], v[46:47], v[44:45], v[82:83] op_sel_hi:[1,0,1]
	v_pk_fma_f32 v[44:45], v[46:47], v[44:45], v[82:83] neg_lo:[0,0,1] neg_hi:[0,0,1]
	v_mov_b32_e32 v45, v85
	s_delay_alu instid0(VALU_DEP_1)
	v_pk_add_f32 v[42:43], v[42:43], v[44:45]
.LBB55_847:                             ;   in Loop: Header=BB55_3 Depth=1
	s_or_b32 exec_lo, exec_lo, s10
	s_delay_alu instid0(VALU_DEP_1)
	v_pk_add_f32 v[42:43], v[42:43], 0 neg_lo:[1,1] neg_hi:[1,1]
.LBB55_848:                             ;   in Loop: Header=BB55_3 Depth=1
	s_or_b32 exec_lo, exec_lo, s94
	s_and_saveexec_b32 s10, s51
; %bb.849:                              ;   in Loop: Header=BB55_3 Depth=1
	ds_store_b64 v59, v[42:43]
; %bb.850:                              ;   in Loop: Header=BB55_3 Depth=1
	s_or_b32 exec_lo, exec_lo, s10
	s_wait_dscnt 0x0
	s_barrier_signal -1
	s_barrier_wait -1
	s_and_saveexec_b32 s10, s52
	s_cbranch_execz .LBB55_852
; %bb.851:                              ;   in Loop: Header=BB55_3 Depth=1
	ds_load_b64 v[44:45], v58 offset:29120
	ds_load_b64 v[46:47], v59
	s_wait_dscnt 0x0
	v_pk_mul_f32 v[82:83], v[46:47], v[44:45] op_sel:[1,1] op_sel_hi:[0,1]
	s_delay_alu instid0(VALU_DEP_1) | instskip(SKIP_1) | instid1(VALU_DEP_2)
	v_pk_fma_f32 v[84:85], v[46:47], v[44:45], v[82:83] op_sel_hi:[1,0,1]
	v_pk_fma_f32 v[44:45], v[46:47], v[44:45], v[82:83] neg_lo:[0,0,1] neg_hi:[0,0,1]
	v_mov_b32_e32 v45, v85
	s_delay_alu instid0(VALU_DEP_1)
	v_pk_add_f32 v[42:43], v[42:43], v[44:45]
.LBB55_852:                             ;   in Loop: Header=BB55_3 Depth=1
	s_or_b32 exec_lo, exec_lo, s10
	s_barrier_signal -1
	s_barrier_wait -1
	s_and_saveexec_b32 s10, s53
; %bb.853:                              ;   in Loop: Header=BB55_3 Depth=1
	ds_store_b64 v59, v[42:43]
; %bb.854:                              ;   in Loop: Header=BB55_3 Depth=1
	s_or_b32 exec_lo, exec_lo, s10
	s_wait_dscnt 0x0
	s_barrier_signal -1
	s_barrier_wait -1
	s_and_saveexec_b32 s10, s54
	s_cbranch_execz .LBB55_856
; %bb.855:                              ;   in Loop: Header=BB55_3 Depth=1
	ds_load_b64 v[44:45], v58 offset:29632
	ds_load_b64 v[46:47], v59
	s_wait_dscnt 0x0
	v_dual_mul_f32 v0, v47, v45 :: v_dual_mul_f32 v45, v46, v45
	s_delay_alu instid0(VALU_DEP_1) | instskip(NEXT) | instid1(VALU_DEP_1)
	v_dual_fma_f32 v0, v46, v44, -v0 :: v_dual_fmac_f32 v45, v47, v44
	v_dual_add_f32 v42, v42, v0 :: v_dual_add_f32 v43, v43, v45
.LBB55_856:                             ;   in Loop: Header=BB55_3 Depth=1
	s_or_b32 exec_lo, exec_lo, s10
	s_barrier_signal -1
	s_barrier_wait -1
	s_and_saveexec_b32 s10, s55
; %bb.857:                              ;   in Loop: Header=BB55_3 Depth=1
	ds_store_b64 v59, v[42:43]
; %bb.858:                              ;   in Loop: Header=BB55_3 Depth=1
	s_or_b32 exec_lo, exec_lo, s10
	s_wait_dscnt 0x0
	s_barrier_signal -1
	s_barrier_wait -1
	s_and_saveexec_b32 s10, s56
	s_cbranch_execz .LBB55_860
; %bb.859:                              ;   in Loop: Header=BB55_3 Depth=1
	ds_load_b64 v[44:45], v58 offset:30144
	ds_load_b64 v[46:47], v59
	s_wait_dscnt 0x0
	v_dual_mul_f32 v0, v47, v45 :: v_dual_mul_f32 v83, v46, v45
	s_delay_alu instid0(VALU_DEP_1) | instskip(NEXT) | instid1(VALU_DEP_1)
	v_dual_fma_f32 v82, v46, v44, -v0 :: v_dual_fmac_f32 v83, v47, v44
	v_pk_add_f32 v[42:43], v[42:43], v[82:83]
.LBB55_860:                             ;   in Loop: Header=BB55_3 Depth=1
	s_or_b32 exec_lo, exec_lo, s10
	s_barrier_signal -1
	s_barrier_wait -1
	s_and_saveexec_b32 s10, s57
; %bb.861:                              ;   in Loop: Header=BB55_3 Depth=1
	ds_store_b64 v59, v[42:43]
; %bb.862:                              ;   in Loop: Header=BB55_3 Depth=1
	s_or_b32 exec_lo, exec_lo, s10
	s_wait_dscnt 0x0
	s_barrier_signal -1
	s_barrier_wait -1
	s_and_saveexec_b32 s10, s58
	s_cbranch_execz .LBB55_864
; %bb.863:                              ;   in Loop: Header=BB55_3 Depth=1
	ds_load_b64 v[44:45], v58 offset:30656
	ds_load_b64 v[46:47], v59
	s_wait_dscnt 0x0
	v_pk_mul_f32 v[82:83], v[46:47], v[44:45] op_sel:[1,1] op_sel_hi:[0,1]
	s_delay_alu instid0(VALU_DEP_1) | instskip(SKIP_1) | instid1(VALU_DEP_2)
	v_pk_fma_f32 v[84:85], v[46:47], v[44:45], v[82:83] op_sel_hi:[1,0,1]
	v_pk_fma_f32 v[44:45], v[46:47], v[44:45], v[82:83] neg_lo:[0,0,1] neg_hi:[0,0,1]
	v_mov_b32_e32 v45, v85
	s_delay_alu instid0(VALU_DEP_1)
	v_pk_add_f32 v[42:43], v[42:43], v[44:45]
.LBB55_864:                             ;   in Loop: Header=BB55_3 Depth=1
	s_or_b32 exec_lo, exec_lo, s10
	s_barrier_signal -1
	s_barrier_wait -1
	s_and_saveexec_b32 s10, s59
; %bb.865:                              ;   in Loop: Header=BB55_3 Depth=1
	ds_store_b64 v59, v[42:43]
; %bb.866:                              ;   in Loop: Header=BB55_3 Depth=1
	s_or_b32 exec_lo, exec_lo, s10
	s_wait_dscnt 0x0
	s_barrier_signal -1
	s_barrier_wait -1
	s_and_saveexec_b32 s10, s60
	s_cbranch_execz .LBB55_868
; %bb.867:                              ;   in Loop: Header=BB55_3 Depth=1
	ds_load_b64 v[44:45], v58 offset:31168
	ds_load_b64 v[46:47], v59
	s_wait_dscnt 0x0
	v_pk_mul_f32 v[82:83], v[46:47], v[44:45] op_sel:[1,1] op_sel_hi:[0,1]
	s_delay_alu instid0(VALU_DEP_1) | instskip(SKIP_1) | instid1(VALU_DEP_2)
	v_pk_fma_f32 v[84:85], v[46:47], v[44:45], v[82:83] op_sel_hi:[1,0,1]
	v_pk_fma_f32 v[44:45], v[46:47], v[44:45], v[82:83] neg_lo:[0,0,1] neg_hi:[0,0,1]
	v_mov_b32_e32 v45, v85
	s_delay_alu instid0(VALU_DEP_1)
	v_pk_add_f32 v[42:43], v[42:43], v[44:45]
.LBB55_868:                             ;   in Loop: Header=BB55_3 Depth=1
	;; [unrolled: 25-line block ×4, first 2 shown]
	s_or_b32 exec_lo, exec_lo, s10
	s_barrier_signal -1
	s_barrier_wait -1
	s_and_saveexec_b32 s10, s64
; %bb.877:                              ;   in Loop: Header=BB55_3 Depth=1
	ds_store_b64 v59, v[42:43]
; %bb.878:                              ;   in Loop: Header=BB55_3 Depth=1
	s_or_b32 exec_lo, exec_lo, s10
	s_wait_dscnt 0x0
	s_barrier_signal -1
	s_barrier_wait -1
	s_barrier_signal -1
	s_barrier_wait -1
	s_and_saveexec_b32 s10, s5
; %bb.879:                              ;   in Loop: Header=BB55_3 Depth=1
	v_pk_add_f32 v[42:43], v[42:43], 0 neg_lo:[1,1] neg_hi:[1,1]
	ds_store_b64 v60, v[42:43] offset:25024
; %bb.880:                              ;   in Loop: Header=BB55_3 Depth=1
	s_or_b32 exec_lo, exec_lo, s10
	s_wait_dscnt 0x0
	s_barrier_signal -1
	s_barrier_wait -1
	s_barrier_signal -1
	s_barrier_wait -1
	s_and_saveexec_b32 s10, s12
; %bb.881:                              ;   in Loop: Header=BB55_3 Depth=1
	v_add_nc_u32_e64 v0, 0x7000, 0
	ds_store_2addr_b64 v0, v[38:39], v[38:39] offset0:56 offset1:121
; %bb.882:                              ;   in Loop: Header=BB55_3 Depth=1
	s_or_b32 exec_lo, exec_lo, s10
	v_mov_b64_e32 v[42:43], 0
	s_wait_dscnt 0x0
	s_barrier_signal -1
	s_barrier_wait -1
	s_and_saveexec_b32 s94, s3
	s_cbranch_execz .LBB55_886
; %bb.883:                              ;   in Loop: Header=BB55_3 Depth=1
	ds_load_b64 v[42:43], v49 offset:29136
	ds_load_b64 v[44:45], v50 offset:29120
	s_wait_dscnt 0x0
	v_pk_mul_f32 v[46:47], v[44:45], v[42:43] op_sel:[1,1] op_sel_hi:[0,1]
	s_delay_alu instid0(VALU_DEP_1) | instskip(SKIP_1) | instid1(VALU_DEP_2)
	v_pk_fma_f32 v[82:83], v[44:45], v[42:43], v[46:47] op_sel_hi:[1,0,1]
	v_pk_fma_f32 v[42:43], v[44:45], v[42:43], v[46:47] neg_lo:[0,0,1] neg_hi:[0,0,1]
	v_mov_b32_e32 v43, v83
	s_delay_alu instid0(VALU_DEP_1)
	v_pk_add_f32 v[42:43], v[42:43], 0 op_sel_hi:[1,0]
	s_and_saveexec_b32 s10, s13
	s_cbranch_execz .LBB55_885
; %bb.884:                              ;   in Loop: Header=BB55_3 Depth=1
	ds_load_b64 v[44:45], v51 offset:29648
	ds_load_b64 v[46:47], v1 offset:29128
	s_wait_dscnt 0x0
	v_pk_mul_f32 v[82:83], v[46:47], v[44:45] op_sel:[1,1] op_sel_hi:[0,1]
	s_delay_alu instid0(VALU_DEP_1) | instskip(SKIP_1) | instid1(VALU_DEP_2)
	v_pk_fma_f32 v[84:85], v[46:47], v[44:45], v[82:83] op_sel_hi:[1,0,1]
	v_pk_fma_f32 v[44:45], v[46:47], v[44:45], v[82:83] neg_lo:[0,0,1] neg_hi:[0,0,1]
	v_mov_b32_e32 v45, v85
	s_delay_alu instid0(VALU_DEP_1)
	v_pk_add_f32 v[42:43], v[42:43], v[44:45]
.LBB55_885:                             ;   in Loop: Header=BB55_3 Depth=1
	s_or_b32 exec_lo, exec_lo, s10
	s_delay_alu instid0(VALU_DEP_1)
	v_pk_add_f32 v[42:43], v[42:43], 0 neg_lo:[1,1] neg_hi:[1,1]
.LBB55_886:                             ;   in Loop: Header=BB55_3 Depth=1
	s_or_b32 exec_lo, exec_lo, s94
	s_and_saveexec_b32 s10, s104
; %bb.887:                              ;   in Loop: Header=BB55_3 Depth=1
	ds_store_b64 v48, v[42:43]
; %bb.888:                              ;   in Loop: Header=BB55_3 Depth=1
	s_or_b32 exec_lo, exec_lo, s10
	s_wait_dscnt 0x0
	s_barrier_signal -1
	s_barrier_wait -1
	s_and_saveexec_b32 s10, vcc_hi
	s_cbranch_execz .LBB55_890
; %bb.889:                              ;   in Loop: Header=BB55_3 Depth=1
	ds_load_b64 v[44:45], v1 offset:30168
	ds_load_b64 v[46:47], v48
	s_wait_dscnt 0x0
	v_pk_mul_f32 v[82:83], v[46:47], v[44:45] op_sel:[1,1] op_sel_hi:[0,1]
	s_delay_alu instid0(VALU_DEP_1) | instskip(SKIP_1) | instid1(VALU_DEP_2)
	v_pk_fma_f32 v[84:85], v[46:47], v[44:45], v[82:83] op_sel_hi:[1,0,1]
	v_pk_fma_f32 v[44:45], v[46:47], v[44:45], v[82:83] neg_lo:[0,0,1] neg_hi:[0,0,1]
	v_mov_b32_e32 v45, v85
	s_delay_alu instid0(VALU_DEP_1)
	v_pk_add_f32 v[42:43], v[42:43], v[44:45]
.LBB55_890:                             ;   in Loop: Header=BB55_3 Depth=1
	s_or_b32 exec_lo, exec_lo, s10
	s_barrier_signal -1
	s_barrier_wait -1
	s_and_saveexec_b32 s10, vcc_hi
; %bb.891:                              ;   in Loop: Header=BB55_3 Depth=1
	ds_store_b64 v48, v[42:43]
; %bb.892:                              ;   in Loop: Header=BB55_3 Depth=1
	s_or_b32 exec_lo, exec_lo, s10
	s_wait_dscnt 0x0
	s_barrier_signal -1
	s_barrier_wait -1
	s_barrier_signal -1
	s_barrier_wait -1
	s_and_saveexec_b32 s10, s3
; %bb.893:                              ;   in Loop: Header=BB55_3 Depth=1
	v_pk_add_f32 v[42:43], v[42:43], 0 neg_lo:[1,1] neg_hi:[1,1]
	ds_store_b64 v49, v[42:43] offset:29136
; %bb.894:                              ;   in Loop: Header=BB55_3 Depth=1
	s_or_b32 exec_lo, exec_lo, s10
	s_wait_dscnt 0x0
	s_barrier_signal -1
	s_barrier_wait -1
	s_barrier_signal -1
	s_barrier_wait -1
	s_and_saveexec_b32 s10, s12
; %bb.895:                              ;   in Loop: Header=BB55_3 Depth=1
	v_add_nc_u32_e64 v0, 0x7000, 0
	ds_store_2addr_b64 v0, v[38:39], v[38:39] offset0:186 offset1:251
; %bb.896:                              ;   in Loop: Header=BB55_3 Depth=1
	s_or_b32 exec_lo, exec_lo, s10
	v_mov_b64_e32 v[42:43], 0
	s_wait_dscnt 0x0
	s_barrier_signal -1
	s_barrier_wait -1
	s_and_saveexec_b32 s94, s4
	s_cbranch_execz .LBB55_902
; %bb.897:                              ;   in Loop: Header=BB55_3 Depth=1
	ds_load_b64 v[42:43], v55 offset:29152
	ds_load_b64 v[44:45], v53 offset:29120
	s_wait_dscnt 0x0
	v_dual_mul_f32 v0, v45, v43 :: v_dual_mul_f32 v43, v44, v43
	s_delay_alu instid0(VALU_DEP_1) | instskip(NEXT) | instid1(VALU_DEP_1)
	v_dual_fma_f32 v0, v44, v42, -v0 :: v_dual_fmac_f32 v43, v45, v42
	v_dual_add_f32 v42, 0, v0 :: v_dual_add_f32 v43, 0, v43
	s_and_saveexec_b32 s10, s14
	s_cbranch_execnz .LBB55_1048
; %bb.898:                              ;   in Loop: Header=BB55_3 Depth=1
	s_or_b32 exec_lo, exec_lo, s10
	s_and_saveexec_b32 s10, s15
	s_cbranch_execnz .LBB55_1049
.LBB55_899:                             ;   in Loop: Header=BB55_3 Depth=1
	s_or_b32 exec_lo, exec_lo, s10
	s_and_saveexec_b32 s10, s3
	s_cbranch_execz .LBB55_901
.LBB55_900:                             ;   in Loop: Header=BB55_3 Depth=1
	ds_load_b64 v[44:45], v51 offset:30688
	ds_load_b64 v[46:47], v1 offset:29144
	s_wait_dscnt 0x0
	v_dual_mul_f32 v0, v47, v45 :: v_dual_mul_f32 v83, v46, v45
	s_delay_alu instid0(VALU_DEP_1) | instskip(NEXT) | instid1(VALU_DEP_1)
	v_dual_fma_f32 v82, v46, v44, -v0 :: v_dual_fmac_f32 v83, v47, v44
	v_pk_add_f32 v[42:43], v[42:43], v[82:83]
.LBB55_901:                             ;   in Loop: Header=BB55_3 Depth=1
	s_or_b32 exec_lo, exec_lo, s10
	s_delay_alu instid0(VALU_DEP_1)
	v_pk_add_f32 v[42:43], v[42:43], 0 neg_lo:[1,1] neg_hi:[1,1]
.LBB55_902:                             ;   in Loop: Header=BB55_3 Depth=1
	s_or_b32 exec_lo, exec_lo, s94
	s_and_saveexec_b32 s10, s45
; %bb.903:                              ;   in Loop: Header=BB55_3 Depth=1
	ds_store_b64 v54, v[42:43]
; %bb.904:                              ;   in Loop: Header=BB55_3 Depth=1
	s_or_b32 exec_lo, exec_lo, s10
	s_wait_dscnt 0x0
	s_barrier_signal -1
	s_barrier_wait -1
	s_and_saveexec_b32 s10, s46
	s_cbranch_execz .LBB55_906
; %bb.905:                              ;   in Loop: Header=BB55_3 Depth=1
	ds_load_b64 v[44:45], v52 offset:31200
	ds_load_b64 v[46:47], v54
	s_wait_dscnt 0x0
	v_pk_mul_f32 v[82:83], v[46:47], v[44:45] op_sel:[1,1] op_sel_hi:[0,1]
	s_delay_alu instid0(VALU_DEP_1) | instskip(SKIP_1) | instid1(VALU_DEP_2)
	v_pk_fma_f32 v[84:85], v[46:47], v[44:45], v[82:83] op_sel_hi:[1,0,1]
	v_pk_fma_f32 v[44:45], v[46:47], v[44:45], v[82:83] neg_lo:[0,0,1] neg_hi:[0,0,1]
	v_mov_b32_e32 v45, v85
	s_delay_alu instid0(VALU_DEP_1)
	v_pk_add_f32 v[42:43], v[42:43], v[44:45]
.LBB55_906:                             ;   in Loop: Header=BB55_3 Depth=1
	s_or_b32 exec_lo, exec_lo, s10
	s_barrier_signal -1
	s_barrier_wait -1
	s_and_saveexec_b32 s10, s47
; %bb.907:                              ;   in Loop: Header=BB55_3 Depth=1
	ds_store_b64 v54, v[42:43]
; %bb.908:                              ;   in Loop: Header=BB55_3 Depth=1
	s_or_b32 exec_lo, exec_lo, s10
	s_wait_dscnt 0x0
	s_barrier_signal -1
	s_barrier_wait -1
	s_and_saveexec_b32 s10, s48
	s_cbranch_execz .LBB55_910
; %bb.909:                              ;   in Loop: Header=BB55_3 Depth=1
	ds_load_b64 v[44:45], v52 offset:31712
	ds_load_b64 v[46:47], v54
	s_wait_dscnt 0x0
	v_pk_mul_f32 v[82:83], v[46:47], v[44:45] op_sel:[1,1] op_sel_hi:[0,1]
	s_delay_alu instid0(VALU_DEP_1) | instskip(SKIP_1) | instid1(VALU_DEP_2)
	v_pk_fma_f32 v[84:85], v[46:47], v[44:45], v[82:83] op_sel_hi:[1,0,1]
	v_pk_fma_f32 v[44:45], v[46:47], v[44:45], v[82:83] neg_lo:[0,0,1] neg_hi:[0,0,1]
	v_mov_b32_e32 v45, v85
	s_delay_alu instid0(VALU_DEP_1)
	v_pk_add_f32 v[42:43], v[42:43], v[44:45]
.LBB55_910:                             ;   in Loop: Header=BB55_3 Depth=1
	s_or_b32 exec_lo, exec_lo, s10
	s_barrier_signal -1
	s_barrier_wait -1
	;; [unrolled: 25-line block ×3, first 2 shown]
	s_and_saveexec_b32 s10, s50
; %bb.915:                              ;   in Loop: Header=BB55_3 Depth=1
	ds_store_b64 v54, v[42:43]
; %bb.916:                              ;   in Loop: Header=BB55_3 Depth=1
	s_or_b32 exec_lo, exec_lo, s10
	s_wait_dscnt 0x0
	s_barrier_signal -1
	s_barrier_wait -1
	s_barrier_signal -1
	s_barrier_wait -1
	s_and_saveexec_b32 s10, s4
; %bb.917:                              ;   in Loop: Header=BB55_3 Depth=1
	v_pk_add_f32 v[42:43], v[42:43], 0 neg_lo:[1,1] neg_hi:[1,1]
	ds_store_b64 v55, v[42:43] offset:29152
; %bb.918:                              ;   in Loop: Header=BB55_3 Depth=1
	s_or_b32 exec_lo, exec_lo, s10
	s_wait_dscnt 0x0
	s_barrier_signal -1
	s_barrier_wait -1
	s_barrier_signal -1
	s_barrier_wait -1
	s_and_saveexec_b32 s10, s12
; %bb.919:                              ;   in Loop: Header=BB55_3 Depth=1
	v_add_nc_u32_e64 v0, 0x7800, 0
	ds_store_2addr_b64 v0, v[38:39], v[38:39] offset0:60 offset1:125
; %bb.920:                              ;   in Loop: Header=BB55_3 Depth=1
	s_or_b32 exec_lo, exec_lo, s10
	v_mov_b64_e32 v[42:43], 0
	s_wait_dscnt 0x0
	s_barrier_signal -1
	s_barrier_wait -1
	s_and_saveexec_b32 s94, s3
	s_cbranch_execz .LBB55_924
; %bb.921:                              ;   in Loop: Header=BB55_3 Depth=1
	ds_load_b64 v[42:43], v49 offset:31216
	ds_load_b64 v[44:45], v50 offset:31200
	s_wait_dscnt 0x0
	v_pk_mul_f32 v[46:47], v[44:45], v[42:43] op_sel:[1,1] op_sel_hi:[0,1]
	s_delay_alu instid0(VALU_DEP_1) | instskip(SKIP_1) | instid1(VALU_DEP_2)
	v_pk_fma_f32 v[82:83], v[44:45], v[42:43], v[46:47] op_sel_hi:[1,0,1]
	v_pk_fma_f32 v[42:43], v[44:45], v[42:43], v[46:47] neg_lo:[0,0,1] neg_hi:[0,0,1]
	v_mov_b32_e32 v43, v83
	s_delay_alu instid0(VALU_DEP_1)
	v_pk_add_f32 v[42:43], v[42:43], 0 op_sel_hi:[1,0]
	s_and_saveexec_b32 s10, s13
	s_cbranch_execz .LBB55_923
; %bb.922:                              ;   in Loop: Header=BB55_3 Depth=1
	ds_load_b64 v[44:45], v51 offset:31728
	ds_load_b64 v[46:47], v1 offset:31208
	s_wait_dscnt 0x0
	v_pk_mul_f32 v[82:83], v[46:47], v[44:45] op_sel:[1,1] op_sel_hi:[0,1]
	s_delay_alu instid0(VALU_DEP_1) | instskip(SKIP_1) | instid1(VALU_DEP_2)
	v_pk_fma_f32 v[84:85], v[46:47], v[44:45], v[82:83] op_sel_hi:[1,0,1]
	v_pk_fma_f32 v[44:45], v[46:47], v[44:45], v[82:83] neg_lo:[0,0,1] neg_hi:[0,0,1]
	v_mov_b32_e32 v45, v85
	s_delay_alu instid0(VALU_DEP_1)
	v_pk_add_f32 v[42:43], v[42:43], v[44:45]
.LBB55_923:                             ;   in Loop: Header=BB55_3 Depth=1
	s_or_b32 exec_lo, exec_lo, s10
	s_delay_alu instid0(VALU_DEP_1)
	v_pk_add_f32 v[42:43], v[42:43], 0 neg_lo:[1,1] neg_hi:[1,1]
.LBB55_924:                             ;   in Loop: Header=BB55_3 Depth=1
	s_or_b32 exec_lo, exec_lo, s94
	s_and_saveexec_b32 s10, s104
; %bb.925:                              ;   in Loop: Header=BB55_3 Depth=1
	ds_store_b64 v48, v[42:43]
; %bb.926:                              ;   in Loop: Header=BB55_3 Depth=1
	s_or_b32 exec_lo, exec_lo, s10
	s_wait_dscnt 0x0
	s_barrier_signal -1
	s_barrier_wait -1
	s_and_saveexec_b32 s10, vcc_hi
	s_cbranch_execz .LBB55_928
; %bb.927:                              ;   in Loop: Header=BB55_3 Depth=1
	ds_load_b64 v[44:45], v1 offset:32248
	ds_load_b64 v[46:47], v48
	s_wait_dscnt 0x0
	v_pk_mul_f32 v[82:83], v[46:47], v[44:45] op_sel:[1,1] op_sel_hi:[0,1]
	s_delay_alu instid0(VALU_DEP_1) | instskip(SKIP_1) | instid1(VALU_DEP_2)
	v_pk_fma_f32 v[84:85], v[46:47], v[44:45], v[82:83] op_sel_hi:[1,0,1]
	v_pk_fma_f32 v[44:45], v[46:47], v[44:45], v[82:83] neg_lo:[0,0,1] neg_hi:[0,0,1]
	v_mov_b32_e32 v45, v85
	s_delay_alu instid0(VALU_DEP_1)
	v_pk_add_f32 v[42:43], v[42:43], v[44:45]
.LBB55_928:                             ;   in Loop: Header=BB55_3 Depth=1
	s_or_b32 exec_lo, exec_lo, s10
	s_barrier_signal -1
	s_barrier_wait -1
	s_and_saveexec_b32 s10, vcc_hi
; %bb.929:                              ;   in Loop: Header=BB55_3 Depth=1
	ds_store_b64 v48, v[42:43]
; %bb.930:                              ;   in Loop: Header=BB55_3 Depth=1
	s_or_b32 exec_lo, exec_lo, s10
	s_wait_dscnt 0x0
	s_barrier_signal -1
	s_barrier_wait -1
	s_barrier_signal -1
	s_barrier_wait -1
	s_and_saveexec_b32 s10, s3
; %bb.931:                              ;   in Loop: Header=BB55_3 Depth=1
	v_pk_add_f32 v[42:43], v[42:43], 0 neg_lo:[1,1] neg_hi:[1,1]
	ds_store_b64 v49, v[42:43] offset:31216
; %bb.932:                              ;   in Loop: Header=BB55_3 Depth=1
	s_or_b32 exec_lo, exec_lo, s10
	s_wait_dscnt 0x0
	s_barrier_signal -1
	s_barrier_wait -1
	s_barrier_signal -1
	s_barrier_wait -1
	s_and_saveexec_b32 s10, s12
; %bb.933:                              ;   in Loop: Header=BB55_3 Depth=1
	v_add_nc_u32_e64 v0, 0x7800, 0
	ds_store_2addr_b64 v0, v[38:39], v[38:39] offset0:190 offset1:255
; %bb.934:                              ;   in Loop: Header=BB55_3 Depth=1
	s_or_b32 exec_lo, exec_lo, s10
.LBB55_935:                             ;   in Loop: Header=BB55_3 Depth=1
	v_readlane_b32 s10, v92, 2
	v_mov_b64_e32 v[42:43], 0
	v_readlane_b32 s11, v92, 3
	s_mul_u64 s[94:95], s[80:81], s[84:85]
	s_wait_dscnt 0x0
	s_lshl_b64 s[94:95], s[94:95], 3
	s_barrier_signal -1
	s_add_nc_u64 s[94:95], s[10:11], s[94:95]
	s_barrier_wait -1
	s_and_saveexec_b32 s10, s21
	s_cbranch_execz .LBB55_937
; %bb.936:                              ;   in Loop: Header=BB55_3 Depth=1
	v_lshl_add_u64 v[42:43], v[12:13], 3, s[94:95]
	global_load_b64 v[42:43], v[42:43], off
	s_wait_loadcnt 0x0
	v_pk_mul_f32 v[44:45], v[40:41], v[42:43] op_sel:[1,0] neg_lo:[1,0]
	s_delay_alu instid0(VALU_DEP_1)
	v_pk_fma_f32 v[42:43], v[40:41], v[42:43], v[44:45] op_sel:[0,0,1] op_sel_hi:[0,1,0] neg_lo:[1,0,0] neg_hi:[1,0,0]
.LBB55_937:                             ;   in Loop: Header=BB55_3 Depth=1
	s_or_b32 exec_lo, exec_lo, s10
	s_delay_alu instid0(SALU_CYCLE_1)
	s_and_not1_b32 vcc_lo, exec_lo, s23
	s_cbranch_vccnz .LBB55_956
; %bb.938:                              ;   in Loop: Header=BB55_3 Depth=1
	v_lshl_add_u64 v[40:41], v[8:9], 3, s[0:1]
	v_mov_b32_e32 v46, -1
	s_lshl_b64 s[96:97], s[84:85], 2
	s_mov_b32 s1, 0
	s_add_nc_u64 s[96:97], s[82:83], s[96:97]
	s_branch .LBB55_940
.LBB55_939:                             ;   in Loop: Header=BB55_940 Depth=2
	s_or_b32 exec_lo, exec_lo, s0
	s_add_co_i32 s1, s1, 1
	s_delay_alu instid0(SALU_CYCLE_1)
	s_cmp_eq_u32 s1, s100
	s_cbranch_scc1 .LBB55_956
.LBB55_940:                             ;   Parent Loop BB55_3 Depth=1
                                        ; =>  This Loop Header: Depth=2
                                        ;       Child Loop BB55_942 Depth 3
	v_cmp_gt_i32_e32 vcc_lo, s1, v46
	s_and_b32 s10, s34, vcc_lo
	s_delay_alu instid0(SALU_CYCLE_1)
	s_and_saveexec_b32 s0, s10
	s_cbranch_execz .LBB55_943
; %bb.941:                              ;   in Loop: Header=BB55_940 Depth=2
	global_load_b32 v46, v1, s[96:97]
	s_wait_loadcnt 0x0
	v_cmp_le_i32_e32 vcc_lo, s1, v46
	s_cbranch_vccnz .LBB55_943
.LBB55_942:                             ;   Parent Loop BB55_3 Depth=1
                                        ;     Parent Loop BB55_940 Depth=2
                                        ; =>    This Inner Loop Header: Depth=3
	global_wb scope:SCOPE_DEV
	s_wait_storecnt 0x0
	global_inv scope:SCOPE_DEV
	global_load_b32 v46, v1, s[96:97]
	s_wait_loadcnt 0x0
	v_cmp_gt_i32_e32 vcc_lo, s1, v46
	s_cbranch_vccnz .LBB55_942
.LBB55_943:                             ;   in Loop: Header=BB55_940 Depth=2
	s_or_b32 exec_lo, exec_lo, s0
	s_lshl_b32 s0, s1, 6
	global_wb scope:SCOPE_DEV
	s_wait_storecnt 0x0
	global_inv scope:SCOPE_DEV
	s_wait_loadcnt 0x0
	s_barrier_signal -1
	s_barrier_wait -1
	s_and_saveexec_b32 s10, s35
	s_cbranch_execz .LBB55_948
; %bb.944:                              ;   in Loop: Header=BB55_940 Depth=2
	v_or_b32_e32 v0, s0, v6
	s_delay_alu instid0(VALU_DEP_1) | instskip(SKIP_1) | instid1(SALU_CYCLE_1)
	v_cmp_le_i32_e32 vcc_lo, s99, v0
	s_and_saveexec_b32 s11, vcc_lo
	s_xor_b32 vcc_lo, exec_lo, s11
; %bb.945:                              ;   in Loop: Header=BB55_940 Depth=2
	ds_store_b64 v74, v[36:37]
; %bb.946:                              ;   in Loop: Header=BB55_940 Depth=2
	s_and_not1_saveexec_b32 s8, vcc_lo
	s_cbranch_execz .LBB55_948
; %bb.947:                              ;   in Loop: Header=BB55_940 Depth=2
	v_mul_u64_e32 v[44:45], s[78:79], v[0:1]
	s_delay_alu instid0(VALU_DEP_1)
	v_lshl_add_u64 v[44:45], v[44:45], 3, s[94:95]
	global_load_b64 v[44:45], v[44:45], off
	s_wait_loadcnt 0x0
	ds_store_b64 v74, v[44:45]
.LBB55_948:                             ;   in Loop: Header=BB55_940 Depth=2
	s_or_b32 exec_lo, exec_lo, s10
	v_add_nc_u32_e32 v0, s0, v2
	s_wait_dscnt 0x0
	v_cmp_eq_u32_e32 vcc_lo, s1, v5
	s_barrier_signal -1
	s_barrier_wait -1
	v_mul_u64_e32 v[44:45], s[68:69], v[0:1]
	v_cmp_gt_i32_e64 s0, s99, v0
	s_and_b32 s8, s2, s0
	v_lshl_add_u64 v[44:45], v[44:45], 3, v[40:41]
	s_and_saveexec_b32 s0, s8
	s_cbranch_execz .LBB55_950
; %bb.949:                              ;   in Loop: Header=BB55_940 Depth=2
	s_delay_alu instid0(VALU_DEP_1) | instskip(SKIP_4) | instid1(VALU_DEP_1)
	v_dual_cndmask_b32 v83, v45, v23 :: v_dual_cndmask_b32 v82, v44, v22
	ds_load_b64 v[84:85], v73
	flat_load_b64 v[82:83], v[82:83]
	s_wait_loadcnt_dscnt 0x0
	v_dual_mul_f32 v47, v85, v83 :: v_dual_mul_f32 v81, v84, v83
	v_dual_fma_f32 v47, v84, v82, -v47 :: v_dual_fmac_f32 v81, v85, v82
	s_delay_alu instid0(VALU_DEP_1)
	v_dual_add_f32 v42, v42, v47 :: v_dual_add_f32 v43, v43, v81
.LBB55_950:                             ;   in Loop: Header=BB55_940 Depth=2
	s_or_b32 exec_lo, exec_lo, s0
	v_add_nc_u32_e32 v47, 16, v0
	s_delay_alu instid0(VALU_DEP_1) | instskip(SKIP_1) | instid1(SALU_CYCLE_1)
	v_cmp_gt_i32_e64 s0, s99, v47
	s_and_b32 s8, s2, s0
	s_and_saveexec_b32 s0, s8
	s_cbranch_execz .LBB55_952
; %bb.951:                              ;   in Loop: Header=BB55_940 Depth=2
	v_add_nc_u64_e32 v[82:83], s[88:89], v[44:45]
	ds_load_b64 v[84:85], v73 offset:128
	v_dual_cndmask_b32 v83, v83, v27 :: v_dual_cndmask_b32 v82, v82, v26
	flat_load_b64 v[82:83], v[82:83]
	s_wait_loadcnt_dscnt 0x0
	v_dual_mul_f32 v47, v85, v83 :: v_dual_mul_f32 v81, v84, v83
	s_delay_alu instid0(VALU_DEP_1) | instskip(NEXT) | instid1(VALU_DEP_1)
	v_dual_fma_f32 v47, v84, v82, -v47 :: v_dual_fmac_f32 v81, v85, v82
	v_dual_add_f32 v42, v42, v47 :: v_dual_add_f32 v43, v43, v81
.LBB55_952:                             ;   in Loop: Header=BB55_940 Depth=2
	s_or_b32 exec_lo, exec_lo, s0
	v_add_nc_u32_e32 v47, 32, v0
	s_delay_alu instid0(VALU_DEP_1) | instskip(SKIP_1) | instid1(SALU_CYCLE_1)
	v_cmp_gt_i32_e64 s0, s99, v47
	s_and_b32 s8, s2, s0
	s_and_saveexec_b32 s0, s8
	s_cbranch_execz .LBB55_954
; %bb.953:                              ;   in Loop: Header=BB55_940 Depth=2
	v_add_nc_u64_e32 v[82:83], s[90:91], v[44:45]
	ds_load_b64 v[84:85], v73 offset:256
	v_dual_cndmask_b32 v83, v83, v31 :: v_dual_cndmask_b32 v82, v82, v30
	flat_load_b64 v[82:83], v[82:83]
	s_wait_loadcnt_dscnt 0x0
	v_dual_mul_f32 v47, v85, v83 :: v_dual_mul_f32 v87, v84, v83
	s_delay_alu instid0(VALU_DEP_1) | instskip(NEXT) | instid1(VALU_DEP_2)
	v_fma_f32 v86, v84, v82, -v47
	v_fmac_f32_e32 v87, v85, v82
	s_delay_alu instid0(VALU_DEP_1)
	v_pk_add_f32 v[42:43], v[42:43], v[86:87]
.LBB55_954:                             ;   in Loop: Header=BB55_940 Depth=2
	s_or_b32 exec_lo, exec_lo, s0
	v_add_nc_u32_e32 v0, 48, v0
	s_delay_alu instid0(VALU_DEP_1) | instskip(SKIP_1) | instid1(SALU_CYCLE_1)
	v_cmp_gt_i32_e64 s0, s99, v0
	s_and_b32 s8, s2, s0
	s_and_saveexec_b32 s0, s8
	s_cbranch_execz .LBB55_939
; %bb.955:                              ;   in Loop: Header=BB55_940 Depth=2
	v_add_nc_u64_e32 v[44:45], s[92:93], v[44:45]
	ds_load_b64 v[82:83], v73 offset:384
	v_dual_cndmask_b32 v45, v45, v33 :: v_dual_cndmask_b32 v44, v44, v32
	flat_load_b64 v[44:45], v[44:45]
	s_wait_loadcnt_dscnt 0x0
	v_pk_mul_f32 v[84:85], v[82:83], v[44:45] op_sel:[1,1] op_sel_hi:[0,1]
	s_delay_alu instid0(VALU_DEP_1) | instskip(SKIP_1) | instid1(VALU_DEP_2)
	v_pk_fma_f32 v[86:87], v[82:83], v[44:45], v[84:85] op_sel_hi:[1,0,1]
	v_pk_fma_f32 v[44:45], v[82:83], v[44:45], v[84:85] neg_lo:[0,0,1] neg_hi:[0,0,1]
	v_mov_b32_e32 v45, v87
	s_delay_alu instid0(VALU_DEP_1)
	v_pk_add_f32 v[42:43], v[42:43], v[44:45]
	s_branch .LBB55_939
.LBB55_956:                             ;   in Loop: Header=BB55_3 Depth=1
	ds_store_b64 v75, v[42:43]
	s_wait_dscnt 0x0
	s_barrier_signal -1
	s_barrier_wait -1
	s_and_saveexec_b32 s0, s7
	s_cbranch_execz .LBB55_958
; %bb.957:                              ;   in Loop: Header=BB55_3 Depth=1
	ds_load_2addr_stride64_b64 v[44:47], v76 offset0:1 offset1:2
	ds_load_2addr_stride64_b64 v[82:85], v76 offset0:3 offset1:4
	;; [unrolled: 1-line block ×3, first 2 shown]
	s_wait_dscnt 0x2
	v_pk_add_f32 v[40:41], v[42:43], v[44:45]
	s_delay_alu instid0(VALU_DEP_1) | instskip(SKIP_3) | instid1(VALU_DEP_1)
	v_pk_add_f32 v[44:45], v[40:41], v[46:47]
	ds_load_2addr_stride64_b64 v[40:43], v76 offset0:7 offset1:8
	s_wait_dscnt 0x2
	v_pk_add_f32 v[44:45], v[44:45], v[82:83]
	v_pk_add_f32 v[82:83], v[44:45], v[84:85]
	ds_load_2addr_stride64_b64 v[44:47], v76 offset0:9 offset1:10
	s_wait_dscnt 0x2
	v_pk_add_f32 v[82:83], v[82:83], v[86:87]
	s_delay_alu instid0(VALU_DEP_1) | instskip(SKIP_3) | instid1(VALU_DEP_1)
	v_pk_add_f32 v[86:87], v[82:83], v[88:89]
	ds_load_2addr_stride64_b64 v[82:85], v76 offset0:11 offset1:12
	s_wait_dscnt 0x2
	v_pk_add_f32 v[40:41], v[86:87], v[40:41]
	v_pk_add_f32 v[86:87], v[40:41], v[42:43]
	ds_load_2addr_stride64_b64 v[40:43], v76 offset0:13 offset1:14
	s_wait_dscnt 0x2
	v_pk_add_f32 v[44:45], v[86:87], v[44:45]
	s_delay_alu instid0(VALU_DEP_1) | instskip(SKIP_3) | instid1(VALU_DEP_1)
	v_pk_add_f32 v[44:45], v[44:45], v[46:47]
	ds_load_b64 v[46:47], v76 offset:7680
	s_wait_dscnt 0x2
	v_pk_add_f32 v[44:45], v[44:45], v[82:83]
	v_pk_add_f32 v[44:45], v[44:45], v[84:85]
	s_wait_dscnt 0x1
	s_delay_alu instid0(VALU_DEP_1) | instskip(NEXT) | instid1(VALU_DEP_1)
	v_pk_add_f32 v[40:41], v[44:45], v[40:41]
	v_pk_add_f32 v[40:41], v[40:41], v[42:43]
	s_wait_dscnt 0x0
	s_delay_alu instid0(VALU_DEP_1) | instskip(NEXT) | instid1(VALU_DEP_1)
	v_pk_add_f32 v[40:41], v[40:41], v[46:47]
	v_cndmask_b32_e64 v43, -v41, 0, s67
	s_delay_alu instid0(VALU_DEP_2)
	v_cndmask_b32_e64 v42, -v40, 0, s67
.LBB55_958:                             ;   in Loop: Header=BB55_3 Depth=1
	s_or_b32 exec_lo, exec_lo, s0
	s_delay_alu instid0(SALU_CYCLE_1)
	s_and_not1_b32 vcc_lo, exec_lo, s103
	s_cbranch_vccnz .LBB55_971
; %bb.959:                              ;   in Loop: Header=BB55_3 Depth=1
	s_and_saveexec_b32 s0, s7
; %bb.960:                              ;   in Loop: Header=BB55_3 Depth=1
	ds_store_b64 v78, v[42:43]
; %bb.961:                              ;   in Loop: Header=BB55_3 Depth=1
	s_or_b32 exec_lo, exec_lo, s0
	v_mov_b64_e32 v[40:41], 0
	s_wait_dscnt 0x0
	s_barrier_signal -1
	s_barrier_wait -1
	s_mov_b32 s0, exec_lo
	v_readlane_b32 s1, v91, 1
	s_and_b32 s1, s0, s1
	s_delay_alu instid0(SALU_CYCLE_1)
	s_mov_b32 exec_lo, s1
	s_cbranch_execz .LBB55_963
; %bb.962:                              ;   in Loop: Header=BB55_3 Depth=1
	ds_load_b64 v[40:41], v77
	ds_load_b64 v[44:45], v73
	s_wait_dscnt 0x0
	v_dual_mul_f32 v0, v45, v41 :: v_dual_mul_f32 v41, v44, v41
	s_delay_alu instid0(VALU_DEP_1) | instskip(NEXT) | instid1(VALU_DEP_1)
	v_dual_fma_f32 v0, v44, v40, -v0 :: v_dual_fmac_f32 v41, v45, v40
	v_dual_add_f32 v40, 0, v0 :: v_dual_add_f32 v41, 0, v41
.LBB55_963:                             ;   in Loop: Header=BB55_3 Depth=1
	s_or_b32 exec_lo, exec_lo, s0
	s_delay_alu instid0(SALU_CYCLE_1) | instskip(SKIP_2) | instid1(SALU_CYCLE_1)
	s_mov_b32 s0, exec_lo
	v_readlane_b32 s1, v91, 2
	s_and_b32 s1, s0, s1
	s_mov_b32 exec_lo, s1
	s_cbranch_execz .LBB55_965
; %bb.964:                              ;   in Loop: Header=BB55_3 Depth=1
	ds_load_b64 v[44:45], v77 offset:8192
	ds_load_b64 v[46:47], v73 offset:128
	s_wait_dscnt 0x0
	v_dual_mul_f32 v0, v47, v45 :: v_dual_mul_f32 v83, v46, v45
	s_delay_alu instid0(VALU_DEP_1) | instskip(NEXT) | instid1(VALU_DEP_1)
	v_dual_fma_f32 v82, v46, v44, -v0 :: v_dual_fmac_f32 v83, v47, v44
	v_pk_add_f32 v[40:41], v[40:41], v[82:83]
.LBB55_965:                             ;   in Loop: Header=BB55_3 Depth=1
	s_or_b32 exec_lo, exec_lo, s0
	s_delay_alu instid0(SALU_CYCLE_1) | instskip(SKIP_2) | instid1(SALU_CYCLE_1)
	s_mov_b32 s0, exec_lo
	v_readlane_b32 s1, v91, 3
	s_and_b32 s1, s0, s1
	s_mov_b32 exec_lo, s1
	s_cbranch_execz .LBB55_967
; %bb.966:                              ;   in Loop: Header=BB55_3 Depth=1
	ds_load_b64 v[44:45], v77 offset:16384
	ds_load_b64 v[46:47], v73 offset:256
	s_wait_dscnt 0x0
	v_pk_mul_f32 v[82:83], v[46:47], v[44:45] op_sel:[1,1] op_sel_hi:[0,1]
	s_delay_alu instid0(VALU_DEP_1) | instskip(SKIP_1) | instid1(VALU_DEP_2)
	v_pk_fma_f32 v[84:85], v[46:47], v[44:45], v[82:83] op_sel_hi:[1,0,1]
	v_pk_fma_f32 v[44:45], v[46:47], v[44:45], v[82:83] neg_lo:[0,0,1] neg_hi:[0,0,1]
	v_mov_b32_e32 v45, v85
	s_delay_alu instid0(VALU_DEP_1)
	v_pk_add_f32 v[40:41], v[40:41], v[44:45]
.LBB55_967:                             ;   in Loop: Header=BB55_3 Depth=1
	s_or_b32 exec_lo, exec_lo, s0
	s_delay_alu instid0(SALU_CYCLE_1) | instskip(SKIP_2) | instid1(SALU_CYCLE_1)
	s_mov_b32 s0, exec_lo
	v_readlane_b32 s1, v91, 4
	s_and_b32 s1, s0, s1
	s_mov_b32 exec_lo, s1
	s_cbranch_execz .LBB55_969
; %bb.968:                              ;   in Loop: Header=BB55_3 Depth=1
	ds_load_b64 v[44:45], v77 offset:24576
	ds_load_b64 v[46:47], v73 offset:384
	s_wait_dscnt 0x0
	v_pk_mul_f32 v[82:83], v[46:47], v[44:45] op_sel:[1,1] op_sel_hi:[0,1]
	s_delay_alu instid0(VALU_DEP_1) | instskip(SKIP_1) | instid1(VALU_DEP_2)
	v_pk_fma_f32 v[84:85], v[46:47], v[44:45], v[82:83] op_sel_hi:[1,0,1]
	v_pk_fma_f32 v[44:45], v[46:47], v[44:45], v[82:83] neg_lo:[0,0,1] neg_hi:[0,0,1]
	v_mov_b32_e32 v45, v85
	s_delay_alu instid0(VALU_DEP_1)
	v_pk_add_f32 v[40:41], v[40:41], v[44:45]
.LBB55_969:                             ;   in Loop: Header=BB55_3 Depth=1
	s_or_b32 exec_lo, exec_lo, s0
	s_mov_b32 s1, 0
	s_mov_b32 s0, 0
	ds_store_b64 v75, v[40:41]
	s_wait_dscnt 0x0
	s_barrier_signal -1
	s_barrier_wait -1
                                        ; implicit-def: $vgpr44_vgpr45
	s_and_saveexec_b32 s96, s7
	s_cbranch_execz .LBB55_995
; %bb.970:                              ;   in Loop: Header=BB55_3 Depth=1
	ds_load_2addr_stride64_b64 v[44:47], v76 offset0:1 offset1:2
	ds_load_2addr_stride64_b64 v[82:85], v76 offset0:3 offset1:4
	;; [unrolled: 1-line block ×3, first 2 shown]
	s_mov_b32 s0, exec_lo
	s_wait_dscnt 0x2
	v_pk_add_f32 v[40:41], v[40:41], v[44:45]
	s_delay_alu instid0(VALU_DEP_1) | instskip(SKIP_3) | instid1(VALU_DEP_1)
	v_pk_add_f32 v[40:41], v[40:41], v[46:47]
	ds_load_2addr_stride64_b64 v[44:47], v76 offset0:7 offset1:8
	s_wait_dscnt 0x2
	v_pk_add_f32 v[40:41], v[40:41], v[82:83]
	v_pk_add_f32 v[40:41], v[40:41], v[84:85]
	ds_load_2addr_stride64_b64 v[82:85], v76 offset0:9 offset1:10
	s_wait_dscnt 0x2
	v_pk_add_f32 v[40:41], v[40:41], v[86:87]
	s_delay_alu instid0(VALU_DEP_1) | instskip(SKIP_3) | instid1(VALU_DEP_1)
	v_pk_add_f32 v[40:41], v[40:41], v[88:89]
	ds_load_2addr_stride64_b64 v[86:89], v76 offset0:11 offset1:12
	s_wait_dscnt 0x2
	v_pk_add_f32 v[40:41], v[40:41], v[44:45]
	v_pk_add_f32 v[40:41], v[40:41], v[46:47]
	ds_load_2addr_stride64_b64 v[44:47], v76 offset0:13 offset1:14
	s_wait_dscnt 0x2
	v_pk_add_f32 v[40:41], v[40:41], v[82:83]
	ds_load_b64 v[82:83], v76 offset:7680
	v_pk_add_f32 v[40:41], v[40:41], v[84:85]
	s_wait_dscnt 0x2
	s_delay_alu instid0(VALU_DEP_1) | instskip(NEXT) | instid1(VALU_DEP_1)
	v_pk_add_f32 v[40:41], v[40:41], v[86:87]
	v_pk_add_f32 v[40:41], v[40:41], v[88:89]
	s_wait_dscnt 0x1
	s_delay_alu instid0(VALU_DEP_1) | instskip(NEXT) | instid1(VALU_DEP_1)
	v_pk_add_f32 v[40:41], v[40:41], v[44:45]
	v_pk_add_f32 v[40:41], v[40:41], v[46:47]
	s_wait_dscnt 0x0
	s_delay_alu instid0(VALU_DEP_1) | instskip(SKIP_1) | instid1(SALU_CYCLE_1)
	v_pk_add_f32 v[44:45], v[40:41], v[82:83]
	s_or_b32 exec_lo, exec_lo, s96
	s_and_b32 vcc_lo, exec_lo, s1
	s_cbranch_vccnz .LBB55_972
	s_branch .LBB55_996
.LBB55_971:                             ;   in Loop: Header=BB55_3 Depth=1
	s_mov_b32 s0, 0
                                        ; implicit-def: $vgpr44_vgpr45
	s_cbranch_execz .LBB55_996
.LBB55_972:                             ;   in Loop: Header=BB55_3 Depth=1
	v_dual_mov_b32 v0, v4 :: v_dual_mov_b32 v40, v51
	s_mov_b32 s1, 0
	s_branch .LBB55_974
.LBB55_973:                             ;   in Loop: Header=BB55_974 Depth=2
	s_or_b32 exec_lo, exec_lo, s10
	v_add_nc_u32_e32 v40, 0x800, v40
	v_add_nc_u32_e32 v0, -4, v0
	s_add_co_i32 s1, s1, 4
	s_delay_alu instid0(SALU_CYCLE_1)
	s_cmp_lg_u32 s1, 64
	s_barrier_signal -1
	s_barrier_wait -1
	s_cbranch_scc0 .LBB55_990
.LBB55_974:                             ;   Parent Loop BB55_3 Depth=1
                                        ; =>  This Inner Loop Header: Depth=2
	s_delay_alu instid0(VALU_DEP_1) | instskip(SKIP_1) | instid1(SALU_CYCLE_1)
	v_cmp_eq_u32_e32 vcc_lo, 0, v0
	s_and_b32 s8, s7, vcc_lo
	s_and_saveexec_b32 s10, s8
; %bb.975:                              ;   in Loop: Header=BB55_974 Depth=2
	ds_store_b64 v1, v[42:43] offset:41472
; %bb.976:                              ;   in Loop: Header=BB55_974 Depth=2
	s_or_b32 exec_lo, exec_lo, s10
	v_cmp_lt_u32_e32 vcc_lo, s1, v4
	s_wait_dscnt 0x0
	s_barrier_signal -1
	s_barrier_wait -1
	s_and_b32 s8, s7, vcc_lo
	s_delay_alu instid0(SALU_CYCLE_1)
	s_and_saveexec_b32 s10, s8
	s_cbranch_execz .LBB55_978
; %bb.977:                              ;   in Loop: Header=BB55_974 Depth=2
	ds_load_b64 v[44:45], v40
	ds_load_b64 v[46:47], v1 offset:41472
	s_wait_dscnt 0x0
	v_pk_mul_f32 v[82:83], v[46:47], v[44:45] op_sel:[1,1] op_sel_hi:[0,1]
	s_delay_alu instid0(VALU_DEP_1) | instskip(SKIP_1) | instid1(VALU_DEP_2)
	v_pk_fma_f32 v[84:85], v[46:47], v[44:45], v[82:83] op_sel_hi:[1,0,1]
	v_pk_fma_f32 v[44:45], v[46:47], v[44:45], v[82:83] neg_lo:[0,0,1] neg_hi:[0,0,1]
	v_mov_b32_e32 v45, v85
	s_delay_alu instid0(VALU_DEP_1)
	v_pk_add_f32 v[42:43], v[42:43], v[44:45]
.LBB55_978:                             ;   in Loop: Header=BB55_974 Depth=2
	s_or_b32 exec_lo, exec_lo, s10
	s_or_b32 s10, s1, 1
	s_delay_alu instid0(SALU_CYCLE_1) | instskip(SKIP_3) | instid1(SALU_CYCLE_1)
	v_cmp_eq_u32_e32 vcc_lo, s10, v4
	s_barrier_signal -1
	s_barrier_wait -1
	s_and_b32 s8, s7, vcc_lo
	s_and_saveexec_b32 s96, s8
; %bb.979:                              ;   in Loop: Header=BB55_974 Depth=2
	ds_store_b64 v1, v[42:43] offset:41472
; %bb.980:                              ;   in Loop: Header=BB55_974 Depth=2
	s_or_b32 exec_lo, exec_lo, s96
	v_cmp_lt_u32_e32 vcc_lo, s10, v4
	s_wait_dscnt 0x0
	s_barrier_signal -1
	s_barrier_wait -1
	s_and_b32 s8, s7, vcc_lo
	s_delay_alu instid0(SALU_CYCLE_1)
	s_and_saveexec_b32 s10, s8
	s_cbranch_execz .LBB55_982
; %bb.981:                              ;   in Loop: Header=BB55_974 Depth=2
	ds_load_b64 v[44:45], v40 offset:512
	ds_load_b64 v[46:47], v1 offset:41472
	s_wait_dscnt 0x0
	v_pk_mul_f32 v[82:83], v[46:47], v[44:45] op_sel:[1,1] op_sel_hi:[0,1]
	s_delay_alu instid0(VALU_DEP_1) | instskip(SKIP_1) | instid1(VALU_DEP_2)
	v_pk_fma_f32 v[84:85], v[46:47], v[44:45], v[82:83] op_sel_hi:[1,0,1]
	v_pk_fma_f32 v[44:45], v[46:47], v[44:45], v[82:83] neg_lo:[0,0,1] neg_hi:[0,0,1]
	v_mov_b32_e32 v45, v85
	s_delay_alu instid0(VALU_DEP_1)
	v_pk_add_f32 v[42:43], v[42:43], v[44:45]
.LBB55_982:                             ;   in Loop: Header=BB55_974 Depth=2
	s_or_b32 exec_lo, exec_lo, s10
	s_or_b32 s10, s1, 2
	s_delay_alu instid0(SALU_CYCLE_1) | instskip(SKIP_3) | instid1(SALU_CYCLE_1)
	v_cmp_eq_u32_e32 vcc_lo, s10, v4
	s_barrier_signal -1
	s_barrier_wait -1
	s_and_b32 s8, s7, vcc_lo
	s_and_saveexec_b32 s96, s8
; %bb.983:                              ;   in Loop: Header=BB55_974 Depth=2
	ds_store_b64 v1, v[42:43] offset:41472
; %bb.984:                              ;   in Loop: Header=BB55_974 Depth=2
	s_or_b32 exec_lo, exec_lo, s96
	v_cmp_lt_u32_e32 vcc_lo, s10, v4
	s_wait_dscnt 0x0
	s_barrier_signal -1
	s_barrier_wait -1
	s_and_b32 s8, s7, vcc_lo
	s_delay_alu instid0(SALU_CYCLE_1)
	s_and_saveexec_b32 s10, s8
	s_cbranch_execz .LBB55_986
; %bb.985:                              ;   in Loop: Header=BB55_974 Depth=2
	ds_load_b64 v[44:45], v40 offset:1024
	ds_load_b64 v[46:47], v1 offset:41472
	s_wait_dscnt 0x0
	v_pk_mul_f32 v[82:83], v[46:47], v[44:45] op_sel:[1,1] op_sel_hi:[0,1]
	s_delay_alu instid0(VALU_DEP_1) | instskip(SKIP_1) | instid1(VALU_DEP_2)
	v_pk_fma_f32 v[84:85], v[46:47], v[44:45], v[82:83] op_sel_hi:[1,0,1]
	v_pk_fma_f32 v[44:45], v[46:47], v[44:45], v[82:83] neg_lo:[0,0,1] neg_hi:[0,0,1]
	v_mov_b32_e32 v45, v85
	s_delay_alu instid0(VALU_DEP_1)
	v_pk_add_f32 v[42:43], v[42:43], v[44:45]
.LBB55_986:                             ;   in Loop: Header=BB55_974 Depth=2
	s_or_b32 exec_lo, exec_lo, s10
	s_or_b32 s10, s1, 3
	s_delay_alu instid0(SALU_CYCLE_1) | instskip(SKIP_3) | instid1(SALU_CYCLE_1)
	v_cmp_eq_u32_e32 vcc_lo, s10, v4
	s_barrier_signal -1
	s_barrier_wait -1
	s_and_b32 s8, s7, vcc_lo
	s_and_saveexec_b32 s96, s8
; %bb.987:                              ;   in Loop: Header=BB55_974 Depth=2
	ds_store_b64 v1, v[42:43] offset:41472
; %bb.988:                              ;   in Loop: Header=BB55_974 Depth=2
	s_or_b32 exec_lo, exec_lo, s96
	v_cmp_lt_u32_e32 vcc_lo, s10, v4
	s_wait_dscnt 0x0
	s_barrier_signal -1
	s_barrier_wait -1
	s_and_b32 s8, s7, vcc_lo
	s_delay_alu instid0(SALU_CYCLE_1)
	s_and_saveexec_b32 s10, s8
	s_cbranch_execz .LBB55_973
; %bb.989:                              ;   in Loop: Header=BB55_974 Depth=2
	ds_load_b64 v[44:45], v40 offset:1536
	ds_load_b64 v[46:47], v1 offset:41472
	s_wait_dscnt 0x0
	v_pk_mul_f32 v[82:83], v[46:47], v[44:45] op_sel:[1,1] op_sel_hi:[0,1]
	s_delay_alu instid0(VALU_DEP_1) | instskip(SKIP_1) | instid1(VALU_DEP_2)
	v_pk_fma_f32 v[84:85], v[46:47], v[44:45], v[82:83] op_sel_hi:[1,0,1]
	v_pk_fma_f32 v[44:45], v[46:47], v[44:45], v[82:83] neg_lo:[0,0,1] neg_hi:[0,0,1]
	v_mov_b32_e32 v45, v85
	s_delay_alu instid0(VALU_DEP_1)
	v_pk_add_f32 v[42:43], v[42:43], v[44:45]
	s_branch .LBB55_973
.LBB55_990:                             ;   in Loop: Header=BB55_3 Depth=1
	s_and_b32 vcc_lo, exec_lo, s102
	s_mov_b32 s1, -1
	s_cbranch_vccz .LBB55_992
; %bb.991:                              ;   in Loop: Header=BB55_3 Depth=1
	s_and_not1_b32 s0, s0, exec_lo
	s_and_b32 s8, s7, exec_lo
	s_mov_b32 s1, 0
	s_or_b32 s0, s0, s8
.LBB55_992:                             ;   in Loop: Header=BB55_3 Depth=1
	s_and_not1_b32 vcc_lo, exec_lo, s1
	s_cbranch_vccnz .LBB55_994
; %bb.993:                              ;   in Loop: Header=BB55_3 Depth=1
	v_readlane_b32 s1, v92, 10
	s_and_not1_b32 s0, s0, exec_lo
	s_and_b32 s1, s1, exec_lo
	s_delay_alu instid0(SALU_CYCLE_1)
	s_or_b32 s0, s0, s1
.LBB55_994:                             ;   in Loop: Header=BB55_3 Depth=1
	v_mov_b64_e32 v[40:41], v[16:17]
	s_and_saveexec_b32 s1, s0
	s_cbranch_execnz .LBB55_997
	s_branch .LBB55_998
.LBB55_995:                             ;   in Loop: Header=BB55_3 Depth=1
	s_or_b32 exec_lo, exec_lo, s96
	s_delay_alu instid0(SALU_CYCLE_1)
	s_and_b32 vcc_lo, exec_lo, s1
	s_cbranch_vccnz .LBB55_972
.LBB55_996:                             ;   in Loop: Header=BB55_3 Depth=1
	v_mov_b64_e32 v[42:43], v[44:45]
	v_mov_b64_e32 v[40:41], v[14:15]
	s_and_saveexec_b32 s1, s0
	s_cbranch_execz .LBB55_998
.LBB55_997:                             ;   in Loop: Header=BB55_3 Depth=1
	s_delay_alu instid0(VALU_DEP_1)
	v_lshl_add_u64 v[40:41], v[40:41], 3, s[94:95]
	global_store_b64 v[40:41], v[42:43], off
.LBB55_998:                             ;   in Loop: Header=BB55_3 Depth=1
	s_wait_xcnt 0x0
	s_or_b32 exec_lo, exec_lo, s1
	global_wb scope:SCOPE_DEV
	s_wait_storecnt 0x0
	global_inv scope:SCOPE_DEV
	s_wait_loadcnt 0x0
	s_barrier_signal -1
	s_barrier_wait -1
	s_and_saveexec_b32 s0, s34
	s_cbranch_execz .LBB55_2
; %bb.999:                              ;   in Loop: Header=BB55_3 Depth=1
	s_lshl_b64 s[94:95], s[84:85], 2
	s_delay_alu instid0(SALU_CYCLE_1)
	s_add_nc_u64 s[94:95], s[82:83], s[94:95]
	global_load_b32 v0, v1, s[94:95]
	s_wait_loadcnt 0x0
	v_add_nc_u32_e32 v0, 1, v0
	global_store_b32 v1, v0, s[94:95]
	s_branch .LBB55_2
.LBB55_1000:                            ;   in Loop: Header=BB55_3 Depth=1
	ds_load_b64 v[44:45], v56 offset:544
	ds_load_b64 v[46:47], v53 offset:8
	s_wait_dscnt 0x0
	v_dual_mul_f32 v0, v47, v45 :: v_dual_mul_f32 v45, v46, v45
	s_delay_alu instid0(VALU_DEP_1) | instskip(NEXT) | instid1(VALU_DEP_1)
	v_dual_fma_f32 v0, v46, v44, -v0 :: v_dual_fmac_f32 v45, v47, v44
	v_dual_add_f32 v42, v42, v0 :: v_dual_add_f32 v43, v43, v45
	s_or_b32 exec_lo, exec_lo, s10
	s_and_saveexec_b32 s10, s15
	s_cbranch_execz .LBB55_87
.LBB55_1001:                            ;   in Loop: Header=BB55_3 Depth=1
	ds_load_b64 v[44:45], v55 offset:1056
	ds_load_b64 v[46:47], v53 offset:16
	s_wait_dscnt 0x0
	v_dual_mul_f32 v0, v47, v45 :: v_dual_mul_f32 v45, v46, v45
	s_delay_alu instid0(VALU_DEP_1) | instskip(NEXT) | instid1(VALU_DEP_1)
	v_dual_fma_f32 v0, v46, v44, -v0 :: v_dual_fmac_f32 v45, v47, v44
	v_dual_add_f32 v42, v42, v0 :: v_dual_add_f32 v43, v43, v45
	s_or_b32 exec_lo, exec_lo, s10
	s_and_saveexec_b32 s10, s3
	s_cbranch_execnz .LBB55_88
	s_branch .LBB55_89
.LBB55_1002:                            ;   in Loop: Header=BB55_3 Depth=1
	ds_load_b64 v[44:45], v61 offset:576
	ds_load_b64 v[46:47], v57 offset:8
	s_wait_dscnt 0x0
	v_dual_mul_f32 v0, v47, v45 :: v_dual_mul_f32 v45, v46, v45
	s_delay_alu instid0(VALU_DEP_1) | instskip(NEXT) | instid1(VALU_DEP_1)
	v_dual_fma_f32 v0, v46, v44, -v0 :: v_dual_fmac_f32 v45, v47, v44
	v_dual_add_f32 v42, v42, v0 :: v_dual_add_f32 v43, v43, v45
	s_or_b32 exec_lo, exec_lo, s10
	s_and_saveexec_b32 s10, s17
	s_cbranch_execz .LBB55_125
.LBB55_1003:                            ;   in Loop: Header=BB55_3 Depth=1
	ds_load_b64 v[44:45], v61 offset:1088
	ds_load_b64 v[46:47], v57 offset:16
	s_wait_dscnt 0x0
	v_dual_mul_f32 v0, v47, v45 :: v_dual_mul_f32 v45, v46, v45
	s_delay_alu instid0(VALU_DEP_1) | instskip(NEXT) | instid1(VALU_DEP_1)
	v_dual_fma_f32 v0, v46, v44, -v0 :: v_dual_fmac_f32 v45, v47, v44
	v_dual_add_f32 v42, v42, v0 :: v_dual_add_f32 v43, v43, v45
	s_or_b32 exec_lo, exec_lo, s10
	s_and_saveexec_b32 s10, s18
	s_cbranch_execz .LBB55_126
.LBB55_1004:                            ;   in Loop: Header=BB55_3 Depth=1
	ds_load_b64 v[44:45], v61 offset:1600
	ds_load_b64 v[46:47], v57 offset:24
	s_wait_dscnt 0x0
	v_dual_mul_f32 v0, v47, v45 :: v_dual_mul_f32 v45, v46, v45
	s_delay_alu instid0(VALU_DEP_1) | instskip(NEXT) | instid1(VALU_DEP_1)
	v_dual_fma_f32 v0, v46, v44, -v0 :: v_dual_fmac_f32 v45, v47, v44
	v_dual_add_f32 v42, v42, v0 :: v_dual_add_f32 v43, v43, v45
	s_or_b32 exec_lo, exec_lo, s10
	s_and_saveexec_b32 s10, s19
	s_cbranch_execz .LBB55_127
.LBB55_1005:                            ;   in Loop: Header=BB55_3 Depth=1
	ds_load_b64 v[44:45], v60 offset:2112
	ds_load_b64 v[46:47], v57 offset:32
	s_wait_dscnt 0x0
	v_dual_mul_f32 v0, v47, v45 :: v_dual_mul_f32 v45, v46, v45
	s_delay_alu instid0(VALU_DEP_1) | instskip(NEXT) | instid1(VALU_DEP_1)
	v_dual_fma_f32 v0, v46, v44, -v0 :: v_dual_fmac_f32 v45, v47, v44
	v_dual_add_f32 v42, v42, v0 :: v_dual_add_f32 v43, v43, v45
	s_or_b32 exec_lo, exec_lo, s10
	s_and_saveexec_b32 s10, s20
	s_cbranch_execz .LBB55_128
.LBB55_1006:                            ;   in Loop: Header=BB55_3 Depth=1
	ds_load_b64 v[44:45], v61 offset:2624
	ds_load_b64 v[46:47], v57 offset:40
	s_wait_dscnt 0x0
	v_dual_mul_f32 v0, v47, v45 :: v_dual_mul_f32 v83, v46, v45
	s_delay_alu instid0(VALU_DEP_1) | instskip(NEXT) | instid1(VALU_DEP_1)
	v_dual_fma_f32 v82, v46, v44, -v0 :: v_dual_fmac_f32 v83, v47, v44
	v_pk_add_f32 v[42:43], v[42:43], v[82:83]
	s_or_b32 exec_lo, exec_lo, s10
	s_and_saveexec_b32 s10, s4
	s_cbranch_execz .LBB55_129
.LBB55_1007:                            ;   in Loop: Header=BB55_3 Depth=1
	ds_load_b64 v[44:45], v60 offset:3136
	ds_load_b64 v[46:47], v57 offset:48
	s_wait_dscnt 0x0
	v_pk_mul_f32 v[82:83], v[46:47], v[44:45] op_sel:[1,1] op_sel_hi:[0,1]
	s_delay_alu instid0(VALU_DEP_1) | instskip(SKIP_1) | instid1(VALU_DEP_2)
	v_pk_fma_f32 v[84:85], v[46:47], v[44:45], v[82:83] op_sel_hi:[1,0,1]
	v_pk_fma_f32 v[44:45], v[46:47], v[44:45], v[82:83] neg_lo:[0,0,1] neg_hi:[0,0,1]
	v_mov_b32_e32 v45, v85
	s_delay_alu instid0(VALU_DEP_1)
	v_pk_add_f32 v[42:43], v[42:43], v[44:45]
	s_or_b32 exec_lo, exec_lo, s10
	s_and_saveexec_b32 s10, s15
	s_cbranch_execnz .LBB55_130
	s_branch .LBB55_131
.LBB55_1008:                            ;   in Loop: Header=BB55_3 Depth=1
	ds_load_b64 v[44:45], v56 offset:4704
	ds_load_b64 v[46:47], v53 offset:4168
	s_wait_dscnt 0x0
	v_dual_mul_f32 v0, v47, v45 :: v_dual_mul_f32 v45, v46, v45
	s_delay_alu instid0(VALU_DEP_1) | instskip(NEXT) | instid1(VALU_DEP_1)
	v_dual_fma_f32 v0, v46, v44, -v0 :: v_dual_fmac_f32 v45, v47, v44
	v_dual_add_f32 v42, v42, v0 :: v_dual_add_f32 v43, v43, v45
	s_or_b32 exec_lo, exec_lo, s10
	s_and_saveexec_b32 s10, s15
	s_cbranch_execz .LBB55_183
.LBB55_1009:                            ;   in Loop: Header=BB55_3 Depth=1
	ds_load_b64 v[44:45], v55 offset:5216
	ds_load_b64 v[46:47], v53 offset:4176
	s_wait_dscnt 0x0
	v_dual_mul_f32 v0, v47, v45 :: v_dual_mul_f32 v45, v46, v45
	s_delay_alu instid0(VALU_DEP_1) | instskip(NEXT) | instid1(VALU_DEP_1)
	v_dual_fma_f32 v0, v46, v44, -v0 :: v_dual_fmac_f32 v45, v47, v44
	v_dual_add_f32 v42, v42, v0 :: v_dual_add_f32 v43, v43, v45
	s_or_b32 exec_lo, exec_lo, s10
	s_and_saveexec_b32 s10, s3
	s_cbranch_execnz .LBB55_184
	s_branch .LBB55_185
.LBB55_1010:                            ;   in Loop: Header=BB55_3 Depth=1
	ds_load_b64 v[44:45], v66 offset:5760
	ds_load_b64 v[46:47], v62 offset:88
	s_wait_dscnt 0x0
	v_dual_mul_f32 v0, v47, v45 :: v_dual_mul_f32 v45, v46, v45
	s_delay_alu instid0(VALU_DEP_1) | instskip(NEXT) | instid1(VALU_DEP_1)
	v_dual_fma_f32 v0, v46, v44, -v0 :: v_dual_fmac_f32 v45, v47, v44
	v_dual_add_f32 v42, v42, v0 :: v_dual_add_f32 v43, v43, v45
	s_or_b32 exec_lo, exec_lo, s10
	s_and_saveexec_b32 s10, s5
	s_cbranch_execz .LBB55_241
.LBB55_1011:                            ;   in Loop: Header=BB55_3 Depth=1
	ds_load_b64 v[44:45], v65 offset:6272
	ds_load_b64 v[46:47], v62 offset:96
	s_wait_dscnt 0x0
	v_dual_mul_f32 v0, v47, v45 :: v_dual_mul_f32 v45, v46, v45
	s_delay_alu instid0(VALU_DEP_1) | instskip(NEXT) | instid1(VALU_DEP_1)
	v_dual_fma_f32 v0, v46, v44, -v0 :: v_dual_fmac_f32 v45, v47, v44
	v_dual_add_f32 v42, v42, v0 :: v_dual_add_f32 v43, v43, v45
	s_or_b32 exec_lo, exec_lo, s10
	s_and_saveexec_b32 s10, s17
	s_cbranch_execz .LBB55_242
.LBB55_1012:                            ;   in Loop: Header=BB55_3 Depth=1
	ds_load_b64 v[44:45], v66 offset:6784
	ds_load_b64 v[46:47], v62 offset:104
	s_wait_dscnt 0x0
	v_dual_mul_f32 v0, v47, v45 :: v_dual_mul_f32 v45, v46, v45
	s_delay_alu instid0(VALU_DEP_1) | instskip(NEXT) | instid1(VALU_DEP_1)
	v_dual_fma_f32 v0, v46, v44, -v0 :: v_dual_fmac_f32 v45, v47, v44
	v_dual_add_f32 v42, v42, v0 :: v_dual_add_f32 v43, v43, v45
	s_or_b32 exec_lo, exec_lo, s10
	s_and_saveexec_b32 s10, s19
	s_cbranch_execz .LBB55_243
.LBB55_1013:                            ;   in Loop: Header=BB55_3 Depth=1
	ds_load_b64 v[44:45], v65 offset:7296
	ds_load_b64 v[46:47], v62 offset:112
	s_wait_dscnt 0x0
	v_dual_mul_f32 v0, v47, v45 :: v_dual_mul_f32 v45, v46, v45
	s_delay_alu instid0(VALU_DEP_1) | instskip(NEXT) | instid1(VALU_DEP_1)
	v_dual_fma_f32 v0, v46, v44, -v0 :: v_dual_fmac_f32 v45, v47, v44
	v_dual_add_f32 v42, v42, v0 :: v_dual_add_f32 v43, v43, v45
	s_or_b32 exec_lo, exec_lo, s10
	s_and_saveexec_b32 s10, s4
	s_cbranch_execnz .LBB55_244
	s_branch .LBB55_245
.LBB55_1014:                            ;   in Loop: Header=BB55_3 Depth=1
	ds_load_b64 v[44:45], v56 offset:8864
	ds_load_b64 v[46:47], v53 offset:8328
	s_wait_dscnt 0x0
	v_dual_mul_f32 v0, v47, v45 :: v_dual_mul_f32 v45, v46, v45
	s_delay_alu instid0(VALU_DEP_1) | instskip(NEXT) | instid1(VALU_DEP_1)
	v_dual_fma_f32 v0, v46, v44, -v0 :: v_dual_fmac_f32 v45, v47, v44
	v_dual_add_f32 v42, v42, v0 :: v_dual_add_f32 v43, v43, v45
	s_or_b32 exec_lo, exec_lo, s10
	s_and_saveexec_b32 s10, s15
	s_cbranch_execz .LBB55_329
.LBB55_1015:                            ;   in Loop: Header=BB55_3 Depth=1
	ds_load_b64 v[44:45], v55 offset:9376
	ds_load_b64 v[46:47], v53 offset:8336
	s_wait_dscnt 0x0
	v_dual_mul_f32 v0, v47, v45 :: v_dual_mul_f32 v45, v46, v45
	s_delay_alu instid0(VALU_DEP_1) | instskip(NEXT) | instid1(VALU_DEP_1)
	v_dual_fma_f32 v0, v46, v44, -v0 :: v_dual_fmac_f32 v45, v47, v44
	v_dual_add_f32 v42, v42, v0 :: v_dual_add_f32 v43, v43, v45
	s_or_b32 exec_lo, exec_lo, s10
	s_and_saveexec_b32 s10, s3
	s_cbranch_execnz .LBB55_330
	s_branch .LBB55_331
.LBB55_1016:                            ;   in Loop: Header=BB55_3 Depth=1
	ds_load_b64 v[44:45], v61 offset:8896
	ds_load_b64 v[46:47], v57 offset:8328
	s_wait_dscnt 0x0
	v_dual_mul_f32 v0, v47, v45 :: v_dual_mul_f32 v45, v46, v45
	s_delay_alu instid0(VALU_DEP_1) | instskip(NEXT) | instid1(VALU_DEP_1)
	v_dual_fma_f32 v0, v46, v44, -v0 :: v_dual_fmac_f32 v45, v47, v44
	v_dual_add_f32 v42, v42, v0 :: v_dual_add_f32 v43, v43, v45
	s_or_b32 exec_lo, exec_lo, s10
	s_and_saveexec_b32 s10, s17
	s_cbranch_execz .LBB55_367
.LBB55_1017:                            ;   in Loop: Header=BB55_3 Depth=1
	ds_load_b64 v[44:45], v61 offset:9408
	ds_load_b64 v[46:47], v57 offset:8336
	s_wait_dscnt 0x0
	v_dual_mul_f32 v0, v47, v45 :: v_dual_mul_f32 v45, v46, v45
	s_delay_alu instid0(VALU_DEP_1) | instskip(NEXT) | instid1(VALU_DEP_1)
	v_dual_fma_f32 v0, v46, v44, -v0 :: v_dual_fmac_f32 v45, v47, v44
	v_dual_add_f32 v42, v42, v0 :: v_dual_add_f32 v43, v43, v45
	s_or_b32 exec_lo, exec_lo, s10
	s_and_saveexec_b32 s10, s18
	s_cbranch_execz .LBB55_368
.LBB55_1018:                            ;   in Loop: Header=BB55_3 Depth=1
	ds_load_b64 v[44:45], v61 offset:9920
	ds_load_b64 v[46:47], v57 offset:8344
	s_wait_dscnt 0x0
	v_dual_mul_f32 v0, v47, v45 :: v_dual_mul_f32 v45, v46, v45
	s_delay_alu instid0(VALU_DEP_1) | instskip(NEXT) | instid1(VALU_DEP_1)
	v_dual_fma_f32 v0, v46, v44, -v0 :: v_dual_fmac_f32 v45, v47, v44
	v_dual_add_f32 v42, v42, v0 :: v_dual_add_f32 v43, v43, v45
	s_or_b32 exec_lo, exec_lo, s10
	s_and_saveexec_b32 s10, s19
	s_cbranch_execz .LBB55_369
.LBB55_1019:                            ;   in Loop: Header=BB55_3 Depth=1
	ds_load_b64 v[44:45], v60 offset:10432
	ds_load_b64 v[46:47], v57 offset:8352
	s_wait_dscnt 0x0
	v_dual_mul_f32 v0, v47, v45 :: v_dual_mul_f32 v45, v46, v45
	s_delay_alu instid0(VALU_DEP_1) | instskip(NEXT) | instid1(VALU_DEP_1)
	v_dual_fma_f32 v0, v46, v44, -v0 :: v_dual_fmac_f32 v45, v47, v44
	v_dual_add_f32 v42, v42, v0 :: v_dual_add_f32 v43, v43, v45
	s_or_b32 exec_lo, exec_lo, s10
	s_and_saveexec_b32 s10, s20
	s_cbranch_execz .LBB55_370
.LBB55_1020:                            ;   in Loop: Header=BB55_3 Depth=1
	ds_load_b64 v[44:45], v61 offset:10944
	ds_load_b64 v[46:47], v57 offset:8360
	s_wait_dscnt 0x0
	v_dual_mul_f32 v0, v47, v45 :: v_dual_mul_f32 v83, v46, v45
	s_delay_alu instid0(VALU_DEP_1) | instskip(NEXT) | instid1(VALU_DEP_1)
	v_dual_fma_f32 v82, v46, v44, -v0 :: v_dual_fmac_f32 v83, v47, v44
	v_pk_add_f32 v[42:43], v[42:43], v[82:83]
	s_or_b32 exec_lo, exec_lo, s10
	s_and_saveexec_b32 s10, s4
	s_cbranch_execz .LBB55_371
.LBB55_1021:                            ;   in Loop: Header=BB55_3 Depth=1
	ds_load_b64 v[44:45], v60 offset:11456
	ds_load_b64 v[46:47], v57 offset:8368
	s_wait_dscnt 0x0
	v_pk_mul_f32 v[82:83], v[46:47], v[44:45] op_sel:[1,1] op_sel_hi:[0,1]
	s_delay_alu instid0(VALU_DEP_1) | instskip(SKIP_1) | instid1(VALU_DEP_2)
	v_pk_fma_f32 v[84:85], v[46:47], v[44:45], v[82:83] op_sel_hi:[1,0,1]
	v_pk_fma_f32 v[44:45], v[46:47], v[44:45], v[82:83] neg_lo:[0,0,1] neg_hi:[0,0,1]
	v_mov_b32_e32 v45, v85
	s_delay_alu instid0(VALU_DEP_1)
	v_pk_add_f32 v[42:43], v[42:43], v[44:45]
	s_or_b32 exec_lo, exec_lo, s10
	s_and_saveexec_b32 s10, s15
	s_cbranch_execnz .LBB55_372
	s_branch .LBB55_373
.LBB55_1022:                            ;   in Loop: Header=BB55_3 Depth=1
	ds_load_b64 v[44:45], v56 offset:13024
	ds_load_b64 v[46:47], v53 offset:12488
	s_wait_dscnt 0x0
	v_dual_mul_f32 v0, v47, v45 :: v_dual_mul_f32 v45, v46, v45
	s_delay_alu instid0(VALU_DEP_1) | instskip(NEXT) | instid1(VALU_DEP_1)
	v_dual_fma_f32 v0, v46, v44, -v0 :: v_dual_fmac_f32 v45, v47, v44
	v_dual_add_f32 v42, v42, v0 :: v_dual_add_f32 v43, v43, v45
	s_or_b32 exec_lo, exec_lo, s10
	s_and_saveexec_b32 s10, s15
	s_cbranch_execz .LBB55_425
.LBB55_1023:                            ;   in Loop: Header=BB55_3 Depth=1
	ds_load_b64 v[44:45], v55 offset:13536
	ds_load_b64 v[46:47], v53 offset:12496
	s_wait_dscnt 0x0
	v_dual_mul_f32 v0, v47, v45 :: v_dual_mul_f32 v45, v46, v45
	s_delay_alu instid0(VALU_DEP_1) | instskip(NEXT) | instid1(VALU_DEP_1)
	v_dual_fma_f32 v0, v46, v44, -v0 :: v_dual_fmac_f32 v45, v47, v44
	v_dual_add_f32 v42, v42, v0 :: v_dual_add_f32 v43, v43, v45
	s_or_b32 exec_lo, exec_lo, s10
	s_and_saveexec_b32 s10, s3
	s_cbranch_execnz .LBB55_426
	s_branch .LBB55_427
.LBB55_1024:                            ;   in Loop: Header=BB55_3 Depth=1
	ds_load_b64 v[46:47], v44 offset:15104
	ds_load_b64 v[82:83], v0 offset:232
	s_wait_dscnt 0x0
	v_pk_mul_f32 v[84:85], v[82:83], v[46:47] op_sel:[1,1] op_sel_hi:[0,1]
	s_delay_alu instid0(VALU_DEP_1) | instskip(SKIP_1) | instid1(VALU_DEP_2)
	v_pk_fma_f32 v[86:87], v[82:83], v[46:47], v[84:85] op_sel_hi:[1,0,1]
	v_pk_fma_f32 v[46:47], v[82:83], v[46:47], v[84:85] neg_lo:[0,0,1] neg_hi:[0,0,1]
	v_mov_b32_e32 v47, v87
	s_delay_alu instid0(VALU_DEP_1)
	v_pk_add_f32 v[42:43], v[42:43], v[46:47]
	s_or_b32 exec_lo, exec_lo, s10
	s_and_saveexec_b32 s10, s5
	s_cbranch_execz .LBB55_519
.LBB55_1025:                            ;   in Loop: Header=BB55_3 Depth=1
	ds_load_b64 v[44:45], v44 offset:15616
	ds_load_b64 v[46:47], v0 offset:240
	s_wait_dscnt 0x0
	v_pk_mul_f32 v[82:83], v[46:47], v[44:45] op_sel:[1,1] op_sel_hi:[0,1]
	s_delay_alu instid0(VALU_DEP_1) | instskip(SKIP_1) | instid1(VALU_DEP_2)
	v_pk_fma_f32 v[84:85], v[46:47], v[44:45], v[82:83] op_sel_hi:[1,0,1]
	v_pk_fma_f32 v[44:45], v[46:47], v[44:45], v[82:83] neg_lo:[0,0,1] neg_hi:[0,0,1]
	v_mov_b32_e32 v45, v85
	s_delay_alu instid0(VALU_DEP_1)
	v_pk_add_f32 v[42:43], v[42:43], v[44:45]
	s_or_b32 exec_lo, exec_lo, s10
	s_and_saveexec_b32 s10, s19
	s_cbranch_execnz .LBB55_520
	s_branch .LBB55_521
.LBB55_1026:                            ;   in Loop: Header=BB55_3 Depth=1
	ds_load_b64 v[44:45], v56 offset:17184
	ds_load_b64 v[46:47], v53 offset:16648
	s_wait_dscnt 0x0
	v_dual_mul_f32 v0, v47, v45 :: v_dual_mul_f32 v45, v46, v45
	s_delay_alu instid0(VALU_DEP_1) | instskip(NEXT) | instid1(VALU_DEP_1)
	v_dual_fma_f32 v0, v46, v44, -v0 :: v_dual_fmac_f32 v45, v47, v44
	v_dual_add_f32 v42, v42, v0 :: v_dual_add_f32 v43, v43, v45
	s_or_b32 exec_lo, exec_lo, s10
	s_and_saveexec_b32 s10, s15
	s_cbranch_execz .LBB55_561
.LBB55_1027:                            ;   in Loop: Header=BB55_3 Depth=1
	ds_load_b64 v[44:45], v55 offset:17696
	ds_load_b64 v[46:47], v53 offset:16656
	s_wait_dscnt 0x0
	v_dual_mul_f32 v0, v47, v45 :: v_dual_mul_f32 v45, v46, v45
	s_delay_alu instid0(VALU_DEP_1) | instskip(NEXT) | instid1(VALU_DEP_1)
	v_dual_fma_f32 v0, v46, v44, -v0 :: v_dual_fmac_f32 v45, v47, v44
	v_dual_add_f32 v42, v42, v0 :: v_dual_add_f32 v43, v43, v45
	s_or_b32 exec_lo, exec_lo, s10
	s_and_saveexec_b32 s10, s3
	s_cbranch_execnz .LBB55_562
	s_branch .LBB55_563
.LBB55_1028:                            ;   in Loop: Header=BB55_3 Depth=1
	ds_load_b64 v[44:45], v61 offset:17216
	ds_load_b64 v[46:47], v57 offset:16648
	s_wait_dscnt 0x0
	v_dual_mul_f32 v0, v47, v45 :: v_dual_mul_f32 v45, v46, v45
	s_delay_alu instid0(VALU_DEP_1) | instskip(NEXT) | instid1(VALU_DEP_1)
	v_dual_fma_f32 v0, v46, v44, -v0 :: v_dual_fmac_f32 v45, v47, v44
	v_dual_add_f32 v42, v42, v0 :: v_dual_add_f32 v43, v43, v45
	s_or_b32 exec_lo, exec_lo, s10
	s_and_saveexec_b32 s10, s17
	s_cbranch_execz .LBB55_599
.LBB55_1029:                            ;   in Loop: Header=BB55_3 Depth=1
	ds_load_b64 v[44:45], v61 offset:17728
	ds_load_b64 v[46:47], v57 offset:16656
	s_wait_dscnt 0x0
	v_dual_mul_f32 v0, v47, v45 :: v_dual_mul_f32 v45, v46, v45
	s_delay_alu instid0(VALU_DEP_1) | instskip(NEXT) | instid1(VALU_DEP_1)
	v_dual_fma_f32 v0, v46, v44, -v0 :: v_dual_fmac_f32 v45, v47, v44
	v_dual_add_f32 v42, v42, v0 :: v_dual_add_f32 v43, v43, v45
	s_or_b32 exec_lo, exec_lo, s10
	s_and_saveexec_b32 s10, s18
	s_cbranch_execz .LBB55_600
.LBB55_1030:                            ;   in Loop: Header=BB55_3 Depth=1
	ds_load_b64 v[44:45], v61 offset:18240
	ds_load_b64 v[46:47], v57 offset:16664
	s_wait_dscnt 0x0
	v_dual_mul_f32 v0, v47, v45 :: v_dual_mul_f32 v45, v46, v45
	s_delay_alu instid0(VALU_DEP_1) | instskip(NEXT) | instid1(VALU_DEP_1)
	v_dual_fma_f32 v0, v46, v44, -v0 :: v_dual_fmac_f32 v45, v47, v44
	v_dual_add_f32 v42, v42, v0 :: v_dual_add_f32 v43, v43, v45
	s_or_b32 exec_lo, exec_lo, s10
	s_and_saveexec_b32 s10, s19
	s_cbranch_execz .LBB55_601
.LBB55_1031:                            ;   in Loop: Header=BB55_3 Depth=1
	ds_load_b64 v[44:45], v60 offset:18752
	ds_load_b64 v[46:47], v57 offset:16672
	s_wait_dscnt 0x0
	v_dual_mul_f32 v0, v47, v45 :: v_dual_mul_f32 v45, v46, v45
	s_delay_alu instid0(VALU_DEP_1) | instskip(NEXT) | instid1(VALU_DEP_1)
	v_dual_fma_f32 v0, v46, v44, -v0 :: v_dual_fmac_f32 v45, v47, v44
	v_dual_add_f32 v42, v42, v0 :: v_dual_add_f32 v43, v43, v45
	s_or_b32 exec_lo, exec_lo, s10
	s_and_saveexec_b32 s10, s20
	s_cbranch_execz .LBB55_602
.LBB55_1032:                            ;   in Loop: Header=BB55_3 Depth=1
	ds_load_b64 v[44:45], v61 offset:19264
	ds_load_b64 v[46:47], v57 offset:16680
	s_wait_dscnt 0x0
	v_dual_mul_f32 v0, v47, v45 :: v_dual_mul_f32 v83, v46, v45
	s_delay_alu instid0(VALU_DEP_1) | instskip(NEXT) | instid1(VALU_DEP_1)
	v_dual_fma_f32 v82, v46, v44, -v0 :: v_dual_fmac_f32 v83, v47, v44
	v_pk_add_f32 v[42:43], v[42:43], v[82:83]
	s_or_b32 exec_lo, exec_lo, s10
	s_and_saveexec_b32 s10, s4
	s_cbranch_execz .LBB55_603
.LBB55_1033:                            ;   in Loop: Header=BB55_3 Depth=1
	ds_load_b64 v[44:45], v60 offset:19776
	ds_load_b64 v[46:47], v57 offset:16688
	s_wait_dscnt 0x0
	v_pk_mul_f32 v[82:83], v[46:47], v[44:45] op_sel:[1,1] op_sel_hi:[0,1]
	s_delay_alu instid0(VALU_DEP_1) | instskip(SKIP_1) | instid1(VALU_DEP_2)
	v_pk_fma_f32 v[84:85], v[46:47], v[44:45], v[82:83] op_sel_hi:[1,0,1]
	v_pk_fma_f32 v[44:45], v[46:47], v[44:45], v[82:83] neg_lo:[0,0,1] neg_hi:[0,0,1]
	v_mov_b32_e32 v45, v85
	s_delay_alu instid0(VALU_DEP_1)
	v_pk_add_f32 v[42:43], v[42:43], v[44:45]
	s_or_b32 exec_lo, exec_lo, s10
	s_and_saveexec_b32 s10, s15
	s_cbranch_execnz .LBB55_604
	s_branch .LBB55_605
.LBB55_1034:                            ;   in Loop: Header=BB55_3 Depth=1
	ds_load_b64 v[44:45], v56 offset:21344
	ds_load_b64 v[46:47], v53 offset:20808
	s_wait_dscnt 0x0
	v_dual_mul_f32 v0, v47, v45 :: v_dual_mul_f32 v45, v46, v45
	s_delay_alu instid0(VALU_DEP_1) | instskip(NEXT) | instid1(VALU_DEP_1)
	v_dual_fma_f32 v0, v46, v44, -v0 :: v_dual_fmac_f32 v45, v47, v44
	v_dual_add_f32 v42, v42, v0 :: v_dual_add_f32 v43, v43, v45
	s_or_b32 exec_lo, exec_lo, s10
	s_and_saveexec_b32 s10, s15
	s_cbranch_execz .LBB55_657
.LBB55_1035:                            ;   in Loop: Header=BB55_3 Depth=1
	ds_load_b64 v[44:45], v55 offset:21856
	ds_load_b64 v[46:47], v53 offset:20816
	s_wait_dscnt 0x0
	v_dual_mul_f32 v0, v47, v45 :: v_dual_mul_f32 v45, v46, v45
	s_delay_alu instid0(VALU_DEP_1) | instskip(NEXT) | instid1(VALU_DEP_1)
	v_dual_fma_f32 v0, v46, v44, -v0 :: v_dual_fmac_f32 v45, v47, v44
	v_dual_add_f32 v42, v42, v0 :: v_dual_add_f32 v43, v43, v45
	s_or_b32 exec_lo, exec_lo, s10
	s_and_saveexec_b32 s10, s3
	s_cbranch_execnz .LBB55_658
	s_branch .LBB55_659
.LBB55_1036:                            ;   in Loop: Header=BB55_3 Depth=1
	ds_load_b64 v[44:45], v66 offset:22400
	ds_load_b64 v[46:47], v62 offset:16728
	s_wait_dscnt 0x0
	v_dual_mul_f32 v0, v47, v45 :: v_dual_mul_f32 v45, v46, v45
	s_delay_alu instid0(VALU_DEP_1) | instskip(NEXT) | instid1(VALU_DEP_1)
	v_dual_fma_f32 v0, v46, v44, -v0 :: v_dual_fmac_f32 v45, v47, v44
	v_dual_add_f32 v42, v42, v0 :: v_dual_add_f32 v43, v43, v45
	s_or_b32 exec_lo, exec_lo, s10
	s_and_saveexec_b32 s10, s5
	s_cbranch_execz .LBB55_715
.LBB55_1037:                            ;   in Loop: Header=BB55_3 Depth=1
	ds_load_b64 v[44:45], v65 offset:22912
	ds_load_b64 v[46:47], v62 offset:16736
	s_wait_dscnt 0x0
	v_dual_mul_f32 v0, v47, v45 :: v_dual_mul_f32 v45, v46, v45
	s_delay_alu instid0(VALU_DEP_1) | instskip(NEXT) | instid1(VALU_DEP_1)
	v_dual_fma_f32 v0, v46, v44, -v0 :: v_dual_fmac_f32 v45, v47, v44
	v_dual_add_f32 v42, v42, v0 :: v_dual_add_f32 v43, v43, v45
	s_or_b32 exec_lo, exec_lo, s10
	s_and_saveexec_b32 s10, s17
	s_cbranch_execz .LBB55_716
.LBB55_1038:                            ;   in Loop: Header=BB55_3 Depth=1
	ds_load_b64 v[44:45], v66 offset:23424
	ds_load_b64 v[46:47], v62 offset:16744
	s_wait_dscnt 0x0
	v_dual_mul_f32 v0, v47, v45 :: v_dual_mul_f32 v45, v46, v45
	s_delay_alu instid0(VALU_DEP_1) | instskip(NEXT) | instid1(VALU_DEP_1)
	v_dual_fma_f32 v0, v46, v44, -v0 :: v_dual_fmac_f32 v45, v47, v44
	v_dual_add_f32 v42, v42, v0 :: v_dual_add_f32 v43, v43, v45
	s_or_b32 exec_lo, exec_lo, s10
	s_and_saveexec_b32 s10, s19
	s_cbranch_execz .LBB55_717
.LBB55_1039:                            ;   in Loop: Header=BB55_3 Depth=1
	ds_load_b64 v[44:45], v65 offset:23936
	ds_load_b64 v[46:47], v62 offset:16752
	s_wait_dscnt 0x0
	v_dual_mul_f32 v0, v47, v45 :: v_dual_mul_f32 v45, v46, v45
	s_delay_alu instid0(VALU_DEP_1) | instskip(NEXT) | instid1(VALU_DEP_1)
	v_dual_fma_f32 v0, v46, v44, -v0 :: v_dual_fmac_f32 v45, v47, v44
	v_dual_add_f32 v42, v42, v0 :: v_dual_add_f32 v43, v43, v45
	s_or_b32 exec_lo, exec_lo, s10
	s_and_saveexec_b32 s10, s4
	s_cbranch_execnz .LBB55_718
	s_branch .LBB55_719
.LBB55_1040:                            ;   in Loop: Header=BB55_3 Depth=1
	ds_load_b64 v[44:45], v56 offset:25504
	ds_load_b64 v[46:47], v53 offset:24968
	s_wait_dscnt 0x0
	v_dual_mul_f32 v0, v47, v45 :: v_dual_mul_f32 v45, v46, v45
	s_delay_alu instid0(VALU_DEP_1) | instskip(NEXT) | instid1(VALU_DEP_1)
	v_dual_fma_f32 v0, v46, v44, -v0 :: v_dual_fmac_f32 v45, v47, v44
	v_dual_add_f32 v42, v42, v0 :: v_dual_add_f32 v43, v43, v45
	s_or_b32 exec_lo, exec_lo, s10
	s_and_saveexec_b32 s10, s15
	s_cbranch_execz .LBB55_803
.LBB55_1041:                            ;   in Loop: Header=BB55_3 Depth=1
	ds_load_b64 v[44:45], v55 offset:26016
	ds_load_b64 v[46:47], v53 offset:24976
	s_wait_dscnt 0x0
	v_dual_mul_f32 v0, v47, v45 :: v_dual_mul_f32 v45, v46, v45
	s_delay_alu instid0(VALU_DEP_1) | instskip(NEXT) | instid1(VALU_DEP_1)
	v_dual_fma_f32 v0, v46, v44, -v0 :: v_dual_fmac_f32 v45, v47, v44
	v_dual_add_f32 v42, v42, v0 :: v_dual_add_f32 v43, v43, v45
	s_or_b32 exec_lo, exec_lo, s10
	s_and_saveexec_b32 s10, s3
	s_cbranch_execnz .LBB55_804
	s_branch .LBB55_805
.LBB55_1042:                            ;   in Loop: Header=BB55_3 Depth=1
	ds_load_b64 v[44:45], v61 offset:25536
	ds_load_b64 v[46:47], v57 offset:24968
	s_wait_dscnt 0x0
	v_dual_mul_f32 v0, v47, v45 :: v_dual_mul_f32 v45, v46, v45
	s_delay_alu instid0(VALU_DEP_1) | instskip(NEXT) | instid1(VALU_DEP_1)
	v_dual_fma_f32 v0, v46, v44, -v0 :: v_dual_fmac_f32 v45, v47, v44
	v_dual_add_f32 v42, v42, v0 :: v_dual_add_f32 v43, v43, v45
	s_or_b32 exec_lo, exec_lo, s10
	s_and_saveexec_b32 s10, s17
	s_cbranch_execz .LBB55_841
.LBB55_1043:                            ;   in Loop: Header=BB55_3 Depth=1
	ds_load_b64 v[44:45], v61 offset:26048
	ds_load_b64 v[46:47], v57 offset:24976
	s_wait_dscnt 0x0
	v_dual_mul_f32 v0, v47, v45 :: v_dual_mul_f32 v45, v46, v45
	s_delay_alu instid0(VALU_DEP_1) | instskip(NEXT) | instid1(VALU_DEP_1)
	v_dual_fma_f32 v0, v46, v44, -v0 :: v_dual_fmac_f32 v45, v47, v44
	v_dual_add_f32 v42, v42, v0 :: v_dual_add_f32 v43, v43, v45
	s_or_b32 exec_lo, exec_lo, s10
	s_and_saveexec_b32 s10, s18
	s_cbranch_execz .LBB55_842
.LBB55_1044:                            ;   in Loop: Header=BB55_3 Depth=1
	ds_load_b64 v[44:45], v61 offset:26560
	ds_load_b64 v[46:47], v57 offset:24984
	s_wait_dscnt 0x0
	v_dual_mul_f32 v0, v47, v45 :: v_dual_mul_f32 v45, v46, v45
	s_delay_alu instid0(VALU_DEP_1) | instskip(NEXT) | instid1(VALU_DEP_1)
	v_dual_fma_f32 v0, v46, v44, -v0 :: v_dual_fmac_f32 v45, v47, v44
	v_dual_add_f32 v42, v42, v0 :: v_dual_add_f32 v43, v43, v45
	s_or_b32 exec_lo, exec_lo, s10
	s_and_saveexec_b32 s10, s19
	s_cbranch_execz .LBB55_843
.LBB55_1045:                            ;   in Loop: Header=BB55_3 Depth=1
	ds_load_b64 v[44:45], v60 offset:27072
	ds_load_b64 v[46:47], v57 offset:24992
	s_wait_dscnt 0x0
	v_dual_mul_f32 v0, v47, v45 :: v_dual_mul_f32 v45, v46, v45
	s_delay_alu instid0(VALU_DEP_1) | instskip(NEXT) | instid1(VALU_DEP_1)
	v_dual_fma_f32 v0, v46, v44, -v0 :: v_dual_fmac_f32 v45, v47, v44
	v_dual_add_f32 v42, v42, v0 :: v_dual_add_f32 v43, v43, v45
	s_or_b32 exec_lo, exec_lo, s10
	s_and_saveexec_b32 s10, s20
	s_cbranch_execz .LBB55_844
.LBB55_1046:                            ;   in Loop: Header=BB55_3 Depth=1
	ds_load_b64 v[44:45], v61 offset:27584
	ds_load_b64 v[46:47], v57 offset:25000
	s_wait_dscnt 0x0
	v_dual_mul_f32 v0, v47, v45 :: v_dual_mul_f32 v83, v46, v45
	s_delay_alu instid0(VALU_DEP_1) | instskip(NEXT) | instid1(VALU_DEP_1)
	v_dual_fma_f32 v82, v46, v44, -v0 :: v_dual_fmac_f32 v83, v47, v44
	v_pk_add_f32 v[42:43], v[42:43], v[82:83]
	s_or_b32 exec_lo, exec_lo, s10
	s_and_saveexec_b32 s10, s4
	s_cbranch_execz .LBB55_845
.LBB55_1047:                            ;   in Loop: Header=BB55_3 Depth=1
	ds_load_b64 v[44:45], v60 offset:28096
	ds_load_b64 v[46:47], v57 offset:25008
	s_wait_dscnt 0x0
	v_pk_mul_f32 v[82:83], v[46:47], v[44:45] op_sel:[1,1] op_sel_hi:[0,1]
	s_delay_alu instid0(VALU_DEP_1) | instskip(SKIP_1) | instid1(VALU_DEP_2)
	v_pk_fma_f32 v[84:85], v[46:47], v[44:45], v[82:83] op_sel_hi:[1,0,1]
	v_pk_fma_f32 v[44:45], v[46:47], v[44:45], v[82:83] neg_lo:[0,0,1] neg_hi:[0,0,1]
	v_mov_b32_e32 v45, v85
	s_delay_alu instid0(VALU_DEP_1)
	v_pk_add_f32 v[42:43], v[42:43], v[44:45]
	s_or_b32 exec_lo, exec_lo, s10
	s_and_saveexec_b32 s10, s15
	s_cbranch_execnz .LBB55_846
	s_branch .LBB55_847
.LBB55_1048:                            ;   in Loop: Header=BB55_3 Depth=1
	ds_load_b64 v[44:45], v56 offset:29664
	ds_load_b64 v[46:47], v53 offset:29128
	s_wait_dscnt 0x0
	v_dual_mul_f32 v0, v47, v45 :: v_dual_mul_f32 v45, v46, v45
	s_delay_alu instid0(VALU_DEP_1) | instskip(NEXT) | instid1(VALU_DEP_1)
	v_dual_fma_f32 v0, v46, v44, -v0 :: v_dual_fmac_f32 v45, v47, v44
	v_dual_add_f32 v42, v42, v0 :: v_dual_add_f32 v43, v43, v45
	s_or_b32 exec_lo, exec_lo, s10
	s_and_saveexec_b32 s10, s15
	s_cbranch_execz .LBB55_899
.LBB55_1049:                            ;   in Loop: Header=BB55_3 Depth=1
	ds_load_b64 v[44:45], v55 offset:30176
	ds_load_b64 v[46:47], v53 offset:29136
	s_wait_dscnt 0x0
	v_dual_mul_f32 v0, v47, v45 :: v_dual_mul_f32 v45, v46, v45
	s_delay_alu instid0(VALU_DEP_1) | instskip(NEXT) | instid1(VALU_DEP_1)
	v_dual_fma_f32 v0, v46, v44, -v0 :: v_dual_fmac_f32 v45, v47, v44
	v_dual_add_f32 v42, v42, v0 :: v_dual_add_f32 v43, v43, v45
	s_or_b32 exec_lo, exec_lo, s10
	s_and_saveexec_b32 s10, s3
	s_cbranch_execnz .LBB55_900
	s_branch .LBB55_901
.LBB55_1050:
	s_endpgm
	.section	.rodata,"a",@progbits
	.p2align	6, 0x0
	.amdhsa_kernel _ZL19rocblas_trsv_deviceILi64ELi16ELb1ELb0ELb0ELb1E19rocblas_complex_numIfEPKS1_S3_PS1_EviT7_lllT6_T8_lllPii
		.amdhsa_group_segment_fixed_size 41480
		.amdhsa_private_segment_fixed_size 48
		.amdhsa_kernarg_size 352
		.amdhsa_user_sgpr_count 2
		.amdhsa_user_sgpr_dispatch_ptr 0
		.amdhsa_user_sgpr_queue_ptr 0
		.amdhsa_user_sgpr_kernarg_segment_ptr 1
		.amdhsa_user_sgpr_dispatch_id 0
		.amdhsa_user_sgpr_kernarg_preload_length 0
		.amdhsa_user_sgpr_kernarg_preload_offset 0
		.amdhsa_user_sgpr_private_segment_size 0
		.amdhsa_wavefront_size32 1
		.amdhsa_uses_dynamic_stack 0
		.amdhsa_enable_private_segment 1
		.amdhsa_system_sgpr_workgroup_id_x 1
		.amdhsa_system_sgpr_workgroup_id_y 0
		.amdhsa_system_sgpr_workgroup_id_z 1
		.amdhsa_system_sgpr_workgroup_info 0
		.amdhsa_system_vgpr_workitem_id 1
		.amdhsa_next_free_vgpr 93
		.amdhsa_next_free_sgpr 105
		.amdhsa_named_barrier_count 0
		.amdhsa_reserve_vcc 1
		.amdhsa_float_round_mode_32 0
		.amdhsa_float_round_mode_16_64 0
		.amdhsa_float_denorm_mode_32 3
		.amdhsa_float_denorm_mode_16_64 3
		.amdhsa_fp16_overflow 0
		.amdhsa_memory_ordered 1
		.amdhsa_forward_progress 1
		.amdhsa_inst_pref_size 255
		.amdhsa_round_robin_scheduling 0
		.amdhsa_exception_fp_ieee_invalid_op 0
		.amdhsa_exception_fp_denorm_src 0
		.amdhsa_exception_fp_ieee_div_zero 0
		.amdhsa_exception_fp_ieee_overflow 0
		.amdhsa_exception_fp_ieee_underflow 0
		.amdhsa_exception_fp_ieee_inexact 0
		.amdhsa_exception_int_div_zero 0
	.end_amdhsa_kernel
	.section	.text._ZL19rocblas_trsv_deviceILi64ELi16ELb1ELb0ELb0ELb1E19rocblas_complex_numIfEPKS1_S3_PS1_EviT7_lllT6_T8_lllPii,"axG",@progbits,_ZL19rocblas_trsv_deviceILi64ELi16ELb1ELb0ELb0ELb1E19rocblas_complex_numIfEPKS1_S3_PS1_EviT7_lllT6_T8_lllPii,comdat
.Lfunc_end55:
	.size	_ZL19rocblas_trsv_deviceILi64ELi16ELb1ELb0ELb0ELb1E19rocblas_complex_numIfEPKS1_S3_PS1_EviT7_lllT6_T8_lllPii, .Lfunc_end55-_ZL19rocblas_trsv_deviceILi64ELi16ELb1ELb0ELb0ELb1E19rocblas_complex_numIfEPKS1_S3_PS1_EviT7_lllT6_T8_lllPii
                                        ; -- End function
	.set _ZL19rocblas_trsv_deviceILi64ELi16ELb1ELb0ELb0ELb1E19rocblas_complex_numIfEPKS1_S3_PS1_EviT7_lllT6_T8_lllPii.num_vgpr, 93
	.set _ZL19rocblas_trsv_deviceILi64ELi16ELb1ELb0ELb0ELb1E19rocblas_complex_numIfEPKS1_S3_PS1_EviT7_lllT6_T8_lllPii.num_agpr, 0
	.set _ZL19rocblas_trsv_deviceILi64ELi16ELb1ELb0ELb0ELb1E19rocblas_complex_numIfEPKS1_S3_PS1_EviT7_lllT6_T8_lllPii.numbered_sgpr, 105
	.set _ZL19rocblas_trsv_deviceILi64ELi16ELb1ELb0ELb0ELb1E19rocblas_complex_numIfEPKS1_S3_PS1_EviT7_lllT6_T8_lllPii.num_named_barrier, 0
	.set _ZL19rocblas_trsv_deviceILi64ELi16ELb1ELb0ELb0ELb1E19rocblas_complex_numIfEPKS1_S3_PS1_EviT7_lllT6_T8_lllPii.private_seg_size, 48
	.set _ZL19rocblas_trsv_deviceILi64ELi16ELb1ELb0ELb0ELb1E19rocblas_complex_numIfEPKS1_S3_PS1_EviT7_lllT6_T8_lllPii.uses_vcc, 1
	.set _ZL19rocblas_trsv_deviceILi64ELi16ELb1ELb0ELb0ELb1E19rocblas_complex_numIfEPKS1_S3_PS1_EviT7_lllT6_T8_lllPii.uses_flat_scratch, 0
	.set _ZL19rocblas_trsv_deviceILi64ELi16ELb1ELb0ELb0ELb1E19rocblas_complex_numIfEPKS1_S3_PS1_EviT7_lllT6_T8_lllPii.has_dyn_sized_stack, 0
	.set _ZL19rocblas_trsv_deviceILi64ELi16ELb1ELb0ELb0ELb1E19rocblas_complex_numIfEPKS1_S3_PS1_EviT7_lllT6_T8_lllPii.has_recursion, 0
	.set _ZL19rocblas_trsv_deviceILi64ELi16ELb1ELb0ELb0ELb1E19rocblas_complex_numIfEPKS1_S3_PS1_EviT7_lllT6_T8_lllPii.has_indirect_call, 0
	.section	.AMDGPU.csdata,"",@progbits
; Kernel info:
; codeLenInByte = 34848
; TotalNumSgprs: 107
; NumVgprs: 93
; ScratchSize: 48
; MemoryBound: 0
; FloatMode: 240
; IeeeMode: 1
; LDSByteSize: 41480 bytes/workgroup (compile time only)
; SGPRBlocks: 0
; VGPRBlocks: 5
; NumSGPRsForWavesPerEU: 107
; NumVGPRsForWavesPerEU: 93
; NamedBarCnt: 0
; Occupancy: 10
; WaveLimiterHint : 0
; COMPUTE_PGM_RSRC2:SCRATCH_EN: 1
; COMPUTE_PGM_RSRC2:USER_SGPR: 2
; COMPUTE_PGM_RSRC2:TRAP_HANDLER: 0
; COMPUTE_PGM_RSRC2:TGID_X_EN: 1
; COMPUTE_PGM_RSRC2:TGID_Y_EN: 0
; COMPUTE_PGM_RSRC2:TGID_Z_EN: 1
; COMPUTE_PGM_RSRC2:TIDIG_COMP_CNT: 1
	.section	.text._ZL19rocblas_trsv_deviceILi64ELi16ELb1ELb1ELb0ELb1E19rocblas_complex_numIfEPKS1_S3_PS1_EviT7_lllT6_T8_lllPii,"axG",@progbits,_ZL19rocblas_trsv_deviceILi64ELi16ELb1ELb1ELb0ELb1E19rocblas_complex_numIfEPKS1_S3_PS1_EviT7_lllT6_T8_lllPii,comdat
	.globl	_ZL19rocblas_trsv_deviceILi64ELi16ELb1ELb1ELb0ELb1E19rocblas_complex_numIfEPKS1_S3_PS1_EviT7_lllT6_T8_lllPii ; -- Begin function _ZL19rocblas_trsv_deviceILi64ELi16ELb1ELb1ELb0ELb1E19rocblas_complex_numIfEPKS1_S3_PS1_EviT7_lllT6_T8_lllPii
	.p2align	8
	.type	_ZL19rocblas_trsv_deviceILi64ELi16ELb1ELb1ELb0ELb1E19rocblas_complex_numIfEPKS1_S3_PS1_EviT7_lllT6_T8_lllPii,@function
_ZL19rocblas_trsv_deviceILi64ELi16ELb1ELb1ELb0ELb1E19rocblas_complex_numIfEPKS1_S3_PS1_EviT7_lllT6_T8_lllPii: ; @_ZL19rocblas_trsv_deviceILi64ELi16ELb1ELb1ELb0ELb1E19rocblas_complex_numIfEPKS1_S3_PS1_EviT7_lllT6_T8_lllPii
; %bb.0:
	s_load_b32 s88, s[0:1], 0x58
	s_bfe_u32 s2, ttmp6, 0x40014
	s_lshr_b32 s3, ttmp7, 16
	s_add_co_i32 s2, s2, 1
	s_bfe_u32 s5, ttmp6, 0x40008
	s_mul_i32 s4, s3, s2
	s_getreg_b32 s2, hwreg(HW_REG_IB_STS2, 6, 4)
	s_add_co_i32 s5, s5, s4
	s_cmp_eq_u32 s2, 0
	s_mov_b32 s81, 0
	s_cselect_b32 s80, s3, s5
	s_wait_kmcnt 0x0
	s_cmp_ge_u32 s80, s88
	s_cbranch_scc1 .LBB56_1112
; %bb.1:
	s_clause 0x3
	s_load_b512 s[60:75], s[0:1], 0x8
	s_load_b32 s3, s[0:1], 0x6c
	s_load_b32 s90, s[0:1], 0x60
	;; [unrolled: 1-line block ×3, first 2 shown]
	s_bfe_u32 s5, ttmp6, 0x4000c
	s_and_b32 s4, ttmp6, 15
	s_add_co_i32 s5, s5, 1
	s_load_b128 s[76:79], s[0:1], 0x48
	s_mul_i32 s5, ttmp9, s5
	v_and_b32_e32 v4, 0x3ff, v0
	s_add_co_i32 s4, s4, s5
	v_bfe_u32 v2, v0, 10, 10
	v_mov_b32_e32 v7, 0
                                        ; implicit-def: $vgpr105 : SGPR spill to VGPR lane
	v_and_b32_e32 v20, 7, v0
	v_lshlrev_b32_e32 v1, 6, v4
	s_delay_alu instid0(VALU_DEP_4) | instskip(NEXT) | instid1(VALU_DEP_4)
	v_dual_add_nc_u32 v26, 48, v2 :: v_dual_bitop2_b32 v21, 15, v0 bitop3:0x40
	v_dual_mov_b32 v9, v7 :: v_dual_add_nc_u32 v6, 16, v2
	v_lshl_add_u32 v36, v2, 6, v4
	s_wait_kmcnt 0x0
	s_lshl_b64 s[12:13], s[62:63], 3
	s_lshl_b64 s[14:15], s[72:73], 3
	s_cmp_eq_u32 s2, 0
	v_lshl_add_u32 v10, v6, 6, v4
	s_cselect_b32 s89, ttmp9, s4
	s_add_co_i32 s1, s82, -1
	s_ashr_i32 s83, s82, 31
	s_ashr_i32 s2, s1, 31
	s_and_b32 s0, s3, 0xffff
	s_lshr_b32 s3, s83, 26
	s_lshr_b32 s2, s2, 26
	s_add_co_i32 s3, s82, s3
	s_add_co_i32 s90, s90, -1
	s_add_co_i32 s1, s1, s2
	s_and_not1_b32 s3, s3, 63
	s_sub_co_i32 s9, s90, s89
	s_ashr_i32 s1, s1, 6
	s_sub_co_i32 s18, s82, s3
	s_cmp_eq_u32 s1, s9
	v_mad_u32_u24 v8, v2, s0, v4
	s_cselect_b32 s1, -1, 0
	s_cmp_lg_u32 s18, 0
	v_cmp_gt_u32_e64 s3, 2, v4
	s_cselect_b32 s2, -1, 0
	v_add_nc_u32_e32 v22, 32, v2
	s_and_b32 s19, s2, s1
	v_and_b32_e32 v14, 1, v0
	s_xor_b32 s91, s19, -1
	s_cmp_lg_u32 s89, 0
	v_cmp_ne_u32_e64 s7, 0, v20
	s_cselect_b32 s0, -1, 0
	s_lshl_b32 s16, s9, 6
	s_delay_alu instid0(SALU_CYCLE_1)
	v_dual_add_nc_u32 v3, v2, v1 :: v_dual_add_nc_u32 v16, s16, v4
	s_cmp_lt_i32 s89, 5
	v_add_nc_u32_e32 v18, s16, v2
	s_cselect_b32 vcc_lo, -1, 0
	s_delay_alu instid0(VALU_DEP_2) | instid1(SALU_CYCLE_1)
	v_dual_add_nc_u32 v5, v6, v1 :: v_dual_cndmask_b32 v3, v36, v3, vcc_lo
	v_writelane_b32 v105, s0, 0
	s_add_nc_u64 s[0:1], s[64:65], 1
	s_ashr_i32 s17, s16, 31
	v_cmp_eq_u32_e64 s2, 1, v14
	s_or_b32 vcc_lo, vcc_lo, s19
	s_mul_u64 s[10:11], s[0:1], s[16:17]
	v_dual_cndmask_b32 v19, v10, v5, vcc_lo :: v_dual_bitop2_b32 v15, 3, v0 bitop3:0x40
	v_cmp_gt_u32_e64 s0, 4, v36
	s_xor_b32 s4, s2, -1
	v_cmp_eq_u32_e64 s1, 0, v2
	v_cmp_ne_u32_e64 s8, 0, v21
	v_cmp_eq_u32_e64 s5, 1, v15
	s_and_b32 s94, s4, s0
	s_and_b32 s95, s2, s0
	v_cmp_gt_u32_e64 s2, 16, v36
	v_cmp_eq_u32_e64 s4, 0, v15
	s_and_b32 s96, s1, s3
	v_cmp_ne_u32_e64 s3, 0, v15
	v_cmp_lt_u32_e64 s6, 1, v15
	s_and_b32 s99, s5, s2
	s_and_b32 s97, s4, s2
	v_cmp_eq_u32_e64 s4, 2, v15
	s_and_b32 s98, s3, s2
	v_cmp_gt_u32_e64 s3, 64, v36
	s_and_b32 s100, s6, s2
	v_cmp_gt_u32_e64 s5, 4, v4
	s_and_b32 s101, s4, s2
	v_cmp_eq_u32_e64 s4, 3, v15
	v_cmp_eq_u32_e64 s6, 0, v20
	s_and_b32 vcc_hi, s7, s3
	s_and_b32 s103, s1, s5
	v_cmp_lt_u32_e64 s5, 1, v20
	s_and_b32 s102, s4, s2
	v_cmp_eq_u32_e64 s4, 1, v20
	s_and_b32 s104, s6, s3
	v_cmp_lt_u32_e64 s6, 2, v20
	v_cmp_eq_u32_e64 s7, 3, v20
	s_and_b32 s40, s5, s3
	s_and_b32 s39, s4, s3
	v_cmp_eq_u32_e64 s4, 2, v20
	v_cmp_lt_u32_e64 s5, 3, v20
	s_and_b32 s42, s6, s3
	s_and_b32 s43, s7, s3
	v_cmp_eq_u32_e64 s6, 5, v20
	s_and_b32 s41, s4, s3
	v_cmp_eq_u32_e64 s4, 4, v20
	v_cmp_lt_u32_e64 s7, 5, v20
	s_and_b32 s44, s5, s3
	v_cmp_lt_u32_e64 s5, 4, v20
	s_and_b32 s47, s6, s3
	s_and_b32 s45, s4, s3
	v_cmp_eq_u32_e64 s4, 6, v20
	s_and_b32 s48, s7, s3
	v_cmp_gt_u32_e64 s6, 8, v4
	v_cmp_eq_u32_e64 s7, 0, v21
	s_and_b32 s46, s5, s3
	s_and_b32 s49, s4, s3
	v_cmp_gt_u32_e64 s4, 0x100, v36
	v_cmp_eq_u32_e64 s5, 7, v20
	s_and_b32 s51, s1, s6
	v_add_nc_u64_e32 v[12:13], s[16:17], v[8:9]
	v_add_nc_u32_e32 v5, v22, v1
	s_and_b32 s6, s7, s4
	s_and_b32 s50, s5, s3
	v_writelane_b32 v105, s6, 1
	v_cmp_eq_u32_e64 s5, 1, v21
	s_and_b32 s6, s8, s4
	v_cmp_lt_u32_e64 s7, 2, v21
	v_cmp_eq_u32_e64 s8, 3, v21
	v_writelane_b32 v105, s6, 2
	v_cmp_lt_u32_e64 s6, 1, v21
	s_and_b32 s5, s5, s4
	v_lshl_add_u32 v9, v22, 6, v4
	v_add_nc_u32_e32 v1, v26, v1
	v_writelane_b32 v105, s5, 3
	v_cmp_eq_u32_e64 s5, 2, v21
	s_and_b32 s6, s6, s4
	v_lshl_add_u32 v10, v26, 6, v4
	s_xor_b32 s93, vcc_lo, -1
	v_writelane_b32 v105, s6, 4
	s_and_b32 s5, s5, s4
	v_cmp_lt_u32_e64 s6, 3, v21
	v_dual_cndmask_b32 v24, v10, v1, vcc_lo :: v_dual_add_nc_u32 v10, 64, v18
	v_writelane_b32 v105, s5, 5
	s_and_b32 s5, s7, s4
	s_and_b32 s6, s6, s4
	v_cmp_eq_u32_e64 s7, 5, v21
	v_lshrrev_b32_e32 v1, 1, v36
	v_writelane_b32 v105, s5, 6
	s_and_b32 s5, s8, s4
	v_cmp_lt_u32_e64 s8, 5, v21
	v_dual_cndmask_b32 v23, v9, v5, vcc_lo :: v_dual_lshrrev_b32 v25, 2, v36
	v_writelane_b32 v105, s5, 7
	v_cmp_eq_u32_e64 s5, 4, v21
	v_cmp_eq_u32_e32 vcc_lo, 14, v21
	v_mul_u32_u24_e32 v11, 0x1f8, v4
	v_dual_lshrrev_b32 v34, 5, v36 :: v_dual_bitop2_b32 v32, -8, v36 bitop3:0x40
	v_writelane_b32 v105, s6, 8
	v_cmp_lt_u32_e64 s6, 4, v21
	s_and_b32 s5, s5, s4
	s_and_b32 s56, vcc_lo, s4
	v_cmp_gt_u32_e32 vcc_lo, 32, v4
	v_writelane_b32 v105, s5, 9
	s_and_b32 s6, s6, s4
	v_cmp_eq_u32_e64 s5, 6, v21
	v_mul_i32_i24_e32 v17, 0xfffffe08, v4
	v_dual_lshrrev_b32 v27, 10, v0 :: v_dual_lshlrev_b32 v28, 3, v25
	v_writelane_b32 v105, s6, 10
	s_and_b32 s6, s7, s4
	s_and_b32 s5, s5, s4
	v_cmp_lt_u32_e64 s7, 7, v21
	v_lshlrev_b32_e32 v59, 3, v34
	v_writelane_b32 v105, s6, 11
	s_and_b32 s6, s8, s4
	v_cmp_eq_u32_e64 s8, 8, v21
	s_and_b32 s36, s7, s4
	v_cmp_eq_u32_e64 s7, 10, v21
	v_writelane_b32 v105, s6, 12
	v_cmp_lt_u32_e64 s6, 6, v21
	s_and_b32 s37, s8, s4
	v_cmp_lt_u32_e64 s8, 10, v21
	s_and_b32 s25, s7, s4
	v_writelane_b32 v105, s5, 13
	s_and_b32 s30, s6, s4
	v_cmp_lt_u32_e64 s6, 8, v21
	v_cmp_eq_u32_e64 s5, 7, v21
	v_cmp_lt_u32_e64 s7, 12, v21
	s_and_b32 s27, s8, s4
	v_cmp_eq_u32_e64 s8, 13, v21
	s_and_b32 s38, s6, s4
	v_cmp_lt_u32_e64 s6, 9, v21
	s_and_b32 s35, s5, s4
	v_cmp_eq_u32_e64 s5, 9, v21
	s_and_b32 s53, s7, s4
	v_cmp_gt_u32_e64 s7, 16, v4
	s_and_b32 s23, s6, s4
	v_cmp_lt_u32_e64 s6, 11, v21
	s_and_b32 s21, s5, s4
	v_cmp_eq_u32_e64 s5, 11, v21
	s_and_b32 s59, s1, s7
	s_and_b32 s7, s1, vcc_lo
	s_and_b32 s92, s6, s4
	v_cmp_lt_u32_e64 s6, 13, v21
	s_and_b32 s29, s5, s4
	v_cmp_eq_u32_e64 s5, 12, v21
	v_cmp_le_i32_e32 vcc_lo, s18, v2
	s_and_b32 s54, s8, s4
	s_and_b32 s55, s6, s4
	v_cmp_le_i32_e64 s6, s18, v4
	s_and_b32 s52, s5, s4
	v_cmp_eq_u32_e64 s5, 15, v21
	v_writelane_b32 v105, s7, 14
	v_add_nc_u32_e32 v38, 0x50, v18
	s_and_b32 s58, s6, s19
	v_add_lshl_u32 v40, v11, v17, 2
	s_and_b32 s57, s5, s4
	s_xor_b32 s5, s58, -1
	v_dual_lshlrev_b32 v14, 3, v14 :: v_dual_lshlrev_b32 v64, 3, v20
	s_and_b32 s20, s1, s5
	s_cmp_gt_i32 s89, 0
	v_ashrrev_i32_e32 v17, 31, v16
	s_cselect_b32 s22, -1, 0
	s_or_b32 s7, vcc_lo, s6
	v_cmp_le_i32_e32 vcc_lo, s18, v6
	v_lshl_add_u32 v51, v1, 3, 0x8000
	v_add_max_i32_e64 v39, 0x70, v18, v16
	v_dual_ashrrev_i32 v11, 31, v10 :: v_dual_lshlrev_b32 v60, 3, v15
	s_or_b32 s8, vcc_lo, s6
	v_cmp_le_i32_e32 vcc_lo, s18, v22
	v_bitop3_b32 v41, v0, v27, 0x3ff bitop3:0xa8
	v_lshl_or_b32 v61, v1, 9, v14
	v_mul_u32_u24_e32 v62, 0x208, v1
	v_dual_lshlrev_b32 v75, 9, v34 :: v_dual_bitop2_b32 v74, 31, v0 bitop3:0x40
	s_or_b32 s16, vcc_lo, s6
	v_cmp_le_i32_e32 vcc_lo, s18, v26
	v_mul_u64_e32 v[0:1], s[74:75], v[12:13]
	v_mul_u64_e32 v[12:13], s[64:65], v[16:17]
	;; [unrolled: 1-line block ×3, first 2 shown]
	v_dual_lshlrev_b32 v17, 3, v2 :: v_dual_lshlrev_b32 v78, 3, v3
	s_or_b32 s17, vcc_lo, s6
	v_cmp_gt_i32_e32 vcc_lo, s18, v4
	v_dual_mov_b32 v3, v7 :: v_dual_mov_b32 v27, v7
	v_lshlrev_b32_e32 v5, 3, v4
	s_add_nc_u64 s[72:73], s[60:61], s[12:13]
	s_and_b32 s5, s1, vcc_lo
	v_cmp_gt_i32_e32 vcc_lo, s82, v10
	v_writelane_b32 v105, s5, 15
	v_cmp_gt_i32_e64 s5, s82, v16
	v_add_nc_u32_e32 v16, 0x60, v18
	s_add_co_i32 s60, s9, 1
	v_mad_u32_u24 v9, 0x1f8, v4, v5
	s_lshl_b64 s[84:85], s[10:11], 3
	s_and_b32 s6, vcc_lo, s5
	v_cmp_gt_i32_e32 vcc_lo, s82, v38
	v_writelane_b32 v105, s6, 16
	v_mad_i32_i24 v46, 0xfffffe08, v4, v9
	v_cmp_le_i32_e64 s11, s82, v39
	v_cmp_gt_u32_e64 s24, 0xf0, v36
	s_and_b32 s6, vcc_lo, s5
	v_cmp_gt_i32_e32 vcc_lo, s82, v16
	v_writelane_b32 v105, s6, 17
	v_mad_u32_u24 v47, 0x1f8, v4, v46
                                        ; implicit-def: $vgpr104 : SGPR spill to VGPR lane
	v_mul_u32_u24_e32 v53, 0x208, v25
	v_dual_lshrrev_b32 v29, 3, v36 :: v_dual_lshrrev_b32 v30, 4, v36
	s_and_b32 s6, vcc_lo, s5
	s_delay_alu instid0(VALU_DEP_3)
	v_mad_i32_i24 v48, 0xfffffe08, v4, v47
	v_writelane_b32 v105, s6, 18
	v_cmp_le_u32_e64 s6, v4, v2
	v_mbcnt_lo_u32_b32 v18, -1, 0
	v_dual_sub_nc_u32 v31, v53, v28 :: v_dual_lshlrev_b32 v33, 3, v30
	v_mad_u32_u24 v49, 0x1f8, v4, v48
	s_or_b32 s7, s7, s6
	v_mul_u32_u24_e32 v55, 0x208, v29
	v_writelane_b32 v105, s7, 19
	v_cmp_le_u32_e64 s7, v4, v6
	v_mad_i32_i24 v50, 0xfffffe08, v4, v49
	v_mul_u32_u24_e32 v57, 0x208, v30
	v_dual_mov_b32 v28, 0 :: v_dual_add_nc_u32 v63, 0x8000, v28
	s_or_b32 s8, s8, s7
	s_delay_alu instid0(VALU_DEP_3)
	v_mad_u32_u24 v52, 0x1f8, v4, v50
	v_writelane_b32 v105, s8, 20
	v_cmp_le_u32_e64 s8, v4, v22
	v_lshl_or_b32 v69, v29, 9, v64
	v_dual_lshlrev_b32 v80, 3, v23 :: v_dual_lshlrev_b32 v29, 20, v18
	v_mad_i32_i24 v54, 0xfffffe08, v4, v52
	s_or_b32 s9, s16, s8
	v_dual_sub_nc_u32 v35, v55, v32 :: v_dual_sub_nc_u32 v37, v57, v33
	v_writelane_b32 v105, s9, 21
	v_cmp_le_u32_e64 s9, v4, v26
	v_mad_u32_u24 v56, 0x1f8, v4, v54
	v_dual_add_nc_u32 v66, v31, v60 :: v_dual_lshlrev_b32 v67, 3, v21
	v_add_nc_u32_e32 v71, 0x8000, v33
	s_or_b32 s12, s17, s9
	s_delay_alu instid0(VALU_DEP_3)
	v_mad_i32_i24 v58, 0xfffffe08, v4, v56
	v_writelane_b32 v105, s12, 22
	v_or_b32_e32 v83, 0xa000, v17
	v_add3_u32 v85, v5, v40, 0x7800
	v_dual_lshlrev_b32 v86, 3, v74 :: v_dual_bitop2_b32 v40, v6, v4 bitop3:0x54
	v_writelane_b32 v105, s11, 23
	v_mad_u32_u24 v76, 0x1f8, v4, v58
	v_dual_mov_b32 v23, v7 :: v_dual_add_nc_u32 v68, 0x8000, v32
	v_dual_add_nc_u32 v70, v35, v64 :: v_dual_add_nc_u32 v73, v37, v67
	v_writelane_b32 v105, s24, 24
	v_cmp_gt_u32_e64 s24, 0xe0, v36
	v_mad_i32_i24 v77, 0xfffffe08, v4, v76
	v_dual_lshlrev_b32 v79, 3, v19 :: v_dual_lshlrev_b32 v81, 3, v24
	v_or_b32_e32 v37, v22, v4
	s_delay_alu instid0(VALU_DEP_4)
	v_writelane_b32 v105, s24, 25
	v_cmp_gt_u32_e64 s24, 0xd0, v36
	v_mad_u32_u24 v82, 0x1f8, v4, v77
	v_mul_u64_e32 v[20:21], s[64:65], v[22:23]
	v_or_b32_e32 v38, v26, v4
	v_lshl_or_b32 v65, v25, 9, v60
	v_writelane_b32 v105, s24, 26
	v_cmp_gt_u32_e64 s24, 0xc0, v36
	v_add_nc_u32_e32 v84, v82, v17
	v_add_nc_u64_e32 v[16:17], src_flat_scratch_base_lo, v[28:29]
	v_mov_b32_e32 v28, 8
	v_mul_u64_e32 v[24:25], s[64:65], v[26:27]
	v_writelane_b32 v105, s24, 27
	v_cmp_gt_u32_e64 s24, 0xb0, v36
	v_lshl_or_b32 v72, v30, 9, v67
	v_add_nc_u64_e32 v[18:19], src_flat_scratch_base_lo, v[28:29]
	v_mov_b32_e32 v28, 16
	v_mul_u64_e32 v[30:31], s[64:65], v[2:3]
	v_writelane_b32 v105, s24, 28
	v_cmp_gt_u32_e64 s24, 0xa0, v36
	v_cmp_lt_u32_e32 vcc_lo, 0x3ff, v36
	v_add_nc_u64_e32 v[22:23], src_flat_scratch_base_lo, v[28:29]
	v_mov_b32_e32 v28, 24
	v_mov_b64_e32 v[32:33], 0
	v_writelane_b32 v105, s24, 29
	v_cmp_gt_u32_e64 s24, 0x90, v36
	v_mov_b64_e32 v[34:35], 0x3f800000
	v_add_nc_u64_e32 v[26:27], src_flat_scratch_base_lo, v[28:29]
	v_mul_u64_e32 v[28:29], s[64:65], v[6:7]
	v_lshlrev_b32_e32 v6, 3, v4
	v_writelane_b32 v105, s24, 30
	v_cmp_gt_u32_e64 s24, 0x80, v36
	s_add_nc_u64 s[70:71], s[70:71], s[14:15]
	v_add_nc_u32_e32 v87, 0x8000, v59
	v_or_b32_e32 v88, v75, v86
	v_lshl_add_u32 v89, v8, 3, 0xa000
	v_writelane_b32 v105, s24, 31
	v_cmp_gt_u32_e64 s24, 0x70, v36
	v_lshl_add_u32 v90, v36, 3, 0x8000
	v_add_nc_u32_e32 v91, 0x8000, v5
	v_lshl_add_u32 v92, v2, 9, v58
	v_add_nc_u32_e32 v93, v83, v5
	v_writelane_b32 v104, s24, 0
	v_cmp_gt_u32_e64 s24, 0x60, v36
	v_or_b32_e32 v94, 0x4100, v86
	v_subrev_nc_u32_e32 v95, 63, v4
	v_cmp_eq_u32_e64 s11, 0, v41
	v_cmp_gt_u32_e64 s12, 2, v36
	v_writelane_b32 v104, s24, 1
	v_cmp_gt_u32_e64 s24, 0x50, v36
	v_cmp_gt_u32_e64 s13, 12, v36
	;; [unrolled: 1-line block ×5, first 2 shown]
	v_writelane_b32 v104, s24, 2
	v_cmp_gt_u32_e64 s24, 64, v41
	v_cmp_gt_u32_e64 s17, 40, v36
	;; [unrolled: 1-line block ×5, first 2 shown]
	v_writelane_b32 v104, s24, 3
	v_cmp_gt_u32_e64 s24, 64, v40
	v_cmp_eq_u32_e64 s33, 0, v8
	v_cmp_gt_u32_e64 s34, 64, v8
	s_xor_b32 s10, vcc_lo, -1
	v_writelane_b32 v104, s24, 4
	v_cmp_gt_u32_e64 s24, 64, v37
	s_delay_alu instid0(VALU_DEP_1) | instskip(SKIP_1) | instid1(VALU_DEP_1)
	v_writelane_b32 v104, s24, 5
	v_cmp_gt_u32_e64 s24, 64, v38
	v_writelane_b32 v104, s24, 6
	v_cmp_gt_u32_e64 s24, 0x3e0, v36
	s_delay_alu instid0(VALU_DEP_1) | instskip(SKIP_1) | instid1(VALU_DEP_1)
	v_writelane_b32 v104, s24, 7
	v_cmp_gt_u32_e64 s24, 0x3c0, v36
	;; [unrolled: 5-line block ×12, first 2 shown]
	v_writelane_b32 v104, s24, 28
	v_cmp_gt_u32_e64 s24, 0x120, v36
	s_delay_alu instid0(VALU_DEP_1)
	v_writelane_b32 v104, s24, 29
	s_branch .LBB56_3
.LBB56_2:                               ;   in Loop: Header=BB56_3 Depth=1
	s_wait_xcnt 0x0
	s_or_b32 exec_lo, exec_lo, s24
	s_add_co_i32 s80, s80, 0x10000
	global_wb scope:SCOPE_DEV
	s_wait_storecnt 0x0
	global_inv scope:SCOPE_DEV
	s_cmp_lt_u32 s80, s88
	s_cbranch_scc0 .LBB56_1112
.LBB56_3:                               ; =>This Loop Header: Depth=1
                                        ;     Child Loop BB56_539 Depth 2
                                        ;     Child Loop BB56_987 Depth 2
                                        ;       Child Loop BB56_989 Depth 3
                                        ;     Child Loop BB56_1018 Depth 2
	global_load_b64 v[38:39], v7, s[68:69]
	s_mul_u64 s[62:63], s[66:67], s[80:81]
	v_readlane_b32 s24, v105, 0
	s_lshl_b64 s[62:63], s[62:63], 3
	s_delay_alu instid0(SALU_CYCLE_1) | instskip(NEXT) | instid1(SALU_CYCLE_1)
	s_add_nc_u64 s[62:63], s[72:73], s[62:63]
	v_lshl_add_u64 v[36:37], v[12:13], 3, s[62:63]
	s_and_not1_b32 vcc_lo, exec_lo, s24
	s_cbranch_vccnz .LBB56_15
; %bb.4:                                ;   in Loop: Header=BB56_3 Depth=1
	s_delay_alu instid0(VALU_DEP_1)
	v_lshl_add_u64 v[40:41], v[10:11], 3, v[36:37]
	v_dual_mov_b32 v42, 0 :: v_dual_mov_b32 v44, 0
	v_mov_b32_e32 v45, 0
	v_readlane_b32 s26, v105, 16
	s_wait_loadcnt 0x0
	s_barrier_signal -1
	s_barrier_wait -1
	s_wait_xcnt 0x0
	s_and_saveexec_b32 s24, s26
	s_cbranch_execz .LBB56_6
; %bb.5:                                ;   in Loop: Header=BB56_3 Depth=1
	global_load_b64 v[44:45], v[40:41], off
.LBB56_6:                               ;   in Loop: Header=BB56_3 Depth=1
	s_wait_xcnt 0x0
	s_or_b32 exec_lo, exec_lo, s24
	v_mov_b32_e32 v43, 0
	v_readlane_b32 s26, v105, 17
	s_wait_loadcnt 0x0
	scratch_store_b64 off, v[44:45], off
	s_wait_storecnt 0x0
	s_barrier_signal -1
	s_barrier_wait -1
	s_wait_xcnt 0x0
	s_and_saveexec_b32 s24, s26
	s_cbranch_execz .LBB56_8
; %bb.7:                                ;   in Loop: Header=BB56_3 Depth=1
	global_load_b64 v[42:43], v[40:41], off offset:128
.LBB56_8:                               ;   in Loop: Header=BB56_3 Depth=1
	s_wait_xcnt 0x0
	s_or_b32 exec_lo, exec_lo, s24
	s_wait_loadcnt 0x0
	scratch_store_b64 off, v[42:43], off offset:8
	s_wait_xcnt 0x0
	v_dual_mov_b32 v42, 0 :: v_dual_mov_b32 v43, 0
	v_readlane_b32 s26, v105, 18
	s_wait_storecnt 0x0
	s_barrier_signal -1
	s_barrier_wait -1
	s_and_saveexec_b32 s24, s26
	s_cbranch_execz .LBB56_10
; %bb.9:                                ;   in Loop: Header=BB56_3 Depth=1
	global_load_b64 v[42:43], v[40:41], off offset:256
.LBB56_10:                              ;   in Loop: Header=BB56_3 Depth=1
	s_wait_xcnt 0x0
	s_or_b32 exec_lo, exec_lo, s24
	v_readlane_b32 s26, v105, 23
	s_wait_loadcnt 0x0
	scratch_store_b64 off, v[42:43], off offset:16
	s_wait_storecnt 0x0
	s_barrier_signal -1
	s_barrier_wait -1
	s_wait_xcnt 0x0
	s_and_saveexec_b32 s24, s26
	s_delay_alu instid0(SALU_CYCLE_1)
	s_xor_b32 s24, exec_lo, s24
	s_cbranch_execz .LBB56_12
; %bb.11:                               ;   in Loop: Header=BB56_3 Depth=1
	scratch_store_b64 off, v[32:33], off offset:24
                                        ; implicit-def: $vgpr40_vgpr41
.LBB56_12:                              ;   in Loop: Header=BB56_3 Depth=1
	s_wait_xcnt 0x0
	s_and_not1_saveexec_b32 s24, s24
	s_cbranch_execz .LBB56_14
; %bb.13:                               ;   in Loop: Header=BB56_3 Depth=1
	global_load_b64 v[40:41], v[40:41], off offset:384
	s_wait_loadcnt 0x0
	scratch_store_b64 off, v[40:41], off offset:24
.LBB56_14:                              ;   in Loop: Header=BB56_3 Depth=1
	s_wait_xcnt 0x0
	s_or_b32 exec_lo, exec_lo, s24
.LBB56_15:                              ;   in Loop: Header=BB56_3 Depth=1
	s_add_nc_u64 s[62:63], s[62:63], s[84:85]
	s_and_not1_b32 vcc_lo, exec_lo, s91
	v_add_nc_u64_e32 v[40:41], s[62:63], v[6:7]
	s_mov_b32 s24, -1
	s_cbranch_vccnz .LBB56_26
; %bb.16:                               ;   in Loop: Header=BB56_3 Depth=1
	s_wait_xcnt 0x0
	s_and_saveexec_b32 s24, s6
	s_delay_alu instid0(SALU_CYCLE_1)
	s_xor_b32 s24, exec_lo, s24
	s_cbranch_execnz .LBB56_1040
; %bb.17:                               ;   in Loop: Header=BB56_3 Depth=1
	s_and_not1_saveexec_b32 s24, s24
	s_cbranch_execnz .LBB56_1043
.LBB56_18:                              ;   in Loop: Header=BB56_3 Depth=1
	s_or_b32 exec_lo, exec_lo, s24
	s_and_saveexec_b32 s24, s7
	s_delay_alu instid0(SALU_CYCLE_1)
	s_xor_b32 s24, exec_lo, s24
	s_cbranch_execnz .LBB56_1044
.LBB56_19:                              ;   in Loop: Header=BB56_3 Depth=1
	s_and_not1_saveexec_b32 s24, s24
	s_cbranch_execnz .LBB56_1047
.LBB56_20:                              ;   in Loop: Header=BB56_3 Depth=1
	s_or_b32 exec_lo, exec_lo, s24
	s_and_saveexec_b32 s24, s8
	s_delay_alu instid0(SALU_CYCLE_1)
	s_xor_b32 s24, exec_lo, s24
	s_cbranch_execnz .LBB56_1048
.LBB56_21:                              ;   in Loop: Header=BB56_3 Depth=1
	s_and_not1_saveexec_b32 s24, s24
	s_cbranch_execnz .LBB56_1051
.LBB56_22:                              ;   in Loop: Header=BB56_3 Depth=1
	s_or_b32 exec_lo, exec_lo, s24
	s_and_saveexec_b32 s24, s9
	s_delay_alu instid0(SALU_CYCLE_1)
	s_xor_b32 s24, exec_lo, s24
	s_cbranch_execnz .LBB56_1052
.LBB56_23:                              ;   in Loop: Header=BB56_3 Depth=1
	s_and_not1_saveexec_b32 s24, s24
	s_cbranch_execz .LBB56_25
.LBB56_24:                              ;   in Loop: Header=BB56_3 Depth=1
	v_lshl_add_u64 v[42:43], v[24:25], 3, v[40:41]
	global_load_b64 v[42:43], v[42:43], off
	s_wait_loadcnt 0x0
	v_pk_add_f32 v[42:43], v[42:43], 0 neg_lo:[1,1] neg_hi:[1,1]
	ds_store_b64 v81, v[42:43]
.LBB56_25:                              ;   in Loop: Header=BB56_3 Depth=1
	s_or_b32 exec_lo, exec_lo, s24
	s_mov_b32 s24, 0
.LBB56_26:                              ;   in Loop: Header=BB56_3 Depth=1
	s_delay_alu instid0(SALU_CYCLE_1)
	s_and_b32 vcc_lo, exec_lo, s24
	s_cbranch_vccz .LBB56_52
; %bb.27:                               ;   in Loop: Header=BB56_3 Depth=1
	v_readlane_b32 s26, v105, 19
	s_wait_xcnt 0x0
	s_and_saveexec_b32 s24, s26
	s_delay_alu instid0(SALU_CYCLE_1)
	s_xor_b32 s24, exec_lo, s24
	s_cbranch_execz .LBB56_31
; %bb.28:                               ;   in Loop: Header=BB56_3 Depth=1
	v_readlane_b32 s26, v104, 3
	s_and_saveexec_b32 s61, s26
; %bb.29:                               ;   in Loop: Header=BB56_3 Depth=1
	ds_store_b64 v84, v[32:33]
; %bb.30:                               ;   in Loop: Header=BB56_3 Depth=1
	s_or_b32 exec_lo, exec_lo, s61
.LBB56_31:                              ;   in Loop: Header=BB56_3 Depth=1
	s_and_not1_saveexec_b32 s24, s24
	s_cbranch_execz .LBB56_33
; %bb.32:                               ;   in Loop: Header=BB56_3 Depth=1
	v_lshl_add_u64 v[42:43], v[30:31], 3, v[40:41]
	global_load_b64 v[42:43], v[42:43], off
	s_wait_loadcnt 0x0
	v_pk_add_f32 v[42:43], v[42:43], 0 neg_lo:[1,1] neg_hi:[1,1]
	ds_store_b64 v84, v[42:43]
.LBB56_33:                              ;   in Loop: Header=BB56_3 Depth=1
	s_or_b32 exec_lo, exec_lo, s24
	v_readlane_b32 s26, v105, 20
	s_and_saveexec_b32 s24, s26
	s_delay_alu instid0(SALU_CYCLE_1)
	s_xor_b32 s24, exec_lo, s24
	s_cbranch_execz .LBB56_37
; %bb.34:                               ;   in Loop: Header=BB56_3 Depth=1
	v_readlane_b32 s26, v104, 4
	s_and_saveexec_b32 s61, s26
; %bb.35:                               ;   in Loop: Header=BB56_3 Depth=1
	ds_store_b64 v79, v[32:33]
; %bb.36:                               ;   in Loop: Header=BB56_3 Depth=1
	s_or_b32 exec_lo, exec_lo, s61
.LBB56_37:                              ;   in Loop: Header=BB56_3 Depth=1
	s_and_not1_saveexec_b32 s24, s24
	s_cbranch_execz .LBB56_39
; %bb.38:                               ;   in Loop: Header=BB56_3 Depth=1
	v_lshl_add_u64 v[42:43], v[28:29], 3, v[40:41]
	global_load_b64 v[42:43], v[42:43], off
	s_wait_loadcnt 0x0
	v_pk_add_f32 v[42:43], v[42:43], 0 neg_lo:[1,1] neg_hi:[1,1]
	ds_store_b64 v79, v[42:43]
.LBB56_39:                              ;   in Loop: Header=BB56_3 Depth=1
	s_or_b32 exec_lo, exec_lo, s24
	v_readlane_b32 s26, v105, 21
	;; [unrolled: 23-line block ×3, first 2 shown]
	s_and_saveexec_b32 s24, s26
	s_delay_alu instid0(SALU_CYCLE_1)
	s_xor_b32 s24, exec_lo, s24
	s_cbranch_execz .LBB56_49
; %bb.46:                               ;   in Loop: Header=BB56_3 Depth=1
	v_readlane_b32 s26, v104, 6
	s_and_saveexec_b32 s61, s26
; %bb.47:                               ;   in Loop: Header=BB56_3 Depth=1
	ds_store_b64 v81, v[32:33]
; %bb.48:                               ;   in Loop: Header=BB56_3 Depth=1
	s_or_b32 exec_lo, exec_lo, s61
                                        ; implicit-def: $vgpr40_vgpr41
.LBB56_49:                              ;   in Loop: Header=BB56_3 Depth=1
	s_and_not1_saveexec_b32 s24, s24
	s_cbranch_execz .LBB56_51
; %bb.50:                               ;   in Loop: Header=BB56_3 Depth=1
	v_lshl_add_u64 v[40:41], v[24:25], 3, v[40:41]
	global_load_b64 v[40:41], v[40:41], off
	s_wait_loadcnt 0x0
	v_pk_add_f32 v[40:41], v[40:41], 0 neg_lo:[1,1] neg_hi:[1,1]
	ds_store_b64 v81, v[40:41]
.LBB56_51:                              ;   in Loop: Header=BB56_3 Depth=1
	s_or_b32 exec_lo, exec_lo, s24
.LBB56_52:                              ;   in Loop: Header=BB56_3 Depth=1
	s_delay_alu instid0(SALU_CYCLE_1)
	s_and_not1_b32 vcc_lo, exec_lo, s93
	s_wait_storecnt 0x0
	s_wait_loadcnt_dscnt 0x0
	s_barrier_signal -1
	s_barrier_wait -1
	s_cbranch_vccnz .LBB56_982
; %bb.53:                               ;   in Loop: Header=BB56_3 Depth=1
	s_and_saveexec_b32 s24, s11
	s_cbranch_execz .LBB56_55
; %bb.54:                               ;   in Loop: Header=BB56_3 Depth=1
	ds_load_b64 v[40:41], v7 offset:8
	ds_store_b64 v7, v[34:35] offset:520
	s_wait_dscnt 0x1
	ds_store_2addr_stride64_b64 v7, v[34:35], v[40:41] offset1:1
.LBB56_55:                              ;   in Loop: Header=BB56_3 Depth=1
	s_or_b32 exec_lo, exec_lo, s24
	v_mov_b64_e32 v[40:41], 0
	s_wait_dscnt 0x0
	s_barrier_signal -1
	s_barrier_wait -1
	s_and_saveexec_b32 s61, s0
	s_cbranch_execz .LBB56_59
; %bb.56:                               ;   in Loop: Header=BB56_3 Depth=1
	ds_load_b64 v[40:41], v61 offset:16
	ds_load_b64 v[42:43], v62
	s_wait_dscnt 0x0
	v_pk_mul_f32 v[44:45], v[42:43], v[40:41] op_sel:[1,1] op_sel_hi:[0,1]
	s_delay_alu instid0(VALU_DEP_1) | instskip(SKIP_1) | instid1(VALU_DEP_2)
	v_pk_fma_f32 v[96:97], v[42:43], v[40:41], v[44:45] op_sel_hi:[1,0,1]
	v_pk_fma_f32 v[40:41], v[42:43], v[40:41], v[44:45] neg_lo:[0,0,1] neg_hi:[0,0,1]
	v_mov_b32_e32 v41, v97
	s_delay_alu instid0(VALU_DEP_1)
	v_pk_add_f32 v[40:41], v[40:41], 0 op_sel_hi:[1,0]
	s_and_saveexec_b32 s24, s12
	s_cbranch_execz .LBB56_58
; %bb.57:                               ;   in Loop: Header=BB56_3 Depth=1
	ds_load_b64 v[42:43], v5 offset:528
	ds_load_b64 v[44:45], v7 offset:8
	s_wait_dscnt 0x0
	v_pk_mul_f32 v[96:97], v[44:45], v[42:43] op_sel:[1,1] op_sel_hi:[0,1]
	s_delay_alu instid0(VALU_DEP_1) | instskip(SKIP_1) | instid1(VALU_DEP_2)
	v_pk_fma_f32 v[98:99], v[44:45], v[42:43], v[96:97] op_sel_hi:[1,0,1]
	v_pk_fma_f32 v[42:43], v[44:45], v[42:43], v[96:97] neg_lo:[0,0,1] neg_hi:[0,0,1]
	v_mov_b32_e32 v43, v99
	s_delay_alu instid0(VALU_DEP_1)
	v_pk_add_f32 v[40:41], v[40:41], v[42:43]
.LBB56_58:                              ;   in Loop: Header=BB56_3 Depth=1
	s_or_b32 exec_lo, exec_lo, s24
	s_delay_alu instid0(VALU_DEP_1)
	v_pk_add_f32 v[40:41], v[40:41], 0 neg_lo:[1,1] neg_hi:[1,1]
.LBB56_59:                              ;   in Loop: Header=BB56_3 Depth=1
	s_or_b32 exec_lo, exec_lo, s61
	s_and_saveexec_b32 s24, s94
; %bb.60:                               ;   in Loop: Header=BB56_3 Depth=1
	ds_store_b64 v51, v[40:41]
; %bb.61:                               ;   in Loop: Header=BB56_3 Depth=1
	s_or_b32 exec_lo, exec_lo, s24
	s_wait_dscnt 0x0
	s_barrier_signal -1
	s_barrier_wait -1
	s_and_saveexec_b32 s24, s95
	s_cbranch_execz .LBB56_63
; %bb.62:                               ;   in Loop: Header=BB56_3 Depth=1
	ds_load_b64 v[42:43], v7 offset:1048
	ds_load_b64 v[44:45], v51
	s_wait_dscnt 0x0
	v_pk_mul_f32 v[96:97], v[44:45], v[42:43] op_sel:[1,1] op_sel_hi:[0,1]
	s_delay_alu instid0(VALU_DEP_1) | instskip(SKIP_1) | instid1(VALU_DEP_2)
	v_pk_fma_f32 v[98:99], v[44:45], v[42:43], v[96:97] op_sel_hi:[1,0,1]
	v_pk_fma_f32 v[42:43], v[44:45], v[42:43], v[96:97] neg_lo:[0,0,1] neg_hi:[0,0,1]
	v_mov_b32_e32 v43, v99
	s_delay_alu instid0(VALU_DEP_1)
	v_pk_add_f32 v[40:41], v[40:41], v[42:43]
.LBB56_63:                              ;   in Loop: Header=BB56_3 Depth=1
	s_or_b32 exec_lo, exec_lo, s24
	s_barrier_signal -1
	s_barrier_wait -1
	s_and_saveexec_b32 s24, s95
; %bb.64:                               ;   in Loop: Header=BB56_3 Depth=1
	ds_store_b64 v51, v[40:41]
; %bb.65:                               ;   in Loop: Header=BB56_3 Depth=1
	s_or_b32 exec_lo, exec_lo, s24
	s_wait_dscnt 0x0
	s_barrier_signal -1
	s_barrier_wait -1
	s_barrier_signal -1
	s_barrier_wait -1
	s_and_saveexec_b32 s24, s0
; %bb.66:                               ;   in Loop: Header=BB56_3 Depth=1
	v_pk_add_f32 v[40:41], v[40:41], 0 neg_lo:[1,1] neg_hi:[1,1]
	ds_store_b64 v61, v[40:41] offset:16
; %bb.67:                               ;   in Loop: Header=BB56_3 Depth=1
	s_or_b32 exec_lo, exec_lo, s24
	s_wait_dscnt 0x0
	s_barrier_signal -1
	s_barrier_wait -1
	s_barrier_signal -1
	s_barrier_wait -1
	s_and_saveexec_b32 s24, s96
	s_cbranch_execz .LBB56_69
; %bb.68:                               ;   in Loop: Header=BB56_3 Depth=1
	ds_load_b64 v[40:41], v9 offset:16
	s_wait_dscnt 0x0
	ds_store_b64 v5, v[40:41] offset:1024
	ds_load_b64 v[40:41], v9 offset:24
	s_wait_dscnt 0x0
	ds_store_b64 v5, v[40:41] offset:1536
.LBB56_69:                              ;   in Loop: Header=BB56_3 Depth=1
	s_or_b32 exec_lo, exec_lo, s24
	s_wait_dscnt 0x0
	s_barrier_signal -1
	s_barrier_wait -1
	s_and_saveexec_b32 s24, s11
	s_cbranch_execz .LBB56_71
; %bb.70:                               ;   in Loop: Header=BB56_3 Depth=1
	ds_load_b64 v[40:41], v7 offset:1048
	ds_store_b64 v7, v[34:35] offset:1560
	s_wait_dscnt 0x1
	ds_store_2addr_b64 v7, v[34:35], v[40:41] offset0:130 offset1:194
.LBB56_71:                              ;   in Loop: Header=BB56_3 Depth=1
	s_or_b32 exec_lo, exec_lo, s24
	v_mov_b64_e32 v[40:41], 0
	s_wait_dscnt 0x0
	s_barrier_signal -1
	s_barrier_wait -1
	s_and_saveexec_b32 s62, s2
	s_cbranch_execz .LBB56_77
; %bb.72:                               ;   in Loop: Header=BB56_3 Depth=1
	ds_load_b64 v[40:41], v65 offset:32
	ds_load_b64 v[42:43], v53
	s_wait_dscnt 0x0
	v_dual_mul_f32 v3, v43, v41 :: v_dual_mul_f32 v41, v42, v41
	s_delay_alu instid0(VALU_DEP_1) | instskip(NEXT) | instid1(VALU_DEP_1)
	v_dual_fma_f32 v3, v42, v40, -v3 :: v_dual_fmac_f32 v41, v43, v40
	v_dual_add_f32 v40, 0, v3 :: v_dual_add_f32 v41, 0, v41
	s_and_saveexec_b32 s24, s13
	s_cbranch_execnz .LBB56_1062
; %bb.73:                               ;   in Loop: Header=BB56_3 Depth=1
	s_or_b32 exec_lo, exec_lo, s24
	s_and_saveexec_b32 s24, s14
	s_cbranch_execnz .LBB56_1063
.LBB56_74:                              ;   in Loop: Header=BB56_3 Depth=1
	s_or_b32 exec_lo, exec_lo, s24
	s_and_saveexec_b32 s24, s0
	s_cbranch_execz .LBB56_76
.LBB56_75:                              ;   in Loop: Header=BB56_3 Depth=1
	ds_load_b64 v[42:43], v46 offset:1568
	ds_load_b64 v[44:45], v7 offset:24
	s_wait_dscnt 0x0
	v_dual_mul_f32 v3, v45, v43 :: v_dual_mul_f32 v97, v44, v43
	s_delay_alu instid0(VALU_DEP_1) | instskip(NEXT) | instid1(VALU_DEP_1)
	v_dual_fma_f32 v96, v44, v42, -v3 :: v_dual_fmac_f32 v97, v45, v42
	v_pk_add_f32 v[40:41], v[40:41], v[96:97]
.LBB56_76:                              ;   in Loop: Header=BB56_3 Depth=1
	s_or_b32 exec_lo, exec_lo, s24
	s_delay_alu instid0(VALU_DEP_1)
	v_pk_add_f32 v[40:41], v[40:41], 0 neg_lo:[1,1] neg_hi:[1,1]
.LBB56_77:                              ;   in Loop: Header=BB56_3 Depth=1
	s_or_b32 exec_lo, exec_lo, s62
	s_and_saveexec_b32 s24, s97
; %bb.78:                               ;   in Loop: Header=BB56_3 Depth=1
	ds_store_b64 v63, v[40:41]
; %bb.79:                               ;   in Loop: Header=BB56_3 Depth=1
	s_or_b32 exec_lo, exec_lo, s24
	s_wait_dscnt 0x0
	s_barrier_signal -1
	s_barrier_wait -1
	s_and_saveexec_b32 s24, s98
	s_cbranch_execz .LBB56_81
; %bb.80:                               ;   in Loop: Header=BB56_3 Depth=1
	ds_load_b64 v[42:43], v60 offset:2080
	ds_load_b64 v[44:45], v63
	s_wait_dscnt 0x0
	v_pk_mul_f32 v[96:97], v[44:45], v[42:43] op_sel:[1,1] op_sel_hi:[0,1]
	s_delay_alu instid0(VALU_DEP_1) | instskip(SKIP_1) | instid1(VALU_DEP_2)
	v_pk_fma_f32 v[98:99], v[44:45], v[42:43], v[96:97] op_sel_hi:[1,0,1]
	v_pk_fma_f32 v[42:43], v[44:45], v[42:43], v[96:97] neg_lo:[0,0,1] neg_hi:[0,0,1]
	v_mov_b32_e32 v43, v99
	s_delay_alu instid0(VALU_DEP_1)
	v_pk_add_f32 v[40:41], v[40:41], v[42:43]
.LBB56_81:                              ;   in Loop: Header=BB56_3 Depth=1
	s_or_b32 exec_lo, exec_lo, s24
	s_barrier_signal -1
	s_barrier_wait -1
	s_and_saveexec_b32 s24, s99
; %bb.82:                               ;   in Loop: Header=BB56_3 Depth=1
	ds_store_b64 v63, v[40:41]
; %bb.83:                               ;   in Loop: Header=BB56_3 Depth=1
	s_or_b32 exec_lo, exec_lo, s24
	s_wait_dscnt 0x0
	s_barrier_signal -1
	s_barrier_wait -1
	s_and_saveexec_b32 s24, s100
	s_cbranch_execz .LBB56_85
; %bb.84:                               ;   in Loop: Header=BB56_3 Depth=1
	ds_load_b64 v[42:43], v60 offset:2592
	ds_load_b64 v[44:45], v63
	s_wait_dscnt 0x0
	v_pk_mul_f32 v[96:97], v[44:45], v[42:43] op_sel:[1,1] op_sel_hi:[0,1]
	s_delay_alu instid0(VALU_DEP_1) | instskip(SKIP_1) | instid1(VALU_DEP_2)
	v_pk_fma_f32 v[98:99], v[44:45], v[42:43], v[96:97] op_sel_hi:[1,0,1]
	v_pk_fma_f32 v[42:43], v[44:45], v[42:43], v[96:97] neg_lo:[0,0,1] neg_hi:[0,0,1]
	v_mov_b32_e32 v43, v99
	s_delay_alu instid0(VALU_DEP_1)
	v_pk_add_f32 v[40:41], v[40:41], v[42:43]
.LBB56_85:                              ;   in Loop: Header=BB56_3 Depth=1
	s_or_b32 exec_lo, exec_lo, s24
	s_barrier_signal -1
	s_barrier_wait -1
	;; [unrolled: 25-line block ×3, first 2 shown]
	s_and_saveexec_b32 s24, s102
; %bb.90:                               ;   in Loop: Header=BB56_3 Depth=1
	ds_store_b64 v63, v[40:41]
; %bb.91:                               ;   in Loop: Header=BB56_3 Depth=1
	s_or_b32 exec_lo, exec_lo, s24
	s_wait_dscnt 0x0
	s_barrier_signal -1
	s_barrier_wait -1
	s_barrier_signal -1
	s_barrier_wait -1
	s_and_saveexec_b32 s24, s2
; %bb.92:                               ;   in Loop: Header=BB56_3 Depth=1
	v_pk_add_f32 v[40:41], v[40:41], 0 neg_lo:[1,1] neg_hi:[1,1]
	ds_store_b64 v65, v[40:41] offset:32
; %bb.93:                               ;   in Loop: Header=BB56_3 Depth=1
	s_or_b32 exec_lo, exec_lo, s24
	s_wait_dscnt 0x0
	s_barrier_signal -1
	s_barrier_wait -1
	s_barrier_signal -1
	s_barrier_wait -1
	s_and_saveexec_b32 s24, s103
	s_cbranch_execz .LBB56_95
; %bb.94:                               ;   in Loop: Header=BB56_3 Depth=1
	ds_load_b64 v[40:41], v47 offset:32
	s_wait_dscnt 0x0
	ds_store_b64 v48, v[40:41] offset:2048
	ds_load_b64 v[40:41], v47 offset:40
	s_wait_dscnt 0x0
	ds_store_b64 v48, v[40:41] offset:2560
	;; [unrolled: 3-line block ×4, first 2 shown]
.LBB56_95:                              ;   in Loop: Header=BB56_3 Depth=1
	s_or_b32 exec_lo, exec_lo, s24
	s_wait_dscnt 0x0
	s_barrier_signal -1
	s_barrier_wait -1
	s_and_saveexec_b32 s24, s11
	s_cbranch_execz .LBB56_97
; %bb.96:                               ;   in Loop: Header=BB56_3 Depth=1
	ds_load_b64 v[40:41], v7 offset:2088
	v_add_nc_u32_e64 v3, 32, 0
	ds_store_b64 v7, v[34:35] offset:2600
	s_wait_dscnt 0x1
	ds_store_2addr_stride64_b64 v3, v[34:35], v[40:41] offset0:4 offset1:5
.LBB56_97:                              ;   in Loop: Header=BB56_3 Depth=1
	s_or_b32 exec_lo, exec_lo, s24
	v_mov_b64_e32 v[40:41], 0
	s_wait_dscnt 0x0
	s_barrier_signal -1
	s_barrier_wait -1
	s_and_saveexec_b32 s61, s0
	s_cbranch_execz .LBB56_101
; %bb.98:                               ;   in Loop: Header=BB56_3 Depth=1
	ds_load_b64 v[40:41], v61 offset:2096
	ds_load_b64 v[42:43], v62 offset:2080
	s_wait_dscnt 0x0
	v_pk_mul_f32 v[44:45], v[42:43], v[40:41] op_sel:[1,1] op_sel_hi:[0,1]
	s_delay_alu instid0(VALU_DEP_1) | instskip(SKIP_1) | instid1(VALU_DEP_2)
	v_pk_fma_f32 v[96:97], v[42:43], v[40:41], v[44:45] op_sel_hi:[1,0,1]
	v_pk_fma_f32 v[40:41], v[42:43], v[40:41], v[44:45] neg_lo:[0,0,1] neg_hi:[0,0,1]
	v_mov_b32_e32 v41, v97
	s_delay_alu instid0(VALU_DEP_1)
	v_pk_add_f32 v[40:41], v[40:41], 0 op_sel_hi:[1,0]
	s_and_saveexec_b32 s24, s12
	s_cbranch_execz .LBB56_100
; %bb.99:                               ;   in Loop: Header=BB56_3 Depth=1
	ds_load_b64 v[42:43], v48 offset:2608
	ds_load_b64 v[44:45], v7 offset:2088
	s_wait_dscnt 0x0
	v_pk_mul_f32 v[96:97], v[44:45], v[42:43] op_sel:[1,1] op_sel_hi:[0,1]
	s_delay_alu instid0(VALU_DEP_1) | instskip(SKIP_1) | instid1(VALU_DEP_2)
	v_pk_fma_f32 v[98:99], v[44:45], v[42:43], v[96:97] op_sel_hi:[1,0,1]
	v_pk_fma_f32 v[42:43], v[44:45], v[42:43], v[96:97] neg_lo:[0,0,1] neg_hi:[0,0,1]
	v_mov_b32_e32 v43, v99
	s_delay_alu instid0(VALU_DEP_1)
	v_pk_add_f32 v[40:41], v[40:41], v[42:43]
.LBB56_100:                             ;   in Loop: Header=BB56_3 Depth=1
	s_or_b32 exec_lo, exec_lo, s24
	s_delay_alu instid0(VALU_DEP_1)
	v_pk_add_f32 v[40:41], v[40:41], 0 neg_lo:[1,1] neg_hi:[1,1]
.LBB56_101:                             ;   in Loop: Header=BB56_3 Depth=1
	s_or_b32 exec_lo, exec_lo, s61
	s_and_saveexec_b32 s24, s94
; %bb.102:                              ;   in Loop: Header=BB56_3 Depth=1
	ds_store_b64 v51, v[40:41]
; %bb.103:                              ;   in Loop: Header=BB56_3 Depth=1
	s_or_b32 exec_lo, exec_lo, s24
	s_wait_dscnt 0x0
	s_barrier_signal -1
	s_barrier_wait -1
	s_and_saveexec_b32 s24, s95
	s_cbranch_execz .LBB56_105
; %bb.104:                              ;   in Loop: Header=BB56_3 Depth=1
	ds_load_b64 v[42:43], v7 offset:3128
	ds_load_b64 v[44:45], v51
	s_wait_dscnt 0x0
	v_pk_mul_f32 v[96:97], v[44:45], v[42:43] op_sel:[1,1] op_sel_hi:[0,1]
	s_delay_alu instid0(VALU_DEP_1) | instskip(SKIP_1) | instid1(VALU_DEP_2)
	v_pk_fma_f32 v[98:99], v[44:45], v[42:43], v[96:97] op_sel_hi:[1,0,1]
	v_pk_fma_f32 v[42:43], v[44:45], v[42:43], v[96:97] neg_lo:[0,0,1] neg_hi:[0,0,1]
	v_mov_b32_e32 v43, v99
	s_delay_alu instid0(VALU_DEP_1)
	v_pk_add_f32 v[40:41], v[40:41], v[42:43]
.LBB56_105:                             ;   in Loop: Header=BB56_3 Depth=1
	s_or_b32 exec_lo, exec_lo, s24
	s_barrier_signal -1
	s_barrier_wait -1
	s_and_saveexec_b32 s24, s95
; %bb.106:                              ;   in Loop: Header=BB56_3 Depth=1
	ds_store_b64 v51, v[40:41]
; %bb.107:                              ;   in Loop: Header=BB56_3 Depth=1
	s_or_b32 exec_lo, exec_lo, s24
	s_wait_dscnt 0x0
	s_barrier_signal -1
	s_barrier_wait -1
	s_barrier_signal -1
	s_barrier_wait -1
	s_and_saveexec_b32 s24, s0
; %bb.108:                              ;   in Loop: Header=BB56_3 Depth=1
	v_pk_add_f32 v[40:41], v[40:41], 0 neg_lo:[1,1] neg_hi:[1,1]
	ds_store_b64 v61, v[40:41] offset:2096
; %bb.109:                              ;   in Loop: Header=BB56_3 Depth=1
	s_or_b32 exec_lo, exec_lo, s24
	s_wait_dscnt 0x0
	s_barrier_signal -1
	s_barrier_wait -1
	s_barrier_signal -1
	s_barrier_wait -1
	s_and_saveexec_b32 s24, s96
	s_cbranch_execz .LBB56_111
; %bb.110:                              ;   in Loop: Header=BB56_3 Depth=1
	ds_load_b64 v[40:41], v49 offset:2096
	s_wait_dscnt 0x0
	ds_store_b64 v48, v[40:41] offset:3104
	ds_load_b64 v[40:41], v49 offset:2104
	s_wait_dscnt 0x0
	ds_store_b64 v48, v[40:41] offset:3616
.LBB56_111:                             ;   in Loop: Header=BB56_3 Depth=1
	s_or_b32 exec_lo, exec_lo, s24
	s_wait_dscnt 0x0
	s_barrier_signal -1
	s_barrier_wait -1
	s_and_saveexec_b32 s24, s11
	s_cbranch_execz .LBB56_113
; %bb.112:                              ;   in Loop: Header=BB56_3 Depth=1
	ds_load_b64 v[40:41], v7 offset:3128
	v_add_nc_u32_e64 v3, 48, 0
	ds_store_b64 v7, v[34:35] offset:3640
	s_wait_dscnt 0x1
	ds_store_2addr_stride64_b64 v3, v[34:35], v[40:41] offset0:6 offset1:7
.LBB56_113:                             ;   in Loop: Header=BB56_3 Depth=1
	s_or_b32 exec_lo, exec_lo, s24
	v_mov_b64_e32 v[40:41], 0
	s_wait_dscnt 0x0
	s_barrier_signal -1
	s_barrier_wait -1
	s_and_saveexec_b32 s62, s3
	s_cbranch_execz .LBB56_123
; %bb.114:                              ;   in Loop: Header=BB56_3 Depth=1
	ds_load_b64 v[40:41], v69 offset:64
	ds_load_b64 v[42:43], v55
	s_wait_dscnt 0x0
	v_dual_mul_f32 v3, v43, v41 :: v_dual_mul_f32 v41, v42, v41
	s_delay_alu instid0(VALU_DEP_1) | instskip(NEXT) | instid1(VALU_DEP_1)
	v_dual_fma_f32 v3, v42, v40, -v3 :: v_dual_fmac_f32 v41, v43, v40
	v_dual_add_f32 v40, 0, v3 :: v_dual_add_f32 v41, 0, v41
	s_and_saveexec_b32 s24, s15
	s_cbranch_execnz .LBB56_1064
; %bb.115:                              ;   in Loop: Header=BB56_3 Depth=1
	s_or_b32 exec_lo, exec_lo, s24
	s_and_saveexec_b32 s24, s16
	s_cbranch_execnz .LBB56_1065
.LBB56_116:                             ;   in Loop: Header=BB56_3 Depth=1
	s_or_b32 exec_lo, exec_lo, s24
	s_and_saveexec_b32 s24, s17
	s_cbranch_execnz .LBB56_1066
.LBB56_117:                             ;   in Loop: Header=BB56_3 Depth=1
	s_or_b32 exec_lo, exec_lo, s24
	s_and_saveexec_b32 s24, s18
	s_cbranch_execnz .LBB56_1067
.LBB56_118:                             ;   in Loop: Header=BB56_3 Depth=1
	s_or_b32 exec_lo, exec_lo, s24
	s_and_saveexec_b32 s24, s19
	s_cbranch_execnz .LBB56_1068
.LBB56_119:                             ;   in Loop: Header=BB56_3 Depth=1
	s_or_b32 exec_lo, exec_lo, s24
	s_and_saveexec_b32 s24, s2
	s_cbranch_execnz .LBB56_1069
.LBB56_120:                             ;   in Loop: Header=BB56_3 Depth=1
	s_or_b32 exec_lo, exec_lo, s24
	s_and_saveexec_b32 s24, s14
	s_cbranch_execz .LBB56_122
.LBB56_121:                             ;   in Loop: Header=BB56_3 Depth=1
	ds_load_b64 v[42:43], v50 offset:3648
	ds_load_b64 v[44:45], v7 offset:56
	s_wait_dscnt 0x0
	v_pk_mul_f32 v[96:97], v[44:45], v[42:43] op_sel:[1,1] op_sel_hi:[0,1]
	s_delay_alu instid0(VALU_DEP_1) | instskip(SKIP_1) | instid1(VALU_DEP_2)
	v_pk_fma_f32 v[98:99], v[44:45], v[42:43], v[96:97] op_sel_hi:[1,0,1]
	v_pk_fma_f32 v[42:43], v[44:45], v[42:43], v[96:97] neg_lo:[0,0,1] neg_hi:[0,0,1]
	v_mov_b32_e32 v43, v99
	s_delay_alu instid0(VALU_DEP_1)
	v_pk_add_f32 v[40:41], v[40:41], v[42:43]
.LBB56_122:                             ;   in Loop: Header=BB56_3 Depth=1
	s_or_b32 exec_lo, exec_lo, s24
	s_delay_alu instid0(VALU_DEP_1)
	v_pk_add_f32 v[40:41], v[40:41], 0 neg_lo:[1,1] neg_hi:[1,1]
.LBB56_123:                             ;   in Loop: Header=BB56_3 Depth=1
	s_or_b32 exec_lo, exec_lo, s62
	s_and_saveexec_b32 s24, s104
; %bb.124:                              ;   in Loop: Header=BB56_3 Depth=1
	ds_store_b64 v68, v[40:41]
; %bb.125:                              ;   in Loop: Header=BB56_3 Depth=1
	s_or_b32 exec_lo, exec_lo, s24
	s_wait_dscnt 0x0
	s_barrier_signal -1
	s_barrier_wait -1
	s_and_saveexec_b32 s24, vcc_hi
	s_cbranch_execz .LBB56_127
; %bb.126:                              ;   in Loop: Header=BB56_3 Depth=1
	ds_load_b64 v[42:43], v64 offset:4160
	ds_load_b64 v[44:45], v68
	s_wait_dscnt 0x0
	v_pk_mul_f32 v[96:97], v[44:45], v[42:43] op_sel:[1,1] op_sel_hi:[0,1]
	s_delay_alu instid0(VALU_DEP_1) | instskip(SKIP_1) | instid1(VALU_DEP_2)
	v_pk_fma_f32 v[98:99], v[44:45], v[42:43], v[96:97] op_sel_hi:[1,0,1]
	v_pk_fma_f32 v[42:43], v[44:45], v[42:43], v[96:97] neg_lo:[0,0,1] neg_hi:[0,0,1]
	v_mov_b32_e32 v43, v99
	s_delay_alu instid0(VALU_DEP_1)
	v_pk_add_f32 v[40:41], v[40:41], v[42:43]
.LBB56_127:                             ;   in Loop: Header=BB56_3 Depth=1
	s_or_b32 exec_lo, exec_lo, s24
	s_barrier_signal -1
	s_barrier_wait -1
	s_and_saveexec_b32 s24, s39
; %bb.128:                              ;   in Loop: Header=BB56_3 Depth=1
	ds_store_b64 v68, v[40:41]
; %bb.129:                              ;   in Loop: Header=BB56_3 Depth=1
	s_or_b32 exec_lo, exec_lo, s24
	s_wait_dscnt 0x0
	s_barrier_signal -1
	s_barrier_wait -1
	s_and_saveexec_b32 s24, s40
	s_cbranch_execz .LBB56_131
; %bb.130:                              ;   in Loop: Header=BB56_3 Depth=1
	ds_load_b64 v[42:43], v64 offset:4672
	ds_load_b64 v[44:45], v68
	s_wait_dscnt 0x0
	v_dual_mul_f32 v3, v45, v43 :: v_dual_mul_f32 v43, v44, v43
	s_delay_alu instid0(VALU_DEP_1) | instskip(NEXT) | instid1(VALU_DEP_1)
	v_fmac_f32_e32 v43, v45, v42
	v_dual_fma_f32 v3, v44, v42, -v3 :: v_dual_add_f32 v41, v41, v43
	s_delay_alu instid0(VALU_DEP_1)
	v_add_f32_e32 v40, v40, v3
.LBB56_131:                             ;   in Loop: Header=BB56_3 Depth=1
	s_or_b32 exec_lo, exec_lo, s24
	s_barrier_signal -1
	s_barrier_wait -1
	s_and_saveexec_b32 s24, s41
; %bb.132:                              ;   in Loop: Header=BB56_3 Depth=1
	ds_store_b64 v68, v[40:41]
; %bb.133:                              ;   in Loop: Header=BB56_3 Depth=1
	s_or_b32 exec_lo, exec_lo, s24
	s_wait_dscnt 0x0
	s_barrier_signal -1
	s_barrier_wait -1
	s_and_saveexec_b32 s24, s42
	s_cbranch_execz .LBB56_135
; %bb.134:                              ;   in Loop: Header=BB56_3 Depth=1
	ds_load_b64 v[42:43], v64 offset:5184
	ds_load_b64 v[44:45], v68
	s_wait_dscnt 0x0
	v_dual_mul_f32 v3, v45, v43 :: v_dual_mul_f32 v97, v44, v43
	s_delay_alu instid0(VALU_DEP_1) | instskip(NEXT) | instid1(VALU_DEP_1)
	v_dual_fma_f32 v96, v44, v42, -v3 :: v_dual_fmac_f32 v97, v45, v42
	v_pk_add_f32 v[40:41], v[40:41], v[96:97]
.LBB56_135:                             ;   in Loop: Header=BB56_3 Depth=1
	s_or_b32 exec_lo, exec_lo, s24
	s_barrier_signal -1
	s_barrier_wait -1
	s_and_saveexec_b32 s24, s43
; %bb.136:                              ;   in Loop: Header=BB56_3 Depth=1
	ds_store_b64 v68, v[40:41]
; %bb.137:                              ;   in Loop: Header=BB56_3 Depth=1
	s_or_b32 exec_lo, exec_lo, s24
	s_wait_dscnt 0x0
	s_barrier_signal -1
	s_barrier_wait -1
	s_and_saveexec_b32 s24, s44
	s_cbranch_execz .LBB56_139
; %bb.138:                              ;   in Loop: Header=BB56_3 Depth=1
	ds_load_b64 v[42:43], v64 offset:5696
	ds_load_b64 v[44:45], v68
	s_wait_dscnt 0x0
	v_pk_mul_f32 v[96:97], v[44:45], v[42:43] op_sel:[1,1] op_sel_hi:[0,1]
	s_delay_alu instid0(VALU_DEP_1) | instskip(SKIP_1) | instid1(VALU_DEP_2)
	v_pk_fma_f32 v[98:99], v[44:45], v[42:43], v[96:97] op_sel_hi:[1,0,1]
	v_pk_fma_f32 v[42:43], v[44:45], v[42:43], v[96:97] neg_lo:[0,0,1] neg_hi:[0,0,1]
	v_mov_b32_e32 v43, v99
	s_delay_alu instid0(VALU_DEP_1)
	v_pk_add_f32 v[40:41], v[40:41], v[42:43]
.LBB56_139:                             ;   in Loop: Header=BB56_3 Depth=1
	s_or_b32 exec_lo, exec_lo, s24
	s_barrier_signal -1
	s_barrier_wait -1
	s_and_saveexec_b32 s24, s45
; %bb.140:                              ;   in Loop: Header=BB56_3 Depth=1
	ds_store_b64 v68, v[40:41]
; %bb.141:                              ;   in Loop: Header=BB56_3 Depth=1
	s_or_b32 exec_lo, exec_lo, s24
	s_wait_dscnt 0x0
	s_barrier_signal -1
	s_barrier_wait -1
	s_and_saveexec_b32 s24, s46
	s_cbranch_execz .LBB56_143
; %bb.142:                              ;   in Loop: Header=BB56_3 Depth=1
	ds_load_b64 v[42:43], v64 offset:6208
	ds_load_b64 v[44:45], v68
	s_wait_dscnt 0x0
	v_pk_mul_f32 v[96:97], v[44:45], v[42:43] op_sel:[1,1] op_sel_hi:[0,1]
	s_delay_alu instid0(VALU_DEP_1) | instskip(SKIP_1) | instid1(VALU_DEP_2)
	v_pk_fma_f32 v[98:99], v[44:45], v[42:43], v[96:97] op_sel_hi:[1,0,1]
	v_pk_fma_f32 v[42:43], v[44:45], v[42:43], v[96:97] neg_lo:[0,0,1] neg_hi:[0,0,1]
	v_mov_b32_e32 v43, v99
	s_delay_alu instid0(VALU_DEP_1)
	v_pk_add_f32 v[40:41], v[40:41], v[42:43]
.LBB56_143:                             ;   in Loop: Header=BB56_3 Depth=1
	;; [unrolled: 25-line block ×4, first 2 shown]
	s_or_b32 exec_lo, exec_lo, s24
	s_barrier_signal -1
	s_barrier_wait -1
	s_and_saveexec_b32 s24, s50
; %bb.152:                              ;   in Loop: Header=BB56_3 Depth=1
	ds_store_b64 v68, v[40:41]
; %bb.153:                              ;   in Loop: Header=BB56_3 Depth=1
	s_or_b32 exec_lo, exec_lo, s24
	s_wait_dscnt 0x0
	s_barrier_signal -1
	s_barrier_wait -1
	s_barrier_signal -1
	s_barrier_wait -1
	s_and_saveexec_b32 s24, s3
; %bb.154:                              ;   in Loop: Header=BB56_3 Depth=1
	v_pk_add_f32 v[40:41], v[40:41], 0 neg_lo:[1,1] neg_hi:[1,1]
	ds_store_b64 v69, v[40:41] offset:64
; %bb.155:                              ;   in Loop: Header=BB56_3 Depth=1
	s_or_b32 exec_lo, exec_lo, s24
	s_wait_dscnt 0x0
	s_barrier_signal -1
	s_barrier_wait -1
	s_barrier_signal -1
	s_barrier_wait -1
	s_and_saveexec_b32 s24, s51
	s_cbranch_execz .LBB56_157
; %bb.156:                              ;   in Loop: Header=BB56_3 Depth=1
	ds_load_b64 v[40:41], v52 offset:64
	s_wait_dscnt 0x0
	ds_store_b64 v54, v[40:41] offset:4096
	ds_load_b64 v[40:41], v52 offset:72
	s_wait_dscnt 0x0
	ds_store_b64 v54, v[40:41] offset:4608
	;; [unrolled: 3-line block ×8, first 2 shown]
.LBB56_157:                             ;   in Loop: Header=BB56_3 Depth=1
	s_or_b32 exec_lo, exec_lo, s24
	s_wait_dscnt 0x0
	s_barrier_signal -1
	s_barrier_wait -1
	s_and_saveexec_b32 s24, s11
	s_cbranch_execz .LBB56_159
; %bb.158:                              ;   in Loop: Header=BB56_3 Depth=1
	ds_load_b64 v[40:41], v7 offset:4168
	v_add_nc_u32_e64 v3, 64, 0
	ds_store_b64 v7, v[34:35] offset:4680
	s_wait_dscnt 0x1
	ds_store_2addr_stride64_b64 v3, v[34:35], v[40:41] offset0:8 offset1:9
.LBB56_159:                             ;   in Loop: Header=BB56_3 Depth=1
	s_or_b32 exec_lo, exec_lo, s24
	v_mov_b64_e32 v[40:41], 0
	s_wait_dscnt 0x0
	s_barrier_signal -1
	s_barrier_wait -1
	s_and_saveexec_b32 s61, s0
	s_cbranch_execz .LBB56_163
; %bb.160:                              ;   in Loop: Header=BB56_3 Depth=1
	ds_load_b64 v[40:41], v61 offset:4176
	ds_load_b64 v[42:43], v62 offset:4160
	s_wait_dscnt 0x0
	v_pk_mul_f32 v[44:45], v[42:43], v[40:41] op_sel:[1,1] op_sel_hi:[0,1]
	s_delay_alu instid0(VALU_DEP_1) | instskip(SKIP_1) | instid1(VALU_DEP_2)
	v_pk_fma_f32 v[96:97], v[42:43], v[40:41], v[44:45] op_sel_hi:[1,0,1]
	v_pk_fma_f32 v[40:41], v[42:43], v[40:41], v[44:45] neg_lo:[0,0,1] neg_hi:[0,0,1]
	v_mov_b32_e32 v41, v97
	s_delay_alu instid0(VALU_DEP_1)
	v_pk_add_f32 v[40:41], v[40:41], 0 op_sel_hi:[1,0]
	s_and_saveexec_b32 s24, s12
	s_cbranch_execz .LBB56_162
; %bb.161:                              ;   in Loop: Header=BB56_3 Depth=1
	ds_load_b64 v[42:43], v54 offset:4688
	ds_load_b64 v[44:45], v7 offset:4168
	s_wait_dscnt 0x0
	v_pk_mul_f32 v[96:97], v[44:45], v[42:43] op_sel:[1,1] op_sel_hi:[0,1]
	s_delay_alu instid0(VALU_DEP_1) | instskip(SKIP_1) | instid1(VALU_DEP_2)
	v_pk_fma_f32 v[98:99], v[44:45], v[42:43], v[96:97] op_sel_hi:[1,0,1]
	v_pk_fma_f32 v[42:43], v[44:45], v[42:43], v[96:97] neg_lo:[0,0,1] neg_hi:[0,0,1]
	v_mov_b32_e32 v43, v99
	s_delay_alu instid0(VALU_DEP_1)
	v_pk_add_f32 v[40:41], v[40:41], v[42:43]
.LBB56_162:                             ;   in Loop: Header=BB56_3 Depth=1
	s_or_b32 exec_lo, exec_lo, s24
	s_delay_alu instid0(VALU_DEP_1)
	v_pk_add_f32 v[40:41], v[40:41], 0 neg_lo:[1,1] neg_hi:[1,1]
.LBB56_163:                             ;   in Loop: Header=BB56_3 Depth=1
	s_or_b32 exec_lo, exec_lo, s61
	s_and_saveexec_b32 s24, s94
; %bb.164:                              ;   in Loop: Header=BB56_3 Depth=1
	ds_store_b64 v51, v[40:41]
; %bb.165:                              ;   in Loop: Header=BB56_3 Depth=1
	s_or_b32 exec_lo, exec_lo, s24
	s_wait_dscnt 0x0
	s_barrier_signal -1
	s_barrier_wait -1
	s_and_saveexec_b32 s24, s95
	s_cbranch_execz .LBB56_167
; %bb.166:                              ;   in Loop: Header=BB56_3 Depth=1
	ds_load_b64 v[42:43], v7 offset:5208
	ds_load_b64 v[44:45], v51
	s_wait_dscnt 0x0
	v_pk_mul_f32 v[96:97], v[44:45], v[42:43] op_sel:[1,1] op_sel_hi:[0,1]
	s_delay_alu instid0(VALU_DEP_1) | instskip(SKIP_1) | instid1(VALU_DEP_2)
	v_pk_fma_f32 v[98:99], v[44:45], v[42:43], v[96:97] op_sel_hi:[1,0,1]
	v_pk_fma_f32 v[42:43], v[44:45], v[42:43], v[96:97] neg_lo:[0,0,1] neg_hi:[0,0,1]
	v_mov_b32_e32 v43, v99
	s_delay_alu instid0(VALU_DEP_1)
	v_pk_add_f32 v[40:41], v[40:41], v[42:43]
.LBB56_167:                             ;   in Loop: Header=BB56_3 Depth=1
	s_or_b32 exec_lo, exec_lo, s24
	s_barrier_signal -1
	s_barrier_wait -1
	s_and_saveexec_b32 s24, s95
; %bb.168:                              ;   in Loop: Header=BB56_3 Depth=1
	ds_store_b64 v51, v[40:41]
; %bb.169:                              ;   in Loop: Header=BB56_3 Depth=1
	s_or_b32 exec_lo, exec_lo, s24
	s_wait_dscnt 0x0
	s_barrier_signal -1
	s_barrier_wait -1
	s_barrier_signal -1
	s_barrier_wait -1
	s_and_saveexec_b32 s24, s0
; %bb.170:                              ;   in Loop: Header=BB56_3 Depth=1
	v_pk_add_f32 v[40:41], v[40:41], 0 neg_lo:[1,1] neg_hi:[1,1]
	ds_store_b64 v61, v[40:41] offset:4176
; %bb.171:                              ;   in Loop: Header=BB56_3 Depth=1
	s_or_b32 exec_lo, exec_lo, s24
	s_wait_dscnt 0x0
	s_barrier_signal -1
	s_barrier_wait -1
	s_barrier_signal -1
	s_barrier_wait -1
	s_and_saveexec_b32 s24, s96
	s_cbranch_execz .LBB56_173
; %bb.172:                              ;   in Loop: Header=BB56_3 Depth=1
	ds_load_b64 v[40:41], v56 offset:4176
	s_wait_dscnt 0x0
	ds_store_b64 v54, v[40:41] offset:5184
	ds_load_b64 v[40:41], v56 offset:4184
	s_wait_dscnt 0x0
	ds_store_b64 v54, v[40:41] offset:5696
.LBB56_173:                             ;   in Loop: Header=BB56_3 Depth=1
	s_or_b32 exec_lo, exec_lo, s24
	s_wait_dscnt 0x0
	s_barrier_signal -1
	s_barrier_wait -1
	s_and_saveexec_b32 s24, s11
	s_cbranch_execz .LBB56_175
; %bb.174:                              ;   in Loop: Header=BB56_3 Depth=1
	ds_load_b64 v[40:41], v7 offset:5208
	v_add_nc_u32_e64 v3, 0x50, 0
	ds_store_b64 v7, v[34:35] offset:5720
	s_wait_dscnt 0x1
	ds_store_2addr_stride64_b64 v3, v[34:35], v[40:41] offset0:10 offset1:11
.LBB56_175:                             ;   in Loop: Header=BB56_3 Depth=1
	s_or_b32 exec_lo, exec_lo, s24
	v_mov_b64_e32 v[40:41], 0
	s_wait_dscnt 0x0
	s_barrier_signal -1
	s_barrier_wait -1
	s_and_saveexec_b32 s62, s2
	s_cbranch_execz .LBB56_181
; %bb.176:                              ;   in Loop: Header=BB56_3 Depth=1
	ds_load_b64 v[40:41], v65 offset:4192
	ds_load_b64 v[42:43], v53 offset:4160
	s_wait_dscnt 0x0
	v_dual_mul_f32 v3, v43, v41 :: v_dual_mul_f32 v41, v42, v41
	s_delay_alu instid0(VALU_DEP_1) | instskip(NEXT) | instid1(VALU_DEP_1)
	v_dual_fma_f32 v3, v42, v40, -v3 :: v_dual_fmac_f32 v41, v43, v40
	v_dual_add_f32 v40, 0, v3 :: v_dual_add_f32 v41, 0, v41
	s_and_saveexec_b32 s24, s13
	s_cbranch_execnz .LBB56_1070
; %bb.177:                              ;   in Loop: Header=BB56_3 Depth=1
	s_or_b32 exec_lo, exec_lo, s24
	s_and_saveexec_b32 s24, s14
	s_cbranch_execnz .LBB56_1071
.LBB56_178:                             ;   in Loop: Header=BB56_3 Depth=1
	s_or_b32 exec_lo, exec_lo, s24
	s_and_saveexec_b32 s24, s0
	s_cbranch_execz .LBB56_180
.LBB56_179:                             ;   in Loop: Header=BB56_3 Depth=1
	ds_load_b64 v[42:43], v58 offset:5728
	ds_load_b64 v[44:45], v7 offset:4184
	s_wait_dscnt 0x0
	v_dual_mul_f32 v3, v45, v43 :: v_dual_mul_f32 v97, v44, v43
	s_delay_alu instid0(VALU_DEP_1) | instskip(NEXT) | instid1(VALU_DEP_1)
	v_dual_fma_f32 v96, v44, v42, -v3 :: v_dual_fmac_f32 v97, v45, v42
	v_pk_add_f32 v[40:41], v[40:41], v[96:97]
.LBB56_180:                             ;   in Loop: Header=BB56_3 Depth=1
	s_or_b32 exec_lo, exec_lo, s24
	s_delay_alu instid0(VALU_DEP_1)
	v_pk_add_f32 v[40:41], v[40:41], 0 neg_lo:[1,1] neg_hi:[1,1]
.LBB56_181:                             ;   in Loop: Header=BB56_3 Depth=1
	s_or_b32 exec_lo, exec_lo, s62
	s_and_saveexec_b32 s24, s97
; %bb.182:                              ;   in Loop: Header=BB56_3 Depth=1
	ds_store_b64 v63, v[40:41]
; %bb.183:                              ;   in Loop: Header=BB56_3 Depth=1
	s_or_b32 exec_lo, exec_lo, s24
	s_wait_dscnt 0x0
	s_barrier_signal -1
	s_barrier_wait -1
	s_and_saveexec_b32 s24, s98
	s_cbranch_execz .LBB56_185
; %bb.184:                              ;   in Loop: Header=BB56_3 Depth=1
	ds_load_b64 v[42:43], v60 offset:6240
	ds_load_b64 v[44:45], v63
	s_wait_dscnt 0x0
	v_pk_mul_f32 v[96:97], v[44:45], v[42:43] op_sel:[1,1] op_sel_hi:[0,1]
	s_delay_alu instid0(VALU_DEP_1) | instskip(SKIP_1) | instid1(VALU_DEP_2)
	v_pk_fma_f32 v[98:99], v[44:45], v[42:43], v[96:97] op_sel_hi:[1,0,1]
	v_pk_fma_f32 v[42:43], v[44:45], v[42:43], v[96:97] neg_lo:[0,0,1] neg_hi:[0,0,1]
	v_mov_b32_e32 v43, v99
	s_delay_alu instid0(VALU_DEP_1)
	v_pk_add_f32 v[40:41], v[40:41], v[42:43]
.LBB56_185:                             ;   in Loop: Header=BB56_3 Depth=1
	s_or_b32 exec_lo, exec_lo, s24
	s_barrier_signal -1
	s_barrier_wait -1
	s_and_saveexec_b32 s24, s99
; %bb.186:                              ;   in Loop: Header=BB56_3 Depth=1
	ds_store_b64 v63, v[40:41]
; %bb.187:                              ;   in Loop: Header=BB56_3 Depth=1
	s_or_b32 exec_lo, exec_lo, s24
	s_wait_dscnt 0x0
	s_barrier_signal -1
	s_barrier_wait -1
	s_and_saveexec_b32 s24, s100
	s_cbranch_execz .LBB56_189
; %bb.188:                              ;   in Loop: Header=BB56_3 Depth=1
	ds_load_b64 v[42:43], v60 offset:6752
	ds_load_b64 v[44:45], v63
	s_wait_dscnt 0x0
	v_pk_mul_f32 v[96:97], v[44:45], v[42:43] op_sel:[1,1] op_sel_hi:[0,1]
	s_delay_alu instid0(VALU_DEP_1) | instskip(SKIP_1) | instid1(VALU_DEP_2)
	v_pk_fma_f32 v[98:99], v[44:45], v[42:43], v[96:97] op_sel_hi:[1,0,1]
	v_pk_fma_f32 v[42:43], v[44:45], v[42:43], v[96:97] neg_lo:[0,0,1] neg_hi:[0,0,1]
	v_mov_b32_e32 v43, v99
	s_delay_alu instid0(VALU_DEP_1)
	v_pk_add_f32 v[40:41], v[40:41], v[42:43]
.LBB56_189:                             ;   in Loop: Header=BB56_3 Depth=1
	s_or_b32 exec_lo, exec_lo, s24
	s_barrier_signal -1
	s_barrier_wait -1
	;; [unrolled: 25-line block ×3, first 2 shown]
	s_and_saveexec_b32 s24, s102
; %bb.194:                              ;   in Loop: Header=BB56_3 Depth=1
	ds_store_b64 v63, v[40:41]
; %bb.195:                              ;   in Loop: Header=BB56_3 Depth=1
	s_or_b32 exec_lo, exec_lo, s24
	s_wait_dscnt 0x0
	s_barrier_signal -1
	s_barrier_wait -1
	s_barrier_signal -1
	s_barrier_wait -1
	s_and_saveexec_b32 s24, s2
; %bb.196:                              ;   in Loop: Header=BB56_3 Depth=1
	v_pk_add_f32 v[40:41], v[40:41], 0 neg_lo:[1,1] neg_hi:[1,1]
	ds_store_b64 v65, v[40:41] offset:4192
; %bb.197:                              ;   in Loop: Header=BB56_3 Depth=1
	s_or_b32 exec_lo, exec_lo, s24
	s_wait_dscnt 0x0
	s_barrier_signal -1
	s_barrier_wait -1
	s_barrier_signal -1
	s_barrier_wait -1
	s_and_saveexec_b32 s24, s103
	s_cbranch_execz .LBB56_199
; %bb.198:                              ;   in Loop: Header=BB56_3 Depth=1
	ds_load_b64 v[40:41], v76 offset:4192
	s_wait_dscnt 0x0
	ds_store_b64 v77, v[40:41] offset:6208
	ds_load_b64 v[40:41], v76 offset:4200
	s_wait_dscnt 0x0
	ds_store_b64 v77, v[40:41] offset:6720
	;; [unrolled: 3-line block ×4, first 2 shown]
.LBB56_199:                             ;   in Loop: Header=BB56_3 Depth=1
	s_or_b32 exec_lo, exec_lo, s24
	s_wait_dscnt 0x0
	s_barrier_signal -1
	s_barrier_wait -1
	s_and_saveexec_b32 s24, s11
	s_cbranch_execz .LBB56_201
; %bb.200:                              ;   in Loop: Header=BB56_3 Depth=1
	ds_load_b64 v[40:41], v7 offset:6248
	v_add_nc_u32_e64 v3, 0x60, 0
	ds_store_b64 v7, v[34:35] offset:6760
	s_wait_dscnt 0x1
	ds_store_2addr_stride64_b64 v3, v[34:35], v[40:41] offset0:12 offset1:13
.LBB56_201:                             ;   in Loop: Header=BB56_3 Depth=1
	s_or_b32 exec_lo, exec_lo, s24
	v_mov_b64_e32 v[40:41], 0
	s_wait_dscnt 0x0
	s_barrier_signal -1
	s_barrier_wait -1
	s_and_saveexec_b32 s61, s0
	s_cbranch_execz .LBB56_205
; %bb.202:                              ;   in Loop: Header=BB56_3 Depth=1
	ds_load_b64 v[40:41], v61 offset:6256
	ds_load_b64 v[42:43], v62 offset:6240
	s_wait_dscnt 0x0
	v_pk_mul_f32 v[44:45], v[42:43], v[40:41] op_sel:[1,1] op_sel_hi:[0,1]
	s_delay_alu instid0(VALU_DEP_1) | instskip(SKIP_1) | instid1(VALU_DEP_2)
	v_pk_fma_f32 v[96:97], v[42:43], v[40:41], v[44:45] op_sel_hi:[1,0,1]
	v_pk_fma_f32 v[40:41], v[42:43], v[40:41], v[44:45] neg_lo:[0,0,1] neg_hi:[0,0,1]
	v_mov_b32_e32 v41, v97
	s_delay_alu instid0(VALU_DEP_1)
	v_pk_add_f32 v[40:41], v[40:41], 0 op_sel_hi:[1,0]
	s_and_saveexec_b32 s24, s12
	s_cbranch_execz .LBB56_204
; %bb.203:                              ;   in Loop: Header=BB56_3 Depth=1
	ds_load_b64 v[42:43], v77 offset:6768
	ds_load_b64 v[44:45], v7 offset:6248
	s_wait_dscnt 0x0
	v_pk_mul_f32 v[96:97], v[44:45], v[42:43] op_sel:[1,1] op_sel_hi:[0,1]
	s_delay_alu instid0(VALU_DEP_1) | instskip(SKIP_1) | instid1(VALU_DEP_2)
	v_pk_fma_f32 v[98:99], v[44:45], v[42:43], v[96:97] op_sel_hi:[1,0,1]
	v_pk_fma_f32 v[42:43], v[44:45], v[42:43], v[96:97] neg_lo:[0,0,1] neg_hi:[0,0,1]
	v_mov_b32_e32 v43, v99
	s_delay_alu instid0(VALU_DEP_1)
	v_pk_add_f32 v[40:41], v[40:41], v[42:43]
.LBB56_204:                             ;   in Loop: Header=BB56_3 Depth=1
	s_or_b32 exec_lo, exec_lo, s24
	s_delay_alu instid0(VALU_DEP_1)
	v_pk_add_f32 v[40:41], v[40:41], 0 neg_lo:[1,1] neg_hi:[1,1]
.LBB56_205:                             ;   in Loop: Header=BB56_3 Depth=1
	s_or_b32 exec_lo, exec_lo, s61
	s_and_saveexec_b32 s24, s94
; %bb.206:                              ;   in Loop: Header=BB56_3 Depth=1
	ds_store_b64 v51, v[40:41]
; %bb.207:                              ;   in Loop: Header=BB56_3 Depth=1
	s_or_b32 exec_lo, exec_lo, s24
	s_wait_dscnt 0x0
	s_barrier_signal -1
	s_barrier_wait -1
	s_and_saveexec_b32 s24, s95
	s_cbranch_execz .LBB56_209
; %bb.208:                              ;   in Loop: Header=BB56_3 Depth=1
	ds_load_b64 v[42:43], v7 offset:7288
	ds_load_b64 v[44:45], v51
	s_wait_dscnt 0x0
	v_pk_mul_f32 v[96:97], v[44:45], v[42:43] op_sel:[1,1] op_sel_hi:[0,1]
	s_delay_alu instid0(VALU_DEP_1) | instskip(SKIP_1) | instid1(VALU_DEP_2)
	v_pk_fma_f32 v[98:99], v[44:45], v[42:43], v[96:97] op_sel_hi:[1,0,1]
	v_pk_fma_f32 v[42:43], v[44:45], v[42:43], v[96:97] neg_lo:[0,0,1] neg_hi:[0,0,1]
	v_mov_b32_e32 v43, v99
	s_delay_alu instid0(VALU_DEP_1)
	v_pk_add_f32 v[40:41], v[40:41], v[42:43]
.LBB56_209:                             ;   in Loop: Header=BB56_3 Depth=1
	s_or_b32 exec_lo, exec_lo, s24
	s_barrier_signal -1
	s_barrier_wait -1
	s_and_saveexec_b32 s24, s95
; %bb.210:                              ;   in Loop: Header=BB56_3 Depth=1
	ds_store_b64 v51, v[40:41]
; %bb.211:                              ;   in Loop: Header=BB56_3 Depth=1
	s_or_b32 exec_lo, exec_lo, s24
	s_wait_dscnt 0x0
	s_barrier_signal -1
	s_barrier_wait -1
	s_barrier_signal -1
	s_barrier_wait -1
	s_and_saveexec_b32 s24, s0
; %bb.212:                              ;   in Loop: Header=BB56_3 Depth=1
	v_pk_add_f32 v[40:41], v[40:41], 0 neg_lo:[1,1] neg_hi:[1,1]
	ds_store_b64 v61, v[40:41] offset:6256
; %bb.213:                              ;   in Loop: Header=BB56_3 Depth=1
	s_or_b32 exec_lo, exec_lo, s24
	s_wait_dscnt 0x0
	s_barrier_signal -1
	s_barrier_wait -1
	s_barrier_signal -1
	s_barrier_wait -1
	s_and_saveexec_b32 s24, s96
	s_cbranch_execz .LBB56_215
; %bb.214:                              ;   in Loop: Header=BB56_3 Depth=1
	ds_load_b64 v[40:41], v82 offset:6256
	s_wait_dscnt 0x0
	ds_store_b64 v77, v[40:41] offset:7264
	ds_load_b64 v[40:41], v82 offset:6264
	s_wait_dscnt 0x0
	ds_store_b64 v77, v[40:41] offset:7776
.LBB56_215:                             ;   in Loop: Header=BB56_3 Depth=1
	s_or_b32 exec_lo, exec_lo, s24
	s_wait_dscnt 0x0
	s_barrier_signal -1
	s_barrier_wait -1
	s_and_saveexec_b32 s24, s11
	s_cbranch_execz .LBB56_217
; %bb.216:                              ;   in Loop: Header=BB56_3 Depth=1
	ds_load_b64 v[40:41], v7 offset:7288
	v_add_nc_u32_e64 v3, 0x70, 0
	ds_store_b64 v7, v[34:35] offset:7800
	s_wait_dscnt 0x1
	ds_store_2addr_stride64_b64 v3, v[34:35], v[40:41] offset0:14 offset1:15
.LBB56_217:                             ;   in Loop: Header=BB56_3 Depth=1
	s_or_b32 exec_lo, exec_lo, s24
	v_mov_b64_e32 v[40:41], 0
	s_wait_dscnt 0x0
	s_barrier_signal -1
	s_barrier_wait -1
	s_and_saveexec_b32 s62, s4
	s_cbranch_execz .LBB56_245
; %bb.218:                              ;   in Loop: Header=BB56_3 Depth=1
	ds_load_b64 v[40:41], v72 offset:128
	ds_load_b64 v[42:43], v57
	v_readlane_b32 s26, v105, 24
	s_wait_dscnt 0x0
	v_dual_mul_f32 v3, v43, v41 :: v_dual_mul_f32 v41, v42, v41
	s_delay_alu instid0(VALU_DEP_1) | instskip(NEXT) | instid1(VALU_DEP_1)
	v_dual_fma_f32 v3, v42, v40, -v3 :: v_dual_fmac_f32 v41, v43, v40
	v_dual_add_f32 v40, 0, v3 :: v_dual_add_f32 v41, 0, v41
	s_and_saveexec_b32 s24, s26
	s_cbranch_execz .LBB56_220
; %bb.219:                              ;   in Loop: Header=BB56_3 Depth=1
	ds_load_b64 v[42:43], v73 offset:640
	ds_load_b64 v[44:45], v57 offset:8
	s_wait_dscnt 0x0
	v_dual_mul_f32 v3, v45, v43 :: v_dual_mul_f32 v43, v44, v43
	s_delay_alu instid0(VALU_DEP_1) | instskip(NEXT) | instid1(VALU_DEP_1)
	v_fmac_f32_e32 v43, v45, v42
	v_dual_fma_f32 v3, v44, v42, -v3 :: v_dual_add_f32 v41, v41, v43
	s_delay_alu instid0(VALU_DEP_1)
	v_add_f32_e32 v40, v40, v3
.LBB56_220:                             ;   in Loop: Header=BB56_3 Depth=1
	s_or_b32 exec_lo, exec_lo, s24
	v_readlane_b32 s26, v105, 25
	s_and_saveexec_b32 s24, s26
	s_cbranch_execz .LBB56_222
; %bb.221:                              ;   in Loop: Header=BB56_3 Depth=1
	ds_load_b64 v[42:43], v73 offset:1152
	ds_load_b64 v[44:45], v57 offset:16
	s_wait_dscnt 0x0
	v_dual_mul_f32 v3, v45, v43 :: v_dual_mul_f32 v43, v44, v43
	s_delay_alu instid0(VALU_DEP_1) | instskip(NEXT) | instid1(VALU_DEP_1)
	v_fmac_f32_e32 v43, v45, v42
	v_dual_fma_f32 v3, v44, v42, -v3 :: v_dual_add_f32 v41, v41, v43
	s_delay_alu instid0(VALU_DEP_1)
	v_add_f32_e32 v40, v40, v3
.LBB56_222:                             ;   in Loop: Header=BB56_3 Depth=1
	s_or_b32 exec_lo, exec_lo, s24
	v_readlane_b32 s26, v105, 26
	;; [unrolled: 15-line block ×10, first 2 shown]
	s_and_saveexec_b32 s24, s26
	s_cbranch_execnz .LBB56_1072
; %bb.239:                              ;   in Loop: Header=BB56_3 Depth=1
	s_or_b32 exec_lo, exec_lo, s24
	s_and_saveexec_b32 s24, s3
	s_cbranch_execnz .LBB56_1073
.LBB56_240:                             ;   in Loop: Header=BB56_3 Depth=1
	s_or_b32 exec_lo, exec_lo, s24
	s_and_saveexec_b32 s24, s16
	s_cbranch_execnz .LBB56_1074
.LBB56_241:                             ;   in Loop: Header=BB56_3 Depth=1
	s_or_b32 exec_lo, exec_lo, s24
	s_and_saveexec_b32 s24, s18
	s_cbranch_execnz .LBB56_1075
.LBB56_242:                             ;   in Loop: Header=BB56_3 Depth=1
	s_or_b32 exec_lo, exec_lo, s24
	s_and_saveexec_b32 s24, s2
	s_cbranch_execz .LBB56_244
.LBB56_243:                             ;   in Loop: Header=BB56_3 Depth=1
	ds_load_b64 v[42:43], v5 offset:7808
	ds_load_b64 v[44:45], v7 offset:120
	s_wait_dscnt 0x0
	v_dual_mul_f32 v3, v45, v43 :: v_dual_mul_f32 v97, v44, v43
	s_delay_alu instid0(VALU_DEP_1) | instskip(NEXT) | instid1(VALU_DEP_1)
	v_dual_fma_f32 v96, v44, v42, -v3 :: v_dual_fmac_f32 v97, v45, v42
	v_pk_add_f32 v[40:41], v[40:41], v[96:97]
.LBB56_244:                             ;   in Loop: Header=BB56_3 Depth=1
	s_or_b32 exec_lo, exec_lo, s24
	s_delay_alu instid0(VALU_DEP_1)
	v_pk_add_f32 v[40:41], v[40:41], 0 neg_lo:[1,1] neg_hi:[1,1]
.LBB56_245:                             ;   in Loop: Header=BB56_3 Depth=1
	s_or_b32 exec_lo, exec_lo, s62
	v_readlane_b32 s26, v105, 1
	s_and_saveexec_b32 s24, s26
; %bb.246:                              ;   in Loop: Header=BB56_3 Depth=1
	ds_store_b64 v71, v[40:41]
; %bb.247:                              ;   in Loop: Header=BB56_3 Depth=1
	s_or_b32 exec_lo, exec_lo, s24
	v_readlane_b32 s26, v105, 2
	s_wait_dscnt 0x0
	s_barrier_signal -1
	s_barrier_wait -1
	s_and_saveexec_b32 s24, s26
	s_cbranch_execz .LBB56_249
; %bb.248:                              ;   in Loop: Header=BB56_3 Depth=1
	ds_load_b64 v[42:43], v67 offset:8320
	ds_load_b64 v[44:45], v71
	s_wait_dscnt 0x0
	v_pk_mul_f32 v[96:97], v[44:45], v[42:43] op_sel:[1,1] op_sel_hi:[0,1]
	s_delay_alu instid0(VALU_DEP_1) | instskip(SKIP_1) | instid1(VALU_DEP_2)
	v_pk_fma_f32 v[98:99], v[44:45], v[42:43], v[96:97] op_sel_hi:[1,0,1]
	v_pk_fma_f32 v[42:43], v[44:45], v[42:43], v[96:97] neg_lo:[0,0,1] neg_hi:[0,0,1]
	v_mov_b32_e32 v43, v99
	s_delay_alu instid0(VALU_DEP_1)
	v_pk_add_f32 v[40:41], v[40:41], v[42:43]
.LBB56_249:                             ;   in Loop: Header=BB56_3 Depth=1
	s_or_b32 exec_lo, exec_lo, s24
	v_readlane_b32 s26, v105, 3
	s_barrier_signal -1
	s_barrier_wait -1
	s_and_saveexec_b32 s24, s26
; %bb.250:                              ;   in Loop: Header=BB56_3 Depth=1
	ds_store_b64 v71, v[40:41]
; %bb.251:                              ;   in Loop: Header=BB56_3 Depth=1
	s_or_b32 exec_lo, exec_lo, s24
	v_readlane_b32 s26, v105, 4
	s_wait_dscnt 0x0
	s_barrier_signal -1
	s_barrier_wait -1
	s_and_saveexec_b32 s24, s26
	s_cbranch_execz .LBB56_253
; %bb.252:                              ;   in Loop: Header=BB56_3 Depth=1
	ds_load_b64 v[42:43], v67 offset:8832
	ds_load_b64 v[44:45], v71
	s_wait_dscnt 0x0
	v_pk_mul_f32 v[96:97], v[44:45], v[42:43] op_sel:[1,1] op_sel_hi:[0,1]
	s_delay_alu instid0(VALU_DEP_1) | instskip(SKIP_1) | instid1(VALU_DEP_2)
	v_pk_fma_f32 v[98:99], v[44:45], v[42:43], v[96:97] op_sel_hi:[1,0,1]
	v_pk_fma_f32 v[42:43], v[44:45], v[42:43], v[96:97] neg_lo:[0,0,1] neg_hi:[0,0,1]
	v_mov_b32_e32 v43, v99
	s_delay_alu instid0(VALU_DEP_1)
	v_pk_add_f32 v[40:41], v[40:41], v[42:43]
.LBB56_253:                             ;   in Loop: Header=BB56_3 Depth=1
	s_or_b32 exec_lo, exec_lo, s24
	v_readlane_b32 s26, v105, 5
	s_barrier_signal -1
	s_barrier_wait -1
	;; [unrolled: 27-line block ×3, first 2 shown]
	s_and_saveexec_b32 s24, s26
; %bb.258:                              ;   in Loop: Header=BB56_3 Depth=1
	ds_store_b64 v71, v[40:41]
; %bb.259:                              ;   in Loop: Header=BB56_3 Depth=1
	s_or_b32 exec_lo, exec_lo, s24
	v_readlane_b32 s26, v105, 8
	s_wait_dscnt 0x0
	s_barrier_signal -1
	s_barrier_wait -1
	s_and_saveexec_b32 s24, s26
	s_cbranch_execz .LBB56_261
; %bb.260:                              ;   in Loop: Header=BB56_3 Depth=1
	ds_load_b64 v[42:43], v67 offset:9856
	ds_load_b64 v[44:45], v71
	s_wait_dscnt 0x0
	v_dual_mul_f32 v3, v45, v43 :: v_dual_mul_f32 v43, v44, v43
	s_delay_alu instid0(VALU_DEP_1) | instskip(NEXT) | instid1(VALU_DEP_1)
	v_fmac_f32_e32 v43, v45, v42
	v_dual_fma_f32 v3, v44, v42, -v3 :: v_dual_add_f32 v41, v41, v43
	s_delay_alu instid0(VALU_DEP_1)
	v_add_f32_e32 v40, v40, v3
.LBB56_261:                             ;   in Loop: Header=BB56_3 Depth=1
	s_or_b32 exec_lo, exec_lo, s24
	v_readlane_b32 s26, v105, 9
	s_barrier_signal -1
	s_barrier_wait -1
	s_and_saveexec_b32 s24, s26
; %bb.262:                              ;   in Loop: Header=BB56_3 Depth=1
	ds_store_b64 v71, v[40:41]
; %bb.263:                              ;   in Loop: Header=BB56_3 Depth=1
	s_or_b32 exec_lo, exec_lo, s24
	v_readlane_b32 s26, v105, 10
	s_wait_dscnt 0x0
	s_barrier_signal -1
	s_barrier_wait -1
	s_and_saveexec_b32 s24, s26
	s_cbranch_execz .LBB56_265
; %bb.264:                              ;   in Loop: Header=BB56_3 Depth=1
	ds_load_b64 v[42:43], v67 offset:10368
	ds_load_b64 v[44:45], v71
	s_wait_dscnt 0x0
	v_dual_mul_f32 v3, v45, v43 :: v_dual_mul_f32 v97, v44, v43
	s_delay_alu instid0(VALU_DEP_1) | instskip(NEXT) | instid1(VALU_DEP_1)
	v_dual_fma_f32 v96, v44, v42, -v3 :: v_dual_fmac_f32 v97, v45, v42
	v_pk_add_f32 v[40:41], v[40:41], v[96:97]
.LBB56_265:                             ;   in Loop: Header=BB56_3 Depth=1
	s_or_b32 exec_lo, exec_lo, s24
	v_readlane_b32 s26, v105, 11
	s_barrier_signal -1
	s_barrier_wait -1
	s_and_saveexec_b32 s24, s26
; %bb.266:                              ;   in Loop: Header=BB56_3 Depth=1
	ds_store_b64 v71, v[40:41]
; %bb.267:                              ;   in Loop: Header=BB56_3 Depth=1
	s_or_b32 exec_lo, exec_lo, s24
	v_readlane_b32 s26, v105, 12
	s_wait_dscnt 0x0
	s_barrier_signal -1
	s_barrier_wait -1
	s_and_saveexec_b32 s24, s26
	s_cbranch_execz .LBB56_269
; %bb.268:                              ;   in Loop: Header=BB56_3 Depth=1
	ds_load_b64 v[42:43], v67 offset:10880
	ds_load_b64 v[44:45], v71
	s_wait_dscnt 0x0
	v_pk_mul_f32 v[96:97], v[44:45], v[42:43] op_sel:[1,1] op_sel_hi:[0,1]
	s_delay_alu instid0(VALU_DEP_1) | instskip(SKIP_1) | instid1(VALU_DEP_2)
	v_pk_fma_f32 v[98:99], v[44:45], v[42:43], v[96:97] op_sel_hi:[1,0,1]
	v_pk_fma_f32 v[42:43], v[44:45], v[42:43], v[96:97] neg_lo:[0,0,1] neg_hi:[0,0,1]
	v_mov_b32_e32 v43, v99
	s_delay_alu instid0(VALU_DEP_1)
	v_pk_add_f32 v[40:41], v[40:41], v[42:43]
.LBB56_269:                             ;   in Loop: Header=BB56_3 Depth=1
	s_or_b32 exec_lo, exec_lo, s24
	v_readlane_b32 s26, v105, 13
	s_barrier_signal -1
	s_barrier_wait -1
	s_and_saveexec_b32 s24, s26
; %bb.270:                              ;   in Loop: Header=BB56_3 Depth=1
	ds_store_b64 v71, v[40:41]
; %bb.271:                              ;   in Loop: Header=BB56_3 Depth=1
	s_or_b32 exec_lo, exec_lo, s24
	s_wait_dscnt 0x0
	s_barrier_signal -1
	s_barrier_wait -1
	s_and_saveexec_b32 s24, s30
	s_cbranch_execz .LBB56_273
; %bb.272:                              ;   in Loop: Header=BB56_3 Depth=1
	ds_load_b64 v[42:43], v67 offset:11392
	ds_load_b64 v[44:45], v71
	s_wait_dscnt 0x0
	v_pk_mul_f32 v[96:97], v[44:45], v[42:43] op_sel:[1,1] op_sel_hi:[0,1]
	s_delay_alu instid0(VALU_DEP_1) | instskip(SKIP_1) | instid1(VALU_DEP_2)
	v_pk_fma_f32 v[98:99], v[44:45], v[42:43], v[96:97] op_sel_hi:[1,0,1]
	v_pk_fma_f32 v[42:43], v[44:45], v[42:43], v[96:97] neg_lo:[0,0,1] neg_hi:[0,0,1]
	v_mov_b32_e32 v43, v99
	s_delay_alu instid0(VALU_DEP_1)
	v_pk_add_f32 v[40:41], v[40:41], v[42:43]
.LBB56_273:                             ;   in Loop: Header=BB56_3 Depth=1
	s_or_b32 exec_lo, exec_lo, s24
	s_barrier_signal -1
	s_barrier_wait -1
	s_and_saveexec_b32 s24, s35
; %bb.274:                              ;   in Loop: Header=BB56_3 Depth=1
	ds_store_b64 v71, v[40:41]
; %bb.275:                              ;   in Loop: Header=BB56_3 Depth=1
	s_or_b32 exec_lo, exec_lo, s24
	s_wait_dscnt 0x0
	s_barrier_signal -1
	s_barrier_wait -1
	s_and_saveexec_b32 s24, s36
	s_cbranch_execz .LBB56_277
; %bb.276:                              ;   in Loop: Header=BB56_3 Depth=1
	ds_load_b64 v[42:43], v67 offset:11904
	ds_load_b64 v[44:45], v71
	s_wait_dscnt 0x0
	v_pk_mul_f32 v[96:97], v[44:45], v[42:43] op_sel:[1,1] op_sel_hi:[0,1]
	s_delay_alu instid0(VALU_DEP_1) | instskip(SKIP_1) | instid1(VALU_DEP_2)
	v_pk_fma_f32 v[98:99], v[44:45], v[42:43], v[96:97] op_sel_hi:[1,0,1]
	v_pk_fma_f32 v[42:43], v[44:45], v[42:43], v[96:97] neg_lo:[0,0,1] neg_hi:[0,0,1]
	v_mov_b32_e32 v43, v99
	s_delay_alu instid0(VALU_DEP_1)
	v_pk_add_f32 v[40:41], v[40:41], v[42:43]
.LBB56_277:                             ;   in Loop: Header=BB56_3 Depth=1
	s_or_b32 exec_lo, exec_lo, s24
	;; [unrolled: 25-line block ×3, first 2 shown]
	s_barrier_signal -1
	s_barrier_wait -1
	s_and_saveexec_b32 s24, s21
; %bb.282:                              ;   in Loop: Header=BB56_3 Depth=1
	ds_store_b64 v71, v[40:41]
; %bb.283:                              ;   in Loop: Header=BB56_3 Depth=1
	s_or_b32 exec_lo, exec_lo, s24
	s_wait_dscnt 0x0
	s_barrier_signal -1
	s_barrier_wait -1
	s_and_saveexec_b32 s24, s23
	s_cbranch_execz .LBB56_285
; %bb.284:                              ;   in Loop: Header=BB56_3 Depth=1
	ds_load_b64 v[42:43], v67 offset:12928
	ds_load_b64 v[44:45], v71
	s_wait_dscnt 0x0
	v_dual_mul_f32 v3, v45, v43 :: v_dual_mul_f32 v43, v44, v43
	s_delay_alu instid0(VALU_DEP_1) | instskip(NEXT) | instid1(VALU_DEP_1)
	v_fmac_f32_e32 v43, v45, v42
	v_dual_fma_f32 v3, v44, v42, -v3 :: v_dual_add_f32 v41, v41, v43
	s_delay_alu instid0(VALU_DEP_1)
	v_add_f32_e32 v40, v40, v3
.LBB56_285:                             ;   in Loop: Header=BB56_3 Depth=1
	s_or_b32 exec_lo, exec_lo, s24
	s_barrier_signal -1
	s_barrier_wait -1
	s_and_saveexec_b32 s24, s25
; %bb.286:                              ;   in Loop: Header=BB56_3 Depth=1
	ds_store_b64 v71, v[40:41]
; %bb.287:                              ;   in Loop: Header=BB56_3 Depth=1
	s_or_b32 exec_lo, exec_lo, s24
	s_wait_dscnt 0x0
	s_barrier_signal -1
	s_barrier_wait -1
	s_and_saveexec_b32 s24, s27
	s_cbranch_execz .LBB56_289
; %bb.288:                              ;   in Loop: Header=BB56_3 Depth=1
	ds_load_b64 v[42:43], v67 offset:13440
	ds_load_b64 v[44:45], v71
	s_wait_dscnt 0x0
	v_dual_mul_f32 v3, v45, v43 :: v_dual_mul_f32 v97, v44, v43
	s_delay_alu instid0(VALU_DEP_1) | instskip(NEXT) | instid1(VALU_DEP_1)
	v_dual_fma_f32 v96, v44, v42, -v3 :: v_dual_fmac_f32 v97, v45, v42
	v_pk_add_f32 v[40:41], v[40:41], v[96:97]
.LBB56_289:                             ;   in Loop: Header=BB56_3 Depth=1
	s_or_b32 exec_lo, exec_lo, s24
	s_barrier_signal -1
	s_barrier_wait -1
	s_and_saveexec_b32 s24, s29
; %bb.290:                              ;   in Loop: Header=BB56_3 Depth=1
	ds_store_b64 v71, v[40:41]
; %bb.291:                              ;   in Loop: Header=BB56_3 Depth=1
	s_or_b32 exec_lo, exec_lo, s24
	s_wait_dscnt 0x0
	s_barrier_signal -1
	s_barrier_wait -1
	s_and_saveexec_b32 s24, s92
	s_cbranch_execz .LBB56_293
; %bb.292:                              ;   in Loop: Header=BB56_3 Depth=1
	ds_load_b64 v[42:43], v67 offset:13952
	ds_load_b64 v[44:45], v71
	s_wait_dscnt 0x0
	v_pk_mul_f32 v[96:97], v[44:45], v[42:43] op_sel:[1,1] op_sel_hi:[0,1]
	s_delay_alu instid0(VALU_DEP_1) | instskip(SKIP_1) | instid1(VALU_DEP_2)
	v_pk_fma_f32 v[98:99], v[44:45], v[42:43], v[96:97] op_sel_hi:[1,0,1]
	v_pk_fma_f32 v[42:43], v[44:45], v[42:43], v[96:97] neg_lo:[0,0,1] neg_hi:[0,0,1]
	v_mov_b32_e32 v43, v99
	s_delay_alu instid0(VALU_DEP_1)
	v_pk_add_f32 v[40:41], v[40:41], v[42:43]
.LBB56_293:                             ;   in Loop: Header=BB56_3 Depth=1
	s_or_b32 exec_lo, exec_lo, s24
	s_barrier_signal -1
	s_barrier_wait -1
	s_and_saveexec_b32 s24, s52
; %bb.294:                              ;   in Loop: Header=BB56_3 Depth=1
	ds_store_b64 v71, v[40:41]
; %bb.295:                              ;   in Loop: Header=BB56_3 Depth=1
	s_or_b32 exec_lo, exec_lo, s24
	s_wait_dscnt 0x0
	s_barrier_signal -1
	s_barrier_wait -1
	s_and_saveexec_b32 s24, s53
	s_cbranch_execz .LBB56_297
; %bb.296:                              ;   in Loop: Header=BB56_3 Depth=1
	ds_load_b64 v[42:43], v67 offset:14464
	ds_load_b64 v[44:45], v71
	s_wait_dscnt 0x0
	v_pk_mul_f32 v[96:97], v[44:45], v[42:43] op_sel:[1,1] op_sel_hi:[0,1]
	s_delay_alu instid0(VALU_DEP_1) | instskip(SKIP_1) | instid1(VALU_DEP_2)
	v_pk_fma_f32 v[98:99], v[44:45], v[42:43], v[96:97] op_sel_hi:[1,0,1]
	v_pk_fma_f32 v[42:43], v[44:45], v[42:43], v[96:97] neg_lo:[0,0,1] neg_hi:[0,0,1]
	v_mov_b32_e32 v43, v99
	s_delay_alu instid0(VALU_DEP_1)
	v_pk_add_f32 v[40:41], v[40:41], v[42:43]
.LBB56_297:                             ;   in Loop: Header=BB56_3 Depth=1
	;; [unrolled: 25-line block ×4, first 2 shown]
	s_or_b32 exec_lo, exec_lo, s24
	s_barrier_signal -1
	s_barrier_wait -1
	s_and_saveexec_b32 s24, s57
; %bb.306:                              ;   in Loop: Header=BB56_3 Depth=1
	ds_store_b64 v71, v[40:41]
; %bb.307:                              ;   in Loop: Header=BB56_3 Depth=1
	s_or_b32 exec_lo, exec_lo, s24
	s_wait_dscnt 0x0
	s_barrier_signal -1
	s_barrier_wait -1
	s_barrier_signal -1
	s_barrier_wait -1
	s_and_saveexec_b32 s24, s4
; %bb.308:                              ;   in Loop: Header=BB56_3 Depth=1
	v_pk_add_f32 v[40:41], v[40:41], 0 neg_lo:[1,1] neg_hi:[1,1]
	ds_store_b64 v72, v[40:41] offset:128
; %bb.309:                              ;   in Loop: Header=BB56_3 Depth=1
	s_or_b32 exec_lo, exec_lo, s24
	s_wait_dscnt 0x0
	s_barrier_signal -1
	s_barrier_wait -1
	s_barrier_signal -1
	s_barrier_wait -1
	s_and_saveexec_b32 s61, s59
	s_cbranch_execz .LBB56_311
; %bb.310:                              ;   in Loop: Header=BB56_3 Depth=1
	ds_load_b64 v[40:41], v9 offset:128
	s_wait_dscnt 0x0
	ds_store_b64 v46, v[40:41] offset:8192
	ds_load_b64 v[40:41], v9 offset:136
	s_wait_dscnt 0x0
	ds_store_b64 v46, v[40:41] offset:8704
	;; [unrolled: 3-line block ×16, first 2 shown]
.LBB56_311:                             ;   in Loop: Header=BB56_3 Depth=1
	s_or_b32 exec_lo, exec_lo, s61
	s_wait_dscnt 0x0
	s_barrier_signal -1
	s_barrier_wait -1
	s_and_saveexec_b32 s24, s11
	s_cbranch_execz .LBB56_313
; %bb.312:                              ;   in Loop: Header=BB56_3 Depth=1
	ds_load_b64 v[40:41], v7 offset:8328
	v_add_nc_u32_e64 v3, 0x80, 0
	ds_store_b64 v7, v[34:35] offset:8840
	s_wait_dscnt 0x1
	ds_store_2addr_stride64_b64 v3, v[34:35], v[40:41] offset0:16 offset1:17
.LBB56_313:                             ;   in Loop: Header=BB56_3 Depth=1
	s_or_b32 exec_lo, exec_lo, s24
	v_mov_b64_e32 v[40:41], 0
	s_wait_dscnt 0x0
	s_barrier_signal -1
	s_barrier_wait -1
	s_and_saveexec_b32 s61, s0
	s_cbranch_execz .LBB56_317
; %bb.314:                              ;   in Loop: Header=BB56_3 Depth=1
	ds_load_b64 v[40:41], v61 offset:8336
	ds_load_b64 v[42:43], v62 offset:8320
	s_wait_dscnt 0x0
	v_pk_mul_f32 v[44:45], v[42:43], v[40:41] op_sel:[1,1] op_sel_hi:[0,1]
	s_delay_alu instid0(VALU_DEP_1) | instskip(SKIP_1) | instid1(VALU_DEP_2)
	v_pk_fma_f32 v[96:97], v[42:43], v[40:41], v[44:45] op_sel_hi:[1,0,1]
	v_pk_fma_f32 v[40:41], v[42:43], v[40:41], v[44:45] neg_lo:[0,0,1] neg_hi:[0,0,1]
	v_mov_b32_e32 v41, v97
	s_delay_alu instid0(VALU_DEP_1)
	v_pk_add_f32 v[40:41], v[40:41], 0 op_sel_hi:[1,0]
	s_and_saveexec_b32 s24, s12
	s_cbranch_execz .LBB56_316
; %bb.315:                              ;   in Loop: Header=BB56_3 Depth=1
	ds_load_b64 v[42:43], v5 offset:8848
	ds_load_b64 v[44:45], v7 offset:8328
	s_wait_dscnt 0x0
	v_pk_mul_f32 v[96:97], v[44:45], v[42:43] op_sel:[1,1] op_sel_hi:[0,1]
	s_delay_alu instid0(VALU_DEP_1) | instskip(SKIP_1) | instid1(VALU_DEP_2)
	v_pk_fma_f32 v[98:99], v[44:45], v[42:43], v[96:97] op_sel_hi:[1,0,1]
	v_pk_fma_f32 v[42:43], v[44:45], v[42:43], v[96:97] neg_lo:[0,0,1] neg_hi:[0,0,1]
	v_mov_b32_e32 v43, v99
	s_delay_alu instid0(VALU_DEP_1)
	v_pk_add_f32 v[40:41], v[40:41], v[42:43]
.LBB56_316:                             ;   in Loop: Header=BB56_3 Depth=1
	s_or_b32 exec_lo, exec_lo, s24
	s_delay_alu instid0(VALU_DEP_1)
	v_pk_add_f32 v[40:41], v[40:41], 0 neg_lo:[1,1] neg_hi:[1,1]
.LBB56_317:                             ;   in Loop: Header=BB56_3 Depth=1
	s_or_b32 exec_lo, exec_lo, s61
	s_and_saveexec_b32 s24, s94
; %bb.318:                              ;   in Loop: Header=BB56_3 Depth=1
	ds_store_b64 v51, v[40:41]
; %bb.319:                              ;   in Loop: Header=BB56_3 Depth=1
	s_or_b32 exec_lo, exec_lo, s24
	s_wait_dscnt 0x0
	s_barrier_signal -1
	s_barrier_wait -1
	s_and_saveexec_b32 s24, s95
	s_cbranch_execz .LBB56_321
; %bb.320:                              ;   in Loop: Header=BB56_3 Depth=1
	ds_load_b64 v[42:43], v7 offset:9368
	ds_load_b64 v[44:45], v51
	s_wait_dscnt 0x0
	v_pk_mul_f32 v[96:97], v[44:45], v[42:43] op_sel:[1,1] op_sel_hi:[0,1]
	s_delay_alu instid0(VALU_DEP_1) | instskip(SKIP_1) | instid1(VALU_DEP_2)
	v_pk_fma_f32 v[98:99], v[44:45], v[42:43], v[96:97] op_sel_hi:[1,0,1]
	v_pk_fma_f32 v[42:43], v[44:45], v[42:43], v[96:97] neg_lo:[0,0,1] neg_hi:[0,0,1]
	v_mov_b32_e32 v43, v99
	s_delay_alu instid0(VALU_DEP_1)
	v_pk_add_f32 v[40:41], v[40:41], v[42:43]
.LBB56_321:                             ;   in Loop: Header=BB56_3 Depth=1
	s_or_b32 exec_lo, exec_lo, s24
	s_barrier_signal -1
	s_barrier_wait -1
	s_and_saveexec_b32 s24, s95
; %bb.322:                              ;   in Loop: Header=BB56_3 Depth=1
	ds_store_b64 v51, v[40:41]
; %bb.323:                              ;   in Loop: Header=BB56_3 Depth=1
	s_or_b32 exec_lo, exec_lo, s24
	s_wait_dscnt 0x0
	s_barrier_signal -1
	s_barrier_wait -1
	s_barrier_signal -1
	s_barrier_wait -1
	s_and_saveexec_b32 s24, s0
; %bb.324:                              ;   in Loop: Header=BB56_3 Depth=1
	v_pk_add_f32 v[40:41], v[40:41], 0 neg_lo:[1,1] neg_hi:[1,1]
	ds_store_b64 v61, v[40:41] offset:8336
; %bb.325:                              ;   in Loop: Header=BB56_3 Depth=1
	s_or_b32 exec_lo, exec_lo, s24
	s_wait_dscnt 0x0
	s_barrier_signal -1
	s_barrier_wait -1
	s_barrier_signal -1
	s_barrier_wait -1
	s_and_saveexec_b32 s24, s96
	s_cbranch_execz .LBB56_327
; %bb.326:                              ;   in Loop: Header=BB56_3 Depth=1
	ds_load_b64 v[40:41], v9 offset:8336
	s_wait_dscnt 0x0
	ds_store_b64 v5, v[40:41] offset:9344
	ds_load_b64 v[40:41], v9 offset:8344
	s_wait_dscnt 0x0
	ds_store_b64 v5, v[40:41] offset:9856
.LBB56_327:                             ;   in Loop: Header=BB56_3 Depth=1
	s_or_b32 exec_lo, exec_lo, s24
	s_wait_dscnt 0x0
	s_barrier_signal -1
	s_barrier_wait -1
	s_and_saveexec_b32 s24, s11
	s_cbranch_execz .LBB56_329
; %bb.328:                              ;   in Loop: Header=BB56_3 Depth=1
	ds_load_b64 v[40:41], v7 offset:9368
	v_add_nc_u32_e64 v3, 0x90, 0
	ds_store_b64 v7, v[34:35] offset:9880
	s_wait_dscnt 0x1
	ds_store_2addr_stride64_b64 v3, v[34:35], v[40:41] offset0:18 offset1:19
.LBB56_329:                             ;   in Loop: Header=BB56_3 Depth=1
	s_or_b32 exec_lo, exec_lo, s24
	v_mov_b64_e32 v[40:41], 0
	s_wait_dscnt 0x0
	s_barrier_signal -1
	s_barrier_wait -1
	s_and_saveexec_b32 s62, s2
	s_cbranch_execz .LBB56_335
; %bb.330:                              ;   in Loop: Header=BB56_3 Depth=1
	ds_load_b64 v[40:41], v65 offset:8352
	ds_load_b64 v[42:43], v53 offset:8320
	s_wait_dscnt 0x0
	v_dual_mul_f32 v3, v43, v41 :: v_dual_mul_f32 v41, v42, v41
	s_delay_alu instid0(VALU_DEP_1) | instskip(NEXT) | instid1(VALU_DEP_1)
	v_dual_fma_f32 v3, v42, v40, -v3 :: v_dual_fmac_f32 v41, v43, v40
	v_dual_add_f32 v40, 0, v3 :: v_dual_add_f32 v41, 0, v41
	s_and_saveexec_b32 s24, s13
	s_cbranch_execnz .LBB56_1076
; %bb.331:                              ;   in Loop: Header=BB56_3 Depth=1
	s_or_b32 exec_lo, exec_lo, s24
	s_and_saveexec_b32 s24, s14
	s_cbranch_execnz .LBB56_1077
.LBB56_332:                             ;   in Loop: Header=BB56_3 Depth=1
	s_or_b32 exec_lo, exec_lo, s24
	s_and_saveexec_b32 s24, s0
	s_cbranch_execz .LBB56_334
.LBB56_333:                             ;   in Loop: Header=BB56_3 Depth=1
	ds_load_b64 v[42:43], v46 offset:9888
	ds_load_b64 v[44:45], v7 offset:8344
	s_wait_dscnt 0x0
	v_dual_mul_f32 v3, v45, v43 :: v_dual_mul_f32 v97, v44, v43
	s_delay_alu instid0(VALU_DEP_1) | instskip(NEXT) | instid1(VALU_DEP_1)
	v_dual_fma_f32 v96, v44, v42, -v3 :: v_dual_fmac_f32 v97, v45, v42
	v_pk_add_f32 v[40:41], v[40:41], v[96:97]
.LBB56_334:                             ;   in Loop: Header=BB56_3 Depth=1
	s_or_b32 exec_lo, exec_lo, s24
	s_delay_alu instid0(VALU_DEP_1)
	v_pk_add_f32 v[40:41], v[40:41], 0 neg_lo:[1,1] neg_hi:[1,1]
.LBB56_335:                             ;   in Loop: Header=BB56_3 Depth=1
	s_or_b32 exec_lo, exec_lo, s62
	s_and_saveexec_b32 s24, s97
; %bb.336:                              ;   in Loop: Header=BB56_3 Depth=1
	ds_store_b64 v63, v[40:41]
; %bb.337:                              ;   in Loop: Header=BB56_3 Depth=1
	s_or_b32 exec_lo, exec_lo, s24
	s_wait_dscnt 0x0
	s_barrier_signal -1
	s_barrier_wait -1
	s_and_saveexec_b32 s24, s98
	s_cbranch_execz .LBB56_339
; %bb.338:                              ;   in Loop: Header=BB56_3 Depth=1
	ds_load_b64 v[42:43], v60 offset:10400
	ds_load_b64 v[44:45], v63
	s_wait_dscnt 0x0
	v_pk_mul_f32 v[96:97], v[44:45], v[42:43] op_sel:[1,1] op_sel_hi:[0,1]
	s_delay_alu instid0(VALU_DEP_1) | instskip(SKIP_1) | instid1(VALU_DEP_2)
	v_pk_fma_f32 v[98:99], v[44:45], v[42:43], v[96:97] op_sel_hi:[1,0,1]
	v_pk_fma_f32 v[42:43], v[44:45], v[42:43], v[96:97] neg_lo:[0,0,1] neg_hi:[0,0,1]
	v_mov_b32_e32 v43, v99
	s_delay_alu instid0(VALU_DEP_1)
	v_pk_add_f32 v[40:41], v[40:41], v[42:43]
.LBB56_339:                             ;   in Loop: Header=BB56_3 Depth=1
	s_or_b32 exec_lo, exec_lo, s24
	s_barrier_signal -1
	s_barrier_wait -1
	s_and_saveexec_b32 s24, s99
; %bb.340:                              ;   in Loop: Header=BB56_3 Depth=1
	ds_store_b64 v63, v[40:41]
; %bb.341:                              ;   in Loop: Header=BB56_3 Depth=1
	s_or_b32 exec_lo, exec_lo, s24
	s_wait_dscnt 0x0
	s_barrier_signal -1
	s_barrier_wait -1
	s_and_saveexec_b32 s24, s100
	s_cbranch_execz .LBB56_343
; %bb.342:                              ;   in Loop: Header=BB56_3 Depth=1
	ds_load_b64 v[42:43], v60 offset:10912
	ds_load_b64 v[44:45], v63
	s_wait_dscnt 0x0
	v_pk_mul_f32 v[96:97], v[44:45], v[42:43] op_sel:[1,1] op_sel_hi:[0,1]
	s_delay_alu instid0(VALU_DEP_1) | instskip(SKIP_1) | instid1(VALU_DEP_2)
	v_pk_fma_f32 v[98:99], v[44:45], v[42:43], v[96:97] op_sel_hi:[1,0,1]
	v_pk_fma_f32 v[42:43], v[44:45], v[42:43], v[96:97] neg_lo:[0,0,1] neg_hi:[0,0,1]
	v_mov_b32_e32 v43, v99
	s_delay_alu instid0(VALU_DEP_1)
	v_pk_add_f32 v[40:41], v[40:41], v[42:43]
.LBB56_343:                             ;   in Loop: Header=BB56_3 Depth=1
	s_or_b32 exec_lo, exec_lo, s24
	s_barrier_signal -1
	s_barrier_wait -1
	;; [unrolled: 25-line block ×3, first 2 shown]
	s_and_saveexec_b32 s24, s102
; %bb.348:                              ;   in Loop: Header=BB56_3 Depth=1
	ds_store_b64 v63, v[40:41]
; %bb.349:                              ;   in Loop: Header=BB56_3 Depth=1
	s_or_b32 exec_lo, exec_lo, s24
	s_wait_dscnt 0x0
	s_barrier_signal -1
	s_barrier_wait -1
	s_barrier_signal -1
	s_barrier_wait -1
	s_and_saveexec_b32 s24, s2
; %bb.350:                              ;   in Loop: Header=BB56_3 Depth=1
	v_pk_add_f32 v[40:41], v[40:41], 0 neg_lo:[1,1] neg_hi:[1,1]
	ds_store_b64 v65, v[40:41] offset:8352
; %bb.351:                              ;   in Loop: Header=BB56_3 Depth=1
	s_or_b32 exec_lo, exec_lo, s24
	s_wait_dscnt 0x0
	s_barrier_signal -1
	s_barrier_wait -1
	s_barrier_signal -1
	s_barrier_wait -1
	s_and_saveexec_b32 s24, s103
	s_cbranch_execz .LBB56_353
; %bb.352:                              ;   in Loop: Header=BB56_3 Depth=1
	ds_load_b64 v[40:41], v47 offset:8352
	s_wait_dscnt 0x0
	ds_store_b64 v48, v[40:41] offset:10368
	ds_load_b64 v[40:41], v47 offset:8360
	s_wait_dscnt 0x0
	ds_store_b64 v48, v[40:41] offset:10880
	;; [unrolled: 3-line block ×4, first 2 shown]
.LBB56_353:                             ;   in Loop: Header=BB56_3 Depth=1
	s_or_b32 exec_lo, exec_lo, s24
	s_wait_dscnt 0x0
	s_barrier_signal -1
	s_barrier_wait -1
	s_and_saveexec_b32 s24, s11
	s_cbranch_execz .LBB56_355
; %bb.354:                              ;   in Loop: Header=BB56_3 Depth=1
	ds_load_b64 v[40:41], v7 offset:10408
	v_add_nc_u32_e64 v3, 0xa0, 0
	ds_store_b64 v7, v[34:35] offset:10920
	s_wait_dscnt 0x1
	ds_store_2addr_stride64_b64 v3, v[34:35], v[40:41] offset0:20 offset1:21
.LBB56_355:                             ;   in Loop: Header=BB56_3 Depth=1
	s_or_b32 exec_lo, exec_lo, s24
	v_mov_b64_e32 v[40:41], 0
	s_wait_dscnt 0x0
	s_barrier_signal -1
	s_barrier_wait -1
	s_and_saveexec_b32 s61, s0
	s_cbranch_execz .LBB56_359
; %bb.356:                              ;   in Loop: Header=BB56_3 Depth=1
	ds_load_b64 v[40:41], v61 offset:10416
	ds_load_b64 v[42:43], v62 offset:10400
	s_wait_dscnt 0x0
	v_pk_mul_f32 v[44:45], v[42:43], v[40:41] op_sel:[1,1] op_sel_hi:[0,1]
	s_delay_alu instid0(VALU_DEP_1) | instskip(SKIP_1) | instid1(VALU_DEP_2)
	v_pk_fma_f32 v[96:97], v[42:43], v[40:41], v[44:45] op_sel_hi:[1,0,1]
	v_pk_fma_f32 v[40:41], v[42:43], v[40:41], v[44:45] neg_lo:[0,0,1] neg_hi:[0,0,1]
	v_mov_b32_e32 v41, v97
	s_delay_alu instid0(VALU_DEP_1)
	v_pk_add_f32 v[40:41], v[40:41], 0 op_sel_hi:[1,0]
	s_and_saveexec_b32 s24, s12
	s_cbranch_execz .LBB56_358
; %bb.357:                              ;   in Loop: Header=BB56_3 Depth=1
	ds_load_b64 v[42:43], v48 offset:10928
	ds_load_b64 v[44:45], v7 offset:10408
	s_wait_dscnt 0x0
	v_pk_mul_f32 v[96:97], v[44:45], v[42:43] op_sel:[1,1] op_sel_hi:[0,1]
	s_delay_alu instid0(VALU_DEP_1) | instskip(SKIP_1) | instid1(VALU_DEP_2)
	v_pk_fma_f32 v[98:99], v[44:45], v[42:43], v[96:97] op_sel_hi:[1,0,1]
	v_pk_fma_f32 v[42:43], v[44:45], v[42:43], v[96:97] neg_lo:[0,0,1] neg_hi:[0,0,1]
	v_mov_b32_e32 v43, v99
	s_delay_alu instid0(VALU_DEP_1)
	v_pk_add_f32 v[40:41], v[40:41], v[42:43]
.LBB56_358:                             ;   in Loop: Header=BB56_3 Depth=1
	s_or_b32 exec_lo, exec_lo, s24
	s_delay_alu instid0(VALU_DEP_1)
	v_pk_add_f32 v[40:41], v[40:41], 0 neg_lo:[1,1] neg_hi:[1,1]
.LBB56_359:                             ;   in Loop: Header=BB56_3 Depth=1
	s_or_b32 exec_lo, exec_lo, s61
	s_and_saveexec_b32 s24, s94
; %bb.360:                              ;   in Loop: Header=BB56_3 Depth=1
	ds_store_b64 v51, v[40:41]
; %bb.361:                              ;   in Loop: Header=BB56_3 Depth=1
	s_or_b32 exec_lo, exec_lo, s24
	s_wait_dscnt 0x0
	s_barrier_signal -1
	s_barrier_wait -1
	s_and_saveexec_b32 s24, s95
	s_cbranch_execz .LBB56_363
; %bb.362:                              ;   in Loop: Header=BB56_3 Depth=1
	ds_load_b64 v[42:43], v7 offset:11448
	ds_load_b64 v[44:45], v51
	s_wait_dscnt 0x0
	v_pk_mul_f32 v[96:97], v[44:45], v[42:43] op_sel:[1,1] op_sel_hi:[0,1]
	s_delay_alu instid0(VALU_DEP_1) | instskip(SKIP_1) | instid1(VALU_DEP_2)
	v_pk_fma_f32 v[98:99], v[44:45], v[42:43], v[96:97] op_sel_hi:[1,0,1]
	v_pk_fma_f32 v[42:43], v[44:45], v[42:43], v[96:97] neg_lo:[0,0,1] neg_hi:[0,0,1]
	v_mov_b32_e32 v43, v99
	s_delay_alu instid0(VALU_DEP_1)
	v_pk_add_f32 v[40:41], v[40:41], v[42:43]
.LBB56_363:                             ;   in Loop: Header=BB56_3 Depth=1
	s_or_b32 exec_lo, exec_lo, s24
	s_barrier_signal -1
	s_barrier_wait -1
	s_and_saveexec_b32 s24, s95
; %bb.364:                              ;   in Loop: Header=BB56_3 Depth=1
	ds_store_b64 v51, v[40:41]
; %bb.365:                              ;   in Loop: Header=BB56_3 Depth=1
	s_or_b32 exec_lo, exec_lo, s24
	s_wait_dscnt 0x0
	s_barrier_signal -1
	s_barrier_wait -1
	s_barrier_signal -1
	s_barrier_wait -1
	s_and_saveexec_b32 s24, s0
; %bb.366:                              ;   in Loop: Header=BB56_3 Depth=1
	v_pk_add_f32 v[40:41], v[40:41], 0 neg_lo:[1,1] neg_hi:[1,1]
	ds_store_b64 v61, v[40:41] offset:10416
; %bb.367:                              ;   in Loop: Header=BB56_3 Depth=1
	s_or_b32 exec_lo, exec_lo, s24
	s_wait_dscnt 0x0
	s_barrier_signal -1
	s_barrier_wait -1
	s_barrier_signal -1
	s_barrier_wait -1
	s_and_saveexec_b32 s24, s96
	s_cbranch_execz .LBB56_369
; %bb.368:                              ;   in Loop: Header=BB56_3 Depth=1
	ds_load_b64 v[40:41], v49 offset:10416
	s_wait_dscnt 0x0
	ds_store_b64 v48, v[40:41] offset:11424
	ds_load_b64 v[40:41], v49 offset:10424
	s_wait_dscnt 0x0
	ds_store_b64 v48, v[40:41] offset:11936
.LBB56_369:                             ;   in Loop: Header=BB56_3 Depth=1
	s_or_b32 exec_lo, exec_lo, s24
	s_wait_dscnt 0x0
	s_barrier_signal -1
	s_barrier_wait -1
	s_and_saveexec_b32 s24, s11
	s_cbranch_execz .LBB56_371
; %bb.370:                              ;   in Loop: Header=BB56_3 Depth=1
	ds_load_b64 v[40:41], v7 offset:11448
	v_add_nc_u32_e64 v3, 0xb0, 0
	ds_store_b64 v7, v[34:35] offset:11960
	s_wait_dscnt 0x1
	ds_store_2addr_stride64_b64 v3, v[34:35], v[40:41] offset0:22 offset1:23
.LBB56_371:                             ;   in Loop: Header=BB56_3 Depth=1
	s_or_b32 exec_lo, exec_lo, s24
	v_mov_b64_e32 v[40:41], 0
	s_wait_dscnt 0x0
	s_barrier_signal -1
	s_barrier_wait -1
	s_and_saveexec_b32 s62, s3
	s_cbranch_execz .LBB56_381
; %bb.372:                              ;   in Loop: Header=BB56_3 Depth=1
	ds_load_b64 v[40:41], v69 offset:8384
	ds_load_b64 v[42:43], v55 offset:8320
	s_wait_dscnt 0x0
	v_dual_mul_f32 v3, v43, v41 :: v_dual_mul_f32 v41, v42, v41
	s_delay_alu instid0(VALU_DEP_1) | instskip(NEXT) | instid1(VALU_DEP_1)
	v_dual_fma_f32 v3, v42, v40, -v3 :: v_dual_fmac_f32 v41, v43, v40
	v_dual_add_f32 v40, 0, v3 :: v_dual_add_f32 v41, 0, v41
	s_and_saveexec_b32 s24, s15
	s_cbranch_execnz .LBB56_1078
; %bb.373:                              ;   in Loop: Header=BB56_3 Depth=1
	s_or_b32 exec_lo, exec_lo, s24
	s_and_saveexec_b32 s24, s16
	s_cbranch_execnz .LBB56_1079
.LBB56_374:                             ;   in Loop: Header=BB56_3 Depth=1
	s_or_b32 exec_lo, exec_lo, s24
	s_and_saveexec_b32 s24, s17
	s_cbranch_execnz .LBB56_1080
.LBB56_375:                             ;   in Loop: Header=BB56_3 Depth=1
	s_or_b32 exec_lo, exec_lo, s24
	s_and_saveexec_b32 s24, s18
	s_cbranch_execnz .LBB56_1081
.LBB56_376:                             ;   in Loop: Header=BB56_3 Depth=1
	s_or_b32 exec_lo, exec_lo, s24
	s_and_saveexec_b32 s24, s19
	s_cbranch_execnz .LBB56_1082
.LBB56_377:                             ;   in Loop: Header=BB56_3 Depth=1
	s_or_b32 exec_lo, exec_lo, s24
	s_and_saveexec_b32 s24, s2
	s_cbranch_execnz .LBB56_1083
.LBB56_378:                             ;   in Loop: Header=BB56_3 Depth=1
	s_or_b32 exec_lo, exec_lo, s24
	s_and_saveexec_b32 s24, s14
	s_cbranch_execz .LBB56_380
.LBB56_379:                             ;   in Loop: Header=BB56_3 Depth=1
	ds_load_b64 v[42:43], v5 offset:11968
	ds_load_b64 v[44:45], v7 offset:8376
	s_wait_dscnt 0x0
	v_pk_mul_f32 v[96:97], v[44:45], v[42:43] op_sel:[1,1] op_sel_hi:[0,1]
	s_delay_alu instid0(VALU_DEP_1) | instskip(SKIP_1) | instid1(VALU_DEP_2)
	v_pk_fma_f32 v[98:99], v[44:45], v[42:43], v[96:97] op_sel_hi:[1,0,1]
	v_pk_fma_f32 v[42:43], v[44:45], v[42:43], v[96:97] neg_lo:[0,0,1] neg_hi:[0,0,1]
	v_mov_b32_e32 v43, v99
	s_delay_alu instid0(VALU_DEP_1)
	v_pk_add_f32 v[40:41], v[40:41], v[42:43]
.LBB56_380:                             ;   in Loop: Header=BB56_3 Depth=1
	s_or_b32 exec_lo, exec_lo, s24
	s_delay_alu instid0(VALU_DEP_1)
	v_pk_add_f32 v[40:41], v[40:41], 0 neg_lo:[1,1] neg_hi:[1,1]
.LBB56_381:                             ;   in Loop: Header=BB56_3 Depth=1
	s_or_b32 exec_lo, exec_lo, s62
	s_and_saveexec_b32 s24, s104
; %bb.382:                              ;   in Loop: Header=BB56_3 Depth=1
	ds_store_b64 v68, v[40:41]
; %bb.383:                              ;   in Loop: Header=BB56_3 Depth=1
	s_or_b32 exec_lo, exec_lo, s24
	s_wait_dscnt 0x0
	s_barrier_signal -1
	s_barrier_wait -1
	s_and_saveexec_b32 s24, vcc_hi
	s_cbranch_execz .LBB56_385
; %bb.384:                              ;   in Loop: Header=BB56_3 Depth=1
	ds_load_b64 v[42:43], v64 offset:12480
	ds_load_b64 v[44:45], v68
	s_wait_dscnt 0x0
	v_pk_mul_f32 v[96:97], v[44:45], v[42:43] op_sel:[1,1] op_sel_hi:[0,1]
	s_delay_alu instid0(VALU_DEP_1) | instskip(SKIP_1) | instid1(VALU_DEP_2)
	v_pk_fma_f32 v[98:99], v[44:45], v[42:43], v[96:97] op_sel_hi:[1,0,1]
	v_pk_fma_f32 v[42:43], v[44:45], v[42:43], v[96:97] neg_lo:[0,0,1] neg_hi:[0,0,1]
	v_mov_b32_e32 v43, v99
	s_delay_alu instid0(VALU_DEP_1)
	v_pk_add_f32 v[40:41], v[40:41], v[42:43]
.LBB56_385:                             ;   in Loop: Header=BB56_3 Depth=1
	s_or_b32 exec_lo, exec_lo, s24
	s_barrier_signal -1
	s_barrier_wait -1
	s_and_saveexec_b32 s24, s39
; %bb.386:                              ;   in Loop: Header=BB56_3 Depth=1
	ds_store_b64 v68, v[40:41]
; %bb.387:                              ;   in Loop: Header=BB56_3 Depth=1
	s_or_b32 exec_lo, exec_lo, s24
	s_wait_dscnt 0x0
	s_barrier_signal -1
	s_barrier_wait -1
	s_and_saveexec_b32 s24, s40
	s_cbranch_execz .LBB56_389
; %bb.388:                              ;   in Loop: Header=BB56_3 Depth=1
	ds_load_b64 v[42:43], v64 offset:12992
	ds_load_b64 v[44:45], v68
	s_wait_dscnt 0x0
	v_dual_mul_f32 v3, v45, v43 :: v_dual_mul_f32 v43, v44, v43
	s_delay_alu instid0(VALU_DEP_1) | instskip(NEXT) | instid1(VALU_DEP_1)
	v_fmac_f32_e32 v43, v45, v42
	v_dual_fma_f32 v3, v44, v42, -v3 :: v_dual_add_f32 v41, v41, v43
	s_delay_alu instid0(VALU_DEP_1)
	v_add_f32_e32 v40, v40, v3
.LBB56_389:                             ;   in Loop: Header=BB56_3 Depth=1
	s_or_b32 exec_lo, exec_lo, s24
	s_barrier_signal -1
	s_barrier_wait -1
	s_and_saveexec_b32 s24, s41
; %bb.390:                              ;   in Loop: Header=BB56_3 Depth=1
	ds_store_b64 v68, v[40:41]
; %bb.391:                              ;   in Loop: Header=BB56_3 Depth=1
	s_or_b32 exec_lo, exec_lo, s24
	s_wait_dscnt 0x0
	s_barrier_signal -1
	s_barrier_wait -1
	s_and_saveexec_b32 s24, s42
	s_cbranch_execz .LBB56_393
; %bb.392:                              ;   in Loop: Header=BB56_3 Depth=1
	ds_load_b64 v[42:43], v64 offset:13504
	ds_load_b64 v[44:45], v68
	s_wait_dscnt 0x0
	v_dual_mul_f32 v3, v45, v43 :: v_dual_mul_f32 v97, v44, v43
	s_delay_alu instid0(VALU_DEP_1) | instskip(NEXT) | instid1(VALU_DEP_1)
	v_dual_fma_f32 v96, v44, v42, -v3 :: v_dual_fmac_f32 v97, v45, v42
	v_pk_add_f32 v[40:41], v[40:41], v[96:97]
.LBB56_393:                             ;   in Loop: Header=BB56_3 Depth=1
	s_or_b32 exec_lo, exec_lo, s24
	s_barrier_signal -1
	s_barrier_wait -1
	s_and_saveexec_b32 s24, s43
; %bb.394:                              ;   in Loop: Header=BB56_3 Depth=1
	ds_store_b64 v68, v[40:41]
; %bb.395:                              ;   in Loop: Header=BB56_3 Depth=1
	s_or_b32 exec_lo, exec_lo, s24
	s_wait_dscnt 0x0
	s_barrier_signal -1
	s_barrier_wait -1
	s_and_saveexec_b32 s24, s44
	s_cbranch_execz .LBB56_397
; %bb.396:                              ;   in Loop: Header=BB56_3 Depth=1
	ds_load_b64 v[42:43], v64 offset:14016
	ds_load_b64 v[44:45], v68
	s_wait_dscnt 0x0
	v_pk_mul_f32 v[96:97], v[44:45], v[42:43] op_sel:[1,1] op_sel_hi:[0,1]
	s_delay_alu instid0(VALU_DEP_1) | instskip(SKIP_1) | instid1(VALU_DEP_2)
	v_pk_fma_f32 v[98:99], v[44:45], v[42:43], v[96:97] op_sel_hi:[1,0,1]
	v_pk_fma_f32 v[42:43], v[44:45], v[42:43], v[96:97] neg_lo:[0,0,1] neg_hi:[0,0,1]
	v_mov_b32_e32 v43, v99
	s_delay_alu instid0(VALU_DEP_1)
	v_pk_add_f32 v[40:41], v[40:41], v[42:43]
.LBB56_397:                             ;   in Loop: Header=BB56_3 Depth=1
	s_or_b32 exec_lo, exec_lo, s24
	s_barrier_signal -1
	s_barrier_wait -1
	s_and_saveexec_b32 s24, s45
; %bb.398:                              ;   in Loop: Header=BB56_3 Depth=1
	ds_store_b64 v68, v[40:41]
; %bb.399:                              ;   in Loop: Header=BB56_3 Depth=1
	s_or_b32 exec_lo, exec_lo, s24
	s_wait_dscnt 0x0
	s_barrier_signal -1
	s_barrier_wait -1
	s_and_saveexec_b32 s24, s46
	s_cbranch_execz .LBB56_401
; %bb.400:                              ;   in Loop: Header=BB56_3 Depth=1
	ds_load_b64 v[42:43], v64 offset:14528
	ds_load_b64 v[44:45], v68
	s_wait_dscnt 0x0
	v_pk_mul_f32 v[96:97], v[44:45], v[42:43] op_sel:[1,1] op_sel_hi:[0,1]
	s_delay_alu instid0(VALU_DEP_1) | instskip(SKIP_1) | instid1(VALU_DEP_2)
	v_pk_fma_f32 v[98:99], v[44:45], v[42:43], v[96:97] op_sel_hi:[1,0,1]
	v_pk_fma_f32 v[42:43], v[44:45], v[42:43], v[96:97] neg_lo:[0,0,1] neg_hi:[0,0,1]
	v_mov_b32_e32 v43, v99
	s_delay_alu instid0(VALU_DEP_1)
	v_pk_add_f32 v[40:41], v[40:41], v[42:43]
.LBB56_401:                             ;   in Loop: Header=BB56_3 Depth=1
	;; [unrolled: 25-line block ×4, first 2 shown]
	s_or_b32 exec_lo, exec_lo, s24
	s_barrier_signal -1
	s_barrier_wait -1
	s_and_saveexec_b32 s24, s50
; %bb.410:                              ;   in Loop: Header=BB56_3 Depth=1
	ds_store_b64 v68, v[40:41]
; %bb.411:                              ;   in Loop: Header=BB56_3 Depth=1
	s_or_b32 exec_lo, exec_lo, s24
	s_wait_dscnt 0x0
	s_barrier_signal -1
	s_barrier_wait -1
	s_barrier_signal -1
	s_barrier_wait -1
	s_and_saveexec_b32 s24, s3
; %bb.412:                              ;   in Loop: Header=BB56_3 Depth=1
	v_pk_add_f32 v[40:41], v[40:41], 0 neg_lo:[1,1] neg_hi:[1,1]
	ds_store_b64 v69, v[40:41] offset:8384
; %bb.413:                              ;   in Loop: Header=BB56_3 Depth=1
	s_or_b32 exec_lo, exec_lo, s24
	s_wait_dscnt 0x0
	s_barrier_signal -1
	s_barrier_wait -1
	s_barrier_signal -1
	s_barrier_wait -1
	s_and_saveexec_b32 s24, s51
	s_cbranch_execz .LBB56_415
; %bb.414:                              ;   in Loop: Header=BB56_3 Depth=1
	ds_load_b64 v[40:41], v9 offset:8384
	s_wait_dscnt 0x0
	ds_store_b64 v46, v[40:41] offset:12416
	ds_load_b64 v[40:41], v9 offset:8392
	s_wait_dscnt 0x0
	ds_store_b64 v46, v[40:41] offset:12928
	;; [unrolled: 3-line block ×8, first 2 shown]
.LBB56_415:                             ;   in Loop: Header=BB56_3 Depth=1
	s_or_b32 exec_lo, exec_lo, s24
	s_wait_dscnt 0x0
	s_barrier_signal -1
	s_barrier_wait -1
	s_and_saveexec_b32 s24, s11
	s_cbranch_execz .LBB56_417
; %bb.416:                              ;   in Loop: Header=BB56_3 Depth=1
	ds_load_b64 v[40:41], v7 offset:12488
	v_add_nc_u32_e64 v3, 0xc0, 0
	ds_store_b64 v7, v[34:35] offset:13000
	s_wait_dscnt 0x1
	ds_store_2addr_stride64_b64 v3, v[34:35], v[40:41] offset0:24 offset1:25
.LBB56_417:                             ;   in Loop: Header=BB56_3 Depth=1
	s_or_b32 exec_lo, exec_lo, s24
	v_mov_b64_e32 v[40:41], 0
	s_wait_dscnt 0x0
	s_barrier_signal -1
	s_barrier_wait -1
	s_and_saveexec_b32 s61, s0
	s_cbranch_execz .LBB56_421
; %bb.418:                              ;   in Loop: Header=BB56_3 Depth=1
	ds_load_b64 v[40:41], v61 offset:12496
	ds_load_b64 v[42:43], v62 offset:12480
	s_wait_dscnt 0x0
	v_pk_mul_f32 v[44:45], v[42:43], v[40:41] op_sel:[1,1] op_sel_hi:[0,1]
	s_delay_alu instid0(VALU_DEP_1) | instskip(SKIP_1) | instid1(VALU_DEP_2)
	v_pk_fma_f32 v[96:97], v[42:43], v[40:41], v[44:45] op_sel_hi:[1,0,1]
	v_pk_fma_f32 v[40:41], v[42:43], v[40:41], v[44:45] neg_lo:[0,0,1] neg_hi:[0,0,1]
	v_mov_b32_e32 v41, v97
	s_delay_alu instid0(VALU_DEP_1)
	v_pk_add_f32 v[40:41], v[40:41], 0 op_sel_hi:[1,0]
	s_and_saveexec_b32 s24, s12
	s_cbranch_execz .LBB56_420
; %bb.419:                              ;   in Loop: Header=BB56_3 Depth=1
	ds_load_b64 v[42:43], v46 offset:13008
	ds_load_b64 v[44:45], v7 offset:12488
	s_wait_dscnt 0x0
	v_pk_mul_f32 v[96:97], v[44:45], v[42:43] op_sel:[1,1] op_sel_hi:[0,1]
	s_delay_alu instid0(VALU_DEP_1) | instskip(SKIP_1) | instid1(VALU_DEP_2)
	v_pk_fma_f32 v[98:99], v[44:45], v[42:43], v[96:97] op_sel_hi:[1,0,1]
	v_pk_fma_f32 v[42:43], v[44:45], v[42:43], v[96:97] neg_lo:[0,0,1] neg_hi:[0,0,1]
	v_mov_b32_e32 v43, v99
	s_delay_alu instid0(VALU_DEP_1)
	v_pk_add_f32 v[40:41], v[40:41], v[42:43]
.LBB56_420:                             ;   in Loop: Header=BB56_3 Depth=1
	s_or_b32 exec_lo, exec_lo, s24
	s_delay_alu instid0(VALU_DEP_1)
	v_pk_add_f32 v[40:41], v[40:41], 0 neg_lo:[1,1] neg_hi:[1,1]
.LBB56_421:                             ;   in Loop: Header=BB56_3 Depth=1
	s_or_b32 exec_lo, exec_lo, s61
	s_and_saveexec_b32 s24, s94
; %bb.422:                              ;   in Loop: Header=BB56_3 Depth=1
	ds_store_b64 v51, v[40:41]
; %bb.423:                              ;   in Loop: Header=BB56_3 Depth=1
	s_or_b32 exec_lo, exec_lo, s24
	s_wait_dscnt 0x0
	s_barrier_signal -1
	s_barrier_wait -1
	s_and_saveexec_b32 s24, s95
	s_cbranch_execz .LBB56_425
; %bb.424:                              ;   in Loop: Header=BB56_3 Depth=1
	ds_load_b64 v[42:43], v7 offset:13528
	ds_load_b64 v[44:45], v51
	s_wait_dscnt 0x0
	v_pk_mul_f32 v[96:97], v[44:45], v[42:43] op_sel:[1,1] op_sel_hi:[0,1]
	s_delay_alu instid0(VALU_DEP_1) | instskip(SKIP_1) | instid1(VALU_DEP_2)
	v_pk_fma_f32 v[98:99], v[44:45], v[42:43], v[96:97] op_sel_hi:[1,0,1]
	v_pk_fma_f32 v[42:43], v[44:45], v[42:43], v[96:97] neg_lo:[0,0,1] neg_hi:[0,0,1]
	v_mov_b32_e32 v43, v99
	s_delay_alu instid0(VALU_DEP_1)
	v_pk_add_f32 v[40:41], v[40:41], v[42:43]
.LBB56_425:                             ;   in Loop: Header=BB56_3 Depth=1
	s_or_b32 exec_lo, exec_lo, s24
	s_barrier_signal -1
	s_barrier_wait -1
	s_and_saveexec_b32 s24, s95
; %bb.426:                              ;   in Loop: Header=BB56_3 Depth=1
	ds_store_b64 v51, v[40:41]
; %bb.427:                              ;   in Loop: Header=BB56_3 Depth=1
	s_or_b32 exec_lo, exec_lo, s24
	s_wait_dscnt 0x0
	s_barrier_signal -1
	s_barrier_wait -1
	s_barrier_signal -1
	s_barrier_wait -1
	s_and_saveexec_b32 s24, s0
; %bb.428:                              ;   in Loop: Header=BB56_3 Depth=1
	v_pk_add_f32 v[40:41], v[40:41], 0 neg_lo:[1,1] neg_hi:[1,1]
	ds_store_b64 v61, v[40:41] offset:12496
; %bb.429:                              ;   in Loop: Header=BB56_3 Depth=1
	s_or_b32 exec_lo, exec_lo, s24
	s_wait_dscnt 0x0
	s_barrier_signal -1
	s_barrier_wait -1
	s_barrier_signal -1
	s_barrier_wait -1
	s_and_saveexec_b32 s24, s96
	s_cbranch_execz .LBB56_431
; %bb.430:                              ;   in Loop: Header=BB56_3 Depth=1
	ds_load_b64 v[40:41], v47 offset:12496
	s_wait_dscnt 0x0
	ds_store_b64 v46, v[40:41] offset:13504
	ds_load_b64 v[40:41], v47 offset:12504
	s_wait_dscnt 0x0
	ds_store_b64 v46, v[40:41] offset:14016
.LBB56_431:                             ;   in Loop: Header=BB56_3 Depth=1
	s_or_b32 exec_lo, exec_lo, s24
	s_wait_dscnt 0x0
	s_barrier_signal -1
	s_barrier_wait -1
	s_and_saveexec_b32 s24, s11
	s_cbranch_execz .LBB56_433
; %bb.432:                              ;   in Loop: Header=BB56_3 Depth=1
	ds_load_b64 v[40:41], v7 offset:13528
	v_add_nc_u32_e64 v3, 0xd0, 0
	ds_store_b64 v7, v[34:35] offset:14040
	s_wait_dscnt 0x1
	ds_store_2addr_stride64_b64 v3, v[34:35], v[40:41] offset0:26 offset1:27
.LBB56_433:                             ;   in Loop: Header=BB56_3 Depth=1
	s_or_b32 exec_lo, exec_lo, s24
	v_mov_b64_e32 v[40:41], 0
	s_wait_dscnt 0x0
	s_barrier_signal -1
	s_barrier_wait -1
	s_and_saveexec_b32 s62, s2
	s_cbranch_execz .LBB56_439
; %bb.434:                              ;   in Loop: Header=BB56_3 Depth=1
	ds_load_b64 v[40:41], v65 offset:12512
	ds_load_b64 v[42:43], v53 offset:12480
	s_wait_dscnt 0x0
	v_dual_mul_f32 v3, v43, v41 :: v_dual_mul_f32 v41, v42, v41
	s_delay_alu instid0(VALU_DEP_1) | instskip(NEXT) | instid1(VALU_DEP_1)
	v_dual_fma_f32 v3, v42, v40, -v3 :: v_dual_fmac_f32 v41, v43, v40
	v_dual_add_f32 v40, 0, v3 :: v_dual_add_f32 v41, 0, v41
	s_and_saveexec_b32 s24, s13
	s_cbranch_execnz .LBB56_1084
; %bb.435:                              ;   in Loop: Header=BB56_3 Depth=1
	s_or_b32 exec_lo, exec_lo, s24
	s_and_saveexec_b32 s24, s14
	s_cbranch_execnz .LBB56_1085
.LBB56_436:                             ;   in Loop: Header=BB56_3 Depth=1
	s_or_b32 exec_lo, exec_lo, s24
	s_and_saveexec_b32 s24, s0
	s_cbranch_execz .LBB56_438
.LBB56_437:                             ;   in Loop: Header=BB56_3 Depth=1
	ds_load_b64 v[42:43], v48 offset:14048
	ds_load_b64 v[44:45], v7 offset:12504
	s_wait_dscnt 0x0
	v_dual_mul_f32 v3, v45, v43 :: v_dual_mul_f32 v97, v44, v43
	s_delay_alu instid0(VALU_DEP_1) | instskip(NEXT) | instid1(VALU_DEP_1)
	v_dual_fma_f32 v96, v44, v42, -v3 :: v_dual_fmac_f32 v97, v45, v42
	v_pk_add_f32 v[40:41], v[40:41], v[96:97]
.LBB56_438:                             ;   in Loop: Header=BB56_3 Depth=1
	s_or_b32 exec_lo, exec_lo, s24
	s_delay_alu instid0(VALU_DEP_1)
	v_pk_add_f32 v[40:41], v[40:41], 0 neg_lo:[1,1] neg_hi:[1,1]
.LBB56_439:                             ;   in Loop: Header=BB56_3 Depth=1
	s_or_b32 exec_lo, exec_lo, s62
	s_and_saveexec_b32 s24, s97
; %bb.440:                              ;   in Loop: Header=BB56_3 Depth=1
	ds_store_b64 v63, v[40:41]
; %bb.441:                              ;   in Loop: Header=BB56_3 Depth=1
	s_or_b32 exec_lo, exec_lo, s24
	s_wait_dscnt 0x0
	s_barrier_signal -1
	s_barrier_wait -1
	s_and_saveexec_b32 s24, s98
	s_cbranch_execz .LBB56_443
; %bb.442:                              ;   in Loop: Header=BB56_3 Depth=1
	ds_load_b64 v[42:43], v60 offset:14560
	ds_load_b64 v[44:45], v63
	s_wait_dscnt 0x0
	v_pk_mul_f32 v[96:97], v[44:45], v[42:43] op_sel:[1,1] op_sel_hi:[0,1]
	s_delay_alu instid0(VALU_DEP_1) | instskip(SKIP_1) | instid1(VALU_DEP_2)
	v_pk_fma_f32 v[98:99], v[44:45], v[42:43], v[96:97] op_sel_hi:[1,0,1]
	v_pk_fma_f32 v[42:43], v[44:45], v[42:43], v[96:97] neg_lo:[0,0,1] neg_hi:[0,0,1]
	v_mov_b32_e32 v43, v99
	s_delay_alu instid0(VALU_DEP_1)
	v_pk_add_f32 v[40:41], v[40:41], v[42:43]
.LBB56_443:                             ;   in Loop: Header=BB56_3 Depth=1
	s_or_b32 exec_lo, exec_lo, s24
	s_barrier_signal -1
	s_barrier_wait -1
	s_and_saveexec_b32 s24, s99
; %bb.444:                              ;   in Loop: Header=BB56_3 Depth=1
	ds_store_b64 v63, v[40:41]
; %bb.445:                              ;   in Loop: Header=BB56_3 Depth=1
	s_or_b32 exec_lo, exec_lo, s24
	s_wait_dscnt 0x0
	s_barrier_signal -1
	s_barrier_wait -1
	s_and_saveexec_b32 s24, s100
	s_cbranch_execz .LBB56_447
; %bb.446:                              ;   in Loop: Header=BB56_3 Depth=1
	ds_load_b64 v[42:43], v60 offset:15072
	ds_load_b64 v[44:45], v63
	s_wait_dscnt 0x0
	v_pk_mul_f32 v[96:97], v[44:45], v[42:43] op_sel:[1,1] op_sel_hi:[0,1]
	s_delay_alu instid0(VALU_DEP_1) | instskip(SKIP_1) | instid1(VALU_DEP_2)
	v_pk_fma_f32 v[98:99], v[44:45], v[42:43], v[96:97] op_sel_hi:[1,0,1]
	v_pk_fma_f32 v[42:43], v[44:45], v[42:43], v[96:97] neg_lo:[0,0,1] neg_hi:[0,0,1]
	v_mov_b32_e32 v43, v99
	s_delay_alu instid0(VALU_DEP_1)
	v_pk_add_f32 v[40:41], v[40:41], v[42:43]
.LBB56_447:                             ;   in Loop: Header=BB56_3 Depth=1
	s_or_b32 exec_lo, exec_lo, s24
	s_barrier_signal -1
	s_barrier_wait -1
	;; [unrolled: 25-line block ×3, first 2 shown]
	s_and_saveexec_b32 s24, s102
; %bb.452:                              ;   in Loop: Header=BB56_3 Depth=1
	ds_store_b64 v63, v[40:41]
; %bb.453:                              ;   in Loop: Header=BB56_3 Depth=1
	s_or_b32 exec_lo, exec_lo, s24
	s_wait_dscnt 0x0
	s_barrier_signal -1
	s_barrier_wait -1
	s_barrier_signal -1
	s_barrier_wait -1
	s_and_saveexec_b32 s24, s2
; %bb.454:                              ;   in Loop: Header=BB56_3 Depth=1
	v_pk_add_f32 v[40:41], v[40:41], 0 neg_lo:[1,1] neg_hi:[1,1]
	ds_store_b64 v65, v[40:41] offset:12512
; %bb.455:                              ;   in Loop: Header=BB56_3 Depth=1
	s_or_b32 exec_lo, exec_lo, s24
	s_wait_dscnt 0x0
	s_barrier_signal -1
	s_barrier_wait -1
	s_barrier_signal -1
	s_barrier_wait -1
	s_and_saveexec_b32 s24, s103
	s_cbranch_execz .LBB56_457
; %bb.456:                              ;   in Loop: Header=BB56_3 Depth=1
	ds_load_b64 v[40:41], v49 offset:12512
	s_wait_dscnt 0x0
	ds_store_b64 v50, v[40:41] offset:14528
	ds_load_b64 v[40:41], v49 offset:12520
	s_wait_dscnt 0x0
	ds_store_b64 v50, v[40:41] offset:15040
	;; [unrolled: 3-line block ×4, first 2 shown]
.LBB56_457:                             ;   in Loop: Header=BB56_3 Depth=1
	s_or_b32 exec_lo, exec_lo, s24
	s_wait_dscnt 0x0
	s_barrier_signal -1
	s_barrier_wait -1
	s_and_saveexec_b32 s24, s11
	s_cbranch_execz .LBB56_459
; %bb.458:                              ;   in Loop: Header=BB56_3 Depth=1
	ds_load_b64 v[40:41], v7 offset:14568
	v_add_nc_u32_e64 v3, 0xe0, 0
	ds_store_b64 v7, v[34:35] offset:15080
	s_wait_dscnt 0x1
	ds_store_2addr_stride64_b64 v3, v[34:35], v[40:41] offset0:28 offset1:29
.LBB56_459:                             ;   in Loop: Header=BB56_3 Depth=1
	s_or_b32 exec_lo, exec_lo, s24
	v_mov_b64_e32 v[40:41], 0
	s_wait_dscnt 0x0
	s_barrier_signal -1
	s_barrier_wait -1
	s_and_saveexec_b32 s61, s0
	s_cbranch_execz .LBB56_463
; %bb.460:                              ;   in Loop: Header=BB56_3 Depth=1
	ds_load_b64 v[40:41], v61 offset:14576
	ds_load_b64 v[42:43], v62 offset:14560
	s_wait_dscnt 0x0
	v_pk_mul_f32 v[44:45], v[42:43], v[40:41] op_sel:[1,1] op_sel_hi:[0,1]
	s_delay_alu instid0(VALU_DEP_1) | instskip(SKIP_1) | instid1(VALU_DEP_2)
	v_pk_fma_f32 v[96:97], v[42:43], v[40:41], v[44:45] op_sel_hi:[1,0,1]
	v_pk_fma_f32 v[40:41], v[42:43], v[40:41], v[44:45] neg_lo:[0,0,1] neg_hi:[0,0,1]
	v_mov_b32_e32 v41, v97
	s_delay_alu instid0(VALU_DEP_1)
	v_pk_add_f32 v[40:41], v[40:41], 0 op_sel_hi:[1,0]
	s_and_saveexec_b32 s24, s12
	s_cbranch_execz .LBB56_462
; %bb.461:                              ;   in Loop: Header=BB56_3 Depth=1
	ds_load_b64 v[42:43], v50 offset:15088
	ds_load_b64 v[44:45], v7 offset:14568
	s_wait_dscnt 0x0
	v_pk_mul_f32 v[96:97], v[44:45], v[42:43] op_sel:[1,1] op_sel_hi:[0,1]
	s_delay_alu instid0(VALU_DEP_1) | instskip(SKIP_1) | instid1(VALU_DEP_2)
	v_pk_fma_f32 v[98:99], v[44:45], v[42:43], v[96:97] op_sel_hi:[1,0,1]
	v_pk_fma_f32 v[42:43], v[44:45], v[42:43], v[96:97] neg_lo:[0,0,1] neg_hi:[0,0,1]
	v_mov_b32_e32 v43, v99
	s_delay_alu instid0(VALU_DEP_1)
	v_pk_add_f32 v[40:41], v[40:41], v[42:43]
.LBB56_462:                             ;   in Loop: Header=BB56_3 Depth=1
	s_or_b32 exec_lo, exec_lo, s24
	s_delay_alu instid0(VALU_DEP_1)
	v_pk_add_f32 v[40:41], v[40:41], 0 neg_lo:[1,1] neg_hi:[1,1]
.LBB56_463:                             ;   in Loop: Header=BB56_3 Depth=1
	s_or_b32 exec_lo, exec_lo, s61
	s_and_saveexec_b32 s24, s94
; %bb.464:                              ;   in Loop: Header=BB56_3 Depth=1
	ds_store_b64 v51, v[40:41]
; %bb.465:                              ;   in Loop: Header=BB56_3 Depth=1
	s_or_b32 exec_lo, exec_lo, s24
	s_wait_dscnt 0x0
	s_barrier_signal -1
	s_barrier_wait -1
	s_and_saveexec_b32 s24, s95
	s_cbranch_execz .LBB56_467
; %bb.466:                              ;   in Loop: Header=BB56_3 Depth=1
	ds_load_b64 v[42:43], v7 offset:15608
	ds_load_b64 v[44:45], v51
	s_wait_dscnt 0x0
	v_pk_mul_f32 v[96:97], v[44:45], v[42:43] op_sel:[1,1] op_sel_hi:[0,1]
	s_delay_alu instid0(VALU_DEP_1) | instskip(SKIP_1) | instid1(VALU_DEP_2)
	v_pk_fma_f32 v[98:99], v[44:45], v[42:43], v[96:97] op_sel_hi:[1,0,1]
	v_pk_fma_f32 v[42:43], v[44:45], v[42:43], v[96:97] neg_lo:[0,0,1] neg_hi:[0,0,1]
	v_mov_b32_e32 v43, v99
	s_delay_alu instid0(VALU_DEP_1)
	v_pk_add_f32 v[40:41], v[40:41], v[42:43]
.LBB56_467:                             ;   in Loop: Header=BB56_3 Depth=1
	s_or_b32 exec_lo, exec_lo, s24
	s_barrier_signal -1
	s_barrier_wait -1
	s_and_saveexec_b32 s24, s95
; %bb.468:                              ;   in Loop: Header=BB56_3 Depth=1
	ds_store_b64 v51, v[40:41]
; %bb.469:                              ;   in Loop: Header=BB56_3 Depth=1
	s_or_b32 exec_lo, exec_lo, s24
	s_wait_dscnt 0x0
	s_barrier_signal -1
	s_barrier_wait -1
	s_barrier_signal -1
	s_barrier_wait -1
	s_and_saveexec_b32 s24, s0
; %bb.470:                              ;   in Loop: Header=BB56_3 Depth=1
	v_pk_add_f32 v[40:41], v[40:41], 0 neg_lo:[1,1] neg_hi:[1,1]
	ds_store_b64 v61, v[40:41] offset:14576
; %bb.471:                              ;   in Loop: Header=BB56_3 Depth=1
	s_or_b32 exec_lo, exec_lo, s24
	s_wait_dscnt 0x0
	s_barrier_signal -1
	s_barrier_wait -1
	s_barrier_signal -1
	s_barrier_wait -1
	s_and_saveexec_b32 s24, s96
	s_cbranch_execz .LBB56_473
; %bb.472:                              ;   in Loop: Header=BB56_3 Depth=1
	ds_load_b64 v[40:41], v52 offset:14576
	s_wait_dscnt 0x0
	ds_store_b64 v50, v[40:41] offset:15584
	ds_load_b64 v[40:41], v52 offset:14584
	s_wait_dscnt 0x0
	ds_store_b64 v50, v[40:41] offset:16096
.LBB56_473:                             ;   in Loop: Header=BB56_3 Depth=1
	s_or_b32 exec_lo, exec_lo, s24
	s_wait_dscnt 0x0
	s_barrier_signal -1
	s_barrier_wait -1
	s_and_saveexec_b32 s24, s11
	s_cbranch_execz .LBB56_475
; %bb.474:                              ;   in Loop: Header=BB56_3 Depth=1
	ds_load_b64 v[40:41], v7 offset:15608
	v_add_nc_u32_e64 v3, 0xf0, 0
	ds_store_b64 v7, v[34:35] offset:16120
	s_wait_dscnt 0x1
	ds_store_2addr_stride64_b64 v3, v[34:35], v[40:41] offset0:30 offset1:31
.LBB56_475:                             ;   in Loop: Header=BB56_3 Depth=1
	s_or_b32 exec_lo, exec_lo, s24
	v_mov_b64_e32 v[40:41], 0
	s_wait_dscnt 0x0
	s_barrier_signal -1
	s_barrier_wait -1
	s_and_saveexec_b32 s62, s31
	s_cbranch_execz .LBB56_537
; %bb.476:                              ;   in Loop: Header=BB56_3 Depth=1
	v_add_nc_u32_e32 v42, v86, v75
	v_add_nc_u32_e32 v3, v75, v59
	v_readlane_b32 s26, v104, 7
	ds_load_b64 v[40:41], v42 offset:256
	ds_load_b64 v[44:45], v3
	s_wait_dscnt 0x0
	v_pk_mul_f32 v[96:97], v[44:45], v[40:41] op_sel:[1,1] op_sel_hi:[0,1]
	s_delay_alu instid0(VALU_DEP_1) | instskip(SKIP_1) | instid1(VALU_DEP_2)
	v_pk_fma_f32 v[98:99], v[44:45], v[40:41], v[96:97] op_sel_hi:[1,0,1]
	v_pk_fma_f32 v[40:41], v[44:45], v[40:41], v[96:97] neg_lo:[0,0,1] neg_hi:[0,0,1]
	v_mov_b32_e32 v41, v99
	s_delay_alu instid0(VALU_DEP_1)
	v_pk_add_f32 v[40:41], v[40:41], 0 op_sel_hi:[1,0]
	s_and_saveexec_b32 s24, s26
	s_cbranch_execz .LBB56_478
; %bb.477:                              ;   in Loop: Header=BB56_3 Depth=1
	ds_load_b64 v[44:45], v42 offset:768
	ds_load_b64 v[96:97], v3 offset:8
	s_wait_dscnt 0x0
	v_pk_mul_f32 v[98:99], v[96:97], v[44:45] op_sel:[1,1] op_sel_hi:[0,1]
	s_delay_alu instid0(VALU_DEP_1) | instskip(SKIP_1) | instid1(VALU_DEP_2)
	v_pk_fma_f32 v[100:101], v[96:97], v[44:45], v[98:99] op_sel_hi:[1,0,1]
	v_pk_fma_f32 v[44:45], v[96:97], v[44:45], v[98:99] neg_lo:[0,0,1] neg_hi:[0,0,1]
	v_mov_b32_e32 v45, v101
	s_delay_alu instid0(VALU_DEP_1)
	v_pk_add_f32 v[40:41], v[40:41], v[44:45]
.LBB56_478:                             ;   in Loop: Header=BB56_3 Depth=1
	s_or_b32 exec_lo, exec_lo, s24
	v_readlane_b32 s26, v104, 8
	s_and_saveexec_b32 s24, s26
	s_cbranch_execz .LBB56_480
; %bb.479:                              ;   in Loop: Header=BB56_3 Depth=1
	ds_load_b64 v[44:45], v42 offset:1280
	ds_load_b64 v[96:97], v3 offset:16
	s_wait_dscnt 0x0
	v_pk_mul_f32 v[98:99], v[96:97], v[44:45] op_sel:[1,1] op_sel_hi:[0,1]
	s_delay_alu instid0(VALU_DEP_1) | instskip(SKIP_1) | instid1(VALU_DEP_2)
	v_pk_fma_f32 v[100:101], v[96:97], v[44:45], v[98:99] op_sel_hi:[1,0,1]
	v_pk_fma_f32 v[44:45], v[96:97], v[44:45], v[98:99] neg_lo:[0,0,1] neg_hi:[0,0,1]
	v_mov_b32_e32 v45, v101
	s_delay_alu instid0(VALU_DEP_1)
	v_pk_add_f32 v[40:41], v[40:41], v[44:45]
.LBB56_480:                             ;   in Loop: Header=BB56_3 Depth=1
	s_or_b32 exec_lo, exec_lo, s24
	v_readlane_b32 s26, v104, 9
	;; [unrolled: 16-line block ×22, first 2 shown]
	s_and_saveexec_b32 s24, s26
	s_cbranch_execz .LBB56_522
; %bb.521:                              ;   in Loop: Header=BB56_3 Depth=1
	ds_load_b64 v[44:45], v42 offset:12032
	ds_load_b64 v[96:97], v3 offset:184
	s_wait_dscnt 0x0
	v_pk_mul_f32 v[98:99], v[96:97], v[44:45] op_sel:[1,1] op_sel_hi:[0,1]
	s_delay_alu instid0(VALU_DEP_1) | instskip(SKIP_1) | instid1(VALU_DEP_2)
	v_pk_fma_f32 v[100:101], v[96:97], v[44:45], v[98:99] op_sel_hi:[1,0,1]
	v_pk_fma_f32 v[44:45], v[96:97], v[44:45], v[98:99] neg_lo:[0,0,1] neg_hi:[0,0,1]
	v_mov_b32_e32 v45, v101
	s_delay_alu instid0(VALU_DEP_1)
	v_pk_add_f32 v[40:41], v[40:41], v[44:45]
.LBB56_522:                             ;   in Loop: Header=BB56_3 Depth=1
	s_or_b32 exec_lo, exec_lo, s24
	s_and_saveexec_b32 s24, s4
	s_cbranch_execz .LBB56_524
; %bb.523:                              ;   in Loop: Header=BB56_3 Depth=1
	ds_load_b64 v[44:45], v42 offset:12544
	ds_load_b64 v[96:97], v3 offset:192
	s_wait_dscnt 0x0
	v_pk_mul_f32 v[98:99], v[96:97], v[44:45] op_sel:[1,1] op_sel_hi:[0,1]
	s_delay_alu instid0(VALU_DEP_1) | instskip(SKIP_1) | instid1(VALU_DEP_2)
	v_pk_fma_f32 v[100:101], v[96:97], v[44:45], v[98:99] op_sel_hi:[1,0,1]
	v_pk_fma_f32 v[44:45], v[96:97], v[44:45], v[98:99] neg_lo:[0,0,1] neg_hi:[0,0,1]
	v_mov_b32_e32 v45, v101
	s_delay_alu instid0(VALU_DEP_1)
	v_pk_add_f32 v[40:41], v[40:41], v[44:45]
.LBB56_524:                             ;   in Loop: Header=BB56_3 Depth=1
	s_or_b32 exec_lo, exec_lo, s24
	v_readlane_b32 s26, v105, 25
	s_and_saveexec_b32 s24, s26
	s_cbranch_execz .LBB56_526
; %bb.525:                              ;   in Loop: Header=BB56_3 Depth=1
	ds_load_b64 v[44:45], v42 offset:13056
	ds_load_b64 v[96:97], v3 offset:200
	s_wait_dscnt 0x0
	v_pk_mul_f32 v[98:99], v[96:97], v[44:45] op_sel:[1,1] op_sel_hi:[0,1]
	s_delay_alu instid0(VALU_DEP_1) | instskip(SKIP_1) | instid1(VALU_DEP_2)
	v_pk_fma_f32 v[100:101], v[96:97], v[44:45], v[98:99] op_sel_hi:[1,0,1]
	v_pk_fma_f32 v[44:45], v[96:97], v[44:45], v[98:99] neg_lo:[0,0,1] neg_hi:[0,0,1]
	v_mov_b32_e32 v45, v101
	s_delay_alu instid0(VALU_DEP_1)
	v_pk_add_f32 v[40:41], v[40:41], v[44:45]
.LBB56_526:                             ;   in Loop: Header=BB56_3 Depth=1
	s_or_b32 exec_lo, exec_lo, s24
	v_readlane_b32 s26, v105, 27
	;; [unrolled: 16-line block ×5, first 2 shown]
	s_and_saveexec_b32 s24, s26
	s_cbranch_execnz .LBB56_1086
; %bb.533:                              ;   in Loop: Header=BB56_3 Depth=1
	s_or_b32 exec_lo, exec_lo, s24
	s_and_saveexec_b32 s24, s3
	s_cbranch_execnz .LBB56_1087
.LBB56_534:                             ;   in Loop: Header=BB56_3 Depth=1
	s_or_b32 exec_lo, exec_lo, s24
	s_and_saveexec_b32 s24, s18
	s_cbranch_execz .LBB56_536
.LBB56_535:                             ;   in Loop: Header=BB56_3 Depth=1
	ds_load_b64 v[42:43], v86 offset:16128
	ds_load_b64 v[44:45], v3 offset:248
	s_wait_dscnt 0x0
	v_pk_mul_f32 v[96:97], v[44:45], v[42:43] op_sel:[1,1] op_sel_hi:[0,1]
	s_delay_alu instid0(VALU_DEP_1) | instskip(SKIP_1) | instid1(VALU_DEP_2)
	v_pk_fma_f32 v[98:99], v[44:45], v[42:43], v[96:97] op_sel_hi:[1,0,1]
	v_pk_fma_f32 v[42:43], v[44:45], v[42:43], v[96:97] neg_lo:[0,0,1] neg_hi:[0,0,1]
	v_mov_b32_e32 v43, v99
	s_delay_alu instid0(VALU_DEP_1)
	v_pk_add_f32 v[40:41], v[40:41], v[42:43]
.LBB56_536:                             ;   in Loop: Header=BB56_3 Depth=1
	s_or_b32 exec_lo, exec_lo, s24
	s_delay_alu instid0(VALU_DEP_1)
	v_pk_add_f32 v[40:41], v[40:41], 0 neg_lo:[1,1] neg_hi:[1,1]
.LBB56_537:                             ;   in Loop: Header=BB56_3 Depth=1
	s_or_b32 exec_lo, exec_lo, s62
	v_dual_mov_b32 v3, v74 :: v_dual_mov_b32 v42, v94
	s_mov_b32 s62, 0
	s_branch .LBB56_539
.LBB56_538:                             ;   in Loop: Header=BB56_539 Depth=2
	s_or_b32 exec_lo, exec_lo, s24
	v_add_nc_u32_e32 v42, 0x800, v42
	v_add_nc_u32_e32 v3, -4, v3
	s_add_co_i32 s62, s62, 4
	s_delay_alu instid0(SALU_CYCLE_1)
	s_cmp_eq_u32 s62, 32
	s_barrier_signal -1
	s_barrier_wait -1
	s_cbranch_scc1 .LBB56_555
.LBB56_539:                             ;   Parent Loop BB56_3 Depth=1
                                        ; =>  This Inner Loop Header: Depth=2
	s_delay_alu instid0(VALU_DEP_1) | instskip(SKIP_1) | instid1(SALU_CYCLE_1)
	v_cmp_eq_u32_e32 vcc_lo, 0, v3
	s_and_b32 s61, s10, vcc_lo
	s_and_saveexec_b32 s24, s61
; %bb.540:                              ;   in Loop: Header=BB56_539 Depth=2
	ds_store_b64 v87, v[40:41]
; %bb.541:                              ;   in Loop: Header=BB56_539 Depth=2
	s_or_b32 exec_lo, exec_lo, s24
	v_cmp_lt_u32_e32 vcc_lo, s62, v74
	s_wait_dscnt 0x0
	s_barrier_signal -1
	s_barrier_wait -1
	s_and_b32 s61, s10, vcc_lo
	s_delay_alu instid0(SALU_CYCLE_1)
	s_and_saveexec_b32 s24, s61
	s_cbranch_execz .LBB56_543
; %bb.542:                              ;   in Loop: Header=BB56_539 Depth=2
	ds_load_b64 v[44:45], v42
	ds_load_b64 v[96:97], v87
	s_wait_dscnt 0x0
	v_pk_mul_f32 v[98:99], v[96:97], v[44:45] op_sel:[1,1] op_sel_hi:[0,1]
	s_delay_alu instid0(VALU_DEP_1) | instskip(SKIP_1) | instid1(VALU_DEP_2)
	v_pk_fma_f32 v[100:101], v[96:97], v[44:45], v[98:99] op_sel_hi:[1,0,1]
	v_pk_fma_f32 v[44:45], v[96:97], v[44:45], v[98:99] neg_lo:[0,0,1] neg_hi:[0,0,1]
	v_mov_b32_e32 v45, v101
	s_delay_alu instid0(VALU_DEP_1)
	v_pk_add_f32 v[40:41], v[40:41], v[44:45]
.LBB56_543:                             ;   in Loop: Header=BB56_539 Depth=2
	s_or_b32 exec_lo, exec_lo, s24
	s_or_b32 s24, s62, 1
	s_delay_alu instid0(SALU_CYCLE_1) | instskip(SKIP_3) | instid1(SALU_CYCLE_1)
	v_cmp_eq_u32_e32 vcc_lo, s24, v74
	s_barrier_signal -1
	s_barrier_wait -1
	s_and_b32 s63, s10, vcc_lo
	s_and_saveexec_b32 s61, s63
; %bb.544:                              ;   in Loop: Header=BB56_539 Depth=2
	ds_store_b64 v87, v[40:41]
; %bb.545:                              ;   in Loop: Header=BB56_539 Depth=2
	s_or_b32 exec_lo, exec_lo, s61
	v_cmp_lt_u32_e32 vcc_lo, s24, v74
	s_wait_dscnt 0x0
	s_barrier_signal -1
	s_barrier_wait -1
	s_and_b32 s61, s10, vcc_lo
	s_delay_alu instid0(SALU_CYCLE_1)
	s_and_saveexec_b32 s24, s61
	s_cbranch_execz .LBB56_547
; %bb.546:                              ;   in Loop: Header=BB56_539 Depth=2
	ds_load_b64 v[44:45], v42 offset:512
	ds_load_b64 v[96:97], v87
	s_wait_dscnt 0x0
	v_pk_mul_f32 v[98:99], v[96:97], v[44:45] op_sel:[1,1] op_sel_hi:[0,1]
	s_delay_alu instid0(VALU_DEP_1) | instskip(SKIP_1) | instid1(VALU_DEP_2)
	v_pk_fma_f32 v[100:101], v[96:97], v[44:45], v[98:99] op_sel_hi:[1,0,1]
	v_pk_fma_f32 v[44:45], v[96:97], v[44:45], v[98:99] neg_lo:[0,0,1] neg_hi:[0,0,1]
	v_mov_b32_e32 v45, v101
	s_delay_alu instid0(VALU_DEP_1)
	v_pk_add_f32 v[40:41], v[40:41], v[44:45]
.LBB56_547:                             ;   in Loop: Header=BB56_539 Depth=2
	s_or_b32 exec_lo, exec_lo, s24
	s_or_b32 s24, s62, 2
	s_delay_alu instid0(SALU_CYCLE_1) | instskip(SKIP_3) | instid1(SALU_CYCLE_1)
	v_cmp_eq_u32_e32 vcc_lo, s24, v74
	s_barrier_signal -1
	s_barrier_wait -1
	s_and_b32 s63, s10, vcc_lo
	s_and_saveexec_b32 s61, s63
; %bb.548:                              ;   in Loop: Header=BB56_539 Depth=2
	ds_store_b64 v87, v[40:41]
; %bb.549:                              ;   in Loop: Header=BB56_539 Depth=2
	s_or_b32 exec_lo, exec_lo, s61
	v_cmp_lt_u32_e32 vcc_lo, s24, v74
	s_wait_dscnt 0x0
	s_barrier_signal -1
	s_barrier_wait -1
	s_and_b32 s61, s10, vcc_lo
	s_delay_alu instid0(SALU_CYCLE_1)
	s_and_saveexec_b32 s24, s61
	s_cbranch_execz .LBB56_551
; %bb.550:                              ;   in Loop: Header=BB56_539 Depth=2
	ds_load_b64 v[44:45], v42 offset:1024
	ds_load_b64 v[96:97], v87
	s_wait_dscnt 0x0
	v_pk_mul_f32 v[98:99], v[96:97], v[44:45] op_sel:[1,1] op_sel_hi:[0,1]
	s_delay_alu instid0(VALU_DEP_1) | instskip(SKIP_1) | instid1(VALU_DEP_2)
	v_pk_fma_f32 v[100:101], v[96:97], v[44:45], v[98:99] op_sel_hi:[1,0,1]
	v_pk_fma_f32 v[44:45], v[96:97], v[44:45], v[98:99] neg_lo:[0,0,1] neg_hi:[0,0,1]
	v_mov_b32_e32 v45, v101
	s_delay_alu instid0(VALU_DEP_1)
	v_pk_add_f32 v[40:41], v[40:41], v[44:45]
.LBB56_551:                             ;   in Loop: Header=BB56_539 Depth=2
	s_or_b32 exec_lo, exec_lo, s24
	s_or_b32 s24, s62, 3
	s_delay_alu instid0(SALU_CYCLE_1) | instskip(SKIP_3) | instid1(SALU_CYCLE_1)
	v_cmp_eq_u32_e32 vcc_lo, s24, v74
	s_barrier_signal -1
	s_barrier_wait -1
	s_and_b32 s63, s10, vcc_lo
	s_and_saveexec_b32 s61, s63
; %bb.552:                              ;   in Loop: Header=BB56_539 Depth=2
	ds_store_b64 v87, v[40:41]
; %bb.553:                              ;   in Loop: Header=BB56_539 Depth=2
	s_or_b32 exec_lo, exec_lo, s61
	v_cmp_lt_u32_e32 vcc_lo, s24, v74
	s_wait_dscnt 0x0
	s_barrier_signal -1
	s_barrier_wait -1
	s_and_b32 s61, s10, vcc_lo
	s_delay_alu instid0(SALU_CYCLE_1)
	s_and_saveexec_b32 s24, s61
	s_cbranch_execz .LBB56_538
; %bb.554:                              ;   in Loop: Header=BB56_539 Depth=2
	ds_load_b64 v[44:45], v42 offset:1536
	ds_load_b64 v[96:97], v87
	s_wait_dscnt 0x0
	v_pk_mul_f32 v[98:99], v[96:97], v[44:45] op_sel:[1,1] op_sel_hi:[0,1]
	s_delay_alu instid0(VALU_DEP_1) | instskip(SKIP_1) | instid1(VALU_DEP_2)
	v_pk_fma_f32 v[100:101], v[96:97], v[44:45], v[98:99] op_sel_hi:[1,0,1]
	v_pk_fma_f32 v[44:45], v[96:97], v[44:45], v[98:99] neg_lo:[0,0,1] neg_hi:[0,0,1]
	v_mov_b32_e32 v45, v101
	s_delay_alu instid0(VALU_DEP_1)
	v_pk_add_f32 v[40:41], v[40:41], v[44:45]
	s_branch .LBB56_538
.LBB56_555:                             ;   in Loop: Header=BB56_3 Depth=1
	s_and_saveexec_b32 s24, s31
; %bb.556:                              ;   in Loop: Header=BB56_3 Depth=1
	v_pk_add_f32 v[40:41], v[40:41], 0 neg_lo:[1,1] neg_hi:[1,1]
	ds_store_b64 v88, v[40:41] offset:256
; %bb.557:                              ;   in Loop: Header=BB56_3 Depth=1
	s_or_b32 exec_lo, exec_lo, s24
	s_wait_dscnt 0x0
	s_barrier_signal -1
	s_barrier_wait -1
	s_barrier_signal -1
	s_barrier_wait -1
	s_mov_b32 s62, exec_lo
	v_readlane_b32 s24, v105, 14
	s_and_b32 s24, s62, s24
	s_delay_alu instid0(SALU_CYCLE_1)
	s_mov_b32 exec_lo, s24
	s_cbranch_execz .LBB56_559
; %bb.558:                              ;   in Loop: Header=BB56_3 Depth=1
	ds_load_b64 v[40:41], v52 offset:256
	s_wait_dscnt 0x0
	ds_store_b64 v54, v[40:41] offset:16384
	ds_load_b64 v[40:41], v52 offset:264
	s_wait_dscnt 0x0
	ds_store_b64 v54, v[40:41] offset:16896
	;; [unrolled: 3-line block ×32, first 2 shown]
.LBB56_559:                             ;   in Loop: Header=BB56_3 Depth=1
	s_or_b32 exec_lo, exec_lo, s62
	s_wait_dscnt 0x0
	s_barrier_signal -1
	s_barrier_wait -1
	s_and_saveexec_b32 s24, s11
	s_cbranch_execz .LBB56_561
; %bb.560:                              ;   in Loop: Header=BB56_3 Depth=1
	ds_load_b64 v[40:41], v7 offset:16648
	v_add_nc_u32_e64 v3, 0x100, 0
	ds_store_b64 v7, v[34:35] offset:17160
	s_wait_dscnt 0x1
	ds_store_2addr_stride64_b64 v3, v[34:35], v[40:41] offset0:32 offset1:33
.LBB56_561:                             ;   in Loop: Header=BB56_3 Depth=1
	s_or_b32 exec_lo, exec_lo, s24
	v_mov_b64_e32 v[40:41], 0
	s_wait_dscnt 0x0
	s_barrier_signal -1
	s_barrier_wait -1
	s_and_saveexec_b32 s61, s0
	s_cbranch_execz .LBB56_565
; %bb.562:                              ;   in Loop: Header=BB56_3 Depth=1
	ds_load_b64 v[40:41], v61 offset:16656
	ds_load_b64 v[42:43], v62 offset:16640
	s_wait_dscnt 0x0
	v_pk_mul_f32 v[44:45], v[42:43], v[40:41] op_sel:[1,1] op_sel_hi:[0,1]
	s_delay_alu instid0(VALU_DEP_1) | instskip(SKIP_1) | instid1(VALU_DEP_2)
	v_pk_fma_f32 v[96:97], v[42:43], v[40:41], v[44:45] op_sel_hi:[1,0,1]
	v_pk_fma_f32 v[40:41], v[42:43], v[40:41], v[44:45] neg_lo:[0,0,1] neg_hi:[0,0,1]
	v_mov_b32_e32 v41, v97
	s_delay_alu instid0(VALU_DEP_1)
	v_pk_add_f32 v[40:41], v[40:41], 0 op_sel_hi:[1,0]
	s_and_saveexec_b32 s24, s12
	s_cbranch_execz .LBB56_564
; %bb.563:                              ;   in Loop: Header=BB56_3 Depth=1
	ds_load_b64 v[42:43], v5 offset:17168
	ds_load_b64 v[44:45], v7 offset:16648
	s_wait_dscnt 0x0
	v_pk_mul_f32 v[96:97], v[44:45], v[42:43] op_sel:[1,1] op_sel_hi:[0,1]
	s_delay_alu instid0(VALU_DEP_1) | instskip(SKIP_1) | instid1(VALU_DEP_2)
	v_pk_fma_f32 v[98:99], v[44:45], v[42:43], v[96:97] op_sel_hi:[1,0,1]
	v_pk_fma_f32 v[42:43], v[44:45], v[42:43], v[96:97] neg_lo:[0,0,1] neg_hi:[0,0,1]
	v_mov_b32_e32 v43, v99
	s_delay_alu instid0(VALU_DEP_1)
	v_pk_add_f32 v[40:41], v[40:41], v[42:43]
.LBB56_564:                             ;   in Loop: Header=BB56_3 Depth=1
	s_or_b32 exec_lo, exec_lo, s24
	s_delay_alu instid0(VALU_DEP_1)
	v_pk_add_f32 v[40:41], v[40:41], 0 neg_lo:[1,1] neg_hi:[1,1]
.LBB56_565:                             ;   in Loop: Header=BB56_3 Depth=1
	s_or_b32 exec_lo, exec_lo, s61
	s_and_saveexec_b32 s24, s94
; %bb.566:                              ;   in Loop: Header=BB56_3 Depth=1
	ds_store_b64 v51, v[40:41]
; %bb.567:                              ;   in Loop: Header=BB56_3 Depth=1
	s_or_b32 exec_lo, exec_lo, s24
	s_wait_dscnt 0x0
	s_barrier_signal -1
	s_barrier_wait -1
	s_and_saveexec_b32 s24, s95
	s_cbranch_execz .LBB56_569
; %bb.568:                              ;   in Loop: Header=BB56_3 Depth=1
	ds_load_b64 v[42:43], v7 offset:17688
	ds_load_b64 v[44:45], v51
	s_wait_dscnt 0x0
	v_pk_mul_f32 v[96:97], v[44:45], v[42:43] op_sel:[1,1] op_sel_hi:[0,1]
	s_delay_alu instid0(VALU_DEP_1) | instskip(SKIP_1) | instid1(VALU_DEP_2)
	v_pk_fma_f32 v[98:99], v[44:45], v[42:43], v[96:97] op_sel_hi:[1,0,1]
	v_pk_fma_f32 v[42:43], v[44:45], v[42:43], v[96:97] neg_lo:[0,0,1] neg_hi:[0,0,1]
	v_mov_b32_e32 v43, v99
	s_delay_alu instid0(VALU_DEP_1)
	v_pk_add_f32 v[40:41], v[40:41], v[42:43]
.LBB56_569:                             ;   in Loop: Header=BB56_3 Depth=1
	s_or_b32 exec_lo, exec_lo, s24
	s_barrier_signal -1
	s_barrier_wait -1
	s_and_saveexec_b32 s24, s95
; %bb.570:                              ;   in Loop: Header=BB56_3 Depth=1
	ds_store_b64 v51, v[40:41]
; %bb.571:                              ;   in Loop: Header=BB56_3 Depth=1
	s_or_b32 exec_lo, exec_lo, s24
	s_wait_dscnt 0x0
	s_barrier_signal -1
	s_barrier_wait -1
	s_barrier_signal -1
	s_barrier_wait -1
	s_and_saveexec_b32 s24, s0
; %bb.572:                              ;   in Loop: Header=BB56_3 Depth=1
	v_pk_add_f32 v[40:41], v[40:41], 0 neg_lo:[1,1] neg_hi:[1,1]
	ds_store_b64 v61, v[40:41] offset:16656
; %bb.573:                              ;   in Loop: Header=BB56_3 Depth=1
	s_or_b32 exec_lo, exec_lo, s24
	s_wait_dscnt 0x0
	s_barrier_signal -1
	s_barrier_wait -1
	s_barrier_signal -1
	s_barrier_wait -1
	s_and_saveexec_b32 s24, s96
	s_cbranch_execz .LBB56_575
; %bb.574:                              ;   in Loop: Header=BB56_3 Depth=1
	ds_load_b64 v[40:41], v9 offset:16656
	s_wait_dscnt 0x0
	ds_store_b64 v5, v[40:41] offset:17664
	ds_load_b64 v[40:41], v9 offset:16664
	s_wait_dscnt 0x0
	ds_store_b64 v5, v[40:41] offset:18176
.LBB56_575:                             ;   in Loop: Header=BB56_3 Depth=1
	s_or_b32 exec_lo, exec_lo, s24
	s_wait_dscnt 0x0
	s_barrier_signal -1
	s_barrier_wait -1
	s_and_saveexec_b32 s24, s11
	s_cbranch_execz .LBB56_577
; %bb.576:                              ;   in Loop: Header=BB56_3 Depth=1
	ds_load_b64 v[40:41], v7 offset:17688
	v_add_nc_u32_e64 v3, 0x110, 0
	ds_store_b64 v7, v[34:35] offset:18200
	s_wait_dscnt 0x1
	ds_store_2addr_stride64_b64 v3, v[34:35], v[40:41] offset0:34 offset1:35
.LBB56_577:                             ;   in Loop: Header=BB56_3 Depth=1
	s_or_b32 exec_lo, exec_lo, s24
	v_mov_b64_e32 v[40:41], 0
	s_wait_dscnt 0x0
	s_barrier_signal -1
	s_barrier_wait -1
	s_and_saveexec_b32 s62, s2
	s_cbranch_execz .LBB56_583
; %bb.578:                              ;   in Loop: Header=BB56_3 Depth=1
	ds_load_b64 v[40:41], v65 offset:16672
	ds_load_b64 v[42:43], v53 offset:16640
	s_wait_dscnt 0x0
	v_dual_mul_f32 v3, v43, v41 :: v_dual_mul_f32 v41, v42, v41
	s_delay_alu instid0(VALU_DEP_1) | instskip(NEXT) | instid1(VALU_DEP_1)
	v_dual_fma_f32 v3, v42, v40, -v3 :: v_dual_fmac_f32 v41, v43, v40
	v_dual_add_f32 v40, 0, v3 :: v_dual_add_f32 v41, 0, v41
	s_and_saveexec_b32 s24, s13
	s_cbranch_execnz .LBB56_1088
; %bb.579:                              ;   in Loop: Header=BB56_3 Depth=1
	s_or_b32 exec_lo, exec_lo, s24
	s_and_saveexec_b32 s24, s14
	s_cbranch_execnz .LBB56_1089
.LBB56_580:                             ;   in Loop: Header=BB56_3 Depth=1
	s_or_b32 exec_lo, exec_lo, s24
	s_and_saveexec_b32 s24, s0
	s_cbranch_execz .LBB56_582
.LBB56_581:                             ;   in Loop: Header=BB56_3 Depth=1
	ds_load_b64 v[42:43], v46 offset:18208
	ds_load_b64 v[44:45], v7 offset:16664
	s_wait_dscnt 0x0
	v_dual_mul_f32 v3, v45, v43 :: v_dual_mul_f32 v97, v44, v43
	s_delay_alu instid0(VALU_DEP_1) | instskip(NEXT) | instid1(VALU_DEP_1)
	v_dual_fma_f32 v96, v44, v42, -v3 :: v_dual_fmac_f32 v97, v45, v42
	v_pk_add_f32 v[40:41], v[40:41], v[96:97]
.LBB56_582:                             ;   in Loop: Header=BB56_3 Depth=1
	s_or_b32 exec_lo, exec_lo, s24
	s_delay_alu instid0(VALU_DEP_1)
	v_pk_add_f32 v[40:41], v[40:41], 0 neg_lo:[1,1] neg_hi:[1,1]
.LBB56_583:                             ;   in Loop: Header=BB56_3 Depth=1
	s_or_b32 exec_lo, exec_lo, s62
	s_and_saveexec_b32 s24, s97
; %bb.584:                              ;   in Loop: Header=BB56_3 Depth=1
	ds_store_b64 v63, v[40:41]
; %bb.585:                              ;   in Loop: Header=BB56_3 Depth=1
	s_or_b32 exec_lo, exec_lo, s24
	s_wait_dscnt 0x0
	s_barrier_signal -1
	s_barrier_wait -1
	s_and_saveexec_b32 s24, s98
	s_cbranch_execz .LBB56_587
; %bb.586:                              ;   in Loop: Header=BB56_3 Depth=1
	ds_load_b64 v[42:43], v60 offset:18720
	ds_load_b64 v[44:45], v63
	s_wait_dscnt 0x0
	v_pk_mul_f32 v[96:97], v[44:45], v[42:43] op_sel:[1,1] op_sel_hi:[0,1]
	s_delay_alu instid0(VALU_DEP_1) | instskip(SKIP_1) | instid1(VALU_DEP_2)
	v_pk_fma_f32 v[98:99], v[44:45], v[42:43], v[96:97] op_sel_hi:[1,0,1]
	v_pk_fma_f32 v[42:43], v[44:45], v[42:43], v[96:97] neg_lo:[0,0,1] neg_hi:[0,0,1]
	v_mov_b32_e32 v43, v99
	s_delay_alu instid0(VALU_DEP_1)
	v_pk_add_f32 v[40:41], v[40:41], v[42:43]
.LBB56_587:                             ;   in Loop: Header=BB56_3 Depth=1
	s_or_b32 exec_lo, exec_lo, s24
	s_barrier_signal -1
	s_barrier_wait -1
	s_and_saveexec_b32 s24, s99
; %bb.588:                              ;   in Loop: Header=BB56_3 Depth=1
	ds_store_b64 v63, v[40:41]
; %bb.589:                              ;   in Loop: Header=BB56_3 Depth=1
	s_or_b32 exec_lo, exec_lo, s24
	s_wait_dscnt 0x0
	s_barrier_signal -1
	s_barrier_wait -1
	s_and_saveexec_b32 s24, s100
	s_cbranch_execz .LBB56_591
; %bb.590:                              ;   in Loop: Header=BB56_3 Depth=1
	ds_load_b64 v[42:43], v60 offset:19232
	ds_load_b64 v[44:45], v63
	s_wait_dscnt 0x0
	v_pk_mul_f32 v[96:97], v[44:45], v[42:43] op_sel:[1,1] op_sel_hi:[0,1]
	s_delay_alu instid0(VALU_DEP_1) | instskip(SKIP_1) | instid1(VALU_DEP_2)
	v_pk_fma_f32 v[98:99], v[44:45], v[42:43], v[96:97] op_sel_hi:[1,0,1]
	v_pk_fma_f32 v[42:43], v[44:45], v[42:43], v[96:97] neg_lo:[0,0,1] neg_hi:[0,0,1]
	v_mov_b32_e32 v43, v99
	s_delay_alu instid0(VALU_DEP_1)
	v_pk_add_f32 v[40:41], v[40:41], v[42:43]
.LBB56_591:                             ;   in Loop: Header=BB56_3 Depth=1
	s_or_b32 exec_lo, exec_lo, s24
	s_barrier_signal -1
	s_barrier_wait -1
	;; [unrolled: 25-line block ×3, first 2 shown]
	s_and_saveexec_b32 s24, s102
; %bb.596:                              ;   in Loop: Header=BB56_3 Depth=1
	ds_store_b64 v63, v[40:41]
; %bb.597:                              ;   in Loop: Header=BB56_3 Depth=1
	s_or_b32 exec_lo, exec_lo, s24
	s_wait_dscnt 0x0
	s_barrier_signal -1
	s_barrier_wait -1
	s_barrier_signal -1
	s_barrier_wait -1
	s_and_saveexec_b32 s24, s2
; %bb.598:                              ;   in Loop: Header=BB56_3 Depth=1
	v_pk_add_f32 v[40:41], v[40:41], 0 neg_lo:[1,1] neg_hi:[1,1]
	ds_store_b64 v65, v[40:41] offset:16672
; %bb.599:                              ;   in Loop: Header=BB56_3 Depth=1
	s_or_b32 exec_lo, exec_lo, s24
	s_wait_dscnt 0x0
	s_barrier_signal -1
	s_barrier_wait -1
	s_barrier_signal -1
	s_barrier_wait -1
	s_and_saveexec_b32 s24, s103
	s_cbranch_execz .LBB56_601
; %bb.600:                              ;   in Loop: Header=BB56_3 Depth=1
	ds_load_b64 v[40:41], v47 offset:16672
	s_wait_dscnt 0x0
	ds_store_b64 v48, v[40:41] offset:18688
	ds_load_b64 v[40:41], v47 offset:16680
	s_wait_dscnt 0x0
	ds_store_b64 v48, v[40:41] offset:19200
	ds_load_b64 v[40:41], v47 offset:16688
	s_wait_dscnt 0x0
	ds_store_b64 v48, v[40:41] offset:19712
	ds_load_b64 v[40:41], v47 offset:16696
	s_wait_dscnt 0x0
	ds_store_b64 v48, v[40:41] offset:20224
.LBB56_601:                             ;   in Loop: Header=BB56_3 Depth=1
	s_or_b32 exec_lo, exec_lo, s24
	s_wait_dscnt 0x0
	s_barrier_signal -1
	s_barrier_wait -1
	s_and_saveexec_b32 s24, s11
	s_cbranch_execz .LBB56_603
; %bb.602:                              ;   in Loop: Header=BB56_3 Depth=1
	ds_load_b64 v[40:41], v7 offset:18728
	v_add_nc_u32_e64 v3, 0x120, 0
	ds_store_b64 v7, v[34:35] offset:19240
	s_wait_dscnt 0x1
	ds_store_2addr_stride64_b64 v3, v[34:35], v[40:41] offset0:36 offset1:37
.LBB56_603:                             ;   in Loop: Header=BB56_3 Depth=1
	s_or_b32 exec_lo, exec_lo, s24
	v_mov_b64_e32 v[40:41], 0
	s_wait_dscnt 0x0
	s_barrier_signal -1
	s_barrier_wait -1
	s_and_saveexec_b32 s61, s0
	s_cbranch_execz .LBB56_607
; %bb.604:                              ;   in Loop: Header=BB56_3 Depth=1
	ds_load_b64 v[40:41], v61 offset:18736
	ds_load_b64 v[42:43], v62 offset:18720
	s_wait_dscnt 0x0
	v_pk_mul_f32 v[44:45], v[42:43], v[40:41] op_sel:[1,1] op_sel_hi:[0,1]
	s_delay_alu instid0(VALU_DEP_1) | instskip(SKIP_1) | instid1(VALU_DEP_2)
	v_pk_fma_f32 v[96:97], v[42:43], v[40:41], v[44:45] op_sel_hi:[1,0,1]
	v_pk_fma_f32 v[40:41], v[42:43], v[40:41], v[44:45] neg_lo:[0,0,1] neg_hi:[0,0,1]
	v_mov_b32_e32 v41, v97
	s_delay_alu instid0(VALU_DEP_1)
	v_pk_add_f32 v[40:41], v[40:41], 0 op_sel_hi:[1,0]
	s_and_saveexec_b32 s24, s12
	s_cbranch_execz .LBB56_606
; %bb.605:                              ;   in Loop: Header=BB56_3 Depth=1
	ds_load_b64 v[42:43], v48 offset:19248
	ds_load_b64 v[44:45], v7 offset:18728
	s_wait_dscnt 0x0
	v_pk_mul_f32 v[96:97], v[44:45], v[42:43] op_sel:[1,1] op_sel_hi:[0,1]
	s_delay_alu instid0(VALU_DEP_1) | instskip(SKIP_1) | instid1(VALU_DEP_2)
	v_pk_fma_f32 v[98:99], v[44:45], v[42:43], v[96:97] op_sel_hi:[1,0,1]
	v_pk_fma_f32 v[42:43], v[44:45], v[42:43], v[96:97] neg_lo:[0,0,1] neg_hi:[0,0,1]
	v_mov_b32_e32 v43, v99
	s_delay_alu instid0(VALU_DEP_1)
	v_pk_add_f32 v[40:41], v[40:41], v[42:43]
.LBB56_606:                             ;   in Loop: Header=BB56_3 Depth=1
	s_or_b32 exec_lo, exec_lo, s24
	s_delay_alu instid0(VALU_DEP_1)
	v_pk_add_f32 v[40:41], v[40:41], 0 neg_lo:[1,1] neg_hi:[1,1]
.LBB56_607:                             ;   in Loop: Header=BB56_3 Depth=1
	s_or_b32 exec_lo, exec_lo, s61
	s_and_saveexec_b32 s24, s94
; %bb.608:                              ;   in Loop: Header=BB56_3 Depth=1
	ds_store_b64 v51, v[40:41]
; %bb.609:                              ;   in Loop: Header=BB56_3 Depth=1
	s_or_b32 exec_lo, exec_lo, s24
	s_wait_dscnt 0x0
	s_barrier_signal -1
	s_barrier_wait -1
	s_and_saveexec_b32 s24, s95
	s_cbranch_execz .LBB56_611
; %bb.610:                              ;   in Loop: Header=BB56_3 Depth=1
	ds_load_b64 v[42:43], v7 offset:19768
	ds_load_b64 v[44:45], v51
	s_wait_dscnt 0x0
	v_pk_mul_f32 v[96:97], v[44:45], v[42:43] op_sel:[1,1] op_sel_hi:[0,1]
	s_delay_alu instid0(VALU_DEP_1) | instskip(SKIP_1) | instid1(VALU_DEP_2)
	v_pk_fma_f32 v[98:99], v[44:45], v[42:43], v[96:97] op_sel_hi:[1,0,1]
	v_pk_fma_f32 v[42:43], v[44:45], v[42:43], v[96:97] neg_lo:[0,0,1] neg_hi:[0,0,1]
	v_mov_b32_e32 v43, v99
	s_delay_alu instid0(VALU_DEP_1)
	v_pk_add_f32 v[40:41], v[40:41], v[42:43]
.LBB56_611:                             ;   in Loop: Header=BB56_3 Depth=1
	s_or_b32 exec_lo, exec_lo, s24
	s_barrier_signal -1
	s_barrier_wait -1
	s_and_saveexec_b32 s24, s95
; %bb.612:                              ;   in Loop: Header=BB56_3 Depth=1
	ds_store_b64 v51, v[40:41]
; %bb.613:                              ;   in Loop: Header=BB56_3 Depth=1
	s_or_b32 exec_lo, exec_lo, s24
	s_wait_dscnt 0x0
	s_barrier_signal -1
	s_barrier_wait -1
	s_barrier_signal -1
	s_barrier_wait -1
	s_and_saveexec_b32 s24, s0
; %bb.614:                              ;   in Loop: Header=BB56_3 Depth=1
	v_pk_add_f32 v[40:41], v[40:41], 0 neg_lo:[1,1] neg_hi:[1,1]
	ds_store_b64 v61, v[40:41] offset:18736
; %bb.615:                              ;   in Loop: Header=BB56_3 Depth=1
	s_or_b32 exec_lo, exec_lo, s24
	s_wait_dscnt 0x0
	s_barrier_signal -1
	s_barrier_wait -1
	s_barrier_signal -1
	s_barrier_wait -1
	s_and_saveexec_b32 s24, s96
	s_cbranch_execz .LBB56_617
; %bb.616:                              ;   in Loop: Header=BB56_3 Depth=1
	ds_load_b64 v[40:41], v49 offset:18736
	s_wait_dscnt 0x0
	ds_store_b64 v48, v[40:41] offset:19744
	ds_load_b64 v[40:41], v49 offset:18744
	s_wait_dscnt 0x0
	ds_store_b64 v48, v[40:41] offset:20256
.LBB56_617:                             ;   in Loop: Header=BB56_3 Depth=1
	s_or_b32 exec_lo, exec_lo, s24
	s_wait_dscnt 0x0
	s_barrier_signal -1
	s_barrier_wait -1
	s_and_saveexec_b32 s24, s11
	s_cbranch_execz .LBB56_619
; %bb.618:                              ;   in Loop: Header=BB56_3 Depth=1
	ds_load_b64 v[40:41], v7 offset:19768
	v_add_nc_u32_e64 v3, 0x130, 0
	ds_store_b64 v7, v[34:35] offset:20280
	s_wait_dscnt 0x1
	ds_store_2addr_stride64_b64 v3, v[34:35], v[40:41] offset0:38 offset1:39
.LBB56_619:                             ;   in Loop: Header=BB56_3 Depth=1
	s_or_b32 exec_lo, exec_lo, s24
	v_mov_b64_e32 v[40:41], 0
	s_wait_dscnt 0x0
	s_barrier_signal -1
	s_barrier_wait -1
	s_and_saveexec_b32 s62, s3
	s_cbranch_execz .LBB56_629
; %bb.620:                              ;   in Loop: Header=BB56_3 Depth=1
	ds_load_b64 v[40:41], v69 offset:16704
	ds_load_b64 v[42:43], v55 offset:16640
	s_wait_dscnt 0x0
	v_dual_mul_f32 v3, v43, v41 :: v_dual_mul_f32 v41, v42, v41
	s_delay_alu instid0(VALU_DEP_1) | instskip(NEXT) | instid1(VALU_DEP_1)
	v_dual_fma_f32 v3, v42, v40, -v3 :: v_dual_fmac_f32 v41, v43, v40
	v_dual_add_f32 v40, 0, v3 :: v_dual_add_f32 v41, 0, v41
	s_and_saveexec_b32 s24, s15
	s_cbranch_execnz .LBB56_1090
; %bb.621:                              ;   in Loop: Header=BB56_3 Depth=1
	s_or_b32 exec_lo, exec_lo, s24
	s_and_saveexec_b32 s24, s16
	s_cbranch_execnz .LBB56_1091
.LBB56_622:                             ;   in Loop: Header=BB56_3 Depth=1
	s_or_b32 exec_lo, exec_lo, s24
	s_and_saveexec_b32 s24, s17
	s_cbranch_execnz .LBB56_1092
.LBB56_623:                             ;   in Loop: Header=BB56_3 Depth=1
	s_or_b32 exec_lo, exec_lo, s24
	s_and_saveexec_b32 s24, s18
	s_cbranch_execnz .LBB56_1093
.LBB56_624:                             ;   in Loop: Header=BB56_3 Depth=1
	s_or_b32 exec_lo, exec_lo, s24
	s_and_saveexec_b32 s24, s19
	s_cbranch_execnz .LBB56_1094
.LBB56_625:                             ;   in Loop: Header=BB56_3 Depth=1
	s_or_b32 exec_lo, exec_lo, s24
	s_and_saveexec_b32 s24, s2
	s_cbranch_execnz .LBB56_1095
.LBB56_626:                             ;   in Loop: Header=BB56_3 Depth=1
	s_or_b32 exec_lo, exec_lo, s24
	s_and_saveexec_b32 s24, s14
	s_cbranch_execz .LBB56_628
.LBB56_627:                             ;   in Loop: Header=BB56_3 Depth=1
	ds_load_b64 v[42:43], v5 offset:20288
	ds_load_b64 v[44:45], v7 offset:16696
	s_wait_dscnt 0x0
	v_pk_mul_f32 v[96:97], v[44:45], v[42:43] op_sel:[1,1] op_sel_hi:[0,1]
	s_delay_alu instid0(VALU_DEP_1) | instskip(SKIP_1) | instid1(VALU_DEP_2)
	v_pk_fma_f32 v[98:99], v[44:45], v[42:43], v[96:97] op_sel_hi:[1,0,1]
	v_pk_fma_f32 v[42:43], v[44:45], v[42:43], v[96:97] neg_lo:[0,0,1] neg_hi:[0,0,1]
	v_mov_b32_e32 v43, v99
	s_delay_alu instid0(VALU_DEP_1)
	v_pk_add_f32 v[40:41], v[40:41], v[42:43]
.LBB56_628:                             ;   in Loop: Header=BB56_3 Depth=1
	s_or_b32 exec_lo, exec_lo, s24
	s_delay_alu instid0(VALU_DEP_1)
	v_pk_add_f32 v[40:41], v[40:41], 0 neg_lo:[1,1] neg_hi:[1,1]
.LBB56_629:                             ;   in Loop: Header=BB56_3 Depth=1
	s_or_b32 exec_lo, exec_lo, s62
	s_and_saveexec_b32 s24, s104
; %bb.630:                              ;   in Loop: Header=BB56_3 Depth=1
	ds_store_b64 v68, v[40:41]
; %bb.631:                              ;   in Loop: Header=BB56_3 Depth=1
	s_or_b32 exec_lo, exec_lo, s24
	s_wait_dscnt 0x0
	s_barrier_signal -1
	s_barrier_wait -1
	s_and_saveexec_b32 s24, vcc_hi
	s_cbranch_execz .LBB56_633
; %bb.632:                              ;   in Loop: Header=BB56_3 Depth=1
	ds_load_b64 v[42:43], v64 offset:20800
	ds_load_b64 v[44:45], v68
	s_wait_dscnt 0x0
	v_pk_mul_f32 v[96:97], v[44:45], v[42:43] op_sel:[1,1] op_sel_hi:[0,1]
	s_delay_alu instid0(VALU_DEP_1) | instskip(SKIP_1) | instid1(VALU_DEP_2)
	v_pk_fma_f32 v[98:99], v[44:45], v[42:43], v[96:97] op_sel_hi:[1,0,1]
	v_pk_fma_f32 v[42:43], v[44:45], v[42:43], v[96:97] neg_lo:[0,0,1] neg_hi:[0,0,1]
	v_mov_b32_e32 v43, v99
	s_delay_alu instid0(VALU_DEP_1)
	v_pk_add_f32 v[40:41], v[40:41], v[42:43]
.LBB56_633:                             ;   in Loop: Header=BB56_3 Depth=1
	s_or_b32 exec_lo, exec_lo, s24
	s_barrier_signal -1
	s_barrier_wait -1
	s_and_saveexec_b32 s24, s39
; %bb.634:                              ;   in Loop: Header=BB56_3 Depth=1
	ds_store_b64 v68, v[40:41]
; %bb.635:                              ;   in Loop: Header=BB56_3 Depth=1
	s_or_b32 exec_lo, exec_lo, s24
	s_wait_dscnt 0x0
	s_barrier_signal -1
	s_barrier_wait -1
	s_and_saveexec_b32 s24, s40
	s_cbranch_execz .LBB56_637
; %bb.636:                              ;   in Loop: Header=BB56_3 Depth=1
	ds_load_b64 v[42:43], v64 offset:21312
	ds_load_b64 v[44:45], v68
	s_wait_dscnt 0x0
	v_dual_mul_f32 v3, v45, v43 :: v_dual_mul_f32 v43, v44, v43
	s_delay_alu instid0(VALU_DEP_1) | instskip(NEXT) | instid1(VALU_DEP_1)
	v_fmac_f32_e32 v43, v45, v42
	v_dual_fma_f32 v3, v44, v42, -v3 :: v_dual_add_f32 v41, v41, v43
	s_delay_alu instid0(VALU_DEP_1)
	v_add_f32_e32 v40, v40, v3
.LBB56_637:                             ;   in Loop: Header=BB56_3 Depth=1
	s_or_b32 exec_lo, exec_lo, s24
	s_barrier_signal -1
	s_barrier_wait -1
	s_and_saveexec_b32 s24, s41
; %bb.638:                              ;   in Loop: Header=BB56_3 Depth=1
	ds_store_b64 v68, v[40:41]
; %bb.639:                              ;   in Loop: Header=BB56_3 Depth=1
	s_or_b32 exec_lo, exec_lo, s24
	s_wait_dscnt 0x0
	s_barrier_signal -1
	s_barrier_wait -1
	s_and_saveexec_b32 s24, s42
	s_cbranch_execz .LBB56_641
; %bb.640:                              ;   in Loop: Header=BB56_3 Depth=1
	ds_load_b64 v[42:43], v64 offset:21824
	ds_load_b64 v[44:45], v68
	s_wait_dscnt 0x0
	v_dual_mul_f32 v3, v45, v43 :: v_dual_mul_f32 v97, v44, v43
	s_delay_alu instid0(VALU_DEP_1) | instskip(NEXT) | instid1(VALU_DEP_1)
	v_dual_fma_f32 v96, v44, v42, -v3 :: v_dual_fmac_f32 v97, v45, v42
	v_pk_add_f32 v[40:41], v[40:41], v[96:97]
.LBB56_641:                             ;   in Loop: Header=BB56_3 Depth=1
	s_or_b32 exec_lo, exec_lo, s24
	s_barrier_signal -1
	s_barrier_wait -1
	s_and_saveexec_b32 s24, s43
; %bb.642:                              ;   in Loop: Header=BB56_3 Depth=1
	ds_store_b64 v68, v[40:41]
; %bb.643:                              ;   in Loop: Header=BB56_3 Depth=1
	s_or_b32 exec_lo, exec_lo, s24
	s_wait_dscnt 0x0
	s_barrier_signal -1
	s_barrier_wait -1
	s_and_saveexec_b32 s24, s44
	s_cbranch_execz .LBB56_645
; %bb.644:                              ;   in Loop: Header=BB56_3 Depth=1
	ds_load_b64 v[42:43], v64 offset:22336
	ds_load_b64 v[44:45], v68
	s_wait_dscnt 0x0
	v_pk_mul_f32 v[96:97], v[44:45], v[42:43] op_sel:[1,1] op_sel_hi:[0,1]
	s_delay_alu instid0(VALU_DEP_1) | instskip(SKIP_1) | instid1(VALU_DEP_2)
	v_pk_fma_f32 v[98:99], v[44:45], v[42:43], v[96:97] op_sel_hi:[1,0,1]
	v_pk_fma_f32 v[42:43], v[44:45], v[42:43], v[96:97] neg_lo:[0,0,1] neg_hi:[0,0,1]
	v_mov_b32_e32 v43, v99
	s_delay_alu instid0(VALU_DEP_1)
	v_pk_add_f32 v[40:41], v[40:41], v[42:43]
.LBB56_645:                             ;   in Loop: Header=BB56_3 Depth=1
	s_or_b32 exec_lo, exec_lo, s24
	s_barrier_signal -1
	s_barrier_wait -1
	s_and_saveexec_b32 s24, s45
; %bb.646:                              ;   in Loop: Header=BB56_3 Depth=1
	ds_store_b64 v68, v[40:41]
; %bb.647:                              ;   in Loop: Header=BB56_3 Depth=1
	s_or_b32 exec_lo, exec_lo, s24
	s_wait_dscnt 0x0
	s_barrier_signal -1
	s_barrier_wait -1
	s_and_saveexec_b32 s24, s46
	s_cbranch_execz .LBB56_649
; %bb.648:                              ;   in Loop: Header=BB56_3 Depth=1
	ds_load_b64 v[42:43], v64 offset:22848
	ds_load_b64 v[44:45], v68
	s_wait_dscnt 0x0
	v_pk_mul_f32 v[96:97], v[44:45], v[42:43] op_sel:[1,1] op_sel_hi:[0,1]
	s_delay_alu instid0(VALU_DEP_1) | instskip(SKIP_1) | instid1(VALU_DEP_2)
	v_pk_fma_f32 v[98:99], v[44:45], v[42:43], v[96:97] op_sel_hi:[1,0,1]
	v_pk_fma_f32 v[42:43], v[44:45], v[42:43], v[96:97] neg_lo:[0,0,1] neg_hi:[0,0,1]
	v_mov_b32_e32 v43, v99
	s_delay_alu instid0(VALU_DEP_1)
	v_pk_add_f32 v[40:41], v[40:41], v[42:43]
.LBB56_649:                             ;   in Loop: Header=BB56_3 Depth=1
	;; [unrolled: 25-line block ×4, first 2 shown]
	s_or_b32 exec_lo, exec_lo, s24
	s_barrier_signal -1
	s_barrier_wait -1
	s_and_saveexec_b32 s24, s50
; %bb.658:                              ;   in Loop: Header=BB56_3 Depth=1
	ds_store_b64 v68, v[40:41]
; %bb.659:                              ;   in Loop: Header=BB56_3 Depth=1
	s_or_b32 exec_lo, exec_lo, s24
	s_wait_dscnt 0x0
	s_barrier_signal -1
	s_barrier_wait -1
	s_barrier_signal -1
	s_barrier_wait -1
	s_and_saveexec_b32 s24, s3
; %bb.660:                              ;   in Loop: Header=BB56_3 Depth=1
	v_pk_add_f32 v[40:41], v[40:41], 0 neg_lo:[1,1] neg_hi:[1,1]
	ds_store_b64 v69, v[40:41] offset:16704
; %bb.661:                              ;   in Loop: Header=BB56_3 Depth=1
	s_or_b32 exec_lo, exec_lo, s24
	s_wait_dscnt 0x0
	s_barrier_signal -1
	s_barrier_wait -1
	s_barrier_signal -1
	s_barrier_wait -1
	s_and_saveexec_b32 s24, s51
	s_cbranch_execz .LBB56_663
; %bb.662:                              ;   in Loop: Header=BB56_3 Depth=1
	ds_load_b64 v[40:41], v9 offset:16704
	s_wait_dscnt 0x0
	ds_store_b64 v46, v[40:41] offset:20736
	ds_load_b64 v[40:41], v9 offset:16712
	s_wait_dscnt 0x0
	ds_store_b64 v46, v[40:41] offset:21248
	;; [unrolled: 3-line block ×8, first 2 shown]
.LBB56_663:                             ;   in Loop: Header=BB56_3 Depth=1
	s_or_b32 exec_lo, exec_lo, s24
	s_wait_dscnt 0x0
	s_barrier_signal -1
	s_barrier_wait -1
	s_and_saveexec_b32 s24, s11
	s_cbranch_execz .LBB56_665
; %bb.664:                              ;   in Loop: Header=BB56_3 Depth=1
	ds_load_b64 v[40:41], v7 offset:20808
	v_add_nc_u32_e64 v3, 0x140, 0
	ds_store_b64 v7, v[34:35] offset:21320
	s_wait_dscnt 0x1
	ds_store_2addr_stride64_b64 v3, v[34:35], v[40:41] offset0:40 offset1:41
.LBB56_665:                             ;   in Loop: Header=BB56_3 Depth=1
	s_or_b32 exec_lo, exec_lo, s24
	v_mov_b64_e32 v[40:41], 0
	s_wait_dscnt 0x0
	s_barrier_signal -1
	s_barrier_wait -1
	s_and_saveexec_b32 s61, s0
	s_cbranch_execz .LBB56_669
; %bb.666:                              ;   in Loop: Header=BB56_3 Depth=1
	ds_load_b64 v[40:41], v61 offset:20816
	ds_load_b64 v[42:43], v62 offset:20800
	s_wait_dscnt 0x0
	v_pk_mul_f32 v[44:45], v[42:43], v[40:41] op_sel:[1,1] op_sel_hi:[0,1]
	s_delay_alu instid0(VALU_DEP_1) | instskip(SKIP_1) | instid1(VALU_DEP_2)
	v_pk_fma_f32 v[96:97], v[42:43], v[40:41], v[44:45] op_sel_hi:[1,0,1]
	v_pk_fma_f32 v[40:41], v[42:43], v[40:41], v[44:45] neg_lo:[0,0,1] neg_hi:[0,0,1]
	v_mov_b32_e32 v41, v97
	s_delay_alu instid0(VALU_DEP_1)
	v_pk_add_f32 v[40:41], v[40:41], 0 op_sel_hi:[1,0]
	s_and_saveexec_b32 s24, s12
	s_cbranch_execz .LBB56_668
; %bb.667:                              ;   in Loop: Header=BB56_3 Depth=1
	ds_load_b64 v[42:43], v46 offset:21328
	ds_load_b64 v[44:45], v7 offset:20808
	s_wait_dscnt 0x0
	v_pk_mul_f32 v[96:97], v[44:45], v[42:43] op_sel:[1,1] op_sel_hi:[0,1]
	s_delay_alu instid0(VALU_DEP_1) | instskip(SKIP_1) | instid1(VALU_DEP_2)
	v_pk_fma_f32 v[98:99], v[44:45], v[42:43], v[96:97] op_sel_hi:[1,0,1]
	v_pk_fma_f32 v[42:43], v[44:45], v[42:43], v[96:97] neg_lo:[0,0,1] neg_hi:[0,0,1]
	v_mov_b32_e32 v43, v99
	s_delay_alu instid0(VALU_DEP_1)
	v_pk_add_f32 v[40:41], v[40:41], v[42:43]
.LBB56_668:                             ;   in Loop: Header=BB56_3 Depth=1
	s_or_b32 exec_lo, exec_lo, s24
	s_delay_alu instid0(VALU_DEP_1)
	v_pk_add_f32 v[40:41], v[40:41], 0 neg_lo:[1,1] neg_hi:[1,1]
.LBB56_669:                             ;   in Loop: Header=BB56_3 Depth=1
	s_or_b32 exec_lo, exec_lo, s61
	s_and_saveexec_b32 s24, s94
; %bb.670:                              ;   in Loop: Header=BB56_3 Depth=1
	ds_store_b64 v51, v[40:41]
; %bb.671:                              ;   in Loop: Header=BB56_3 Depth=1
	s_or_b32 exec_lo, exec_lo, s24
	s_wait_dscnt 0x0
	s_barrier_signal -1
	s_barrier_wait -1
	s_and_saveexec_b32 s24, s95
	s_cbranch_execz .LBB56_673
; %bb.672:                              ;   in Loop: Header=BB56_3 Depth=1
	ds_load_b64 v[42:43], v7 offset:21848
	ds_load_b64 v[44:45], v51
	s_wait_dscnt 0x0
	v_pk_mul_f32 v[96:97], v[44:45], v[42:43] op_sel:[1,1] op_sel_hi:[0,1]
	s_delay_alu instid0(VALU_DEP_1) | instskip(SKIP_1) | instid1(VALU_DEP_2)
	v_pk_fma_f32 v[98:99], v[44:45], v[42:43], v[96:97] op_sel_hi:[1,0,1]
	v_pk_fma_f32 v[42:43], v[44:45], v[42:43], v[96:97] neg_lo:[0,0,1] neg_hi:[0,0,1]
	v_mov_b32_e32 v43, v99
	s_delay_alu instid0(VALU_DEP_1)
	v_pk_add_f32 v[40:41], v[40:41], v[42:43]
.LBB56_673:                             ;   in Loop: Header=BB56_3 Depth=1
	s_or_b32 exec_lo, exec_lo, s24
	s_barrier_signal -1
	s_barrier_wait -1
	s_and_saveexec_b32 s24, s95
; %bb.674:                              ;   in Loop: Header=BB56_3 Depth=1
	ds_store_b64 v51, v[40:41]
; %bb.675:                              ;   in Loop: Header=BB56_3 Depth=1
	s_or_b32 exec_lo, exec_lo, s24
	s_wait_dscnt 0x0
	s_barrier_signal -1
	s_barrier_wait -1
	s_barrier_signal -1
	s_barrier_wait -1
	s_and_saveexec_b32 s24, s0
; %bb.676:                              ;   in Loop: Header=BB56_3 Depth=1
	v_pk_add_f32 v[40:41], v[40:41], 0 neg_lo:[1,1] neg_hi:[1,1]
	ds_store_b64 v61, v[40:41] offset:20816
; %bb.677:                              ;   in Loop: Header=BB56_3 Depth=1
	s_or_b32 exec_lo, exec_lo, s24
	s_wait_dscnt 0x0
	s_barrier_signal -1
	s_barrier_wait -1
	s_barrier_signal -1
	s_barrier_wait -1
	s_and_saveexec_b32 s24, s96
	s_cbranch_execz .LBB56_679
; %bb.678:                              ;   in Loop: Header=BB56_3 Depth=1
	ds_load_b64 v[40:41], v47 offset:20816
	s_wait_dscnt 0x0
	ds_store_b64 v46, v[40:41] offset:21824
	ds_load_b64 v[40:41], v47 offset:20824
	s_wait_dscnt 0x0
	ds_store_b64 v46, v[40:41] offset:22336
.LBB56_679:                             ;   in Loop: Header=BB56_3 Depth=1
	s_or_b32 exec_lo, exec_lo, s24
	s_wait_dscnt 0x0
	s_barrier_signal -1
	s_barrier_wait -1
	s_and_saveexec_b32 s24, s11
	s_cbranch_execz .LBB56_681
; %bb.680:                              ;   in Loop: Header=BB56_3 Depth=1
	ds_load_b64 v[40:41], v7 offset:21848
	v_add_nc_u32_e64 v3, 0x150, 0
	ds_store_b64 v7, v[34:35] offset:22360
	s_wait_dscnt 0x1
	ds_store_2addr_stride64_b64 v3, v[34:35], v[40:41] offset0:42 offset1:43
.LBB56_681:                             ;   in Loop: Header=BB56_3 Depth=1
	s_or_b32 exec_lo, exec_lo, s24
	v_mov_b64_e32 v[40:41], 0
	s_wait_dscnt 0x0
	s_barrier_signal -1
	s_barrier_wait -1
	s_and_saveexec_b32 s62, s2
	s_cbranch_execz .LBB56_687
; %bb.682:                              ;   in Loop: Header=BB56_3 Depth=1
	ds_load_b64 v[40:41], v65 offset:20832
	ds_load_b64 v[42:43], v53 offset:20800
	s_wait_dscnt 0x0
	v_dual_mul_f32 v3, v43, v41 :: v_dual_mul_f32 v41, v42, v41
	s_delay_alu instid0(VALU_DEP_1) | instskip(NEXT) | instid1(VALU_DEP_1)
	v_dual_fma_f32 v3, v42, v40, -v3 :: v_dual_fmac_f32 v41, v43, v40
	v_dual_add_f32 v40, 0, v3 :: v_dual_add_f32 v41, 0, v41
	s_and_saveexec_b32 s24, s13
	s_cbranch_execnz .LBB56_1096
; %bb.683:                              ;   in Loop: Header=BB56_3 Depth=1
	s_or_b32 exec_lo, exec_lo, s24
	s_and_saveexec_b32 s24, s14
	s_cbranch_execnz .LBB56_1097
.LBB56_684:                             ;   in Loop: Header=BB56_3 Depth=1
	s_or_b32 exec_lo, exec_lo, s24
	s_and_saveexec_b32 s24, s0
	s_cbranch_execz .LBB56_686
.LBB56_685:                             ;   in Loop: Header=BB56_3 Depth=1
	ds_load_b64 v[42:43], v48 offset:22368
	ds_load_b64 v[44:45], v7 offset:20824
	s_wait_dscnt 0x0
	v_dual_mul_f32 v3, v45, v43 :: v_dual_mul_f32 v97, v44, v43
	s_delay_alu instid0(VALU_DEP_1) | instskip(NEXT) | instid1(VALU_DEP_1)
	v_dual_fma_f32 v96, v44, v42, -v3 :: v_dual_fmac_f32 v97, v45, v42
	v_pk_add_f32 v[40:41], v[40:41], v[96:97]
.LBB56_686:                             ;   in Loop: Header=BB56_3 Depth=1
	s_or_b32 exec_lo, exec_lo, s24
	s_delay_alu instid0(VALU_DEP_1)
	v_pk_add_f32 v[40:41], v[40:41], 0 neg_lo:[1,1] neg_hi:[1,1]
.LBB56_687:                             ;   in Loop: Header=BB56_3 Depth=1
	s_or_b32 exec_lo, exec_lo, s62
	s_and_saveexec_b32 s24, s97
; %bb.688:                              ;   in Loop: Header=BB56_3 Depth=1
	ds_store_b64 v63, v[40:41]
; %bb.689:                              ;   in Loop: Header=BB56_3 Depth=1
	s_or_b32 exec_lo, exec_lo, s24
	s_wait_dscnt 0x0
	s_barrier_signal -1
	s_barrier_wait -1
	s_and_saveexec_b32 s24, s98
	s_cbranch_execz .LBB56_691
; %bb.690:                              ;   in Loop: Header=BB56_3 Depth=1
	ds_load_b64 v[42:43], v60 offset:22880
	ds_load_b64 v[44:45], v63
	s_wait_dscnt 0x0
	v_pk_mul_f32 v[96:97], v[44:45], v[42:43] op_sel:[1,1] op_sel_hi:[0,1]
	s_delay_alu instid0(VALU_DEP_1) | instskip(SKIP_1) | instid1(VALU_DEP_2)
	v_pk_fma_f32 v[98:99], v[44:45], v[42:43], v[96:97] op_sel_hi:[1,0,1]
	v_pk_fma_f32 v[42:43], v[44:45], v[42:43], v[96:97] neg_lo:[0,0,1] neg_hi:[0,0,1]
	v_mov_b32_e32 v43, v99
	s_delay_alu instid0(VALU_DEP_1)
	v_pk_add_f32 v[40:41], v[40:41], v[42:43]
.LBB56_691:                             ;   in Loop: Header=BB56_3 Depth=1
	s_or_b32 exec_lo, exec_lo, s24
	s_barrier_signal -1
	s_barrier_wait -1
	s_and_saveexec_b32 s24, s99
; %bb.692:                              ;   in Loop: Header=BB56_3 Depth=1
	ds_store_b64 v63, v[40:41]
; %bb.693:                              ;   in Loop: Header=BB56_3 Depth=1
	s_or_b32 exec_lo, exec_lo, s24
	s_wait_dscnt 0x0
	s_barrier_signal -1
	s_barrier_wait -1
	s_and_saveexec_b32 s24, s100
	s_cbranch_execz .LBB56_695
; %bb.694:                              ;   in Loop: Header=BB56_3 Depth=1
	ds_load_b64 v[42:43], v60 offset:23392
	ds_load_b64 v[44:45], v63
	s_wait_dscnt 0x0
	v_pk_mul_f32 v[96:97], v[44:45], v[42:43] op_sel:[1,1] op_sel_hi:[0,1]
	s_delay_alu instid0(VALU_DEP_1) | instskip(SKIP_1) | instid1(VALU_DEP_2)
	v_pk_fma_f32 v[98:99], v[44:45], v[42:43], v[96:97] op_sel_hi:[1,0,1]
	v_pk_fma_f32 v[42:43], v[44:45], v[42:43], v[96:97] neg_lo:[0,0,1] neg_hi:[0,0,1]
	v_mov_b32_e32 v43, v99
	s_delay_alu instid0(VALU_DEP_1)
	v_pk_add_f32 v[40:41], v[40:41], v[42:43]
.LBB56_695:                             ;   in Loop: Header=BB56_3 Depth=1
	s_or_b32 exec_lo, exec_lo, s24
	s_barrier_signal -1
	s_barrier_wait -1
	;; [unrolled: 25-line block ×3, first 2 shown]
	s_and_saveexec_b32 s24, s102
; %bb.700:                              ;   in Loop: Header=BB56_3 Depth=1
	ds_store_b64 v63, v[40:41]
; %bb.701:                              ;   in Loop: Header=BB56_3 Depth=1
	s_or_b32 exec_lo, exec_lo, s24
	s_wait_dscnt 0x0
	s_barrier_signal -1
	s_barrier_wait -1
	s_barrier_signal -1
	s_barrier_wait -1
	s_and_saveexec_b32 s24, s2
; %bb.702:                              ;   in Loop: Header=BB56_3 Depth=1
	v_pk_add_f32 v[40:41], v[40:41], 0 neg_lo:[1,1] neg_hi:[1,1]
	ds_store_b64 v65, v[40:41] offset:20832
; %bb.703:                              ;   in Loop: Header=BB56_3 Depth=1
	s_or_b32 exec_lo, exec_lo, s24
	s_wait_dscnt 0x0
	s_barrier_signal -1
	s_barrier_wait -1
	s_barrier_signal -1
	s_barrier_wait -1
	s_and_saveexec_b32 s24, s103
	s_cbranch_execz .LBB56_705
; %bb.704:                              ;   in Loop: Header=BB56_3 Depth=1
	ds_load_b64 v[40:41], v49 offset:20832
	s_wait_dscnt 0x0
	ds_store_b64 v50, v[40:41] offset:22848
	ds_load_b64 v[40:41], v49 offset:20840
	s_wait_dscnt 0x0
	ds_store_b64 v50, v[40:41] offset:23360
	;; [unrolled: 3-line block ×4, first 2 shown]
.LBB56_705:                             ;   in Loop: Header=BB56_3 Depth=1
	s_or_b32 exec_lo, exec_lo, s24
	s_wait_dscnt 0x0
	s_barrier_signal -1
	s_barrier_wait -1
	s_and_saveexec_b32 s24, s11
	s_cbranch_execz .LBB56_707
; %bb.706:                              ;   in Loop: Header=BB56_3 Depth=1
	ds_load_b64 v[40:41], v7 offset:22888
	v_add_nc_u32_e64 v3, 0x160, 0
	ds_store_b64 v7, v[34:35] offset:23400
	s_wait_dscnt 0x1
	ds_store_2addr_stride64_b64 v3, v[34:35], v[40:41] offset0:44 offset1:45
.LBB56_707:                             ;   in Loop: Header=BB56_3 Depth=1
	s_or_b32 exec_lo, exec_lo, s24
	v_mov_b64_e32 v[40:41], 0
	s_wait_dscnt 0x0
	s_barrier_signal -1
	s_barrier_wait -1
	s_and_saveexec_b32 s61, s0
	s_cbranch_execz .LBB56_711
; %bb.708:                              ;   in Loop: Header=BB56_3 Depth=1
	ds_load_b64 v[40:41], v61 offset:22896
	ds_load_b64 v[42:43], v62 offset:22880
	s_wait_dscnt 0x0
	v_pk_mul_f32 v[44:45], v[42:43], v[40:41] op_sel:[1,1] op_sel_hi:[0,1]
	s_delay_alu instid0(VALU_DEP_1) | instskip(SKIP_1) | instid1(VALU_DEP_2)
	v_pk_fma_f32 v[96:97], v[42:43], v[40:41], v[44:45] op_sel_hi:[1,0,1]
	v_pk_fma_f32 v[40:41], v[42:43], v[40:41], v[44:45] neg_lo:[0,0,1] neg_hi:[0,0,1]
	v_mov_b32_e32 v41, v97
	s_delay_alu instid0(VALU_DEP_1)
	v_pk_add_f32 v[40:41], v[40:41], 0 op_sel_hi:[1,0]
	s_and_saveexec_b32 s24, s12
	s_cbranch_execz .LBB56_710
; %bb.709:                              ;   in Loop: Header=BB56_3 Depth=1
	ds_load_b64 v[42:43], v50 offset:23408
	ds_load_b64 v[44:45], v7 offset:22888
	s_wait_dscnt 0x0
	v_pk_mul_f32 v[96:97], v[44:45], v[42:43] op_sel:[1,1] op_sel_hi:[0,1]
	s_delay_alu instid0(VALU_DEP_1) | instskip(SKIP_1) | instid1(VALU_DEP_2)
	v_pk_fma_f32 v[98:99], v[44:45], v[42:43], v[96:97] op_sel_hi:[1,0,1]
	v_pk_fma_f32 v[42:43], v[44:45], v[42:43], v[96:97] neg_lo:[0,0,1] neg_hi:[0,0,1]
	v_mov_b32_e32 v43, v99
	s_delay_alu instid0(VALU_DEP_1)
	v_pk_add_f32 v[40:41], v[40:41], v[42:43]
.LBB56_710:                             ;   in Loop: Header=BB56_3 Depth=1
	s_or_b32 exec_lo, exec_lo, s24
	s_delay_alu instid0(VALU_DEP_1)
	v_pk_add_f32 v[40:41], v[40:41], 0 neg_lo:[1,1] neg_hi:[1,1]
.LBB56_711:                             ;   in Loop: Header=BB56_3 Depth=1
	s_or_b32 exec_lo, exec_lo, s61
	s_and_saveexec_b32 s24, s94
; %bb.712:                              ;   in Loop: Header=BB56_3 Depth=1
	ds_store_b64 v51, v[40:41]
; %bb.713:                              ;   in Loop: Header=BB56_3 Depth=1
	s_or_b32 exec_lo, exec_lo, s24
	s_wait_dscnt 0x0
	s_barrier_signal -1
	s_barrier_wait -1
	s_and_saveexec_b32 s24, s95
	s_cbranch_execz .LBB56_715
; %bb.714:                              ;   in Loop: Header=BB56_3 Depth=1
	ds_load_b64 v[42:43], v7 offset:23928
	ds_load_b64 v[44:45], v51
	s_wait_dscnt 0x0
	v_pk_mul_f32 v[96:97], v[44:45], v[42:43] op_sel:[1,1] op_sel_hi:[0,1]
	s_delay_alu instid0(VALU_DEP_1) | instskip(SKIP_1) | instid1(VALU_DEP_2)
	v_pk_fma_f32 v[98:99], v[44:45], v[42:43], v[96:97] op_sel_hi:[1,0,1]
	v_pk_fma_f32 v[42:43], v[44:45], v[42:43], v[96:97] neg_lo:[0,0,1] neg_hi:[0,0,1]
	v_mov_b32_e32 v43, v99
	s_delay_alu instid0(VALU_DEP_1)
	v_pk_add_f32 v[40:41], v[40:41], v[42:43]
.LBB56_715:                             ;   in Loop: Header=BB56_3 Depth=1
	s_or_b32 exec_lo, exec_lo, s24
	s_barrier_signal -1
	s_barrier_wait -1
	s_and_saveexec_b32 s24, s95
; %bb.716:                              ;   in Loop: Header=BB56_3 Depth=1
	ds_store_b64 v51, v[40:41]
; %bb.717:                              ;   in Loop: Header=BB56_3 Depth=1
	s_or_b32 exec_lo, exec_lo, s24
	s_wait_dscnt 0x0
	s_barrier_signal -1
	s_barrier_wait -1
	s_barrier_signal -1
	s_barrier_wait -1
	s_and_saveexec_b32 s24, s0
; %bb.718:                              ;   in Loop: Header=BB56_3 Depth=1
	v_pk_add_f32 v[40:41], v[40:41], 0 neg_lo:[1,1] neg_hi:[1,1]
	ds_store_b64 v61, v[40:41] offset:22896
; %bb.719:                              ;   in Loop: Header=BB56_3 Depth=1
	s_or_b32 exec_lo, exec_lo, s24
	s_wait_dscnt 0x0
	s_barrier_signal -1
	s_barrier_wait -1
	s_barrier_signal -1
	s_barrier_wait -1
	s_and_saveexec_b32 s24, s96
	s_cbranch_execz .LBB56_721
; %bb.720:                              ;   in Loop: Header=BB56_3 Depth=1
	ds_load_b64 v[40:41], v52 offset:22896
	s_wait_dscnt 0x0
	ds_store_b64 v50, v[40:41] offset:23904
	ds_load_b64 v[40:41], v52 offset:22904
	s_wait_dscnt 0x0
	ds_store_b64 v50, v[40:41] offset:24416
.LBB56_721:                             ;   in Loop: Header=BB56_3 Depth=1
	s_or_b32 exec_lo, exec_lo, s24
	s_wait_dscnt 0x0
	s_barrier_signal -1
	s_barrier_wait -1
	s_and_saveexec_b32 s24, s11
	s_cbranch_execz .LBB56_723
; %bb.722:                              ;   in Loop: Header=BB56_3 Depth=1
	ds_load_b64 v[40:41], v7 offset:23928
	v_add_nc_u32_e64 v3, 0x170, 0
	ds_store_b64 v7, v[34:35] offset:24440
	s_wait_dscnt 0x1
	ds_store_2addr_stride64_b64 v3, v[34:35], v[40:41] offset0:46 offset1:47
.LBB56_723:                             ;   in Loop: Header=BB56_3 Depth=1
	s_or_b32 exec_lo, exec_lo, s24
	v_mov_b64_e32 v[40:41], 0
	s_wait_dscnt 0x0
	s_barrier_signal -1
	s_barrier_wait -1
	s_and_saveexec_b32 s62, s4
	s_cbranch_execz .LBB56_751
; %bb.724:                              ;   in Loop: Header=BB56_3 Depth=1
	ds_load_b64 v[40:41], v72 offset:16768
	ds_load_b64 v[42:43], v57 offset:16640
	v_readlane_b32 s26, v105, 24
	s_wait_dscnt 0x0
	v_dual_mul_f32 v3, v43, v41 :: v_dual_mul_f32 v41, v42, v41
	s_delay_alu instid0(VALU_DEP_1) | instskip(NEXT) | instid1(VALU_DEP_1)
	v_dual_fma_f32 v3, v42, v40, -v3 :: v_dual_fmac_f32 v41, v43, v40
	v_dual_add_f32 v40, 0, v3 :: v_dual_add_f32 v41, 0, v41
	s_and_saveexec_b32 s24, s26
	s_cbranch_execz .LBB56_726
; %bb.725:                              ;   in Loop: Header=BB56_3 Depth=1
	ds_load_b64 v[42:43], v73 offset:17280
	ds_load_b64 v[44:45], v57 offset:16648
	s_wait_dscnt 0x0
	v_dual_mul_f32 v3, v45, v43 :: v_dual_mul_f32 v43, v44, v43
	s_delay_alu instid0(VALU_DEP_1) | instskip(NEXT) | instid1(VALU_DEP_1)
	v_fmac_f32_e32 v43, v45, v42
	v_dual_fma_f32 v3, v44, v42, -v3 :: v_dual_add_f32 v41, v41, v43
	s_delay_alu instid0(VALU_DEP_1)
	v_add_f32_e32 v40, v40, v3
.LBB56_726:                             ;   in Loop: Header=BB56_3 Depth=1
	s_or_b32 exec_lo, exec_lo, s24
	v_readlane_b32 s26, v105, 25
	s_and_saveexec_b32 s24, s26
	s_cbranch_execz .LBB56_728
; %bb.727:                              ;   in Loop: Header=BB56_3 Depth=1
	ds_load_b64 v[42:43], v73 offset:17792
	ds_load_b64 v[44:45], v57 offset:16656
	s_wait_dscnt 0x0
	v_dual_mul_f32 v3, v45, v43 :: v_dual_mul_f32 v43, v44, v43
	s_delay_alu instid0(VALU_DEP_1) | instskip(NEXT) | instid1(VALU_DEP_1)
	v_fmac_f32_e32 v43, v45, v42
	v_dual_fma_f32 v3, v44, v42, -v3 :: v_dual_add_f32 v41, v41, v43
	s_delay_alu instid0(VALU_DEP_1)
	v_add_f32_e32 v40, v40, v3
.LBB56_728:                             ;   in Loop: Header=BB56_3 Depth=1
	s_or_b32 exec_lo, exec_lo, s24
	v_readlane_b32 s26, v105, 26
	;; [unrolled: 15-line block ×10, first 2 shown]
	s_and_saveexec_b32 s24, s26
	s_cbranch_execnz .LBB56_1098
; %bb.745:                              ;   in Loop: Header=BB56_3 Depth=1
	s_or_b32 exec_lo, exec_lo, s24
	s_and_saveexec_b32 s24, s3
	s_cbranch_execnz .LBB56_1099
.LBB56_746:                             ;   in Loop: Header=BB56_3 Depth=1
	s_or_b32 exec_lo, exec_lo, s24
	s_and_saveexec_b32 s24, s16
	s_cbranch_execnz .LBB56_1100
.LBB56_747:                             ;   in Loop: Header=BB56_3 Depth=1
	s_or_b32 exec_lo, exec_lo, s24
	s_and_saveexec_b32 s24, s18
	s_cbranch_execnz .LBB56_1101
.LBB56_748:                             ;   in Loop: Header=BB56_3 Depth=1
	s_or_b32 exec_lo, exec_lo, s24
	s_and_saveexec_b32 s24, s2
	s_cbranch_execz .LBB56_750
.LBB56_749:                             ;   in Loop: Header=BB56_3 Depth=1
	ds_load_b64 v[42:43], v5 offset:24448
	ds_load_b64 v[44:45], v7 offset:16760
	s_wait_dscnt 0x0
	v_dual_mul_f32 v3, v45, v43 :: v_dual_mul_f32 v97, v44, v43
	s_delay_alu instid0(VALU_DEP_1) | instskip(NEXT) | instid1(VALU_DEP_1)
	v_dual_fma_f32 v96, v44, v42, -v3 :: v_dual_fmac_f32 v97, v45, v42
	v_pk_add_f32 v[40:41], v[40:41], v[96:97]
.LBB56_750:                             ;   in Loop: Header=BB56_3 Depth=1
	s_or_b32 exec_lo, exec_lo, s24
	s_delay_alu instid0(VALU_DEP_1)
	v_pk_add_f32 v[40:41], v[40:41], 0 neg_lo:[1,1] neg_hi:[1,1]
.LBB56_751:                             ;   in Loop: Header=BB56_3 Depth=1
	s_or_b32 exec_lo, exec_lo, s62
	v_readlane_b32 s26, v105, 1
	s_and_saveexec_b32 s24, s26
; %bb.752:                              ;   in Loop: Header=BB56_3 Depth=1
	ds_store_b64 v71, v[40:41]
; %bb.753:                              ;   in Loop: Header=BB56_3 Depth=1
	s_or_b32 exec_lo, exec_lo, s24
	v_readlane_b32 s26, v105, 2
	s_wait_dscnt 0x0
	s_barrier_signal -1
	s_barrier_wait -1
	s_and_saveexec_b32 s24, s26
	s_cbranch_execz .LBB56_755
; %bb.754:                              ;   in Loop: Header=BB56_3 Depth=1
	ds_load_b64 v[42:43], v67 offset:24960
	ds_load_b64 v[44:45], v71
	s_wait_dscnt 0x0
	v_pk_mul_f32 v[96:97], v[44:45], v[42:43] op_sel:[1,1] op_sel_hi:[0,1]
	s_delay_alu instid0(VALU_DEP_1) | instskip(SKIP_1) | instid1(VALU_DEP_2)
	v_pk_fma_f32 v[98:99], v[44:45], v[42:43], v[96:97] op_sel_hi:[1,0,1]
	v_pk_fma_f32 v[42:43], v[44:45], v[42:43], v[96:97] neg_lo:[0,0,1] neg_hi:[0,0,1]
	v_mov_b32_e32 v43, v99
	s_delay_alu instid0(VALU_DEP_1)
	v_pk_add_f32 v[40:41], v[40:41], v[42:43]
.LBB56_755:                             ;   in Loop: Header=BB56_3 Depth=1
	s_or_b32 exec_lo, exec_lo, s24
	v_readlane_b32 s26, v105, 3
	s_barrier_signal -1
	s_barrier_wait -1
	s_and_saveexec_b32 s24, s26
; %bb.756:                              ;   in Loop: Header=BB56_3 Depth=1
	ds_store_b64 v71, v[40:41]
; %bb.757:                              ;   in Loop: Header=BB56_3 Depth=1
	s_or_b32 exec_lo, exec_lo, s24
	v_readlane_b32 s26, v105, 4
	s_wait_dscnt 0x0
	s_barrier_signal -1
	s_barrier_wait -1
	s_and_saveexec_b32 s24, s26
	s_cbranch_execz .LBB56_759
; %bb.758:                              ;   in Loop: Header=BB56_3 Depth=1
	ds_load_b64 v[42:43], v67 offset:25472
	ds_load_b64 v[44:45], v71
	s_wait_dscnt 0x0
	v_pk_mul_f32 v[96:97], v[44:45], v[42:43] op_sel:[1,1] op_sel_hi:[0,1]
	s_delay_alu instid0(VALU_DEP_1) | instskip(SKIP_1) | instid1(VALU_DEP_2)
	v_pk_fma_f32 v[98:99], v[44:45], v[42:43], v[96:97] op_sel_hi:[1,0,1]
	v_pk_fma_f32 v[42:43], v[44:45], v[42:43], v[96:97] neg_lo:[0,0,1] neg_hi:[0,0,1]
	v_mov_b32_e32 v43, v99
	s_delay_alu instid0(VALU_DEP_1)
	v_pk_add_f32 v[40:41], v[40:41], v[42:43]
.LBB56_759:                             ;   in Loop: Header=BB56_3 Depth=1
	s_or_b32 exec_lo, exec_lo, s24
	v_readlane_b32 s26, v105, 5
	s_barrier_signal -1
	s_barrier_wait -1
	;; [unrolled: 27-line block ×3, first 2 shown]
	s_and_saveexec_b32 s24, s26
; %bb.764:                              ;   in Loop: Header=BB56_3 Depth=1
	ds_store_b64 v71, v[40:41]
; %bb.765:                              ;   in Loop: Header=BB56_3 Depth=1
	s_or_b32 exec_lo, exec_lo, s24
	v_readlane_b32 s26, v105, 8
	s_wait_dscnt 0x0
	s_barrier_signal -1
	s_barrier_wait -1
	s_and_saveexec_b32 s24, s26
	s_cbranch_execz .LBB56_767
; %bb.766:                              ;   in Loop: Header=BB56_3 Depth=1
	ds_load_b64 v[42:43], v67 offset:26496
	ds_load_b64 v[44:45], v71
	s_wait_dscnt 0x0
	v_dual_mul_f32 v3, v45, v43 :: v_dual_mul_f32 v43, v44, v43
	s_delay_alu instid0(VALU_DEP_1) | instskip(NEXT) | instid1(VALU_DEP_1)
	v_fmac_f32_e32 v43, v45, v42
	v_dual_fma_f32 v3, v44, v42, -v3 :: v_dual_add_f32 v41, v41, v43
	s_delay_alu instid0(VALU_DEP_1)
	v_add_f32_e32 v40, v40, v3
.LBB56_767:                             ;   in Loop: Header=BB56_3 Depth=1
	s_or_b32 exec_lo, exec_lo, s24
	v_readlane_b32 s26, v105, 9
	s_barrier_signal -1
	s_barrier_wait -1
	s_and_saveexec_b32 s24, s26
; %bb.768:                              ;   in Loop: Header=BB56_3 Depth=1
	ds_store_b64 v71, v[40:41]
; %bb.769:                              ;   in Loop: Header=BB56_3 Depth=1
	s_or_b32 exec_lo, exec_lo, s24
	v_readlane_b32 s26, v105, 10
	s_wait_dscnt 0x0
	s_barrier_signal -1
	s_barrier_wait -1
	s_and_saveexec_b32 s24, s26
	s_cbranch_execz .LBB56_771
; %bb.770:                              ;   in Loop: Header=BB56_3 Depth=1
	ds_load_b64 v[42:43], v67 offset:27008
	ds_load_b64 v[44:45], v71
	s_wait_dscnt 0x0
	v_dual_mul_f32 v3, v45, v43 :: v_dual_mul_f32 v97, v44, v43
	s_delay_alu instid0(VALU_DEP_1) | instskip(NEXT) | instid1(VALU_DEP_1)
	v_dual_fma_f32 v96, v44, v42, -v3 :: v_dual_fmac_f32 v97, v45, v42
	v_pk_add_f32 v[40:41], v[40:41], v[96:97]
.LBB56_771:                             ;   in Loop: Header=BB56_3 Depth=1
	s_or_b32 exec_lo, exec_lo, s24
	v_readlane_b32 s26, v105, 11
	s_barrier_signal -1
	s_barrier_wait -1
	s_and_saveexec_b32 s24, s26
; %bb.772:                              ;   in Loop: Header=BB56_3 Depth=1
	ds_store_b64 v71, v[40:41]
; %bb.773:                              ;   in Loop: Header=BB56_3 Depth=1
	s_or_b32 exec_lo, exec_lo, s24
	v_readlane_b32 s26, v105, 12
	s_wait_dscnt 0x0
	s_barrier_signal -1
	s_barrier_wait -1
	s_and_saveexec_b32 s24, s26
	s_cbranch_execz .LBB56_775
; %bb.774:                              ;   in Loop: Header=BB56_3 Depth=1
	ds_load_b64 v[42:43], v67 offset:27520
	ds_load_b64 v[44:45], v71
	s_wait_dscnt 0x0
	v_pk_mul_f32 v[96:97], v[44:45], v[42:43] op_sel:[1,1] op_sel_hi:[0,1]
	s_delay_alu instid0(VALU_DEP_1) | instskip(SKIP_1) | instid1(VALU_DEP_2)
	v_pk_fma_f32 v[98:99], v[44:45], v[42:43], v[96:97] op_sel_hi:[1,0,1]
	v_pk_fma_f32 v[42:43], v[44:45], v[42:43], v[96:97] neg_lo:[0,0,1] neg_hi:[0,0,1]
	v_mov_b32_e32 v43, v99
	s_delay_alu instid0(VALU_DEP_1)
	v_pk_add_f32 v[40:41], v[40:41], v[42:43]
.LBB56_775:                             ;   in Loop: Header=BB56_3 Depth=1
	s_or_b32 exec_lo, exec_lo, s24
	v_readlane_b32 s26, v105, 13
	s_barrier_signal -1
	s_barrier_wait -1
	s_and_saveexec_b32 s24, s26
; %bb.776:                              ;   in Loop: Header=BB56_3 Depth=1
	ds_store_b64 v71, v[40:41]
; %bb.777:                              ;   in Loop: Header=BB56_3 Depth=1
	s_or_b32 exec_lo, exec_lo, s24
	s_wait_dscnt 0x0
	s_barrier_signal -1
	s_barrier_wait -1
	s_and_saveexec_b32 s24, s30
	s_cbranch_execz .LBB56_779
; %bb.778:                              ;   in Loop: Header=BB56_3 Depth=1
	ds_load_b64 v[42:43], v67 offset:28032
	ds_load_b64 v[44:45], v71
	s_wait_dscnt 0x0
	v_pk_mul_f32 v[96:97], v[44:45], v[42:43] op_sel:[1,1] op_sel_hi:[0,1]
	s_delay_alu instid0(VALU_DEP_1) | instskip(SKIP_1) | instid1(VALU_DEP_2)
	v_pk_fma_f32 v[98:99], v[44:45], v[42:43], v[96:97] op_sel_hi:[1,0,1]
	v_pk_fma_f32 v[42:43], v[44:45], v[42:43], v[96:97] neg_lo:[0,0,1] neg_hi:[0,0,1]
	v_mov_b32_e32 v43, v99
	s_delay_alu instid0(VALU_DEP_1)
	v_pk_add_f32 v[40:41], v[40:41], v[42:43]
.LBB56_779:                             ;   in Loop: Header=BB56_3 Depth=1
	s_or_b32 exec_lo, exec_lo, s24
	s_barrier_signal -1
	s_barrier_wait -1
	s_and_saveexec_b32 s24, s35
; %bb.780:                              ;   in Loop: Header=BB56_3 Depth=1
	ds_store_b64 v71, v[40:41]
; %bb.781:                              ;   in Loop: Header=BB56_3 Depth=1
	s_or_b32 exec_lo, exec_lo, s24
	s_wait_dscnt 0x0
	s_barrier_signal -1
	s_barrier_wait -1
	s_and_saveexec_b32 s24, s36
	s_cbranch_execz .LBB56_783
; %bb.782:                              ;   in Loop: Header=BB56_3 Depth=1
	ds_load_b64 v[42:43], v67 offset:28544
	ds_load_b64 v[44:45], v71
	s_wait_dscnt 0x0
	v_pk_mul_f32 v[96:97], v[44:45], v[42:43] op_sel:[1,1] op_sel_hi:[0,1]
	s_delay_alu instid0(VALU_DEP_1) | instskip(SKIP_1) | instid1(VALU_DEP_2)
	v_pk_fma_f32 v[98:99], v[44:45], v[42:43], v[96:97] op_sel_hi:[1,0,1]
	v_pk_fma_f32 v[42:43], v[44:45], v[42:43], v[96:97] neg_lo:[0,0,1] neg_hi:[0,0,1]
	v_mov_b32_e32 v43, v99
	s_delay_alu instid0(VALU_DEP_1)
	v_pk_add_f32 v[40:41], v[40:41], v[42:43]
.LBB56_783:                             ;   in Loop: Header=BB56_3 Depth=1
	s_or_b32 exec_lo, exec_lo, s24
	;; [unrolled: 25-line block ×3, first 2 shown]
	s_barrier_signal -1
	s_barrier_wait -1
	s_and_saveexec_b32 s24, s21
; %bb.788:                              ;   in Loop: Header=BB56_3 Depth=1
	ds_store_b64 v71, v[40:41]
; %bb.789:                              ;   in Loop: Header=BB56_3 Depth=1
	s_or_b32 exec_lo, exec_lo, s24
	s_wait_dscnt 0x0
	s_barrier_signal -1
	s_barrier_wait -1
	s_and_saveexec_b32 s24, s23
	s_cbranch_execz .LBB56_791
; %bb.790:                              ;   in Loop: Header=BB56_3 Depth=1
	ds_load_b64 v[42:43], v67 offset:29568
	ds_load_b64 v[44:45], v71
	s_wait_dscnt 0x0
	v_dual_mul_f32 v3, v45, v43 :: v_dual_mul_f32 v43, v44, v43
	s_delay_alu instid0(VALU_DEP_1) | instskip(NEXT) | instid1(VALU_DEP_1)
	v_fmac_f32_e32 v43, v45, v42
	v_dual_fma_f32 v3, v44, v42, -v3 :: v_dual_add_f32 v41, v41, v43
	s_delay_alu instid0(VALU_DEP_1)
	v_add_f32_e32 v40, v40, v3
.LBB56_791:                             ;   in Loop: Header=BB56_3 Depth=1
	s_or_b32 exec_lo, exec_lo, s24
	s_barrier_signal -1
	s_barrier_wait -1
	s_and_saveexec_b32 s24, s25
; %bb.792:                              ;   in Loop: Header=BB56_3 Depth=1
	ds_store_b64 v71, v[40:41]
; %bb.793:                              ;   in Loop: Header=BB56_3 Depth=1
	s_or_b32 exec_lo, exec_lo, s24
	s_wait_dscnt 0x0
	s_barrier_signal -1
	s_barrier_wait -1
	s_and_saveexec_b32 s24, s27
	s_cbranch_execz .LBB56_795
; %bb.794:                              ;   in Loop: Header=BB56_3 Depth=1
	ds_load_b64 v[42:43], v67 offset:30080
	ds_load_b64 v[44:45], v71
	s_wait_dscnt 0x0
	v_dual_mul_f32 v3, v45, v43 :: v_dual_mul_f32 v97, v44, v43
	s_delay_alu instid0(VALU_DEP_1) | instskip(NEXT) | instid1(VALU_DEP_1)
	v_dual_fma_f32 v96, v44, v42, -v3 :: v_dual_fmac_f32 v97, v45, v42
	v_pk_add_f32 v[40:41], v[40:41], v[96:97]
.LBB56_795:                             ;   in Loop: Header=BB56_3 Depth=1
	s_or_b32 exec_lo, exec_lo, s24
	s_barrier_signal -1
	s_barrier_wait -1
	s_and_saveexec_b32 s24, s29
; %bb.796:                              ;   in Loop: Header=BB56_3 Depth=1
	ds_store_b64 v71, v[40:41]
; %bb.797:                              ;   in Loop: Header=BB56_3 Depth=1
	s_or_b32 exec_lo, exec_lo, s24
	s_wait_dscnt 0x0
	s_barrier_signal -1
	s_barrier_wait -1
	s_and_saveexec_b32 s24, s92
	s_cbranch_execz .LBB56_799
; %bb.798:                              ;   in Loop: Header=BB56_3 Depth=1
	ds_load_b64 v[42:43], v67 offset:30592
	ds_load_b64 v[44:45], v71
	s_wait_dscnt 0x0
	v_pk_mul_f32 v[96:97], v[44:45], v[42:43] op_sel:[1,1] op_sel_hi:[0,1]
	s_delay_alu instid0(VALU_DEP_1) | instskip(SKIP_1) | instid1(VALU_DEP_2)
	v_pk_fma_f32 v[98:99], v[44:45], v[42:43], v[96:97] op_sel_hi:[1,0,1]
	v_pk_fma_f32 v[42:43], v[44:45], v[42:43], v[96:97] neg_lo:[0,0,1] neg_hi:[0,0,1]
	v_mov_b32_e32 v43, v99
	s_delay_alu instid0(VALU_DEP_1)
	v_pk_add_f32 v[40:41], v[40:41], v[42:43]
.LBB56_799:                             ;   in Loop: Header=BB56_3 Depth=1
	s_or_b32 exec_lo, exec_lo, s24
	s_barrier_signal -1
	s_barrier_wait -1
	s_and_saveexec_b32 s24, s52
; %bb.800:                              ;   in Loop: Header=BB56_3 Depth=1
	ds_store_b64 v71, v[40:41]
; %bb.801:                              ;   in Loop: Header=BB56_3 Depth=1
	s_or_b32 exec_lo, exec_lo, s24
	s_wait_dscnt 0x0
	s_barrier_signal -1
	s_barrier_wait -1
	s_and_saveexec_b32 s24, s53
	s_cbranch_execz .LBB56_803
; %bb.802:                              ;   in Loop: Header=BB56_3 Depth=1
	ds_load_b64 v[42:43], v67 offset:31104
	ds_load_b64 v[44:45], v71
	s_wait_dscnt 0x0
	v_pk_mul_f32 v[96:97], v[44:45], v[42:43] op_sel:[1,1] op_sel_hi:[0,1]
	s_delay_alu instid0(VALU_DEP_1) | instskip(SKIP_1) | instid1(VALU_DEP_2)
	v_pk_fma_f32 v[98:99], v[44:45], v[42:43], v[96:97] op_sel_hi:[1,0,1]
	v_pk_fma_f32 v[42:43], v[44:45], v[42:43], v[96:97] neg_lo:[0,0,1] neg_hi:[0,0,1]
	v_mov_b32_e32 v43, v99
	s_delay_alu instid0(VALU_DEP_1)
	v_pk_add_f32 v[40:41], v[40:41], v[42:43]
.LBB56_803:                             ;   in Loop: Header=BB56_3 Depth=1
	s_or_b32 exec_lo, exec_lo, s24
	s_barrier_signal -1
	s_barrier_wait -1
	s_and_saveexec_b32 s24, s54
; %bb.804:                              ;   in Loop: Header=BB56_3 Depth=1
	ds_store_b64 v71, v[40:41]
; %bb.805:                              ;   in Loop: Header=BB56_3 Depth=1
	s_or_b32 exec_lo, exec_lo, s24
	s_wait_dscnt 0x0
	s_barrier_signal -1
	s_barrier_wait -1
	s_and_saveexec_b32 s24, s55
	s_cbranch_execz .LBB56_807
; %bb.806:                              ;   in Loop: Header=BB56_3 Depth=1
	ds_load_b64 v[42:43], v67 offset:31616
	ds_load_b64 v[44:45], v71
	s_wait_dscnt 0x0
	v_pk_mul_f32 v[96:97], v[44:45], v[42:43] op_sel:[1,1] op_sel_hi:[0,1]
	s_delay_alu instid0(VALU_DEP_1) | instskip(SKIP_1) | instid1(VALU_DEP_2)
	v_pk_fma_f32 v[98:99], v[44:45], v[42:43], v[96:97] op_sel_hi:[1,0,1]
	v_pk_fma_f32 v[42:43], v[44:45], v[42:43], v[96:97] neg_lo:[0,0,1] neg_hi:[0,0,1]
	v_mov_b32_e32 v43, v99
	s_delay_alu instid0(VALU_DEP_1)
	v_pk_add_f32 v[40:41], v[40:41], v[42:43]
.LBB56_807:                             ;   in Loop: Header=BB56_3 Depth=1
	s_or_b32 exec_lo, exec_lo, s24
	s_barrier_signal -1
	s_barrier_wait -1
	s_and_saveexec_b32 s24, s56
; %bb.808:                              ;   in Loop: Header=BB56_3 Depth=1
	ds_store_b64 v71, v[40:41]
; %bb.809:                              ;   in Loop: Header=BB56_3 Depth=1
	s_or_b32 exec_lo, exec_lo, s24
	s_wait_dscnt 0x0
	s_barrier_signal -1
	s_barrier_wait -1
	s_and_saveexec_b32 s24, s57
	s_cbranch_execz .LBB56_811
; %bb.810:                              ;   in Loop: Header=BB56_3 Depth=1
	ds_load_b64 v[42:43], v7 offset:32248
	ds_load_b64 v[44:45], v71
	s_wait_dscnt 0x0
	v_pk_mul_f32 v[96:97], v[44:45], v[42:43] op_sel:[1,1] op_sel_hi:[0,1]
	s_delay_alu instid0(VALU_DEP_1) | instskip(SKIP_1) | instid1(VALU_DEP_2)
	v_pk_fma_f32 v[98:99], v[44:45], v[42:43], v[96:97] op_sel_hi:[1,0,1]
	v_pk_fma_f32 v[42:43], v[44:45], v[42:43], v[96:97] neg_lo:[0,0,1] neg_hi:[0,0,1]
	v_mov_b32_e32 v43, v99
	s_delay_alu instid0(VALU_DEP_1)
	v_pk_add_f32 v[40:41], v[40:41], v[42:43]
.LBB56_811:                             ;   in Loop: Header=BB56_3 Depth=1
	s_or_b32 exec_lo, exec_lo, s24
	s_barrier_signal -1
	s_barrier_wait -1
	s_and_saveexec_b32 s24, s57
; %bb.812:                              ;   in Loop: Header=BB56_3 Depth=1
	ds_store_b64 v71, v[40:41]
; %bb.813:                              ;   in Loop: Header=BB56_3 Depth=1
	s_or_b32 exec_lo, exec_lo, s24
	s_wait_dscnt 0x0
	s_barrier_signal -1
	s_barrier_wait -1
	s_barrier_signal -1
	s_barrier_wait -1
	s_and_saveexec_b32 s24, s4
; %bb.814:                              ;   in Loop: Header=BB56_3 Depth=1
	v_pk_add_f32 v[40:41], v[40:41], 0 neg_lo:[1,1] neg_hi:[1,1]
	ds_store_b64 v72, v[40:41] offset:16768
; %bb.815:                              ;   in Loop: Header=BB56_3 Depth=1
	s_or_b32 exec_lo, exec_lo, s24
	s_wait_dscnt 0x0
	s_barrier_signal -1
	s_barrier_wait -1
	s_barrier_signal -1
	s_barrier_wait -1
	s_and_saveexec_b32 s61, s59
	s_cbranch_execz .LBB56_817
; %bb.816:                              ;   in Loop: Header=BB56_3 Depth=1
	ds_load_b64 v[40:41], v9 offset:16768
	s_wait_dscnt 0x0
	ds_store_b64 v46, v[40:41] offset:24832
	ds_load_b64 v[40:41], v9 offset:16776
	s_wait_dscnt 0x0
	ds_store_b64 v46, v[40:41] offset:25344
	;; [unrolled: 3-line block ×16, first 2 shown]
.LBB56_817:                             ;   in Loop: Header=BB56_3 Depth=1
	s_or_b32 exec_lo, exec_lo, s61
	s_wait_dscnt 0x0
	s_barrier_signal -1
	s_barrier_wait -1
	s_and_saveexec_b32 s24, s11
	s_cbranch_execz .LBB56_819
; %bb.818:                              ;   in Loop: Header=BB56_3 Depth=1
	ds_load_b64 v[40:41], v7 offset:24968
	v_add_nc_u32_e64 v3, 0x180, 0
	ds_store_b64 v7, v[34:35] offset:25480
	s_wait_dscnt 0x1
	ds_store_2addr_stride64_b64 v3, v[34:35], v[40:41] offset0:48 offset1:49
.LBB56_819:                             ;   in Loop: Header=BB56_3 Depth=1
	s_or_b32 exec_lo, exec_lo, s24
	v_mov_b64_e32 v[40:41], 0
	s_wait_dscnt 0x0
	s_barrier_signal -1
	s_barrier_wait -1
	s_and_saveexec_b32 s61, s0
	s_cbranch_execz .LBB56_823
; %bb.820:                              ;   in Loop: Header=BB56_3 Depth=1
	ds_load_b64 v[40:41], v61 offset:24976
	ds_load_b64 v[42:43], v62 offset:24960
	s_wait_dscnt 0x0
	v_pk_mul_f32 v[44:45], v[42:43], v[40:41] op_sel:[1,1] op_sel_hi:[0,1]
	s_delay_alu instid0(VALU_DEP_1) | instskip(SKIP_1) | instid1(VALU_DEP_2)
	v_pk_fma_f32 v[96:97], v[42:43], v[40:41], v[44:45] op_sel_hi:[1,0,1]
	v_pk_fma_f32 v[40:41], v[42:43], v[40:41], v[44:45] neg_lo:[0,0,1] neg_hi:[0,0,1]
	v_mov_b32_e32 v41, v97
	s_delay_alu instid0(VALU_DEP_1)
	v_pk_add_f32 v[40:41], v[40:41], 0 op_sel_hi:[1,0]
	s_and_saveexec_b32 s24, s12
	s_cbranch_execz .LBB56_822
; %bb.821:                              ;   in Loop: Header=BB56_3 Depth=1
	ds_load_b64 v[42:43], v5 offset:25488
	ds_load_b64 v[44:45], v7 offset:24968
	s_wait_dscnt 0x0
	v_pk_mul_f32 v[96:97], v[44:45], v[42:43] op_sel:[1,1] op_sel_hi:[0,1]
	s_delay_alu instid0(VALU_DEP_1) | instskip(SKIP_1) | instid1(VALU_DEP_2)
	v_pk_fma_f32 v[98:99], v[44:45], v[42:43], v[96:97] op_sel_hi:[1,0,1]
	v_pk_fma_f32 v[42:43], v[44:45], v[42:43], v[96:97] neg_lo:[0,0,1] neg_hi:[0,0,1]
	v_mov_b32_e32 v43, v99
	s_delay_alu instid0(VALU_DEP_1)
	v_pk_add_f32 v[40:41], v[40:41], v[42:43]
.LBB56_822:                             ;   in Loop: Header=BB56_3 Depth=1
	s_or_b32 exec_lo, exec_lo, s24
	s_delay_alu instid0(VALU_DEP_1)
	v_pk_add_f32 v[40:41], v[40:41], 0 neg_lo:[1,1] neg_hi:[1,1]
.LBB56_823:                             ;   in Loop: Header=BB56_3 Depth=1
	s_or_b32 exec_lo, exec_lo, s61
	s_and_saveexec_b32 s24, s94
; %bb.824:                              ;   in Loop: Header=BB56_3 Depth=1
	ds_store_b64 v51, v[40:41]
; %bb.825:                              ;   in Loop: Header=BB56_3 Depth=1
	s_or_b32 exec_lo, exec_lo, s24
	s_wait_dscnt 0x0
	s_barrier_signal -1
	s_barrier_wait -1
	s_and_saveexec_b32 s24, s95
	s_cbranch_execz .LBB56_827
; %bb.826:                              ;   in Loop: Header=BB56_3 Depth=1
	ds_load_b64 v[42:43], v7 offset:26008
	ds_load_b64 v[44:45], v51
	s_wait_dscnt 0x0
	v_pk_mul_f32 v[96:97], v[44:45], v[42:43] op_sel:[1,1] op_sel_hi:[0,1]
	s_delay_alu instid0(VALU_DEP_1) | instskip(SKIP_1) | instid1(VALU_DEP_2)
	v_pk_fma_f32 v[98:99], v[44:45], v[42:43], v[96:97] op_sel_hi:[1,0,1]
	v_pk_fma_f32 v[42:43], v[44:45], v[42:43], v[96:97] neg_lo:[0,0,1] neg_hi:[0,0,1]
	v_mov_b32_e32 v43, v99
	s_delay_alu instid0(VALU_DEP_1)
	v_pk_add_f32 v[40:41], v[40:41], v[42:43]
.LBB56_827:                             ;   in Loop: Header=BB56_3 Depth=1
	s_or_b32 exec_lo, exec_lo, s24
	s_barrier_signal -1
	s_barrier_wait -1
	s_and_saveexec_b32 s24, s95
; %bb.828:                              ;   in Loop: Header=BB56_3 Depth=1
	ds_store_b64 v51, v[40:41]
; %bb.829:                              ;   in Loop: Header=BB56_3 Depth=1
	s_or_b32 exec_lo, exec_lo, s24
	s_wait_dscnt 0x0
	s_barrier_signal -1
	s_barrier_wait -1
	s_barrier_signal -1
	s_barrier_wait -1
	s_and_saveexec_b32 s24, s0
; %bb.830:                              ;   in Loop: Header=BB56_3 Depth=1
	v_pk_add_f32 v[40:41], v[40:41], 0 neg_lo:[1,1] neg_hi:[1,1]
	ds_store_b64 v61, v[40:41] offset:24976
; %bb.831:                              ;   in Loop: Header=BB56_3 Depth=1
	s_or_b32 exec_lo, exec_lo, s24
	s_wait_dscnt 0x0
	s_barrier_signal -1
	s_barrier_wait -1
	s_barrier_signal -1
	s_barrier_wait -1
	s_and_saveexec_b32 s24, s96
	s_cbranch_execz .LBB56_833
; %bb.832:                              ;   in Loop: Header=BB56_3 Depth=1
	ds_load_b64 v[40:41], v9 offset:24976
	s_wait_dscnt 0x0
	ds_store_b64 v5, v[40:41] offset:25984
	ds_load_b64 v[40:41], v9 offset:24984
	s_wait_dscnt 0x0
	ds_store_b64 v5, v[40:41] offset:26496
.LBB56_833:                             ;   in Loop: Header=BB56_3 Depth=1
	s_or_b32 exec_lo, exec_lo, s24
	s_wait_dscnt 0x0
	s_barrier_signal -1
	s_barrier_wait -1
	s_and_saveexec_b32 s24, s11
	s_cbranch_execz .LBB56_835
; %bb.834:                              ;   in Loop: Header=BB56_3 Depth=1
	ds_load_b64 v[40:41], v7 offset:26008
	v_add_nc_u32_e64 v3, 0x190, 0
	ds_store_b64 v7, v[34:35] offset:26520
	s_wait_dscnt 0x1
	ds_store_2addr_stride64_b64 v3, v[34:35], v[40:41] offset0:50 offset1:51
.LBB56_835:                             ;   in Loop: Header=BB56_3 Depth=1
	s_or_b32 exec_lo, exec_lo, s24
	v_mov_b64_e32 v[40:41], 0
	s_wait_dscnt 0x0
	s_barrier_signal -1
	s_barrier_wait -1
	s_and_saveexec_b32 s62, s2
	s_cbranch_execz .LBB56_841
; %bb.836:                              ;   in Loop: Header=BB56_3 Depth=1
	ds_load_b64 v[40:41], v65 offset:24992
	ds_load_b64 v[42:43], v53 offset:24960
	s_wait_dscnt 0x0
	v_dual_mul_f32 v3, v43, v41 :: v_dual_mul_f32 v41, v42, v41
	s_delay_alu instid0(VALU_DEP_1) | instskip(NEXT) | instid1(VALU_DEP_1)
	v_dual_fma_f32 v3, v42, v40, -v3 :: v_dual_fmac_f32 v41, v43, v40
	v_dual_add_f32 v40, 0, v3 :: v_dual_add_f32 v41, 0, v41
	s_and_saveexec_b32 s24, s13
	s_cbranch_execnz .LBB56_1102
; %bb.837:                              ;   in Loop: Header=BB56_3 Depth=1
	s_or_b32 exec_lo, exec_lo, s24
	s_and_saveexec_b32 s24, s14
	s_cbranch_execnz .LBB56_1103
.LBB56_838:                             ;   in Loop: Header=BB56_3 Depth=1
	s_or_b32 exec_lo, exec_lo, s24
	s_and_saveexec_b32 s24, s0
	s_cbranch_execz .LBB56_840
.LBB56_839:                             ;   in Loop: Header=BB56_3 Depth=1
	ds_load_b64 v[42:43], v46 offset:26528
	ds_load_b64 v[44:45], v7 offset:24984
	s_wait_dscnt 0x0
	v_dual_mul_f32 v3, v45, v43 :: v_dual_mul_f32 v97, v44, v43
	s_delay_alu instid0(VALU_DEP_1) | instskip(NEXT) | instid1(VALU_DEP_1)
	v_dual_fma_f32 v96, v44, v42, -v3 :: v_dual_fmac_f32 v97, v45, v42
	v_pk_add_f32 v[40:41], v[40:41], v[96:97]
.LBB56_840:                             ;   in Loop: Header=BB56_3 Depth=1
	s_or_b32 exec_lo, exec_lo, s24
	s_delay_alu instid0(VALU_DEP_1)
	v_pk_add_f32 v[40:41], v[40:41], 0 neg_lo:[1,1] neg_hi:[1,1]
.LBB56_841:                             ;   in Loop: Header=BB56_3 Depth=1
	s_or_b32 exec_lo, exec_lo, s62
	s_and_saveexec_b32 s24, s97
; %bb.842:                              ;   in Loop: Header=BB56_3 Depth=1
	ds_store_b64 v63, v[40:41]
; %bb.843:                              ;   in Loop: Header=BB56_3 Depth=1
	s_or_b32 exec_lo, exec_lo, s24
	s_wait_dscnt 0x0
	s_barrier_signal -1
	s_barrier_wait -1
	s_and_saveexec_b32 s24, s98
	s_cbranch_execz .LBB56_845
; %bb.844:                              ;   in Loop: Header=BB56_3 Depth=1
	ds_load_b64 v[42:43], v60 offset:27040
	ds_load_b64 v[44:45], v63
	s_wait_dscnt 0x0
	v_pk_mul_f32 v[96:97], v[44:45], v[42:43] op_sel:[1,1] op_sel_hi:[0,1]
	s_delay_alu instid0(VALU_DEP_1) | instskip(SKIP_1) | instid1(VALU_DEP_2)
	v_pk_fma_f32 v[98:99], v[44:45], v[42:43], v[96:97] op_sel_hi:[1,0,1]
	v_pk_fma_f32 v[42:43], v[44:45], v[42:43], v[96:97] neg_lo:[0,0,1] neg_hi:[0,0,1]
	v_mov_b32_e32 v43, v99
	s_delay_alu instid0(VALU_DEP_1)
	v_pk_add_f32 v[40:41], v[40:41], v[42:43]
.LBB56_845:                             ;   in Loop: Header=BB56_3 Depth=1
	s_or_b32 exec_lo, exec_lo, s24
	s_barrier_signal -1
	s_barrier_wait -1
	s_and_saveexec_b32 s24, s99
; %bb.846:                              ;   in Loop: Header=BB56_3 Depth=1
	ds_store_b64 v63, v[40:41]
; %bb.847:                              ;   in Loop: Header=BB56_3 Depth=1
	s_or_b32 exec_lo, exec_lo, s24
	s_wait_dscnt 0x0
	s_barrier_signal -1
	s_barrier_wait -1
	s_and_saveexec_b32 s24, s100
	s_cbranch_execz .LBB56_849
; %bb.848:                              ;   in Loop: Header=BB56_3 Depth=1
	ds_load_b64 v[42:43], v60 offset:27552
	ds_load_b64 v[44:45], v63
	s_wait_dscnt 0x0
	v_pk_mul_f32 v[96:97], v[44:45], v[42:43] op_sel:[1,1] op_sel_hi:[0,1]
	s_delay_alu instid0(VALU_DEP_1) | instskip(SKIP_1) | instid1(VALU_DEP_2)
	v_pk_fma_f32 v[98:99], v[44:45], v[42:43], v[96:97] op_sel_hi:[1,0,1]
	v_pk_fma_f32 v[42:43], v[44:45], v[42:43], v[96:97] neg_lo:[0,0,1] neg_hi:[0,0,1]
	v_mov_b32_e32 v43, v99
	s_delay_alu instid0(VALU_DEP_1)
	v_pk_add_f32 v[40:41], v[40:41], v[42:43]
.LBB56_849:                             ;   in Loop: Header=BB56_3 Depth=1
	s_or_b32 exec_lo, exec_lo, s24
	s_barrier_signal -1
	s_barrier_wait -1
	;; [unrolled: 25-line block ×3, first 2 shown]
	s_and_saveexec_b32 s24, s102
; %bb.854:                              ;   in Loop: Header=BB56_3 Depth=1
	ds_store_b64 v63, v[40:41]
; %bb.855:                              ;   in Loop: Header=BB56_3 Depth=1
	s_or_b32 exec_lo, exec_lo, s24
	s_wait_dscnt 0x0
	s_barrier_signal -1
	s_barrier_wait -1
	s_barrier_signal -1
	s_barrier_wait -1
	s_and_saveexec_b32 s24, s2
; %bb.856:                              ;   in Loop: Header=BB56_3 Depth=1
	v_pk_add_f32 v[40:41], v[40:41], 0 neg_lo:[1,1] neg_hi:[1,1]
	ds_store_b64 v65, v[40:41] offset:24992
; %bb.857:                              ;   in Loop: Header=BB56_3 Depth=1
	s_or_b32 exec_lo, exec_lo, s24
	s_wait_dscnt 0x0
	s_barrier_signal -1
	s_barrier_wait -1
	s_barrier_signal -1
	s_barrier_wait -1
	s_and_saveexec_b32 s24, s103
	s_cbranch_execz .LBB56_859
; %bb.858:                              ;   in Loop: Header=BB56_3 Depth=1
	ds_load_b64 v[40:41], v47 offset:24992
	s_wait_dscnt 0x0
	ds_store_b64 v48, v[40:41] offset:27008
	ds_load_b64 v[40:41], v47 offset:25000
	s_wait_dscnt 0x0
	ds_store_b64 v48, v[40:41] offset:27520
	;; [unrolled: 3-line block ×4, first 2 shown]
.LBB56_859:                             ;   in Loop: Header=BB56_3 Depth=1
	s_or_b32 exec_lo, exec_lo, s24
	s_wait_dscnt 0x0
	s_barrier_signal -1
	s_barrier_wait -1
	s_and_saveexec_b32 s24, s11
	s_cbranch_execz .LBB56_861
; %bb.860:                              ;   in Loop: Header=BB56_3 Depth=1
	ds_load_b64 v[40:41], v7 offset:27048
	v_add_nc_u32_e64 v3, 0x1a0, 0
	ds_store_b64 v7, v[34:35] offset:27560
	s_wait_dscnt 0x1
	ds_store_2addr_stride64_b64 v3, v[34:35], v[40:41] offset0:52 offset1:53
.LBB56_861:                             ;   in Loop: Header=BB56_3 Depth=1
	s_or_b32 exec_lo, exec_lo, s24
	v_mov_b64_e32 v[40:41], 0
	s_wait_dscnt 0x0
	s_barrier_signal -1
	s_barrier_wait -1
	s_and_saveexec_b32 s61, s0
	s_cbranch_execz .LBB56_865
; %bb.862:                              ;   in Loop: Header=BB56_3 Depth=1
	ds_load_b64 v[40:41], v61 offset:27056
	ds_load_b64 v[42:43], v62 offset:27040
	s_wait_dscnt 0x0
	v_pk_mul_f32 v[44:45], v[42:43], v[40:41] op_sel:[1,1] op_sel_hi:[0,1]
	s_delay_alu instid0(VALU_DEP_1) | instskip(SKIP_1) | instid1(VALU_DEP_2)
	v_pk_fma_f32 v[96:97], v[42:43], v[40:41], v[44:45] op_sel_hi:[1,0,1]
	v_pk_fma_f32 v[40:41], v[42:43], v[40:41], v[44:45] neg_lo:[0,0,1] neg_hi:[0,0,1]
	v_mov_b32_e32 v41, v97
	s_delay_alu instid0(VALU_DEP_1)
	v_pk_add_f32 v[40:41], v[40:41], 0 op_sel_hi:[1,0]
	s_and_saveexec_b32 s24, s12
	s_cbranch_execz .LBB56_864
; %bb.863:                              ;   in Loop: Header=BB56_3 Depth=1
	ds_load_b64 v[42:43], v48 offset:27568
	ds_load_b64 v[44:45], v7 offset:27048
	s_wait_dscnt 0x0
	v_pk_mul_f32 v[96:97], v[44:45], v[42:43] op_sel:[1,1] op_sel_hi:[0,1]
	s_delay_alu instid0(VALU_DEP_1) | instskip(SKIP_1) | instid1(VALU_DEP_2)
	v_pk_fma_f32 v[98:99], v[44:45], v[42:43], v[96:97] op_sel_hi:[1,0,1]
	v_pk_fma_f32 v[42:43], v[44:45], v[42:43], v[96:97] neg_lo:[0,0,1] neg_hi:[0,0,1]
	v_mov_b32_e32 v43, v99
	s_delay_alu instid0(VALU_DEP_1)
	v_pk_add_f32 v[40:41], v[40:41], v[42:43]
.LBB56_864:                             ;   in Loop: Header=BB56_3 Depth=1
	s_or_b32 exec_lo, exec_lo, s24
	s_delay_alu instid0(VALU_DEP_1)
	v_pk_add_f32 v[40:41], v[40:41], 0 neg_lo:[1,1] neg_hi:[1,1]
.LBB56_865:                             ;   in Loop: Header=BB56_3 Depth=1
	s_or_b32 exec_lo, exec_lo, s61
	s_and_saveexec_b32 s24, s94
; %bb.866:                              ;   in Loop: Header=BB56_3 Depth=1
	ds_store_b64 v51, v[40:41]
; %bb.867:                              ;   in Loop: Header=BB56_3 Depth=1
	s_or_b32 exec_lo, exec_lo, s24
	s_wait_dscnt 0x0
	s_barrier_signal -1
	s_barrier_wait -1
	s_and_saveexec_b32 s24, s95
	s_cbranch_execz .LBB56_869
; %bb.868:                              ;   in Loop: Header=BB56_3 Depth=1
	ds_load_b64 v[42:43], v7 offset:28088
	ds_load_b64 v[44:45], v51
	s_wait_dscnt 0x0
	v_pk_mul_f32 v[96:97], v[44:45], v[42:43] op_sel:[1,1] op_sel_hi:[0,1]
	s_delay_alu instid0(VALU_DEP_1) | instskip(SKIP_1) | instid1(VALU_DEP_2)
	v_pk_fma_f32 v[98:99], v[44:45], v[42:43], v[96:97] op_sel_hi:[1,0,1]
	v_pk_fma_f32 v[42:43], v[44:45], v[42:43], v[96:97] neg_lo:[0,0,1] neg_hi:[0,0,1]
	v_mov_b32_e32 v43, v99
	s_delay_alu instid0(VALU_DEP_1)
	v_pk_add_f32 v[40:41], v[40:41], v[42:43]
.LBB56_869:                             ;   in Loop: Header=BB56_3 Depth=1
	s_or_b32 exec_lo, exec_lo, s24
	s_barrier_signal -1
	s_barrier_wait -1
	s_and_saveexec_b32 s24, s95
; %bb.870:                              ;   in Loop: Header=BB56_3 Depth=1
	ds_store_b64 v51, v[40:41]
; %bb.871:                              ;   in Loop: Header=BB56_3 Depth=1
	s_or_b32 exec_lo, exec_lo, s24
	s_wait_dscnt 0x0
	s_barrier_signal -1
	s_barrier_wait -1
	s_barrier_signal -1
	s_barrier_wait -1
	s_and_saveexec_b32 s24, s0
; %bb.872:                              ;   in Loop: Header=BB56_3 Depth=1
	v_pk_add_f32 v[40:41], v[40:41], 0 neg_lo:[1,1] neg_hi:[1,1]
	ds_store_b64 v61, v[40:41] offset:27056
; %bb.873:                              ;   in Loop: Header=BB56_3 Depth=1
	s_or_b32 exec_lo, exec_lo, s24
	s_wait_dscnt 0x0
	s_barrier_signal -1
	s_barrier_wait -1
	s_barrier_signal -1
	s_barrier_wait -1
	s_and_saveexec_b32 s24, s96
	s_cbranch_execz .LBB56_875
; %bb.874:                              ;   in Loop: Header=BB56_3 Depth=1
	ds_load_b64 v[40:41], v49 offset:27056
	s_wait_dscnt 0x0
	ds_store_b64 v48, v[40:41] offset:28064
	ds_load_b64 v[40:41], v49 offset:27064
	s_wait_dscnt 0x0
	ds_store_b64 v48, v[40:41] offset:28576
.LBB56_875:                             ;   in Loop: Header=BB56_3 Depth=1
	s_or_b32 exec_lo, exec_lo, s24
	s_wait_dscnt 0x0
	s_barrier_signal -1
	s_barrier_wait -1
	s_and_saveexec_b32 s24, s11
	s_cbranch_execz .LBB56_877
; %bb.876:                              ;   in Loop: Header=BB56_3 Depth=1
	ds_load_b64 v[40:41], v7 offset:28088
	v_add_nc_u32_e64 v3, 0x1b0, 0
	ds_store_b64 v7, v[34:35] offset:28600
	s_wait_dscnt 0x1
	ds_store_2addr_stride64_b64 v3, v[34:35], v[40:41] offset0:54 offset1:55
.LBB56_877:                             ;   in Loop: Header=BB56_3 Depth=1
	s_or_b32 exec_lo, exec_lo, s24
	v_mov_b64_e32 v[40:41], 0
	s_wait_dscnt 0x0
	s_barrier_signal -1
	s_barrier_wait -1
	s_and_saveexec_b32 s62, s3
	s_cbranch_execz .LBB56_887
; %bb.878:                              ;   in Loop: Header=BB56_3 Depth=1
	ds_load_b64 v[40:41], v69 offset:25024
	ds_load_b64 v[42:43], v55 offset:24960
	s_wait_dscnt 0x0
	v_dual_mul_f32 v3, v43, v41 :: v_dual_mul_f32 v41, v42, v41
	s_delay_alu instid0(VALU_DEP_1) | instskip(NEXT) | instid1(VALU_DEP_1)
	v_dual_fma_f32 v3, v42, v40, -v3 :: v_dual_fmac_f32 v41, v43, v40
	v_dual_add_f32 v40, 0, v3 :: v_dual_add_f32 v41, 0, v41
	s_and_saveexec_b32 s24, s15
	s_cbranch_execnz .LBB56_1104
; %bb.879:                              ;   in Loop: Header=BB56_3 Depth=1
	s_or_b32 exec_lo, exec_lo, s24
	s_and_saveexec_b32 s24, s16
	s_cbranch_execnz .LBB56_1105
.LBB56_880:                             ;   in Loop: Header=BB56_3 Depth=1
	s_or_b32 exec_lo, exec_lo, s24
	s_and_saveexec_b32 s24, s17
	s_cbranch_execnz .LBB56_1106
.LBB56_881:                             ;   in Loop: Header=BB56_3 Depth=1
	s_or_b32 exec_lo, exec_lo, s24
	s_and_saveexec_b32 s24, s18
	s_cbranch_execnz .LBB56_1107
.LBB56_882:                             ;   in Loop: Header=BB56_3 Depth=1
	s_or_b32 exec_lo, exec_lo, s24
	s_and_saveexec_b32 s24, s19
	s_cbranch_execnz .LBB56_1108
.LBB56_883:                             ;   in Loop: Header=BB56_3 Depth=1
	s_or_b32 exec_lo, exec_lo, s24
	s_and_saveexec_b32 s24, s2
	s_cbranch_execnz .LBB56_1109
.LBB56_884:                             ;   in Loop: Header=BB56_3 Depth=1
	s_or_b32 exec_lo, exec_lo, s24
	s_and_saveexec_b32 s24, s14
	s_cbranch_execz .LBB56_886
.LBB56_885:                             ;   in Loop: Header=BB56_3 Depth=1
	ds_load_b64 v[42:43], v5 offset:28608
	ds_load_b64 v[44:45], v7 offset:25016
	s_wait_dscnt 0x0
	v_pk_mul_f32 v[96:97], v[44:45], v[42:43] op_sel:[1,1] op_sel_hi:[0,1]
	s_delay_alu instid0(VALU_DEP_1) | instskip(SKIP_1) | instid1(VALU_DEP_2)
	v_pk_fma_f32 v[98:99], v[44:45], v[42:43], v[96:97] op_sel_hi:[1,0,1]
	v_pk_fma_f32 v[42:43], v[44:45], v[42:43], v[96:97] neg_lo:[0,0,1] neg_hi:[0,0,1]
	v_mov_b32_e32 v43, v99
	s_delay_alu instid0(VALU_DEP_1)
	v_pk_add_f32 v[40:41], v[40:41], v[42:43]
.LBB56_886:                             ;   in Loop: Header=BB56_3 Depth=1
	s_or_b32 exec_lo, exec_lo, s24
	s_delay_alu instid0(VALU_DEP_1)
	v_pk_add_f32 v[40:41], v[40:41], 0 neg_lo:[1,1] neg_hi:[1,1]
.LBB56_887:                             ;   in Loop: Header=BB56_3 Depth=1
	s_or_b32 exec_lo, exec_lo, s62
	s_and_saveexec_b32 s24, s104
; %bb.888:                              ;   in Loop: Header=BB56_3 Depth=1
	ds_store_b64 v68, v[40:41]
; %bb.889:                              ;   in Loop: Header=BB56_3 Depth=1
	s_or_b32 exec_lo, exec_lo, s24
	s_wait_dscnt 0x0
	s_barrier_signal -1
	s_barrier_wait -1
	s_and_saveexec_b32 s24, vcc_hi
	s_cbranch_execz .LBB56_891
; %bb.890:                              ;   in Loop: Header=BB56_3 Depth=1
	ds_load_b64 v[42:43], v64 offset:29120
	ds_load_b64 v[44:45], v68
	s_wait_dscnt 0x0
	v_pk_mul_f32 v[96:97], v[44:45], v[42:43] op_sel:[1,1] op_sel_hi:[0,1]
	s_delay_alu instid0(VALU_DEP_1) | instskip(SKIP_1) | instid1(VALU_DEP_2)
	v_pk_fma_f32 v[98:99], v[44:45], v[42:43], v[96:97] op_sel_hi:[1,0,1]
	v_pk_fma_f32 v[42:43], v[44:45], v[42:43], v[96:97] neg_lo:[0,0,1] neg_hi:[0,0,1]
	v_mov_b32_e32 v43, v99
	s_delay_alu instid0(VALU_DEP_1)
	v_pk_add_f32 v[40:41], v[40:41], v[42:43]
.LBB56_891:                             ;   in Loop: Header=BB56_3 Depth=1
	s_or_b32 exec_lo, exec_lo, s24
	s_barrier_signal -1
	s_barrier_wait -1
	s_and_saveexec_b32 s24, s39
; %bb.892:                              ;   in Loop: Header=BB56_3 Depth=1
	ds_store_b64 v68, v[40:41]
; %bb.893:                              ;   in Loop: Header=BB56_3 Depth=1
	s_or_b32 exec_lo, exec_lo, s24
	s_wait_dscnt 0x0
	s_barrier_signal -1
	s_barrier_wait -1
	s_and_saveexec_b32 s24, s40
	s_cbranch_execz .LBB56_895
; %bb.894:                              ;   in Loop: Header=BB56_3 Depth=1
	ds_load_b64 v[42:43], v64 offset:29632
	ds_load_b64 v[44:45], v68
	s_wait_dscnt 0x0
	v_dual_mul_f32 v3, v45, v43 :: v_dual_mul_f32 v43, v44, v43
	s_delay_alu instid0(VALU_DEP_1) | instskip(NEXT) | instid1(VALU_DEP_1)
	v_fmac_f32_e32 v43, v45, v42
	v_dual_fma_f32 v3, v44, v42, -v3 :: v_dual_add_f32 v41, v41, v43
	s_delay_alu instid0(VALU_DEP_1)
	v_add_f32_e32 v40, v40, v3
.LBB56_895:                             ;   in Loop: Header=BB56_3 Depth=1
	s_or_b32 exec_lo, exec_lo, s24
	s_barrier_signal -1
	s_barrier_wait -1
	s_and_saveexec_b32 s24, s41
; %bb.896:                              ;   in Loop: Header=BB56_3 Depth=1
	ds_store_b64 v68, v[40:41]
; %bb.897:                              ;   in Loop: Header=BB56_3 Depth=1
	s_or_b32 exec_lo, exec_lo, s24
	s_wait_dscnt 0x0
	s_barrier_signal -1
	s_barrier_wait -1
	s_and_saveexec_b32 s24, s42
	s_cbranch_execz .LBB56_899
; %bb.898:                              ;   in Loop: Header=BB56_3 Depth=1
	ds_load_b64 v[42:43], v64 offset:30144
	ds_load_b64 v[44:45], v68
	s_wait_dscnt 0x0
	v_dual_mul_f32 v3, v45, v43 :: v_dual_mul_f32 v97, v44, v43
	s_delay_alu instid0(VALU_DEP_1) | instskip(NEXT) | instid1(VALU_DEP_1)
	v_dual_fma_f32 v96, v44, v42, -v3 :: v_dual_fmac_f32 v97, v45, v42
	v_pk_add_f32 v[40:41], v[40:41], v[96:97]
.LBB56_899:                             ;   in Loop: Header=BB56_3 Depth=1
	s_or_b32 exec_lo, exec_lo, s24
	s_barrier_signal -1
	s_barrier_wait -1
	s_and_saveexec_b32 s24, s43
; %bb.900:                              ;   in Loop: Header=BB56_3 Depth=1
	ds_store_b64 v68, v[40:41]
; %bb.901:                              ;   in Loop: Header=BB56_3 Depth=1
	s_or_b32 exec_lo, exec_lo, s24
	s_wait_dscnt 0x0
	s_barrier_signal -1
	s_barrier_wait -1
	s_and_saveexec_b32 s24, s44
	s_cbranch_execz .LBB56_903
; %bb.902:                              ;   in Loop: Header=BB56_3 Depth=1
	ds_load_b64 v[42:43], v64 offset:30656
	ds_load_b64 v[44:45], v68
	s_wait_dscnt 0x0
	v_pk_mul_f32 v[96:97], v[44:45], v[42:43] op_sel:[1,1] op_sel_hi:[0,1]
	s_delay_alu instid0(VALU_DEP_1) | instskip(SKIP_1) | instid1(VALU_DEP_2)
	v_pk_fma_f32 v[98:99], v[44:45], v[42:43], v[96:97] op_sel_hi:[1,0,1]
	v_pk_fma_f32 v[42:43], v[44:45], v[42:43], v[96:97] neg_lo:[0,0,1] neg_hi:[0,0,1]
	v_mov_b32_e32 v43, v99
	s_delay_alu instid0(VALU_DEP_1)
	v_pk_add_f32 v[40:41], v[40:41], v[42:43]
.LBB56_903:                             ;   in Loop: Header=BB56_3 Depth=1
	s_or_b32 exec_lo, exec_lo, s24
	s_barrier_signal -1
	s_barrier_wait -1
	s_and_saveexec_b32 s24, s45
; %bb.904:                              ;   in Loop: Header=BB56_3 Depth=1
	ds_store_b64 v68, v[40:41]
; %bb.905:                              ;   in Loop: Header=BB56_3 Depth=1
	s_or_b32 exec_lo, exec_lo, s24
	s_wait_dscnt 0x0
	s_barrier_signal -1
	s_barrier_wait -1
	s_and_saveexec_b32 s24, s46
	s_cbranch_execz .LBB56_907
; %bb.906:                              ;   in Loop: Header=BB56_3 Depth=1
	ds_load_b64 v[42:43], v64 offset:31168
	ds_load_b64 v[44:45], v68
	s_wait_dscnt 0x0
	v_pk_mul_f32 v[96:97], v[44:45], v[42:43] op_sel:[1,1] op_sel_hi:[0,1]
	s_delay_alu instid0(VALU_DEP_1) | instskip(SKIP_1) | instid1(VALU_DEP_2)
	v_pk_fma_f32 v[98:99], v[44:45], v[42:43], v[96:97] op_sel_hi:[1,0,1]
	v_pk_fma_f32 v[42:43], v[44:45], v[42:43], v[96:97] neg_lo:[0,0,1] neg_hi:[0,0,1]
	v_mov_b32_e32 v43, v99
	s_delay_alu instid0(VALU_DEP_1)
	v_pk_add_f32 v[40:41], v[40:41], v[42:43]
.LBB56_907:                             ;   in Loop: Header=BB56_3 Depth=1
	;; [unrolled: 25-line block ×4, first 2 shown]
	s_or_b32 exec_lo, exec_lo, s24
	s_barrier_signal -1
	s_barrier_wait -1
	s_and_saveexec_b32 s24, s50
; %bb.916:                              ;   in Loop: Header=BB56_3 Depth=1
	ds_store_b64 v68, v[40:41]
; %bb.917:                              ;   in Loop: Header=BB56_3 Depth=1
	s_or_b32 exec_lo, exec_lo, s24
	s_wait_dscnt 0x0
	s_barrier_signal -1
	s_barrier_wait -1
	s_barrier_signal -1
	s_barrier_wait -1
	s_and_saveexec_b32 s24, s3
; %bb.918:                              ;   in Loop: Header=BB56_3 Depth=1
	v_pk_add_f32 v[40:41], v[40:41], 0 neg_lo:[1,1] neg_hi:[1,1]
	ds_store_b64 v69, v[40:41] offset:25024
; %bb.919:                              ;   in Loop: Header=BB56_3 Depth=1
	s_or_b32 exec_lo, exec_lo, s24
	s_wait_dscnt 0x0
	s_barrier_signal -1
	s_barrier_wait -1
	s_barrier_signal -1
	s_barrier_wait -1
	s_and_saveexec_b32 s24, s51
	s_cbranch_execz .LBB56_921
; %bb.920:                              ;   in Loop: Header=BB56_3 Depth=1
	ds_load_b64 v[40:41], v9 offset:25024
	s_wait_dscnt 0x0
	ds_store_b64 v46, v[40:41] offset:29056
	ds_load_b64 v[40:41], v9 offset:25032
	s_wait_dscnt 0x0
	ds_store_b64 v46, v[40:41] offset:29568
	;; [unrolled: 3-line block ×8, first 2 shown]
.LBB56_921:                             ;   in Loop: Header=BB56_3 Depth=1
	s_or_b32 exec_lo, exec_lo, s24
	s_wait_dscnt 0x0
	s_barrier_signal -1
	s_barrier_wait -1
	s_and_saveexec_b32 s24, s11
	s_cbranch_execz .LBB56_923
; %bb.922:                              ;   in Loop: Header=BB56_3 Depth=1
	ds_load_b64 v[40:41], v7 offset:29128
	v_add_nc_u32_e64 v3, 0x1c0, 0
	ds_store_b64 v7, v[34:35] offset:29640
	s_wait_dscnt 0x1
	ds_store_2addr_stride64_b64 v3, v[34:35], v[40:41] offset0:56 offset1:57
.LBB56_923:                             ;   in Loop: Header=BB56_3 Depth=1
	s_or_b32 exec_lo, exec_lo, s24
	v_mov_b64_e32 v[40:41], 0
	s_wait_dscnt 0x0
	s_barrier_signal -1
	s_barrier_wait -1
	s_and_saveexec_b32 s61, s0
	s_cbranch_execz .LBB56_927
; %bb.924:                              ;   in Loop: Header=BB56_3 Depth=1
	ds_load_b64 v[40:41], v61 offset:29136
	ds_load_b64 v[42:43], v62 offset:29120
	s_wait_dscnt 0x0
	v_pk_mul_f32 v[44:45], v[42:43], v[40:41] op_sel:[1,1] op_sel_hi:[0,1]
	s_delay_alu instid0(VALU_DEP_1) | instskip(SKIP_1) | instid1(VALU_DEP_2)
	v_pk_fma_f32 v[96:97], v[42:43], v[40:41], v[44:45] op_sel_hi:[1,0,1]
	v_pk_fma_f32 v[40:41], v[42:43], v[40:41], v[44:45] neg_lo:[0,0,1] neg_hi:[0,0,1]
	v_mov_b32_e32 v41, v97
	s_delay_alu instid0(VALU_DEP_1)
	v_pk_add_f32 v[40:41], v[40:41], 0 op_sel_hi:[1,0]
	s_and_saveexec_b32 s24, s12
	s_cbranch_execz .LBB56_926
; %bb.925:                              ;   in Loop: Header=BB56_3 Depth=1
	ds_load_b64 v[42:43], v46 offset:29648
	ds_load_b64 v[44:45], v7 offset:29128
	s_wait_dscnt 0x0
	v_pk_mul_f32 v[96:97], v[44:45], v[42:43] op_sel:[1,1] op_sel_hi:[0,1]
	s_delay_alu instid0(VALU_DEP_1) | instskip(SKIP_1) | instid1(VALU_DEP_2)
	v_pk_fma_f32 v[98:99], v[44:45], v[42:43], v[96:97] op_sel_hi:[1,0,1]
	v_pk_fma_f32 v[42:43], v[44:45], v[42:43], v[96:97] neg_lo:[0,0,1] neg_hi:[0,0,1]
	v_mov_b32_e32 v43, v99
	s_delay_alu instid0(VALU_DEP_1)
	v_pk_add_f32 v[40:41], v[40:41], v[42:43]
.LBB56_926:                             ;   in Loop: Header=BB56_3 Depth=1
	s_or_b32 exec_lo, exec_lo, s24
	s_delay_alu instid0(VALU_DEP_1)
	v_pk_add_f32 v[40:41], v[40:41], 0 neg_lo:[1,1] neg_hi:[1,1]
.LBB56_927:                             ;   in Loop: Header=BB56_3 Depth=1
	s_or_b32 exec_lo, exec_lo, s61
	s_and_saveexec_b32 s24, s94
; %bb.928:                              ;   in Loop: Header=BB56_3 Depth=1
	ds_store_b64 v51, v[40:41]
; %bb.929:                              ;   in Loop: Header=BB56_3 Depth=1
	s_or_b32 exec_lo, exec_lo, s24
	s_wait_dscnt 0x0
	s_barrier_signal -1
	s_barrier_wait -1
	s_and_saveexec_b32 s24, s95
	s_cbranch_execz .LBB56_931
; %bb.930:                              ;   in Loop: Header=BB56_3 Depth=1
	ds_load_b64 v[42:43], v7 offset:30168
	ds_load_b64 v[44:45], v51
	s_wait_dscnt 0x0
	v_pk_mul_f32 v[96:97], v[44:45], v[42:43] op_sel:[1,1] op_sel_hi:[0,1]
	s_delay_alu instid0(VALU_DEP_1) | instskip(SKIP_1) | instid1(VALU_DEP_2)
	v_pk_fma_f32 v[98:99], v[44:45], v[42:43], v[96:97] op_sel_hi:[1,0,1]
	v_pk_fma_f32 v[42:43], v[44:45], v[42:43], v[96:97] neg_lo:[0,0,1] neg_hi:[0,0,1]
	v_mov_b32_e32 v43, v99
	s_delay_alu instid0(VALU_DEP_1)
	v_pk_add_f32 v[40:41], v[40:41], v[42:43]
.LBB56_931:                             ;   in Loop: Header=BB56_3 Depth=1
	s_or_b32 exec_lo, exec_lo, s24
	s_barrier_signal -1
	s_barrier_wait -1
	s_and_saveexec_b32 s24, s95
; %bb.932:                              ;   in Loop: Header=BB56_3 Depth=1
	ds_store_b64 v51, v[40:41]
; %bb.933:                              ;   in Loop: Header=BB56_3 Depth=1
	s_or_b32 exec_lo, exec_lo, s24
	s_wait_dscnt 0x0
	s_barrier_signal -1
	s_barrier_wait -1
	s_barrier_signal -1
	s_barrier_wait -1
	s_and_saveexec_b32 s24, s0
; %bb.934:                              ;   in Loop: Header=BB56_3 Depth=1
	v_pk_add_f32 v[40:41], v[40:41], 0 neg_lo:[1,1] neg_hi:[1,1]
	ds_store_b64 v61, v[40:41] offset:29136
; %bb.935:                              ;   in Loop: Header=BB56_3 Depth=1
	s_or_b32 exec_lo, exec_lo, s24
	s_wait_dscnt 0x0
	s_barrier_signal -1
	s_barrier_wait -1
	s_barrier_signal -1
	s_barrier_wait -1
	s_and_saveexec_b32 s24, s96
	s_cbranch_execz .LBB56_937
; %bb.936:                              ;   in Loop: Header=BB56_3 Depth=1
	ds_load_b64 v[40:41], v47 offset:29136
	s_wait_dscnt 0x0
	ds_store_b64 v46, v[40:41] offset:30144
	ds_load_b64 v[40:41], v47 offset:29144
	s_wait_dscnt 0x0
	ds_store_b64 v46, v[40:41] offset:30656
.LBB56_937:                             ;   in Loop: Header=BB56_3 Depth=1
	s_or_b32 exec_lo, exec_lo, s24
	s_wait_dscnt 0x0
	s_barrier_signal -1
	s_barrier_wait -1
	s_and_saveexec_b32 s24, s11
	s_cbranch_execz .LBB56_939
; %bb.938:                              ;   in Loop: Header=BB56_3 Depth=1
	ds_load_b64 v[40:41], v7 offset:30168
	v_add_nc_u32_e64 v3, 0x1d0, 0
	ds_store_b64 v7, v[34:35] offset:30680
	s_wait_dscnt 0x1
	ds_store_2addr_stride64_b64 v3, v[34:35], v[40:41] offset0:58 offset1:59
.LBB56_939:                             ;   in Loop: Header=BB56_3 Depth=1
	s_or_b32 exec_lo, exec_lo, s24
	v_mov_b64_e32 v[40:41], 0
	s_wait_dscnt 0x0
	s_barrier_signal -1
	s_barrier_wait -1
	s_and_saveexec_b32 s62, s2
	s_cbranch_execz .LBB56_945
; %bb.940:                              ;   in Loop: Header=BB56_3 Depth=1
	ds_load_b64 v[40:41], v65 offset:29152
	ds_load_b64 v[42:43], v53 offset:29120
	s_wait_dscnt 0x0
	v_dual_mul_f32 v3, v43, v41 :: v_dual_mul_f32 v41, v42, v41
	s_delay_alu instid0(VALU_DEP_1) | instskip(NEXT) | instid1(VALU_DEP_1)
	v_dual_fma_f32 v3, v42, v40, -v3 :: v_dual_fmac_f32 v41, v43, v40
	v_dual_add_f32 v40, 0, v3 :: v_dual_add_f32 v41, 0, v41
	s_and_saveexec_b32 s24, s13
	s_cbranch_execnz .LBB56_1110
; %bb.941:                              ;   in Loop: Header=BB56_3 Depth=1
	s_or_b32 exec_lo, exec_lo, s24
	s_and_saveexec_b32 s24, s14
	s_cbranch_execnz .LBB56_1111
.LBB56_942:                             ;   in Loop: Header=BB56_3 Depth=1
	s_or_b32 exec_lo, exec_lo, s24
	s_and_saveexec_b32 s24, s0
	s_cbranch_execz .LBB56_944
.LBB56_943:                             ;   in Loop: Header=BB56_3 Depth=1
	ds_load_b64 v[42:43], v48 offset:30688
	ds_load_b64 v[44:45], v7 offset:29144
	s_wait_dscnt 0x0
	v_dual_mul_f32 v3, v45, v43 :: v_dual_mul_f32 v97, v44, v43
	s_delay_alu instid0(VALU_DEP_1) | instskip(NEXT) | instid1(VALU_DEP_1)
	v_dual_fma_f32 v96, v44, v42, -v3 :: v_dual_fmac_f32 v97, v45, v42
	v_pk_add_f32 v[40:41], v[40:41], v[96:97]
.LBB56_944:                             ;   in Loop: Header=BB56_3 Depth=1
	s_or_b32 exec_lo, exec_lo, s24
	s_delay_alu instid0(VALU_DEP_1)
	v_pk_add_f32 v[40:41], v[40:41], 0 neg_lo:[1,1] neg_hi:[1,1]
.LBB56_945:                             ;   in Loop: Header=BB56_3 Depth=1
	s_or_b32 exec_lo, exec_lo, s62
	s_and_saveexec_b32 s24, s97
; %bb.946:                              ;   in Loop: Header=BB56_3 Depth=1
	ds_store_b64 v63, v[40:41]
; %bb.947:                              ;   in Loop: Header=BB56_3 Depth=1
	s_or_b32 exec_lo, exec_lo, s24
	s_wait_dscnt 0x0
	s_barrier_signal -1
	s_barrier_wait -1
	s_and_saveexec_b32 s24, s98
	s_cbranch_execz .LBB56_949
; %bb.948:                              ;   in Loop: Header=BB56_3 Depth=1
	ds_load_b64 v[42:43], v60 offset:31200
	ds_load_b64 v[44:45], v63
	s_wait_dscnt 0x0
	v_pk_mul_f32 v[96:97], v[44:45], v[42:43] op_sel:[1,1] op_sel_hi:[0,1]
	s_delay_alu instid0(VALU_DEP_1) | instskip(SKIP_1) | instid1(VALU_DEP_2)
	v_pk_fma_f32 v[98:99], v[44:45], v[42:43], v[96:97] op_sel_hi:[1,0,1]
	v_pk_fma_f32 v[42:43], v[44:45], v[42:43], v[96:97] neg_lo:[0,0,1] neg_hi:[0,0,1]
	v_mov_b32_e32 v43, v99
	s_delay_alu instid0(VALU_DEP_1)
	v_pk_add_f32 v[40:41], v[40:41], v[42:43]
.LBB56_949:                             ;   in Loop: Header=BB56_3 Depth=1
	s_or_b32 exec_lo, exec_lo, s24
	s_barrier_signal -1
	s_barrier_wait -1
	s_and_saveexec_b32 s24, s99
; %bb.950:                              ;   in Loop: Header=BB56_3 Depth=1
	ds_store_b64 v63, v[40:41]
; %bb.951:                              ;   in Loop: Header=BB56_3 Depth=1
	s_or_b32 exec_lo, exec_lo, s24
	s_wait_dscnt 0x0
	s_barrier_signal -1
	s_barrier_wait -1
	s_and_saveexec_b32 s24, s100
	s_cbranch_execz .LBB56_953
; %bb.952:                              ;   in Loop: Header=BB56_3 Depth=1
	ds_load_b64 v[42:43], v60 offset:31712
	ds_load_b64 v[44:45], v63
	s_wait_dscnt 0x0
	v_pk_mul_f32 v[96:97], v[44:45], v[42:43] op_sel:[1,1] op_sel_hi:[0,1]
	s_delay_alu instid0(VALU_DEP_1) | instskip(SKIP_1) | instid1(VALU_DEP_2)
	v_pk_fma_f32 v[98:99], v[44:45], v[42:43], v[96:97] op_sel_hi:[1,0,1]
	v_pk_fma_f32 v[42:43], v[44:45], v[42:43], v[96:97] neg_lo:[0,0,1] neg_hi:[0,0,1]
	v_mov_b32_e32 v43, v99
	s_delay_alu instid0(VALU_DEP_1)
	v_pk_add_f32 v[40:41], v[40:41], v[42:43]
.LBB56_953:                             ;   in Loop: Header=BB56_3 Depth=1
	s_or_b32 exec_lo, exec_lo, s24
	s_barrier_signal -1
	s_barrier_wait -1
	;; [unrolled: 25-line block ×3, first 2 shown]
	s_and_saveexec_b32 s24, s102
; %bb.958:                              ;   in Loop: Header=BB56_3 Depth=1
	ds_store_b64 v63, v[40:41]
; %bb.959:                              ;   in Loop: Header=BB56_3 Depth=1
	s_or_b32 exec_lo, exec_lo, s24
	s_wait_dscnt 0x0
	s_barrier_signal -1
	s_barrier_wait -1
	s_barrier_signal -1
	s_barrier_wait -1
	s_and_saveexec_b32 s24, s2
; %bb.960:                              ;   in Loop: Header=BB56_3 Depth=1
	v_pk_add_f32 v[40:41], v[40:41], 0 neg_lo:[1,1] neg_hi:[1,1]
	ds_store_b64 v65, v[40:41] offset:29152
; %bb.961:                              ;   in Loop: Header=BB56_3 Depth=1
	s_or_b32 exec_lo, exec_lo, s24
	s_wait_dscnt 0x0
	s_barrier_signal -1
	s_barrier_wait -1
	s_barrier_signal -1
	s_barrier_wait -1
	s_and_saveexec_b32 s24, s103
	s_cbranch_execz .LBB56_963
; %bb.962:                              ;   in Loop: Header=BB56_3 Depth=1
	ds_load_b64 v[40:41], v49 offset:29152
	s_wait_dscnt 0x0
	ds_store_b64 v50, v[40:41] offset:31168
	ds_load_b64 v[40:41], v49 offset:29160
	s_wait_dscnt 0x0
	ds_store_b64 v50, v[40:41] offset:31680
	;; [unrolled: 3-line block ×4, first 2 shown]
.LBB56_963:                             ;   in Loop: Header=BB56_3 Depth=1
	s_or_b32 exec_lo, exec_lo, s24
	s_wait_dscnt 0x0
	s_barrier_signal -1
	s_barrier_wait -1
	s_and_saveexec_b32 s24, s11
	s_cbranch_execz .LBB56_965
; %bb.964:                              ;   in Loop: Header=BB56_3 Depth=1
	ds_load_b64 v[40:41], v7 offset:31208
	v_add_nc_u32_e64 v3, 0x1e0, 0
	ds_store_b64 v7, v[34:35] offset:31720
	s_wait_dscnt 0x1
	ds_store_2addr_stride64_b64 v3, v[34:35], v[40:41] offset0:60 offset1:61
.LBB56_965:                             ;   in Loop: Header=BB56_3 Depth=1
	s_or_b32 exec_lo, exec_lo, s24
	v_mov_b64_e32 v[40:41], 0
	s_wait_dscnt 0x0
	s_barrier_signal -1
	s_barrier_wait -1
	s_and_saveexec_b32 s61, s0
	s_cbranch_execz .LBB56_969
; %bb.966:                              ;   in Loop: Header=BB56_3 Depth=1
	ds_load_b64 v[40:41], v61 offset:31216
	ds_load_b64 v[42:43], v62 offset:31200
	s_wait_dscnt 0x0
	v_pk_mul_f32 v[44:45], v[42:43], v[40:41] op_sel:[1,1] op_sel_hi:[0,1]
	s_delay_alu instid0(VALU_DEP_1) | instskip(SKIP_1) | instid1(VALU_DEP_2)
	v_pk_fma_f32 v[96:97], v[42:43], v[40:41], v[44:45] op_sel_hi:[1,0,1]
	v_pk_fma_f32 v[40:41], v[42:43], v[40:41], v[44:45] neg_lo:[0,0,1] neg_hi:[0,0,1]
	v_mov_b32_e32 v41, v97
	s_delay_alu instid0(VALU_DEP_1)
	v_pk_add_f32 v[40:41], v[40:41], 0 op_sel_hi:[1,0]
	s_and_saveexec_b32 s24, s12
	s_cbranch_execz .LBB56_968
; %bb.967:                              ;   in Loop: Header=BB56_3 Depth=1
	ds_load_b64 v[42:43], v50 offset:31728
	ds_load_b64 v[44:45], v7 offset:31208
	s_wait_dscnt 0x0
	v_pk_mul_f32 v[96:97], v[44:45], v[42:43] op_sel:[1,1] op_sel_hi:[0,1]
	s_delay_alu instid0(VALU_DEP_1) | instskip(SKIP_1) | instid1(VALU_DEP_2)
	v_pk_fma_f32 v[98:99], v[44:45], v[42:43], v[96:97] op_sel_hi:[1,0,1]
	v_pk_fma_f32 v[42:43], v[44:45], v[42:43], v[96:97] neg_lo:[0,0,1] neg_hi:[0,0,1]
	v_mov_b32_e32 v43, v99
	s_delay_alu instid0(VALU_DEP_1)
	v_pk_add_f32 v[40:41], v[40:41], v[42:43]
.LBB56_968:                             ;   in Loop: Header=BB56_3 Depth=1
	s_or_b32 exec_lo, exec_lo, s24
	s_delay_alu instid0(VALU_DEP_1)
	v_pk_add_f32 v[40:41], v[40:41], 0 neg_lo:[1,1] neg_hi:[1,1]
.LBB56_969:                             ;   in Loop: Header=BB56_3 Depth=1
	s_or_b32 exec_lo, exec_lo, s61
	s_and_saveexec_b32 s24, s94
; %bb.970:                              ;   in Loop: Header=BB56_3 Depth=1
	ds_store_b64 v51, v[40:41]
; %bb.971:                              ;   in Loop: Header=BB56_3 Depth=1
	s_or_b32 exec_lo, exec_lo, s24
	s_wait_dscnt 0x0
	s_barrier_signal -1
	s_barrier_wait -1
	s_and_saveexec_b32 s24, s95
	s_cbranch_execz .LBB56_973
; %bb.972:                              ;   in Loop: Header=BB56_3 Depth=1
	ds_load_b64 v[42:43], v7 offset:32248
	ds_load_b64 v[44:45], v51
	s_wait_dscnt 0x0
	v_pk_mul_f32 v[96:97], v[44:45], v[42:43] op_sel:[1,1] op_sel_hi:[0,1]
	s_delay_alu instid0(VALU_DEP_1) | instskip(SKIP_1) | instid1(VALU_DEP_2)
	v_pk_fma_f32 v[98:99], v[44:45], v[42:43], v[96:97] op_sel_hi:[1,0,1]
	v_pk_fma_f32 v[42:43], v[44:45], v[42:43], v[96:97] neg_lo:[0,0,1] neg_hi:[0,0,1]
	v_mov_b32_e32 v43, v99
	s_delay_alu instid0(VALU_DEP_1)
	v_pk_add_f32 v[40:41], v[40:41], v[42:43]
.LBB56_973:                             ;   in Loop: Header=BB56_3 Depth=1
	s_or_b32 exec_lo, exec_lo, s24
	s_barrier_signal -1
	s_barrier_wait -1
	s_and_saveexec_b32 s24, s95
; %bb.974:                              ;   in Loop: Header=BB56_3 Depth=1
	ds_store_b64 v51, v[40:41]
; %bb.975:                              ;   in Loop: Header=BB56_3 Depth=1
	s_or_b32 exec_lo, exec_lo, s24
	s_wait_dscnt 0x0
	s_barrier_signal -1
	s_barrier_wait -1
	s_barrier_signal -1
	s_barrier_wait -1
	s_and_saveexec_b32 s24, s0
; %bb.976:                              ;   in Loop: Header=BB56_3 Depth=1
	v_pk_add_f32 v[40:41], v[40:41], 0 neg_lo:[1,1] neg_hi:[1,1]
	ds_store_b64 v61, v[40:41] offset:31216
; %bb.977:                              ;   in Loop: Header=BB56_3 Depth=1
	s_or_b32 exec_lo, exec_lo, s24
	s_wait_dscnt 0x0
	s_barrier_signal -1
	s_barrier_wait -1
	s_barrier_signal -1
	s_barrier_wait -1
	s_and_saveexec_b32 s24, s96
	s_cbranch_execz .LBB56_979
; %bb.978:                              ;   in Loop: Header=BB56_3 Depth=1
	ds_load_b64 v[40:41], v52 offset:31216
	s_wait_dscnt 0x0
	ds_store_b64 v50, v[40:41] offset:32224
	ds_load_b64 v[40:41], v52 offset:31224
	s_wait_dscnt 0x0
	ds_store_b64 v50, v[40:41] offset:32736
.LBB56_979:                             ;   in Loop: Header=BB56_3 Depth=1
	s_or_b32 exec_lo, exec_lo, s24
	s_wait_dscnt 0x0
	s_barrier_signal -1
	s_barrier_wait -1
	s_and_saveexec_b32 s24, s11
	s_cbranch_execz .LBB56_981
; %bb.980:                              ;   in Loop: Header=BB56_3 Depth=1
	ds_load_b64 v[40:41], v7 offset:32248
	v_add_nc_u32_e64 v3, 0x1f0, 0
	ds_store_b64 v7, v[34:35] offset:32760
	s_wait_dscnt 0x1
	ds_store_2addr_stride64_b64 v3, v[34:35], v[40:41] offset0:62 offset1:63
.LBB56_981:                             ;   in Loop: Header=BB56_3 Depth=1
	s_or_b32 exec_lo, exec_lo, s24
.LBB56_982:                             ;   in Loop: Header=BB56_3 Depth=1
	v_mov_b64_e32 v[40:41], 0
	s_mul_u64 s[62:63], s[76:77], s[80:81]
	s_wait_dscnt 0x0
	s_lshl_b64 s[62:63], s[62:63], 3
	s_barrier_signal -1
	s_add_nc_u64 s[64:65], s[70:71], s[62:63]
	s_barrier_wait -1
	s_and_saveexec_b32 s24, s20
	s_cbranch_execz .LBB56_984
; %bb.983:                              ;   in Loop: Header=BB56_3 Depth=1
	v_lshl_add_u64 v[40:41], v[14:15], 3, s[64:65]
	global_load_b64 v[40:41], v[40:41], off
	s_wait_loadcnt 0x0
	v_pk_mul_f32 v[42:43], v[38:39], v[40:41] op_sel:[1,0] neg_lo:[1,0]
	s_delay_alu instid0(VALU_DEP_1)
	v_pk_fma_f32 v[40:41], v[38:39], v[40:41], v[42:43] op_sel:[0,0,1] op_sel_hi:[0,1,0] neg_lo:[1,0,0] neg_hi:[1,0,0]
.LBB56_984:                             ;   in Loop: Header=BB56_3 Depth=1
	s_or_b32 exec_lo, exec_lo, s24
	s_delay_alu instid0(SALU_CYCLE_1)
	s_and_not1_b32 vcc_lo, exec_lo, s22
	s_cbranch_vccnz .LBB56_1003
; %bb.985:                              ;   in Loop: Header=BB56_3 Depth=1
	v_mov_b32_e32 v3, -1
	s_lshl_b64 s[62:63], s[80:81], 2
	s_delay_alu instid0(SALU_CYCLE_1)
	s_add_nc_u64 s[86:87], s[78:79], s[62:63]
	s_mov_b32 s63, 0
	s_branch .LBB56_987
.LBB56_986:                             ;   in Loop: Header=BB56_987 Depth=2
	s_or_b32 exec_lo, exec_lo, s24
	s_add_co_i32 s63, s63, 1
	s_delay_alu instid0(SALU_CYCLE_1)
	s_cmp_eq_u32 s63, s89
	s_cbranch_scc1 .LBB56_1003
.LBB56_987:                             ;   Parent Loop BB56_3 Depth=1
                                        ; =>  This Loop Header: Depth=2
                                        ;       Child Loop BB56_989 Depth 3
	v_cmp_gt_i32_e32 vcc_lo, s63, v3
	s_and_b32 s61, s33, vcc_lo
	s_delay_alu instid0(SALU_CYCLE_1)
	s_and_saveexec_b32 s24, s61
	s_cbranch_execz .LBB56_990
; %bb.988:                              ;   in Loop: Header=BB56_987 Depth=2
	global_load_b32 v3, v7, s[86:87]
	s_wait_loadcnt 0x0
	v_cmp_le_i32_e32 vcc_lo, s63, v3
	s_cbranch_vccnz .LBB56_990
.LBB56_989:                             ;   Parent Loop BB56_3 Depth=1
                                        ;     Parent Loop BB56_987 Depth=2
                                        ; =>    This Inner Loop Header: Depth=3
	global_wb scope:SCOPE_DEV
	s_wait_storecnt 0x0
	global_inv scope:SCOPE_DEV
	global_load_b32 v3, v7, s[86:87]
	s_wait_loadcnt 0x0
	v_cmp_gt_i32_e32 vcc_lo, s63, v3
	s_cbranch_vccnz .LBB56_989
.LBB56_990:                             ;   in Loop: Header=BB56_987 Depth=2
	s_or_b32 exec_lo, exec_lo, s24
	s_sub_co_i32 s61, s90, s63
	global_wb scope:SCOPE_DEV
	s_wait_storecnt 0x0
	global_inv scope:SCOPE_DEV
	s_lshl_b32 s62, s61, 6
	s_wait_loadcnt 0x0
	s_barrier_signal -1
	s_barrier_wait -1
	s_and_saveexec_b32 s24, s34
	s_cbranch_execz .LBB56_995
; %bb.991:                              ;   in Loop: Header=BB56_987 Depth=2
	s_ashr_i32 vcc_lo, s62, 31
	s_delay_alu instid0(SALU_CYCLE_1) | instskip(NEXT) | instid1(VALU_DEP_1)
	v_dual_mov_b32 v39, vcc_lo :: v_dual_bitop2_b32 v38, s62, v8 bitop3:0x54
	v_cmp_le_i64_e32 vcc_lo, s[82:83], v[38:39]
	s_and_saveexec_b32 s26, vcc_lo
	s_delay_alu instid0(SALU_CYCLE_1)
	s_xor_b32 vcc_lo, exec_lo, s26
; %bb.992:                              ;   in Loop: Header=BB56_987 Depth=2
	ds_store_b64 v89, v[32:33]
                                        ; implicit-def: $vgpr38_vgpr39
; %bb.993:                              ;   in Loop: Header=BB56_987 Depth=2
	s_and_not1_saveexec_b32 s26, vcc_lo
	s_cbranch_execz .LBB56_995
; %bb.994:                              ;   in Loop: Header=BB56_987 Depth=2
	v_mul_u64_e32 v[38:39], s[74:75], v[38:39]
	s_delay_alu instid0(VALU_DEP_1)
	v_lshl_add_u64 v[38:39], v[38:39], 3, s[64:65]
	global_load_b64 v[38:39], v[38:39], off
	s_wait_loadcnt 0x0
	ds_store_b64 v89, v[38:39]
.LBB56_995:                             ;   in Loop: Header=BB56_987 Depth=2
	s_or_b32 exec_lo, exec_lo, s24
	v_add_nc_u32_e32 v38, s62, v2
	s_cmp_eq_u32 s61, s60
	s_wait_dscnt 0x0
	s_cselect_b32 vcc_lo, -1, 0
	s_barrier_signal -1
	v_ashrrev_i32_e32 v39, 31, v38
	v_cmp_gt_i32_e64 s62, s82, v38
	s_barrier_wait -1
	s_delay_alu instid0(VALU_DEP_2) | instskip(SKIP_1) | instid1(SALU_CYCLE_1)
	v_lshl_add_u64 v[42:43], v[38:39], 3, v[36:37]
	s_and_b32 s26, s62, s5
	s_and_saveexec_b32 s24, s26
	s_cbranch_execz .LBB56_997
; %bb.996:                              ;   in Loop: Header=BB56_987 Depth=2
	s_delay_alu instid0(VALU_DEP_1) | instskip(SKIP_4) | instid1(VALU_DEP_1)
	v_dual_cndmask_b32 v45, v43, v17 :: v_dual_cndmask_b32 v44, v42, v16
	ds_load_b64 v[96:97], v83
	flat_load_b64 v[44:45], v[44:45]
	s_wait_loadcnt_dscnt 0x0
	v_dual_mul_f32 v39, v97, v45 :: v_dual_mul_f32 v45, v96, v45
	v_dual_fma_f32 v39, v96, v44, -v39 :: v_dual_fmac_f32 v45, v97, v44
	s_delay_alu instid0(VALU_DEP_1)
	v_dual_add_f32 v40, v40, v39 :: v_dual_add_f32 v41, v41, v45
.LBB56_997:                             ;   in Loop: Header=BB56_987 Depth=2
	s_or_b32 exec_lo, exec_lo, s24
	v_add_nc_u32_e32 v39, 16, v38
	s_delay_alu instid0(VALU_DEP_1) | instskip(SKIP_1) | instid1(SALU_CYCLE_1)
	v_cmp_gt_i32_e64 s62, s82, v39
	s_and_b32 s26, s62, s5
	s_and_saveexec_b32 s24, s26
	s_cbranch_execz .LBB56_999
; %bb.998:                              ;   in Loop: Header=BB56_987 Depth=2
	v_add_nc_u64_e32 v[44:45], 0x80, v[42:43]
	ds_load_b64 v[96:97], v83 offset:128
	v_dual_cndmask_b32 v45, v45, v19 :: v_dual_cndmask_b32 v44, v44, v18
	flat_load_b64 v[44:45], v[44:45]
	s_wait_loadcnt_dscnt 0x0
	v_dual_mul_f32 v39, v97, v45 :: v_dual_mul_f32 v45, v96, v45
	s_delay_alu instid0(VALU_DEP_1) | instskip(NEXT) | instid1(VALU_DEP_1)
	v_dual_fma_f32 v39, v96, v44, -v39 :: v_dual_fmac_f32 v45, v97, v44
	v_dual_add_f32 v40, v40, v39 :: v_dual_add_f32 v41, v41, v45
.LBB56_999:                             ;   in Loop: Header=BB56_987 Depth=2
	s_or_b32 exec_lo, exec_lo, s24
	v_add_nc_u32_e32 v39, 32, v38
	s_delay_alu instid0(VALU_DEP_1) | instskip(SKIP_1) | instid1(SALU_CYCLE_1)
	v_cmp_gt_i32_e64 s62, s82, v39
	s_and_b32 s26, s62, s5
	s_and_saveexec_b32 s24, s26
	s_cbranch_execz .LBB56_1001
; %bb.1000:                             ;   in Loop: Header=BB56_987 Depth=2
	v_add_nc_u64_e32 v[44:45], 0x100, v[42:43]
	ds_load_b64 v[96:97], v83 offset:256
	v_dual_cndmask_b32 v45, v45, v23 :: v_dual_cndmask_b32 v44, v44, v22
	flat_load_b64 v[44:45], v[44:45]
	s_wait_loadcnt_dscnt 0x0
	v_dual_mul_f32 v39, v97, v45 :: v_dual_mul_f32 v99, v96, v45
	s_delay_alu instid0(VALU_DEP_1) | instskip(NEXT) | instid1(VALU_DEP_2)
	v_fma_f32 v98, v96, v44, -v39
	v_fmac_f32_e32 v99, v97, v44
	s_delay_alu instid0(VALU_DEP_1)
	v_pk_add_f32 v[40:41], v[40:41], v[98:99]
.LBB56_1001:                            ;   in Loop: Header=BB56_987 Depth=2
	s_or_b32 exec_lo, exec_lo, s24
	v_add_nc_u32_e32 v38, 48, v38
	s_delay_alu instid0(VALU_DEP_1) | instskip(SKIP_1) | instid1(SALU_CYCLE_1)
	v_cmp_gt_i32_e64 s62, s82, v38
	s_and_b32 s26, s62, s5
	s_and_saveexec_b32 s24, s26
	s_cbranch_execz .LBB56_986
; %bb.1002:                             ;   in Loop: Header=BB56_987 Depth=2
	v_add_nc_u64_e32 v[38:39], 0x180, v[42:43]
	ds_load_b64 v[42:43], v83 offset:384
	v_dual_cndmask_b32 v39, v39, v27 :: v_dual_cndmask_b32 v38, v38, v26
	flat_load_b64 v[38:39], v[38:39]
	s_wait_loadcnt_dscnt 0x0
	v_pk_mul_f32 v[44:45], v[42:43], v[38:39] op_sel:[1,1] op_sel_hi:[0,1]
	s_delay_alu instid0(VALU_DEP_1) | instskip(SKIP_1) | instid1(VALU_DEP_2)
	v_pk_fma_f32 v[96:97], v[42:43], v[38:39], v[44:45] op_sel_hi:[1,0,1]
	v_pk_fma_f32 v[38:39], v[42:43], v[38:39], v[44:45] neg_lo:[0,0,1] neg_hi:[0,0,1]
	v_mov_b32_e32 v39, v97
	s_delay_alu instid0(VALU_DEP_1)
	v_pk_add_f32 v[40:41], v[40:41], v[38:39]
	s_branch .LBB56_986
.LBB56_1003:                            ;   in Loop: Header=BB56_3 Depth=1
	ds_store_b64 v90, v[40:41]
	s_wait_dscnt 0x0
	s_barrier_signal -1
	s_barrier_wait -1
	s_and_saveexec_b32 s61, s1
	s_cbranch_execz .LBB56_1005
; %bb.1004:                             ;   in Loop: Header=BB56_3 Depth=1
	ds_load_2addr_stride64_b64 v[36:39], v91 offset0:1 offset1:2
	ds_load_2addr_stride64_b64 v[42:45], v91 offset0:3 offset1:4
	;; [unrolled: 1-line block ×3, first 2 shown]
	s_wait_dscnt 0x2
	v_pk_add_f32 v[36:37], v[40:41], v[36:37]
	s_delay_alu instid0(VALU_DEP_1) | instskip(SKIP_3) | instid1(VALU_DEP_1)
	v_pk_add_f32 v[40:41], v[36:37], v[38:39]
	ds_load_2addr_stride64_b64 v[36:39], v91 offset0:7 offset1:8
	s_wait_dscnt 0x2
	v_pk_add_f32 v[40:41], v[40:41], v[42:43]
	v_pk_add_f32 v[44:45], v[40:41], v[44:45]
	ds_load_2addr_stride64_b64 v[40:43], v91 offset0:9 offset1:10
	s_wait_dscnt 0x2
	v_pk_add_f32 v[44:45], v[44:45], v[96:97]
	s_delay_alu instid0(VALU_DEP_1) | instskip(SKIP_3) | instid1(VALU_DEP_1)
	v_pk_add_f32 v[44:45], v[44:45], v[98:99]
	ds_load_2addr_stride64_b64 v[96:99], v91 offset0:11 offset1:12
	s_wait_dscnt 0x2
	v_pk_add_f32 v[36:37], v[44:45], v[36:37]
	v_pk_add_f32 v[44:45], v[36:37], v[38:39]
	ds_load_2addr_stride64_b64 v[36:39], v91 offset0:13 offset1:14
	s_wait_dscnt 0x2
	v_pk_add_f32 v[40:41], v[44:45], v[40:41]
	s_delay_alu instid0(VALU_DEP_1) | instskip(SKIP_3) | instid1(VALU_DEP_1)
	v_pk_add_f32 v[40:41], v[40:41], v[42:43]
	ds_load_b64 v[42:43], v91 offset:7680
	s_wait_dscnt 0x2
	v_pk_add_f32 v[40:41], v[40:41], v[96:97]
	v_pk_add_f32 v[40:41], v[40:41], v[98:99]
	s_wait_dscnt 0x1
	s_delay_alu instid0(VALU_DEP_1) | instskip(NEXT) | instid1(VALU_DEP_1)
	v_pk_add_f32 v[36:37], v[40:41], v[36:37]
	v_pk_add_f32 v[36:37], v[36:37], v[38:39]
	s_wait_dscnt 0x0
	s_delay_alu instid0(VALU_DEP_1) | instskip(NEXT) | instid1(VALU_DEP_1)
	v_pk_add_f32 v[36:37], v[36:37], v[42:43]
	v_cndmask_b32_e64 v41, -v37, 0, s58
	s_delay_alu instid0(VALU_DEP_2)
	v_cndmask_b32_e64 v40, -v36, 0, s58
.LBB56_1005:                            ;   in Loop: Header=BB56_3 Depth=1
	s_or_b32 exec_lo, exec_lo, s61
	s_delay_alu instid0(SALU_CYCLE_1)
	s_and_not1_b32 vcc_lo, exec_lo, s93
	s_cbranch_vccnz .LBB56_1015
; %bb.1006:                             ;   in Loop: Header=BB56_3 Depth=1
	s_and_saveexec_b32 s24, s1
; %bb.1007:                             ;   in Loop: Header=BB56_3 Depth=1
	ds_store_b64 v93, v[40:41]
; %bb.1008:                             ;   in Loop: Header=BB56_3 Depth=1
	s_or_b32 exec_lo, exec_lo, s24
	v_mov_b64_e32 v[36:37], 0
	s_wait_dscnt 0x0
	s_barrier_signal -1
	s_barrier_wait -1
	s_and_saveexec_b32 s24, s6
	s_cbranch_execnz .LBB56_1055
; %bb.1009:                             ;   in Loop: Header=BB56_3 Depth=1
	s_or_b32 exec_lo, exec_lo, s24
	s_and_saveexec_b32 s24, s7
	s_cbranch_execnz .LBB56_1056
.LBB56_1010:                            ;   in Loop: Header=BB56_3 Depth=1
	s_or_b32 exec_lo, exec_lo, s24
	s_and_saveexec_b32 s24, s8
	s_cbranch_execnz .LBB56_1057
.LBB56_1011:                            ;   in Loop: Header=BB56_3 Depth=1
	s_or_b32 exec_lo, exec_lo, s24
	s_and_saveexec_b32 s24, s9
	s_cbranch_execz .LBB56_1013
.LBB56_1012:                            ;   in Loop: Header=BB56_3 Depth=1
	ds_load_b64 v[38:39], v92 offset:24576
	ds_load_b64 v[42:43], v83 offset:384
	s_wait_dscnt 0x0
	v_pk_mul_f32 v[44:45], v[42:43], v[38:39] op_sel:[1,1] op_sel_hi:[0,1]
	s_delay_alu instid0(VALU_DEP_1) | instskip(SKIP_1) | instid1(VALU_DEP_2)
	v_pk_fma_f32 v[96:97], v[42:43], v[38:39], v[44:45] op_sel_hi:[1,0,1]
	v_pk_fma_f32 v[38:39], v[42:43], v[38:39], v[44:45] neg_lo:[0,0,1] neg_hi:[0,0,1]
	v_mov_b32_e32 v39, v97
	s_delay_alu instid0(VALU_DEP_1)
	v_pk_add_f32 v[36:37], v[36:37], v[38:39]
.LBB56_1013:                            ;   in Loop: Header=BB56_3 Depth=1
	s_or_b32 exec_lo, exec_lo, s24
	s_mov_b32 s63, 0
	s_mov_b32 s62, 0
	ds_store_b64 v90, v[36:37]
	s_wait_dscnt 0x0
	s_barrier_signal -1
	s_barrier_wait -1
                                        ; implicit-def: $vgpr38_vgpr39
	s_and_saveexec_b32 s61, s1
	s_cbranch_execz .LBB56_1058
; %bb.1014:                             ;   in Loop: Header=BB56_3 Depth=1
	ds_load_2addr_stride64_b64 v[42:45], v91 offset0:1 offset1:2
	ds_load_2addr_stride64_b64 v[96:99], v91 offset0:3 offset1:4
	;; [unrolled: 1-line block ×3, first 2 shown]
	s_mov_b32 s62, exec_lo
	s_wait_dscnt 0x2
	v_pk_add_f32 v[36:37], v[36:37], v[42:43]
	s_delay_alu instid0(VALU_DEP_1) | instskip(SKIP_3) | instid1(VALU_DEP_1)
	v_pk_add_f32 v[42:43], v[36:37], v[44:45]
	ds_load_2addr_stride64_b64 v[36:39], v91 offset0:7 offset1:8
	s_wait_dscnt 0x2
	v_pk_add_f32 v[42:43], v[42:43], v[96:97]
	v_pk_add_f32 v[96:97], v[42:43], v[98:99]
	ds_load_2addr_stride64_b64 v[42:45], v91 offset0:9 offset1:10
	s_wait_dscnt 0x2
	v_pk_add_f32 v[96:97], v[96:97], v[100:101]
	s_delay_alu instid0(VALU_DEP_1) | instskip(SKIP_3) | instid1(VALU_DEP_1)
	v_pk_add_f32 v[100:101], v[96:97], v[102:103]
	ds_load_2addr_stride64_b64 v[96:99], v91 offset0:11 offset1:12
	s_wait_dscnt 0x2
	v_pk_add_f32 v[36:37], v[100:101], v[36:37]
	v_pk_add_f32 v[36:37], v[36:37], v[38:39]
	s_wait_dscnt 0x1
	s_delay_alu instid0(VALU_DEP_1)
	v_pk_add_f32 v[42:43], v[36:37], v[42:43]
	ds_load_2addr_stride64_b64 v[36:39], v91 offset0:13 offset1:14
	v_pk_add_f32 v[42:43], v[42:43], v[44:45]
	ds_load_b64 v[44:45], v91 offset:7680
	s_wait_dscnt 0x2
	v_pk_add_f32 v[42:43], v[42:43], v[96:97]
	s_delay_alu instid0(VALU_DEP_1) | instskip(SKIP_1) | instid1(VALU_DEP_1)
	v_pk_add_f32 v[42:43], v[42:43], v[98:99]
	s_wait_dscnt 0x1
	v_pk_add_f32 v[36:37], v[42:43], v[36:37]
	s_delay_alu instid0(VALU_DEP_1) | instskip(SKIP_1) | instid1(VALU_DEP_1)
	v_pk_add_f32 v[36:37], v[36:37], v[38:39]
	s_wait_dscnt 0x0
	v_pk_add_f32 v[38:39], v[36:37], v[44:45]
	s_or_b32 exec_lo, exec_lo, s61
	s_delay_alu instid0(SALU_CYCLE_1)
	s_and_b32 vcc_lo, exec_lo, s63
	s_cbranch_vccnz .LBB56_1016
	s_branch .LBB56_1059
.LBB56_1015:                            ;   in Loop: Header=BB56_3 Depth=1
	s_mov_b32 s62, 0
                                        ; implicit-def: $vgpr38_vgpr39
	s_cbranch_execz .LBB56_1059
.LBB56_1016:                            ;   in Loop: Header=BB56_3 Depth=1
	v_dual_mov_b32 v3, v95 :: v_dual_mov_b32 v36, v85
	s_mov_b32 s63, 63
	s_branch .LBB56_1018
.LBB56_1017:                            ;   in Loop: Header=BB56_1018 Depth=2
	s_or_b32 exec_lo, exec_lo, s24
	v_add_nc_u32_e32 v36, 0xfffff800, v36
	v_add_nc_u32_e32 v3, 4, v3
	s_add_co_i32 s63, s63, -4
	s_cmp_lg_u32 s61, 0
	s_barrier_signal -1
	s_barrier_wait -1
	s_cbranch_scc0 .LBB56_1034
.LBB56_1018:                            ;   Parent Loop BB56_3 Depth=1
                                        ; =>  This Inner Loop Header: Depth=2
	s_delay_alu instid0(VALU_DEP_1) | instskip(SKIP_1) | instid1(SALU_CYCLE_1)
	v_cmp_eq_u32_e32 vcc_lo, 0, v3
	s_and_b32 s26, s1, vcc_lo
	s_and_saveexec_b32 s24, s26
; %bb.1019:                             ;   in Loop: Header=BB56_1018 Depth=2
	ds_store_b64 v7, v[40:41] offset:41472
; %bb.1020:                             ;   in Loop: Header=BB56_1018 Depth=2
	s_or_b32 exec_lo, exec_lo, s24
	v_cmp_gt_u32_e32 vcc_lo, s63, v4
	s_wait_dscnt 0x0
	s_barrier_signal -1
	s_barrier_wait -1
	s_and_b32 s26, s1, vcc_lo
	s_delay_alu instid0(SALU_CYCLE_1)
	s_and_saveexec_b32 s24, s26
	s_cbranch_execz .LBB56_1022
; %bb.1021:                             ;   in Loop: Header=BB56_1018 Depth=2
	ds_load_b64 v[38:39], v36 offset:1536
	ds_load_b64 v[42:43], v7 offset:41472
	s_wait_dscnt 0x0
	v_pk_mul_f32 v[44:45], v[42:43], v[38:39] op_sel:[1,1] op_sel_hi:[0,1]
	s_delay_alu instid0(VALU_DEP_1) | instskip(SKIP_1) | instid1(VALU_DEP_2)
	v_pk_fma_f32 v[96:97], v[42:43], v[38:39], v[44:45] op_sel_hi:[1,0,1]
	v_pk_fma_f32 v[38:39], v[42:43], v[38:39], v[44:45] neg_lo:[0,0,1] neg_hi:[0,0,1]
	v_mov_b32_e32 v39, v97
	s_delay_alu instid0(VALU_DEP_1)
	v_pk_add_f32 v[40:41], v[40:41], v[38:39]
.LBB56_1022:                            ;   in Loop: Header=BB56_1018 Depth=2
	s_or_b32 exec_lo, exec_lo, s24
	s_add_co_i32 s24, s63, -1
	s_delay_alu instid0(SALU_CYCLE_1) | instskip(SKIP_3) | instid1(SALU_CYCLE_1)
	v_cmp_eq_u32_e32 vcc_lo, s24, v4
	s_barrier_signal -1
	s_barrier_wait -1
	s_and_b32 s26, s1, vcc_lo
	s_and_saveexec_b32 s61, s26
; %bb.1023:                             ;   in Loop: Header=BB56_1018 Depth=2
	ds_store_b64 v7, v[40:41] offset:41472
; %bb.1024:                             ;   in Loop: Header=BB56_1018 Depth=2
	s_or_b32 exec_lo, exec_lo, s61
	v_cmp_gt_u32_e32 vcc_lo, s24, v4
	s_wait_dscnt 0x0
	s_barrier_signal -1
	s_barrier_wait -1
	s_and_b32 s26, s1, vcc_lo
	s_delay_alu instid0(SALU_CYCLE_1)
	s_and_saveexec_b32 s24, s26
	s_cbranch_execz .LBB56_1026
; %bb.1025:                             ;   in Loop: Header=BB56_1018 Depth=2
	ds_load_b64 v[38:39], v36 offset:1024
	ds_load_b64 v[42:43], v7 offset:41472
	s_wait_dscnt 0x0
	v_pk_mul_f32 v[44:45], v[42:43], v[38:39] op_sel:[1,1] op_sel_hi:[0,1]
	s_delay_alu instid0(VALU_DEP_1) | instskip(SKIP_1) | instid1(VALU_DEP_2)
	v_pk_fma_f32 v[96:97], v[42:43], v[38:39], v[44:45] op_sel_hi:[1,0,1]
	v_pk_fma_f32 v[38:39], v[42:43], v[38:39], v[44:45] neg_lo:[0,0,1] neg_hi:[0,0,1]
	v_mov_b32_e32 v39, v97
	s_delay_alu instid0(VALU_DEP_1)
	v_pk_add_f32 v[40:41], v[40:41], v[38:39]
.LBB56_1026:                            ;   in Loop: Header=BB56_1018 Depth=2
	s_or_b32 exec_lo, exec_lo, s24
	s_add_co_i32 s24, s63, -2
	s_delay_alu instid0(SALU_CYCLE_1) | instskip(SKIP_3) | instid1(SALU_CYCLE_1)
	v_cmp_eq_u32_e32 vcc_lo, s24, v4
	s_barrier_signal -1
	s_barrier_wait -1
	;; [unrolled: 32-line block ×3, first 2 shown]
	s_and_b32 s26, s1, vcc_lo
	s_and_saveexec_b32 s24, s26
; %bb.1031:                             ;   in Loop: Header=BB56_1018 Depth=2
	ds_store_b64 v7, v[40:41] offset:41472
; %bb.1032:                             ;   in Loop: Header=BB56_1018 Depth=2
	s_or_b32 exec_lo, exec_lo, s24
	v_cmp_gt_u32_e32 vcc_lo, s61, v4
	s_wait_dscnt 0x0
	s_barrier_signal -1
	s_barrier_wait -1
	s_and_b32 s26, s1, vcc_lo
	s_delay_alu instid0(SALU_CYCLE_1)
	s_and_saveexec_b32 s24, s26
	s_cbranch_execz .LBB56_1017
; %bb.1033:                             ;   in Loop: Header=BB56_1018 Depth=2
	ds_load_b64 v[38:39], v36
	ds_load_b64 v[42:43], v7 offset:41472
	s_wait_dscnt 0x0
	v_pk_mul_f32 v[44:45], v[42:43], v[38:39] op_sel:[1,1] op_sel_hi:[0,1]
	s_delay_alu instid0(VALU_DEP_1) | instskip(SKIP_1) | instid1(VALU_DEP_2)
	v_pk_fma_f32 v[96:97], v[42:43], v[38:39], v[44:45] op_sel_hi:[1,0,1]
	v_pk_fma_f32 v[38:39], v[42:43], v[38:39], v[44:45] neg_lo:[0,0,1] neg_hi:[0,0,1]
	v_mov_b32_e32 v39, v97
	s_delay_alu instid0(VALU_DEP_1)
	v_pk_add_f32 v[40:41], v[40:41], v[38:39]
	s_branch .LBB56_1017
.LBB56_1034:                            ;   in Loop: Header=BB56_3 Depth=1
	s_and_b32 vcc_lo, exec_lo, s91
	s_mov_b32 s24, -1
	s_cbranch_vccnz .LBB56_1060
; %bb.1035:                             ;   in Loop: Header=BB56_3 Depth=1
	s_and_not1_b32 vcc_lo, exec_lo, s24
	s_cbranch_vccz .LBB56_1061
.LBB56_1036:                            ;   in Loop: Header=BB56_3 Depth=1
	s_and_saveexec_b32 s24, s62
	s_cbranch_execz .LBB56_1038
.LBB56_1037:                            ;   in Loop: Header=BB56_3 Depth=1
	v_lshl_add_u64 v[36:37], v[0:1], 3, s[64:65]
	global_store_b64 v[36:37], v[40:41], off
.LBB56_1038:                            ;   in Loop: Header=BB56_3 Depth=1
	s_wait_xcnt 0x0
	s_or_b32 exec_lo, exec_lo, s24
	global_wb scope:SCOPE_DEV
	s_wait_storecnt 0x0
	global_inv scope:SCOPE_DEV
	s_wait_loadcnt 0x0
	s_barrier_signal -1
	s_barrier_wait -1
	s_and_saveexec_b32 s24, s33
	s_cbranch_execz .LBB56_2
; %bb.1039:                             ;   in Loop: Header=BB56_3 Depth=1
	s_lshl_b64 s[62:63], s[80:81], 2
	s_delay_alu instid0(SALU_CYCLE_1)
	s_add_nc_u64 s[62:63], s[78:79], s[62:63]
	global_load_b32 v3, v7, s[62:63]
	s_wait_loadcnt 0x0
	v_add_nc_u32_e32 v3, 1, v3
	global_store_b32 v7, v3, s[62:63]
	s_branch .LBB56_2
.LBB56_1040:                            ;   in Loop: Header=BB56_3 Depth=1
	v_readlane_b32 s26, v104, 3
	s_and_saveexec_b32 s61, s26
; %bb.1041:                             ;   in Loop: Header=BB56_3 Depth=1
	ds_store_b64 v78, v[32:33]
; %bb.1042:                             ;   in Loop: Header=BB56_3 Depth=1
	s_or_b32 exec_lo, exec_lo, s61
	s_and_not1_saveexec_b32 s24, s24
	s_cbranch_execz .LBB56_18
.LBB56_1043:                            ;   in Loop: Header=BB56_3 Depth=1
	v_lshl_add_u64 v[42:43], v[30:31], 3, v[40:41]
	global_load_b64 v[42:43], v[42:43], off
	s_wait_loadcnt 0x0
	v_pk_add_f32 v[42:43], v[42:43], 0 neg_lo:[1,1] neg_hi:[1,1]
	ds_store_b64 v78, v[42:43]
	s_or_b32 exec_lo, exec_lo, s24
	s_and_saveexec_b32 s24, s7
	s_delay_alu instid0(SALU_CYCLE_1)
	s_xor_b32 s24, exec_lo, s24
	s_cbranch_execz .LBB56_19
.LBB56_1044:                            ;   in Loop: Header=BB56_3 Depth=1
	v_readlane_b32 s26, v104, 4
	s_and_saveexec_b32 s61, s26
; %bb.1045:                             ;   in Loop: Header=BB56_3 Depth=1
	ds_store_b64 v79, v[32:33]
; %bb.1046:                             ;   in Loop: Header=BB56_3 Depth=1
	s_or_b32 exec_lo, exec_lo, s61
	s_and_not1_saveexec_b32 s24, s24
	s_cbranch_execz .LBB56_20
.LBB56_1047:                            ;   in Loop: Header=BB56_3 Depth=1
	v_lshl_add_u64 v[42:43], v[28:29], 3, v[40:41]
	global_load_b64 v[42:43], v[42:43], off
	s_wait_loadcnt 0x0
	v_pk_add_f32 v[42:43], v[42:43], 0 neg_lo:[1,1] neg_hi:[1,1]
	ds_store_b64 v79, v[42:43]
	s_or_b32 exec_lo, exec_lo, s24
	s_and_saveexec_b32 s24, s8
	s_delay_alu instid0(SALU_CYCLE_1)
	s_xor_b32 s24, exec_lo, s24
	s_cbranch_execz .LBB56_21
.LBB56_1048:                            ;   in Loop: Header=BB56_3 Depth=1
	v_readlane_b32 s26, v104, 5
	s_and_saveexec_b32 s61, s26
; %bb.1049:                             ;   in Loop: Header=BB56_3 Depth=1
	ds_store_b64 v80, v[32:33]
; %bb.1050:                             ;   in Loop: Header=BB56_3 Depth=1
	s_or_b32 exec_lo, exec_lo, s61
	s_and_not1_saveexec_b32 s24, s24
	s_cbranch_execz .LBB56_22
.LBB56_1051:                            ;   in Loop: Header=BB56_3 Depth=1
	v_lshl_add_u64 v[42:43], v[20:21], 3, v[40:41]
	global_load_b64 v[42:43], v[42:43], off
	s_wait_loadcnt 0x0
	v_pk_add_f32 v[42:43], v[42:43], 0 neg_lo:[1,1] neg_hi:[1,1]
	ds_store_b64 v80, v[42:43]
	s_or_b32 exec_lo, exec_lo, s24
	s_and_saveexec_b32 s24, s9
	s_delay_alu instid0(SALU_CYCLE_1)
	s_xor_b32 s24, exec_lo, s24
	s_cbranch_execz .LBB56_23
.LBB56_1052:                            ;   in Loop: Header=BB56_3 Depth=1
	v_readlane_b32 s26, v104, 6
	s_and_saveexec_b32 s61, s26
; %bb.1053:                             ;   in Loop: Header=BB56_3 Depth=1
	ds_store_b64 v81, v[32:33]
; %bb.1054:                             ;   in Loop: Header=BB56_3 Depth=1
	s_or_b32 exec_lo, exec_lo, s61
	s_and_not1_saveexec_b32 s24, s24
	s_cbranch_execnz .LBB56_24
	s_branch .LBB56_25
.LBB56_1055:                            ;   in Loop: Header=BB56_3 Depth=1
	ds_load_b64 v[36:37], v92
	ds_load_b64 v[38:39], v83
	s_wait_dscnt 0x0
	v_dual_mul_f32 v3, v39, v37 :: v_dual_mul_f32 v37, v38, v37
	s_delay_alu instid0(VALU_DEP_1) | instskip(NEXT) | instid1(VALU_DEP_1)
	v_dual_fma_f32 v3, v38, v36, -v3 :: v_dual_fmac_f32 v37, v39, v36
	v_dual_add_f32 v36, 0, v3 :: v_dual_add_f32 v37, 0, v37
	s_or_b32 exec_lo, exec_lo, s24
	s_and_saveexec_b32 s24, s7
	s_cbranch_execz .LBB56_1010
.LBB56_1056:                            ;   in Loop: Header=BB56_3 Depth=1
	ds_load_b64 v[38:39], v92 offset:8192
	ds_load_b64 v[42:43], v83 offset:128
	s_wait_dscnt 0x0
	v_dual_mul_f32 v3, v43, v39 :: v_dual_mul_f32 v45, v42, v39
	s_delay_alu instid0(VALU_DEP_1) | instskip(NEXT) | instid1(VALU_DEP_1)
	v_dual_fma_f32 v44, v42, v38, -v3 :: v_dual_fmac_f32 v45, v43, v38
	v_pk_add_f32 v[36:37], v[36:37], v[44:45]
	s_or_b32 exec_lo, exec_lo, s24
	s_and_saveexec_b32 s24, s8
	s_cbranch_execz .LBB56_1011
.LBB56_1057:                            ;   in Loop: Header=BB56_3 Depth=1
	ds_load_b64 v[38:39], v92 offset:16384
	ds_load_b64 v[42:43], v83 offset:256
	s_wait_dscnt 0x0
	v_pk_mul_f32 v[44:45], v[42:43], v[38:39] op_sel:[1,1] op_sel_hi:[0,1]
	s_delay_alu instid0(VALU_DEP_1) | instskip(SKIP_1) | instid1(VALU_DEP_2)
	v_pk_fma_f32 v[96:97], v[42:43], v[38:39], v[44:45] op_sel_hi:[1,0,1]
	v_pk_fma_f32 v[38:39], v[42:43], v[38:39], v[44:45] neg_lo:[0,0,1] neg_hi:[0,0,1]
	v_mov_b32_e32 v39, v97
	s_delay_alu instid0(VALU_DEP_1)
	v_pk_add_f32 v[36:37], v[36:37], v[38:39]
	s_or_b32 exec_lo, exec_lo, s24
	s_and_saveexec_b32 s24, s9
	s_cbranch_execnz .LBB56_1012
	s_branch .LBB56_1013
.LBB56_1058:                            ;   in Loop: Header=BB56_3 Depth=1
	s_or_b32 exec_lo, exec_lo, s61
	s_delay_alu instid0(SALU_CYCLE_1)
	s_and_b32 vcc_lo, exec_lo, s63
	s_cbranch_vccnz .LBB56_1016
.LBB56_1059:                            ;   in Loop: Header=BB56_3 Depth=1
	v_mov_b64_e32 v[40:41], v[38:39]
	s_and_saveexec_b32 s24, s62
	s_cbranch_execnz .LBB56_1037
	s_branch .LBB56_1038
.LBB56_1060:                            ;   in Loop: Header=BB56_3 Depth=1
	s_and_not1_b32 s26, s62, exec_lo
	s_and_b32 s28, s1, exec_lo
	s_delay_alu instid0(SALU_CYCLE_1)
	s_or_b32 s62, s26, s28
	s_cbranch_execnz .LBB56_1036
.LBB56_1061:                            ;   in Loop: Header=BB56_3 Depth=1
	v_readlane_b32 s26, v105, 15
	s_and_not1_b32 s24, s62, exec_lo
	s_and_b32 s26, s26, exec_lo
	s_delay_alu instid0(SALU_CYCLE_1) | instskip(NEXT) | instid1(SALU_CYCLE_1)
	s_or_b32 s62, s24, s26
	s_and_saveexec_b32 s24, s62
	s_cbranch_execnz .LBB56_1037
	s_branch .LBB56_1038
.LBB56_1062:                            ;   in Loop: Header=BB56_3 Depth=1
	ds_load_b64 v[42:43], v66 offset:544
	ds_load_b64 v[44:45], v53 offset:8
	s_wait_dscnt 0x0
	v_dual_mul_f32 v3, v45, v43 :: v_dual_mul_f32 v43, v44, v43
	s_delay_alu instid0(VALU_DEP_1) | instskip(NEXT) | instid1(VALU_DEP_1)
	v_fmac_f32_e32 v43, v45, v42
	v_dual_fma_f32 v3, v44, v42, -v3 :: v_dual_add_f32 v41, v41, v43
	s_delay_alu instid0(VALU_DEP_1)
	v_add_f32_e32 v40, v40, v3
	s_or_b32 exec_lo, exec_lo, s24
	s_and_saveexec_b32 s24, s14
	s_cbranch_execz .LBB56_74
.LBB56_1063:                            ;   in Loop: Header=BB56_3 Depth=1
	ds_load_b64 v[42:43], v65 offset:1056
	ds_load_b64 v[44:45], v53 offset:16
	s_wait_dscnt 0x0
	v_dual_mul_f32 v3, v45, v43 :: v_dual_mul_f32 v43, v44, v43
	s_delay_alu instid0(VALU_DEP_1) | instskip(NEXT) | instid1(VALU_DEP_1)
	v_fmac_f32_e32 v43, v45, v42
	v_dual_fma_f32 v3, v44, v42, -v3 :: v_dual_add_f32 v41, v41, v43
	s_delay_alu instid0(VALU_DEP_1)
	v_add_f32_e32 v40, v40, v3
	s_or_b32 exec_lo, exec_lo, s24
	s_and_saveexec_b32 s24, s0
	s_cbranch_execnz .LBB56_75
	s_branch .LBB56_76
.LBB56_1064:                            ;   in Loop: Header=BB56_3 Depth=1
	ds_load_b64 v[42:43], v70 offset:576
	ds_load_b64 v[44:45], v55 offset:8
	s_wait_dscnt 0x0
	v_dual_mul_f32 v3, v45, v43 :: v_dual_mul_f32 v43, v44, v43
	s_delay_alu instid0(VALU_DEP_1) | instskip(NEXT) | instid1(VALU_DEP_1)
	v_fmac_f32_e32 v43, v45, v42
	v_dual_fma_f32 v3, v44, v42, -v3 :: v_dual_add_f32 v41, v41, v43
	s_delay_alu instid0(VALU_DEP_1)
	v_add_f32_e32 v40, v40, v3
	s_or_b32 exec_lo, exec_lo, s24
	s_and_saveexec_b32 s24, s16
	s_cbranch_execz .LBB56_116
.LBB56_1065:                            ;   in Loop: Header=BB56_3 Depth=1
	ds_load_b64 v[42:43], v70 offset:1088
	ds_load_b64 v[44:45], v55 offset:16
	s_wait_dscnt 0x0
	v_dual_mul_f32 v3, v45, v43 :: v_dual_mul_f32 v43, v44, v43
	s_delay_alu instid0(VALU_DEP_1) | instskip(NEXT) | instid1(VALU_DEP_1)
	v_fmac_f32_e32 v43, v45, v42
	v_dual_fma_f32 v3, v44, v42, -v3 :: v_dual_add_f32 v41, v41, v43
	s_delay_alu instid0(VALU_DEP_1)
	v_add_f32_e32 v40, v40, v3
	s_or_b32 exec_lo, exec_lo, s24
	s_and_saveexec_b32 s24, s17
	s_cbranch_execz .LBB56_117
.LBB56_1066:                            ;   in Loop: Header=BB56_3 Depth=1
	ds_load_b64 v[42:43], v70 offset:1600
	ds_load_b64 v[44:45], v55 offset:24
	s_wait_dscnt 0x0
	v_dual_mul_f32 v3, v45, v43 :: v_dual_mul_f32 v43, v44, v43
	s_delay_alu instid0(VALU_DEP_1) | instskip(NEXT) | instid1(VALU_DEP_1)
	v_fmac_f32_e32 v43, v45, v42
	v_dual_fma_f32 v3, v44, v42, -v3 :: v_dual_add_f32 v41, v41, v43
	s_delay_alu instid0(VALU_DEP_1)
	v_add_f32_e32 v40, v40, v3
	s_or_b32 exec_lo, exec_lo, s24
	s_and_saveexec_b32 s24, s18
	s_cbranch_execz .LBB56_118
.LBB56_1067:                            ;   in Loop: Header=BB56_3 Depth=1
	ds_load_b64 v[42:43], v69 offset:2112
	ds_load_b64 v[44:45], v55 offset:32
	s_wait_dscnt 0x0
	v_dual_mul_f32 v3, v45, v43 :: v_dual_mul_f32 v43, v44, v43
	s_delay_alu instid0(VALU_DEP_1) | instskip(NEXT) | instid1(VALU_DEP_1)
	v_fmac_f32_e32 v43, v45, v42
	v_dual_fma_f32 v3, v44, v42, -v3 :: v_dual_add_f32 v41, v41, v43
	s_delay_alu instid0(VALU_DEP_1)
	v_add_f32_e32 v40, v40, v3
	s_or_b32 exec_lo, exec_lo, s24
	s_and_saveexec_b32 s24, s19
	s_cbranch_execz .LBB56_119
.LBB56_1068:                            ;   in Loop: Header=BB56_3 Depth=1
	ds_load_b64 v[42:43], v70 offset:2624
	ds_load_b64 v[44:45], v55 offset:40
	s_wait_dscnt 0x0
	v_dual_mul_f32 v3, v45, v43 :: v_dual_mul_f32 v97, v44, v43
	s_delay_alu instid0(VALU_DEP_1) | instskip(NEXT) | instid1(VALU_DEP_1)
	v_dual_fma_f32 v96, v44, v42, -v3 :: v_dual_fmac_f32 v97, v45, v42
	v_pk_add_f32 v[40:41], v[40:41], v[96:97]
	s_or_b32 exec_lo, exec_lo, s24
	s_and_saveexec_b32 s24, s2
	s_cbranch_execz .LBB56_120
.LBB56_1069:                            ;   in Loop: Header=BB56_3 Depth=1
	ds_load_b64 v[42:43], v69 offset:3136
	ds_load_b64 v[44:45], v55 offset:48
	s_wait_dscnt 0x0
	v_pk_mul_f32 v[96:97], v[44:45], v[42:43] op_sel:[1,1] op_sel_hi:[0,1]
	s_delay_alu instid0(VALU_DEP_1) | instskip(SKIP_1) | instid1(VALU_DEP_2)
	v_pk_fma_f32 v[98:99], v[44:45], v[42:43], v[96:97] op_sel_hi:[1,0,1]
	v_pk_fma_f32 v[42:43], v[44:45], v[42:43], v[96:97] neg_lo:[0,0,1] neg_hi:[0,0,1]
	v_mov_b32_e32 v43, v99
	s_delay_alu instid0(VALU_DEP_1)
	v_pk_add_f32 v[40:41], v[40:41], v[42:43]
	s_or_b32 exec_lo, exec_lo, s24
	s_and_saveexec_b32 s24, s14
	s_cbranch_execnz .LBB56_121
	s_branch .LBB56_122
.LBB56_1070:                            ;   in Loop: Header=BB56_3 Depth=1
	ds_load_b64 v[42:43], v66 offset:4704
	ds_load_b64 v[44:45], v53 offset:4168
	s_wait_dscnt 0x0
	v_dual_mul_f32 v3, v45, v43 :: v_dual_mul_f32 v43, v44, v43
	s_delay_alu instid0(VALU_DEP_1) | instskip(NEXT) | instid1(VALU_DEP_1)
	v_fmac_f32_e32 v43, v45, v42
	v_dual_fma_f32 v3, v44, v42, -v3 :: v_dual_add_f32 v41, v41, v43
	s_delay_alu instid0(VALU_DEP_1)
	v_add_f32_e32 v40, v40, v3
	s_or_b32 exec_lo, exec_lo, s24
	s_and_saveexec_b32 s24, s14
	s_cbranch_execz .LBB56_178
.LBB56_1071:                            ;   in Loop: Header=BB56_3 Depth=1
	ds_load_b64 v[42:43], v65 offset:5216
	ds_load_b64 v[44:45], v53 offset:4176
	s_wait_dscnt 0x0
	v_dual_mul_f32 v3, v45, v43 :: v_dual_mul_f32 v43, v44, v43
	s_delay_alu instid0(VALU_DEP_1) | instskip(NEXT) | instid1(VALU_DEP_1)
	v_fmac_f32_e32 v43, v45, v42
	v_dual_fma_f32 v3, v44, v42, -v3 :: v_dual_add_f32 v41, v41, v43
	s_delay_alu instid0(VALU_DEP_1)
	v_add_f32_e32 v40, v40, v3
	s_or_b32 exec_lo, exec_lo, s24
	s_and_saveexec_b32 s24, s0
	s_cbranch_execnz .LBB56_179
	s_branch .LBB56_180
.LBB56_1072:                            ;   in Loop: Header=BB56_3 Depth=1
	ds_load_b64 v[42:43], v73 offset:5760
	ds_load_b64 v[44:45], v57 offset:88
	s_wait_dscnt 0x0
	v_dual_mul_f32 v3, v45, v43 :: v_dual_mul_f32 v43, v44, v43
	s_delay_alu instid0(VALU_DEP_1) | instskip(NEXT) | instid1(VALU_DEP_1)
	v_fmac_f32_e32 v43, v45, v42
	v_dual_fma_f32 v3, v44, v42, -v3 :: v_dual_add_f32 v41, v41, v43
	s_delay_alu instid0(VALU_DEP_1)
	v_add_f32_e32 v40, v40, v3
	s_or_b32 exec_lo, exec_lo, s24
	s_and_saveexec_b32 s24, s3
	s_cbranch_execz .LBB56_240
.LBB56_1073:                            ;   in Loop: Header=BB56_3 Depth=1
	ds_load_b64 v[42:43], v72 offset:6272
	ds_load_b64 v[44:45], v57 offset:96
	s_wait_dscnt 0x0
	v_dual_mul_f32 v3, v45, v43 :: v_dual_mul_f32 v43, v44, v43
	s_delay_alu instid0(VALU_DEP_1) | instskip(NEXT) | instid1(VALU_DEP_1)
	v_fmac_f32_e32 v43, v45, v42
	v_dual_fma_f32 v3, v44, v42, -v3 :: v_dual_add_f32 v41, v41, v43
	s_delay_alu instid0(VALU_DEP_1)
	v_add_f32_e32 v40, v40, v3
	s_or_b32 exec_lo, exec_lo, s24
	s_and_saveexec_b32 s24, s16
	s_cbranch_execz .LBB56_241
.LBB56_1074:                            ;   in Loop: Header=BB56_3 Depth=1
	ds_load_b64 v[42:43], v73 offset:6784
	ds_load_b64 v[44:45], v57 offset:104
	s_wait_dscnt 0x0
	v_dual_mul_f32 v3, v45, v43 :: v_dual_mul_f32 v43, v44, v43
	s_delay_alu instid0(VALU_DEP_1) | instskip(NEXT) | instid1(VALU_DEP_1)
	v_fmac_f32_e32 v43, v45, v42
	v_dual_fma_f32 v3, v44, v42, -v3 :: v_dual_add_f32 v41, v41, v43
	s_delay_alu instid0(VALU_DEP_1)
	v_add_f32_e32 v40, v40, v3
	s_or_b32 exec_lo, exec_lo, s24
	s_and_saveexec_b32 s24, s18
	s_cbranch_execz .LBB56_242
.LBB56_1075:                            ;   in Loop: Header=BB56_3 Depth=1
	ds_load_b64 v[42:43], v72 offset:7296
	ds_load_b64 v[44:45], v57 offset:112
	s_wait_dscnt 0x0
	v_dual_mul_f32 v3, v45, v43 :: v_dual_mul_f32 v43, v44, v43
	s_delay_alu instid0(VALU_DEP_1) | instskip(NEXT) | instid1(VALU_DEP_1)
	v_fmac_f32_e32 v43, v45, v42
	v_dual_fma_f32 v3, v44, v42, -v3 :: v_dual_add_f32 v41, v41, v43
	s_delay_alu instid0(VALU_DEP_1)
	v_add_f32_e32 v40, v40, v3
	s_or_b32 exec_lo, exec_lo, s24
	s_and_saveexec_b32 s24, s2
	s_cbranch_execnz .LBB56_243
	s_branch .LBB56_244
.LBB56_1076:                            ;   in Loop: Header=BB56_3 Depth=1
	ds_load_b64 v[42:43], v66 offset:8864
	ds_load_b64 v[44:45], v53 offset:8328
	s_wait_dscnt 0x0
	v_dual_mul_f32 v3, v45, v43 :: v_dual_mul_f32 v43, v44, v43
	s_delay_alu instid0(VALU_DEP_1) | instskip(NEXT) | instid1(VALU_DEP_1)
	v_fmac_f32_e32 v43, v45, v42
	v_dual_fma_f32 v3, v44, v42, -v3 :: v_dual_add_f32 v41, v41, v43
	s_delay_alu instid0(VALU_DEP_1)
	v_add_f32_e32 v40, v40, v3
	s_or_b32 exec_lo, exec_lo, s24
	s_and_saveexec_b32 s24, s14
	s_cbranch_execz .LBB56_332
.LBB56_1077:                            ;   in Loop: Header=BB56_3 Depth=1
	ds_load_b64 v[42:43], v65 offset:9376
	ds_load_b64 v[44:45], v53 offset:8336
	s_wait_dscnt 0x0
	v_dual_mul_f32 v3, v45, v43 :: v_dual_mul_f32 v43, v44, v43
	s_delay_alu instid0(VALU_DEP_1) | instskip(NEXT) | instid1(VALU_DEP_1)
	v_fmac_f32_e32 v43, v45, v42
	v_dual_fma_f32 v3, v44, v42, -v3 :: v_dual_add_f32 v41, v41, v43
	s_delay_alu instid0(VALU_DEP_1)
	v_add_f32_e32 v40, v40, v3
	s_or_b32 exec_lo, exec_lo, s24
	s_and_saveexec_b32 s24, s0
	s_cbranch_execnz .LBB56_333
	s_branch .LBB56_334
.LBB56_1078:                            ;   in Loop: Header=BB56_3 Depth=1
	ds_load_b64 v[42:43], v70 offset:8896
	ds_load_b64 v[44:45], v55 offset:8328
	s_wait_dscnt 0x0
	v_dual_mul_f32 v3, v45, v43 :: v_dual_mul_f32 v43, v44, v43
	s_delay_alu instid0(VALU_DEP_1) | instskip(NEXT) | instid1(VALU_DEP_1)
	v_fmac_f32_e32 v43, v45, v42
	v_dual_fma_f32 v3, v44, v42, -v3 :: v_dual_add_f32 v41, v41, v43
	s_delay_alu instid0(VALU_DEP_1)
	v_add_f32_e32 v40, v40, v3
	s_or_b32 exec_lo, exec_lo, s24
	s_and_saveexec_b32 s24, s16
	s_cbranch_execz .LBB56_374
.LBB56_1079:                            ;   in Loop: Header=BB56_3 Depth=1
	ds_load_b64 v[42:43], v70 offset:9408
	ds_load_b64 v[44:45], v55 offset:8336
	s_wait_dscnt 0x0
	v_dual_mul_f32 v3, v45, v43 :: v_dual_mul_f32 v43, v44, v43
	s_delay_alu instid0(VALU_DEP_1) | instskip(NEXT) | instid1(VALU_DEP_1)
	v_fmac_f32_e32 v43, v45, v42
	v_dual_fma_f32 v3, v44, v42, -v3 :: v_dual_add_f32 v41, v41, v43
	s_delay_alu instid0(VALU_DEP_1)
	v_add_f32_e32 v40, v40, v3
	s_or_b32 exec_lo, exec_lo, s24
	s_and_saveexec_b32 s24, s17
	s_cbranch_execz .LBB56_375
.LBB56_1080:                            ;   in Loop: Header=BB56_3 Depth=1
	ds_load_b64 v[42:43], v70 offset:9920
	ds_load_b64 v[44:45], v55 offset:8344
	s_wait_dscnt 0x0
	v_dual_mul_f32 v3, v45, v43 :: v_dual_mul_f32 v43, v44, v43
	s_delay_alu instid0(VALU_DEP_1) | instskip(NEXT) | instid1(VALU_DEP_1)
	v_fmac_f32_e32 v43, v45, v42
	v_dual_fma_f32 v3, v44, v42, -v3 :: v_dual_add_f32 v41, v41, v43
	s_delay_alu instid0(VALU_DEP_1)
	v_add_f32_e32 v40, v40, v3
	s_or_b32 exec_lo, exec_lo, s24
	s_and_saveexec_b32 s24, s18
	s_cbranch_execz .LBB56_376
.LBB56_1081:                            ;   in Loop: Header=BB56_3 Depth=1
	ds_load_b64 v[42:43], v69 offset:10432
	ds_load_b64 v[44:45], v55 offset:8352
	s_wait_dscnt 0x0
	v_dual_mul_f32 v3, v45, v43 :: v_dual_mul_f32 v43, v44, v43
	s_delay_alu instid0(VALU_DEP_1) | instskip(NEXT) | instid1(VALU_DEP_1)
	v_fmac_f32_e32 v43, v45, v42
	v_dual_fma_f32 v3, v44, v42, -v3 :: v_dual_add_f32 v41, v41, v43
	s_delay_alu instid0(VALU_DEP_1)
	v_add_f32_e32 v40, v40, v3
	s_or_b32 exec_lo, exec_lo, s24
	s_and_saveexec_b32 s24, s19
	s_cbranch_execz .LBB56_377
.LBB56_1082:                            ;   in Loop: Header=BB56_3 Depth=1
	ds_load_b64 v[42:43], v70 offset:10944
	ds_load_b64 v[44:45], v55 offset:8360
	s_wait_dscnt 0x0
	v_dual_mul_f32 v3, v45, v43 :: v_dual_mul_f32 v97, v44, v43
	s_delay_alu instid0(VALU_DEP_1) | instskip(NEXT) | instid1(VALU_DEP_1)
	v_dual_fma_f32 v96, v44, v42, -v3 :: v_dual_fmac_f32 v97, v45, v42
	v_pk_add_f32 v[40:41], v[40:41], v[96:97]
	s_or_b32 exec_lo, exec_lo, s24
	s_and_saveexec_b32 s24, s2
	s_cbranch_execz .LBB56_378
.LBB56_1083:                            ;   in Loop: Header=BB56_3 Depth=1
	ds_load_b64 v[42:43], v69 offset:11456
	ds_load_b64 v[44:45], v55 offset:8368
	s_wait_dscnt 0x0
	v_pk_mul_f32 v[96:97], v[44:45], v[42:43] op_sel:[1,1] op_sel_hi:[0,1]
	s_delay_alu instid0(VALU_DEP_1) | instskip(SKIP_1) | instid1(VALU_DEP_2)
	v_pk_fma_f32 v[98:99], v[44:45], v[42:43], v[96:97] op_sel_hi:[1,0,1]
	v_pk_fma_f32 v[42:43], v[44:45], v[42:43], v[96:97] neg_lo:[0,0,1] neg_hi:[0,0,1]
	v_mov_b32_e32 v43, v99
	s_delay_alu instid0(VALU_DEP_1)
	v_pk_add_f32 v[40:41], v[40:41], v[42:43]
	s_or_b32 exec_lo, exec_lo, s24
	s_and_saveexec_b32 s24, s14
	s_cbranch_execnz .LBB56_379
	s_branch .LBB56_380
.LBB56_1084:                            ;   in Loop: Header=BB56_3 Depth=1
	ds_load_b64 v[42:43], v66 offset:13024
	ds_load_b64 v[44:45], v53 offset:12488
	s_wait_dscnt 0x0
	v_dual_mul_f32 v3, v45, v43 :: v_dual_mul_f32 v43, v44, v43
	s_delay_alu instid0(VALU_DEP_1) | instskip(NEXT) | instid1(VALU_DEP_1)
	v_fmac_f32_e32 v43, v45, v42
	v_dual_fma_f32 v3, v44, v42, -v3 :: v_dual_add_f32 v41, v41, v43
	s_delay_alu instid0(VALU_DEP_1)
	v_add_f32_e32 v40, v40, v3
	s_or_b32 exec_lo, exec_lo, s24
	s_and_saveexec_b32 s24, s14
	s_cbranch_execz .LBB56_436
.LBB56_1085:                            ;   in Loop: Header=BB56_3 Depth=1
	ds_load_b64 v[42:43], v65 offset:13536
	ds_load_b64 v[44:45], v53 offset:12496
	s_wait_dscnt 0x0
	v_dual_mul_f32 v3, v45, v43 :: v_dual_mul_f32 v43, v44, v43
	s_delay_alu instid0(VALU_DEP_1) | instskip(NEXT) | instid1(VALU_DEP_1)
	v_fmac_f32_e32 v43, v45, v42
	v_dual_fma_f32 v3, v44, v42, -v3 :: v_dual_add_f32 v41, v41, v43
	s_delay_alu instid0(VALU_DEP_1)
	v_add_f32_e32 v40, v40, v3
	s_or_b32 exec_lo, exec_lo, s24
	s_and_saveexec_b32 s24, s0
	s_cbranch_execnz .LBB56_437
	s_branch .LBB56_438
.LBB56_1086:                            ;   in Loop: Header=BB56_3 Depth=1
	ds_load_b64 v[44:45], v42 offset:15104
	ds_load_b64 v[96:97], v3 offset:232
	s_wait_dscnt 0x0
	v_pk_mul_f32 v[98:99], v[96:97], v[44:45] op_sel:[1,1] op_sel_hi:[0,1]
	s_delay_alu instid0(VALU_DEP_1) | instskip(SKIP_1) | instid1(VALU_DEP_2)
	v_pk_fma_f32 v[100:101], v[96:97], v[44:45], v[98:99] op_sel_hi:[1,0,1]
	v_pk_fma_f32 v[44:45], v[96:97], v[44:45], v[98:99] neg_lo:[0,0,1] neg_hi:[0,0,1]
	v_mov_b32_e32 v45, v101
	s_delay_alu instid0(VALU_DEP_1)
	v_pk_add_f32 v[40:41], v[40:41], v[44:45]
	s_or_b32 exec_lo, exec_lo, s24
	s_and_saveexec_b32 s24, s3
	s_cbranch_execz .LBB56_534
.LBB56_1087:                            ;   in Loop: Header=BB56_3 Depth=1
	ds_load_b64 v[42:43], v42 offset:15616
	ds_load_b64 v[44:45], v3 offset:240
	s_wait_dscnt 0x0
	v_pk_mul_f32 v[96:97], v[44:45], v[42:43] op_sel:[1,1] op_sel_hi:[0,1]
	s_delay_alu instid0(VALU_DEP_1) | instskip(SKIP_1) | instid1(VALU_DEP_2)
	v_pk_fma_f32 v[98:99], v[44:45], v[42:43], v[96:97] op_sel_hi:[1,0,1]
	v_pk_fma_f32 v[42:43], v[44:45], v[42:43], v[96:97] neg_lo:[0,0,1] neg_hi:[0,0,1]
	v_mov_b32_e32 v43, v99
	s_delay_alu instid0(VALU_DEP_1)
	v_pk_add_f32 v[40:41], v[40:41], v[42:43]
	s_or_b32 exec_lo, exec_lo, s24
	s_and_saveexec_b32 s24, s18
	s_cbranch_execnz .LBB56_535
	s_branch .LBB56_536
.LBB56_1088:                            ;   in Loop: Header=BB56_3 Depth=1
	ds_load_b64 v[42:43], v66 offset:17184
	ds_load_b64 v[44:45], v53 offset:16648
	s_wait_dscnt 0x0
	v_dual_mul_f32 v3, v45, v43 :: v_dual_mul_f32 v43, v44, v43
	s_delay_alu instid0(VALU_DEP_1) | instskip(NEXT) | instid1(VALU_DEP_1)
	v_fmac_f32_e32 v43, v45, v42
	v_dual_fma_f32 v3, v44, v42, -v3 :: v_dual_add_f32 v41, v41, v43
	s_delay_alu instid0(VALU_DEP_1)
	v_add_f32_e32 v40, v40, v3
	s_or_b32 exec_lo, exec_lo, s24
	s_and_saveexec_b32 s24, s14
	s_cbranch_execz .LBB56_580
.LBB56_1089:                            ;   in Loop: Header=BB56_3 Depth=1
	ds_load_b64 v[42:43], v65 offset:17696
	ds_load_b64 v[44:45], v53 offset:16656
	s_wait_dscnt 0x0
	v_dual_mul_f32 v3, v45, v43 :: v_dual_mul_f32 v43, v44, v43
	s_delay_alu instid0(VALU_DEP_1) | instskip(NEXT) | instid1(VALU_DEP_1)
	v_fmac_f32_e32 v43, v45, v42
	v_dual_fma_f32 v3, v44, v42, -v3 :: v_dual_add_f32 v41, v41, v43
	s_delay_alu instid0(VALU_DEP_1)
	v_add_f32_e32 v40, v40, v3
	s_or_b32 exec_lo, exec_lo, s24
	s_and_saveexec_b32 s24, s0
	s_cbranch_execnz .LBB56_581
	s_branch .LBB56_582
.LBB56_1090:                            ;   in Loop: Header=BB56_3 Depth=1
	ds_load_b64 v[42:43], v70 offset:17216
	ds_load_b64 v[44:45], v55 offset:16648
	s_wait_dscnt 0x0
	v_dual_mul_f32 v3, v45, v43 :: v_dual_mul_f32 v43, v44, v43
	s_delay_alu instid0(VALU_DEP_1) | instskip(NEXT) | instid1(VALU_DEP_1)
	v_fmac_f32_e32 v43, v45, v42
	v_dual_fma_f32 v3, v44, v42, -v3 :: v_dual_add_f32 v41, v41, v43
	s_delay_alu instid0(VALU_DEP_1)
	v_add_f32_e32 v40, v40, v3
	s_or_b32 exec_lo, exec_lo, s24
	s_and_saveexec_b32 s24, s16
	s_cbranch_execz .LBB56_622
.LBB56_1091:                            ;   in Loop: Header=BB56_3 Depth=1
	ds_load_b64 v[42:43], v70 offset:17728
	ds_load_b64 v[44:45], v55 offset:16656
	s_wait_dscnt 0x0
	v_dual_mul_f32 v3, v45, v43 :: v_dual_mul_f32 v43, v44, v43
	s_delay_alu instid0(VALU_DEP_1) | instskip(NEXT) | instid1(VALU_DEP_1)
	v_fmac_f32_e32 v43, v45, v42
	v_dual_fma_f32 v3, v44, v42, -v3 :: v_dual_add_f32 v41, v41, v43
	s_delay_alu instid0(VALU_DEP_1)
	v_add_f32_e32 v40, v40, v3
	s_or_b32 exec_lo, exec_lo, s24
	s_and_saveexec_b32 s24, s17
	s_cbranch_execz .LBB56_623
.LBB56_1092:                            ;   in Loop: Header=BB56_3 Depth=1
	ds_load_b64 v[42:43], v70 offset:18240
	ds_load_b64 v[44:45], v55 offset:16664
	s_wait_dscnt 0x0
	v_dual_mul_f32 v3, v45, v43 :: v_dual_mul_f32 v43, v44, v43
	s_delay_alu instid0(VALU_DEP_1) | instskip(NEXT) | instid1(VALU_DEP_1)
	v_fmac_f32_e32 v43, v45, v42
	v_dual_fma_f32 v3, v44, v42, -v3 :: v_dual_add_f32 v41, v41, v43
	s_delay_alu instid0(VALU_DEP_1)
	v_add_f32_e32 v40, v40, v3
	s_or_b32 exec_lo, exec_lo, s24
	s_and_saveexec_b32 s24, s18
	s_cbranch_execz .LBB56_624
.LBB56_1093:                            ;   in Loop: Header=BB56_3 Depth=1
	ds_load_b64 v[42:43], v69 offset:18752
	ds_load_b64 v[44:45], v55 offset:16672
	s_wait_dscnt 0x0
	v_dual_mul_f32 v3, v45, v43 :: v_dual_mul_f32 v43, v44, v43
	s_delay_alu instid0(VALU_DEP_1) | instskip(NEXT) | instid1(VALU_DEP_1)
	v_fmac_f32_e32 v43, v45, v42
	v_dual_fma_f32 v3, v44, v42, -v3 :: v_dual_add_f32 v41, v41, v43
	s_delay_alu instid0(VALU_DEP_1)
	v_add_f32_e32 v40, v40, v3
	s_or_b32 exec_lo, exec_lo, s24
	s_and_saveexec_b32 s24, s19
	s_cbranch_execz .LBB56_625
.LBB56_1094:                            ;   in Loop: Header=BB56_3 Depth=1
	ds_load_b64 v[42:43], v70 offset:19264
	ds_load_b64 v[44:45], v55 offset:16680
	s_wait_dscnt 0x0
	v_dual_mul_f32 v3, v45, v43 :: v_dual_mul_f32 v97, v44, v43
	s_delay_alu instid0(VALU_DEP_1) | instskip(NEXT) | instid1(VALU_DEP_1)
	v_dual_fma_f32 v96, v44, v42, -v3 :: v_dual_fmac_f32 v97, v45, v42
	v_pk_add_f32 v[40:41], v[40:41], v[96:97]
	s_or_b32 exec_lo, exec_lo, s24
	s_and_saveexec_b32 s24, s2
	s_cbranch_execz .LBB56_626
.LBB56_1095:                            ;   in Loop: Header=BB56_3 Depth=1
	ds_load_b64 v[42:43], v69 offset:19776
	ds_load_b64 v[44:45], v55 offset:16688
	s_wait_dscnt 0x0
	v_pk_mul_f32 v[96:97], v[44:45], v[42:43] op_sel:[1,1] op_sel_hi:[0,1]
	s_delay_alu instid0(VALU_DEP_1) | instskip(SKIP_1) | instid1(VALU_DEP_2)
	v_pk_fma_f32 v[98:99], v[44:45], v[42:43], v[96:97] op_sel_hi:[1,0,1]
	v_pk_fma_f32 v[42:43], v[44:45], v[42:43], v[96:97] neg_lo:[0,0,1] neg_hi:[0,0,1]
	v_mov_b32_e32 v43, v99
	s_delay_alu instid0(VALU_DEP_1)
	v_pk_add_f32 v[40:41], v[40:41], v[42:43]
	s_or_b32 exec_lo, exec_lo, s24
	s_and_saveexec_b32 s24, s14
	s_cbranch_execnz .LBB56_627
	s_branch .LBB56_628
.LBB56_1096:                            ;   in Loop: Header=BB56_3 Depth=1
	ds_load_b64 v[42:43], v66 offset:21344
	ds_load_b64 v[44:45], v53 offset:20808
	s_wait_dscnt 0x0
	v_dual_mul_f32 v3, v45, v43 :: v_dual_mul_f32 v43, v44, v43
	s_delay_alu instid0(VALU_DEP_1) | instskip(NEXT) | instid1(VALU_DEP_1)
	v_fmac_f32_e32 v43, v45, v42
	v_dual_fma_f32 v3, v44, v42, -v3 :: v_dual_add_f32 v41, v41, v43
	s_delay_alu instid0(VALU_DEP_1)
	v_add_f32_e32 v40, v40, v3
	s_or_b32 exec_lo, exec_lo, s24
	s_and_saveexec_b32 s24, s14
	s_cbranch_execz .LBB56_684
.LBB56_1097:                            ;   in Loop: Header=BB56_3 Depth=1
	ds_load_b64 v[42:43], v65 offset:21856
	ds_load_b64 v[44:45], v53 offset:20816
	s_wait_dscnt 0x0
	v_dual_mul_f32 v3, v45, v43 :: v_dual_mul_f32 v43, v44, v43
	s_delay_alu instid0(VALU_DEP_1) | instskip(NEXT) | instid1(VALU_DEP_1)
	v_fmac_f32_e32 v43, v45, v42
	v_dual_fma_f32 v3, v44, v42, -v3 :: v_dual_add_f32 v41, v41, v43
	s_delay_alu instid0(VALU_DEP_1)
	v_add_f32_e32 v40, v40, v3
	s_or_b32 exec_lo, exec_lo, s24
	s_and_saveexec_b32 s24, s0
	s_cbranch_execnz .LBB56_685
	s_branch .LBB56_686
.LBB56_1098:                            ;   in Loop: Header=BB56_3 Depth=1
	ds_load_b64 v[42:43], v73 offset:22400
	ds_load_b64 v[44:45], v57 offset:16728
	s_wait_dscnt 0x0
	v_dual_mul_f32 v3, v45, v43 :: v_dual_mul_f32 v43, v44, v43
	s_delay_alu instid0(VALU_DEP_1) | instskip(NEXT) | instid1(VALU_DEP_1)
	v_fmac_f32_e32 v43, v45, v42
	v_dual_fma_f32 v3, v44, v42, -v3 :: v_dual_add_f32 v41, v41, v43
	s_delay_alu instid0(VALU_DEP_1)
	v_add_f32_e32 v40, v40, v3
	s_or_b32 exec_lo, exec_lo, s24
	s_and_saveexec_b32 s24, s3
	s_cbranch_execz .LBB56_746
.LBB56_1099:                            ;   in Loop: Header=BB56_3 Depth=1
	ds_load_b64 v[42:43], v72 offset:22912
	ds_load_b64 v[44:45], v57 offset:16736
	s_wait_dscnt 0x0
	v_dual_mul_f32 v3, v45, v43 :: v_dual_mul_f32 v43, v44, v43
	s_delay_alu instid0(VALU_DEP_1) | instskip(NEXT) | instid1(VALU_DEP_1)
	v_fmac_f32_e32 v43, v45, v42
	v_dual_fma_f32 v3, v44, v42, -v3 :: v_dual_add_f32 v41, v41, v43
	s_delay_alu instid0(VALU_DEP_1)
	v_add_f32_e32 v40, v40, v3
	s_or_b32 exec_lo, exec_lo, s24
	s_and_saveexec_b32 s24, s16
	s_cbranch_execz .LBB56_747
.LBB56_1100:                            ;   in Loop: Header=BB56_3 Depth=1
	ds_load_b64 v[42:43], v73 offset:23424
	ds_load_b64 v[44:45], v57 offset:16744
	s_wait_dscnt 0x0
	v_dual_mul_f32 v3, v45, v43 :: v_dual_mul_f32 v43, v44, v43
	s_delay_alu instid0(VALU_DEP_1) | instskip(NEXT) | instid1(VALU_DEP_1)
	v_fmac_f32_e32 v43, v45, v42
	v_dual_fma_f32 v3, v44, v42, -v3 :: v_dual_add_f32 v41, v41, v43
	s_delay_alu instid0(VALU_DEP_1)
	v_add_f32_e32 v40, v40, v3
	s_or_b32 exec_lo, exec_lo, s24
	s_and_saveexec_b32 s24, s18
	s_cbranch_execz .LBB56_748
.LBB56_1101:                            ;   in Loop: Header=BB56_3 Depth=1
	ds_load_b64 v[42:43], v72 offset:23936
	ds_load_b64 v[44:45], v57 offset:16752
	s_wait_dscnt 0x0
	v_dual_mul_f32 v3, v45, v43 :: v_dual_mul_f32 v43, v44, v43
	s_delay_alu instid0(VALU_DEP_1) | instskip(NEXT) | instid1(VALU_DEP_1)
	v_fmac_f32_e32 v43, v45, v42
	v_dual_fma_f32 v3, v44, v42, -v3 :: v_dual_add_f32 v41, v41, v43
	s_delay_alu instid0(VALU_DEP_1)
	v_add_f32_e32 v40, v40, v3
	s_or_b32 exec_lo, exec_lo, s24
	s_and_saveexec_b32 s24, s2
	s_cbranch_execnz .LBB56_749
	s_branch .LBB56_750
.LBB56_1102:                            ;   in Loop: Header=BB56_3 Depth=1
	ds_load_b64 v[42:43], v66 offset:25504
	ds_load_b64 v[44:45], v53 offset:24968
	s_wait_dscnt 0x0
	v_dual_mul_f32 v3, v45, v43 :: v_dual_mul_f32 v43, v44, v43
	s_delay_alu instid0(VALU_DEP_1) | instskip(NEXT) | instid1(VALU_DEP_1)
	v_fmac_f32_e32 v43, v45, v42
	v_dual_fma_f32 v3, v44, v42, -v3 :: v_dual_add_f32 v41, v41, v43
	s_delay_alu instid0(VALU_DEP_1)
	v_add_f32_e32 v40, v40, v3
	s_or_b32 exec_lo, exec_lo, s24
	s_and_saveexec_b32 s24, s14
	s_cbranch_execz .LBB56_838
.LBB56_1103:                            ;   in Loop: Header=BB56_3 Depth=1
	ds_load_b64 v[42:43], v65 offset:26016
	ds_load_b64 v[44:45], v53 offset:24976
	s_wait_dscnt 0x0
	v_dual_mul_f32 v3, v45, v43 :: v_dual_mul_f32 v43, v44, v43
	s_delay_alu instid0(VALU_DEP_1) | instskip(NEXT) | instid1(VALU_DEP_1)
	v_fmac_f32_e32 v43, v45, v42
	v_dual_fma_f32 v3, v44, v42, -v3 :: v_dual_add_f32 v41, v41, v43
	s_delay_alu instid0(VALU_DEP_1)
	v_add_f32_e32 v40, v40, v3
	s_or_b32 exec_lo, exec_lo, s24
	s_and_saveexec_b32 s24, s0
	s_cbranch_execnz .LBB56_839
	s_branch .LBB56_840
.LBB56_1104:                            ;   in Loop: Header=BB56_3 Depth=1
	ds_load_b64 v[42:43], v70 offset:25536
	ds_load_b64 v[44:45], v55 offset:24968
	s_wait_dscnt 0x0
	v_dual_mul_f32 v3, v45, v43 :: v_dual_mul_f32 v43, v44, v43
	s_delay_alu instid0(VALU_DEP_1) | instskip(NEXT) | instid1(VALU_DEP_1)
	v_fmac_f32_e32 v43, v45, v42
	v_dual_fma_f32 v3, v44, v42, -v3 :: v_dual_add_f32 v41, v41, v43
	s_delay_alu instid0(VALU_DEP_1)
	v_add_f32_e32 v40, v40, v3
	s_or_b32 exec_lo, exec_lo, s24
	s_and_saveexec_b32 s24, s16
	s_cbranch_execz .LBB56_880
.LBB56_1105:                            ;   in Loop: Header=BB56_3 Depth=1
	ds_load_b64 v[42:43], v70 offset:26048
	ds_load_b64 v[44:45], v55 offset:24976
	s_wait_dscnt 0x0
	v_dual_mul_f32 v3, v45, v43 :: v_dual_mul_f32 v43, v44, v43
	s_delay_alu instid0(VALU_DEP_1) | instskip(NEXT) | instid1(VALU_DEP_1)
	v_fmac_f32_e32 v43, v45, v42
	v_dual_fma_f32 v3, v44, v42, -v3 :: v_dual_add_f32 v41, v41, v43
	s_delay_alu instid0(VALU_DEP_1)
	v_add_f32_e32 v40, v40, v3
	s_or_b32 exec_lo, exec_lo, s24
	s_and_saveexec_b32 s24, s17
	s_cbranch_execz .LBB56_881
.LBB56_1106:                            ;   in Loop: Header=BB56_3 Depth=1
	ds_load_b64 v[42:43], v70 offset:26560
	ds_load_b64 v[44:45], v55 offset:24984
	s_wait_dscnt 0x0
	v_dual_mul_f32 v3, v45, v43 :: v_dual_mul_f32 v43, v44, v43
	s_delay_alu instid0(VALU_DEP_1) | instskip(NEXT) | instid1(VALU_DEP_1)
	v_fmac_f32_e32 v43, v45, v42
	v_dual_fma_f32 v3, v44, v42, -v3 :: v_dual_add_f32 v41, v41, v43
	s_delay_alu instid0(VALU_DEP_1)
	v_add_f32_e32 v40, v40, v3
	s_or_b32 exec_lo, exec_lo, s24
	s_and_saveexec_b32 s24, s18
	s_cbranch_execz .LBB56_882
.LBB56_1107:                            ;   in Loop: Header=BB56_3 Depth=1
	ds_load_b64 v[42:43], v69 offset:27072
	ds_load_b64 v[44:45], v55 offset:24992
	s_wait_dscnt 0x0
	v_dual_mul_f32 v3, v45, v43 :: v_dual_mul_f32 v43, v44, v43
	s_delay_alu instid0(VALU_DEP_1) | instskip(NEXT) | instid1(VALU_DEP_1)
	v_fmac_f32_e32 v43, v45, v42
	v_dual_fma_f32 v3, v44, v42, -v3 :: v_dual_add_f32 v41, v41, v43
	s_delay_alu instid0(VALU_DEP_1)
	v_add_f32_e32 v40, v40, v3
	s_or_b32 exec_lo, exec_lo, s24
	s_and_saveexec_b32 s24, s19
	s_cbranch_execz .LBB56_883
.LBB56_1108:                            ;   in Loop: Header=BB56_3 Depth=1
	ds_load_b64 v[42:43], v70 offset:27584
	ds_load_b64 v[44:45], v55 offset:25000
	s_wait_dscnt 0x0
	v_dual_mul_f32 v3, v45, v43 :: v_dual_mul_f32 v97, v44, v43
	s_delay_alu instid0(VALU_DEP_1) | instskip(NEXT) | instid1(VALU_DEP_1)
	v_dual_fma_f32 v96, v44, v42, -v3 :: v_dual_fmac_f32 v97, v45, v42
	v_pk_add_f32 v[40:41], v[40:41], v[96:97]
	s_or_b32 exec_lo, exec_lo, s24
	s_and_saveexec_b32 s24, s2
	s_cbranch_execz .LBB56_884
.LBB56_1109:                            ;   in Loop: Header=BB56_3 Depth=1
	ds_load_b64 v[42:43], v69 offset:28096
	ds_load_b64 v[44:45], v55 offset:25008
	s_wait_dscnt 0x0
	v_pk_mul_f32 v[96:97], v[44:45], v[42:43] op_sel:[1,1] op_sel_hi:[0,1]
	s_delay_alu instid0(VALU_DEP_1) | instskip(SKIP_1) | instid1(VALU_DEP_2)
	v_pk_fma_f32 v[98:99], v[44:45], v[42:43], v[96:97] op_sel_hi:[1,0,1]
	v_pk_fma_f32 v[42:43], v[44:45], v[42:43], v[96:97] neg_lo:[0,0,1] neg_hi:[0,0,1]
	v_mov_b32_e32 v43, v99
	s_delay_alu instid0(VALU_DEP_1)
	v_pk_add_f32 v[40:41], v[40:41], v[42:43]
	s_or_b32 exec_lo, exec_lo, s24
	s_and_saveexec_b32 s24, s14
	s_cbranch_execnz .LBB56_885
	s_branch .LBB56_886
.LBB56_1110:                            ;   in Loop: Header=BB56_3 Depth=1
	ds_load_b64 v[42:43], v66 offset:29664
	ds_load_b64 v[44:45], v53 offset:29128
	s_wait_dscnt 0x0
	v_dual_mul_f32 v3, v45, v43 :: v_dual_mul_f32 v43, v44, v43
	s_delay_alu instid0(VALU_DEP_1) | instskip(NEXT) | instid1(VALU_DEP_1)
	v_fmac_f32_e32 v43, v45, v42
	v_dual_fma_f32 v3, v44, v42, -v3 :: v_dual_add_f32 v41, v41, v43
	s_delay_alu instid0(VALU_DEP_1)
	v_add_f32_e32 v40, v40, v3
	s_or_b32 exec_lo, exec_lo, s24
	s_and_saveexec_b32 s24, s14
	s_cbranch_execz .LBB56_942
.LBB56_1111:                            ;   in Loop: Header=BB56_3 Depth=1
	ds_load_b64 v[42:43], v65 offset:30176
	ds_load_b64 v[44:45], v53 offset:29136
	s_wait_dscnt 0x0
	v_dual_mul_f32 v3, v45, v43 :: v_dual_mul_f32 v43, v44, v43
	s_delay_alu instid0(VALU_DEP_1) | instskip(NEXT) | instid1(VALU_DEP_1)
	v_fmac_f32_e32 v43, v45, v42
	v_dual_fma_f32 v3, v44, v42, -v3 :: v_dual_add_f32 v41, v41, v43
	s_delay_alu instid0(VALU_DEP_1)
	v_add_f32_e32 v40, v40, v3
	s_or_b32 exec_lo, exec_lo, s24
	s_and_saveexec_b32 s24, s0
	s_cbranch_execnz .LBB56_943
	s_branch .LBB56_944
.LBB56_1112:
	s_endpgm
	.section	.rodata,"a",@progbits
	.p2align	6, 0x0
	.amdhsa_kernel _ZL19rocblas_trsv_deviceILi64ELi16ELb1ELb1ELb0ELb1E19rocblas_complex_numIfEPKS1_S3_PS1_EviT7_lllT6_T8_lllPii
		.amdhsa_group_segment_fixed_size 41480
		.amdhsa_private_segment_fixed_size 48
		.amdhsa_kernarg_size 352
		.amdhsa_user_sgpr_count 2
		.amdhsa_user_sgpr_dispatch_ptr 0
		.amdhsa_user_sgpr_queue_ptr 0
		.amdhsa_user_sgpr_kernarg_segment_ptr 1
		.amdhsa_user_sgpr_dispatch_id 0
		.amdhsa_user_sgpr_kernarg_preload_length 0
		.amdhsa_user_sgpr_kernarg_preload_offset 0
		.amdhsa_user_sgpr_private_segment_size 0
		.amdhsa_wavefront_size32 1
		.amdhsa_uses_dynamic_stack 0
		.amdhsa_enable_private_segment 1
		.amdhsa_system_sgpr_workgroup_id_x 1
		.amdhsa_system_sgpr_workgroup_id_y 0
		.amdhsa_system_sgpr_workgroup_id_z 1
		.amdhsa_system_sgpr_workgroup_info 0
		.amdhsa_system_vgpr_workitem_id 1
		.amdhsa_next_free_vgpr 106
		.amdhsa_next_free_sgpr 105
		.amdhsa_named_barrier_count 0
		.amdhsa_reserve_vcc 1
		.amdhsa_float_round_mode_32 0
		.amdhsa_float_round_mode_16_64 0
		.amdhsa_float_denorm_mode_32 3
		.amdhsa_float_denorm_mode_16_64 3
		.amdhsa_fp16_overflow 0
		.amdhsa_memory_ordered 1
		.amdhsa_forward_progress 1
		.amdhsa_inst_pref_size 255
		.amdhsa_round_robin_scheduling 0
		.amdhsa_exception_fp_ieee_invalid_op 0
		.amdhsa_exception_fp_denorm_src 0
		.amdhsa_exception_fp_ieee_div_zero 0
		.amdhsa_exception_fp_ieee_overflow 0
		.amdhsa_exception_fp_ieee_underflow 0
		.amdhsa_exception_fp_ieee_inexact 0
		.amdhsa_exception_int_div_zero 0
	.end_amdhsa_kernel
	.section	.text._ZL19rocblas_trsv_deviceILi64ELi16ELb1ELb1ELb0ELb1E19rocblas_complex_numIfEPKS1_S3_PS1_EviT7_lllT6_T8_lllPii,"axG",@progbits,_ZL19rocblas_trsv_deviceILi64ELi16ELb1ELb1ELb0ELb1E19rocblas_complex_numIfEPKS1_S3_PS1_EviT7_lllT6_T8_lllPii,comdat
.Lfunc_end56:
	.size	_ZL19rocblas_trsv_deviceILi64ELi16ELb1ELb1ELb0ELb1E19rocblas_complex_numIfEPKS1_S3_PS1_EviT7_lllT6_T8_lllPii, .Lfunc_end56-_ZL19rocblas_trsv_deviceILi64ELi16ELb1ELb1ELb0ELb1E19rocblas_complex_numIfEPKS1_S3_PS1_EviT7_lllT6_T8_lllPii
                                        ; -- End function
	.set _ZL19rocblas_trsv_deviceILi64ELi16ELb1ELb1ELb0ELb1E19rocblas_complex_numIfEPKS1_S3_PS1_EviT7_lllT6_T8_lllPii.num_vgpr, 106
	.set _ZL19rocblas_trsv_deviceILi64ELi16ELb1ELb1ELb0ELb1E19rocblas_complex_numIfEPKS1_S3_PS1_EviT7_lllT6_T8_lllPii.num_agpr, 0
	.set _ZL19rocblas_trsv_deviceILi64ELi16ELb1ELb1ELb0ELb1E19rocblas_complex_numIfEPKS1_S3_PS1_EviT7_lllT6_T8_lllPii.numbered_sgpr, 105
	.set _ZL19rocblas_trsv_deviceILi64ELi16ELb1ELb1ELb0ELb1E19rocblas_complex_numIfEPKS1_S3_PS1_EviT7_lllT6_T8_lllPii.num_named_barrier, 0
	.set _ZL19rocblas_trsv_deviceILi64ELi16ELb1ELb1ELb0ELb1E19rocblas_complex_numIfEPKS1_S3_PS1_EviT7_lllT6_T8_lllPii.private_seg_size, 48
	.set _ZL19rocblas_trsv_deviceILi64ELi16ELb1ELb1ELb0ELb1E19rocblas_complex_numIfEPKS1_S3_PS1_EviT7_lllT6_T8_lllPii.uses_vcc, 1
	.set _ZL19rocblas_trsv_deviceILi64ELi16ELb1ELb1ELb0ELb1E19rocblas_complex_numIfEPKS1_S3_PS1_EviT7_lllT6_T8_lllPii.uses_flat_scratch, 0
	.set _ZL19rocblas_trsv_deviceILi64ELi16ELb1ELb1ELb0ELb1E19rocblas_complex_numIfEPKS1_S3_PS1_EviT7_lllT6_T8_lllPii.has_dyn_sized_stack, 0
	.set _ZL19rocblas_trsv_deviceILi64ELi16ELb1ELb1ELb0ELb1E19rocblas_complex_numIfEPKS1_S3_PS1_EviT7_lllT6_T8_lllPii.has_recursion, 0
	.set _ZL19rocblas_trsv_deviceILi64ELi16ELb1ELb1ELb0ELb1E19rocblas_complex_numIfEPKS1_S3_PS1_EviT7_lllT6_T8_lllPii.has_indirect_call, 0
	.section	.AMDGPU.csdata,"",@progbits
; Kernel info:
; codeLenInByte = 40588
; TotalNumSgprs: 107
; NumVgprs: 106
; ScratchSize: 48
; MemoryBound: 0
; FloatMode: 240
; IeeeMode: 1
; LDSByteSize: 41480 bytes/workgroup (compile time only)
; SGPRBlocks: 0
; VGPRBlocks: 6
; NumSGPRsForWavesPerEU: 107
; NumVGPRsForWavesPerEU: 106
; NamedBarCnt: 0
; Occupancy: 9
; WaveLimiterHint : 0
; COMPUTE_PGM_RSRC2:SCRATCH_EN: 1
; COMPUTE_PGM_RSRC2:USER_SGPR: 2
; COMPUTE_PGM_RSRC2:TRAP_HANDLER: 0
; COMPUTE_PGM_RSRC2:TGID_X_EN: 1
; COMPUTE_PGM_RSRC2:TGID_Y_EN: 0
; COMPUTE_PGM_RSRC2:TGID_Z_EN: 1
; COMPUTE_PGM_RSRC2:TIDIG_COMP_CNT: 1
	.section	.text._ZL19rocblas_trsv_deviceILi64ELi16ELb1ELb1ELb1ELb1E19rocblas_complex_numIfEPKS1_S3_PS1_EviT7_lllT6_T8_lllPii,"axG",@progbits,_ZL19rocblas_trsv_deviceILi64ELi16ELb1ELb1ELb1ELb1E19rocblas_complex_numIfEPKS1_S3_PS1_EviT7_lllT6_T8_lllPii,comdat
	.globl	_ZL19rocblas_trsv_deviceILi64ELi16ELb1ELb1ELb1ELb1E19rocblas_complex_numIfEPKS1_S3_PS1_EviT7_lllT6_T8_lllPii ; -- Begin function _ZL19rocblas_trsv_deviceILi64ELi16ELb1ELb1ELb1ELb1E19rocblas_complex_numIfEPKS1_S3_PS1_EviT7_lllT6_T8_lllPii
	.p2align	8
	.type	_ZL19rocblas_trsv_deviceILi64ELi16ELb1ELb1ELb1ELb1E19rocblas_complex_numIfEPKS1_S3_PS1_EviT7_lllT6_T8_lllPii,@function
_ZL19rocblas_trsv_deviceILi64ELi16ELb1ELb1ELb1ELb1E19rocblas_complex_numIfEPKS1_S3_PS1_EviT7_lllT6_T8_lllPii: ; @_ZL19rocblas_trsv_deviceILi64ELi16ELb1ELb1ELb1ELb1E19rocblas_complex_numIfEPKS1_S3_PS1_EviT7_lllT6_T8_lllPii
; %bb.0:
	s_load_b32 s86, s[0:1], 0x58
	s_bfe_u32 s2, ttmp6, 0x40014
	s_lshr_b32 s3, ttmp7, 16
	s_add_co_i32 s2, s2, 1
	s_bfe_u32 s5, ttmp6, 0x40008
	s_mul_i32 s4, s3, s2
	s_getreg_b32 s2, hwreg(HW_REG_IB_STS2, 6, 4)
	s_add_co_i32 s5, s5, s4
	s_cmp_eq_u32 s2, 0
	s_mov_b32 s77, 0
	s_cselect_b32 s76, s3, s5
	s_wait_kmcnt 0x0
	s_cmp_ge_u32 s76, s86
	s_cbranch_scc1 .LBB57_1126
; %bb.1:
	s_clause 0x3
	s_load_b512 s[56:71], s[0:1], 0x8
	s_load_b32 s3, s[0:1], 0x6c
	s_load_b32 s88, s[0:1], 0x60
	;; [unrolled: 1-line block ×3, first 2 shown]
	s_bfe_u32 s5, ttmp6, 0x4000c
	s_and_b32 s4, ttmp6, 15
	s_add_co_i32 s5, s5, 1
	s_load_b128 s[72:75], s[0:1], 0x48
	s_mul_i32 s5, ttmp9, s5
	v_and_b32_e32 v4, 0x3ff, v0
	s_add_co_i32 s4, s4, s5
	v_bfe_u32 v2, v0, 10, 10
	v_mov_b32_e32 v7, 0
                                        ; implicit-def: $vgpr106 : SGPR spill to VGPR lane
	v_and_b32_e32 v21, 7, v0
	v_lshlrev_b32_e32 v1, 6, v4
	s_delay_alu instid0(VALU_DEP_4) | instskip(NEXT) | instid1(VALU_DEP_4)
	v_dual_add_nc_u32 v22, 48, v2 :: v_dual_bitop2_b32 v23, 15, v0 bitop3:0x40
	v_dual_mov_b32 v9, v7 :: v_dual_add_nc_u32 v6, 16, v2
	v_lshl_add_u32 v29, v2, 6, v4
	s_wait_kmcnt 0x0
	s_lshl_b64 s[12:13], s[58:59], 3
	s_lshl_b64 s[14:15], s[68:69], 3
	s_cmp_eq_u32 s2, 0
	v_lshl_add_u32 v10, v6, 6, v4
	s_cselect_b32 s87, ttmp9, s4
	s_add_co_i32 s1, s78, -1
	s_ashr_i32 s79, s78, 31
	s_ashr_i32 s2, s1, 31
	s_and_b32 s0, s3, 0xffff
	s_lshr_b32 s3, s79, 26
	s_lshr_b32 s2, s2, 26
	s_add_co_i32 s3, s78, s3
	s_add_co_i32 s88, s88, -1
	s_add_co_i32 s1, s1, s2
	s_and_not1_b32 s3, s3, 63
	s_sub_co_i32 s9, s88, s87
	s_ashr_i32 s1, s1, 6
	s_sub_co_i32 s18, s78, s3
	s_cmp_eq_u32 s1, s9
	v_mad_u32_u24 v8, v2, s0, v4
	s_cselect_b32 s1, -1, 0
	s_cmp_lg_u32 s18, 0
	v_cmp_gt_u32_e64 s3, 2, v4
	s_cselect_b32 s2, -1, 0
	v_add_nc_u32_e32 v20, 32, v2
	s_and_b32 s19, s2, s1
	v_and_b32_e32 v14, 1, v0
	s_xor_b32 s89, s19, -1
	s_cmp_lg_u32 s87, 0
	v_cmp_ne_u32_e64 s7, 0, v21
	s_cselect_b32 s0, -1, 0
	s_lshl_b32 s16, s9, 6
	s_delay_alu instid0(SALU_CYCLE_1)
	v_dual_add_nc_u32 v3, v2, v1 :: v_dual_add_nc_u32 v16, s16, v4
	s_cmp_lt_i32 s87, 5
	v_add_nc_u32_e32 v18, s16, v2
	s_cselect_b32 vcc_lo, -1, 0
	s_delay_alu instid0(VALU_DEP_2) | instid1(SALU_CYCLE_1)
	v_dual_add_nc_u32 v5, v6, v1 :: v_dual_cndmask_b32 v3, v29, v3, vcc_lo
	v_writelane_b32 v106, s0, 0
	s_add_nc_u64 s[0:1], s[60:61], 1
	s_ashr_i32 s17, s16, 31
	v_cmp_eq_u32_e64 s2, 1, v14
	s_or_b32 vcc_lo, vcc_lo, s19
	s_mul_u64 s[10:11], s[0:1], s[16:17]
	v_dual_cndmask_b32 v19, v10, v5, vcc_lo :: v_dual_bitop2_b32 v15, 3, v0 bitop3:0x40
	v_cmp_gt_u32_e64 s0, 4, v29
	s_xor_b32 s4, s2, -1
	v_cmp_eq_u32_e64 s1, 0, v2
	v_cmp_ne_u32_e64 s8, 0, v23
	v_cmp_eq_u32_e64 s5, 1, v15
	s_and_b32 s92, s4, s0
	s_and_b32 s93, s2, s0
	v_cmp_gt_u32_e64 s2, 16, v29
	v_cmp_eq_u32_e64 s4, 0, v15
	s_and_b32 s94, s1, s3
	v_cmp_ne_u32_e64 s3, 0, v15
	v_cmp_lt_u32_e64 s6, 1, v15
	s_and_b32 s97, s5, s2
	s_and_b32 s95, s4, s2
	v_cmp_eq_u32_e64 s4, 2, v15
	s_and_b32 s96, s3, s2
	v_cmp_gt_u32_e64 s3, 64, v29
	s_and_b32 s98, s6, s2
	v_cmp_gt_u32_e64 s5, 4, v4
	s_and_b32 s99, s4, s2
	v_cmp_eq_u32_e64 s4, 3, v15
	v_cmp_eq_u32_e64 s6, 0, v21
	s_and_b32 s103, s7, s3
	s_and_b32 s101, s1, s5
	v_cmp_lt_u32_e64 s5, 1, v21
	s_and_b32 s100, s4, s2
	v_cmp_eq_u32_e64 s4, 1, v21
	s_and_b32 s102, s6, s3
	v_cmp_lt_u32_e64 s6, 2, v21
	v_cmp_eq_u32_e64 s7, 3, v21
	s_and_b32 vcc_hi, s5, s3
	s_and_b32 s104, s4, s3
	v_cmp_eq_u32_e64 s4, 2, v21
	v_cmp_lt_u32_e64 s5, 3, v21
	s_and_b32 s39, s6, s3
	s_and_b32 s40, s7, s3
	v_cmp_eq_u32_e64 s6, 5, v21
	s_and_b32 s38, s4, s3
	v_cmp_eq_u32_e64 s4, 4, v21
	v_cmp_lt_u32_e64 s7, 5, v21
	s_and_b32 s41, s5, s3
	v_cmp_lt_u32_e64 s5, 4, v21
	s_and_b32 s44, s6, s3
	s_and_b32 s42, s4, s3
	v_cmp_eq_u32_e64 s4, 6, v21
	s_and_b32 s45, s7, s3
	v_cmp_gt_u32_e64 s6, 8, v4
	v_cmp_eq_u32_e64 s7, 0, v23
	s_and_b32 s43, s5, s3
	s_and_b32 s46, s4, s3
	v_cmp_gt_u32_e64 s4, 0x100, v29
	v_cmp_eq_u32_e64 s5, 7, v21
	s_and_b32 s48, s1, s6
	v_add_nc_u64_e32 v[12:13], s[16:17], v[8:9]
	v_dual_add_nc_u32 v5, v20, v1 :: v_dual_add_nc_u32 v1, v22, v1
	s_and_b32 s6, s7, s4
	s_and_b32 s47, s5, s3
	v_writelane_b32 v106, s6, 1
	v_cmp_eq_u32_e64 s5, 1, v23
	s_and_b32 s6, s8, s4
	v_cmp_lt_u32_e64 s7, 2, v23
	v_cmp_eq_u32_e64 s8, 3, v23
	v_writelane_b32 v106, s6, 2
	v_cmp_lt_u32_e64 s6, 1, v23
	s_and_b32 s5, s5, s4
	v_lshl_add_u32 v9, v20, 6, v4
	v_lshl_add_u32 v10, v22, 6, v4
	v_writelane_b32 v106, s5, 3
	v_cmp_eq_u32_e64 s5, 2, v23
	s_and_b32 s6, s6, s4
	s_xor_b32 s91, vcc_lo, -1
	v_dual_cndmask_b32 v24, v9, v5 :: v_dual_lshlrev_b32 v5, 3, v4
	v_writelane_b32 v106, s6, 4
	s_and_b32 s5, s5, s4
	v_cmp_lt_u32_e64 s6, 3, v23
	v_dual_cndmask_b32 v25, v10, v1 :: v_dual_add_nc_u32 v10, 64, v18
	v_writelane_b32 v106, s5, 5
	s_and_b32 s5, s7, s4
	s_and_b32 s6, s6, s4
	v_cmp_eq_u32_e64 s7, 5, v23
	v_cmp_eq_u32_e32 vcc_lo, 14, v23
	v_writelane_b32 v106, s5, 6
	s_and_b32 s5, s8, s4
	v_cmp_lt_u32_e64 s8, 5, v23
	v_dual_lshrrev_b32 v1, 1, v29 :: v_dual_lshrrev_b32 v26, 2, v29
	v_writelane_b32 v106, s5, 7
	v_cmp_eq_u32_e64 s5, 4, v23
	s_and_b32 s52, vcc_lo, s4
	v_cmp_gt_u32_e32 vcc_lo, 32, v4
	v_mul_u32_u24_e32 v11, 0x1f8, v4
	v_writelane_b32 v106, s6, 8
	v_cmp_lt_u32_e64 s6, 4, v23
	s_and_b32 s5, s5, s4
	v_mul_i32_i24_e32 v17, 0xfffffe08, v4
	v_dual_lshrrev_b32 v27, 10, v0 :: v_dual_lshlrev_b32 v28, 3, v26
	v_writelane_b32 v106, s5, 9
	s_and_b32 s6, s6, s4
	v_cmp_eq_u32_e64 s5, 6, v23
	v_mul_u32_u24_e32 v55, 0x208, v26
	v_dual_lshrrev_b32 v30, 3, v29 :: v_dual_lshrrev_b32 v31, 4, v29
	v_writelane_b32 v106, s6, 10
	s_and_b32 s6, s7, s4
	s_and_b32 s5, s5, s4
	v_cmp_lt_u32_e64 s7, 7, v23
	v_add_nc_u32_e32 v38, 0x50, v18
	v_writelane_b32 v106, s6, 11
	s_and_b32 s6, s8, s4
	v_cmp_eq_u32_e64 s8, 8, v23
	s_and_b32 s34, s7, s4
	v_cmp_eq_u32_e64 s7, 10, v23
	v_writelane_b32 v106, s6, 12
	v_cmp_lt_u32_e64 s6, 6, v23
	s_and_b32 s35, s8, s4
	v_cmp_lt_u32_e64 s8, 10, v23
	s_and_b32 s22, s7, s4
	v_writelane_b32 v106, s5, 13
	s_and_b32 s27, s6, s4
	v_cmp_lt_u32_e64 s6, 8, v23
	v_cmp_eq_u32_e64 s5, 7, v23
	v_cmp_lt_u32_e64 s7, 12, v23
	s_and_b32 s24, s8, s4
	v_cmp_eq_u32_e64 s8, 13, v23
	s_and_b32 s36, s6, s4
	v_cmp_lt_u32_e64 s6, 9, v23
	s_and_b32 s29, s5, s4
	v_cmp_eq_u32_e64 s5, 9, v23
	s_and_b32 s49, s7, s4
	v_cmp_gt_u32_e64 s7, 16, v4
	s_and_b32 s20, s6, s4
	v_cmp_lt_u32_e64 s6, 11, v23
	s_and_b32 s37, s5, s4
	v_cmp_eq_u32_e64 s5, 11, v23
	s_and_b32 s55, s1, s7
	s_and_b32 s7, s1, vcc_lo
	s_and_b32 s28, s6, s4
	v_cmp_lt_u32_e64 s6, 13, v23
	s_and_b32 s26, s5, s4
	v_cmp_eq_u32_e64 s5, 12, v23
	v_cmp_le_i32_e32 vcc_lo, s18, v2
	s_and_b32 s50, s8, s4
	s_and_b32 s51, s6, s4
	v_cmp_le_i32_e64 s6, s18, v4
	s_and_b32 s90, s5, s4
	v_cmp_eq_u32_e64 s5, 15, v23
	v_writelane_b32 v106, s7, 14
	v_add_lshl_u32 v39, v11, v17, 2
	s_and_b32 s54, s6, s19
	v_dual_lshlrev_b32 v14, 3, v14 :: v_dual_ashrrev_i32 v17, 31, v16
	s_and_b32 s53, s5, s4
	s_xor_b32 s5, s54, -1
	v_dual_lshlrev_b32 v62, 3, v15 :: v_dual_lshlrev_b32 v66, 3, v21
	s_and_b32 s58, s1, s5
	s_cmp_gt_i32 s87, 0
	v_lshl_add_u32 v53, v1, 3, 0x8000
	s_cselect_b32 s59, -1, 0
	s_or_b32 s7, vcc_lo, s6
	v_cmp_le_i32_e32 vcc_lo, s18, v6
	v_dual_sub_nc_u32 v32, v55, v28 :: v_dual_bitop2_b32 v33, -8, v29 bitop3:0x40
	v_dual_lshlrev_b32 v34, 3, v31 :: v_dual_lshrrev_b32 v35, 5, v29
	s_or_b32 s8, vcc_lo, s6
	v_cmp_le_i32_e32 vcc_lo, s18, v20
	v_bitop3_b32 v40, v0, v27, 0x3ff bitop3:0xa8
	v_lshl_or_b32 v63, v1, 9, v14
	v_mul_u32_u24_e32 v64, 0x208, v1
	v_lshl_or_b32 v67, v26, 9, v62
	s_or_b32 s16, vcc_lo, s6
	v_cmp_le_i32_e32 vcc_lo, s18, v22
	v_dual_lshlrev_b32 v77, 9, v35 :: v_dual_bitop2_b32 v76, 31, v0 bitop3:0x40
	v_mul_u64_e32 v[0:1], s[70:71], v[12:13]
	v_mul_u64_e32 v[12:13], s[60:61], v[16:17]
	s_or_b32 s17, vcc_lo, s6
	v_cmp_gt_i32_e32 vcc_lo, s18, v4
	v_mul_u64_e32 v[14:15], s[70:71], v[16:17]
	v_dual_lshlrev_b32 v26, 3, v2 :: v_dual_lshlrev_b32 v80, 3, v3
	v_mov_b32_e32 v3, v7
	s_and_b32 s5, s1, vcc_lo
	v_cmp_gt_i32_e32 vcc_lo, s78, v10
	v_writelane_b32 v106, s5, 15
	v_cmp_gt_i32_e64 s5, s78, v16
	v_add_nc_u32_e32 v16, 0x60, v18
	v_dual_add_nc_u32 v68, v32, v62 :: v_dual_lshlrev_b32 v69, 3, v23
	v_add_nc_u32_e32 v18, 0x70, v18
	s_and_b32 s6, vcc_lo, s5
	v_cmp_gt_i32_e32 vcc_lo, s78, v38
	v_writelane_b32 v106, s6, 16
	v_mov_b32_e32 v23, v7
	s_add_nc_u64 s[68:69], s[56:57], s[12:13]
	s_add_co_i32 s57, s9, 1
	s_and_b32 s6, vcc_lo, s5
	v_cmp_gt_i32_e32 vcc_lo, s78, v16
	v_writelane_b32 v106, s6, 17
	v_cmp_gt_u32_e64 s19, 0xf0, v29
                                        ; implicit-def: $vgpr97 : SGPR spill to VGPR lane
	v_mul_u32_u24_e32 v57, 0x208, v30
	v_mul_u32_u24_e32 v59, 0x208, v31
	s_and_b32 s6, vcc_lo, s5
	v_cmp_gt_i32_e32 vcc_lo, s78, v18
	v_writelane_b32 v106, s6, 18
	v_lshl_or_b32 v74, v31, 9, v69
	v_dual_sub_nc_u32 v36, v57, v33 :: v_dual_bitop2_b32 v31, v6, v4 bitop3:0x54
	v_sub_nc_u32_e32 v37, v59, v34
	s_and_b32 s6, vcc_lo, s5
	v_dual_mov_b32 v21, v7 :: v_dual_add_nc_u32 v70, 0x8000, v33
	v_writelane_b32 v106, s6, 19
	v_cmp_le_u32_e64 s6, v4, v2
	v_mul_u64_e32 v[16:17], s[60:61], v[6:7]
	v_dual_lshlrev_b32 v61, 3, v35 :: v_dual_bitop2_b32 v33, v20, v4 bitop3:0x54
	v_ashrrev_i32_e32 v11, 31, v10
	s_or_b32 s7, s7, s6
	v_or_b32_e32 v84, 0xa000, v26
	v_writelane_b32 v106, s7, 20
	v_cmp_le_u32_e64 s7, v4, v6
	v_dual_lshlrev_b32 v6, 3, v4 :: v_dual_bitop2_b32 v35, v22, v4 bitop3:0x54
	s_delay_alu instid0(VALU_DEP_4)
	v_add_nc_u32_e32 v94, v84, v5
	v_mad_u32_u24 v9, 0x1f8, v4, v5
	s_or_b32 s8, s8, s7
	v_dual_lshlrev_b32 v81, 3, v19 :: v_dual_lshlrev_b32 v82, 3, v24
	v_writelane_b32 v106, s8, 21
	v_cmp_le_u32_e64 s8, v4, v20
	v_mad_i32_i24 v47, 0xfffffe08, v4, v9
	v_mul_u64_e32 v[18:19], s[60:61], v[20:21]
	v_mul_u64_e32 v[20:21], s[60:61], v[22:23]
	v_lshlrev_b32_e32 v87, 3, v76
	s_or_b32 s9, s16, s8
	v_mad_u32_u24 v48, 0x1f8, v4, v47
	v_writelane_b32 v106, s9, 22
	v_cmp_le_u32_e64 s9, v4, v22
	v_mul_u64_e32 v[22:23], s[60:61], v[2:3]
	v_cmp_lt_u32_e32 vcc_lo, 0x3ff, v29
	v_mad_i32_i24 v49, 0xfffffe08, v4, v48
	s_add_nc_u64 s[66:67], s[66:67], s[14:15]
	s_or_b32 s12, s17, s9
	v_add_nc_u32_e32 v65, 0x8000, v28
	v_writelane_b32 v106, s12, 23
	v_mad_u32_u24 v50, 0x1f8, v4, v49
	v_lshl_or_b32 v71, v30, 9, v66
	v_dual_add_nc_u32 v72, v36, v66 :: v_dual_add_nc_u32 v75, v37, v69
	v_writelane_b32 v106, s19, 24
	v_cmp_gt_u32_e64 s19, 0xe0, v29
	v_mad_i32_i24 v51, 0xfffffe08, v4, v50
	v_add_nc_u32_e32 v73, 0x8000, v34
	v_add3_u32 v86, v5, v39, 0x7800
	s_lshl_b64 s[80:81], s[10:11], 3
	v_writelane_b32 v106, s19, 25
	v_cmp_gt_u32_e64 s19, 0xd0, v29
	v_mad_u32_u24 v52, 0x1f8, v4, v51
	v_add_nc_u32_e32 v88, 0x8000, v61
	v_or_b32_e32 v89, v77, v87
	v_lshl_add_u32 v90, v8, 3, 0xa000
	v_writelane_b32 v106, s19, 26
	v_cmp_gt_u32_e64 s19, 0xc0, v29
	v_mad_i32_i24 v54, 0xfffffe08, v4, v52
	v_lshl_add_u32 v91, v29, 3, 0x8000
	v_add_nc_u32_e32 v92, 0x8000, v5
	v_or_b32_e32 v95, 0x4100, v87
	v_writelane_b32 v106, s19, 27
	v_cmp_gt_u32_e64 s19, 0xb0, v29
	v_mad_u32_u24 v56, 0x1f8, v4, v54
	v_subrev_nc_u32_e32 v96, 63, v4
	v_cmp_eq_u32_e64 s10, 0, v40
	v_cmp_gt_u32_e64 s11, 2, v29
	v_writelane_b32 v106, s19, 28
	v_cmp_gt_u32_e64 s19, 0xa0, v29
	v_mad_i32_i24 v58, 0xfffffe08, v4, v56
	v_cmp_gt_u32_e64 s12, 12, v29
	v_cmp_gt_u32_e64 s13, 8, v29
	;; [unrolled: 1-line block ×3, first 2 shown]
	v_writelane_b32 v106, s19, 29
	v_cmp_gt_u32_e64 s19, 0x90, v29
	v_mad_u32_u24 v60, 0x1f8, v4, v58
	v_lshl_add_u32 v93, v2, 9, v58
	v_cmp_gt_u32_e64 s15, 48, v29
	v_cmp_gt_u32_e64 s16, 40, v29
	v_writelane_b32 v106, s19, 30
	v_cmp_gt_u32_e64 s19, 0x80, v29
	v_mad_i32_i24 v78, 0xfffffe08, v4, v60
	v_cmp_gt_u32_e64 s17, 32, v29
	v_cmp_gt_u32_e64 s18, 24, v29
	;; [unrolled: 1-line block ×3, first 2 shown]
	v_writelane_b32 v106, s19, 31
	v_cmp_gt_u32_e64 s19, 0x70, v29
	v_mad_u32_u24 v79, 0x1f8, v4, v78
	v_lshlrev_b32_e32 v83, 3, v25
	v_mov_b64_e32 v[24:25], 0
	v_cmp_eq_u32_e64 s31, 0, v8
	v_writelane_b32 v97, s19, 0
	v_cmp_gt_u32_e64 s19, 0x60, v29
	v_add_nc_u32_e32 v85, v79, v26
	v_mov_b64_e32 v[26:27], 0x3f800000
	v_cmp_gt_u32_e64 s33, 64, v8
	s_xor_b32 s56, vcc_lo, -1
	v_writelane_b32 v97, s19, 1
	v_cmp_gt_u32_e64 s19, 0x50, v29
                                        ; implicit-def: $vgpr28
                                        ; implicit-def: $vgpr30
                                        ; implicit-def: $vgpr32
                                        ; implicit-def: $vgpr34
	s_delay_alu instid0(VALU_DEP_1) | instskip(SKIP_1) | instid1(VALU_DEP_1)
	v_writelane_b32 v97, s19, 2
	v_cmp_gt_u32_e64 s19, 64, v40
	v_writelane_b32 v97, s19, 3
	v_cmp_gt_u32_e64 s19, 64, v31
	s_delay_alu instid0(VALU_DEP_1) | instskip(SKIP_1) | instid1(VALU_DEP_1)
	v_writelane_b32 v97, s19, 4
	v_cmp_gt_u32_e64 s19, 64, v33
	v_writelane_b32 v97, s19, 5
	v_cmp_gt_u32_e64 s19, 64, v35
	s_delay_alu instid0(VALU_DEP_1) | instskip(SKIP_1) | instid1(VALU_DEP_1)
	v_writelane_b32 v97, s19, 6
	v_cmp_gt_u32_e64 s19, 0x3e0, v29
	v_writelane_b32 v97, s19, 7
	v_cmp_gt_u32_e64 s19, 0x3c0, v29
	s_delay_alu instid0(VALU_DEP_1) | instskip(SKIP_1) | instid1(VALU_DEP_1)
	v_writelane_b32 v97, s19, 8
	v_cmp_gt_u32_e64 s19, 0x3a0, v29
	v_writelane_b32 v97, s19, 9
	v_cmp_gt_u32_e64 s19, 0x380, v29
	s_delay_alu instid0(VALU_DEP_1) | instskip(SKIP_1) | instid1(VALU_DEP_1)
	v_writelane_b32 v97, s19, 10
	v_cmp_gt_u32_e64 s19, 0x360, v29
	v_writelane_b32 v97, s19, 11
	v_cmp_gt_u32_e64 s19, 0x340, v29
	s_delay_alu instid0(VALU_DEP_1) | instskip(SKIP_1) | instid1(VALU_DEP_1)
	v_writelane_b32 v97, s19, 12
	v_cmp_gt_u32_e64 s19, 0x320, v29
	v_writelane_b32 v97, s19, 13
	v_cmp_gt_u32_e64 s19, 0x300, v29
	s_delay_alu instid0(VALU_DEP_1) | instskip(SKIP_1) | instid1(VALU_DEP_1)
	v_writelane_b32 v97, s19, 14
	v_cmp_gt_u32_e64 s19, 0x2e0, v29
	v_writelane_b32 v97, s19, 15
	v_cmp_gt_u32_e64 s19, 0x2c0, v29
	s_delay_alu instid0(VALU_DEP_1) | instskip(SKIP_1) | instid1(VALU_DEP_1)
	v_writelane_b32 v97, s19, 16
	v_cmp_gt_u32_e64 s19, 0x2a0, v29
	v_writelane_b32 v97, s19, 17
	v_cmp_gt_u32_e64 s19, 0x280, v29
	s_delay_alu instid0(VALU_DEP_1) | instskip(SKIP_1) | instid1(VALU_DEP_1)
	v_writelane_b32 v97, s19, 18
	v_cmp_gt_u32_e64 s19, 0x260, v29
	v_writelane_b32 v97, s19, 19
	v_cmp_gt_u32_e64 s19, 0x240, v29
	s_delay_alu instid0(VALU_DEP_1) | instskip(SKIP_1) | instid1(VALU_DEP_1)
	v_writelane_b32 v97, s19, 20
	v_cmp_gt_u32_e64 s19, 0x220, v29
	v_writelane_b32 v97, s19, 21
	v_cmp_gt_u32_e64 s19, 0x200, v29
	s_delay_alu instid0(VALU_DEP_1) | instskip(SKIP_1) | instid1(VALU_DEP_1)
	v_writelane_b32 v97, s19, 22
	v_cmp_gt_u32_e64 s19, 0x1e0, v29
	v_writelane_b32 v97, s19, 23
	v_cmp_gt_u32_e64 s19, 0x1c0, v29
	s_delay_alu instid0(VALU_DEP_1) | instskip(SKIP_1) | instid1(VALU_DEP_1)
	v_writelane_b32 v97, s19, 24
	v_cmp_gt_u32_e64 s19, 0x1a0, v29
	v_writelane_b32 v97, s19, 25
	v_cmp_gt_u32_e64 s19, 0x180, v29
	s_delay_alu instid0(VALU_DEP_1) | instskip(SKIP_1) | instid1(VALU_DEP_1)
	v_writelane_b32 v97, s19, 26
	v_cmp_gt_u32_e64 s19, 0x160, v29
	v_writelane_b32 v97, s19, 27
	v_cmp_gt_u32_e64 s19, 0x140, v29
	s_delay_alu instid0(VALU_DEP_1) | instskip(SKIP_1) | instid1(VALU_DEP_1)
	v_writelane_b32 v97, s19, 28
	v_cmp_gt_u32_e64 s19, 0x120, v29
	v_writelane_b32 v97, s19, 29
	s_branch .LBB57_3
.LBB57_2:                               ;   in Loop: Header=BB57_3 Depth=1
	s_wait_xcnt 0x0
	s_or_b32 exec_lo, exec_lo, s19
	s_add_co_i32 s76, s76, 0x10000
	global_wb scope:SCOPE_DEV
	s_wait_storecnt 0x0
	global_inv scope:SCOPE_DEV
	s_cmp_lt_u32 s76, s86
	s_cbranch_scc0 .LBB57_1126
.LBB57_3:                               ; =>This Loop Header: Depth=1
                                        ;     Child Loop BB57_537 Depth 2
                                        ;     Child Loop BB57_986 Depth 2
                                        ;       Child Loop BB57_988 Depth 3
                                        ;     Child Loop BB57_1032 Depth 2
	global_load_b64 v[38:39], v7, s[64:65]
	s_mul_u64 s[60:61], s[62:63], s[76:77]
	v_readlane_b32 s19, v106, 0
	s_lshl_b64 s[60:61], s[60:61], 3
	s_delay_alu instid0(SALU_CYCLE_1) | instskip(NEXT) | instid1(SALU_CYCLE_1)
	s_add_nc_u64 s[82:83], s[68:69], s[60:61]
	v_lshl_add_u64 v[36:37], v[12:13], 3, s[82:83]
	s_and_not1_b32 vcc_lo, exec_lo, s19
	s_cbranch_vccnz .LBB57_13
; %bb.4:                                ;   in Loop: Header=BB57_3 Depth=1
	s_delay_alu instid0(VALU_DEP_1)
	v_lshl_add_u64 v[40:41], v[10:11], 3, v[36:37]
	v_dual_mov_b32 v30, 0 :: v_dual_mov_b32 v28, 0
	v_mov_b32_e32 v29, 0
	s_wait_loadcnt 0x0
	s_barrier_signal -1
	s_barrier_wait -1
	s_wait_xcnt 0x0
	s_mov_b32 s19, exec_lo
	v_readlane_b32 s21, v106, 16
	s_and_b32 s21, s19, s21
	s_delay_alu instid0(SALU_CYCLE_1)
	s_mov_b32 exec_lo, s21
	s_cbranch_execz .LBB57_6
; %bb.5:                                ;   in Loop: Header=BB57_3 Depth=1
	global_load_b64 v[28:29], v[40:41], off
.LBB57_6:                               ;   in Loop: Header=BB57_3 Depth=1
	s_wait_xcnt 0x0
	s_or_b32 exec_lo, exec_lo, s19
	v_mov_b32_e32 v31, 0
	s_wait_loadcnt 0x0
	s_barrier_signal -1
	s_barrier_wait -1
	s_mov_b32 s19, exec_lo
	v_readlane_b32 s21, v106, 17
	s_and_b32 s21, s19, s21
	s_delay_alu instid0(SALU_CYCLE_1)
	s_mov_b32 exec_lo, s21
	s_cbranch_execz .LBB57_8
; %bb.7:                                ;   in Loop: Header=BB57_3 Depth=1
	global_load_b64 v[30:31], v[40:41], off offset:128
.LBB57_8:                               ;   in Loop: Header=BB57_3 Depth=1
	s_wait_xcnt 0x0
	s_or_b32 exec_lo, exec_lo, s19
	v_dual_mov_b32 v35, 0 :: v_dual_mov_b32 v32, 0
	v_mov_b32_e32 v33, 0
	s_wait_loadcnt 0x0
	s_barrier_signal -1
	s_barrier_wait -1
	s_mov_b32 s19, exec_lo
	v_readlane_b32 s21, v106, 18
	s_and_b32 s21, s19, s21
	s_delay_alu instid0(SALU_CYCLE_1)
	s_mov_b32 exec_lo, s21
	s_cbranch_execz .LBB57_10
; %bb.9:                                ;   in Loop: Header=BB57_3 Depth=1
	global_load_b64 v[32:33], v[40:41], off offset:256
.LBB57_10:                              ;   in Loop: Header=BB57_3 Depth=1
	s_wait_xcnt 0x0
	s_or_b32 exec_lo, exec_lo, s19
	v_mov_b32_e32 v34, 0
	s_wait_loadcnt 0x0
	s_barrier_signal -1
	s_barrier_wait -1
	s_mov_b32 s19, exec_lo
	v_readlane_b32 s21, v106, 19
	s_and_b32 s21, s19, s21
	s_delay_alu instid0(SALU_CYCLE_1)
	s_mov_b32 exec_lo, s21
	s_cbranch_execz .LBB57_12
; %bb.11:                               ;   in Loop: Header=BB57_3 Depth=1
	global_load_b64 v[34:35], v[40:41], off offset:384
.LBB57_12:                              ;   in Loop: Header=BB57_3 Depth=1
	s_wait_xcnt 0x0
	s_or_b32 exec_lo, exec_lo, s19
.LBB57_13:                              ;   in Loop: Header=BB57_3 Depth=1
	s_add_nc_u64 s[60:61], s[82:83], s[80:81]
	s_and_not1_b32 vcc_lo, exec_lo, s89
	v_add_nc_u64_e32 v[40:41], s[60:61], v[6:7]
	s_mov_b32 s19, -1
	s_cbranch_vccnz .LBB57_24
; %bb.14:                               ;   in Loop: Header=BB57_3 Depth=1
	s_wait_xcnt 0x0
	s_and_saveexec_b32 s19, s6
	s_delay_alu instid0(SALU_CYCLE_1)
	s_xor_b32 s19, exec_lo, s19
	s_cbranch_execnz .LBB57_1054
; %bb.15:                               ;   in Loop: Header=BB57_3 Depth=1
	s_and_not1_saveexec_b32 s19, s19
	s_cbranch_execnz .LBB57_1057
.LBB57_16:                              ;   in Loop: Header=BB57_3 Depth=1
	s_or_b32 exec_lo, exec_lo, s19
	s_and_saveexec_b32 s19, s7
	s_delay_alu instid0(SALU_CYCLE_1)
	s_xor_b32 s19, exec_lo, s19
	s_cbranch_execnz .LBB57_1058
.LBB57_17:                              ;   in Loop: Header=BB57_3 Depth=1
	s_and_not1_saveexec_b32 s19, s19
	s_cbranch_execnz .LBB57_1061
.LBB57_18:                              ;   in Loop: Header=BB57_3 Depth=1
	s_or_b32 exec_lo, exec_lo, s19
	s_and_saveexec_b32 s19, s8
	s_delay_alu instid0(SALU_CYCLE_1)
	s_xor_b32 s19, exec_lo, s19
	s_cbranch_execnz .LBB57_1062
.LBB57_19:                              ;   in Loop: Header=BB57_3 Depth=1
	s_and_not1_saveexec_b32 s19, s19
	s_cbranch_execnz .LBB57_1065
.LBB57_20:                              ;   in Loop: Header=BB57_3 Depth=1
	s_or_b32 exec_lo, exec_lo, s19
	s_and_saveexec_b32 s19, s9
	s_delay_alu instid0(SALU_CYCLE_1)
	s_xor_b32 s19, exec_lo, s19
	s_cbranch_execnz .LBB57_1066
.LBB57_21:                              ;   in Loop: Header=BB57_3 Depth=1
	s_and_not1_saveexec_b32 s19, s19
	s_cbranch_execz .LBB57_23
.LBB57_22:                              ;   in Loop: Header=BB57_3 Depth=1
	v_lshl_add_u64 v[42:43], v[20:21], 3, v[40:41]
	global_load_b64 v[42:43], v[42:43], off
	s_wait_loadcnt 0x0
	v_xor_b32_e32 v42, 0x80000000, v42
	ds_store_b64 v83, v[42:43]
.LBB57_23:                              ;   in Loop: Header=BB57_3 Depth=1
	s_or_b32 exec_lo, exec_lo, s19
	s_mov_b32 s19, 0
.LBB57_24:                              ;   in Loop: Header=BB57_3 Depth=1
	s_delay_alu instid0(SALU_CYCLE_1)
	s_and_b32 vcc_lo, exec_lo, s19
	s_cbranch_vccz .LBB57_50
; %bb.25:                               ;   in Loop: Header=BB57_3 Depth=1
	s_wait_xcnt 0x0
	s_mov_b32 s19, exec_lo
	v_readlane_b32 s21, v106, 20
	s_and_b32 s21, s19, s21
	s_delay_alu instid0(SALU_CYCLE_1)
	s_xor_b32 s19, s21, s19
	s_mov_b32 exec_lo, s21
	s_cbranch_execz .LBB57_29
; %bb.26:                               ;   in Loop: Header=BB57_3 Depth=1
	v_readlane_b32 s23, v97, 3
	s_and_saveexec_b32 s21, s23
; %bb.27:                               ;   in Loop: Header=BB57_3 Depth=1
	ds_store_b64 v85, v[24:25]
; %bb.28:                               ;   in Loop: Header=BB57_3 Depth=1
	s_or_b32 exec_lo, exec_lo, s21
.LBB57_29:                              ;   in Loop: Header=BB57_3 Depth=1
	s_and_not1_saveexec_b32 s19, s19
	s_cbranch_execz .LBB57_31
; %bb.30:                               ;   in Loop: Header=BB57_3 Depth=1
	v_lshl_add_u64 v[42:43], v[22:23], 3, v[40:41]
	global_load_b64 v[42:43], v[42:43], off
	s_wait_loadcnt 0x0
	v_xor_b32_e32 v42, 0x80000000, v42
	ds_store_b64 v85, v[42:43]
.LBB57_31:                              ;   in Loop: Header=BB57_3 Depth=1
	s_or_b32 exec_lo, exec_lo, s19
	s_delay_alu instid0(SALU_CYCLE_1) | instskip(SKIP_2) | instid1(SALU_CYCLE_1)
	s_mov_b32 s19, exec_lo
	v_readlane_b32 s21, v106, 21
	s_and_b32 s21, s19, s21
	s_xor_b32 s19, s21, s19
	s_mov_b32 exec_lo, s21
	s_cbranch_execz .LBB57_35
; %bb.32:                               ;   in Loop: Header=BB57_3 Depth=1
	v_readlane_b32 s23, v97, 4
	s_and_saveexec_b32 s21, s23
; %bb.33:                               ;   in Loop: Header=BB57_3 Depth=1
	ds_store_b64 v81, v[24:25]
; %bb.34:                               ;   in Loop: Header=BB57_3 Depth=1
	s_or_b32 exec_lo, exec_lo, s21
.LBB57_35:                              ;   in Loop: Header=BB57_3 Depth=1
	s_and_not1_saveexec_b32 s19, s19
	s_cbranch_execz .LBB57_37
; %bb.36:                               ;   in Loop: Header=BB57_3 Depth=1
	v_lshl_add_u64 v[42:43], v[16:17], 3, v[40:41]
	global_load_b64 v[42:43], v[42:43], off
	s_wait_loadcnt 0x0
	v_xor_b32_e32 v42, 0x80000000, v42
	ds_store_b64 v81, v[42:43]
.LBB57_37:                              ;   in Loop: Header=BB57_3 Depth=1
	s_or_b32 exec_lo, exec_lo, s19
	s_delay_alu instid0(SALU_CYCLE_1) | instskip(SKIP_2) | instid1(SALU_CYCLE_1)
	s_mov_b32 s19, exec_lo
	v_readlane_b32 s21, v106, 22
	s_and_b32 s21, s19, s21
	;; [unrolled: 25-line block ×3, first 2 shown]
	s_xor_b32 s19, s21, s19
	s_mov_b32 exec_lo, s21
	s_cbranch_execz .LBB57_47
; %bb.44:                               ;   in Loop: Header=BB57_3 Depth=1
	v_readlane_b32 s23, v97, 6
	s_and_saveexec_b32 s21, s23
; %bb.45:                               ;   in Loop: Header=BB57_3 Depth=1
	ds_store_b64 v83, v[24:25]
; %bb.46:                               ;   in Loop: Header=BB57_3 Depth=1
	s_or_b32 exec_lo, exec_lo, s21
                                        ; implicit-def: $vgpr40_vgpr41
.LBB57_47:                              ;   in Loop: Header=BB57_3 Depth=1
	s_and_not1_saveexec_b32 s19, s19
	s_cbranch_execz .LBB57_49
; %bb.48:                               ;   in Loop: Header=BB57_3 Depth=1
	v_lshl_add_u64 v[40:41], v[20:21], 3, v[40:41]
	global_load_b64 v[40:41], v[40:41], off
	s_wait_loadcnt 0x0
	v_xor_b32_e32 v40, 0x80000000, v40
	ds_store_b64 v83, v[40:41]
.LBB57_49:                              ;   in Loop: Header=BB57_3 Depth=1
	s_or_b32 exec_lo, exec_lo, s19
.LBB57_50:                              ;   in Loop: Header=BB57_3 Depth=1
	s_delay_alu instid0(SALU_CYCLE_1)
	s_and_not1_b32 vcc_lo, exec_lo, s91
	s_wait_loadcnt_dscnt 0x0
	s_barrier_signal -1
	s_barrier_wait -1
	s_cbranch_vccnz .LBB57_980
; %bb.51:                               ;   in Loop: Header=BB57_3 Depth=1
	s_and_saveexec_b32 s19, s10
	s_cbranch_execz .LBB57_53
; %bb.52:                               ;   in Loop: Header=BB57_3 Depth=1
	ds_load_b64 v[40:41], v7 offset:8
	ds_store_b64 v7, v[26:27] offset:520
	s_wait_dscnt 0x1
	ds_store_2addr_stride64_b64 v7, v[26:27], v[40:41] offset1:1
.LBB57_53:                              ;   in Loop: Header=BB57_3 Depth=1
	s_or_b32 exec_lo, exec_lo, s19
	v_mov_b64_e32 v[40:41], 0
	s_wait_dscnt 0x0
	s_barrier_signal -1
	s_barrier_wait -1
	s_and_saveexec_b32 s19, s0
	s_cbranch_execz .LBB57_57
; %bb.54:                               ;   in Loop: Header=BB57_3 Depth=1
	ds_load_b64 v[40:41], v63 offset:16
	ds_load_b64 v[42:43], v64
	s_wait_dscnt 0x0
	v_pk_mul_f32 v[44:45], v[42:43], v[40:41] op_sel:[1,1] op_sel_hi:[0,1]
	s_delay_alu instid0(VALU_DEP_1) | instskip(SKIP_1) | instid1(VALU_DEP_2)
	v_pk_fma_f32 v[98:99], v[42:43], v[40:41], v[44:45] op_sel_hi:[1,0,1]
	v_pk_fma_f32 v[40:41], v[42:43], v[40:41], v[44:45] neg_lo:[0,0,1] neg_hi:[0,0,1]
	v_mov_b32_e32 v41, v99
	s_delay_alu instid0(VALU_DEP_1)
	v_pk_add_f32 v[40:41], v[40:41], 0 op_sel_hi:[1,0]
	s_and_saveexec_b32 s21, s11
	s_cbranch_execz .LBB57_56
; %bb.55:                               ;   in Loop: Header=BB57_3 Depth=1
	ds_load_b64 v[42:43], v5 offset:528
	ds_load_b64 v[44:45], v7 offset:8
	s_wait_dscnt 0x0
	v_pk_mul_f32 v[98:99], v[44:45], v[42:43] op_sel:[1,1] op_sel_hi:[0,1]
	s_delay_alu instid0(VALU_DEP_1) | instskip(SKIP_1) | instid1(VALU_DEP_2)
	v_pk_fma_f32 v[100:101], v[44:45], v[42:43], v[98:99] op_sel_hi:[1,0,1]
	v_pk_fma_f32 v[42:43], v[44:45], v[42:43], v[98:99] neg_lo:[0,0,1] neg_hi:[0,0,1]
	v_mov_b32_e32 v43, v101
	s_delay_alu instid0(VALU_DEP_1)
	v_pk_add_f32 v[40:41], v[40:41], v[42:43]
.LBB57_56:                              ;   in Loop: Header=BB57_3 Depth=1
	s_or_b32 exec_lo, exec_lo, s21
	s_delay_alu instid0(VALU_DEP_1)
	v_pk_add_f32 v[40:41], v[40:41], 0 neg_lo:[1,1] neg_hi:[1,1]
.LBB57_57:                              ;   in Loop: Header=BB57_3 Depth=1
	s_or_b32 exec_lo, exec_lo, s19
	s_and_saveexec_b32 s19, s92
; %bb.58:                               ;   in Loop: Header=BB57_3 Depth=1
	ds_store_b64 v53, v[40:41]
; %bb.59:                               ;   in Loop: Header=BB57_3 Depth=1
	s_or_b32 exec_lo, exec_lo, s19
	s_wait_dscnt 0x0
	s_barrier_signal -1
	s_barrier_wait -1
	s_and_saveexec_b32 s19, s93
	s_cbranch_execz .LBB57_61
; %bb.60:                               ;   in Loop: Header=BB57_3 Depth=1
	ds_load_b64 v[42:43], v7 offset:1048
	ds_load_b64 v[44:45], v53
	s_wait_dscnt 0x0
	v_pk_mul_f32 v[98:99], v[44:45], v[42:43] op_sel:[1,1] op_sel_hi:[0,1]
	s_delay_alu instid0(VALU_DEP_1) | instskip(SKIP_1) | instid1(VALU_DEP_2)
	v_pk_fma_f32 v[100:101], v[44:45], v[42:43], v[98:99] op_sel_hi:[1,0,1]
	v_pk_fma_f32 v[42:43], v[44:45], v[42:43], v[98:99] neg_lo:[0,0,1] neg_hi:[0,0,1]
	v_mov_b32_e32 v43, v101
	s_delay_alu instid0(VALU_DEP_1)
	v_pk_add_f32 v[40:41], v[40:41], v[42:43]
.LBB57_61:                              ;   in Loop: Header=BB57_3 Depth=1
	s_or_b32 exec_lo, exec_lo, s19
	s_barrier_signal -1
	s_barrier_wait -1
	s_and_saveexec_b32 s19, s93
; %bb.62:                               ;   in Loop: Header=BB57_3 Depth=1
	ds_store_b64 v53, v[40:41]
; %bb.63:                               ;   in Loop: Header=BB57_3 Depth=1
	s_or_b32 exec_lo, exec_lo, s19
	s_wait_dscnt 0x0
	s_barrier_signal -1
	s_barrier_wait -1
	s_barrier_signal -1
	s_barrier_wait -1
	s_and_saveexec_b32 s19, s0
; %bb.64:                               ;   in Loop: Header=BB57_3 Depth=1
	v_pk_add_f32 v[40:41], v[40:41], 0 neg_lo:[1,1] neg_hi:[1,1]
	ds_store_b64 v63, v[40:41] offset:16
; %bb.65:                               ;   in Loop: Header=BB57_3 Depth=1
	s_or_b32 exec_lo, exec_lo, s19
	s_wait_dscnt 0x0
	s_barrier_signal -1
	s_barrier_wait -1
	s_barrier_signal -1
	s_barrier_wait -1
	s_and_saveexec_b32 s19, s94
	s_cbranch_execz .LBB57_67
; %bb.66:                               ;   in Loop: Header=BB57_3 Depth=1
	ds_load_b64 v[40:41], v9 offset:16
	s_wait_dscnt 0x0
	ds_store_b64 v5, v[40:41] offset:1024
	ds_load_b64 v[40:41], v9 offset:24
	s_wait_dscnt 0x0
	ds_store_b64 v5, v[40:41] offset:1536
.LBB57_67:                              ;   in Loop: Header=BB57_3 Depth=1
	s_or_b32 exec_lo, exec_lo, s19
	s_wait_dscnt 0x0
	s_barrier_signal -1
	s_barrier_wait -1
	s_and_saveexec_b32 s19, s10
	s_cbranch_execz .LBB57_69
; %bb.68:                               ;   in Loop: Header=BB57_3 Depth=1
	ds_load_b64 v[40:41], v7 offset:1048
	ds_store_b64 v7, v[26:27] offset:1560
	s_wait_dscnt 0x1
	ds_store_2addr_b64 v7, v[26:27], v[40:41] offset0:130 offset1:194
.LBB57_69:                              ;   in Loop: Header=BB57_3 Depth=1
	s_or_b32 exec_lo, exec_lo, s19
	v_mov_b64_e32 v[40:41], 0
	s_wait_dscnt 0x0
	s_barrier_signal -1
	s_barrier_wait -1
	s_and_saveexec_b32 s61, s2
	s_cbranch_execz .LBB57_75
; %bb.70:                               ;   in Loop: Header=BB57_3 Depth=1
	ds_load_b64 v[40:41], v67 offset:32
	ds_load_b64 v[42:43], v55
	s_wait_dscnt 0x0
	v_dual_mul_f32 v3, v43, v41 :: v_dual_mul_f32 v41, v42, v41
	s_delay_alu instid0(VALU_DEP_1) | instskip(NEXT) | instid1(VALU_DEP_1)
	v_dual_fma_f32 v3, v42, v40, -v3 :: v_dual_fmac_f32 v41, v43, v40
	v_dual_add_f32 v40, 0, v3 :: v_dual_add_f32 v41, 0, v41
	s_and_saveexec_b32 s19, s12
	s_cbranch_execnz .LBB57_1076
; %bb.71:                               ;   in Loop: Header=BB57_3 Depth=1
	s_or_b32 exec_lo, exec_lo, s19
	s_and_saveexec_b32 s19, s13
	s_cbranch_execnz .LBB57_1077
.LBB57_72:                              ;   in Loop: Header=BB57_3 Depth=1
	s_or_b32 exec_lo, exec_lo, s19
	s_and_saveexec_b32 s19, s0
	s_cbranch_execz .LBB57_74
.LBB57_73:                              ;   in Loop: Header=BB57_3 Depth=1
	ds_load_b64 v[42:43], v47 offset:1568
	ds_load_b64 v[44:45], v7 offset:24
	s_wait_dscnt 0x0
	v_dual_mul_f32 v3, v45, v43 :: v_dual_mul_f32 v99, v44, v43
	s_delay_alu instid0(VALU_DEP_1) | instskip(NEXT) | instid1(VALU_DEP_2)
	v_fma_f32 v98, v44, v42, -v3
	v_fmac_f32_e32 v99, v45, v42
	s_delay_alu instid0(VALU_DEP_1)
	v_pk_add_f32 v[40:41], v[40:41], v[98:99]
.LBB57_74:                              ;   in Loop: Header=BB57_3 Depth=1
	s_or_b32 exec_lo, exec_lo, s19
	s_delay_alu instid0(VALU_DEP_1)
	v_pk_add_f32 v[40:41], v[40:41], 0 neg_lo:[1,1] neg_hi:[1,1]
.LBB57_75:                              ;   in Loop: Header=BB57_3 Depth=1
	s_or_b32 exec_lo, exec_lo, s61
	s_and_saveexec_b32 s19, s95
; %bb.76:                               ;   in Loop: Header=BB57_3 Depth=1
	ds_store_b64 v65, v[40:41]
; %bb.77:                               ;   in Loop: Header=BB57_3 Depth=1
	s_or_b32 exec_lo, exec_lo, s19
	s_wait_dscnt 0x0
	s_barrier_signal -1
	s_barrier_wait -1
	s_and_saveexec_b32 s19, s96
	s_cbranch_execz .LBB57_79
; %bb.78:                               ;   in Loop: Header=BB57_3 Depth=1
	ds_load_b64 v[42:43], v62 offset:2080
	ds_load_b64 v[44:45], v65
	s_wait_dscnt 0x0
	v_pk_mul_f32 v[98:99], v[44:45], v[42:43] op_sel:[1,1] op_sel_hi:[0,1]
	s_delay_alu instid0(VALU_DEP_1) | instskip(SKIP_1) | instid1(VALU_DEP_2)
	v_pk_fma_f32 v[100:101], v[44:45], v[42:43], v[98:99] op_sel_hi:[1,0,1]
	v_pk_fma_f32 v[42:43], v[44:45], v[42:43], v[98:99] neg_lo:[0,0,1] neg_hi:[0,0,1]
	v_mov_b32_e32 v43, v101
	s_delay_alu instid0(VALU_DEP_1)
	v_pk_add_f32 v[40:41], v[40:41], v[42:43]
.LBB57_79:                              ;   in Loop: Header=BB57_3 Depth=1
	s_or_b32 exec_lo, exec_lo, s19
	s_barrier_signal -1
	s_barrier_wait -1
	s_and_saveexec_b32 s19, s97
; %bb.80:                               ;   in Loop: Header=BB57_3 Depth=1
	ds_store_b64 v65, v[40:41]
; %bb.81:                               ;   in Loop: Header=BB57_3 Depth=1
	s_or_b32 exec_lo, exec_lo, s19
	s_wait_dscnt 0x0
	s_barrier_signal -1
	s_barrier_wait -1
	s_and_saveexec_b32 s19, s98
	s_cbranch_execz .LBB57_83
; %bb.82:                               ;   in Loop: Header=BB57_3 Depth=1
	ds_load_b64 v[42:43], v62 offset:2592
	ds_load_b64 v[44:45], v65
	s_wait_dscnt 0x0
	v_pk_mul_f32 v[98:99], v[44:45], v[42:43] op_sel:[1,1] op_sel_hi:[0,1]
	s_delay_alu instid0(VALU_DEP_1) | instskip(SKIP_1) | instid1(VALU_DEP_2)
	v_pk_fma_f32 v[100:101], v[44:45], v[42:43], v[98:99] op_sel_hi:[1,0,1]
	v_pk_fma_f32 v[42:43], v[44:45], v[42:43], v[98:99] neg_lo:[0,0,1] neg_hi:[0,0,1]
	v_mov_b32_e32 v43, v101
	s_delay_alu instid0(VALU_DEP_1)
	v_pk_add_f32 v[40:41], v[40:41], v[42:43]
.LBB57_83:                              ;   in Loop: Header=BB57_3 Depth=1
	s_or_b32 exec_lo, exec_lo, s19
	s_barrier_signal -1
	s_barrier_wait -1
	;; [unrolled: 25-line block ×3, first 2 shown]
	s_and_saveexec_b32 s19, s100
; %bb.88:                               ;   in Loop: Header=BB57_3 Depth=1
	ds_store_b64 v65, v[40:41]
; %bb.89:                               ;   in Loop: Header=BB57_3 Depth=1
	s_or_b32 exec_lo, exec_lo, s19
	s_wait_dscnt 0x0
	s_barrier_signal -1
	s_barrier_wait -1
	s_barrier_signal -1
	s_barrier_wait -1
	s_and_saveexec_b32 s19, s2
; %bb.90:                               ;   in Loop: Header=BB57_3 Depth=1
	v_pk_add_f32 v[40:41], v[40:41], 0 neg_lo:[1,1] neg_hi:[1,1]
	ds_store_b64 v67, v[40:41] offset:32
; %bb.91:                               ;   in Loop: Header=BB57_3 Depth=1
	s_or_b32 exec_lo, exec_lo, s19
	s_wait_dscnt 0x0
	s_barrier_signal -1
	s_barrier_wait -1
	s_barrier_signal -1
	s_barrier_wait -1
	s_and_saveexec_b32 s19, s101
	s_cbranch_execz .LBB57_93
; %bb.92:                               ;   in Loop: Header=BB57_3 Depth=1
	ds_load_b64 v[40:41], v48 offset:32
	s_wait_dscnt 0x0
	ds_store_b64 v49, v[40:41] offset:2048
	ds_load_b64 v[40:41], v48 offset:40
	s_wait_dscnt 0x0
	ds_store_b64 v49, v[40:41] offset:2560
	;; [unrolled: 3-line block ×4, first 2 shown]
.LBB57_93:                              ;   in Loop: Header=BB57_3 Depth=1
	s_or_b32 exec_lo, exec_lo, s19
	s_wait_dscnt 0x0
	s_barrier_signal -1
	s_barrier_wait -1
	s_and_saveexec_b32 s19, s10
	s_cbranch_execz .LBB57_95
; %bb.94:                               ;   in Loop: Header=BB57_3 Depth=1
	ds_load_b64 v[40:41], v7 offset:2088
	v_add_nc_u32_e64 v3, 32, 0
	ds_store_b64 v7, v[26:27] offset:2600
	s_wait_dscnt 0x1
	ds_store_2addr_stride64_b64 v3, v[26:27], v[40:41] offset0:4 offset1:5
.LBB57_95:                              ;   in Loop: Header=BB57_3 Depth=1
	s_or_b32 exec_lo, exec_lo, s19
	v_mov_b64_e32 v[40:41], 0
	s_wait_dscnt 0x0
	s_barrier_signal -1
	s_barrier_wait -1
	s_and_saveexec_b32 s19, s0
	s_cbranch_execz .LBB57_99
; %bb.96:                               ;   in Loop: Header=BB57_3 Depth=1
	ds_load_b64 v[40:41], v63 offset:2096
	ds_load_b64 v[42:43], v64 offset:2080
	s_wait_dscnt 0x0
	v_pk_mul_f32 v[44:45], v[42:43], v[40:41] op_sel:[1,1] op_sel_hi:[0,1]
	s_delay_alu instid0(VALU_DEP_1) | instskip(SKIP_1) | instid1(VALU_DEP_2)
	v_pk_fma_f32 v[98:99], v[42:43], v[40:41], v[44:45] op_sel_hi:[1,0,1]
	v_pk_fma_f32 v[40:41], v[42:43], v[40:41], v[44:45] neg_lo:[0,0,1] neg_hi:[0,0,1]
	v_mov_b32_e32 v41, v99
	s_delay_alu instid0(VALU_DEP_1)
	v_pk_add_f32 v[40:41], v[40:41], 0 op_sel_hi:[1,0]
	s_and_saveexec_b32 s21, s11
	s_cbranch_execz .LBB57_98
; %bb.97:                               ;   in Loop: Header=BB57_3 Depth=1
	ds_load_b64 v[42:43], v49 offset:2608
	ds_load_b64 v[44:45], v7 offset:2088
	s_wait_dscnt 0x0
	v_pk_mul_f32 v[98:99], v[44:45], v[42:43] op_sel:[1,1] op_sel_hi:[0,1]
	s_delay_alu instid0(VALU_DEP_1) | instskip(SKIP_1) | instid1(VALU_DEP_2)
	v_pk_fma_f32 v[100:101], v[44:45], v[42:43], v[98:99] op_sel_hi:[1,0,1]
	v_pk_fma_f32 v[42:43], v[44:45], v[42:43], v[98:99] neg_lo:[0,0,1] neg_hi:[0,0,1]
	v_mov_b32_e32 v43, v101
	s_delay_alu instid0(VALU_DEP_1)
	v_pk_add_f32 v[40:41], v[40:41], v[42:43]
.LBB57_98:                              ;   in Loop: Header=BB57_3 Depth=1
	s_or_b32 exec_lo, exec_lo, s21
	s_delay_alu instid0(VALU_DEP_1)
	v_pk_add_f32 v[40:41], v[40:41], 0 neg_lo:[1,1] neg_hi:[1,1]
.LBB57_99:                              ;   in Loop: Header=BB57_3 Depth=1
	s_or_b32 exec_lo, exec_lo, s19
	s_and_saveexec_b32 s19, s92
; %bb.100:                              ;   in Loop: Header=BB57_3 Depth=1
	ds_store_b64 v53, v[40:41]
; %bb.101:                              ;   in Loop: Header=BB57_3 Depth=1
	s_or_b32 exec_lo, exec_lo, s19
	s_wait_dscnt 0x0
	s_barrier_signal -1
	s_barrier_wait -1
	s_and_saveexec_b32 s19, s93
	s_cbranch_execz .LBB57_103
; %bb.102:                              ;   in Loop: Header=BB57_3 Depth=1
	ds_load_b64 v[42:43], v7 offset:3128
	ds_load_b64 v[44:45], v53
	s_wait_dscnt 0x0
	v_pk_mul_f32 v[98:99], v[44:45], v[42:43] op_sel:[1,1] op_sel_hi:[0,1]
	s_delay_alu instid0(VALU_DEP_1) | instskip(SKIP_1) | instid1(VALU_DEP_2)
	v_pk_fma_f32 v[100:101], v[44:45], v[42:43], v[98:99] op_sel_hi:[1,0,1]
	v_pk_fma_f32 v[42:43], v[44:45], v[42:43], v[98:99] neg_lo:[0,0,1] neg_hi:[0,0,1]
	v_mov_b32_e32 v43, v101
	s_delay_alu instid0(VALU_DEP_1)
	v_pk_add_f32 v[40:41], v[40:41], v[42:43]
.LBB57_103:                             ;   in Loop: Header=BB57_3 Depth=1
	s_or_b32 exec_lo, exec_lo, s19
	s_barrier_signal -1
	s_barrier_wait -1
	s_and_saveexec_b32 s19, s93
; %bb.104:                              ;   in Loop: Header=BB57_3 Depth=1
	ds_store_b64 v53, v[40:41]
; %bb.105:                              ;   in Loop: Header=BB57_3 Depth=1
	s_or_b32 exec_lo, exec_lo, s19
	s_wait_dscnt 0x0
	s_barrier_signal -1
	s_barrier_wait -1
	s_barrier_signal -1
	s_barrier_wait -1
	s_and_saveexec_b32 s19, s0
; %bb.106:                              ;   in Loop: Header=BB57_3 Depth=1
	v_pk_add_f32 v[40:41], v[40:41], 0 neg_lo:[1,1] neg_hi:[1,1]
	ds_store_b64 v63, v[40:41] offset:2096
; %bb.107:                              ;   in Loop: Header=BB57_3 Depth=1
	s_or_b32 exec_lo, exec_lo, s19
	s_wait_dscnt 0x0
	s_barrier_signal -1
	s_barrier_wait -1
	s_barrier_signal -1
	s_barrier_wait -1
	s_and_saveexec_b32 s19, s94
	s_cbranch_execz .LBB57_109
; %bb.108:                              ;   in Loop: Header=BB57_3 Depth=1
	ds_load_b64 v[40:41], v50 offset:2096
	s_wait_dscnt 0x0
	ds_store_b64 v49, v[40:41] offset:3104
	ds_load_b64 v[40:41], v50 offset:2104
	s_wait_dscnt 0x0
	ds_store_b64 v49, v[40:41] offset:3616
.LBB57_109:                             ;   in Loop: Header=BB57_3 Depth=1
	s_or_b32 exec_lo, exec_lo, s19
	s_wait_dscnt 0x0
	s_barrier_signal -1
	s_barrier_wait -1
	s_and_saveexec_b32 s19, s10
	s_cbranch_execz .LBB57_111
; %bb.110:                              ;   in Loop: Header=BB57_3 Depth=1
	ds_load_b64 v[40:41], v7 offset:3128
	v_add_nc_u32_e64 v3, 48, 0
	ds_store_b64 v7, v[26:27] offset:3640
	s_wait_dscnt 0x1
	ds_store_2addr_stride64_b64 v3, v[26:27], v[40:41] offset0:6 offset1:7
.LBB57_111:                             ;   in Loop: Header=BB57_3 Depth=1
	s_or_b32 exec_lo, exec_lo, s19
	v_mov_b64_e32 v[40:41], 0
	s_wait_dscnt 0x0
	s_barrier_signal -1
	s_barrier_wait -1
	s_and_saveexec_b32 s61, s3
	s_cbranch_execz .LBB57_121
; %bb.112:                              ;   in Loop: Header=BB57_3 Depth=1
	ds_load_b64 v[40:41], v71 offset:64
	ds_load_b64 v[42:43], v57
	s_wait_dscnt 0x0
	v_dual_mul_f32 v3, v43, v41 :: v_dual_mul_f32 v41, v42, v41
	s_delay_alu instid0(VALU_DEP_1) | instskip(NEXT) | instid1(VALU_DEP_1)
	v_dual_fma_f32 v3, v42, v40, -v3 :: v_dual_fmac_f32 v41, v43, v40
	v_dual_add_f32 v40, 0, v3 :: v_dual_add_f32 v41, 0, v41
	s_and_saveexec_b32 s19, s14
	s_cbranch_execnz .LBB57_1078
; %bb.113:                              ;   in Loop: Header=BB57_3 Depth=1
	s_or_b32 exec_lo, exec_lo, s19
	s_and_saveexec_b32 s19, s15
	s_cbranch_execnz .LBB57_1079
.LBB57_114:                             ;   in Loop: Header=BB57_3 Depth=1
	s_or_b32 exec_lo, exec_lo, s19
	s_and_saveexec_b32 s19, s16
	s_cbranch_execnz .LBB57_1080
.LBB57_115:                             ;   in Loop: Header=BB57_3 Depth=1
	s_or_b32 exec_lo, exec_lo, s19
	s_and_saveexec_b32 s19, s17
	s_cbranch_execnz .LBB57_1081
.LBB57_116:                             ;   in Loop: Header=BB57_3 Depth=1
	s_or_b32 exec_lo, exec_lo, s19
	s_and_saveexec_b32 s19, s18
	s_cbranch_execnz .LBB57_1082
.LBB57_117:                             ;   in Loop: Header=BB57_3 Depth=1
	s_or_b32 exec_lo, exec_lo, s19
	s_and_saveexec_b32 s19, s2
	s_cbranch_execnz .LBB57_1083
.LBB57_118:                             ;   in Loop: Header=BB57_3 Depth=1
	s_or_b32 exec_lo, exec_lo, s19
	s_and_saveexec_b32 s19, s13
	s_cbranch_execz .LBB57_120
.LBB57_119:                             ;   in Loop: Header=BB57_3 Depth=1
	ds_load_b64 v[42:43], v51 offset:3648
	ds_load_b64 v[44:45], v7 offset:56
	s_wait_dscnt 0x0
	v_pk_mul_f32 v[98:99], v[44:45], v[42:43] op_sel:[1,1] op_sel_hi:[0,1]
	s_delay_alu instid0(VALU_DEP_1) | instskip(SKIP_1) | instid1(VALU_DEP_2)
	v_pk_fma_f32 v[100:101], v[44:45], v[42:43], v[98:99] op_sel_hi:[1,0,1]
	v_pk_fma_f32 v[42:43], v[44:45], v[42:43], v[98:99] neg_lo:[0,0,1] neg_hi:[0,0,1]
	v_mov_b32_e32 v43, v101
	s_delay_alu instid0(VALU_DEP_1)
	v_pk_add_f32 v[40:41], v[40:41], v[42:43]
.LBB57_120:                             ;   in Loop: Header=BB57_3 Depth=1
	s_or_b32 exec_lo, exec_lo, s19
	s_delay_alu instid0(VALU_DEP_1)
	v_pk_add_f32 v[40:41], v[40:41], 0 neg_lo:[1,1] neg_hi:[1,1]
.LBB57_121:                             ;   in Loop: Header=BB57_3 Depth=1
	s_or_b32 exec_lo, exec_lo, s61
	s_and_saveexec_b32 s19, s102
; %bb.122:                              ;   in Loop: Header=BB57_3 Depth=1
	ds_store_b64 v70, v[40:41]
; %bb.123:                              ;   in Loop: Header=BB57_3 Depth=1
	s_or_b32 exec_lo, exec_lo, s19
	s_wait_dscnt 0x0
	s_barrier_signal -1
	s_barrier_wait -1
	s_and_saveexec_b32 s19, s103
	s_cbranch_execz .LBB57_125
; %bb.124:                              ;   in Loop: Header=BB57_3 Depth=1
	ds_load_b64 v[42:43], v66 offset:4160
	ds_load_b64 v[44:45], v70
	s_wait_dscnt 0x0
	v_pk_mul_f32 v[98:99], v[44:45], v[42:43] op_sel:[1,1] op_sel_hi:[0,1]
	s_delay_alu instid0(VALU_DEP_1) | instskip(SKIP_1) | instid1(VALU_DEP_2)
	v_pk_fma_f32 v[100:101], v[44:45], v[42:43], v[98:99] op_sel_hi:[1,0,1]
	v_pk_fma_f32 v[42:43], v[44:45], v[42:43], v[98:99] neg_lo:[0,0,1] neg_hi:[0,0,1]
	v_mov_b32_e32 v43, v101
	s_delay_alu instid0(VALU_DEP_1)
	v_pk_add_f32 v[40:41], v[40:41], v[42:43]
.LBB57_125:                             ;   in Loop: Header=BB57_3 Depth=1
	s_or_b32 exec_lo, exec_lo, s19
	s_barrier_signal -1
	s_barrier_wait -1
	s_and_saveexec_b32 s19, s104
; %bb.126:                              ;   in Loop: Header=BB57_3 Depth=1
	ds_store_b64 v70, v[40:41]
; %bb.127:                              ;   in Loop: Header=BB57_3 Depth=1
	s_or_b32 exec_lo, exec_lo, s19
	s_wait_dscnt 0x0
	s_barrier_signal -1
	s_barrier_wait -1
	s_and_saveexec_b32 s19, vcc_hi
	s_cbranch_execz .LBB57_129
; %bb.128:                              ;   in Loop: Header=BB57_3 Depth=1
	ds_load_b64 v[42:43], v66 offset:4672
	ds_load_b64 v[44:45], v70
	s_wait_dscnt 0x0
	v_dual_mul_f32 v3, v45, v43 :: v_dual_mul_f32 v43, v44, v43
	s_delay_alu instid0(VALU_DEP_1) | instskip(NEXT) | instid1(VALU_DEP_1)
	v_fmac_f32_e32 v43, v45, v42
	v_dual_fma_f32 v3, v44, v42, -v3 :: v_dual_add_f32 v41, v41, v43
	s_delay_alu instid0(VALU_DEP_1)
	v_add_f32_e32 v40, v40, v3
.LBB57_129:                             ;   in Loop: Header=BB57_3 Depth=1
	s_or_b32 exec_lo, exec_lo, s19
	s_barrier_signal -1
	s_barrier_wait -1
	s_and_saveexec_b32 s19, s38
; %bb.130:                              ;   in Loop: Header=BB57_3 Depth=1
	ds_store_b64 v70, v[40:41]
; %bb.131:                              ;   in Loop: Header=BB57_3 Depth=1
	s_or_b32 exec_lo, exec_lo, s19
	s_wait_dscnt 0x0
	s_barrier_signal -1
	s_barrier_wait -1
	s_and_saveexec_b32 s19, s39
	s_cbranch_execz .LBB57_133
; %bb.132:                              ;   in Loop: Header=BB57_3 Depth=1
	ds_load_b64 v[42:43], v66 offset:5184
	ds_load_b64 v[44:45], v70
	s_wait_dscnt 0x0
	v_dual_mul_f32 v3, v45, v43 :: v_dual_mul_f32 v99, v44, v43
	s_delay_alu instid0(VALU_DEP_1) | instskip(NEXT) | instid1(VALU_DEP_2)
	v_fma_f32 v98, v44, v42, -v3
	v_fmac_f32_e32 v99, v45, v42
	s_delay_alu instid0(VALU_DEP_1)
	v_pk_add_f32 v[40:41], v[40:41], v[98:99]
.LBB57_133:                             ;   in Loop: Header=BB57_3 Depth=1
	s_or_b32 exec_lo, exec_lo, s19
	s_barrier_signal -1
	s_barrier_wait -1
	s_and_saveexec_b32 s19, s40
; %bb.134:                              ;   in Loop: Header=BB57_3 Depth=1
	ds_store_b64 v70, v[40:41]
; %bb.135:                              ;   in Loop: Header=BB57_3 Depth=1
	s_or_b32 exec_lo, exec_lo, s19
	s_wait_dscnt 0x0
	s_barrier_signal -1
	s_barrier_wait -1
	s_and_saveexec_b32 s19, s41
	s_cbranch_execz .LBB57_137
; %bb.136:                              ;   in Loop: Header=BB57_3 Depth=1
	ds_load_b64 v[42:43], v66 offset:5696
	ds_load_b64 v[44:45], v70
	s_wait_dscnt 0x0
	v_pk_mul_f32 v[98:99], v[44:45], v[42:43] op_sel:[1,1] op_sel_hi:[0,1]
	s_delay_alu instid0(VALU_DEP_1) | instskip(SKIP_1) | instid1(VALU_DEP_2)
	v_pk_fma_f32 v[100:101], v[44:45], v[42:43], v[98:99] op_sel_hi:[1,0,1]
	v_pk_fma_f32 v[42:43], v[44:45], v[42:43], v[98:99] neg_lo:[0,0,1] neg_hi:[0,0,1]
	v_mov_b32_e32 v43, v101
	s_delay_alu instid0(VALU_DEP_1)
	v_pk_add_f32 v[40:41], v[40:41], v[42:43]
.LBB57_137:                             ;   in Loop: Header=BB57_3 Depth=1
	s_or_b32 exec_lo, exec_lo, s19
	s_barrier_signal -1
	s_barrier_wait -1
	s_and_saveexec_b32 s19, s42
; %bb.138:                              ;   in Loop: Header=BB57_3 Depth=1
	ds_store_b64 v70, v[40:41]
; %bb.139:                              ;   in Loop: Header=BB57_3 Depth=1
	s_or_b32 exec_lo, exec_lo, s19
	s_wait_dscnt 0x0
	s_barrier_signal -1
	s_barrier_wait -1
	s_and_saveexec_b32 s19, s43
	s_cbranch_execz .LBB57_141
; %bb.140:                              ;   in Loop: Header=BB57_3 Depth=1
	ds_load_b64 v[42:43], v66 offset:6208
	ds_load_b64 v[44:45], v70
	s_wait_dscnt 0x0
	v_pk_mul_f32 v[98:99], v[44:45], v[42:43] op_sel:[1,1] op_sel_hi:[0,1]
	s_delay_alu instid0(VALU_DEP_1) | instskip(SKIP_1) | instid1(VALU_DEP_2)
	v_pk_fma_f32 v[100:101], v[44:45], v[42:43], v[98:99] op_sel_hi:[1,0,1]
	v_pk_fma_f32 v[42:43], v[44:45], v[42:43], v[98:99] neg_lo:[0,0,1] neg_hi:[0,0,1]
	v_mov_b32_e32 v43, v101
	s_delay_alu instid0(VALU_DEP_1)
	v_pk_add_f32 v[40:41], v[40:41], v[42:43]
.LBB57_141:                             ;   in Loop: Header=BB57_3 Depth=1
	;; [unrolled: 25-line block ×4, first 2 shown]
	s_or_b32 exec_lo, exec_lo, s19
	s_barrier_signal -1
	s_barrier_wait -1
	s_and_saveexec_b32 s19, s47
; %bb.150:                              ;   in Loop: Header=BB57_3 Depth=1
	ds_store_b64 v70, v[40:41]
; %bb.151:                              ;   in Loop: Header=BB57_3 Depth=1
	s_or_b32 exec_lo, exec_lo, s19
	s_wait_dscnt 0x0
	s_barrier_signal -1
	s_barrier_wait -1
	s_barrier_signal -1
	s_barrier_wait -1
	s_and_saveexec_b32 s19, s3
; %bb.152:                              ;   in Loop: Header=BB57_3 Depth=1
	v_pk_add_f32 v[40:41], v[40:41], 0 neg_lo:[1,1] neg_hi:[1,1]
	ds_store_b64 v71, v[40:41] offset:64
; %bb.153:                              ;   in Loop: Header=BB57_3 Depth=1
	s_or_b32 exec_lo, exec_lo, s19
	s_wait_dscnt 0x0
	s_barrier_signal -1
	s_barrier_wait -1
	s_barrier_signal -1
	s_barrier_wait -1
	s_and_saveexec_b32 s19, s48
	s_cbranch_execz .LBB57_155
; %bb.154:                              ;   in Loop: Header=BB57_3 Depth=1
	ds_load_b64 v[40:41], v52 offset:64
	s_wait_dscnt 0x0
	ds_store_b64 v54, v[40:41] offset:4096
	ds_load_b64 v[40:41], v52 offset:72
	s_wait_dscnt 0x0
	ds_store_b64 v54, v[40:41] offset:4608
	;; [unrolled: 3-line block ×8, first 2 shown]
.LBB57_155:                             ;   in Loop: Header=BB57_3 Depth=1
	s_or_b32 exec_lo, exec_lo, s19
	s_wait_dscnt 0x0
	s_barrier_signal -1
	s_barrier_wait -1
	s_and_saveexec_b32 s19, s10
	s_cbranch_execz .LBB57_157
; %bb.156:                              ;   in Loop: Header=BB57_3 Depth=1
	ds_load_b64 v[40:41], v7 offset:4168
	v_add_nc_u32_e64 v3, 64, 0
	ds_store_b64 v7, v[26:27] offset:4680
	s_wait_dscnt 0x1
	ds_store_2addr_stride64_b64 v3, v[26:27], v[40:41] offset0:8 offset1:9
.LBB57_157:                             ;   in Loop: Header=BB57_3 Depth=1
	s_or_b32 exec_lo, exec_lo, s19
	v_mov_b64_e32 v[40:41], 0
	s_wait_dscnt 0x0
	s_barrier_signal -1
	s_barrier_wait -1
	s_and_saveexec_b32 s19, s0
	s_cbranch_execz .LBB57_161
; %bb.158:                              ;   in Loop: Header=BB57_3 Depth=1
	ds_load_b64 v[40:41], v63 offset:4176
	ds_load_b64 v[42:43], v64 offset:4160
	s_wait_dscnt 0x0
	v_pk_mul_f32 v[44:45], v[42:43], v[40:41] op_sel:[1,1] op_sel_hi:[0,1]
	s_delay_alu instid0(VALU_DEP_1) | instskip(SKIP_1) | instid1(VALU_DEP_2)
	v_pk_fma_f32 v[98:99], v[42:43], v[40:41], v[44:45] op_sel_hi:[1,0,1]
	v_pk_fma_f32 v[40:41], v[42:43], v[40:41], v[44:45] neg_lo:[0,0,1] neg_hi:[0,0,1]
	v_mov_b32_e32 v41, v99
	s_delay_alu instid0(VALU_DEP_1)
	v_pk_add_f32 v[40:41], v[40:41], 0 op_sel_hi:[1,0]
	s_and_saveexec_b32 s21, s11
	s_cbranch_execz .LBB57_160
; %bb.159:                              ;   in Loop: Header=BB57_3 Depth=1
	ds_load_b64 v[42:43], v54 offset:4688
	ds_load_b64 v[44:45], v7 offset:4168
	s_wait_dscnt 0x0
	v_pk_mul_f32 v[98:99], v[44:45], v[42:43] op_sel:[1,1] op_sel_hi:[0,1]
	s_delay_alu instid0(VALU_DEP_1) | instskip(SKIP_1) | instid1(VALU_DEP_2)
	v_pk_fma_f32 v[100:101], v[44:45], v[42:43], v[98:99] op_sel_hi:[1,0,1]
	v_pk_fma_f32 v[42:43], v[44:45], v[42:43], v[98:99] neg_lo:[0,0,1] neg_hi:[0,0,1]
	v_mov_b32_e32 v43, v101
	s_delay_alu instid0(VALU_DEP_1)
	v_pk_add_f32 v[40:41], v[40:41], v[42:43]
.LBB57_160:                             ;   in Loop: Header=BB57_3 Depth=1
	s_or_b32 exec_lo, exec_lo, s21
	s_delay_alu instid0(VALU_DEP_1)
	v_pk_add_f32 v[40:41], v[40:41], 0 neg_lo:[1,1] neg_hi:[1,1]
.LBB57_161:                             ;   in Loop: Header=BB57_3 Depth=1
	s_or_b32 exec_lo, exec_lo, s19
	s_and_saveexec_b32 s19, s92
; %bb.162:                              ;   in Loop: Header=BB57_3 Depth=1
	ds_store_b64 v53, v[40:41]
; %bb.163:                              ;   in Loop: Header=BB57_3 Depth=1
	s_or_b32 exec_lo, exec_lo, s19
	s_wait_dscnt 0x0
	s_barrier_signal -1
	s_barrier_wait -1
	s_and_saveexec_b32 s19, s93
	s_cbranch_execz .LBB57_165
; %bb.164:                              ;   in Loop: Header=BB57_3 Depth=1
	ds_load_b64 v[42:43], v7 offset:5208
	ds_load_b64 v[44:45], v53
	s_wait_dscnt 0x0
	v_pk_mul_f32 v[98:99], v[44:45], v[42:43] op_sel:[1,1] op_sel_hi:[0,1]
	s_delay_alu instid0(VALU_DEP_1) | instskip(SKIP_1) | instid1(VALU_DEP_2)
	v_pk_fma_f32 v[100:101], v[44:45], v[42:43], v[98:99] op_sel_hi:[1,0,1]
	v_pk_fma_f32 v[42:43], v[44:45], v[42:43], v[98:99] neg_lo:[0,0,1] neg_hi:[0,0,1]
	v_mov_b32_e32 v43, v101
	s_delay_alu instid0(VALU_DEP_1)
	v_pk_add_f32 v[40:41], v[40:41], v[42:43]
.LBB57_165:                             ;   in Loop: Header=BB57_3 Depth=1
	s_or_b32 exec_lo, exec_lo, s19
	s_barrier_signal -1
	s_barrier_wait -1
	s_and_saveexec_b32 s19, s93
; %bb.166:                              ;   in Loop: Header=BB57_3 Depth=1
	ds_store_b64 v53, v[40:41]
; %bb.167:                              ;   in Loop: Header=BB57_3 Depth=1
	s_or_b32 exec_lo, exec_lo, s19
	s_wait_dscnt 0x0
	s_barrier_signal -1
	s_barrier_wait -1
	s_barrier_signal -1
	s_barrier_wait -1
	s_and_saveexec_b32 s19, s0
; %bb.168:                              ;   in Loop: Header=BB57_3 Depth=1
	v_pk_add_f32 v[40:41], v[40:41], 0 neg_lo:[1,1] neg_hi:[1,1]
	ds_store_b64 v63, v[40:41] offset:4176
; %bb.169:                              ;   in Loop: Header=BB57_3 Depth=1
	s_or_b32 exec_lo, exec_lo, s19
	s_wait_dscnt 0x0
	s_barrier_signal -1
	s_barrier_wait -1
	s_barrier_signal -1
	s_barrier_wait -1
	s_and_saveexec_b32 s19, s94
	s_cbranch_execz .LBB57_171
; %bb.170:                              ;   in Loop: Header=BB57_3 Depth=1
	ds_load_b64 v[40:41], v56 offset:4176
	s_wait_dscnt 0x0
	ds_store_b64 v54, v[40:41] offset:5184
	ds_load_b64 v[40:41], v56 offset:4184
	s_wait_dscnt 0x0
	ds_store_b64 v54, v[40:41] offset:5696
.LBB57_171:                             ;   in Loop: Header=BB57_3 Depth=1
	s_or_b32 exec_lo, exec_lo, s19
	s_wait_dscnt 0x0
	s_barrier_signal -1
	s_barrier_wait -1
	s_and_saveexec_b32 s19, s10
	s_cbranch_execz .LBB57_173
; %bb.172:                              ;   in Loop: Header=BB57_3 Depth=1
	ds_load_b64 v[40:41], v7 offset:5208
	v_add_nc_u32_e64 v3, 0x50, 0
	ds_store_b64 v7, v[26:27] offset:5720
	s_wait_dscnt 0x1
	ds_store_2addr_stride64_b64 v3, v[26:27], v[40:41] offset0:10 offset1:11
.LBB57_173:                             ;   in Loop: Header=BB57_3 Depth=1
	s_or_b32 exec_lo, exec_lo, s19
	v_mov_b64_e32 v[40:41], 0
	s_wait_dscnt 0x0
	s_barrier_signal -1
	s_barrier_wait -1
	s_and_saveexec_b32 s61, s2
	s_cbranch_execz .LBB57_179
; %bb.174:                              ;   in Loop: Header=BB57_3 Depth=1
	ds_load_b64 v[40:41], v67 offset:4192
	ds_load_b64 v[42:43], v55 offset:4160
	s_wait_dscnt 0x0
	v_dual_mul_f32 v3, v43, v41 :: v_dual_mul_f32 v41, v42, v41
	s_delay_alu instid0(VALU_DEP_1) | instskip(NEXT) | instid1(VALU_DEP_1)
	v_dual_fma_f32 v3, v42, v40, -v3 :: v_dual_fmac_f32 v41, v43, v40
	v_dual_add_f32 v40, 0, v3 :: v_dual_add_f32 v41, 0, v41
	s_and_saveexec_b32 s19, s12
	s_cbranch_execnz .LBB57_1084
; %bb.175:                              ;   in Loop: Header=BB57_3 Depth=1
	s_or_b32 exec_lo, exec_lo, s19
	s_and_saveexec_b32 s19, s13
	s_cbranch_execnz .LBB57_1085
.LBB57_176:                             ;   in Loop: Header=BB57_3 Depth=1
	s_or_b32 exec_lo, exec_lo, s19
	s_and_saveexec_b32 s19, s0
	s_cbranch_execz .LBB57_178
.LBB57_177:                             ;   in Loop: Header=BB57_3 Depth=1
	ds_load_b64 v[42:43], v58 offset:5728
	ds_load_b64 v[44:45], v7 offset:4184
	s_wait_dscnt 0x0
	v_dual_mul_f32 v3, v45, v43 :: v_dual_mul_f32 v99, v44, v43
	s_delay_alu instid0(VALU_DEP_1) | instskip(NEXT) | instid1(VALU_DEP_2)
	v_fma_f32 v98, v44, v42, -v3
	v_fmac_f32_e32 v99, v45, v42
	s_delay_alu instid0(VALU_DEP_1)
	v_pk_add_f32 v[40:41], v[40:41], v[98:99]
.LBB57_178:                             ;   in Loop: Header=BB57_3 Depth=1
	s_or_b32 exec_lo, exec_lo, s19
	s_delay_alu instid0(VALU_DEP_1)
	v_pk_add_f32 v[40:41], v[40:41], 0 neg_lo:[1,1] neg_hi:[1,1]
.LBB57_179:                             ;   in Loop: Header=BB57_3 Depth=1
	s_or_b32 exec_lo, exec_lo, s61
	s_and_saveexec_b32 s19, s95
; %bb.180:                              ;   in Loop: Header=BB57_3 Depth=1
	ds_store_b64 v65, v[40:41]
; %bb.181:                              ;   in Loop: Header=BB57_3 Depth=1
	s_or_b32 exec_lo, exec_lo, s19
	s_wait_dscnt 0x0
	s_barrier_signal -1
	s_barrier_wait -1
	s_and_saveexec_b32 s19, s96
	s_cbranch_execz .LBB57_183
; %bb.182:                              ;   in Loop: Header=BB57_3 Depth=1
	ds_load_b64 v[42:43], v62 offset:6240
	ds_load_b64 v[44:45], v65
	s_wait_dscnt 0x0
	v_pk_mul_f32 v[98:99], v[44:45], v[42:43] op_sel:[1,1] op_sel_hi:[0,1]
	s_delay_alu instid0(VALU_DEP_1) | instskip(SKIP_1) | instid1(VALU_DEP_2)
	v_pk_fma_f32 v[100:101], v[44:45], v[42:43], v[98:99] op_sel_hi:[1,0,1]
	v_pk_fma_f32 v[42:43], v[44:45], v[42:43], v[98:99] neg_lo:[0,0,1] neg_hi:[0,0,1]
	v_mov_b32_e32 v43, v101
	s_delay_alu instid0(VALU_DEP_1)
	v_pk_add_f32 v[40:41], v[40:41], v[42:43]
.LBB57_183:                             ;   in Loop: Header=BB57_3 Depth=1
	s_or_b32 exec_lo, exec_lo, s19
	s_barrier_signal -1
	s_barrier_wait -1
	s_and_saveexec_b32 s19, s97
; %bb.184:                              ;   in Loop: Header=BB57_3 Depth=1
	ds_store_b64 v65, v[40:41]
; %bb.185:                              ;   in Loop: Header=BB57_3 Depth=1
	s_or_b32 exec_lo, exec_lo, s19
	s_wait_dscnt 0x0
	s_barrier_signal -1
	s_barrier_wait -1
	s_and_saveexec_b32 s19, s98
	s_cbranch_execz .LBB57_187
; %bb.186:                              ;   in Loop: Header=BB57_3 Depth=1
	ds_load_b64 v[42:43], v62 offset:6752
	ds_load_b64 v[44:45], v65
	s_wait_dscnt 0x0
	v_pk_mul_f32 v[98:99], v[44:45], v[42:43] op_sel:[1,1] op_sel_hi:[0,1]
	s_delay_alu instid0(VALU_DEP_1) | instskip(SKIP_1) | instid1(VALU_DEP_2)
	v_pk_fma_f32 v[100:101], v[44:45], v[42:43], v[98:99] op_sel_hi:[1,0,1]
	v_pk_fma_f32 v[42:43], v[44:45], v[42:43], v[98:99] neg_lo:[0,0,1] neg_hi:[0,0,1]
	v_mov_b32_e32 v43, v101
	s_delay_alu instid0(VALU_DEP_1)
	v_pk_add_f32 v[40:41], v[40:41], v[42:43]
.LBB57_187:                             ;   in Loop: Header=BB57_3 Depth=1
	s_or_b32 exec_lo, exec_lo, s19
	s_barrier_signal -1
	s_barrier_wait -1
	;; [unrolled: 25-line block ×3, first 2 shown]
	s_and_saveexec_b32 s19, s100
; %bb.192:                              ;   in Loop: Header=BB57_3 Depth=1
	ds_store_b64 v65, v[40:41]
; %bb.193:                              ;   in Loop: Header=BB57_3 Depth=1
	s_or_b32 exec_lo, exec_lo, s19
	s_wait_dscnt 0x0
	s_barrier_signal -1
	s_barrier_wait -1
	s_barrier_signal -1
	s_barrier_wait -1
	s_and_saveexec_b32 s19, s2
; %bb.194:                              ;   in Loop: Header=BB57_3 Depth=1
	v_pk_add_f32 v[40:41], v[40:41], 0 neg_lo:[1,1] neg_hi:[1,1]
	ds_store_b64 v67, v[40:41] offset:4192
; %bb.195:                              ;   in Loop: Header=BB57_3 Depth=1
	s_or_b32 exec_lo, exec_lo, s19
	s_wait_dscnt 0x0
	s_barrier_signal -1
	s_barrier_wait -1
	s_barrier_signal -1
	s_barrier_wait -1
	s_and_saveexec_b32 s19, s101
	s_cbranch_execz .LBB57_197
; %bb.196:                              ;   in Loop: Header=BB57_3 Depth=1
	ds_load_b64 v[40:41], v60 offset:4192
	s_wait_dscnt 0x0
	ds_store_b64 v78, v[40:41] offset:6208
	ds_load_b64 v[40:41], v60 offset:4200
	s_wait_dscnt 0x0
	ds_store_b64 v78, v[40:41] offset:6720
	;; [unrolled: 3-line block ×4, first 2 shown]
.LBB57_197:                             ;   in Loop: Header=BB57_3 Depth=1
	s_or_b32 exec_lo, exec_lo, s19
	s_wait_dscnt 0x0
	s_barrier_signal -1
	s_barrier_wait -1
	s_and_saveexec_b32 s19, s10
	s_cbranch_execz .LBB57_199
; %bb.198:                              ;   in Loop: Header=BB57_3 Depth=1
	ds_load_b64 v[40:41], v7 offset:6248
	v_add_nc_u32_e64 v3, 0x60, 0
	ds_store_b64 v7, v[26:27] offset:6760
	s_wait_dscnt 0x1
	ds_store_2addr_stride64_b64 v3, v[26:27], v[40:41] offset0:12 offset1:13
.LBB57_199:                             ;   in Loop: Header=BB57_3 Depth=1
	s_or_b32 exec_lo, exec_lo, s19
	v_mov_b64_e32 v[40:41], 0
	s_wait_dscnt 0x0
	s_barrier_signal -1
	s_barrier_wait -1
	s_and_saveexec_b32 s19, s0
	s_cbranch_execz .LBB57_203
; %bb.200:                              ;   in Loop: Header=BB57_3 Depth=1
	ds_load_b64 v[40:41], v63 offset:6256
	ds_load_b64 v[42:43], v64 offset:6240
	s_wait_dscnt 0x0
	v_pk_mul_f32 v[44:45], v[42:43], v[40:41] op_sel:[1,1] op_sel_hi:[0,1]
	s_delay_alu instid0(VALU_DEP_1) | instskip(SKIP_1) | instid1(VALU_DEP_2)
	v_pk_fma_f32 v[98:99], v[42:43], v[40:41], v[44:45] op_sel_hi:[1,0,1]
	v_pk_fma_f32 v[40:41], v[42:43], v[40:41], v[44:45] neg_lo:[0,0,1] neg_hi:[0,0,1]
	v_mov_b32_e32 v41, v99
	s_delay_alu instid0(VALU_DEP_1)
	v_pk_add_f32 v[40:41], v[40:41], 0 op_sel_hi:[1,0]
	s_and_saveexec_b32 s21, s11
	s_cbranch_execz .LBB57_202
; %bb.201:                              ;   in Loop: Header=BB57_3 Depth=1
	ds_load_b64 v[42:43], v78 offset:6768
	ds_load_b64 v[44:45], v7 offset:6248
	s_wait_dscnt 0x0
	v_pk_mul_f32 v[98:99], v[44:45], v[42:43] op_sel:[1,1] op_sel_hi:[0,1]
	s_delay_alu instid0(VALU_DEP_1) | instskip(SKIP_1) | instid1(VALU_DEP_2)
	v_pk_fma_f32 v[100:101], v[44:45], v[42:43], v[98:99] op_sel_hi:[1,0,1]
	v_pk_fma_f32 v[42:43], v[44:45], v[42:43], v[98:99] neg_lo:[0,0,1] neg_hi:[0,0,1]
	v_mov_b32_e32 v43, v101
	s_delay_alu instid0(VALU_DEP_1)
	v_pk_add_f32 v[40:41], v[40:41], v[42:43]
.LBB57_202:                             ;   in Loop: Header=BB57_3 Depth=1
	s_or_b32 exec_lo, exec_lo, s21
	s_delay_alu instid0(VALU_DEP_1)
	v_pk_add_f32 v[40:41], v[40:41], 0 neg_lo:[1,1] neg_hi:[1,1]
.LBB57_203:                             ;   in Loop: Header=BB57_3 Depth=1
	s_or_b32 exec_lo, exec_lo, s19
	s_and_saveexec_b32 s19, s92
; %bb.204:                              ;   in Loop: Header=BB57_3 Depth=1
	ds_store_b64 v53, v[40:41]
; %bb.205:                              ;   in Loop: Header=BB57_3 Depth=1
	s_or_b32 exec_lo, exec_lo, s19
	s_wait_dscnt 0x0
	s_barrier_signal -1
	s_barrier_wait -1
	s_and_saveexec_b32 s19, s93
	s_cbranch_execz .LBB57_207
; %bb.206:                              ;   in Loop: Header=BB57_3 Depth=1
	ds_load_b64 v[42:43], v7 offset:7288
	ds_load_b64 v[44:45], v53
	s_wait_dscnt 0x0
	v_pk_mul_f32 v[98:99], v[44:45], v[42:43] op_sel:[1,1] op_sel_hi:[0,1]
	s_delay_alu instid0(VALU_DEP_1) | instskip(SKIP_1) | instid1(VALU_DEP_2)
	v_pk_fma_f32 v[100:101], v[44:45], v[42:43], v[98:99] op_sel_hi:[1,0,1]
	v_pk_fma_f32 v[42:43], v[44:45], v[42:43], v[98:99] neg_lo:[0,0,1] neg_hi:[0,0,1]
	v_mov_b32_e32 v43, v101
	s_delay_alu instid0(VALU_DEP_1)
	v_pk_add_f32 v[40:41], v[40:41], v[42:43]
.LBB57_207:                             ;   in Loop: Header=BB57_3 Depth=1
	s_or_b32 exec_lo, exec_lo, s19
	s_barrier_signal -1
	s_barrier_wait -1
	s_and_saveexec_b32 s19, s93
; %bb.208:                              ;   in Loop: Header=BB57_3 Depth=1
	ds_store_b64 v53, v[40:41]
; %bb.209:                              ;   in Loop: Header=BB57_3 Depth=1
	s_or_b32 exec_lo, exec_lo, s19
	s_wait_dscnt 0x0
	s_barrier_signal -1
	s_barrier_wait -1
	s_barrier_signal -1
	s_barrier_wait -1
	s_and_saveexec_b32 s19, s0
; %bb.210:                              ;   in Loop: Header=BB57_3 Depth=1
	v_pk_add_f32 v[40:41], v[40:41], 0 neg_lo:[1,1] neg_hi:[1,1]
	ds_store_b64 v63, v[40:41] offset:6256
; %bb.211:                              ;   in Loop: Header=BB57_3 Depth=1
	s_or_b32 exec_lo, exec_lo, s19
	s_wait_dscnt 0x0
	s_barrier_signal -1
	s_barrier_wait -1
	s_barrier_signal -1
	s_barrier_wait -1
	s_and_saveexec_b32 s19, s94
	s_cbranch_execz .LBB57_213
; %bb.212:                              ;   in Loop: Header=BB57_3 Depth=1
	ds_load_b64 v[40:41], v79 offset:6256
	s_wait_dscnt 0x0
	ds_store_b64 v78, v[40:41] offset:7264
	ds_load_b64 v[40:41], v79 offset:6264
	s_wait_dscnt 0x0
	ds_store_b64 v78, v[40:41] offset:7776
.LBB57_213:                             ;   in Loop: Header=BB57_3 Depth=1
	s_or_b32 exec_lo, exec_lo, s19
	s_wait_dscnt 0x0
	s_barrier_signal -1
	s_barrier_wait -1
	s_and_saveexec_b32 s19, s10
	s_cbranch_execz .LBB57_215
; %bb.214:                              ;   in Loop: Header=BB57_3 Depth=1
	ds_load_b64 v[40:41], v7 offset:7288
	v_add_nc_u32_e64 v3, 0x70, 0
	ds_store_b64 v7, v[26:27] offset:7800
	s_wait_dscnt 0x1
	ds_store_2addr_stride64_b64 v3, v[26:27], v[40:41] offset0:14 offset1:15
.LBB57_215:                             ;   in Loop: Header=BB57_3 Depth=1
	s_or_b32 exec_lo, exec_lo, s19
	v_mov_b64_e32 v[40:41], 0
	s_wait_dscnt 0x0
	s_barrier_signal -1
	s_barrier_wait -1
	s_and_saveexec_b32 s82, s4
	s_cbranch_execz .LBB57_243
; %bb.216:                              ;   in Loop: Header=BB57_3 Depth=1
	ds_load_b64 v[40:41], v74 offset:128
	ds_load_b64 v[42:43], v59
	s_wait_dscnt 0x0
	v_dual_mul_f32 v3, v43, v41 :: v_dual_mul_f32 v41, v42, v41
	s_delay_alu instid0(VALU_DEP_1) | instskip(NEXT) | instid1(VALU_DEP_1)
	v_dual_fma_f32 v3, v42, v40, -v3 :: v_dual_fmac_f32 v41, v43, v40
	v_dual_add_f32 v40, 0, v3 :: v_dual_add_f32 v41, 0, v41
	s_mov_b32 s19, exec_lo
	v_readlane_b32 s21, v106, 24
	s_and_b32 s21, s19, s21
	s_delay_alu instid0(SALU_CYCLE_1)
	s_mov_b32 exec_lo, s21
	s_cbranch_execz .LBB57_218
; %bb.217:                              ;   in Loop: Header=BB57_3 Depth=1
	ds_load_b64 v[42:43], v75 offset:640
	ds_load_b64 v[44:45], v59 offset:8
	s_wait_dscnt 0x0
	v_dual_mul_f32 v3, v45, v43 :: v_dual_mul_f32 v43, v44, v43
	s_delay_alu instid0(VALU_DEP_1) | instskip(NEXT) | instid1(VALU_DEP_1)
	v_fmac_f32_e32 v43, v45, v42
	v_dual_fma_f32 v3, v44, v42, -v3 :: v_dual_add_f32 v41, v41, v43
	s_delay_alu instid0(VALU_DEP_1)
	v_add_f32_e32 v40, v40, v3
.LBB57_218:                             ;   in Loop: Header=BB57_3 Depth=1
	s_or_b32 exec_lo, exec_lo, s19
	s_delay_alu instid0(SALU_CYCLE_1) | instskip(SKIP_2) | instid1(SALU_CYCLE_1)
	s_mov_b32 s19, exec_lo
	v_readlane_b32 s21, v106, 25
	s_and_b32 s21, s19, s21
	s_mov_b32 exec_lo, s21
	s_cbranch_execz .LBB57_220
; %bb.219:                              ;   in Loop: Header=BB57_3 Depth=1
	ds_load_b64 v[42:43], v75 offset:1152
	ds_load_b64 v[44:45], v59 offset:16
	s_wait_dscnt 0x0
	v_dual_mul_f32 v3, v45, v43 :: v_dual_mul_f32 v43, v44, v43
	s_delay_alu instid0(VALU_DEP_1) | instskip(NEXT) | instid1(VALU_DEP_1)
	v_fmac_f32_e32 v43, v45, v42
	v_dual_fma_f32 v3, v44, v42, -v3 :: v_dual_add_f32 v41, v41, v43
	s_delay_alu instid0(VALU_DEP_1)
	v_add_f32_e32 v40, v40, v3
.LBB57_220:                             ;   in Loop: Header=BB57_3 Depth=1
	s_or_b32 exec_lo, exec_lo, s19
	s_delay_alu instid0(SALU_CYCLE_1) | instskip(SKIP_2) | instid1(SALU_CYCLE_1)
	s_mov_b32 s19, exec_lo
	v_readlane_b32 s21, v106, 26
	s_and_b32 s21, s19, s21
	;; [unrolled: 18-line block ×10, first 2 shown]
	s_mov_b32 exec_lo, s21
	s_cbranch_execnz .LBB57_1086
; %bb.237:                              ;   in Loop: Header=BB57_3 Depth=1
	s_or_b32 exec_lo, exec_lo, s19
	s_and_saveexec_b32 s19, s3
	s_cbranch_execnz .LBB57_1087
.LBB57_238:                             ;   in Loop: Header=BB57_3 Depth=1
	s_or_b32 exec_lo, exec_lo, s19
	s_and_saveexec_b32 s19, s15
	s_cbranch_execnz .LBB57_1088
.LBB57_239:                             ;   in Loop: Header=BB57_3 Depth=1
	s_or_b32 exec_lo, exec_lo, s19
	s_and_saveexec_b32 s19, s17
	s_cbranch_execnz .LBB57_1089
.LBB57_240:                             ;   in Loop: Header=BB57_3 Depth=1
	s_or_b32 exec_lo, exec_lo, s19
	s_and_saveexec_b32 s19, s2
	s_cbranch_execz .LBB57_242
.LBB57_241:                             ;   in Loop: Header=BB57_3 Depth=1
	ds_load_b64 v[42:43], v5 offset:7808
	ds_load_b64 v[44:45], v7 offset:120
	s_wait_dscnt 0x0
	v_dual_mul_f32 v3, v45, v43 :: v_dual_mul_f32 v99, v44, v43
	s_delay_alu instid0(VALU_DEP_1) | instskip(NEXT) | instid1(VALU_DEP_2)
	v_fma_f32 v98, v44, v42, -v3
	v_fmac_f32_e32 v99, v45, v42
	s_delay_alu instid0(VALU_DEP_1)
	v_pk_add_f32 v[40:41], v[40:41], v[98:99]
.LBB57_242:                             ;   in Loop: Header=BB57_3 Depth=1
	s_or_b32 exec_lo, exec_lo, s19
	s_delay_alu instid0(VALU_DEP_1)
	v_pk_add_f32 v[40:41], v[40:41], 0 neg_lo:[1,1] neg_hi:[1,1]
.LBB57_243:                             ;   in Loop: Header=BB57_3 Depth=1
	s_or_b32 exec_lo, exec_lo, s82
	s_delay_alu instid0(SALU_CYCLE_1) | instskip(SKIP_2) | instid1(SALU_CYCLE_1)
	s_mov_b32 s19, exec_lo
	v_readlane_b32 s21, v106, 1
	s_and_b32 s21, s19, s21
	s_mov_b32 exec_lo, s21
; %bb.244:                              ;   in Loop: Header=BB57_3 Depth=1
	ds_store_b64 v73, v[40:41]
; %bb.245:                              ;   in Loop: Header=BB57_3 Depth=1
	s_or_b32 exec_lo, exec_lo, s19
	s_wait_dscnt 0x0
	s_barrier_signal -1
	s_barrier_wait -1
	s_mov_b32 s19, exec_lo
	v_readlane_b32 s21, v106, 2
	s_and_b32 s21, s19, s21
	s_delay_alu instid0(SALU_CYCLE_1)
	s_mov_b32 exec_lo, s21
	s_cbranch_execz .LBB57_247
; %bb.246:                              ;   in Loop: Header=BB57_3 Depth=1
	ds_load_b64 v[42:43], v69 offset:8320
	ds_load_b64 v[44:45], v73
	s_wait_dscnt 0x0
	v_pk_mul_f32 v[98:99], v[44:45], v[42:43] op_sel:[1,1] op_sel_hi:[0,1]
	s_delay_alu instid0(VALU_DEP_1) | instskip(SKIP_1) | instid1(VALU_DEP_2)
	v_pk_fma_f32 v[100:101], v[44:45], v[42:43], v[98:99] op_sel_hi:[1,0,1]
	v_pk_fma_f32 v[42:43], v[44:45], v[42:43], v[98:99] neg_lo:[0,0,1] neg_hi:[0,0,1]
	v_mov_b32_e32 v43, v101
	s_delay_alu instid0(VALU_DEP_1)
	v_pk_add_f32 v[40:41], v[40:41], v[42:43]
.LBB57_247:                             ;   in Loop: Header=BB57_3 Depth=1
	s_or_b32 exec_lo, exec_lo, s19
	s_barrier_signal -1
	s_barrier_wait -1
	s_mov_b32 s19, exec_lo
	v_readlane_b32 s21, v106, 3
	s_and_b32 s21, s19, s21
	s_delay_alu instid0(SALU_CYCLE_1)
	s_mov_b32 exec_lo, s21
; %bb.248:                              ;   in Loop: Header=BB57_3 Depth=1
	ds_store_b64 v73, v[40:41]
; %bb.249:                              ;   in Loop: Header=BB57_3 Depth=1
	s_or_b32 exec_lo, exec_lo, s19
	s_wait_dscnt 0x0
	s_barrier_signal -1
	s_barrier_wait -1
	s_mov_b32 s19, exec_lo
	v_readlane_b32 s21, v106, 4
	s_and_b32 s21, s19, s21
	s_delay_alu instid0(SALU_CYCLE_1)
	s_mov_b32 exec_lo, s21
	s_cbranch_execz .LBB57_251
; %bb.250:                              ;   in Loop: Header=BB57_3 Depth=1
	ds_load_b64 v[42:43], v69 offset:8832
	ds_load_b64 v[44:45], v73
	s_wait_dscnt 0x0
	v_pk_mul_f32 v[98:99], v[44:45], v[42:43] op_sel:[1,1] op_sel_hi:[0,1]
	s_delay_alu instid0(VALU_DEP_1) | instskip(SKIP_1) | instid1(VALU_DEP_2)
	v_pk_fma_f32 v[100:101], v[44:45], v[42:43], v[98:99] op_sel_hi:[1,0,1]
	v_pk_fma_f32 v[42:43], v[44:45], v[42:43], v[98:99] neg_lo:[0,0,1] neg_hi:[0,0,1]
	v_mov_b32_e32 v43, v101
	s_delay_alu instid0(VALU_DEP_1)
	v_pk_add_f32 v[40:41], v[40:41], v[42:43]
.LBB57_251:                             ;   in Loop: Header=BB57_3 Depth=1
	s_or_b32 exec_lo, exec_lo, s19
	s_barrier_signal -1
	s_barrier_wait -1
	s_mov_b32 s19, exec_lo
	v_readlane_b32 s21, v106, 5
	s_and_b32 s21, s19, s21
	s_delay_alu instid0(SALU_CYCLE_1)
	;; [unrolled: 33-line block ×3, first 2 shown]
	s_mov_b32 exec_lo, s21
; %bb.256:                              ;   in Loop: Header=BB57_3 Depth=1
	ds_store_b64 v73, v[40:41]
; %bb.257:                              ;   in Loop: Header=BB57_3 Depth=1
	s_or_b32 exec_lo, exec_lo, s19
	s_wait_dscnt 0x0
	s_barrier_signal -1
	s_barrier_wait -1
	s_mov_b32 s19, exec_lo
	v_readlane_b32 s21, v106, 8
	s_and_b32 s21, s19, s21
	s_delay_alu instid0(SALU_CYCLE_1)
	s_mov_b32 exec_lo, s21
	s_cbranch_execz .LBB57_259
; %bb.258:                              ;   in Loop: Header=BB57_3 Depth=1
	ds_load_b64 v[42:43], v69 offset:9856
	ds_load_b64 v[44:45], v73
	s_wait_dscnt 0x0
	v_dual_mul_f32 v3, v45, v43 :: v_dual_mul_f32 v43, v44, v43
	s_delay_alu instid0(VALU_DEP_1) | instskip(NEXT) | instid1(VALU_DEP_1)
	v_fmac_f32_e32 v43, v45, v42
	v_dual_fma_f32 v3, v44, v42, -v3 :: v_dual_add_f32 v41, v41, v43
	s_delay_alu instid0(VALU_DEP_1)
	v_add_f32_e32 v40, v40, v3
.LBB57_259:                             ;   in Loop: Header=BB57_3 Depth=1
	s_or_b32 exec_lo, exec_lo, s19
	s_barrier_signal -1
	s_barrier_wait -1
	s_mov_b32 s19, exec_lo
	v_readlane_b32 s21, v106, 9
	s_and_b32 s21, s19, s21
	s_delay_alu instid0(SALU_CYCLE_1)
	s_mov_b32 exec_lo, s21
; %bb.260:                              ;   in Loop: Header=BB57_3 Depth=1
	ds_store_b64 v73, v[40:41]
; %bb.261:                              ;   in Loop: Header=BB57_3 Depth=1
	s_or_b32 exec_lo, exec_lo, s19
	s_wait_dscnt 0x0
	s_barrier_signal -1
	s_barrier_wait -1
	s_mov_b32 s19, exec_lo
	v_readlane_b32 s21, v106, 10
	s_and_b32 s21, s19, s21
	s_delay_alu instid0(SALU_CYCLE_1)
	s_mov_b32 exec_lo, s21
	s_cbranch_execz .LBB57_263
; %bb.262:                              ;   in Loop: Header=BB57_3 Depth=1
	ds_load_b64 v[42:43], v69 offset:10368
	ds_load_b64 v[44:45], v73
	s_wait_dscnt 0x0
	v_dual_mul_f32 v3, v45, v43 :: v_dual_mul_f32 v99, v44, v43
	s_delay_alu instid0(VALU_DEP_1) | instskip(NEXT) | instid1(VALU_DEP_2)
	v_fma_f32 v98, v44, v42, -v3
	v_fmac_f32_e32 v99, v45, v42
	s_delay_alu instid0(VALU_DEP_1)
	v_pk_add_f32 v[40:41], v[40:41], v[98:99]
.LBB57_263:                             ;   in Loop: Header=BB57_3 Depth=1
	s_or_b32 exec_lo, exec_lo, s19
	s_barrier_signal -1
	s_barrier_wait -1
	s_mov_b32 s19, exec_lo
	v_readlane_b32 s21, v106, 11
	s_and_b32 s21, s19, s21
	s_delay_alu instid0(SALU_CYCLE_1)
	s_mov_b32 exec_lo, s21
; %bb.264:                              ;   in Loop: Header=BB57_3 Depth=1
	ds_store_b64 v73, v[40:41]
; %bb.265:                              ;   in Loop: Header=BB57_3 Depth=1
	s_or_b32 exec_lo, exec_lo, s19
	s_wait_dscnt 0x0
	s_barrier_signal -1
	s_barrier_wait -1
	s_mov_b32 s19, exec_lo
	v_readlane_b32 s21, v106, 12
	s_and_b32 s21, s19, s21
	s_delay_alu instid0(SALU_CYCLE_1)
	s_mov_b32 exec_lo, s21
	s_cbranch_execz .LBB57_267
; %bb.266:                              ;   in Loop: Header=BB57_3 Depth=1
	ds_load_b64 v[42:43], v69 offset:10880
	ds_load_b64 v[44:45], v73
	s_wait_dscnt 0x0
	v_pk_mul_f32 v[98:99], v[44:45], v[42:43] op_sel:[1,1] op_sel_hi:[0,1]
	s_delay_alu instid0(VALU_DEP_1) | instskip(SKIP_1) | instid1(VALU_DEP_2)
	v_pk_fma_f32 v[100:101], v[44:45], v[42:43], v[98:99] op_sel_hi:[1,0,1]
	v_pk_fma_f32 v[42:43], v[44:45], v[42:43], v[98:99] neg_lo:[0,0,1] neg_hi:[0,0,1]
	v_mov_b32_e32 v43, v101
	s_delay_alu instid0(VALU_DEP_1)
	v_pk_add_f32 v[40:41], v[40:41], v[42:43]
.LBB57_267:                             ;   in Loop: Header=BB57_3 Depth=1
	s_or_b32 exec_lo, exec_lo, s19
	s_barrier_signal -1
	s_barrier_wait -1
	s_mov_b32 s19, exec_lo
	v_readlane_b32 s21, v106, 13
	s_and_b32 s21, s19, s21
	s_delay_alu instid0(SALU_CYCLE_1)
	s_mov_b32 exec_lo, s21
; %bb.268:                              ;   in Loop: Header=BB57_3 Depth=1
	ds_store_b64 v73, v[40:41]
; %bb.269:                              ;   in Loop: Header=BB57_3 Depth=1
	s_or_b32 exec_lo, exec_lo, s19
	s_wait_dscnt 0x0
	s_barrier_signal -1
	s_barrier_wait -1
	s_and_saveexec_b32 s19, s27
	s_cbranch_execz .LBB57_271
; %bb.270:                              ;   in Loop: Header=BB57_3 Depth=1
	ds_load_b64 v[42:43], v69 offset:11392
	ds_load_b64 v[44:45], v73
	s_wait_dscnt 0x0
	v_pk_mul_f32 v[98:99], v[44:45], v[42:43] op_sel:[1,1] op_sel_hi:[0,1]
	s_delay_alu instid0(VALU_DEP_1) | instskip(SKIP_1) | instid1(VALU_DEP_2)
	v_pk_fma_f32 v[100:101], v[44:45], v[42:43], v[98:99] op_sel_hi:[1,0,1]
	v_pk_fma_f32 v[42:43], v[44:45], v[42:43], v[98:99] neg_lo:[0,0,1] neg_hi:[0,0,1]
	v_mov_b32_e32 v43, v101
	s_delay_alu instid0(VALU_DEP_1)
	v_pk_add_f32 v[40:41], v[40:41], v[42:43]
.LBB57_271:                             ;   in Loop: Header=BB57_3 Depth=1
	s_or_b32 exec_lo, exec_lo, s19
	s_barrier_signal -1
	s_barrier_wait -1
	s_and_saveexec_b32 s19, s29
; %bb.272:                              ;   in Loop: Header=BB57_3 Depth=1
	ds_store_b64 v73, v[40:41]
; %bb.273:                              ;   in Loop: Header=BB57_3 Depth=1
	s_or_b32 exec_lo, exec_lo, s19
	s_wait_dscnt 0x0
	s_barrier_signal -1
	s_barrier_wait -1
	s_and_saveexec_b32 s19, s34
	s_cbranch_execz .LBB57_275
; %bb.274:                              ;   in Loop: Header=BB57_3 Depth=1
	ds_load_b64 v[42:43], v69 offset:11904
	ds_load_b64 v[44:45], v73
	s_wait_dscnt 0x0
	v_pk_mul_f32 v[98:99], v[44:45], v[42:43] op_sel:[1,1] op_sel_hi:[0,1]
	s_delay_alu instid0(VALU_DEP_1) | instskip(SKIP_1) | instid1(VALU_DEP_2)
	v_pk_fma_f32 v[100:101], v[44:45], v[42:43], v[98:99] op_sel_hi:[1,0,1]
	v_pk_fma_f32 v[42:43], v[44:45], v[42:43], v[98:99] neg_lo:[0,0,1] neg_hi:[0,0,1]
	v_mov_b32_e32 v43, v101
	s_delay_alu instid0(VALU_DEP_1)
	v_pk_add_f32 v[40:41], v[40:41], v[42:43]
.LBB57_275:                             ;   in Loop: Header=BB57_3 Depth=1
	s_or_b32 exec_lo, exec_lo, s19
	s_barrier_signal -1
	s_barrier_wait -1
	s_and_saveexec_b32 s19, s35
	;; [unrolled: 25-line block ×3, first 2 shown]
; %bb.280:                              ;   in Loop: Header=BB57_3 Depth=1
	ds_store_b64 v73, v[40:41]
; %bb.281:                              ;   in Loop: Header=BB57_3 Depth=1
	s_or_b32 exec_lo, exec_lo, s19
	s_wait_dscnt 0x0
	s_barrier_signal -1
	s_barrier_wait -1
	s_and_saveexec_b32 s19, s20
	s_cbranch_execz .LBB57_283
; %bb.282:                              ;   in Loop: Header=BB57_3 Depth=1
	ds_load_b64 v[42:43], v69 offset:12928
	ds_load_b64 v[44:45], v73
	s_wait_dscnt 0x0
	v_dual_mul_f32 v3, v45, v43 :: v_dual_mul_f32 v43, v44, v43
	s_delay_alu instid0(VALU_DEP_1) | instskip(NEXT) | instid1(VALU_DEP_1)
	v_fmac_f32_e32 v43, v45, v42
	v_dual_fma_f32 v3, v44, v42, -v3 :: v_dual_add_f32 v41, v41, v43
	s_delay_alu instid0(VALU_DEP_1)
	v_add_f32_e32 v40, v40, v3
.LBB57_283:                             ;   in Loop: Header=BB57_3 Depth=1
	s_or_b32 exec_lo, exec_lo, s19
	s_barrier_signal -1
	s_barrier_wait -1
	s_and_saveexec_b32 s19, s22
; %bb.284:                              ;   in Loop: Header=BB57_3 Depth=1
	ds_store_b64 v73, v[40:41]
; %bb.285:                              ;   in Loop: Header=BB57_3 Depth=1
	s_or_b32 exec_lo, exec_lo, s19
	s_wait_dscnt 0x0
	s_barrier_signal -1
	s_barrier_wait -1
	s_and_saveexec_b32 s19, s24
	s_cbranch_execz .LBB57_287
; %bb.286:                              ;   in Loop: Header=BB57_3 Depth=1
	ds_load_b64 v[42:43], v69 offset:13440
	ds_load_b64 v[44:45], v73
	s_wait_dscnt 0x0
	v_dual_mul_f32 v3, v45, v43 :: v_dual_mul_f32 v99, v44, v43
	s_delay_alu instid0(VALU_DEP_1) | instskip(NEXT) | instid1(VALU_DEP_2)
	v_fma_f32 v98, v44, v42, -v3
	v_fmac_f32_e32 v99, v45, v42
	s_delay_alu instid0(VALU_DEP_1)
	v_pk_add_f32 v[40:41], v[40:41], v[98:99]
.LBB57_287:                             ;   in Loop: Header=BB57_3 Depth=1
	s_or_b32 exec_lo, exec_lo, s19
	s_barrier_signal -1
	s_barrier_wait -1
	s_and_saveexec_b32 s19, s26
; %bb.288:                              ;   in Loop: Header=BB57_3 Depth=1
	ds_store_b64 v73, v[40:41]
; %bb.289:                              ;   in Loop: Header=BB57_3 Depth=1
	s_or_b32 exec_lo, exec_lo, s19
	s_wait_dscnt 0x0
	s_barrier_signal -1
	s_barrier_wait -1
	s_and_saveexec_b32 s19, s28
	s_cbranch_execz .LBB57_291
; %bb.290:                              ;   in Loop: Header=BB57_3 Depth=1
	ds_load_b64 v[42:43], v69 offset:13952
	ds_load_b64 v[44:45], v73
	s_wait_dscnt 0x0
	v_pk_mul_f32 v[98:99], v[44:45], v[42:43] op_sel:[1,1] op_sel_hi:[0,1]
	s_delay_alu instid0(VALU_DEP_1) | instskip(SKIP_1) | instid1(VALU_DEP_2)
	v_pk_fma_f32 v[100:101], v[44:45], v[42:43], v[98:99] op_sel_hi:[1,0,1]
	v_pk_fma_f32 v[42:43], v[44:45], v[42:43], v[98:99] neg_lo:[0,0,1] neg_hi:[0,0,1]
	v_mov_b32_e32 v43, v101
	s_delay_alu instid0(VALU_DEP_1)
	v_pk_add_f32 v[40:41], v[40:41], v[42:43]
.LBB57_291:                             ;   in Loop: Header=BB57_3 Depth=1
	s_or_b32 exec_lo, exec_lo, s19
	s_barrier_signal -1
	s_barrier_wait -1
	s_and_saveexec_b32 s19, s90
; %bb.292:                              ;   in Loop: Header=BB57_3 Depth=1
	ds_store_b64 v73, v[40:41]
; %bb.293:                              ;   in Loop: Header=BB57_3 Depth=1
	s_or_b32 exec_lo, exec_lo, s19
	s_wait_dscnt 0x0
	s_barrier_signal -1
	s_barrier_wait -1
	s_and_saveexec_b32 s19, s49
	s_cbranch_execz .LBB57_295
; %bb.294:                              ;   in Loop: Header=BB57_3 Depth=1
	ds_load_b64 v[42:43], v69 offset:14464
	ds_load_b64 v[44:45], v73
	s_wait_dscnt 0x0
	v_pk_mul_f32 v[98:99], v[44:45], v[42:43] op_sel:[1,1] op_sel_hi:[0,1]
	s_delay_alu instid0(VALU_DEP_1) | instskip(SKIP_1) | instid1(VALU_DEP_2)
	v_pk_fma_f32 v[100:101], v[44:45], v[42:43], v[98:99] op_sel_hi:[1,0,1]
	v_pk_fma_f32 v[42:43], v[44:45], v[42:43], v[98:99] neg_lo:[0,0,1] neg_hi:[0,0,1]
	v_mov_b32_e32 v43, v101
	s_delay_alu instid0(VALU_DEP_1)
	v_pk_add_f32 v[40:41], v[40:41], v[42:43]
.LBB57_295:                             ;   in Loop: Header=BB57_3 Depth=1
	;; [unrolled: 25-line block ×4, first 2 shown]
	s_or_b32 exec_lo, exec_lo, s19
	s_barrier_signal -1
	s_barrier_wait -1
	s_and_saveexec_b32 s19, s53
; %bb.304:                              ;   in Loop: Header=BB57_3 Depth=1
	ds_store_b64 v73, v[40:41]
; %bb.305:                              ;   in Loop: Header=BB57_3 Depth=1
	s_or_b32 exec_lo, exec_lo, s19
	s_wait_dscnt 0x0
	s_barrier_signal -1
	s_barrier_wait -1
	s_barrier_signal -1
	s_barrier_wait -1
	s_and_saveexec_b32 s19, s4
; %bb.306:                              ;   in Loop: Header=BB57_3 Depth=1
	v_pk_add_f32 v[40:41], v[40:41], 0 neg_lo:[1,1] neg_hi:[1,1]
	ds_store_b64 v74, v[40:41] offset:128
; %bb.307:                              ;   in Loop: Header=BB57_3 Depth=1
	s_or_b32 exec_lo, exec_lo, s19
	s_wait_dscnt 0x0
	s_barrier_signal -1
	s_barrier_wait -1
	s_barrier_signal -1
	s_barrier_wait -1
	s_and_saveexec_b32 s19, s55
	s_cbranch_execz .LBB57_309
; %bb.308:                              ;   in Loop: Header=BB57_3 Depth=1
	ds_load_b64 v[40:41], v9 offset:128
	s_wait_dscnt 0x0
	ds_store_b64 v47, v[40:41] offset:8192
	ds_load_b64 v[40:41], v9 offset:136
	s_wait_dscnt 0x0
	ds_store_b64 v47, v[40:41] offset:8704
	;; [unrolled: 3-line block ×16, first 2 shown]
.LBB57_309:                             ;   in Loop: Header=BB57_3 Depth=1
	s_or_b32 exec_lo, exec_lo, s19
	s_wait_dscnt 0x0
	s_barrier_signal -1
	s_barrier_wait -1
	s_and_saveexec_b32 s19, s10
	s_cbranch_execz .LBB57_311
; %bb.310:                              ;   in Loop: Header=BB57_3 Depth=1
	ds_load_b64 v[40:41], v7 offset:8328
	v_add_nc_u32_e64 v3, 0x80, 0
	ds_store_b64 v7, v[26:27] offset:8840
	s_wait_dscnt 0x1
	ds_store_2addr_stride64_b64 v3, v[26:27], v[40:41] offset0:16 offset1:17
.LBB57_311:                             ;   in Loop: Header=BB57_3 Depth=1
	s_or_b32 exec_lo, exec_lo, s19
	v_mov_b64_e32 v[40:41], 0
	s_wait_dscnt 0x0
	s_barrier_signal -1
	s_barrier_wait -1
	s_and_saveexec_b32 s19, s0
	s_cbranch_execz .LBB57_315
; %bb.312:                              ;   in Loop: Header=BB57_3 Depth=1
	ds_load_b64 v[40:41], v63 offset:8336
	ds_load_b64 v[42:43], v64 offset:8320
	s_wait_dscnt 0x0
	v_pk_mul_f32 v[44:45], v[42:43], v[40:41] op_sel:[1,1] op_sel_hi:[0,1]
	s_delay_alu instid0(VALU_DEP_1) | instskip(SKIP_1) | instid1(VALU_DEP_2)
	v_pk_fma_f32 v[98:99], v[42:43], v[40:41], v[44:45] op_sel_hi:[1,0,1]
	v_pk_fma_f32 v[40:41], v[42:43], v[40:41], v[44:45] neg_lo:[0,0,1] neg_hi:[0,0,1]
	v_mov_b32_e32 v41, v99
	s_delay_alu instid0(VALU_DEP_1)
	v_pk_add_f32 v[40:41], v[40:41], 0 op_sel_hi:[1,0]
	s_and_saveexec_b32 s21, s11
	s_cbranch_execz .LBB57_314
; %bb.313:                              ;   in Loop: Header=BB57_3 Depth=1
	ds_load_b64 v[42:43], v5 offset:8848
	ds_load_b64 v[44:45], v7 offset:8328
	s_wait_dscnt 0x0
	v_pk_mul_f32 v[98:99], v[44:45], v[42:43] op_sel:[1,1] op_sel_hi:[0,1]
	s_delay_alu instid0(VALU_DEP_1) | instskip(SKIP_1) | instid1(VALU_DEP_2)
	v_pk_fma_f32 v[100:101], v[44:45], v[42:43], v[98:99] op_sel_hi:[1,0,1]
	v_pk_fma_f32 v[42:43], v[44:45], v[42:43], v[98:99] neg_lo:[0,0,1] neg_hi:[0,0,1]
	v_mov_b32_e32 v43, v101
	s_delay_alu instid0(VALU_DEP_1)
	v_pk_add_f32 v[40:41], v[40:41], v[42:43]
.LBB57_314:                             ;   in Loop: Header=BB57_3 Depth=1
	s_or_b32 exec_lo, exec_lo, s21
	s_delay_alu instid0(VALU_DEP_1)
	v_pk_add_f32 v[40:41], v[40:41], 0 neg_lo:[1,1] neg_hi:[1,1]
.LBB57_315:                             ;   in Loop: Header=BB57_3 Depth=1
	s_or_b32 exec_lo, exec_lo, s19
	s_and_saveexec_b32 s19, s92
; %bb.316:                              ;   in Loop: Header=BB57_3 Depth=1
	ds_store_b64 v53, v[40:41]
; %bb.317:                              ;   in Loop: Header=BB57_3 Depth=1
	s_or_b32 exec_lo, exec_lo, s19
	s_wait_dscnt 0x0
	s_barrier_signal -1
	s_barrier_wait -1
	s_and_saveexec_b32 s19, s93
	s_cbranch_execz .LBB57_319
; %bb.318:                              ;   in Loop: Header=BB57_3 Depth=1
	ds_load_b64 v[42:43], v7 offset:9368
	ds_load_b64 v[44:45], v53
	s_wait_dscnt 0x0
	v_pk_mul_f32 v[98:99], v[44:45], v[42:43] op_sel:[1,1] op_sel_hi:[0,1]
	s_delay_alu instid0(VALU_DEP_1) | instskip(SKIP_1) | instid1(VALU_DEP_2)
	v_pk_fma_f32 v[100:101], v[44:45], v[42:43], v[98:99] op_sel_hi:[1,0,1]
	v_pk_fma_f32 v[42:43], v[44:45], v[42:43], v[98:99] neg_lo:[0,0,1] neg_hi:[0,0,1]
	v_mov_b32_e32 v43, v101
	s_delay_alu instid0(VALU_DEP_1)
	v_pk_add_f32 v[40:41], v[40:41], v[42:43]
.LBB57_319:                             ;   in Loop: Header=BB57_3 Depth=1
	s_or_b32 exec_lo, exec_lo, s19
	s_barrier_signal -1
	s_barrier_wait -1
	s_and_saveexec_b32 s19, s93
; %bb.320:                              ;   in Loop: Header=BB57_3 Depth=1
	ds_store_b64 v53, v[40:41]
; %bb.321:                              ;   in Loop: Header=BB57_3 Depth=1
	s_or_b32 exec_lo, exec_lo, s19
	s_wait_dscnt 0x0
	s_barrier_signal -1
	s_barrier_wait -1
	s_barrier_signal -1
	s_barrier_wait -1
	s_and_saveexec_b32 s19, s0
; %bb.322:                              ;   in Loop: Header=BB57_3 Depth=1
	v_pk_add_f32 v[40:41], v[40:41], 0 neg_lo:[1,1] neg_hi:[1,1]
	ds_store_b64 v63, v[40:41] offset:8336
; %bb.323:                              ;   in Loop: Header=BB57_3 Depth=1
	s_or_b32 exec_lo, exec_lo, s19
	s_wait_dscnt 0x0
	s_barrier_signal -1
	s_barrier_wait -1
	s_barrier_signal -1
	s_barrier_wait -1
	s_and_saveexec_b32 s19, s94
	s_cbranch_execz .LBB57_325
; %bb.324:                              ;   in Loop: Header=BB57_3 Depth=1
	ds_load_b64 v[40:41], v9 offset:8336
	s_wait_dscnt 0x0
	ds_store_b64 v5, v[40:41] offset:9344
	ds_load_b64 v[40:41], v9 offset:8344
	s_wait_dscnt 0x0
	ds_store_b64 v5, v[40:41] offset:9856
.LBB57_325:                             ;   in Loop: Header=BB57_3 Depth=1
	s_or_b32 exec_lo, exec_lo, s19
	s_wait_dscnt 0x0
	s_barrier_signal -1
	s_barrier_wait -1
	s_and_saveexec_b32 s19, s10
	s_cbranch_execz .LBB57_327
; %bb.326:                              ;   in Loop: Header=BB57_3 Depth=1
	ds_load_b64 v[40:41], v7 offset:9368
	v_add_nc_u32_e64 v3, 0x90, 0
	ds_store_b64 v7, v[26:27] offset:9880
	s_wait_dscnt 0x1
	ds_store_2addr_stride64_b64 v3, v[26:27], v[40:41] offset0:18 offset1:19
.LBB57_327:                             ;   in Loop: Header=BB57_3 Depth=1
	s_or_b32 exec_lo, exec_lo, s19
	v_mov_b64_e32 v[40:41], 0
	s_wait_dscnt 0x0
	s_barrier_signal -1
	s_barrier_wait -1
	s_and_saveexec_b32 s61, s2
	s_cbranch_execz .LBB57_333
; %bb.328:                              ;   in Loop: Header=BB57_3 Depth=1
	ds_load_b64 v[40:41], v67 offset:8352
	ds_load_b64 v[42:43], v55 offset:8320
	s_wait_dscnt 0x0
	v_dual_mul_f32 v3, v43, v41 :: v_dual_mul_f32 v41, v42, v41
	s_delay_alu instid0(VALU_DEP_1) | instskip(NEXT) | instid1(VALU_DEP_1)
	v_dual_fma_f32 v3, v42, v40, -v3 :: v_dual_fmac_f32 v41, v43, v40
	v_dual_add_f32 v40, 0, v3 :: v_dual_add_f32 v41, 0, v41
	s_and_saveexec_b32 s19, s12
	s_cbranch_execnz .LBB57_1090
; %bb.329:                              ;   in Loop: Header=BB57_3 Depth=1
	s_or_b32 exec_lo, exec_lo, s19
	s_and_saveexec_b32 s19, s13
	s_cbranch_execnz .LBB57_1091
.LBB57_330:                             ;   in Loop: Header=BB57_3 Depth=1
	s_or_b32 exec_lo, exec_lo, s19
	s_and_saveexec_b32 s19, s0
	s_cbranch_execz .LBB57_332
.LBB57_331:                             ;   in Loop: Header=BB57_3 Depth=1
	ds_load_b64 v[42:43], v47 offset:9888
	ds_load_b64 v[44:45], v7 offset:8344
	s_wait_dscnt 0x0
	v_dual_mul_f32 v3, v45, v43 :: v_dual_mul_f32 v99, v44, v43
	s_delay_alu instid0(VALU_DEP_1) | instskip(NEXT) | instid1(VALU_DEP_2)
	v_fma_f32 v98, v44, v42, -v3
	v_fmac_f32_e32 v99, v45, v42
	s_delay_alu instid0(VALU_DEP_1)
	v_pk_add_f32 v[40:41], v[40:41], v[98:99]
.LBB57_332:                             ;   in Loop: Header=BB57_3 Depth=1
	s_or_b32 exec_lo, exec_lo, s19
	s_delay_alu instid0(VALU_DEP_1)
	v_pk_add_f32 v[40:41], v[40:41], 0 neg_lo:[1,1] neg_hi:[1,1]
.LBB57_333:                             ;   in Loop: Header=BB57_3 Depth=1
	s_or_b32 exec_lo, exec_lo, s61
	s_and_saveexec_b32 s19, s95
; %bb.334:                              ;   in Loop: Header=BB57_3 Depth=1
	ds_store_b64 v65, v[40:41]
; %bb.335:                              ;   in Loop: Header=BB57_3 Depth=1
	s_or_b32 exec_lo, exec_lo, s19
	s_wait_dscnt 0x0
	s_barrier_signal -1
	s_barrier_wait -1
	s_and_saveexec_b32 s19, s96
	s_cbranch_execz .LBB57_337
; %bb.336:                              ;   in Loop: Header=BB57_3 Depth=1
	ds_load_b64 v[42:43], v62 offset:10400
	ds_load_b64 v[44:45], v65
	s_wait_dscnt 0x0
	v_pk_mul_f32 v[98:99], v[44:45], v[42:43] op_sel:[1,1] op_sel_hi:[0,1]
	s_delay_alu instid0(VALU_DEP_1) | instskip(SKIP_1) | instid1(VALU_DEP_2)
	v_pk_fma_f32 v[100:101], v[44:45], v[42:43], v[98:99] op_sel_hi:[1,0,1]
	v_pk_fma_f32 v[42:43], v[44:45], v[42:43], v[98:99] neg_lo:[0,0,1] neg_hi:[0,0,1]
	v_mov_b32_e32 v43, v101
	s_delay_alu instid0(VALU_DEP_1)
	v_pk_add_f32 v[40:41], v[40:41], v[42:43]
.LBB57_337:                             ;   in Loop: Header=BB57_3 Depth=1
	s_or_b32 exec_lo, exec_lo, s19
	s_barrier_signal -1
	s_barrier_wait -1
	s_and_saveexec_b32 s19, s97
; %bb.338:                              ;   in Loop: Header=BB57_3 Depth=1
	ds_store_b64 v65, v[40:41]
; %bb.339:                              ;   in Loop: Header=BB57_3 Depth=1
	s_or_b32 exec_lo, exec_lo, s19
	s_wait_dscnt 0x0
	s_barrier_signal -1
	s_barrier_wait -1
	s_and_saveexec_b32 s19, s98
	s_cbranch_execz .LBB57_341
; %bb.340:                              ;   in Loop: Header=BB57_3 Depth=1
	ds_load_b64 v[42:43], v62 offset:10912
	ds_load_b64 v[44:45], v65
	s_wait_dscnt 0x0
	v_pk_mul_f32 v[98:99], v[44:45], v[42:43] op_sel:[1,1] op_sel_hi:[0,1]
	s_delay_alu instid0(VALU_DEP_1) | instskip(SKIP_1) | instid1(VALU_DEP_2)
	v_pk_fma_f32 v[100:101], v[44:45], v[42:43], v[98:99] op_sel_hi:[1,0,1]
	v_pk_fma_f32 v[42:43], v[44:45], v[42:43], v[98:99] neg_lo:[0,0,1] neg_hi:[0,0,1]
	v_mov_b32_e32 v43, v101
	s_delay_alu instid0(VALU_DEP_1)
	v_pk_add_f32 v[40:41], v[40:41], v[42:43]
.LBB57_341:                             ;   in Loop: Header=BB57_3 Depth=1
	s_or_b32 exec_lo, exec_lo, s19
	s_barrier_signal -1
	s_barrier_wait -1
	;; [unrolled: 25-line block ×3, first 2 shown]
	s_and_saveexec_b32 s19, s100
; %bb.346:                              ;   in Loop: Header=BB57_3 Depth=1
	ds_store_b64 v65, v[40:41]
; %bb.347:                              ;   in Loop: Header=BB57_3 Depth=1
	s_or_b32 exec_lo, exec_lo, s19
	s_wait_dscnt 0x0
	s_barrier_signal -1
	s_barrier_wait -1
	s_barrier_signal -1
	s_barrier_wait -1
	s_and_saveexec_b32 s19, s2
; %bb.348:                              ;   in Loop: Header=BB57_3 Depth=1
	v_pk_add_f32 v[40:41], v[40:41], 0 neg_lo:[1,1] neg_hi:[1,1]
	ds_store_b64 v67, v[40:41] offset:8352
; %bb.349:                              ;   in Loop: Header=BB57_3 Depth=1
	s_or_b32 exec_lo, exec_lo, s19
	s_wait_dscnt 0x0
	s_barrier_signal -1
	s_barrier_wait -1
	s_barrier_signal -1
	s_barrier_wait -1
	s_and_saveexec_b32 s19, s101
	s_cbranch_execz .LBB57_351
; %bb.350:                              ;   in Loop: Header=BB57_3 Depth=1
	ds_load_b64 v[40:41], v48 offset:8352
	s_wait_dscnt 0x0
	ds_store_b64 v49, v[40:41] offset:10368
	ds_load_b64 v[40:41], v48 offset:8360
	s_wait_dscnt 0x0
	ds_store_b64 v49, v[40:41] offset:10880
	;; [unrolled: 3-line block ×4, first 2 shown]
.LBB57_351:                             ;   in Loop: Header=BB57_3 Depth=1
	s_or_b32 exec_lo, exec_lo, s19
	s_wait_dscnt 0x0
	s_barrier_signal -1
	s_barrier_wait -1
	s_and_saveexec_b32 s19, s10
	s_cbranch_execz .LBB57_353
; %bb.352:                              ;   in Loop: Header=BB57_3 Depth=1
	ds_load_b64 v[40:41], v7 offset:10408
	v_add_nc_u32_e64 v3, 0xa0, 0
	ds_store_b64 v7, v[26:27] offset:10920
	s_wait_dscnt 0x1
	ds_store_2addr_stride64_b64 v3, v[26:27], v[40:41] offset0:20 offset1:21
.LBB57_353:                             ;   in Loop: Header=BB57_3 Depth=1
	s_or_b32 exec_lo, exec_lo, s19
	v_mov_b64_e32 v[40:41], 0
	s_wait_dscnt 0x0
	s_barrier_signal -1
	s_barrier_wait -1
	s_and_saveexec_b32 s19, s0
	s_cbranch_execz .LBB57_357
; %bb.354:                              ;   in Loop: Header=BB57_3 Depth=1
	ds_load_b64 v[40:41], v63 offset:10416
	ds_load_b64 v[42:43], v64 offset:10400
	s_wait_dscnt 0x0
	v_pk_mul_f32 v[44:45], v[42:43], v[40:41] op_sel:[1,1] op_sel_hi:[0,1]
	s_delay_alu instid0(VALU_DEP_1) | instskip(SKIP_1) | instid1(VALU_DEP_2)
	v_pk_fma_f32 v[98:99], v[42:43], v[40:41], v[44:45] op_sel_hi:[1,0,1]
	v_pk_fma_f32 v[40:41], v[42:43], v[40:41], v[44:45] neg_lo:[0,0,1] neg_hi:[0,0,1]
	v_mov_b32_e32 v41, v99
	s_delay_alu instid0(VALU_DEP_1)
	v_pk_add_f32 v[40:41], v[40:41], 0 op_sel_hi:[1,0]
	s_and_saveexec_b32 s21, s11
	s_cbranch_execz .LBB57_356
; %bb.355:                              ;   in Loop: Header=BB57_3 Depth=1
	ds_load_b64 v[42:43], v49 offset:10928
	ds_load_b64 v[44:45], v7 offset:10408
	s_wait_dscnt 0x0
	v_pk_mul_f32 v[98:99], v[44:45], v[42:43] op_sel:[1,1] op_sel_hi:[0,1]
	s_delay_alu instid0(VALU_DEP_1) | instskip(SKIP_1) | instid1(VALU_DEP_2)
	v_pk_fma_f32 v[100:101], v[44:45], v[42:43], v[98:99] op_sel_hi:[1,0,1]
	v_pk_fma_f32 v[42:43], v[44:45], v[42:43], v[98:99] neg_lo:[0,0,1] neg_hi:[0,0,1]
	v_mov_b32_e32 v43, v101
	s_delay_alu instid0(VALU_DEP_1)
	v_pk_add_f32 v[40:41], v[40:41], v[42:43]
.LBB57_356:                             ;   in Loop: Header=BB57_3 Depth=1
	s_or_b32 exec_lo, exec_lo, s21
	s_delay_alu instid0(VALU_DEP_1)
	v_pk_add_f32 v[40:41], v[40:41], 0 neg_lo:[1,1] neg_hi:[1,1]
.LBB57_357:                             ;   in Loop: Header=BB57_3 Depth=1
	s_or_b32 exec_lo, exec_lo, s19
	s_and_saveexec_b32 s19, s92
; %bb.358:                              ;   in Loop: Header=BB57_3 Depth=1
	ds_store_b64 v53, v[40:41]
; %bb.359:                              ;   in Loop: Header=BB57_3 Depth=1
	s_or_b32 exec_lo, exec_lo, s19
	s_wait_dscnt 0x0
	s_barrier_signal -1
	s_barrier_wait -1
	s_and_saveexec_b32 s19, s93
	s_cbranch_execz .LBB57_361
; %bb.360:                              ;   in Loop: Header=BB57_3 Depth=1
	ds_load_b64 v[42:43], v7 offset:11448
	ds_load_b64 v[44:45], v53
	s_wait_dscnt 0x0
	v_pk_mul_f32 v[98:99], v[44:45], v[42:43] op_sel:[1,1] op_sel_hi:[0,1]
	s_delay_alu instid0(VALU_DEP_1) | instskip(SKIP_1) | instid1(VALU_DEP_2)
	v_pk_fma_f32 v[100:101], v[44:45], v[42:43], v[98:99] op_sel_hi:[1,0,1]
	v_pk_fma_f32 v[42:43], v[44:45], v[42:43], v[98:99] neg_lo:[0,0,1] neg_hi:[0,0,1]
	v_mov_b32_e32 v43, v101
	s_delay_alu instid0(VALU_DEP_1)
	v_pk_add_f32 v[40:41], v[40:41], v[42:43]
.LBB57_361:                             ;   in Loop: Header=BB57_3 Depth=1
	s_or_b32 exec_lo, exec_lo, s19
	s_barrier_signal -1
	s_barrier_wait -1
	s_and_saveexec_b32 s19, s93
; %bb.362:                              ;   in Loop: Header=BB57_3 Depth=1
	ds_store_b64 v53, v[40:41]
; %bb.363:                              ;   in Loop: Header=BB57_3 Depth=1
	s_or_b32 exec_lo, exec_lo, s19
	s_wait_dscnt 0x0
	s_barrier_signal -1
	s_barrier_wait -1
	s_barrier_signal -1
	s_barrier_wait -1
	s_and_saveexec_b32 s19, s0
; %bb.364:                              ;   in Loop: Header=BB57_3 Depth=1
	v_pk_add_f32 v[40:41], v[40:41], 0 neg_lo:[1,1] neg_hi:[1,1]
	ds_store_b64 v63, v[40:41] offset:10416
; %bb.365:                              ;   in Loop: Header=BB57_3 Depth=1
	s_or_b32 exec_lo, exec_lo, s19
	s_wait_dscnt 0x0
	s_barrier_signal -1
	s_barrier_wait -1
	s_barrier_signal -1
	s_barrier_wait -1
	s_and_saveexec_b32 s19, s94
	s_cbranch_execz .LBB57_367
; %bb.366:                              ;   in Loop: Header=BB57_3 Depth=1
	ds_load_b64 v[40:41], v50 offset:10416
	s_wait_dscnt 0x0
	ds_store_b64 v49, v[40:41] offset:11424
	ds_load_b64 v[40:41], v50 offset:10424
	s_wait_dscnt 0x0
	ds_store_b64 v49, v[40:41] offset:11936
.LBB57_367:                             ;   in Loop: Header=BB57_3 Depth=1
	s_or_b32 exec_lo, exec_lo, s19
	s_wait_dscnt 0x0
	s_barrier_signal -1
	s_barrier_wait -1
	s_and_saveexec_b32 s19, s10
	s_cbranch_execz .LBB57_369
; %bb.368:                              ;   in Loop: Header=BB57_3 Depth=1
	ds_load_b64 v[40:41], v7 offset:11448
	v_add_nc_u32_e64 v3, 0xb0, 0
	ds_store_b64 v7, v[26:27] offset:11960
	s_wait_dscnt 0x1
	ds_store_2addr_stride64_b64 v3, v[26:27], v[40:41] offset0:22 offset1:23
.LBB57_369:                             ;   in Loop: Header=BB57_3 Depth=1
	s_or_b32 exec_lo, exec_lo, s19
	v_mov_b64_e32 v[40:41], 0
	s_wait_dscnt 0x0
	s_barrier_signal -1
	s_barrier_wait -1
	s_and_saveexec_b32 s61, s3
	s_cbranch_execz .LBB57_379
; %bb.370:                              ;   in Loop: Header=BB57_3 Depth=1
	ds_load_b64 v[40:41], v71 offset:8384
	ds_load_b64 v[42:43], v57 offset:8320
	s_wait_dscnt 0x0
	v_dual_mul_f32 v3, v43, v41 :: v_dual_mul_f32 v41, v42, v41
	s_delay_alu instid0(VALU_DEP_1) | instskip(NEXT) | instid1(VALU_DEP_1)
	v_dual_fma_f32 v3, v42, v40, -v3 :: v_dual_fmac_f32 v41, v43, v40
	v_dual_add_f32 v40, 0, v3 :: v_dual_add_f32 v41, 0, v41
	s_and_saveexec_b32 s19, s14
	s_cbranch_execnz .LBB57_1092
; %bb.371:                              ;   in Loop: Header=BB57_3 Depth=1
	s_or_b32 exec_lo, exec_lo, s19
	s_and_saveexec_b32 s19, s15
	s_cbranch_execnz .LBB57_1093
.LBB57_372:                             ;   in Loop: Header=BB57_3 Depth=1
	s_or_b32 exec_lo, exec_lo, s19
	s_and_saveexec_b32 s19, s16
	s_cbranch_execnz .LBB57_1094
.LBB57_373:                             ;   in Loop: Header=BB57_3 Depth=1
	s_or_b32 exec_lo, exec_lo, s19
	s_and_saveexec_b32 s19, s17
	s_cbranch_execnz .LBB57_1095
.LBB57_374:                             ;   in Loop: Header=BB57_3 Depth=1
	s_or_b32 exec_lo, exec_lo, s19
	s_and_saveexec_b32 s19, s18
	s_cbranch_execnz .LBB57_1096
.LBB57_375:                             ;   in Loop: Header=BB57_3 Depth=1
	s_or_b32 exec_lo, exec_lo, s19
	s_and_saveexec_b32 s19, s2
	s_cbranch_execnz .LBB57_1097
.LBB57_376:                             ;   in Loop: Header=BB57_3 Depth=1
	s_or_b32 exec_lo, exec_lo, s19
	s_and_saveexec_b32 s19, s13
	s_cbranch_execz .LBB57_378
.LBB57_377:                             ;   in Loop: Header=BB57_3 Depth=1
	ds_load_b64 v[42:43], v5 offset:11968
	ds_load_b64 v[44:45], v7 offset:8376
	s_wait_dscnt 0x0
	v_pk_mul_f32 v[98:99], v[44:45], v[42:43] op_sel:[1,1] op_sel_hi:[0,1]
	s_delay_alu instid0(VALU_DEP_1) | instskip(SKIP_1) | instid1(VALU_DEP_2)
	v_pk_fma_f32 v[100:101], v[44:45], v[42:43], v[98:99] op_sel_hi:[1,0,1]
	v_pk_fma_f32 v[42:43], v[44:45], v[42:43], v[98:99] neg_lo:[0,0,1] neg_hi:[0,0,1]
	v_mov_b32_e32 v43, v101
	s_delay_alu instid0(VALU_DEP_1)
	v_pk_add_f32 v[40:41], v[40:41], v[42:43]
.LBB57_378:                             ;   in Loop: Header=BB57_3 Depth=1
	s_or_b32 exec_lo, exec_lo, s19
	s_delay_alu instid0(VALU_DEP_1)
	v_pk_add_f32 v[40:41], v[40:41], 0 neg_lo:[1,1] neg_hi:[1,1]
.LBB57_379:                             ;   in Loop: Header=BB57_3 Depth=1
	s_or_b32 exec_lo, exec_lo, s61
	s_and_saveexec_b32 s19, s102
; %bb.380:                              ;   in Loop: Header=BB57_3 Depth=1
	ds_store_b64 v70, v[40:41]
; %bb.381:                              ;   in Loop: Header=BB57_3 Depth=1
	s_or_b32 exec_lo, exec_lo, s19
	s_wait_dscnt 0x0
	s_barrier_signal -1
	s_barrier_wait -1
	s_and_saveexec_b32 s19, s103
	s_cbranch_execz .LBB57_383
; %bb.382:                              ;   in Loop: Header=BB57_3 Depth=1
	ds_load_b64 v[42:43], v66 offset:12480
	ds_load_b64 v[44:45], v70
	s_wait_dscnt 0x0
	v_pk_mul_f32 v[98:99], v[44:45], v[42:43] op_sel:[1,1] op_sel_hi:[0,1]
	s_delay_alu instid0(VALU_DEP_1) | instskip(SKIP_1) | instid1(VALU_DEP_2)
	v_pk_fma_f32 v[100:101], v[44:45], v[42:43], v[98:99] op_sel_hi:[1,0,1]
	v_pk_fma_f32 v[42:43], v[44:45], v[42:43], v[98:99] neg_lo:[0,0,1] neg_hi:[0,0,1]
	v_mov_b32_e32 v43, v101
	s_delay_alu instid0(VALU_DEP_1)
	v_pk_add_f32 v[40:41], v[40:41], v[42:43]
.LBB57_383:                             ;   in Loop: Header=BB57_3 Depth=1
	s_or_b32 exec_lo, exec_lo, s19
	s_barrier_signal -1
	s_barrier_wait -1
	s_and_saveexec_b32 s19, s104
; %bb.384:                              ;   in Loop: Header=BB57_3 Depth=1
	ds_store_b64 v70, v[40:41]
; %bb.385:                              ;   in Loop: Header=BB57_3 Depth=1
	s_or_b32 exec_lo, exec_lo, s19
	s_wait_dscnt 0x0
	s_barrier_signal -1
	s_barrier_wait -1
	s_and_saveexec_b32 s19, vcc_hi
	s_cbranch_execz .LBB57_387
; %bb.386:                              ;   in Loop: Header=BB57_3 Depth=1
	ds_load_b64 v[42:43], v66 offset:12992
	ds_load_b64 v[44:45], v70
	s_wait_dscnt 0x0
	v_dual_mul_f32 v3, v45, v43 :: v_dual_mul_f32 v43, v44, v43
	s_delay_alu instid0(VALU_DEP_1) | instskip(NEXT) | instid1(VALU_DEP_1)
	v_fmac_f32_e32 v43, v45, v42
	v_dual_fma_f32 v3, v44, v42, -v3 :: v_dual_add_f32 v41, v41, v43
	s_delay_alu instid0(VALU_DEP_1)
	v_add_f32_e32 v40, v40, v3
.LBB57_387:                             ;   in Loop: Header=BB57_3 Depth=1
	s_or_b32 exec_lo, exec_lo, s19
	s_barrier_signal -1
	s_barrier_wait -1
	s_and_saveexec_b32 s19, s38
; %bb.388:                              ;   in Loop: Header=BB57_3 Depth=1
	ds_store_b64 v70, v[40:41]
; %bb.389:                              ;   in Loop: Header=BB57_3 Depth=1
	s_or_b32 exec_lo, exec_lo, s19
	s_wait_dscnt 0x0
	s_barrier_signal -1
	s_barrier_wait -1
	s_and_saveexec_b32 s19, s39
	s_cbranch_execz .LBB57_391
; %bb.390:                              ;   in Loop: Header=BB57_3 Depth=1
	ds_load_b64 v[42:43], v66 offset:13504
	ds_load_b64 v[44:45], v70
	s_wait_dscnt 0x0
	v_dual_mul_f32 v3, v45, v43 :: v_dual_mul_f32 v99, v44, v43
	s_delay_alu instid0(VALU_DEP_1) | instskip(NEXT) | instid1(VALU_DEP_2)
	v_fma_f32 v98, v44, v42, -v3
	v_fmac_f32_e32 v99, v45, v42
	s_delay_alu instid0(VALU_DEP_1)
	v_pk_add_f32 v[40:41], v[40:41], v[98:99]
.LBB57_391:                             ;   in Loop: Header=BB57_3 Depth=1
	s_or_b32 exec_lo, exec_lo, s19
	s_barrier_signal -1
	s_barrier_wait -1
	s_and_saveexec_b32 s19, s40
; %bb.392:                              ;   in Loop: Header=BB57_3 Depth=1
	ds_store_b64 v70, v[40:41]
; %bb.393:                              ;   in Loop: Header=BB57_3 Depth=1
	s_or_b32 exec_lo, exec_lo, s19
	s_wait_dscnt 0x0
	s_barrier_signal -1
	s_barrier_wait -1
	s_and_saveexec_b32 s19, s41
	s_cbranch_execz .LBB57_395
; %bb.394:                              ;   in Loop: Header=BB57_3 Depth=1
	ds_load_b64 v[42:43], v66 offset:14016
	ds_load_b64 v[44:45], v70
	s_wait_dscnt 0x0
	v_pk_mul_f32 v[98:99], v[44:45], v[42:43] op_sel:[1,1] op_sel_hi:[0,1]
	s_delay_alu instid0(VALU_DEP_1) | instskip(SKIP_1) | instid1(VALU_DEP_2)
	v_pk_fma_f32 v[100:101], v[44:45], v[42:43], v[98:99] op_sel_hi:[1,0,1]
	v_pk_fma_f32 v[42:43], v[44:45], v[42:43], v[98:99] neg_lo:[0,0,1] neg_hi:[0,0,1]
	v_mov_b32_e32 v43, v101
	s_delay_alu instid0(VALU_DEP_1)
	v_pk_add_f32 v[40:41], v[40:41], v[42:43]
.LBB57_395:                             ;   in Loop: Header=BB57_3 Depth=1
	s_or_b32 exec_lo, exec_lo, s19
	s_barrier_signal -1
	s_barrier_wait -1
	s_and_saveexec_b32 s19, s42
; %bb.396:                              ;   in Loop: Header=BB57_3 Depth=1
	ds_store_b64 v70, v[40:41]
; %bb.397:                              ;   in Loop: Header=BB57_3 Depth=1
	s_or_b32 exec_lo, exec_lo, s19
	s_wait_dscnt 0x0
	s_barrier_signal -1
	s_barrier_wait -1
	s_and_saveexec_b32 s19, s43
	s_cbranch_execz .LBB57_399
; %bb.398:                              ;   in Loop: Header=BB57_3 Depth=1
	ds_load_b64 v[42:43], v66 offset:14528
	ds_load_b64 v[44:45], v70
	s_wait_dscnt 0x0
	v_pk_mul_f32 v[98:99], v[44:45], v[42:43] op_sel:[1,1] op_sel_hi:[0,1]
	s_delay_alu instid0(VALU_DEP_1) | instskip(SKIP_1) | instid1(VALU_DEP_2)
	v_pk_fma_f32 v[100:101], v[44:45], v[42:43], v[98:99] op_sel_hi:[1,0,1]
	v_pk_fma_f32 v[42:43], v[44:45], v[42:43], v[98:99] neg_lo:[0,0,1] neg_hi:[0,0,1]
	v_mov_b32_e32 v43, v101
	s_delay_alu instid0(VALU_DEP_1)
	v_pk_add_f32 v[40:41], v[40:41], v[42:43]
.LBB57_399:                             ;   in Loop: Header=BB57_3 Depth=1
	;; [unrolled: 25-line block ×4, first 2 shown]
	s_or_b32 exec_lo, exec_lo, s19
	s_barrier_signal -1
	s_barrier_wait -1
	s_and_saveexec_b32 s19, s47
; %bb.408:                              ;   in Loop: Header=BB57_3 Depth=1
	ds_store_b64 v70, v[40:41]
; %bb.409:                              ;   in Loop: Header=BB57_3 Depth=1
	s_or_b32 exec_lo, exec_lo, s19
	s_wait_dscnt 0x0
	s_barrier_signal -1
	s_barrier_wait -1
	s_barrier_signal -1
	s_barrier_wait -1
	s_and_saveexec_b32 s19, s3
; %bb.410:                              ;   in Loop: Header=BB57_3 Depth=1
	v_pk_add_f32 v[40:41], v[40:41], 0 neg_lo:[1,1] neg_hi:[1,1]
	ds_store_b64 v71, v[40:41] offset:8384
; %bb.411:                              ;   in Loop: Header=BB57_3 Depth=1
	s_or_b32 exec_lo, exec_lo, s19
	s_wait_dscnt 0x0
	s_barrier_signal -1
	s_barrier_wait -1
	s_barrier_signal -1
	s_barrier_wait -1
	s_and_saveexec_b32 s19, s48
	s_cbranch_execz .LBB57_413
; %bb.412:                              ;   in Loop: Header=BB57_3 Depth=1
	ds_load_b64 v[40:41], v9 offset:8384
	s_wait_dscnt 0x0
	ds_store_b64 v47, v[40:41] offset:12416
	ds_load_b64 v[40:41], v9 offset:8392
	s_wait_dscnt 0x0
	ds_store_b64 v47, v[40:41] offset:12928
	;; [unrolled: 3-line block ×8, first 2 shown]
.LBB57_413:                             ;   in Loop: Header=BB57_3 Depth=1
	s_or_b32 exec_lo, exec_lo, s19
	s_wait_dscnt 0x0
	s_barrier_signal -1
	s_barrier_wait -1
	s_and_saveexec_b32 s19, s10
	s_cbranch_execz .LBB57_415
; %bb.414:                              ;   in Loop: Header=BB57_3 Depth=1
	ds_load_b64 v[40:41], v7 offset:12488
	v_add_nc_u32_e64 v3, 0xc0, 0
	ds_store_b64 v7, v[26:27] offset:13000
	s_wait_dscnt 0x1
	ds_store_2addr_stride64_b64 v3, v[26:27], v[40:41] offset0:24 offset1:25
.LBB57_415:                             ;   in Loop: Header=BB57_3 Depth=1
	s_or_b32 exec_lo, exec_lo, s19
	v_mov_b64_e32 v[40:41], 0
	s_wait_dscnt 0x0
	s_barrier_signal -1
	s_barrier_wait -1
	s_and_saveexec_b32 s19, s0
	s_cbranch_execz .LBB57_419
; %bb.416:                              ;   in Loop: Header=BB57_3 Depth=1
	ds_load_b64 v[40:41], v63 offset:12496
	ds_load_b64 v[42:43], v64 offset:12480
	s_wait_dscnt 0x0
	v_pk_mul_f32 v[44:45], v[42:43], v[40:41] op_sel:[1,1] op_sel_hi:[0,1]
	s_delay_alu instid0(VALU_DEP_1) | instskip(SKIP_1) | instid1(VALU_DEP_2)
	v_pk_fma_f32 v[98:99], v[42:43], v[40:41], v[44:45] op_sel_hi:[1,0,1]
	v_pk_fma_f32 v[40:41], v[42:43], v[40:41], v[44:45] neg_lo:[0,0,1] neg_hi:[0,0,1]
	v_mov_b32_e32 v41, v99
	s_delay_alu instid0(VALU_DEP_1)
	v_pk_add_f32 v[40:41], v[40:41], 0 op_sel_hi:[1,0]
	s_and_saveexec_b32 s21, s11
	s_cbranch_execz .LBB57_418
; %bb.417:                              ;   in Loop: Header=BB57_3 Depth=1
	ds_load_b64 v[42:43], v47 offset:13008
	ds_load_b64 v[44:45], v7 offset:12488
	s_wait_dscnt 0x0
	v_pk_mul_f32 v[98:99], v[44:45], v[42:43] op_sel:[1,1] op_sel_hi:[0,1]
	s_delay_alu instid0(VALU_DEP_1) | instskip(SKIP_1) | instid1(VALU_DEP_2)
	v_pk_fma_f32 v[100:101], v[44:45], v[42:43], v[98:99] op_sel_hi:[1,0,1]
	v_pk_fma_f32 v[42:43], v[44:45], v[42:43], v[98:99] neg_lo:[0,0,1] neg_hi:[0,0,1]
	v_mov_b32_e32 v43, v101
	s_delay_alu instid0(VALU_DEP_1)
	v_pk_add_f32 v[40:41], v[40:41], v[42:43]
.LBB57_418:                             ;   in Loop: Header=BB57_3 Depth=1
	s_or_b32 exec_lo, exec_lo, s21
	s_delay_alu instid0(VALU_DEP_1)
	v_pk_add_f32 v[40:41], v[40:41], 0 neg_lo:[1,1] neg_hi:[1,1]
.LBB57_419:                             ;   in Loop: Header=BB57_3 Depth=1
	s_or_b32 exec_lo, exec_lo, s19
	s_and_saveexec_b32 s19, s92
; %bb.420:                              ;   in Loop: Header=BB57_3 Depth=1
	ds_store_b64 v53, v[40:41]
; %bb.421:                              ;   in Loop: Header=BB57_3 Depth=1
	s_or_b32 exec_lo, exec_lo, s19
	s_wait_dscnt 0x0
	s_barrier_signal -1
	s_barrier_wait -1
	s_and_saveexec_b32 s19, s93
	s_cbranch_execz .LBB57_423
; %bb.422:                              ;   in Loop: Header=BB57_3 Depth=1
	ds_load_b64 v[42:43], v7 offset:13528
	ds_load_b64 v[44:45], v53
	s_wait_dscnt 0x0
	v_pk_mul_f32 v[98:99], v[44:45], v[42:43] op_sel:[1,1] op_sel_hi:[0,1]
	s_delay_alu instid0(VALU_DEP_1) | instskip(SKIP_1) | instid1(VALU_DEP_2)
	v_pk_fma_f32 v[100:101], v[44:45], v[42:43], v[98:99] op_sel_hi:[1,0,1]
	v_pk_fma_f32 v[42:43], v[44:45], v[42:43], v[98:99] neg_lo:[0,0,1] neg_hi:[0,0,1]
	v_mov_b32_e32 v43, v101
	s_delay_alu instid0(VALU_DEP_1)
	v_pk_add_f32 v[40:41], v[40:41], v[42:43]
.LBB57_423:                             ;   in Loop: Header=BB57_3 Depth=1
	s_or_b32 exec_lo, exec_lo, s19
	s_barrier_signal -1
	s_barrier_wait -1
	s_and_saveexec_b32 s19, s93
; %bb.424:                              ;   in Loop: Header=BB57_3 Depth=1
	ds_store_b64 v53, v[40:41]
; %bb.425:                              ;   in Loop: Header=BB57_3 Depth=1
	s_or_b32 exec_lo, exec_lo, s19
	s_wait_dscnt 0x0
	s_barrier_signal -1
	s_barrier_wait -1
	s_barrier_signal -1
	s_barrier_wait -1
	s_and_saveexec_b32 s19, s0
; %bb.426:                              ;   in Loop: Header=BB57_3 Depth=1
	v_pk_add_f32 v[40:41], v[40:41], 0 neg_lo:[1,1] neg_hi:[1,1]
	ds_store_b64 v63, v[40:41] offset:12496
; %bb.427:                              ;   in Loop: Header=BB57_3 Depth=1
	s_or_b32 exec_lo, exec_lo, s19
	s_wait_dscnt 0x0
	s_barrier_signal -1
	s_barrier_wait -1
	s_barrier_signal -1
	s_barrier_wait -1
	s_and_saveexec_b32 s19, s94
	s_cbranch_execz .LBB57_429
; %bb.428:                              ;   in Loop: Header=BB57_3 Depth=1
	ds_load_b64 v[40:41], v48 offset:12496
	s_wait_dscnt 0x0
	ds_store_b64 v47, v[40:41] offset:13504
	ds_load_b64 v[40:41], v48 offset:12504
	s_wait_dscnt 0x0
	ds_store_b64 v47, v[40:41] offset:14016
.LBB57_429:                             ;   in Loop: Header=BB57_3 Depth=1
	s_or_b32 exec_lo, exec_lo, s19
	s_wait_dscnt 0x0
	s_barrier_signal -1
	s_barrier_wait -1
	s_and_saveexec_b32 s19, s10
	s_cbranch_execz .LBB57_431
; %bb.430:                              ;   in Loop: Header=BB57_3 Depth=1
	ds_load_b64 v[40:41], v7 offset:13528
	v_add_nc_u32_e64 v3, 0xd0, 0
	ds_store_b64 v7, v[26:27] offset:14040
	s_wait_dscnt 0x1
	ds_store_2addr_stride64_b64 v3, v[26:27], v[40:41] offset0:26 offset1:27
.LBB57_431:                             ;   in Loop: Header=BB57_3 Depth=1
	s_or_b32 exec_lo, exec_lo, s19
	v_mov_b64_e32 v[40:41], 0
	s_wait_dscnt 0x0
	s_barrier_signal -1
	s_barrier_wait -1
	s_and_saveexec_b32 s61, s2
	s_cbranch_execz .LBB57_437
; %bb.432:                              ;   in Loop: Header=BB57_3 Depth=1
	ds_load_b64 v[40:41], v67 offset:12512
	ds_load_b64 v[42:43], v55 offset:12480
	s_wait_dscnt 0x0
	v_dual_mul_f32 v3, v43, v41 :: v_dual_mul_f32 v41, v42, v41
	s_delay_alu instid0(VALU_DEP_1) | instskip(NEXT) | instid1(VALU_DEP_1)
	v_dual_fma_f32 v3, v42, v40, -v3 :: v_dual_fmac_f32 v41, v43, v40
	v_dual_add_f32 v40, 0, v3 :: v_dual_add_f32 v41, 0, v41
	s_and_saveexec_b32 s19, s12
	s_cbranch_execnz .LBB57_1098
; %bb.433:                              ;   in Loop: Header=BB57_3 Depth=1
	s_or_b32 exec_lo, exec_lo, s19
	s_and_saveexec_b32 s19, s13
	s_cbranch_execnz .LBB57_1099
.LBB57_434:                             ;   in Loop: Header=BB57_3 Depth=1
	s_or_b32 exec_lo, exec_lo, s19
	s_and_saveexec_b32 s19, s0
	s_cbranch_execz .LBB57_436
.LBB57_435:                             ;   in Loop: Header=BB57_3 Depth=1
	ds_load_b64 v[42:43], v49 offset:14048
	ds_load_b64 v[44:45], v7 offset:12504
	s_wait_dscnt 0x0
	v_dual_mul_f32 v3, v45, v43 :: v_dual_mul_f32 v99, v44, v43
	s_delay_alu instid0(VALU_DEP_1) | instskip(NEXT) | instid1(VALU_DEP_2)
	v_fma_f32 v98, v44, v42, -v3
	v_fmac_f32_e32 v99, v45, v42
	s_delay_alu instid0(VALU_DEP_1)
	v_pk_add_f32 v[40:41], v[40:41], v[98:99]
.LBB57_436:                             ;   in Loop: Header=BB57_3 Depth=1
	s_or_b32 exec_lo, exec_lo, s19
	s_delay_alu instid0(VALU_DEP_1)
	v_pk_add_f32 v[40:41], v[40:41], 0 neg_lo:[1,1] neg_hi:[1,1]
.LBB57_437:                             ;   in Loop: Header=BB57_3 Depth=1
	s_or_b32 exec_lo, exec_lo, s61
	s_and_saveexec_b32 s19, s95
; %bb.438:                              ;   in Loop: Header=BB57_3 Depth=1
	ds_store_b64 v65, v[40:41]
; %bb.439:                              ;   in Loop: Header=BB57_3 Depth=1
	s_or_b32 exec_lo, exec_lo, s19
	s_wait_dscnt 0x0
	s_barrier_signal -1
	s_barrier_wait -1
	s_and_saveexec_b32 s19, s96
	s_cbranch_execz .LBB57_441
; %bb.440:                              ;   in Loop: Header=BB57_3 Depth=1
	ds_load_b64 v[42:43], v62 offset:14560
	ds_load_b64 v[44:45], v65
	s_wait_dscnt 0x0
	v_pk_mul_f32 v[98:99], v[44:45], v[42:43] op_sel:[1,1] op_sel_hi:[0,1]
	s_delay_alu instid0(VALU_DEP_1) | instskip(SKIP_1) | instid1(VALU_DEP_2)
	v_pk_fma_f32 v[100:101], v[44:45], v[42:43], v[98:99] op_sel_hi:[1,0,1]
	v_pk_fma_f32 v[42:43], v[44:45], v[42:43], v[98:99] neg_lo:[0,0,1] neg_hi:[0,0,1]
	v_mov_b32_e32 v43, v101
	s_delay_alu instid0(VALU_DEP_1)
	v_pk_add_f32 v[40:41], v[40:41], v[42:43]
.LBB57_441:                             ;   in Loop: Header=BB57_3 Depth=1
	s_or_b32 exec_lo, exec_lo, s19
	s_barrier_signal -1
	s_barrier_wait -1
	s_and_saveexec_b32 s19, s97
; %bb.442:                              ;   in Loop: Header=BB57_3 Depth=1
	ds_store_b64 v65, v[40:41]
; %bb.443:                              ;   in Loop: Header=BB57_3 Depth=1
	s_or_b32 exec_lo, exec_lo, s19
	s_wait_dscnt 0x0
	s_barrier_signal -1
	s_barrier_wait -1
	s_and_saveexec_b32 s19, s98
	s_cbranch_execz .LBB57_445
; %bb.444:                              ;   in Loop: Header=BB57_3 Depth=1
	ds_load_b64 v[42:43], v62 offset:15072
	ds_load_b64 v[44:45], v65
	s_wait_dscnt 0x0
	v_pk_mul_f32 v[98:99], v[44:45], v[42:43] op_sel:[1,1] op_sel_hi:[0,1]
	s_delay_alu instid0(VALU_DEP_1) | instskip(SKIP_1) | instid1(VALU_DEP_2)
	v_pk_fma_f32 v[100:101], v[44:45], v[42:43], v[98:99] op_sel_hi:[1,0,1]
	v_pk_fma_f32 v[42:43], v[44:45], v[42:43], v[98:99] neg_lo:[0,0,1] neg_hi:[0,0,1]
	v_mov_b32_e32 v43, v101
	s_delay_alu instid0(VALU_DEP_1)
	v_pk_add_f32 v[40:41], v[40:41], v[42:43]
.LBB57_445:                             ;   in Loop: Header=BB57_3 Depth=1
	s_or_b32 exec_lo, exec_lo, s19
	s_barrier_signal -1
	s_barrier_wait -1
	;; [unrolled: 25-line block ×3, first 2 shown]
	s_and_saveexec_b32 s19, s100
; %bb.450:                              ;   in Loop: Header=BB57_3 Depth=1
	ds_store_b64 v65, v[40:41]
; %bb.451:                              ;   in Loop: Header=BB57_3 Depth=1
	s_or_b32 exec_lo, exec_lo, s19
	s_wait_dscnt 0x0
	s_barrier_signal -1
	s_barrier_wait -1
	s_barrier_signal -1
	s_barrier_wait -1
	s_and_saveexec_b32 s19, s2
; %bb.452:                              ;   in Loop: Header=BB57_3 Depth=1
	v_pk_add_f32 v[40:41], v[40:41], 0 neg_lo:[1,1] neg_hi:[1,1]
	ds_store_b64 v67, v[40:41] offset:12512
; %bb.453:                              ;   in Loop: Header=BB57_3 Depth=1
	s_or_b32 exec_lo, exec_lo, s19
	s_wait_dscnt 0x0
	s_barrier_signal -1
	s_barrier_wait -1
	s_barrier_signal -1
	s_barrier_wait -1
	s_and_saveexec_b32 s19, s101
	s_cbranch_execz .LBB57_455
; %bb.454:                              ;   in Loop: Header=BB57_3 Depth=1
	ds_load_b64 v[40:41], v50 offset:12512
	s_wait_dscnt 0x0
	ds_store_b64 v51, v[40:41] offset:14528
	ds_load_b64 v[40:41], v50 offset:12520
	s_wait_dscnt 0x0
	ds_store_b64 v51, v[40:41] offset:15040
	;; [unrolled: 3-line block ×4, first 2 shown]
.LBB57_455:                             ;   in Loop: Header=BB57_3 Depth=1
	s_or_b32 exec_lo, exec_lo, s19
	s_wait_dscnt 0x0
	s_barrier_signal -1
	s_barrier_wait -1
	s_and_saveexec_b32 s19, s10
	s_cbranch_execz .LBB57_457
; %bb.456:                              ;   in Loop: Header=BB57_3 Depth=1
	ds_load_b64 v[40:41], v7 offset:14568
	v_add_nc_u32_e64 v3, 0xe0, 0
	ds_store_b64 v7, v[26:27] offset:15080
	s_wait_dscnt 0x1
	ds_store_2addr_stride64_b64 v3, v[26:27], v[40:41] offset0:28 offset1:29
.LBB57_457:                             ;   in Loop: Header=BB57_3 Depth=1
	s_or_b32 exec_lo, exec_lo, s19
	v_mov_b64_e32 v[40:41], 0
	s_wait_dscnt 0x0
	s_barrier_signal -1
	s_barrier_wait -1
	s_and_saveexec_b32 s19, s0
	s_cbranch_execz .LBB57_461
; %bb.458:                              ;   in Loop: Header=BB57_3 Depth=1
	ds_load_b64 v[40:41], v63 offset:14576
	ds_load_b64 v[42:43], v64 offset:14560
	s_wait_dscnt 0x0
	v_pk_mul_f32 v[44:45], v[42:43], v[40:41] op_sel:[1,1] op_sel_hi:[0,1]
	s_delay_alu instid0(VALU_DEP_1) | instskip(SKIP_1) | instid1(VALU_DEP_2)
	v_pk_fma_f32 v[98:99], v[42:43], v[40:41], v[44:45] op_sel_hi:[1,0,1]
	v_pk_fma_f32 v[40:41], v[42:43], v[40:41], v[44:45] neg_lo:[0,0,1] neg_hi:[0,0,1]
	v_mov_b32_e32 v41, v99
	s_delay_alu instid0(VALU_DEP_1)
	v_pk_add_f32 v[40:41], v[40:41], 0 op_sel_hi:[1,0]
	s_and_saveexec_b32 s21, s11
	s_cbranch_execz .LBB57_460
; %bb.459:                              ;   in Loop: Header=BB57_3 Depth=1
	ds_load_b64 v[42:43], v51 offset:15088
	ds_load_b64 v[44:45], v7 offset:14568
	s_wait_dscnt 0x0
	v_pk_mul_f32 v[98:99], v[44:45], v[42:43] op_sel:[1,1] op_sel_hi:[0,1]
	s_delay_alu instid0(VALU_DEP_1) | instskip(SKIP_1) | instid1(VALU_DEP_2)
	v_pk_fma_f32 v[100:101], v[44:45], v[42:43], v[98:99] op_sel_hi:[1,0,1]
	v_pk_fma_f32 v[42:43], v[44:45], v[42:43], v[98:99] neg_lo:[0,0,1] neg_hi:[0,0,1]
	v_mov_b32_e32 v43, v101
	s_delay_alu instid0(VALU_DEP_1)
	v_pk_add_f32 v[40:41], v[40:41], v[42:43]
.LBB57_460:                             ;   in Loop: Header=BB57_3 Depth=1
	s_or_b32 exec_lo, exec_lo, s21
	s_delay_alu instid0(VALU_DEP_1)
	v_pk_add_f32 v[40:41], v[40:41], 0 neg_lo:[1,1] neg_hi:[1,1]
.LBB57_461:                             ;   in Loop: Header=BB57_3 Depth=1
	s_or_b32 exec_lo, exec_lo, s19
	s_and_saveexec_b32 s19, s92
; %bb.462:                              ;   in Loop: Header=BB57_3 Depth=1
	ds_store_b64 v53, v[40:41]
; %bb.463:                              ;   in Loop: Header=BB57_3 Depth=1
	s_or_b32 exec_lo, exec_lo, s19
	s_wait_dscnt 0x0
	s_barrier_signal -1
	s_barrier_wait -1
	s_and_saveexec_b32 s19, s93
	s_cbranch_execz .LBB57_465
; %bb.464:                              ;   in Loop: Header=BB57_3 Depth=1
	ds_load_b64 v[42:43], v7 offset:15608
	ds_load_b64 v[44:45], v53
	s_wait_dscnt 0x0
	v_pk_mul_f32 v[98:99], v[44:45], v[42:43] op_sel:[1,1] op_sel_hi:[0,1]
	s_delay_alu instid0(VALU_DEP_1) | instskip(SKIP_1) | instid1(VALU_DEP_2)
	v_pk_fma_f32 v[100:101], v[44:45], v[42:43], v[98:99] op_sel_hi:[1,0,1]
	v_pk_fma_f32 v[42:43], v[44:45], v[42:43], v[98:99] neg_lo:[0,0,1] neg_hi:[0,0,1]
	v_mov_b32_e32 v43, v101
	s_delay_alu instid0(VALU_DEP_1)
	v_pk_add_f32 v[40:41], v[40:41], v[42:43]
.LBB57_465:                             ;   in Loop: Header=BB57_3 Depth=1
	s_or_b32 exec_lo, exec_lo, s19
	s_barrier_signal -1
	s_barrier_wait -1
	s_and_saveexec_b32 s19, s93
; %bb.466:                              ;   in Loop: Header=BB57_3 Depth=1
	ds_store_b64 v53, v[40:41]
; %bb.467:                              ;   in Loop: Header=BB57_3 Depth=1
	s_or_b32 exec_lo, exec_lo, s19
	s_wait_dscnt 0x0
	s_barrier_signal -1
	s_barrier_wait -1
	s_barrier_signal -1
	s_barrier_wait -1
	s_and_saveexec_b32 s19, s0
; %bb.468:                              ;   in Loop: Header=BB57_3 Depth=1
	v_pk_add_f32 v[40:41], v[40:41], 0 neg_lo:[1,1] neg_hi:[1,1]
	ds_store_b64 v63, v[40:41] offset:14576
; %bb.469:                              ;   in Loop: Header=BB57_3 Depth=1
	s_or_b32 exec_lo, exec_lo, s19
	s_wait_dscnt 0x0
	s_barrier_signal -1
	s_barrier_wait -1
	s_barrier_signal -1
	s_barrier_wait -1
	s_and_saveexec_b32 s19, s94
	s_cbranch_execz .LBB57_471
; %bb.470:                              ;   in Loop: Header=BB57_3 Depth=1
	ds_load_b64 v[40:41], v52 offset:14576
	s_wait_dscnt 0x0
	ds_store_b64 v51, v[40:41] offset:15584
	ds_load_b64 v[40:41], v52 offset:14584
	s_wait_dscnt 0x0
	ds_store_b64 v51, v[40:41] offset:16096
.LBB57_471:                             ;   in Loop: Header=BB57_3 Depth=1
	s_or_b32 exec_lo, exec_lo, s19
	s_wait_dscnt 0x0
	s_barrier_signal -1
	s_barrier_wait -1
	s_and_saveexec_b32 s19, s10
	s_cbranch_execz .LBB57_473
; %bb.472:                              ;   in Loop: Header=BB57_3 Depth=1
	ds_load_b64 v[40:41], v7 offset:15608
	v_add_nc_u32_e64 v3, 0xf0, 0
	ds_store_b64 v7, v[26:27] offset:16120
	s_wait_dscnt 0x1
	ds_store_2addr_stride64_b64 v3, v[26:27], v[40:41] offset0:30 offset1:31
.LBB57_473:                             ;   in Loop: Header=BB57_3 Depth=1
	s_or_b32 exec_lo, exec_lo, s19
	v_mov_b64_e32 v[40:41], 0
	s_wait_dscnt 0x0
	s_barrier_signal -1
	s_barrier_wait -1
	s_and_saveexec_b32 s82, s30
	s_cbranch_execz .LBB57_535
; %bb.474:                              ;   in Loop: Header=BB57_3 Depth=1
	v_add_nc_u32_e32 v42, v87, v77
	v_add_nc_u32_e32 v3, v77, v61
	ds_load_b64 v[40:41], v42 offset:256
	ds_load_b64 v[44:45], v3
	s_wait_dscnt 0x0
	v_pk_mul_f32 v[98:99], v[44:45], v[40:41] op_sel:[1,1] op_sel_hi:[0,1]
	s_delay_alu instid0(VALU_DEP_1) | instskip(SKIP_1) | instid1(VALU_DEP_2)
	v_pk_fma_f32 v[100:101], v[44:45], v[40:41], v[98:99] op_sel_hi:[1,0,1]
	v_pk_fma_f32 v[40:41], v[44:45], v[40:41], v[98:99] neg_lo:[0,0,1] neg_hi:[0,0,1]
	v_mov_b32_e32 v41, v101
	s_delay_alu instid0(VALU_DEP_1) | instskip(SKIP_3) | instid1(SALU_CYCLE_1)
	v_pk_add_f32 v[40:41], v[40:41], 0 op_sel_hi:[1,0]
	s_mov_b32 s19, exec_lo
	v_readlane_b32 s21, v97, 7
	s_and_b32 s21, s19, s21
	s_mov_b32 exec_lo, s21
	s_cbranch_execz .LBB57_476
; %bb.475:                              ;   in Loop: Header=BB57_3 Depth=1
	ds_load_b64 v[44:45], v42 offset:768
	ds_load_b64 v[98:99], v3 offset:8
	s_wait_dscnt 0x0
	v_pk_mul_f32 v[100:101], v[98:99], v[44:45] op_sel:[1,1] op_sel_hi:[0,1]
	s_delay_alu instid0(VALU_DEP_1) | instskip(SKIP_1) | instid1(VALU_DEP_2)
	v_pk_fma_f32 v[102:103], v[98:99], v[44:45], v[100:101] op_sel_hi:[1,0,1]
	v_pk_fma_f32 v[44:45], v[98:99], v[44:45], v[100:101] neg_lo:[0,0,1] neg_hi:[0,0,1]
	v_mov_b32_e32 v45, v103
	s_delay_alu instid0(VALU_DEP_1)
	v_pk_add_f32 v[40:41], v[40:41], v[44:45]
.LBB57_476:                             ;   in Loop: Header=BB57_3 Depth=1
	s_or_b32 exec_lo, exec_lo, s19
	s_delay_alu instid0(SALU_CYCLE_1) | instskip(SKIP_2) | instid1(SALU_CYCLE_1)
	s_mov_b32 s19, exec_lo
	v_readlane_b32 s21, v97, 8
	s_and_b32 s21, s19, s21
	s_mov_b32 exec_lo, s21
	s_cbranch_execz .LBB57_478
; %bb.477:                              ;   in Loop: Header=BB57_3 Depth=1
	ds_load_b64 v[44:45], v42 offset:1280
	ds_load_b64 v[98:99], v3 offset:16
	s_wait_dscnt 0x0
	v_pk_mul_f32 v[100:101], v[98:99], v[44:45] op_sel:[1,1] op_sel_hi:[0,1]
	s_delay_alu instid0(VALU_DEP_1) | instskip(SKIP_1) | instid1(VALU_DEP_2)
	v_pk_fma_f32 v[102:103], v[98:99], v[44:45], v[100:101] op_sel_hi:[1,0,1]
	v_pk_fma_f32 v[44:45], v[98:99], v[44:45], v[100:101] neg_lo:[0,0,1] neg_hi:[0,0,1]
	v_mov_b32_e32 v45, v103
	s_delay_alu instid0(VALU_DEP_1)
	v_pk_add_f32 v[40:41], v[40:41], v[44:45]
.LBB57_478:                             ;   in Loop: Header=BB57_3 Depth=1
	s_or_b32 exec_lo, exec_lo, s19
	s_delay_alu instid0(SALU_CYCLE_1) | instskip(SKIP_2) | instid1(SALU_CYCLE_1)
	;; [unrolled: 19-line block ×22, first 2 shown]
	s_mov_b32 s19, exec_lo
	v_readlane_b32 s21, v97, 29
	s_and_b32 s21, s19, s21
	s_mov_b32 exec_lo, s21
	s_cbranch_execz .LBB57_520
; %bb.519:                              ;   in Loop: Header=BB57_3 Depth=1
	ds_load_b64 v[44:45], v42 offset:12032
	ds_load_b64 v[98:99], v3 offset:184
	s_wait_dscnt 0x0
	v_pk_mul_f32 v[100:101], v[98:99], v[44:45] op_sel:[1,1] op_sel_hi:[0,1]
	s_delay_alu instid0(VALU_DEP_1) | instskip(SKIP_1) | instid1(VALU_DEP_2)
	v_pk_fma_f32 v[102:103], v[98:99], v[44:45], v[100:101] op_sel_hi:[1,0,1]
	v_pk_fma_f32 v[44:45], v[98:99], v[44:45], v[100:101] neg_lo:[0,0,1] neg_hi:[0,0,1]
	v_mov_b32_e32 v45, v103
	s_delay_alu instid0(VALU_DEP_1)
	v_pk_add_f32 v[40:41], v[40:41], v[44:45]
.LBB57_520:                             ;   in Loop: Header=BB57_3 Depth=1
	s_or_b32 exec_lo, exec_lo, s19
	s_and_saveexec_b32 s19, s4
	s_cbranch_execz .LBB57_522
; %bb.521:                              ;   in Loop: Header=BB57_3 Depth=1
	ds_load_b64 v[44:45], v42 offset:12544
	ds_load_b64 v[98:99], v3 offset:192
	s_wait_dscnt 0x0
	v_pk_mul_f32 v[100:101], v[98:99], v[44:45] op_sel:[1,1] op_sel_hi:[0,1]
	s_delay_alu instid0(VALU_DEP_1) | instskip(SKIP_1) | instid1(VALU_DEP_2)
	v_pk_fma_f32 v[102:103], v[98:99], v[44:45], v[100:101] op_sel_hi:[1,0,1]
	v_pk_fma_f32 v[44:45], v[98:99], v[44:45], v[100:101] neg_lo:[0,0,1] neg_hi:[0,0,1]
	v_mov_b32_e32 v45, v103
	s_delay_alu instid0(VALU_DEP_1)
	v_pk_add_f32 v[40:41], v[40:41], v[44:45]
.LBB57_522:                             ;   in Loop: Header=BB57_3 Depth=1
	s_or_b32 exec_lo, exec_lo, s19
	s_delay_alu instid0(SALU_CYCLE_1) | instskip(SKIP_2) | instid1(SALU_CYCLE_1)
	s_mov_b32 s19, exec_lo
	v_readlane_b32 s21, v106, 25
	s_and_b32 s21, s19, s21
	s_mov_b32 exec_lo, s21
	s_cbranch_execz .LBB57_524
; %bb.523:                              ;   in Loop: Header=BB57_3 Depth=1
	ds_load_b64 v[44:45], v42 offset:13056
	ds_load_b64 v[98:99], v3 offset:200
	s_wait_dscnt 0x0
	v_pk_mul_f32 v[100:101], v[98:99], v[44:45] op_sel:[1,1] op_sel_hi:[0,1]
	s_delay_alu instid0(VALU_DEP_1) | instskip(SKIP_1) | instid1(VALU_DEP_2)
	v_pk_fma_f32 v[102:103], v[98:99], v[44:45], v[100:101] op_sel_hi:[1,0,1]
	v_pk_fma_f32 v[44:45], v[98:99], v[44:45], v[100:101] neg_lo:[0,0,1] neg_hi:[0,0,1]
	v_mov_b32_e32 v45, v103
	s_delay_alu instid0(VALU_DEP_1)
	v_pk_add_f32 v[40:41], v[40:41], v[44:45]
.LBB57_524:                             ;   in Loop: Header=BB57_3 Depth=1
	s_or_b32 exec_lo, exec_lo, s19
	s_delay_alu instid0(SALU_CYCLE_1) | instskip(SKIP_2) | instid1(SALU_CYCLE_1)
	s_mov_b32 s19, exec_lo
	v_readlane_b32 s21, v106, 27
	s_and_b32 s21, s19, s21
	s_mov_b32 exec_lo, s21
	;; [unrolled: 19-line block ×5, first 2 shown]
	s_cbranch_execnz .LBB57_1100
; %bb.531:                              ;   in Loop: Header=BB57_3 Depth=1
	s_or_b32 exec_lo, exec_lo, s19
	s_and_saveexec_b32 s19, s3
	s_cbranch_execnz .LBB57_1101
.LBB57_532:                             ;   in Loop: Header=BB57_3 Depth=1
	s_or_b32 exec_lo, exec_lo, s19
	s_and_saveexec_b32 s19, s17
	s_cbranch_execz .LBB57_534
.LBB57_533:                             ;   in Loop: Header=BB57_3 Depth=1
	ds_load_b64 v[42:43], v87 offset:16128
	ds_load_b64 v[44:45], v3 offset:248
	s_wait_dscnt 0x0
	v_pk_mul_f32 v[98:99], v[44:45], v[42:43] op_sel:[1,1] op_sel_hi:[0,1]
	s_delay_alu instid0(VALU_DEP_1) | instskip(SKIP_1) | instid1(VALU_DEP_2)
	v_pk_fma_f32 v[100:101], v[44:45], v[42:43], v[98:99] op_sel_hi:[1,0,1]
	v_pk_fma_f32 v[42:43], v[44:45], v[42:43], v[98:99] neg_lo:[0,0,1] neg_hi:[0,0,1]
	v_mov_b32_e32 v43, v101
	s_delay_alu instid0(VALU_DEP_1)
	v_pk_add_f32 v[40:41], v[40:41], v[42:43]
.LBB57_534:                             ;   in Loop: Header=BB57_3 Depth=1
	s_or_b32 exec_lo, exec_lo, s19
	s_delay_alu instid0(VALU_DEP_1)
	v_pk_add_f32 v[40:41], v[40:41], 0 neg_lo:[1,1] neg_hi:[1,1]
.LBB57_535:                             ;   in Loop: Header=BB57_3 Depth=1
	s_or_b32 exec_lo, exec_lo, s82
	v_dual_mov_b32 v3, v76 :: v_dual_mov_b32 v42, v95
	s_mov_b32 s61, 0
	s_branch .LBB57_537
.LBB57_536:                             ;   in Loop: Header=BB57_537 Depth=2
	s_or_b32 exec_lo, exec_lo, s19
	v_add_nc_u32_e32 v42, 0x800, v42
	v_add_nc_u32_e32 v3, -4, v3
	s_add_co_i32 s61, s61, 4
	s_delay_alu instid0(SALU_CYCLE_1)
	s_cmp_eq_u32 s61, 32
	s_barrier_signal -1
	s_barrier_wait -1
	s_cbranch_scc1 .LBB57_553
.LBB57_537:                             ;   Parent Loop BB57_3 Depth=1
                                        ; =>  This Inner Loop Header: Depth=2
	s_delay_alu instid0(VALU_DEP_1) | instskip(SKIP_1) | instid1(SALU_CYCLE_1)
	v_cmp_eq_u32_e32 vcc_lo, 0, v3
	s_and_b32 s21, s56, vcc_lo
	s_and_saveexec_b32 s19, s21
; %bb.538:                              ;   in Loop: Header=BB57_537 Depth=2
	ds_store_b64 v88, v[40:41]
; %bb.539:                              ;   in Loop: Header=BB57_537 Depth=2
	s_or_b32 exec_lo, exec_lo, s19
	v_cmp_lt_u32_e32 vcc_lo, s61, v76
	s_wait_dscnt 0x0
	s_barrier_signal -1
	s_barrier_wait -1
	s_and_b32 s21, s56, vcc_lo
	s_delay_alu instid0(SALU_CYCLE_1)
	s_and_saveexec_b32 s19, s21
	s_cbranch_execz .LBB57_541
; %bb.540:                              ;   in Loop: Header=BB57_537 Depth=2
	ds_load_b64 v[44:45], v42
	ds_load_b64 v[98:99], v88
	s_wait_dscnt 0x0
	v_pk_mul_f32 v[100:101], v[98:99], v[44:45] op_sel:[1,1] op_sel_hi:[0,1]
	s_delay_alu instid0(VALU_DEP_1) | instskip(SKIP_1) | instid1(VALU_DEP_2)
	v_pk_fma_f32 v[102:103], v[98:99], v[44:45], v[100:101] op_sel_hi:[1,0,1]
	v_pk_fma_f32 v[44:45], v[98:99], v[44:45], v[100:101] neg_lo:[0,0,1] neg_hi:[0,0,1]
	v_mov_b32_e32 v45, v103
	s_delay_alu instid0(VALU_DEP_1)
	v_pk_add_f32 v[40:41], v[40:41], v[44:45]
.LBB57_541:                             ;   in Loop: Header=BB57_537 Depth=2
	s_or_b32 exec_lo, exec_lo, s19
	s_or_b32 s19, s61, 1
	s_delay_alu instid0(SALU_CYCLE_1) | instskip(SKIP_3) | instid1(SALU_CYCLE_1)
	v_cmp_eq_u32_e32 vcc_lo, s19, v76
	s_barrier_signal -1
	s_barrier_wait -1
	s_and_b32 s60, s56, vcc_lo
	s_and_saveexec_b32 s21, s60
; %bb.542:                              ;   in Loop: Header=BB57_537 Depth=2
	ds_store_b64 v88, v[40:41]
; %bb.543:                              ;   in Loop: Header=BB57_537 Depth=2
	s_or_b32 exec_lo, exec_lo, s21
	v_cmp_lt_u32_e32 vcc_lo, s19, v76
	s_wait_dscnt 0x0
	s_barrier_signal -1
	s_barrier_wait -1
	s_and_b32 s21, s56, vcc_lo
	s_delay_alu instid0(SALU_CYCLE_1)
	s_and_saveexec_b32 s19, s21
	s_cbranch_execz .LBB57_545
; %bb.544:                              ;   in Loop: Header=BB57_537 Depth=2
	ds_load_b64 v[44:45], v42 offset:512
	ds_load_b64 v[98:99], v88
	s_wait_dscnt 0x0
	v_pk_mul_f32 v[100:101], v[98:99], v[44:45] op_sel:[1,1] op_sel_hi:[0,1]
	s_delay_alu instid0(VALU_DEP_1) | instskip(SKIP_1) | instid1(VALU_DEP_2)
	v_pk_fma_f32 v[102:103], v[98:99], v[44:45], v[100:101] op_sel_hi:[1,0,1]
	v_pk_fma_f32 v[44:45], v[98:99], v[44:45], v[100:101] neg_lo:[0,0,1] neg_hi:[0,0,1]
	v_mov_b32_e32 v45, v103
	s_delay_alu instid0(VALU_DEP_1)
	v_pk_add_f32 v[40:41], v[40:41], v[44:45]
.LBB57_545:                             ;   in Loop: Header=BB57_537 Depth=2
	s_or_b32 exec_lo, exec_lo, s19
	s_or_b32 s19, s61, 2
	s_delay_alu instid0(SALU_CYCLE_1) | instskip(SKIP_3) | instid1(SALU_CYCLE_1)
	v_cmp_eq_u32_e32 vcc_lo, s19, v76
	s_barrier_signal -1
	s_barrier_wait -1
	s_and_b32 s60, s56, vcc_lo
	s_and_saveexec_b32 s21, s60
; %bb.546:                              ;   in Loop: Header=BB57_537 Depth=2
	ds_store_b64 v88, v[40:41]
; %bb.547:                              ;   in Loop: Header=BB57_537 Depth=2
	s_or_b32 exec_lo, exec_lo, s21
	v_cmp_lt_u32_e32 vcc_lo, s19, v76
	s_wait_dscnt 0x0
	s_barrier_signal -1
	s_barrier_wait -1
	s_and_b32 s21, s56, vcc_lo
	s_delay_alu instid0(SALU_CYCLE_1)
	s_and_saveexec_b32 s19, s21
	s_cbranch_execz .LBB57_549
; %bb.548:                              ;   in Loop: Header=BB57_537 Depth=2
	ds_load_b64 v[44:45], v42 offset:1024
	ds_load_b64 v[98:99], v88
	s_wait_dscnt 0x0
	v_pk_mul_f32 v[100:101], v[98:99], v[44:45] op_sel:[1,1] op_sel_hi:[0,1]
	s_delay_alu instid0(VALU_DEP_1) | instskip(SKIP_1) | instid1(VALU_DEP_2)
	v_pk_fma_f32 v[102:103], v[98:99], v[44:45], v[100:101] op_sel_hi:[1,0,1]
	v_pk_fma_f32 v[44:45], v[98:99], v[44:45], v[100:101] neg_lo:[0,0,1] neg_hi:[0,0,1]
	v_mov_b32_e32 v45, v103
	s_delay_alu instid0(VALU_DEP_1)
	v_pk_add_f32 v[40:41], v[40:41], v[44:45]
.LBB57_549:                             ;   in Loop: Header=BB57_537 Depth=2
	s_or_b32 exec_lo, exec_lo, s19
	s_or_b32 s19, s61, 3
	s_delay_alu instid0(SALU_CYCLE_1) | instskip(SKIP_3) | instid1(SALU_CYCLE_1)
	v_cmp_eq_u32_e32 vcc_lo, s19, v76
	s_barrier_signal -1
	s_barrier_wait -1
	s_and_b32 s60, s56, vcc_lo
	s_and_saveexec_b32 s21, s60
; %bb.550:                              ;   in Loop: Header=BB57_537 Depth=2
	ds_store_b64 v88, v[40:41]
; %bb.551:                              ;   in Loop: Header=BB57_537 Depth=2
	s_or_b32 exec_lo, exec_lo, s21
	v_cmp_lt_u32_e32 vcc_lo, s19, v76
	s_wait_dscnt 0x0
	s_barrier_signal -1
	s_barrier_wait -1
	s_and_b32 s21, s56, vcc_lo
	s_delay_alu instid0(SALU_CYCLE_1)
	s_and_saveexec_b32 s19, s21
	s_cbranch_execz .LBB57_536
; %bb.552:                              ;   in Loop: Header=BB57_537 Depth=2
	ds_load_b64 v[44:45], v42 offset:1536
	ds_load_b64 v[98:99], v88
	s_wait_dscnt 0x0
	v_pk_mul_f32 v[100:101], v[98:99], v[44:45] op_sel:[1,1] op_sel_hi:[0,1]
	s_delay_alu instid0(VALU_DEP_1) | instskip(SKIP_1) | instid1(VALU_DEP_2)
	v_pk_fma_f32 v[102:103], v[98:99], v[44:45], v[100:101] op_sel_hi:[1,0,1]
	v_pk_fma_f32 v[44:45], v[98:99], v[44:45], v[100:101] neg_lo:[0,0,1] neg_hi:[0,0,1]
	v_mov_b32_e32 v45, v103
	s_delay_alu instid0(VALU_DEP_1)
	v_pk_add_f32 v[40:41], v[40:41], v[44:45]
	s_branch .LBB57_536
.LBB57_553:                             ;   in Loop: Header=BB57_3 Depth=1
	s_and_saveexec_b32 s19, s30
; %bb.554:                              ;   in Loop: Header=BB57_3 Depth=1
	v_pk_add_f32 v[40:41], v[40:41], 0 neg_lo:[1,1] neg_hi:[1,1]
	ds_store_b64 v89, v[40:41] offset:256
; %bb.555:                              ;   in Loop: Header=BB57_3 Depth=1
	s_or_b32 exec_lo, exec_lo, s19
	s_wait_dscnt 0x0
	s_barrier_signal -1
	s_barrier_wait -1
	s_barrier_signal -1
	s_barrier_wait -1
	s_mov_b32 s61, exec_lo
	v_readlane_b32 s19, v106, 14
	s_and_b32 s19, s61, s19
	s_delay_alu instid0(SALU_CYCLE_1)
	s_mov_b32 exec_lo, s19
	s_cbranch_execz .LBB57_557
; %bb.556:                              ;   in Loop: Header=BB57_3 Depth=1
	ds_load_b64 v[40:41], v52 offset:256
	s_wait_dscnt 0x0
	ds_store_b64 v54, v[40:41] offset:16384
	ds_load_b64 v[40:41], v52 offset:264
	s_wait_dscnt 0x0
	ds_store_b64 v54, v[40:41] offset:16896
	;; [unrolled: 3-line block ×32, first 2 shown]
.LBB57_557:                             ;   in Loop: Header=BB57_3 Depth=1
	s_or_b32 exec_lo, exec_lo, s61
	s_wait_dscnt 0x0
	s_barrier_signal -1
	s_barrier_wait -1
	s_and_saveexec_b32 s19, s10
	s_cbranch_execz .LBB57_559
; %bb.558:                              ;   in Loop: Header=BB57_3 Depth=1
	ds_load_b64 v[40:41], v7 offset:16648
	v_add_nc_u32_e64 v3, 0x100, 0
	ds_store_b64 v7, v[26:27] offset:17160
	s_wait_dscnt 0x1
	ds_store_2addr_stride64_b64 v3, v[26:27], v[40:41] offset0:32 offset1:33
.LBB57_559:                             ;   in Loop: Header=BB57_3 Depth=1
	s_or_b32 exec_lo, exec_lo, s19
	v_mov_b64_e32 v[40:41], 0
	s_wait_dscnt 0x0
	s_barrier_signal -1
	s_barrier_wait -1
	s_and_saveexec_b32 s19, s0
	s_cbranch_execz .LBB57_563
; %bb.560:                              ;   in Loop: Header=BB57_3 Depth=1
	ds_load_b64 v[40:41], v63 offset:16656
	ds_load_b64 v[42:43], v64 offset:16640
	s_wait_dscnt 0x0
	v_pk_mul_f32 v[44:45], v[42:43], v[40:41] op_sel:[1,1] op_sel_hi:[0,1]
	s_delay_alu instid0(VALU_DEP_1) | instskip(SKIP_1) | instid1(VALU_DEP_2)
	v_pk_fma_f32 v[98:99], v[42:43], v[40:41], v[44:45] op_sel_hi:[1,0,1]
	v_pk_fma_f32 v[40:41], v[42:43], v[40:41], v[44:45] neg_lo:[0,0,1] neg_hi:[0,0,1]
	v_mov_b32_e32 v41, v99
	s_delay_alu instid0(VALU_DEP_1)
	v_pk_add_f32 v[40:41], v[40:41], 0 op_sel_hi:[1,0]
	s_and_saveexec_b32 s21, s11
	s_cbranch_execz .LBB57_562
; %bb.561:                              ;   in Loop: Header=BB57_3 Depth=1
	ds_load_b64 v[42:43], v5 offset:17168
	ds_load_b64 v[44:45], v7 offset:16648
	s_wait_dscnt 0x0
	v_pk_mul_f32 v[98:99], v[44:45], v[42:43] op_sel:[1,1] op_sel_hi:[0,1]
	s_delay_alu instid0(VALU_DEP_1) | instskip(SKIP_1) | instid1(VALU_DEP_2)
	v_pk_fma_f32 v[100:101], v[44:45], v[42:43], v[98:99] op_sel_hi:[1,0,1]
	v_pk_fma_f32 v[42:43], v[44:45], v[42:43], v[98:99] neg_lo:[0,0,1] neg_hi:[0,0,1]
	v_mov_b32_e32 v43, v101
	s_delay_alu instid0(VALU_DEP_1)
	v_pk_add_f32 v[40:41], v[40:41], v[42:43]
.LBB57_562:                             ;   in Loop: Header=BB57_3 Depth=1
	s_or_b32 exec_lo, exec_lo, s21
	s_delay_alu instid0(VALU_DEP_1)
	v_pk_add_f32 v[40:41], v[40:41], 0 neg_lo:[1,1] neg_hi:[1,1]
.LBB57_563:                             ;   in Loop: Header=BB57_3 Depth=1
	s_or_b32 exec_lo, exec_lo, s19
	s_and_saveexec_b32 s19, s92
; %bb.564:                              ;   in Loop: Header=BB57_3 Depth=1
	ds_store_b64 v53, v[40:41]
; %bb.565:                              ;   in Loop: Header=BB57_3 Depth=1
	s_or_b32 exec_lo, exec_lo, s19
	s_wait_dscnt 0x0
	s_barrier_signal -1
	s_barrier_wait -1
	s_and_saveexec_b32 s19, s93
	s_cbranch_execz .LBB57_567
; %bb.566:                              ;   in Loop: Header=BB57_3 Depth=1
	ds_load_b64 v[42:43], v7 offset:17688
	ds_load_b64 v[44:45], v53
	s_wait_dscnt 0x0
	v_pk_mul_f32 v[98:99], v[44:45], v[42:43] op_sel:[1,1] op_sel_hi:[0,1]
	s_delay_alu instid0(VALU_DEP_1) | instskip(SKIP_1) | instid1(VALU_DEP_2)
	v_pk_fma_f32 v[100:101], v[44:45], v[42:43], v[98:99] op_sel_hi:[1,0,1]
	v_pk_fma_f32 v[42:43], v[44:45], v[42:43], v[98:99] neg_lo:[0,0,1] neg_hi:[0,0,1]
	v_mov_b32_e32 v43, v101
	s_delay_alu instid0(VALU_DEP_1)
	v_pk_add_f32 v[40:41], v[40:41], v[42:43]
.LBB57_567:                             ;   in Loop: Header=BB57_3 Depth=1
	s_or_b32 exec_lo, exec_lo, s19
	s_barrier_signal -1
	s_barrier_wait -1
	s_and_saveexec_b32 s19, s93
; %bb.568:                              ;   in Loop: Header=BB57_3 Depth=1
	ds_store_b64 v53, v[40:41]
; %bb.569:                              ;   in Loop: Header=BB57_3 Depth=1
	s_or_b32 exec_lo, exec_lo, s19
	s_wait_dscnt 0x0
	s_barrier_signal -1
	s_barrier_wait -1
	s_barrier_signal -1
	s_barrier_wait -1
	s_and_saveexec_b32 s19, s0
; %bb.570:                              ;   in Loop: Header=BB57_3 Depth=1
	v_pk_add_f32 v[40:41], v[40:41], 0 neg_lo:[1,1] neg_hi:[1,1]
	ds_store_b64 v63, v[40:41] offset:16656
; %bb.571:                              ;   in Loop: Header=BB57_3 Depth=1
	s_or_b32 exec_lo, exec_lo, s19
	s_wait_dscnt 0x0
	s_barrier_signal -1
	s_barrier_wait -1
	s_barrier_signal -1
	s_barrier_wait -1
	s_and_saveexec_b32 s19, s94
	s_cbranch_execz .LBB57_573
; %bb.572:                              ;   in Loop: Header=BB57_3 Depth=1
	ds_load_b64 v[40:41], v9 offset:16656
	s_wait_dscnt 0x0
	ds_store_b64 v5, v[40:41] offset:17664
	ds_load_b64 v[40:41], v9 offset:16664
	s_wait_dscnt 0x0
	ds_store_b64 v5, v[40:41] offset:18176
.LBB57_573:                             ;   in Loop: Header=BB57_3 Depth=1
	s_or_b32 exec_lo, exec_lo, s19
	s_wait_dscnt 0x0
	s_barrier_signal -1
	s_barrier_wait -1
	s_and_saveexec_b32 s19, s10
	s_cbranch_execz .LBB57_575
; %bb.574:                              ;   in Loop: Header=BB57_3 Depth=1
	ds_load_b64 v[40:41], v7 offset:17688
	v_add_nc_u32_e64 v3, 0x110, 0
	ds_store_b64 v7, v[26:27] offset:18200
	s_wait_dscnt 0x1
	ds_store_2addr_stride64_b64 v3, v[26:27], v[40:41] offset0:34 offset1:35
.LBB57_575:                             ;   in Loop: Header=BB57_3 Depth=1
	s_or_b32 exec_lo, exec_lo, s19
	v_mov_b64_e32 v[40:41], 0
	s_wait_dscnt 0x0
	s_barrier_signal -1
	s_barrier_wait -1
	s_and_saveexec_b32 s61, s2
	s_cbranch_execz .LBB57_581
; %bb.576:                              ;   in Loop: Header=BB57_3 Depth=1
	ds_load_b64 v[40:41], v67 offset:16672
	ds_load_b64 v[42:43], v55 offset:16640
	s_wait_dscnt 0x0
	v_dual_mul_f32 v3, v43, v41 :: v_dual_mul_f32 v41, v42, v41
	s_delay_alu instid0(VALU_DEP_1) | instskip(NEXT) | instid1(VALU_DEP_1)
	v_dual_fma_f32 v3, v42, v40, -v3 :: v_dual_fmac_f32 v41, v43, v40
	v_dual_add_f32 v40, 0, v3 :: v_dual_add_f32 v41, 0, v41
	s_and_saveexec_b32 s19, s12
	s_cbranch_execnz .LBB57_1102
; %bb.577:                              ;   in Loop: Header=BB57_3 Depth=1
	s_or_b32 exec_lo, exec_lo, s19
	s_and_saveexec_b32 s19, s13
	s_cbranch_execnz .LBB57_1103
.LBB57_578:                             ;   in Loop: Header=BB57_3 Depth=1
	s_or_b32 exec_lo, exec_lo, s19
	s_and_saveexec_b32 s19, s0
	s_cbranch_execz .LBB57_580
.LBB57_579:                             ;   in Loop: Header=BB57_3 Depth=1
	ds_load_b64 v[42:43], v47 offset:18208
	ds_load_b64 v[44:45], v7 offset:16664
	s_wait_dscnt 0x0
	v_dual_mul_f32 v3, v45, v43 :: v_dual_mul_f32 v99, v44, v43
	s_delay_alu instid0(VALU_DEP_1) | instskip(NEXT) | instid1(VALU_DEP_2)
	v_fma_f32 v98, v44, v42, -v3
	v_fmac_f32_e32 v99, v45, v42
	s_delay_alu instid0(VALU_DEP_1)
	v_pk_add_f32 v[40:41], v[40:41], v[98:99]
.LBB57_580:                             ;   in Loop: Header=BB57_3 Depth=1
	s_or_b32 exec_lo, exec_lo, s19
	s_delay_alu instid0(VALU_DEP_1)
	v_pk_add_f32 v[40:41], v[40:41], 0 neg_lo:[1,1] neg_hi:[1,1]
.LBB57_581:                             ;   in Loop: Header=BB57_3 Depth=1
	s_or_b32 exec_lo, exec_lo, s61
	s_and_saveexec_b32 s19, s95
; %bb.582:                              ;   in Loop: Header=BB57_3 Depth=1
	ds_store_b64 v65, v[40:41]
; %bb.583:                              ;   in Loop: Header=BB57_3 Depth=1
	s_or_b32 exec_lo, exec_lo, s19
	s_wait_dscnt 0x0
	s_barrier_signal -1
	s_barrier_wait -1
	s_and_saveexec_b32 s19, s96
	s_cbranch_execz .LBB57_585
; %bb.584:                              ;   in Loop: Header=BB57_3 Depth=1
	ds_load_b64 v[42:43], v62 offset:18720
	ds_load_b64 v[44:45], v65
	s_wait_dscnt 0x0
	v_pk_mul_f32 v[98:99], v[44:45], v[42:43] op_sel:[1,1] op_sel_hi:[0,1]
	s_delay_alu instid0(VALU_DEP_1) | instskip(SKIP_1) | instid1(VALU_DEP_2)
	v_pk_fma_f32 v[100:101], v[44:45], v[42:43], v[98:99] op_sel_hi:[1,0,1]
	v_pk_fma_f32 v[42:43], v[44:45], v[42:43], v[98:99] neg_lo:[0,0,1] neg_hi:[0,0,1]
	v_mov_b32_e32 v43, v101
	s_delay_alu instid0(VALU_DEP_1)
	v_pk_add_f32 v[40:41], v[40:41], v[42:43]
.LBB57_585:                             ;   in Loop: Header=BB57_3 Depth=1
	s_or_b32 exec_lo, exec_lo, s19
	s_barrier_signal -1
	s_barrier_wait -1
	s_and_saveexec_b32 s19, s97
; %bb.586:                              ;   in Loop: Header=BB57_3 Depth=1
	ds_store_b64 v65, v[40:41]
; %bb.587:                              ;   in Loop: Header=BB57_3 Depth=1
	s_or_b32 exec_lo, exec_lo, s19
	s_wait_dscnt 0x0
	s_barrier_signal -1
	s_barrier_wait -1
	s_and_saveexec_b32 s19, s98
	s_cbranch_execz .LBB57_589
; %bb.588:                              ;   in Loop: Header=BB57_3 Depth=1
	ds_load_b64 v[42:43], v62 offset:19232
	ds_load_b64 v[44:45], v65
	s_wait_dscnt 0x0
	v_pk_mul_f32 v[98:99], v[44:45], v[42:43] op_sel:[1,1] op_sel_hi:[0,1]
	s_delay_alu instid0(VALU_DEP_1) | instskip(SKIP_1) | instid1(VALU_DEP_2)
	v_pk_fma_f32 v[100:101], v[44:45], v[42:43], v[98:99] op_sel_hi:[1,0,1]
	v_pk_fma_f32 v[42:43], v[44:45], v[42:43], v[98:99] neg_lo:[0,0,1] neg_hi:[0,0,1]
	v_mov_b32_e32 v43, v101
	s_delay_alu instid0(VALU_DEP_1)
	v_pk_add_f32 v[40:41], v[40:41], v[42:43]
.LBB57_589:                             ;   in Loop: Header=BB57_3 Depth=1
	s_or_b32 exec_lo, exec_lo, s19
	s_barrier_signal -1
	s_barrier_wait -1
	;; [unrolled: 25-line block ×3, first 2 shown]
	s_and_saveexec_b32 s19, s100
; %bb.594:                              ;   in Loop: Header=BB57_3 Depth=1
	ds_store_b64 v65, v[40:41]
; %bb.595:                              ;   in Loop: Header=BB57_3 Depth=1
	s_or_b32 exec_lo, exec_lo, s19
	s_wait_dscnt 0x0
	s_barrier_signal -1
	s_barrier_wait -1
	s_barrier_signal -1
	s_barrier_wait -1
	s_and_saveexec_b32 s19, s2
; %bb.596:                              ;   in Loop: Header=BB57_3 Depth=1
	v_pk_add_f32 v[40:41], v[40:41], 0 neg_lo:[1,1] neg_hi:[1,1]
	ds_store_b64 v67, v[40:41] offset:16672
; %bb.597:                              ;   in Loop: Header=BB57_3 Depth=1
	s_or_b32 exec_lo, exec_lo, s19
	s_wait_dscnt 0x0
	s_barrier_signal -1
	s_barrier_wait -1
	s_barrier_signal -1
	s_barrier_wait -1
	s_and_saveexec_b32 s19, s101
	s_cbranch_execz .LBB57_599
; %bb.598:                              ;   in Loop: Header=BB57_3 Depth=1
	ds_load_b64 v[40:41], v48 offset:16672
	s_wait_dscnt 0x0
	ds_store_b64 v49, v[40:41] offset:18688
	ds_load_b64 v[40:41], v48 offset:16680
	s_wait_dscnt 0x0
	ds_store_b64 v49, v[40:41] offset:19200
	;; [unrolled: 3-line block ×4, first 2 shown]
.LBB57_599:                             ;   in Loop: Header=BB57_3 Depth=1
	s_or_b32 exec_lo, exec_lo, s19
	s_wait_dscnt 0x0
	s_barrier_signal -1
	s_barrier_wait -1
	s_and_saveexec_b32 s19, s10
	s_cbranch_execz .LBB57_601
; %bb.600:                              ;   in Loop: Header=BB57_3 Depth=1
	ds_load_b64 v[40:41], v7 offset:18728
	v_add_nc_u32_e64 v3, 0x120, 0
	ds_store_b64 v7, v[26:27] offset:19240
	s_wait_dscnt 0x1
	ds_store_2addr_stride64_b64 v3, v[26:27], v[40:41] offset0:36 offset1:37
.LBB57_601:                             ;   in Loop: Header=BB57_3 Depth=1
	s_or_b32 exec_lo, exec_lo, s19
	v_mov_b64_e32 v[40:41], 0
	s_wait_dscnt 0x0
	s_barrier_signal -1
	s_barrier_wait -1
	s_and_saveexec_b32 s19, s0
	s_cbranch_execz .LBB57_605
; %bb.602:                              ;   in Loop: Header=BB57_3 Depth=1
	ds_load_b64 v[40:41], v63 offset:18736
	ds_load_b64 v[42:43], v64 offset:18720
	s_wait_dscnt 0x0
	v_pk_mul_f32 v[44:45], v[42:43], v[40:41] op_sel:[1,1] op_sel_hi:[0,1]
	s_delay_alu instid0(VALU_DEP_1) | instskip(SKIP_1) | instid1(VALU_DEP_2)
	v_pk_fma_f32 v[98:99], v[42:43], v[40:41], v[44:45] op_sel_hi:[1,0,1]
	v_pk_fma_f32 v[40:41], v[42:43], v[40:41], v[44:45] neg_lo:[0,0,1] neg_hi:[0,0,1]
	v_mov_b32_e32 v41, v99
	s_delay_alu instid0(VALU_DEP_1)
	v_pk_add_f32 v[40:41], v[40:41], 0 op_sel_hi:[1,0]
	s_and_saveexec_b32 s21, s11
	s_cbranch_execz .LBB57_604
; %bb.603:                              ;   in Loop: Header=BB57_3 Depth=1
	ds_load_b64 v[42:43], v49 offset:19248
	ds_load_b64 v[44:45], v7 offset:18728
	s_wait_dscnt 0x0
	v_pk_mul_f32 v[98:99], v[44:45], v[42:43] op_sel:[1,1] op_sel_hi:[0,1]
	s_delay_alu instid0(VALU_DEP_1) | instskip(SKIP_1) | instid1(VALU_DEP_2)
	v_pk_fma_f32 v[100:101], v[44:45], v[42:43], v[98:99] op_sel_hi:[1,0,1]
	v_pk_fma_f32 v[42:43], v[44:45], v[42:43], v[98:99] neg_lo:[0,0,1] neg_hi:[0,0,1]
	v_mov_b32_e32 v43, v101
	s_delay_alu instid0(VALU_DEP_1)
	v_pk_add_f32 v[40:41], v[40:41], v[42:43]
.LBB57_604:                             ;   in Loop: Header=BB57_3 Depth=1
	s_or_b32 exec_lo, exec_lo, s21
	s_delay_alu instid0(VALU_DEP_1)
	v_pk_add_f32 v[40:41], v[40:41], 0 neg_lo:[1,1] neg_hi:[1,1]
.LBB57_605:                             ;   in Loop: Header=BB57_3 Depth=1
	s_or_b32 exec_lo, exec_lo, s19
	s_and_saveexec_b32 s19, s92
; %bb.606:                              ;   in Loop: Header=BB57_3 Depth=1
	ds_store_b64 v53, v[40:41]
; %bb.607:                              ;   in Loop: Header=BB57_3 Depth=1
	s_or_b32 exec_lo, exec_lo, s19
	s_wait_dscnt 0x0
	s_barrier_signal -1
	s_barrier_wait -1
	s_and_saveexec_b32 s19, s93
	s_cbranch_execz .LBB57_609
; %bb.608:                              ;   in Loop: Header=BB57_3 Depth=1
	ds_load_b64 v[42:43], v7 offset:19768
	ds_load_b64 v[44:45], v53
	s_wait_dscnt 0x0
	v_pk_mul_f32 v[98:99], v[44:45], v[42:43] op_sel:[1,1] op_sel_hi:[0,1]
	s_delay_alu instid0(VALU_DEP_1) | instskip(SKIP_1) | instid1(VALU_DEP_2)
	v_pk_fma_f32 v[100:101], v[44:45], v[42:43], v[98:99] op_sel_hi:[1,0,1]
	v_pk_fma_f32 v[42:43], v[44:45], v[42:43], v[98:99] neg_lo:[0,0,1] neg_hi:[0,0,1]
	v_mov_b32_e32 v43, v101
	s_delay_alu instid0(VALU_DEP_1)
	v_pk_add_f32 v[40:41], v[40:41], v[42:43]
.LBB57_609:                             ;   in Loop: Header=BB57_3 Depth=1
	s_or_b32 exec_lo, exec_lo, s19
	s_barrier_signal -1
	s_barrier_wait -1
	s_and_saveexec_b32 s19, s93
; %bb.610:                              ;   in Loop: Header=BB57_3 Depth=1
	ds_store_b64 v53, v[40:41]
; %bb.611:                              ;   in Loop: Header=BB57_3 Depth=1
	s_or_b32 exec_lo, exec_lo, s19
	s_wait_dscnt 0x0
	s_barrier_signal -1
	s_barrier_wait -1
	s_barrier_signal -1
	s_barrier_wait -1
	s_and_saveexec_b32 s19, s0
; %bb.612:                              ;   in Loop: Header=BB57_3 Depth=1
	v_pk_add_f32 v[40:41], v[40:41], 0 neg_lo:[1,1] neg_hi:[1,1]
	ds_store_b64 v63, v[40:41] offset:18736
; %bb.613:                              ;   in Loop: Header=BB57_3 Depth=1
	s_or_b32 exec_lo, exec_lo, s19
	s_wait_dscnt 0x0
	s_barrier_signal -1
	s_barrier_wait -1
	s_barrier_signal -1
	s_barrier_wait -1
	s_and_saveexec_b32 s19, s94
	s_cbranch_execz .LBB57_615
; %bb.614:                              ;   in Loop: Header=BB57_3 Depth=1
	ds_load_b64 v[40:41], v50 offset:18736
	s_wait_dscnt 0x0
	ds_store_b64 v49, v[40:41] offset:19744
	ds_load_b64 v[40:41], v50 offset:18744
	s_wait_dscnt 0x0
	ds_store_b64 v49, v[40:41] offset:20256
.LBB57_615:                             ;   in Loop: Header=BB57_3 Depth=1
	s_or_b32 exec_lo, exec_lo, s19
	s_wait_dscnt 0x0
	s_barrier_signal -1
	s_barrier_wait -1
	s_and_saveexec_b32 s19, s10
	s_cbranch_execz .LBB57_617
; %bb.616:                              ;   in Loop: Header=BB57_3 Depth=1
	ds_load_b64 v[40:41], v7 offset:19768
	v_add_nc_u32_e64 v3, 0x130, 0
	ds_store_b64 v7, v[26:27] offset:20280
	s_wait_dscnt 0x1
	ds_store_2addr_stride64_b64 v3, v[26:27], v[40:41] offset0:38 offset1:39
.LBB57_617:                             ;   in Loop: Header=BB57_3 Depth=1
	s_or_b32 exec_lo, exec_lo, s19
	v_mov_b64_e32 v[40:41], 0
	s_wait_dscnt 0x0
	s_barrier_signal -1
	s_barrier_wait -1
	s_and_saveexec_b32 s61, s3
	s_cbranch_execz .LBB57_627
; %bb.618:                              ;   in Loop: Header=BB57_3 Depth=1
	ds_load_b64 v[40:41], v71 offset:16704
	ds_load_b64 v[42:43], v57 offset:16640
	s_wait_dscnt 0x0
	v_dual_mul_f32 v3, v43, v41 :: v_dual_mul_f32 v41, v42, v41
	s_delay_alu instid0(VALU_DEP_1) | instskip(NEXT) | instid1(VALU_DEP_1)
	v_dual_fma_f32 v3, v42, v40, -v3 :: v_dual_fmac_f32 v41, v43, v40
	v_dual_add_f32 v40, 0, v3 :: v_dual_add_f32 v41, 0, v41
	s_and_saveexec_b32 s19, s14
	s_cbranch_execnz .LBB57_1104
; %bb.619:                              ;   in Loop: Header=BB57_3 Depth=1
	s_or_b32 exec_lo, exec_lo, s19
	s_and_saveexec_b32 s19, s15
	s_cbranch_execnz .LBB57_1105
.LBB57_620:                             ;   in Loop: Header=BB57_3 Depth=1
	s_or_b32 exec_lo, exec_lo, s19
	s_and_saveexec_b32 s19, s16
	s_cbranch_execnz .LBB57_1106
.LBB57_621:                             ;   in Loop: Header=BB57_3 Depth=1
	s_or_b32 exec_lo, exec_lo, s19
	s_and_saveexec_b32 s19, s17
	s_cbranch_execnz .LBB57_1107
.LBB57_622:                             ;   in Loop: Header=BB57_3 Depth=1
	s_or_b32 exec_lo, exec_lo, s19
	s_and_saveexec_b32 s19, s18
	s_cbranch_execnz .LBB57_1108
.LBB57_623:                             ;   in Loop: Header=BB57_3 Depth=1
	s_or_b32 exec_lo, exec_lo, s19
	s_and_saveexec_b32 s19, s2
	s_cbranch_execnz .LBB57_1109
.LBB57_624:                             ;   in Loop: Header=BB57_3 Depth=1
	s_or_b32 exec_lo, exec_lo, s19
	s_and_saveexec_b32 s19, s13
	s_cbranch_execz .LBB57_626
.LBB57_625:                             ;   in Loop: Header=BB57_3 Depth=1
	ds_load_b64 v[42:43], v5 offset:20288
	ds_load_b64 v[44:45], v7 offset:16696
	s_wait_dscnt 0x0
	v_pk_mul_f32 v[98:99], v[44:45], v[42:43] op_sel:[1,1] op_sel_hi:[0,1]
	s_delay_alu instid0(VALU_DEP_1) | instskip(SKIP_1) | instid1(VALU_DEP_2)
	v_pk_fma_f32 v[100:101], v[44:45], v[42:43], v[98:99] op_sel_hi:[1,0,1]
	v_pk_fma_f32 v[42:43], v[44:45], v[42:43], v[98:99] neg_lo:[0,0,1] neg_hi:[0,0,1]
	v_mov_b32_e32 v43, v101
	s_delay_alu instid0(VALU_DEP_1)
	v_pk_add_f32 v[40:41], v[40:41], v[42:43]
.LBB57_626:                             ;   in Loop: Header=BB57_3 Depth=1
	s_or_b32 exec_lo, exec_lo, s19
	s_delay_alu instid0(VALU_DEP_1)
	v_pk_add_f32 v[40:41], v[40:41], 0 neg_lo:[1,1] neg_hi:[1,1]
.LBB57_627:                             ;   in Loop: Header=BB57_3 Depth=1
	s_or_b32 exec_lo, exec_lo, s61
	s_and_saveexec_b32 s19, s102
; %bb.628:                              ;   in Loop: Header=BB57_3 Depth=1
	ds_store_b64 v70, v[40:41]
; %bb.629:                              ;   in Loop: Header=BB57_3 Depth=1
	s_or_b32 exec_lo, exec_lo, s19
	s_wait_dscnt 0x0
	s_barrier_signal -1
	s_barrier_wait -1
	s_and_saveexec_b32 s19, s103
	s_cbranch_execz .LBB57_631
; %bb.630:                              ;   in Loop: Header=BB57_3 Depth=1
	ds_load_b64 v[42:43], v66 offset:20800
	ds_load_b64 v[44:45], v70
	s_wait_dscnt 0x0
	v_pk_mul_f32 v[98:99], v[44:45], v[42:43] op_sel:[1,1] op_sel_hi:[0,1]
	s_delay_alu instid0(VALU_DEP_1) | instskip(SKIP_1) | instid1(VALU_DEP_2)
	v_pk_fma_f32 v[100:101], v[44:45], v[42:43], v[98:99] op_sel_hi:[1,0,1]
	v_pk_fma_f32 v[42:43], v[44:45], v[42:43], v[98:99] neg_lo:[0,0,1] neg_hi:[0,0,1]
	v_mov_b32_e32 v43, v101
	s_delay_alu instid0(VALU_DEP_1)
	v_pk_add_f32 v[40:41], v[40:41], v[42:43]
.LBB57_631:                             ;   in Loop: Header=BB57_3 Depth=1
	s_or_b32 exec_lo, exec_lo, s19
	s_barrier_signal -1
	s_barrier_wait -1
	s_and_saveexec_b32 s19, s104
; %bb.632:                              ;   in Loop: Header=BB57_3 Depth=1
	ds_store_b64 v70, v[40:41]
; %bb.633:                              ;   in Loop: Header=BB57_3 Depth=1
	s_or_b32 exec_lo, exec_lo, s19
	s_wait_dscnt 0x0
	s_barrier_signal -1
	s_barrier_wait -1
	s_and_saveexec_b32 s19, vcc_hi
	s_cbranch_execz .LBB57_635
; %bb.634:                              ;   in Loop: Header=BB57_3 Depth=1
	ds_load_b64 v[42:43], v66 offset:21312
	ds_load_b64 v[44:45], v70
	s_wait_dscnt 0x0
	v_dual_mul_f32 v3, v45, v43 :: v_dual_mul_f32 v43, v44, v43
	s_delay_alu instid0(VALU_DEP_1) | instskip(NEXT) | instid1(VALU_DEP_1)
	v_fmac_f32_e32 v43, v45, v42
	v_dual_fma_f32 v3, v44, v42, -v3 :: v_dual_add_f32 v41, v41, v43
	s_delay_alu instid0(VALU_DEP_1)
	v_add_f32_e32 v40, v40, v3
.LBB57_635:                             ;   in Loop: Header=BB57_3 Depth=1
	s_or_b32 exec_lo, exec_lo, s19
	s_barrier_signal -1
	s_barrier_wait -1
	s_and_saveexec_b32 s19, s38
; %bb.636:                              ;   in Loop: Header=BB57_3 Depth=1
	ds_store_b64 v70, v[40:41]
; %bb.637:                              ;   in Loop: Header=BB57_3 Depth=1
	s_or_b32 exec_lo, exec_lo, s19
	s_wait_dscnt 0x0
	s_barrier_signal -1
	s_barrier_wait -1
	s_and_saveexec_b32 s19, s39
	s_cbranch_execz .LBB57_639
; %bb.638:                              ;   in Loop: Header=BB57_3 Depth=1
	ds_load_b64 v[42:43], v66 offset:21824
	ds_load_b64 v[44:45], v70
	s_wait_dscnt 0x0
	v_dual_mul_f32 v3, v45, v43 :: v_dual_mul_f32 v99, v44, v43
	s_delay_alu instid0(VALU_DEP_1) | instskip(NEXT) | instid1(VALU_DEP_2)
	v_fma_f32 v98, v44, v42, -v3
	v_fmac_f32_e32 v99, v45, v42
	s_delay_alu instid0(VALU_DEP_1)
	v_pk_add_f32 v[40:41], v[40:41], v[98:99]
.LBB57_639:                             ;   in Loop: Header=BB57_3 Depth=1
	s_or_b32 exec_lo, exec_lo, s19
	s_barrier_signal -1
	s_barrier_wait -1
	s_and_saveexec_b32 s19, s40
; %bb.640:                              ;   in Loop: Header=BB57_3 Depth=1
	ds_store_b64 v70, v[40:41]
; %bb.641:                              ;   in Loop: Header=BB57_3 Depth=1
	s_or_b32 exec_lo, exec_lo, s19
	s_wait_dscnt 0x0
	s_barrier_signal -1
	s_barrier_wait -1
	s_and_saveexec_b32 s19, s41
	s_cbranch_execz .LBB57_643
; %bb.642:                              ;   in Loop: Header=BB57_3 Depth=1
	ds_load_b64 v[42:43], v66 offset:22336
	ds_load_b64 v[44:45], v70
	s_wait_dscnt 0x0
	v_pk_mul_f32 v[98:99], v[44:45], v[42:43] op_sel:[1,1] op_sel_hi:[0,1]
	s_delay_alu instid0(VALU_DEP_1) | instskip(SKIP_1) | instid1(VALU_DEP_2)
	v_pk_fma_f32 v[100:101], v[44:45], v[42:43], v[98:99] op_sel_hi:[1,0,1]
	v_pk_fma_f32 v[42:43], v[44:45], v[42:43], v[98:99] neg_lo:[0,0,1] neg_hi:[0,0,1]
	v_mov_b32_e32 v43, v101
	s_delay_alu instid0(VALU_DEP_1)
	v_pk_add_f32 v[40:41], v[40:41], v[42:43]
.LBB57_643:                             ;   in Loop: Header=BB57_3 Depth=1
	s_or_b32 exec_lo, exec_lo, s19
	s_barrier_signal -1
	s_barrier_wait -1
	s_and_saveexec_b32 s19, s42
; %bb.644:                              ;   in Loop: Header=BB57_3 Depth=1
	ds_store_b64 v70, v[40:41]
; %bb.645:                              ;   in Loop: Header=BB57_3 Depth=1
	s_or_b32 exec_lo, exec_lo, s19
	s_wait_dscnt 0x0
	s_barrier_signal -1
	s_barrier_wait -1
	s_and_saveexec_b32 s19, s43
	s_cbranch_execz .LBB57_647
; %bb.646:                              ;   in Loop: Header=BB57_3 Depth=1
	ds_load_b64 v[42:43], v66 offset:22848
	ds_load_b64 v[44:45], v70
	s_wait_dscnt 0x0
	v_pk_mul_f32 v[98:99], v[44:45], v[42:43] op_sel:[1,1] op_sel_hi:[0,1]
	s_delay_alu instid0(VALU_DEP_1) | instskip(SKIP_1) | instid1(VALU_DEP_2)
	v_pk_fma_f32 v[100:101], v[44:45], v[42:43], v[98:99] op_sel_hi:[1,0,1]
	v_pk_fma_f32 v[42:43], v[44:45], v[42:43], v[98:99] neg_lo:[0,0,1] neg_hi:[0,0,1]
	v_mov_b32_e32 v43, v101
	s_delay_alu instid0(VALU_DEP_1)
	v_pk_add_f32 v[40:41], v[40:41], v[42:43]
.LBB57_647:                             ;   in Loop: Header=BB57_3 Depth=1
	;; [unrolled: 25-line block ×4, first 2 shown]
	s_or_b32 exec_lo, exec_lo, s19
	s_barrier_signal -1
	s_barrier_wait -1
	s_and_saveexec_b32 s19, s47
; %bb.656:                              ;   in Loop: Header=BB57_3 Depth=1
	ds_store_b64 v70, v[40:41]
; %bb.657:                              ;   in Loop: Header=BB57_3 Depth=1
	s_or_b32 exec_lo, exec_lo, s19
	s_wait_dscnt 0x0
	s_barrier_signal -1
	s_barrier_wait -1
	s_barrier_signal -1
	s_barrier_wait -1
	s_and_saveexec_b32 s19, s3
; %bb.658:                              ;   in Loop: Header=BB57_3 Depth=1
	v_pk_add_f32 v[40:41], v[40:41], 0 neg_lo:[1,1] neg_hi:[1,1]
	ds_store_b64 v71, v[40:41] offset:16704
; %bb.659:                              ;   in Loop: Header=BB57_3 Depth=1
	s_or_b32 exec_lo, exec_lo, s19
	s_wait_dscnt 0x0
	s_barrier_signal -1
	s_barrier_wait -1
	s_barrier_signal -1
	s_barrier_wait -1
	s_and_saveexec_b32 s19, s48
	s_cbranch_execz .LBB57_661
; %bb.660:                              ;   in Loop: Header=BB57_3 Depth=1
	ds_load_b64 v[40:41], v9 offset:16704
	s_wait_dscnt 0x0
	ds_store_b64 v47, v[40:41] offset:20736
	ds_load_b64 v[40:41], v9 offset:16712
	s_wait_dscnt 0x0
	ds_store_b64 v47, v[40:41] offset:21248
	ds_load_b64 v[40:41], v9 offset:16720
	s_wait_dscnt 0x0
	ds_store_b64 v47, v[40:41] offset:21760
	ds_load_b64 v[40:41], v9 offset:16728
	s_wait_dscnt 0x0
	ds_store_b64 v47, v[40:41] offset:22272
	ds_load_b64 v[40:41], v9 offset:16736
	s_wait_dscnt 0x0
	ds_store_b64 v47, v[40:41] offset:22784
	ds_load_b64 v[40:41], v9 offset:16744
	s_wait_dscnt 0x0
	ds_store_b64 v47, v[40:41] offset:23296
	ds_load_b64 v[40:41], v9 offset:16752
	s_wait_dscnt 0x0
	ds_store_b64 v47, v[40:41] offset:23808
	ds_load_b64 v[40:41], v9 offset:16760
	s_wait_dscnt 0x0
	ds_store_b64 v47, v[40:41] offset:24320
.LBB57_661:                             ;   in Loop: Header=BB57_3 Depth=1
	s_or_b32 exec_lo, exec_lo, s19
	s_wait_dscnt 0x0
	s_barrier_signal -1
	s_barrier_wait -1
	s_and_saveexec_b32 s19, s10
	s_cbranch_execz .LBB57_663
; %bb.662:                              ;   in Loop: Header=BB57_3 Depth=1
	ds_load_b64 v[40:41], v7 offset:20808
	v_add_nc_u32_e64 v3, 0x140, 0
	ds_store_b64 v7, v[26:27] offset:21320
	s_wait_dscnt 0x1
	ds_store_2addr_stride64_b64 v3, v[26:27], v[40:41] offset0:40 offset1:41
.LBB57_663:                             ;   in Loop: Header=BB57_3 Depth=1
	s_or_b32 exec_lo, exec_lo, s19
	v_mov_b64_e32 v[40:41], 0
	s_wait_dscnt 0x0
	s_barrier_signal -1
	s_barrier_wait -1
	s_and_saveexec_b32 s19, s0
	s_cbranch_execz .LBB57_667
; %bb.664:                              ;   in Loop: Header=BB57_3 Depth=1
	ds_load_b64 v[40:41], v63 offset:20816
	ds_load_b64 v[42:43], v64 offset:20800
	s_wait_dscnt 0x0
	v_pk_mul_f32 v[44:45], v[42:43], v[40:41] op_sel:[1,1] op_sel_hi:[0,1]
	s_delay_alu instid0(VALU_DEP_1) | instskip(SKIP_1) | instid1(VALU_DEP_2)
	v_pk_fma_f32 v[98:99], v[42:43], v[40:41], v[44:45] op_sel_hi:[1,0,1]
	v_pk_fma_f32 v[40:41], v[42:43], v[40:41], v[44:45] neg_lo:[0,0,1] neg_hi:[0,0,1]
	v_mov_b32_e32 v41, v99
	s_delay_alu instid0(VALU_DEP_1)
	v_pk_add_f32 v[40:41], v[40:41], 0 op_sel_hi:[1,0]
	s_and_saveexec_b32 s21, s11
	s_cbranch_execz .LBB57_666
; %bb.665:                              ;   in Loop: Header=BB57_3 Depth=1
	ds_load_b64 v[42:43], v47 offset:21328
	ds_load_b64 v[44:45], v7 offset:20808
	s_wait_dscnt 0x0
	v_pk_mul_f32 v[98:99], v[44:45], v[42:43] op_sel:[1,1] op_sel_hi:[0,1]
	s_delay_alu instid0(VALU_DEP_1) | instskip(SKIP_1) | instid1(VALU_DEP_2)
	v_pk_fma_f32 v[100:101], v[44:45], v[42:43], v[98:99] op_sel_hi:[1,0,1]
	v_pk_fma_f32 v[42:43], v[44:45], v[42:43], v[98:99] neg_lo:[0,0,1] neg_hi:[0,0,1]
	v_mov_b32_e32 v43, v101
	s_delay_alu instid0(VALU_DEP_1)
	v_pk_add_f32 v[40:41], v[40:41], v[42:43]
.LBB57_666:                             ;   in Loop: Header=BB57_3 Depth=1
	s_or_b32 exec_lo, exec_lo, s21
	s_delay_alu instid0(VALU_DEP_1)
	v_pk_add_f32 v[40:41], v[40:41], 0 neg_lo:[1,1] neg_hi:[1,1]
.LBB57_667:                             ;   in Loop: Header=BB57_3 Depth=1
	s_or_b32 exec_lo, exec_lo, s19
	s_and_saveexec_b32 s19, s92
; %bb.668:                              ;   in Loop: Header=BB57_3 Depth=1
	ds_store_b64 v53, v[40:41]
; %bb.669:                              ;   in Loop: Header=BB57_3 Depth=1
	s_or_b32 exec_lo, exec_lo, s19
	s_wait_dscnt 0x0
	s_barrier_signal -1
	s_barrier_wait -1
	s_and_saveexec_b32 s19, s93
	s_cbranch_execz .LBB57_671
; %bb.670:                              ;   in Loop: Header=BB57_3 Depth=1
	ds_load_b64 v[42:43], v7 offset:21848
	ds_load_b64 v[44:45], v53
	s_wait_dscnt 0x0
	v_pk_mul_f32 v[98:99], v[44:45], v[42:43] op_sel:[1,1] op_sel_hi:[0,1]
	s_delay_alu instid0(VALU_DEP_1) | instskip(SKIP_1) | instid1(VALU_DEP_2)
	v_pk_fma_f32 v[100:101], v[44:45], v[42:43], v[98:99] op_sel_hi:[1,0,1]
	v_pk_fma_f32 v[42:43], v[44:45], v[42:43], v[98:99] neg_lo:[0,0,1] neg_hi:[0,0,1]
	v_mov_b32_e32 v43, v101
	s_delay_alu instid0(VALU_DEP_1)
	v_pk_add_f32 v[40:41], v[40:41], v[42:43]
.LBB57_671:                             ;   in Loop: Header=BB57_3 Depth=1
	s_or_b32 exec_lo, exec_lo, s19
	s_barrier_signal -1
	s_barrier_wait -1
	s_and_saveexec_b32 s19, s93
; %bb.672:                              ;   in Loop: Header=BB57_3 Depth=1
	ds_store_b64 v53, v[40:41]
; %bb.673:                              ;   in Loop: Header=BB57_3 Depth=1
	s_or_b32 exec_lo, exec_lo, s19
	s_wait_dscnt 0x0
	s_barrier_signal -1
	s_barrier_wait -1
	s_barrier_signal -1
	s_barrier_wait -1
	s_and_saveexec_b32 s19, s0
; %bb.674:                              ;   in Loop: Header=BB57_3 Depth=1
	v_pk_add_f32 v[40:41], v[40:41], 0 neg_lo:[1,1] neg_hi:[1,1]
	ds_store_b64 v63, v[40:41] offset:20816
; %bb.675:                              ;   in Loop: Header=BB57_3 Depth=1
	s_or_b32 exec_lo, exec_lo, s19
	s_wait_dscnt 0x0
	s_barrier_signal -1
	s_barrier_wait -1
	s_barrier_signal -1
	s_barrier_wait -1
	s_and_saveexec_b32 s19, s94
	s_cbranch_execz .LBB57_677
; %bb.676:                              ;   in Loop: Header=BB57_3 Depth=1
	ds_load_b64 v[40:41], v48 offset:20816
	s_wait_dscnt 0x0
	ds_store_b64 v47, v[40:41] offset:21824
	ds_load_b64 v[40:41], v48 offset:20824
	s_wait_dscnt 0x0
	ds_store_b64 v47, v[40:41] offset:22336
.LBB57_677:                             ;   in Loop: Header=BB57_3 Depth=1
	s_or_b32 exec_lo, exec_lo, s19
	s_wait_dscnt 0x0
	s_barrier_signal -1
	s_barrier_wait -1
	s_and_saveexec_b32 s19, s10
	s_cbranch_execz .LBB57_679
; %bb.678:                              ;   in Loop: Header=BB57_3 Depth=1
	ds_load_b64 v[40:41], v7 offset:21848
	v_add_nc_u32_e64 v3, 0x150, 0
	ds_store_b64 v7, v[26:27] offset:22360
	s_wait_dscnt 0x1
	ds_store_2addr_stride64_b64 v3, v[26:27], v[40:41] offset0:42 offset1:43
.LBB57_679:                             ;   in Loop: Header=BB57_3 Depth=1
	s_or_b32 exec_lo, exec_lo, s19
	v_mov_b64_e32 v[40:41], 0
	s_wait_dscnt 0x0
	s_barrier_signal -1
	s_barrier_wait -1
	s_and_saveexec_b32 s61, s2
	s_cbranch_execz .LBB57_685
; %bb.680:                              ;   in Loop: Header=BB57_3 Depth=1
	ds_load_b64 v[40:41], v67 offset:20832
	ds_load_b64 v[42:43], v55 offset:20800
	s_wait_dscnt 0x0
	v_dual_mul_f32 v3, v43, v41 :: v_dual_mul_f32 v41, v42, v41
	s_delay_alu instid0(VALU_DEP_1) | instskip(NEXT) | instid1(VALU_DEP_1)
	v_dual_fma_f32 v3, v42, v40, -v3 :: v_dual_fmac_f32 v41, v43, v40
	v_dual_add_f32 v40, 0, v3 :: v_dual_add_f32 v41, 0, v41
	s_and_saveexec_b32 s19, s12
	s_cbranch_execnz .LBB57_1110
; %bb.681:                              ;   in Loop: Header=BB57_3 Depth=1
	s_or_b32 exec_lo, exec_lo, s19
	s_and_saveexec_b32 s19, s13
	s_cbranch_execnz .LBB57_1111
.LBB57_682:                             ;   in Loop: Header=BB57_3 Depth=1
	s_or_b32 exec_lo, exec_lo, s19
	s_and_saveexec_b32 s19, s0
	s_cbranch_execz .LBB57_684
.LBB57_683:                             ;   in Loop: Header=BB57_3 Depth=1
	ds_load_b64 v[42:43], v49 offset:22368
	ds_load_b64 v[44:45], v7 offset:20824
	s_wait_dscnt 0x0
	v_dual_mul_f32 v3, v45, v43 :: v_dual_mul_f32 v99, v44, v43
	s_delay_alu instid0(VALU_DEP_1) | instskip(NEXT) | instid1(VALU_DEP_2)
	v_fma_f32 v98, v44, v42, -v3
	v_fmac_f32_e32 v99, v45, v42
	s_delay_alu instid0(VALU_DEP_1)
	v_pk_add_f32 v[40:41], v[40:41], v[98:99]
.LBB57_684:                             ;   in Loop: Header=BB57_3 Depth=1
	s_or_b32 exec_lo, exec_lo, s19
	s_delay_alu instid0(VALU_DEP_1)
	v_pk_add_f32 v[40:41], v[40:41], 0 neg_lo:[1,1] neg_hi:[1,1]
.LBB57_685:                             ;   in Loop: Header=BB57_3 Depth=1
	s_or_b32 exec_lo, exec_lo, s61
	s_and_saveexec_b32 s19, s95
; %bb.686:                              ;   in Loop: Header=BB57_3 Depth=1
	ds_store_b64 v65, v[40:41]
; %bb.687:                              ;   in Loop: Header=BB57_3 Depth=1
	s_or_b32 exec_lo, exec_lo, s19
	s_wait_dscnt 0x0
	s_barrier_signal -1
	s_barrier_wait -1
	s_and_saveexec_b32 s19, s96
	s_cbranch_execz .LBB57_689
; %bb.688:                              ;   in Loop: Header=BB57_3 Depth=1
	ds_load_b64 v[42:43], v62 offset:22880
	ds_load_b64 v[44:45], v65
	s_wait_dscnt 0x0
	v_pk_mul_f32 v[98:99], v[44:45], v[42:43] op_sel:[1,1] op_sel_hi:[0,1]
	s_delay_alu instid0(VALU_DEP_1) | instskip(SKIP_1) | instid1(VALU_DEP_2)
	v_pk_fma_f32 v[100:101], v[44:45], v[42:43], v[98:99] op_sel_hi:[1,0,1]
	v_pk_fma_f32 v[42:43], v[44:45], v[42:43], v[98:99] neg_lo:[0,0,1] neg_hi:[0,0,1]
	v_mov_b32_e32 v43, v101
	s_delay_alu instid0(VALU_DEP_1)
	v_pk_add_f32 v[40:41], v[40:41], v[42:43]
.LBB57_689:                             ;   in Loop: Header=BB57_3 Depth=1
	s_or_b32 exec_lo, exec_lo, s19
	s_barrier_signal -1
	s_barrier_wait -1
	s_and_saveexec_b32 s19, s97
; %bb.690:                              ;   in Loop: Header=BB57_3 Depth=1
	ds_store_b64 v65, v[40:41]
; %bb.691:                              ;   in Loop: Header=BB57_3 Depth=1
	s_or_b32 exec_lo, exec_lo, s19
	s_wait_dscnt 0x0
	s_barrier_signal -1
	s_barrier_wait -1
	s_and_saveexec_b32 s19, s98
	s_cbranch_execz .LBB57_693
; %bb.692:                              ;   in Loop: Header=BB57_3 Depth=1
	ds_load_b64 v[42:43], v62 offset:23392
	ds_load_b64 v[44:45], v65
	s_wait_dscnt 0x0
	v_pk_mul_f32 v[98:99], v[44:45], v[42:43] op_sel:[1,1] op_sel_hi:[0,1]
	s_delay_alu instid0(VALU_DEP_1) | instskip(SKIP_1) | instid1(VALU_DEP_2)
	v_pk_fma_f32 v[100:101], v[44:45], v[42:43], v[98:99] op_sel_hi:[1,0,1]
	v_pk_fma_f32 v[42:43], v[44:45], v[42:43], v[98:99] neg_lo:[0,0,1] neg_hi:[0,0,1]
	v_mov_b32_e32 v43, v101
	s_delay_alu instid0(VALU_DEP_1)
	v_pk_add_f32 v[40:41], v[40:41], v[42:43]
.LBB57_693:                             ;   in Loop: Header=BB57_3 Depth=1
	s_or_b32 exec_lo, exec_lo, s19
	s_barrier_signal -1
	s_barrier_wait -1
	;; [unrolled: 25-line block ×3, first 2 shown]
	s_and_saveexec_b32 s19, s100
; %bb.698:                              ;   in Loop: Header=BB57_3 Depth=1
	ds_store_b64 v65, v[40:41]
; %bb.699:                              ;   in Loop: Header=BB57_3 Depth=1
	s_or_b32 exec_lo, exec_lo, s19
	s_wait_dscnt 0x0
	s_barrier_signal -1
	s_barrier_wait -1
	s_barrier_signal -1
	s_barrier_wait -1
	s_and_saveexec_b32 s19, s2
; %bb.700:                              ;   in Loop: Header=BB57_3 Depth=1
	v_pk_add_f32 v[40:41], v[40:41], 0 neg_lo:[1,1] neg_hi:[1,1]
	ds_store_b64 v67, v[40:41] offset:20832
; %bb.701:                              ;   in Loop: Header=BB57_3 Depth=1
	s_or_b32 exec_lo, exec_lo, s19
	s_wait_dscnt 0x0
	s_barrier_signal -1
	s_barrier_wait -1
	s_barrier_signal -1
	s_barrier_wait -1
	s_and_saveexec_b32 s19, s101
	s_cbranch_execz .LBB57_703
; %bb.702:                              ;   in Loop: Header=BB57_3 Depth=1
	ds_load_b64 v[40:41], v50 offset:20832
	s_wait_dscnt 0x0
	ds_store_b64 v51, v[40:41] offset:22848
	ds_load_b64 v[40:41], v50 offset:20840
	s_wait_dscnt 0x0
	ds_store_b64 v51, v[40:41] offset:23360
	;; [unrolled: 3-line block ×4, first 2 shown]
.LBB57_703:                             ;   in Loop: Header=BB57_3 Depth=1
	s_or_b32 exec_lo, exec_lo, s19
	s_wait_dscnt 0x0
	s_barrier_signal -1
	s_barrier_wait -1
	s_and_saveexec_b32 s19, s10
	s_cbranch_execz .LBB57_705
; %bb.704:                              ;   in Loop: Header=BB57_3 Depth=1
	ds_load_b64 v[40:41], v7 offset:22888
	v_add_nc_u32_e64 v3, 0x160, 0
	ds_store_b64 v7, v[26:27] offset:23400
	s_wait_dscnt 0x1
	ds_store_2addr_stride64_b64 v3, v[26:27], v[40:41] offset0:44 offset1:45
.LBB57_705:                             ;   in Loop: Header=BB57_3 Depth=1
	s_or_b32 exec_lo, exec_lo, s19
	v_mov_b64_e32 v[40:41], 0
	s_wait_dscnt 0x0
	s_barrier_signal -1
	s_barrier_wait -1
	s_and_saveexec_b32 s19, s0
	s_cbranch_execz .LBB57_709
; %bb.706:                              ;   in Loop: Header=BB57_3 Depth=1
	ds_load_b64 v[40:41], v63 offset:22896
	ds_load_b64 v[42:43], v64 offset:22880
	s_wait_dscnt 0x0
	v_pk_mul_f32 v[44:45], v[42:43], v[40:41] op_sel:[1,1] op_sel_hi:[0,1]
	s_delay_alu instid0(VALU_DEP_1) | instskip(SKIP_1) | instid1(VALU_DEP_2)
	v_pk_fma_f32 v[98:99], v[42:43], v[40:41], v[44:45] op_sel_hi:[1,0,1]
	v_pk_fma_f32 v[40:41], v[42:43], v[40:41], v[44:45] neg_lo:[0,0,1] neg_hi:[0,0,1]
	v_mov_b32_e32 v41, v99
	s_delay_alu instid0(VALU_DEP_1)
	v_pk_add_f32 v[40:41], v[40:41], 0 op_sel_hi:[1,0]
	s_and_saveexec_b32 s21, s11
	s_cbranch_execz .LBB57_708
; %bb.707:                              ;   in Loop: Header=BB57_3 Depth=1
	ds_load_b64 v[42:43], v51 offset:23408
	ds_load_b64 v[44:45], v7 offset:22888
	s_wait_dscnt 0x0
	v_pk_mul_f32 v[98:99], v[44:45], v[42:43] op_sel:[1,1] op_sel_hi:[0,1]
	s_delay_alu instid0(VALU_DEP_1) | instskip(SKIP_1) | instid1(VALU_DEP_2)
	v_pk_fma_f32 v[100:101], v[44:45], v[42:43], v[98:99] op_sel_hi:[1,0,1]
	v_pk_fma_f32 v[42:43], v[44:45], v[42:43], v[98:99] neg_lo:[0,0,1] neg_hi:[0,0,1]
	v_mov_b32_e32 v43, v101
	s_delay_alu instid0(VALU_DEP_1)
	v_pk_add_f32 v[40:41], v[40:41], v[42:43]
.LBB57_708:                             ;   in Loop: Header=BB57_3 Depth=1
	s_or_b32 exec_lo, exec_lo, s21
	s_delay_alu instid0(VALU_DEP_1)
	v_pk_add_f32 v[40:41], v[40:41], 0 neg_lo:[1,1] neg_hi:[1,1]
.LBB57_709:                             ;   in Loop: Header=BB57_3 Depth=1
	s_or_b32 exec_lo, exec_lo, s19
	s_and_saveexec_b32 s19, s92
; %bb.710:                              ;   in Loop: Header=BB57_3 Depth=1
	ds_store_b64 v53, v[40:41]
; %bb.711:                              ;   in Loop: Header=BB57_3 Depth=1
	s_or_b32 exec_lo, exec_lo, s19
	s_wait_dscnt 0x0
	s_barrier_signal -1
	s_barrier_wait -1
	s_and_saveexec_b32 s19, s93
	s_cbranch_execz .LBB57_713
; %bb.712:                              ;   in Loop: Header=BB57_3 Depth=1
	ds_load_b64 v[42:43], v7 offset:23928
	ds_load_b64 v[44:45], v53
	s_wait_dscnt 0x0
	v_pk_mul_f32 v[98:99], v[44:45], v[42:43] op_sel:[1,1] op_sel_hi:[0,1]
	s_delay_alu instid0(VALU_DEP_1) | instskip(SKIP_1) | instid1(VALU_DEP_2)
	v_pk_fma_f32 v[100:101], v[44:45], v[42:43], v[98:99] op_sel_hi:[1,0,1]
	v_pk_fma_f32 v[42:43], v[44:45], v[42:43], v[98:99] neg_lo:[0,0,1] neg_hi:[0,0,1]
	v_mov_b32_e32 v43, v101
	s_delay_alu instid0(VALU_DEP_1)
	v_pk_add_f32 v[40:41], v[40:41], v[42:43]
.LBB57_713:                             ;   in Loop: Header=BB57_3 Depth=1
	s_or_b32 exec_lo, exec_lo, s19
	s_barrier_signal -1
	s_barrier_wait -1
	s_and_saveexec_b32 s19, s93
; %bb.714:                              ;   in Loop: Header=BB57_3 Depth=1
	ds_store_b64 v53, v[40:41]
; %bb.715:                              ;   in Loop: Header=BB57_3 Depth=1
	s_or_b32 exec_lo, exec_lo, s19
	s_wait_dscnt 0x0
	s_barrier_signal -1
	s_barrier_wait -1
	s_barrier_signal -1
	s_barrier_wait -1
	s_and_saveexec_b32 s19, s0
; %bb.716:                              ;   in Loop: Header=BB57_3 Depth=1
	v_pk_add_f32 v[40:41], v[40:41], 0 neg_lo:[1,1] neg_hi:[1,1]
	ds_store_b64 v63, v[40:41] offset:22896
; %bb.717:                              ;   in Loop: Header=BB57_3 Depth=1
	s_or_b32 exec_lo, exec_lo, s19
	s_wait_dscnt 0x0
	s_barrier_signal -1
	s_barrier_wait -1
	s_barrier_signal -1
	s_barrier_wait -1
	s_and_saveexec_b32 s19, s94
	s_cbranch_execz .LBB57_719
; %bb.718:                              ;   in Loop: Header=BB57_3 Depth=1
	ds_load_b64 v[40:41], v52 offset:22896
	s_wait_dscnt 0x0
	ds_store_b64 v51, v[40:41] offset:23904
	ds_load_b64 v[40:41], v52 offset:22904
	s_wait_dscnt 0x0
	ds_store_b64 v51, v[40:41] offset:24416
.LBB57_719:                             ;   in Loop: Header=BB57_3 Depth=1
	s_or_b32 exec_lo, exec_lo, s19
	s_wait_dscnt 0x0
	s_barrier_signal -1
	s_barrier_wait -1
	s_and_saveexec_b32 s19, s10
	s_cbranch_execz .LBB57_721
; %bb.720:                              ;   in Loop: Header=BB57_3 Depth=1
	ds_load_b64 v[40:41], v7 offset:23928
	v_add_nc_u32_e64 v3, 0x170, 0
	ds_store_b64 v7, v[26:27] offset:24440
	s_wait_dscnt 0x1
	ds_store_2addr_stride64_b64 v3, v[26:27], v[40:41] offset0:46 offset1:47
.LBB57_721:                             ;   in Loop: Header=BB57_3 Depth=1
	s_or_b32 exec_lo, exec_lo, s19
	v_mov_b64_e32 v[40:41], 0
	s_wait_dscnt 0x0
	s_barrier_signal -1
	s_barrier_wait -1
	s_and_saveexec_b32 s82, s4
	s_cbranch_execz .LBB57_749
; %bb.722:                              ;   in Loop: Header=BB57_3 Depth=1
	ds_load_b64 v[40:41], v74 offset:16768
	ds_load_b64 v[42:43], v59 offset:16640
	s_wait_dscnt 0x0
	v_dual_mul_f32 v3, v43, v41 :: v_dual_mul_f32 v41, v42, v41
	s_delay_alu instid0(VALU_DEP_1) | instskip(NEXT) | instid1(VALU_DEP_1)
	v_dual_fma_f32 v3, v42, v40, -v3 :: v_dual_fmac_f32 v41, v43, v40
	v_dual_add_f32 v40, 0, v3 :: v_dual_add_f32 v41, 0, v41
	s_mov_b32 s19, exec_lo
	v_readlane_b32 s21, v106, 24
	s_and_b32 s21, s19, s21
	s_delay_alu instid0(SALU_CYCLE_1)
	s_mov_b32 exec_lo, s21
	s_cbranch_execz .LBB57_724
; %bb.723:                              ;   in Loop: Header=BB57_3 Depth=1
	ds_load_b64 v[42:43], v75 offset:17280
	ds_load_b64 v[44:45], v59 offset:16648
	s_wait_dscnt 0x0
	v_dual_mul_f32 v3, v45, v43 :: v_dual_mul_f32 v43, v44, v43
	s_delay_alu instid0(VALU_DEP_1) | instskip(NEXT) | instid1(VALU_DEP_1)
	v_fmac_f32_e32 v43, v45, v42
	v_dual_fma_f32 v3, v44, v42, -v3 :: v_dual_add_f32 v41, v41, v43
	s_delay_alu instid0(VALU_DEP_1)
	v_add_f32_e32 v40, v40, v3
.LBB57_724:                             ;   in Loop: Header=BB57_3 Depth=1
	s_or_b32 exec_lo, exec_lo, s19
	s_delay_alu instid0(SALU_CYCLE_1) | instskip(SKIP_2) | instid1(SALU_CYCLE_1)
	s_mov_b32 s19, exec_lo
	v_readlane_b32 s21, v106, 25
	s_and_b32 s21, s19, s21
	s_mov_b32 exec_lo, s21
	s_cbranch_execz .LBB57_726
; %bb.725:                              ;   in Loop: Header=BB57_3 Depth=1
	ds_load_b64 v[42:43], v75 offset:17792
	ds_load_b64 v[44:45], v59 offset:16656
	s_wait_dscnt 0x0
	v_dual_mul_f32 v3, v45, v43 :: v_dual_mul_f32 v43, v44, v43
	s_delay_alu instid0(VALU_DEP_1) | instskip(NEXT) | instid1(VALU_DEP_1)
	v_fmac_f32_e32 v43, v45, v42
	v_dual_fma_f32 v3, v44, v42, -v3 :: v_dual_add_f32 v41, v41, v43
	s_delay_alu instid0(VALU_DEP_1)
	v_add_f32_e32 v40, v40, v3
.LBB57_726:                             ;   in Loop: Header=BB57_3 Depth=1
	s_or_b32 exec_lo, exec_lo, s19
	s_delay_alu instid0(SALU_CYCLE_1) | instskip(SKIP_2) | instid1(SALU_CYCLE_1)
	s_mov_b32 s19, exec_lo
	v_readlane_b32 s21, v106, 26
	s_and_b32 s21, s19, s21
	;; [unrolled: 18-line block ×10, first 2 shown]
	s_mov_b32 exec_lo, s21
	s_cbranch_execnz .LBB57_1112
; %bb.743:                              ;   in Loop: Header=BB57_3 Depth=1
	s_or_b32 exec_lo, exec_lo, s19
	s_and_saveexec_b32 s19, s3
	s_cbranch_execnz .LBB57_1113
.LBB57_744:                             ;   in Loop: Header=BB57_3 Depth=1
	s_or_b32 exec_lo, exec_lo, s19
	s_and_saveexec_b32 s19, s15
	s_cbranch_execnz .LBB57_1114
.LBB57_745:                             ;   in Loop: Header=BB57_3 Depth=1
	s_or_b32 exec_lo, exec_lo, s19
	s_and_saveexec_b32 s19, s17
	s_cbranch_execnz .LBB57_1115
.LBB57_746:                             ;   in Loop: Header=BB57_3 Depth=1
	s_or_b32 exec_lo, exec_lo, s19
	s_and_saveexec_b32 s19, s2
	s_cbranch_execz .LBB57_748
.LBB57_747:                             ;   in Loop: Header=BB57_3 Depth=1
	ds_load_b64 v[42:43], v5 offset:24448
	ds_load_b64 v[44:45], v7 offset:16760
	s_wait_dscnt 0x0
	v_dual_mul_f32 v3, v45, v43 :: v_dual_mul_f32 v99, v44, v43
	s_delay_alu instid0(VALU_DEP_1) | instskip(NEXT) | instid1(VALU_DEP_2)
	v_fma_f32 v98, v44, v42, -v3
	v_fmac_f32_e32 v99, v45, v42
	s_delay_alu instid0(VALU_DEP_1)
	v_pk_add_f32 v[40:41], v[40:41], v[98:99]
.LBB57_748:                             ;   in Loop: Header=BB57_3 Depth=1
	s_or_b32 exec_lo, exec_lo, s19
	s_delay_alu instid0(VALU_DEP_1)
	v_pk_add_f32 v[40:41], v[40:41], 0 neg_lo:[1,1] neg_hi:[1,1]
.LBB57_749:                             ;   in Loop: Header=BB57_3 Depth=1
	s_or_b32 exec_lo, exec_lo, s82
	s_delay_alu instid0(SALU_CYCLE_1) | instskip(SKIP_2) | instid1(SALU_CYCLE_1)
	s_mov_b32 s19, exec_lo
	v_readlane_b32 s21, v106, 1
	s_and_b32 s21, s19, s21
	s_mov_b32 exec_lo, s21
; %bb.750:                              ;   in Loop: Header=BB57_3 Depth=1
	ds_store_b64 v73, v[40:41]
; %bb.751:                              ;   in Loop: Header=BB57_3 Depth=1
	s_or_b32 exec_lo, exec_lo, s19
	s_wait_dscnt 0x0
	s_barrier_signal -1
	s_barrier_wait -1
	s_mov_b32 s19, exec_lo
	v_readlane_b32 s21, v106, 2
	s_and_b32 s21, s19, s21
	s_delay_alu instid0(SALU_CYCLE_1)
	s_mov_b32 exec_lo, s21
	s_cbranch_execz .LBB57_753
; %bb.752:                              ;   in Loop: Header=BB57_3 Depth=1
	ds_load_b64 v[42:43], v69 offset:24960
	ds_load_b64 v[44:45], v73
	s_wait_dscnt 0x0
	v_pk_mul_f32 v[98:99], v[44:45], v[42:43] op_sel:[1,1] op_sel_hi:[0,1]
	s_delay_alu instid0(VALU_DEP_1) | instskip(SKIP_1) | instid1(VALU_DEP_2)
	v_pk_fma_f32 v[100:101], v[44:45], v[42:43], v[98:99] op_sel_hi:[1,0,1]
	v_pk_fma_f32 v[42:43], v[44:45], v[42:43], v[98:99] neg_lo:[0,0,1] neg_hi:[0,0,1]
	v_mov_b32_e32 v43, v101
	s_delay_alu instid0(VALU_DEP_1)
	v_pk_add_f32 v[40:41], v[40:41], v[42:43]
.LBB57_753:                             ;   in Loop: Header=BB57_3 Depth=1
	s_or_b32 exec_lo, exec_lo, s19
	s_barrier_signal -1
	s_barrier_wait -1
	s_mov_b32 s19, exec_lo
	v_readlane_b32 s21, v106, 3
	s_and_b32 s21, s19, s21
	s_delay_alu instid0(SALU_CYCLE_1)
	s_mov_b32 exec_lo, s21
; %bb.754:                              ;   in Loop: Header=BB57_3 Depth=1
	ds_store_b64 v73, v[40:41]
; %bb.755:                              ;   in Loop: Header=BB57_3 Depth=1
	s_or_b32 exec_lo, exec_lo, s19
	s_wait_dscnt 0x0
	s_barrier_signal -1
	s_barrier_wait -1
	s_mov_b32 s19, exec_lo
	v_readlane_b32 s21, v106, 4
	s_and_b32 s21, s19, s21
	s_delay_alu instid0(SALU_CYCLE_1)
	s_mov_b32 exec_lo, s21
	s_cbranch_execz .LBB57_757
; %bb.756:                              ;   in Loop: Header=BB57_3 Depth=1
	ds_load_b64 v[42:43], v69 offset:25472
	ds_load_b64 v[44:45], v73
	s_wait_dscnt 0x0
	v_pk_mul_f32 v[98:99], v[44:45], v[42:43] op_sel:[1,1] op_sel_hi:[0,1]
	s_delay_alu instid0(VALU_DEP_1) | instskip(SKIP_1) | instid1(VALU_DEP_2)
	v_pk_fma_f32 v[100:101], v[44:45], v[42:43], v[98:99] op_sel_hi:[1,0,1]
	v_pk_fma_f32 v[42:43], v[44:45], v[42:43], v[98:99] neg_lo:[0,0,1] neg_hi:[0,0,1]
	v_mov_b32_e32 v43, v101
	s_delay_alu instid0(VALU_DEP_1)
	v_pk_add_f32 v[40:41], v[40:41], v[42:43]
.LBB57_757:                             ;   in Loop: Header=BB57_3 Depth=1
	s_or_b32 exec_lo, exec_lo, s19
	s_barrier_signal -1
	s_barrier_wait -1
	s_mov_b32 s19, exec_lo
	v_readlane_b32 s21, v106, 5
	s_and_b32 s21, s19, s21
	s_delay_alu instid0(SALU_CYCLE_1)
	;; [unrolled: 33-line block ×3, first 2 shown]
	s_mov_b32 exec_lo, s21
; %bb.762:                              ;   in Loop: Header=BB57_3 Depth=1
	ds_store_b64 v73, v[40:41]
; %bb.763:                              ;   in Loop: Header=BB57_3 Depth=1
	s_or_b32 exec_lo, exec_lo, s19
	s_wait_dscnt 0x0
	s_barrier_signal -1
	s_barrier_wait -1
	s_mov_b32 s19, exec_lo
	v_readlane_b32 s21, v106, 8
	s_and_b32 s21, s19, s21
	s_delay_alu instid0(SALU_CYCLE_1)
	s_mov_b32 exec_lo, s21
	s_cbranch_execz .LBB57_765
; %bb.764:                              ;   in Loop: Header=BB57_3 Depth=1
	ds_load_b64 v[42:43], v69 offset:26496
	ds_load_b64 v[44:45], v73
	s_wait_dscnt 0x0
	v_dual_mul_f32 v3, v45, v43 :: v_dual_mul_f32 v43, v44, v43
	s_delay_alu instid0(VALU_DEP_1) | instskip(NEXT) | instid1(VALU_DEP_1)
	v_fmac_f32_e32 v43, v45, v42
	v_dual_fma_f32 v3, v44, v42, -v3 :: v_dual_add_f32 v41, v41, v43
	s_delay_alu instid0(VALU_DEP_1)
	v_add_f32_e32 v40, v40, v3
.LBB57_765:                             ;   in Loop: Header=BB57_3 Depth=1
	s_or_b32 exec_lo, exec_lo, s19
	s_barrier_signal -1
	s_barrier_wait -1
	s_mov_b32 s19, exec_lo
	v_readlane_b32 s21, v106, 9
	s_and_b32 s21, s19, s21
	s_delay_alu instid0(SALU_CYCLE_1)
	s_mov_b32 exec_lo, s21
; %bb.766:                              ;   in Loop: Header=BB57_3 Depth=1
	ds_store_b64 v73, v[40:41]
; %bb.767:                              ;   in Loop: Header=BB57_3 Depth=1
	s_or_b32 exec_lo, exec_lo, s19
	s_wait_dscnt 0x0
	s_barrier_signal -1
	s_barrier_wait -1
	s_mov_b32 s19, exec_lo
	v_readlane_b32 s21, v106, 10
	s_and_b32 s21, s19, s21
	s_delay_alu instid0(SALU_CYCLE_1)
	s_mov_b32 exec_lo, s21
	s_cbranch_execz .LBB57_769
; %bb.768:                              ;   in Loop: Header=BB57_3 Depth=1
	ds_load_b64 v[42:43], v69 offset:27008
	ds_load_b64 v[44:45], v73
	s_wait_dscnt 0x0
	v_dual_mul_f32 v3, v45, v43 :: v_dual_mul_f32 v99, v44, v43
	s_delay_alu instid0(VALU_DEP_1) | instskip(NEXT) | instid1(VALU_DEP_2)
	v_fma_f32 v98, v44, v42, -v3
	v_fmac_f32_e32 v99, v45, v42
	s_delay_alu instid0(VALU_DEP_1)
	v_pk_add_f32 v[40:41], v[40:41], v[98:99]
.LBB57_769:                             ;   in Loop: Header=BB57_3 Depth=1
	s_or_b32 exec_lo, exec_lo, s19
	s_barrier_signal -1
	s_barrier_wait -1
	s_mov_b32 s19, exec_lo
	v_readlane_b32 s21, v106, 11
	s_and_b32 s21, s19, s21
	s_delay_alu instid0(SALU_CYCLE_1)
	s_mov_b32 exec_lo, s21
; %bb.770:                              ;   in Loop: Header=BB57_3 Depth=1
	ds_store_b64 v73, v[40:41]
; %bb.771:                              ;   in Loop: Header=BB57_3 Depth=1
	s_or_b32 exec_lo, exec_lo, s19
	s_wait_dscnt 0x0
	s_barrier_signal -1
	s_barrier_wait -1
	s_mov_b32 s19, exec_lo
	v_readlane_b32 s21, v106, 12
	s_and_b32 s21, s19, s21
	s_delay_alu instid0(SALU_CYCLE_1)
	s_mov_b32 exec_lo, s21
	s_cbranch_execz .LBB57_773
; %bb.772:                              ;   in Loop: Header=BB57_3 Depth=1
	ds_load_b64 v[42:43], v69 offset:27520
	ds_load_b64 v[44:45], v73
	s_wait_dscnt 0x0
	v_pk_mul_f32 v[98:99], v[44:45], v[42:43] op_sel:[1,1] op_sel_hi:[0,1]
	s_delay_alu instid0(VALU_DEP_1) | instskip(SKIP_1) | instid1(VALU_DEP_2)
	v_pk_fma_f32 v[100:101], v[44:45], v[42:43], v[98:99] op_sel_hi:[1,0,1]
	v_pk_fma_f32 v[42:43], v[44:45], v[42:43], v[98:99] neg_lo:[0,0,1] neg_hi:[0,0,1]
	v_mov_b32_e32 v43, v101
	s_delay_alu instid0(VALU_DEP_1)
	v_pk_add_f32 v[40:41], v[40:41], v[42:43]
.LBB57_773:                             ;   in Loop: Header=BB57_3 Depth=1
	s_or_b32 exec_lo, exec_lo, s19
	s_barrier_signal -1
	s_barrier_wait -1
	s_mov_b32 s19, exec_lo
	v_readlane_b32 s21, v106, 13
	s_and_b32 s21, s19, s21
	s_delay_alu instid0(SALU_CYCLE_1)
	s_mov_b32 exec_lo, s21
; %bb.774:                              ;   in Loop: Header=BB57_3 Depth=1
	ds_store_b64 v73, v[40:41]
; %bb.775:                              ;   in Loop: Header=BB57_3 Depth=1
	s_or_b32 exec_lo, exec_lo, s19
	s_wait_dscnt 0x0
	s_barrier_signal -1
	s_barrier_wait -1
	s_and_saveexec_b32 s19, s27
	s_cbranch_execz .LBB57_777
; %bb.776:                              ;   in Loop: Header=BB57_3 Depth=1
	ds_load_b64 v[42:43], v69 offset:28032
	ds_load_b64 v[44:45], v73
	s_wait_dscnt 0x0
	v_pk_mul_f32 v[98:99], v[44:45], v[42:43] op_sel:[1,1] op_sel_hi:[0,1]
	s_delay_alu instid0(VALU_DEP_1) | instskip(SKIP_1) | instid1(VALU_DEP_2)
	v_pk_fma_f32 v[100:101], v[44:45], v[42:43], v[98:99] op_sel_hi:[1,0,1]
	v_pk_fma_f32 v[42:43], v[44:45], v[42:43], v[98:99] neg_lo:[0,0,1] neg_hi:[0,0,1]
	v_mov_b32_e32 v43, v101
	s_delay_alu instid0(VALU_DEP_1)
	v_pk_add_f32 v[40:41], v[40:41], v[42:43]
.LBB57_777:                             ;   in Loop: Header=BB57_3 Depth=1
	s_or_b32 exec_lo, exec_lo, s19
	s_barrier_signal -1
	s_barrier_wait -1
	s_and_saveexec_b32 s19, s29
; %bb.778:                              ;   in Loop: Header=BB57_3 Depth=1
	ds_store_b64 v73, v[40:41]
; %bb.779:                              ;   in Loop: Header=BB57_3 Depth=1
	s_or_b32 exec_lo, exec_lo, s19
	s_wait_dscnt 0x0
	s_barrier_signal -1
	s_barrier_wait -1
	s_and_saveexec_b32 s19, s34
	s_cbranch_execz .LBB57_781
; %bb.780:                              ;   in Loop: Header=BB57_3 Depth=1
	ds_load_b64 v[42:43], v69 offset:28544
	ds_load_b64 v[44:45], v73
	s_wait_dscnt 0x0
	v_pk_mul_f32 v[98:99], v[44:45], v[42:43] op_sel:[1,1] op_sel_hi:[0,1]
	s_delay_alu instid0(VALU_DEP_1) | instskip(SKIP_1) | instid1(VALU_DEP_2)
	v_pk_fma_f32 v[100:101], v[44:45], v[42:43], v[98:99] op_sel_hi:[1,0,1]
	v_pk_fma_f32 v[42:43], v[44:45], v[42:43], v[98:99] neg_lo:[0,0,1] neg_hi:[0,0,1]
	v_mov_b32_e32 v43, v101
	s_delay_alu instid0(VALU_DEP_1)
	v_pk_add_f32 v[40:41], v[40:41], v[42:43]
.LBB57_781:                             ;   in Loop: Header=BB57_3 Depth=1
	s_or_b32 exec_lo, exec_lo, s19
	s_barrier_signal -1
	s_barrier_wait -1
	s_and_saveexec_b32 s19, s35
	;; [unrolled: 25-line block ×3, first 2 shown]
; %bb.786:                              ;   in Loop: Header=BB57_3 Depth=1
	ds_store_b64 v73, v[40:41]
; %bb.787:                              ;   in Loop: Header=BB57_3 Depth=1
	s_or_b32 exec_lo, exec_lo, s19
	s_wait_dscnt 0x0
	s_barrier_signal -1
	s_barrier_wait -1
	s_and_saveexec_b32 s19, s20
	s_cbranch_execz .LBB57_789
; %bb.788:                              ;   in Loop: Header=BB57_3 Depth=1
	ds_load_b64 v[42:43], v69 offset:29568
	ds_load_b64 v[44:45], v73
	s_wait_dscnt 0x0
	v_dual_mul_f32 v3, v45, v43 :: v_dual_mul_f32 v43, v44, v43
	s_delay_alu instid0(VALU_DEP_1) | instskip(NEXT) | instid1(VALU_DEP_1)
	v_fmac_f32_e32 v43, v45, v42
	v_dual_fma_f32 v3, v44, v42, -v3 :: v_dual_add_f32 v41, v41, v43
	s_delay_alu instid0(VALU_DEP_1)
	v_add_f32_e32 v40, v40, v3
.LBB57_789:                             ;   in Loop: Header=BB57_3 Depth=1
	s_or_b32 exec_lo, exec_lo, s19
	s_barrier_signal -1
	s_barrier_wait -1
	s_and_saveexec_b32 s19, s22
; %bb.790:                              ;   in Loop: Header=BB57_3 Depth=1
	ds_store_b64 v73, v[40:41]
; %bb.791:                              ;   in Loop: Header=BB57_3 Depth=1
	s_or_b32 exec_lo, exec_lo, s19
	s_wait_dscnt 0x0
	s_barrier_signal -1
	s_barrier_wait -1
	s_and_saveexec_b32 s19, s24
	s_cbranch_execz .LBB57_793
; %bb.792:                              ;   in Loop: Header=BB57_3 Depth=1
	ds_load_b64 v[42:43], v69 offset:30080
	ds_load_b64 v[44:45], v73
	s_wait_dscnt 0x0
	v_dual_mul_f32 v3, v45, v43 :: v_dual_mul_f32 v99, v44, v43
	s_delay_alu instid0(VALU_DEP_1) | instskip(NEXT) | instid1(VALU_DEP_2)
	v_fma_f32 v98, v44, v42, -v3
	v_fmac_f32_e32 v99, v45, v42
	s_delay_alu instid0(VALU_DEP_1)
	v_pk_add_f32 v[40:41], v[40:41], v[98:99]
.LBB57_793:                             ;   in Loop: Header=BB57_3 Depth=1
	s_or_b32 exec_lo, exec_lo, s19
	s_barrier_signal -1
	s_barrier_wait -1
	s_and_saveexec_b32 s19, s26
; %bb.794:                              ;   in Loop: Header=BB57_3 Depth=1
	ds_store_b64 v73, v[40:41]
; %bb.795:                              ;   in Loop: Header=BB57_3 Depth=1
	s_or_b32 exec_lo, exec_lo, s19
	s_wait_dscnt 0x0
	s_barrier_signal -1
	s_barrier_wait -1
	s_and_saveexec_b32 s19, s28
	s_cbranch_execz .LBB57_797
; %bb.796:                              ;   in Loop: Header=BB57_3 Depth=1
	ds_load_b64 v[42:43], v69 offset:30592
	ds_load_b64 v[44:45], v73
	s_wait_dscnt 0x0
	v_pk_mul_f32 v[98:99], v[44:45], v[42:43] op_sel:[1,1] op_sel_hi:[0,1]
	s_delay_alu instid0(VALU_DEP_1) | instskip(SKIP_1) | instid1(VALU_DEP_2)
	v_pk_fma_f32 v[100:101], v[44:45], v[42:43], v[98:99] op_sel_hi:[1,0,1]
	v_pk_fma_f32 v[42:43], v[44:45], v[42:43], v[98:99] neg_lo:[0,0,1] neg_hi:[0,0,1]
	v_mov_b32_e32 v43, v101
	s_delay_alu instid0(VALU_DEP_1)
	v_pk_add_f32 v[40:41], v[40:41], v[42:43]
.LBB57_797:                             ;   in Loop: Header=BB57_3 Depth=1
	s_or_b32 exec_lo, exec_lo, s19
	s_barrier_signal -1
	s_barrier_wait -1
	s_and_saveexec_b32 s19, s90
; %bb.798:                              ;   in Loop: Header=BB57_3 Depth=1
	ds_store_b64 v73, v[40:41]
; %bb.799:                              ;   in Loop: Header=BB57_3 Depth=1
	s_or_b32 exec_lo, exec_lo, s19
	s_wait_dscnt 0x0
	s_barrier_signal -1
	s_barrier_wait -1
	s_and_saveexec_b32 s19, s49
	s_cbranch_execz .LBB57_801
; %bb.800:                              ;   in Loop: Header=BB57_3 Depth=1
	ds_load_b64 v[42:43], v69 offset:31104
	ds_load_b64 v[44:45], v73
	s_wait_dscnt 0x0
	v_pk_mul_f32 v[98:99], v[44:45], v[42:43] op_sel:[1,1] op_sel_hi:[0,1]
	s_delay_alu instid0(VALU_DEP_1) | instskip(SKIP_1) | instid1(VALU_DEP_2)
	v_pk_fma_f32 v[100:101], v[44:45], v[42:43], v[98:99] op_sel_hi:[1,0,1]
	v_pk_fma_f32 v[42:43], v[44:45], v[42:43], v[98:99] neg_lo:[0,0,1] neg_hi:[0,0,1]
	v_mov_b32_e32 v43, v101
	s_delay_alu instid0(VALU_DEP_1)
	v_pk_add_f32 v[40:41], v[40:41], v[42:43]
.LBB57_801:                             ;   in Loop: Header=BB57_3 Depth=1
	;; [unrolled: 25-line block ×4, first 2 shown]
	s_or_b32 exec_lo, exec_lo, s19
	s_barrier_signal -1
	s_barrier_wait -1
	s_and_saveexec_b32 s19, s53
; %bb.810:                              ;   in Loop: Header=BB57_3 Depth=1
	ds_store_b64 v73, v[40:41]
; %bb.811:                              ;   in Loop: Header=BB57_3 Depth=1
	s_or_b32 exec_lo, exec_lo, s19
	s_wait_dscnt 0x0
	s_barrier_signal -1
	s_barrier_wait -1
	s_barrier_signal -1
	s_barrier_wait -1
	s_and_saveexec_b32 s19, s4
; %bb.812:                              ;   in Loop: Header=BB57_3 Depth=1
	v_pk_add_f32 v[40:41], v[40:41], 0 neg_lo:[1,1] neg_hi:[1,1]
	ds_store_b64 v74, v[40:41] offset:16768
; %bb.813:                              ;   in Loop: Header=BB57_3 Depth=1
	s_or_b32 exec_lo, exec_lo, s19
	s_wait_dscnt 0x0
	s_barrier_signal -1
	s_barrier_wait -1
	s_barrier_signal -1
	s_barrier_wait -1
	s_and_saveexec_b32 s19, s55
	s_cbranch_execz .LBB57_815
; %bb.814:                              ;   in Loop: Header=BB57_3 Depth=1
	ds_load_b64 v[40:41], v9 offset:16768
	s_wait_dscnt 0x0
	ds_store_b64 v47, v[40:41] offset:24832
	ds_load_b64 v[40:41], v9 offset:16776
	s_wait_dscnt 0x0
	ds_store_b64 v47, v[40:41] offset:25344
	;; [unrolled: 3-line block ×16, first 2 shown]
.LBB57_815:                             ;   in Loop: Header=BB57_3 Depth=1
	s_or_b32 exec_lo, exec_lo, s19
	s_wait_dscnt 0x0
	s_barrier_signal -1
	s_barrier_wait -1
	s_and_saveexec_b32 s19, s10
	s_cbranch_execz .LBB57_817
; %bb.816:                              ;   in Loop: Header=BB57_3 Depth=1
	ds_load_b64 v[40:41], v7 offset:24968
	v_add_nc_u32_e64 v3, 0x180, 0
	ds_store_b64 v7, v[26:27] offset:25480
	s_wait_dscnt 0x1
	ds_store_2addr_stride64_b64 v3, v[26:27], v[40:41] offset0:48 offset1:49
.LBB57_817:                             ;   in Loop: Header=BB57_3 Depth=1
	s_or_b32 exec_lo, exec_lo, s19
	v_mov_b64_e32 v[40:41], 0
	s_wait_dscnt 0x0
	s_barrier_signal -1
	s_barrier_wait -1
	s_and_saveexec_b32 s19, s0
	s_cbranch_execz .LBB57_821
; %bb.818:                              ;   in Loop: Header=BB57_3 Depth=1
	ds_load_b64 v[40:41], v63 offset:24976
	ds_load_b64 v[42:43], v64 offset:24960
	s_wait_dscnt 0x0
	v_pk_mul_f32 v[44:45], v[42:43], v[40:41] op_sel:[1,1] op_sel_hi:[0,1]
	s_delay_alu instid0(VALU_DEP_1) | instskip(SKIP_1) | instid1(VALU_DEP_2)
	v_pk_fma_f32 v[98:99], v[42:43], v[40:41], v[44:45] op_sel_hi:[1,0,1]
	v_pk_fma_f32 v[40:41], v[42:43], v[40:41], v[44:45] neg_lo:[0,0,1] neg_hi:[0,0,1]
	v_mov_b32_e32 v41, v99
	s_delay_alu instid0(VALU_DEP_1)
	v_pk_add_f32 v[40:41], v[40:41], 0 op_sel_hi:[1,0]
	s_and_saveexec_b32 s21, s11
	s_cbranch_execz .LBB57_820
; %bb.819:                              ;   in Loop: Header=BB57_3 Depth=1
	ds_load_b64 v[42:43], v5 offset:25488
	ds_load_b64 v[44:45], v7 offset:24968
	s_wait_dscnt 0x0
	v_pk_mul_f32 v[98:99], v[44:45], v[42:43] op_sel:[1,1] op_sel_hi:[0,1]
	s_delay_alu instid0(VALU_DEP_1) | instskip(SKIP_1) | instid1(VALU_DEP_2)
	v_pk_fma_f32 v[100:101], v[44:45], v[42:43], v[98:99] op_sel_hi:[1,0,1]
	v_pk_fma_f32 v[42:43], v[44:45], v[42:43], v[98:99] neg_lo:[0,0,1] neg_hi:[0,0,1]
	v_mov_b32_e32 v43, v101
	s_delay_alu instid0(VALU_DEP_1)
	v_pk_add_f32 v[40:41], v[40:41], v[42:43]
.LBB57_820:                             ;   in Loop: Header=BB57_3 Depth=1
	s_or_b32 exec_lo, exec_lo, s21
	s_delay_alu instid0(VALU_DEP_1)
	v_pk_add_f32 v[40:41], v[40:41], 0 neg_lo:[1,1] neg_hi:[1,1]
.LBB57_821:                             ;   in Loop: Header=BB57_3 Depth=1
	s_or_b32 exec_lo, exec_lo, s19
	s_and_saveexec_b32 s19, s92
; %bb.822:                              ;   in Loop: Header=BB57_3 Depth=1
	ds_store_b64 v53, v[40:41]
; %bb.823:                              ;   in Loop: Header=BB57_3 Depth=1
	s_or_b32 exec_lo, exec_lo, s19
	s_wait_dscnt 0x0
	s_barrier_signal -1
	s_barrier_wait -1
	s_and_saveexec_b32 s19, s93
	s_cbranch_execz .LBB57_825
; %bb.824:                              ;   in Loop: Header=BB57_3 Depth=1
	ds_load_b64 v[42:43], v7 offset:26008
	ds_load_b64 v[44:45], v53
	s_wait_dscnt 0x0
	v_pk_mul_f32 v[98:99], v[44:45], v[42:43] op_sel:[1,1] op_sel_hi:[0,1]
	s_delay_alu instid0(VALU_DEP_1) | instskip(SKIP_1) | instid1(VALU_DEP_2)
	v_pk_fma_f32 v[100:101], v[44:45], v[42:43], v[98:99] op_sel_hi:[1,0,1]
	v_pk_fma_f32 v[42:43], v[44:45], v[42:43], v[98:99] neg_lo:[0,0,1] neg_hi:[0,0,1]
	v_mov_b32_e32 v43, v101
	s_delay_alu instid0(VALU_DEP_1)
	v_pk_add_f32 v[40:41], v[40:41], v[42:43]
.LBB57_825:                             ;   in Loop: Header=BB57_3 Depth=1
	s_or_b32 exec_lo, exec_lo, s19
	s_barrier_signal -1
	s_barrier_wait -1
	s_and_saveexec_b32 s19, s93
; %bb.826:                              ;   in Loop: Header=BB57_3 Depth=1
	ds_store_b64 v53, v[40:41]
; %bb.827:                              ;   in Loop: Header=BB57_3 Depth=1
	s_or_b32 exec_lo, exec_lo, s19
	s_wait_dscnt 0x0
	s_barrier_signal -1
	s_barrier_wait -1
	s_barrier_signal -1
	s_barrier_wait -1
	s_and_saveexec_b32 s19, s0
; %bb.828:                              ;   in Loop: Header=BB57_3 Depth=1
	v_pk_add_f32 v[40:41], v[40:41], 0 neg_lo:[1,1] neg_hi:[1,1]
	ds_store_b64 v63, v[40:41] offset:24976
; %bb.829:                              ;   in Loop: Header=BB57_3 Depth=1
	s_or_b32 exec_lo, exec_lo, s19
	s_wait_dscnt 0x0
	s_barrier_signal -1
	s_barrier_wait -1
	s_barrier_signal -1
	s_barrier_wait -1
	s_and_saveexec_b32 s19, s94
	s_cbranch_execz .LBB57_831
; %bb.830:                              ;   in Loop: Header=BB57_3 Depth=1
	ds_load_b64 v[40:41], v9 offset:24976
	s_wait_dscnt 0x0
	ds_store_b64 v5, v[40:41] offset:25984
	ds_load_b64 v[40:41], v9 offset:24984
	s_wait_dscnt 0x0
	ds_store_b64 v5, v[40:41] offset:26496
.LBB57_831:                             ;   in Loop: Header=BB57_3 Depth=1
	s_or_b32 exec_lo, exec_lo, s19
	s_wait_dscnt 0x0
	s_barrier_signal -1
	s_barrier_wait -1
	s_and_saveexec_b32 s19, s10
	s_cbranch_execz .LBB57_833
; %bb.832:                              ;   in Loop: Header=BB57_3 Depth=1
	ds_load_b64 v[40:41], v7 offset:26008
	v_add_nc_u32_e64 v3, 0x190, 0
	ds_store_b64 v7, v[26:27] offset:26520
	s_wait_dscnt 0x1
	ds_store_2addr_stride64_b64 v3, v[26:27], v[40:41] offset0:50 offset1:51
.LBB57_833:                             ;   in Loop: Header=BB57_3 Depth=1
	s_or_b32 exec_lo, exec_lo, s19
	v_mov_b64_e32 v[40:41], 0
	s_wait_dscnt 0x0
	s_barrier_signal -1
	s_barrier_wait -1
	s_and_saveexec_b32 s61, s2
	s_cbranch_execz .LBB57_839
; %bb.834:                              ;   in Loop: Header=BB57_3 Depth=1
	ds_load_b64 v[40:41], v67 offset:24992
	ds_load_b64 v[42:43], v55 offset:24960
	s_wait_dscnt 0x0
	v_dual_mul_f32 v3, v43, v41 :: v_dual_mul_f32 v41, v42, v41
	s_delay_alu instid0(VALU_DEP_1) | instskip(NEXT) | instid1(VALU_DEP_1)
	v_dual_fma_f32 v3, v42, v40, -v3 :: v_dual_fmac_f32 v41, v43, v40
	v_dual_add_f32 v40, 0, v3 :: v_dual_add_f32 v41, 0, v41
	s_and_saveexec_b32 s19, s12
	s_cbranch_execnz .LBB57_1116
; %bb.835:                              ;   in Loop: Header=BB57_3 Depth=1
	s_or_b32 exec_lo, exec_lo, s19
	s_and_saveexec_b32 s19, s13
	s_cbranch_execnz .LBB57_1117
.LBB57_836:                             ;   in Loop: Header=BB57_3 Depth=1
	s_or_b32 exec_lo, exec_lo, s19
	s_and_saveexec_b32 s19, s0
	s_cbranch_execz .LBB57_838
.LBB57_837:                             ;   in Loop: Header=BB57_3 Depth=1
	ds_load_b64 v[42:43], v47 offset:26528
	ds_load_b64 v[44:45], v7 offset:24984
	s_wait_dscnt 0x0
	v_dual_mul_f32 v3, v45, v43 :: v_dual_mul_f32 v99, v44, v43
	s_delay_alu instid0(VALU_DEP_1) | instskip(NEXT) | instid1(VALU_DEP_2)
	v_fma_f32 v98, v44, v42, -v3
	v_fmac_f32_e32 v99, v45, v42
	s_delay_alu instid0(VALU_DEP_1)
	v_pk_add_f32 v[40:41], v[40:41], v[98:99]
.LBB57_838:                             ;   in Loop: Header=BB57_3 Depth=1
	s_or_b32 exec_lo, exec_lo, s19
	s_delay_alu instid0(VALU_DEP_1)
	v_pk_add_f32 v[40:41], v[40:41], 0 neg_lo:[1,1] neg_hi:[1,1]
.LBB57_839:                             ;   in Loop: Header=BB57_3 Depth=1
	s_or_b32 exec_lo, exec_lo, s61
	s_and_saveexec_b32 s19, s95
; %bb.840:                              ;   in Loop: Header=BB57_3 Depth=1
	ds_store_b64 v65, v[40:41]
; %bb.841:                              ;   in Loop: Header=BB57_3 Depth=1
	s_or_b32 exec_lo, exec_lo, s19
	s_wait_dscnt 0x0
	s_barrier_signal -1
	s_barrier_wait -1
	s_and_saveexec_b32 s19, s96
	s_cbranch_execz .LBB57_843
; %bb.842:                              ;   in Loop: Header=BB57_3 Depth=1
	ds_load_b64 v[42:43], v62 offset:27040
	ds_load_b64 v[44:45], v65
	s_wait_dscnt 0x0
	v_pk_mul_f32 v[98:99], v[44:45], v[42:43] op_sel:[1,1] op_sel_hi:[0,1]
	s_delay_alu instid0(VALU_DEP_1) | instskip(SKIP_1) | instid1(VALU_DEP_2)
	v_pk_fma_f32 v[100:101], v[44:45], v[42:43], v[98:99] op_sel_hi:[1,0,1]
	v_pk_fma_f32 v[42:43], v[44:45], v[42:43], v[98:99] neg_lo:[0,0,1] neg_hi:[0,0,1]
	v_mov_b32_e32 v43, v101
	s_delay_alu instid0(VALU_DEP_1)
	v_pk_add_f32 v[40:41], v[40:41], v[42:43]
.LBB57_843:                             ;   in Loop: Header=BB57_3 Depth=1
	s_or_b32 exec_lo, exec_lo, s19
	s_barrier_signal -1
	s_barrier_wait -1
	s_and_saveexec_b32 s19, s97
; %bb.844:                              ;   in Loop: Header=BB57_3 Depth=1
	ds_store_b64 v65, v[40:41]
; %bb.845:                              ;   in Loop: Header=BB57_3 Depth=1
	s_or_b32 exec_lo, exec_lo, s19
	s_wait_dscnt 0x0
	s_barrier_signal -1
	s_barrier_wait -1
	s_and_saveexec_b32 s19, s98
	s_cbranch_execz .LBB57_847
; %bb.846:                              ;   in Loop: Header=BB57_3 Depth=1
	ds_load_b64 v[42:43], v62 offset:27552
	ds_load_b64 v[44:45], v65
	s_wait_dscnt 0x0
	v_pk_mul_f32 v[98:99], v[44:45], v[42:43] op_sel:[1,1] op_sel_hi:[0,1]
	s_delay_alu instid0(VALU_DEP_1) | instskip(SKIP_1) | instid1(VALU_DEP_2)
	v_pk_fma_f32 v[100:101], v[44:45], v[42:43], v[98:99] op_sel_hi:[1,0,1]
	v_pk_fma_f32 v[42:43], v[44:45], v[42:43], v[98:99] neg_lo:[0,0,1] neg_hi:[0,0,1]
	v_mov_b32_e32 v43, v101
	s_delay_alu instid0(VALU_DEP_1)
	v_pk_add_f32 v[40:41], v[40:41], v[42:43]
.LBB57_847:                             ;   in Loop: Header=BB57_3 Depth=1
	s_or_b32 exec_lo, exec_lo, s19
	s_barrier_signal -1
	s_barrier_wait -1
	;; [unrolled: 25-line block ×3, first 2 shown]
	s_and_saveexec_b32 s19, s100
; %bb.852:                              ;   in Loop: Header=BB57_3 Depth=1
	ds_store_b64 v65, v[40:41]
; %bb.853:                              ;   in Loop: Header=BB57_3 Depth=1
	s_or_b32 exec_lo, exec_lo, s19
	s_wait_dscnt 0x0
	s_barrier_signal -1
	s_barrier_wait -1
	s_barrier_signal -1
	s_barrier_wait -1
	s_and_saveexec_b32 s19, s2
; %bb.854:                              ;   in Loop: Header=BB57_3 Depth=1
	v_pk_add_f32 v[40:41], v[40:41], 0 neg_lo:[1,1] neg_hi:[1,1]
	ds_store_b64 v67, v[40:41] offset:24992
; %bb.855:                              ;   in Loop: Header=BB57_3 Depth=1
	s_or_b32 exec_lo, exec_lo, s19
	s_wait_dscnt 0x0
	s_barrier_signal -1
	s_barrier_wait -1
	s_barrier_signal -1
	s_barrier_wait -1
	s_and_saveexec_b32 s19, s101
	s_cbranch_execz .LBB57_857
; %bb.856:                              ;   in Loop: Header=BB57_3 Depth=1
	ds_load_b64 v[40:41], v48 offset:24992
	s_wait_dscnt 0x0
	ds_store_b64 v49, v[40:41] offset:27008
	ds_load_b64 v[40:41], v48 offset:25000
	s_wait_dscnt 0x0
	ds_store_b64 v49, v[40:41] offset:27520
	;; [unrolled: 3-line block ×4, first 2 shown]
.LBB57_857:                             ;   in Loop: Header=BB57_3 Depth=1
	s_or_b32 exec_lo, exec_lo, s19
	s_wait_dscnt 0x0
	s_barrier_signal -1
	s_barrier_wait -1
	s_and_saveexec_b32 s19, s10
	s_cbranch_execz .LBB57_859
; %bb.858:                              ;   in Loop: Header=BB57_3 Depth=1
	ds_load_b64 v[40:41], v7 offset:27048
	v_add_nc_u32_e64 v3, 0x1a0, 0
	ds_store_b64 v7, v[26:27] offset:27560
	s_wait_dscnt 0x1
	ds_store_2addr_stride64_b64 v3, v[26:27], v[40:41] offset0:52 offset1:53
.LBB57_859:                             ;   in Loop: Header=BB57_3 Depth=1
	s_or_b32 exec_lo, exec_lo, s19
	v_mov_b64_e32 v[40:41], 0
	s_wait_dscnt 0x0
	s_barrier_signal -1
	s_barrier_wait -1
	s_and_saveexec_b32 s19, s0
	s_cbranch_execz .LBB57_863
; %bb.860:                              ;   in Loop: Header=BB57_3 Depth=1
	ds_load_b64 v[40:41], v63 offset:27056
	ds_load_b64 v[42:43], v64 offset:27040
	s_wait_dscnt 0x0
	v_pk_mul_f32 v[44:45], v[42:43], v[40:41] op_sel:[1,1] op_sel_hi:[0,1]
	s_delay_alu instid0(VALU_DEP_1) | instskip(SKIP_1) | instid1(VALU_DEP_2)
	v_pk_fma_f32 v[98:99], v[42:43], v[40:41], v[44:45] op_sel_hi:[1,0,1]
	v_pk_fma_f32 v[40:41], v[42:43], v[40:41], v[44:45] neg_lo:[0,0,1] neg_hi:[0,0,1]
	v_mov_b32_e32 v41, v99
	s_delay_alu instid0(VALU_DEP_1)
	v_pk_add_f32 v[40:41], v[40:41], 0 op_sel_hi:[1,0]
	s_and_saveexec_b32 s21, s11
	s_cbranch_execz .LBB57_862
; %bb.861:                              ;   in Loop: Header=BB57_3 Depth=1
	ds_load_b64 v[42:43], v49 offset:27568
	ds_load_b64 v[44:45], v7 offset:27048
	s_wait_dscnt 0x0
	v_pk_mul_f32 v[98:99], v[44:45], v[42:43] op_sel:[1,1] op_sel_hi:[0,1]
	s_delay_alu instid0(VALU_DEP_1) | instskip(SKIP_1) | instid1(VALU_DEP_2)
	v_pk_fma_f32 v[100:101], v[44:45], v[42:43], v[98:99] op_sel_hi:[1,0,1]
	v_pk_fma_f32 v[42:43], v[44:45], v[42:43], v[98:99] neg_lo:[0,0,1] neg_hi:[0,0,1]
	v_mov_b32_e32 v43, v101
	s_delay_alu instid0(VALU_DEP_1)
	v_pk_add_f32 v[40:41], v[40:41], v[42:43]
.LBB57_862:                             ;   in Loop: Header=BB57_3 Depth=1
	s_or_b32 exec_lo, exec_lo, s21
	s_delay_alu instid0(VALU_DEP_1)
	v_pk_add_f32 v[40:41], v[40:41], 0 neg_lo:[1,1] neg_hi:[1,1]
.LBB57_863:                             ;   in Loop: Header=BB57_3 Depth=1
	s_or_b32 exec_lo, exec_lo, s19
	s_and_saveexec_b32 s19, s92
; %bb.864:                              ;   in Loop: Header=BB57_3 Depth=1
	ds_store_b64 v53, v[40:41]
; %bb.865:                              ;   in Loop: Header=BB57_3 Depth=1
	s_or_b32 exec_lo, exec_lo, s19
	s_wait_dscnt 0x0
	s_barrier_signal -1
	s_barrier_wait -1
	s_and_saveexec_b32 s19, s93
	s_cbranch_execz .LBB57_867
; %bb.866:                              ;   in Loop: Header=BB57_3 Depth=1
	ds_load_b64 v[42:43], v7 offset:28088
	ds_load_b64 v[44:45], v53
	s_wait_dscnt 0x0
	v_pk_mul_f32 v[98:99], v[44:45], v[42:43] op_sel:[1,1] op_sel_hi:[0,1]
	s_delay_alu instid0(VALU_DEP_1) | instskip(SKIP_1) | instid1(VALU_DEP_2)
	v_pk_fma_f32 v[100:101], v[44:45], v[42:43], v[98:99] op_sel_hi:[1,0,1]
	v_pk_fma_f32 v[42:43], v[44:45], v[42:43], v[98:99] neg_lo:[0,0,1] neg_hi:[0,0,1]
	v_mov_b32_e32 v43, v101
	s_delay_alu instid0(VALU_DEP_1)
	v_pk_add_f32 v[40:41], v[40:41], v[42:43]
.LBB57_867:                             ;   in Loop: Header=BB57_3 Depth=1
	s_or_b32 exec_lo, exec_lo, s19
	s_barrier_signal -1
	s_barrier_wait -1
	s_and_saveexec_b32 s19, s93
; %bb.868:                              ;   in Loop: Header=BB57_3 Depth=1
	ds_store_b64 v53, v[40:41]
; %bb.869:                              ;   in Loop: Header=BB57_3 Depth=1
	s_or_b32 exec_lo, exec_lo, s19
	s_wait_dscnt 0x0
	s_barrier_signal -1
	s_barrier_wait -1
	s_barrier_signal -1
	s_barrier_wait -1
	s_and_saveexec_b32 s19, s0
; %bb.870:                              ;   in Loop: Header=BB57_3 Depth=1
	v_pk_add_f32 v[40:41], v[40:41], 0 neg_lo:[1,1] neg_hi:[1,1]
	ds_store_b64 v63, v[40:41] offset:27056
; %bb.871:                              ;   in Loop: Header=BB57_3 Depth=1
	s_or_b32 exec_lo, exec_lo, s19
	s_wait_dscnt 0x0
	s_barrier_signal -1
	s_barrier_wait -1
	s_barrier_signal -1
	s_barrier_wait -1
	s_and_saveexec_b32 s19, s94
	s_cbranch_execz .LBB57_873
; %bb.872:                              ;   in Loop: Header=BB57_3 Depth=1
	ds_load_b64 v[40:41], v50 offset:27056
	s_wait_dscnt 0x0
	ds_store_b64 v49, v[40:41] offset:28064
	ds_load_b64 v[40:41], v50 offset:27064
	s_wait_dscnt 0x0
	ds_store_b64 v49, v[40:41] offset:28576
.LBB57_873:                             ;   in Loop: Header=BB57_3 Depth=1
	s_or_b32 exec_lo, exec_lo, s19
	s_wait_dscnt 0x0
	s_barrier_signal -1
	s_barrier_wait -1
	s_and_saveexec_b32 s19, s10
	s_cbranch_execz .LBB57_875
; %bb.874:                              ;   in Loop: Header=BB57_3 Depth=1
	ds_load_b64 v[40:41], v7 offset:28088
	v_add_nc_u32_e64 v3, 0x1b0, 0
	ds_store_b64 v7, v[26:27] offset:28600
	s_wait_dscnt 0x1
	ds_store_2addr_stride64_b64 v3, v[26:27], v[40:41] offset0:54 offset1:55
.LBB57_875:                             ;   in Loop: Header=BB57_3 Depth=1
	s_or_b32 exec_lo, exec_lo, s19
	v_mov_b64_e32 v[40:41], 0
	s_wait_dscnt 0x0
	s_barrier_signal -1
	s_barrier_wait -1
	s_and_saveexec_b32 s61, s3
	s_cbranch_execz .LBB57_885
; %bb.876:                              ;   in Loop: Header=BB57_3 Depth=1
	ds_load_b64 v[40:41], v71 offset:25024
	ds_load_b64 v[42:43], v57 offset:24960
	s_wait_dscnt 0x0
	v_dual_mul_f32 v3, v43, v41 :: v_dual_mul_f32 v41, v42, v41
	s_delay_alu instid0(VALU_DEP_1) | instskip(NEXT) | instid1(VALU_DEP_1)
	v_dual_fma_f32 v3, v42, v40, -v3 :: v_dual_fmac_f32 v41, v43, v40
	v_dual_add_f32 v40, 0, v3 :: v_dual_add_f32 v41, 0, v41
	s_and_saveexec_b32 s19, s14
	s_cbranch_execnz .LBB57_1118
; %bb.877:                              ;   in Loop: Header=BB57_3 Depth=1
	s_or_b32 exec_lo, exec_lo, s19
	s_and_saveexec_b32 s19, s15
	s_cbranch_execnz .LBB57_1119
.LBB57_878:                             ;   in Loop: Header=BB57_3 Depth=1
	s_or_b32 exec_lo, exec_lo, s19
	s_and_saveexec_b32 s19, s16
	s_cbranch_execnz .LBB57_1120
.LBB57_879:                             ;   in Loop: Header=BB57_3 Depth=1
	s_or_b32 exec_lo, exec_lo, s19
	s_and_saveexec_b32 s19, s17
	s_cbranch_execnz .LBB57_1121
.LBB57_880:                             ;   in Loop: Header=BB57_3 Depth=1
	s_or_b32 exec_lo, exec_lo, s19
	s_and_saveexec_b32 s19, s18
	s_cbranch_execnz .LBB57_1122
.LBB57_881:                             ;   in Loop: Header=BB57_3 Depth=1
	s_or_b32 exec_lo, exec_lo, s19
	s_and_saveexec_b32 s19, s2
	s_cbranch_execnz .LBB57_1123
.LBB57_882:                             ;   in Loop: Header=BB57_3 Depth=1
	s_or_b32 exec_lo, exec_lo, s19
	s_and_saveexec_b32 s19, s13
	s_cbranch_execz .LBB57_884
.LBB57_883:                             ;   in Loop: Header=BB57_3 Depth=1
	ds_load_b64 v[42:43], v5 offset:28608
	ds_load_b64 v[44:45], v7 offset:25016
	s_wait_dscnt 0x0
	v_pk_mul_f32 v[98:99], v[44:45], v[42:43] op_sel:[1,1] op_sel_hi:[0,1]
	s_delay_alu instid0(VALU_DEP_1) | instskip(SKIP_1) | instid1(VALU_DEP_2)
	v_pk_fma_f32 v[100:101], v[44:45], v[42:43], v[98:99] op_sel_hi:[1,0,1]
	v_pk_fma_f32 v[42:43], v[44:45], v[42:43], v[98:99] neg_lo:[0,0,1] neg_hi:[0,0,1]
	v_mov_b32_e32 v43, v101
	s_delay_alu instid0(VALU_DEP_1)
	v_pk_add_f32 v[40:41], v[40:41], v[42:43]
.LBB57_884:                             ;   in Loop: Header=BB57_3 Depth=1
	s_or_b32 exec_lo, exec_lo, s19
	s_delay_alu instid0(VALU_DEP_1)
	v_pk_add_f32 v[40:41], v[40:41], 0 neg_lo:[1,1] neg_hi:[1,1]
.LBB57_885:                             ;   in Loop: Header=BB57_3 Depth=1
	s_or_b32 exec_lo, exec_lo, s61
	s_and_saveexec_b32 s19, s102
; %bb.886:                              ;   in Loop: Header=BB57_3 Depth=1
	ds_store_b64 v70, v[40:41]
; %bb.887:                              ;   in Loop: Header=BB57_3 Depth=1
	s_or_b32 exec_lo, exec_lo, s19
	s_wait_dscnt 0x0
	s_barrier_signal -1
	s_barrier_wait -1
	s_and_saveexec_b32 s19, s103
	s_cbranch_execz .LBB57_889
; %bb.888:                              ;   in Loop: Header=BB57_3 Depth=1
	ds_load_b64 v[42:43], v66 offset:29120
	ds_load_b64 v[44:45], v70
	s_wait_dscnt 0x0
	v_pk_mul_f32 v[98:99], v[44:45], v[42:43] op_sel:[1,1] op_sel_hi:[0,1]
	s_delay_alu instid0(VALU_DEP_1) | instskip(SKIP_1) | instid1(VALU_DEP_2)
	v_pk_fma_f32 v[100:101], v[44:45], v[42:43], v[98:99] op_sel_hi:[1,0,1]
	v_pk_fma_f32 v[42:43], v[44:45], v[42:43], v[98:99] neg_lo:[0,0,1] neg_hi:[0,0,1]
	v_mov_b32_e32 v43, v101
	s_delay_alu instid0(VALU_DEP_1)
	v_pk_add_f32 v[40:41], v[40:41], v[42:43]
.LBB57_889:                             ;   in Loop: Header=BB57_3 Depth=1
	s_or_b32 exec_lo, exec_lo, s19
	s_barrier_signal -1
	s_barrier_wait -1
	s_and_saveexec_b32 s19, s104
; %bb.890:                              ;   in Loop: Header=BB57_3 Depth=1
	ds_store_b64 v70, v[40:41]
; %bb.891:                              ;   in Loop: Header=BB57_3 Depth=1
	s_or_b32 exec_lo, exec_lo, s19
	s_wait_dscnt 0x0
	s_barrier_signal -1
	s_barrier_wait -1
	s_and_saveexec_b32 s19, vcc_hi
	s_cbranch_execz .LBB57_893
; %bb.892:                              ;   in Loop: Header=BB57_3 Depth=1
	ds_load_b64 v[42:43], v66 offset:29632
	ds_load_b64 v[44:45], v70
	s_wait_dscnt 0x0
	v_dual_mul_f32 v3, v45, v43 :: v_dual_mul_f32 v43, v44, v43
	s_delay_alu instid0(VALU_DEP_1) | instskip(NEXT) | instid1(VALU_DEP_1)
	v_fmac_f32_e32 v43, v45, v42
	v_dual_fma_f32 v3, v44, v42, -v3 :: v_dual_add_f32 v41, v41, v43
	s_delay_alu instid0(VALU_DEP_1)
	v_add_f32_e32 v40, v40, v3
.LBB57_893:                             ;   in Loop: Header=BB57_3 Depth=1
	s_or_b32 exec_lo, exec_lo, s19
	s_barrier_signal -1
	s_barrier_wait -1
	s_and_saveexec_b32 s19, s38
; %bb.894:                              ;   in Loop: Header=BB57_3 Depth=1
	ds_store_b64 v70, v[40:41]
; %bb.895:                              ;   in Loop: Header=BB57_3 Depth=1
	s_or_b32 exec_lo, exec_lo, s19
	s_wait_dscnt 0x0
	s_barrier_signal -1
	s_barrier_wait -1
	s_and_saveexec_b32 s19, s39
	s_cbranch_execz .LBB57_897
; %bb.896:                              ;   in Loop: Header=BB57_3 Depth=1
	ds_load_b64 v[42:43], v66 offset:30144
	ds_load_b64 v[44:45], v70
	s_wait_dscnt 0x0
	v_dual_mul_f32 v3, v45, v43 :: v_dual_mul_f32 v99, v44, v43
	s_delay_alu instid0(VALU_DEP_1) | instskip(NEXT) | instid1(VALU_DEP_2)
	v_fma_f32 v98, v44, v42, -v3
	v_fmac_f32_e32 v99, v45, v42
	s_delay_alu instid0(VALU_DEP_1)
	v_pk_add_f32 v[40:41], v[40:41], v[98:99]
.LBB57_897:                             ;   in Loop: Header=BB57_3 Depth=1
	s_or_b32 exec_lo, exec_lo, s19
	s_barrier_signal -1
	s_barrier_wait -1
	s_and_saveexec_b32 s19, s40
; %bb.898:                              ;   in Loop: Header=BB57_3 Depth=1
	ds_store_b64 v70, v[40:41]
; %bb.899:                              ;   in Loop: Header=BB57_3 Depth=1
	s_or_b32 exec_lo, exec_lo, s19
	s_wait_dscnt 0x0
	s_barrier_signal -1
	s_barrier_wait -1
	s_and_saveexec_b32 s19, s41
	s_cbranch_execz .LBB57_901
; %bb.900:                              ;   in Loop: Header=BB57_3 Depth=1
	ds_load_b64 v[42:43], v66 offset:30656
	ds_load_b64 v[44:45], v70
	s_wait_dscnt 0x0
	v_pk_mul_f32 v[98:99], v[44:45], v[42:43] op_sel:[1,1] op_sel_hi:[0,1]
	s_delay_alu instid0(VALU_DEP_1) | instskip(SKIP_1) | instid1(VALU_DEP_2)
	v_pk_fma_f32 v[100:101], v[44:45], v[42:43], v[98:99] op_sel_hi:[1,0,1]
	v_pk_fma_f32 v[42:43], v[44:45], v[42:43], v[98:99] neg_lo:[0,0,1] neg_hi:[0,0,1]
	v_mov_b32_e32 v43, v101
	s_delay_alu instid0(VALU_DEP_1)
	v_pk_add_f32 v[40:41], v[40:41], v[42:43]
.LBB57_901:                             ;   in Loop: Header=BB57_3 Depth=1
	s_or_b32 exec_lo, exec_lo, s19
	s_barrier_signal -1
	s_barrier_wait -1
	s_and_saveexec_b32 s19, s42
; %bb.902:                              ;   in Loop: Header=BB57_3 Depth=1
	ds_store_b64 v70, v[40:41]
; %bb.903:                              ;   in Loop: Header=BB57_3 Depth=1
	s_or_b32 exec_lo, exec_lo, s19
	s_wait_dscnt 0x0
	s_barrier_signal -1
	s_barrier_wait -1
	s_and_saveexec_b32 s19, s43
	s_cbranch_execz .LBB57_905
; %bb.904:                              ;   in Loop: Header=BB57_3 Depth=1
	ds_load_b64 v[42:43], v66 offset:31168
	ds_load_b64 v[44:45], v70
	s_wait_dscnt 0x0
	v_pk_mul_f32 v[98:99], v[44:45], v[42:43] op_sel:[1,1] op_sel_hi:[0,1]
	s_delay_alu instid0(VALU_DEP_1) | instskip(SKIP_1) | instid1(VALU_DEP_2)
	v_pk_fma_f32 v[100:101], v[44:45], v[42:43], v[98:99] op_sel_hi:[1,0,1]
	v_pk_fma_f32 v[42:43], v[44:45], v[42:43], v[98:99] neg_lo:[0,0,1] neg_hi:[0,0,1]
	v_mov_b32_e32 v43, v101
	s_delay_alu instid0(VALU_DEP_1)
	v_pk_add_f32 v[40:41], v[40:41], v[42:43]
.LBB57_905:                             ;   in Loop: Header=BB57_3 Depth=1
	;; [unrolled: 25-line block ×4, first 2 shown]
	s_or_b32 exec_lo, exec_lo, s19
	s_barrier_signal -1
	s_barrier_wait -1
	s_and_saveexec_b32 s19, s47
; %bb.914:                              ;   in Loop: Header=BB57_3 Depth=1
	ds_store_b64 v70, v[40:41]
; %bb.915:                              ;   in Loop: Header=BB57_3 Depth=1
	s_or_b32 exec_lo, exec_lo, s19
	s_wait_dscnt 0x0
	s_barrier_signal -1
	s_barrier_wait -1
	s_barrier_signal -1
	s_barrier_wait -1
	s_and_saveexec_b32 s19, s3
; %bb.916:                              ;   in Loop: Header=BB57_3 Depth=1
	v_pk_add_f32 v[40:41], v[40:41], 0 neg_lo:[1,1] neg_hi:[1,1]
	ds_store_b64 v71, v[40:41] offset:25024
; %bb.917:                              ;   in Loop: Header=BB57_3 Depth=1
	s_or_b32 exec_lo, exec_lo, s19
	s_wait_dscnt 0x0
	s_barrier_signal -1
	s_barrier_wait -1
	s_barrier_signal -1
	s_barrier_wait -1
	s_and_saveexec_b32 s19, s48
	s_cbranch_execz .LBB57_919
; %bb.918:                              ;   in Loop: Header=BB57_3 Depth=1
	ds_load_b64 v[40:41], v9 offset:25024
	s_wait_dscnt 0x0
	ds_store_b64 v47, v[40:41] offset:29056
	ds_load_b64 v[40:41], v9 offset:25032
	s_wait_dscnt 0x0
	ds_store_b64 v47, v[40:41] offset:29568
	;; [unrolled: 3-line block ×8, first 2 shown]
.LBB57_919:                             ;   in Loop: Header=BB57_3 Depth=1
	s_or_b32 exec_lo, exec_lo, s19
	s_wait_dscnt 0x0
	s_barrier_signal -1
	s_barrier_wait -1
	s_and_saveexec_b32 s19, s10
	s_cbranch_execz .LBB57_921
; %bb.920:                              ;   in Loop: Header=BB57_3 Depth=1
	ds_load_b64 v[40:41], v7 offset:29128
	v_add_nc_u32_e64 v3, 0x1c0, 0
	ds_store_b64 v7, v[26:27] offset:29640
	s_wait_dscnt 0x1
	ds_store_2addr_stride64_b64 v3, v[26:27], v[40:41] offset0:56 offset1:57
.LBB57_921:                             ;   in Loop: Header=BB57_3 Depth=1
	s_or_b32 exec_lo, exec_lo, s19
	v_mov_b64_e32 v[40:41], 0
	s_wait_dscnt 0x0
	s_barrier_signal -1
	s_barrier_wait -1
	s_and_saveexec_b32 s19, s0
	s_cbranch_execz .LBB57_925
; %bb.922:                              ;   in Loop: Header=BB57_3 Depth=1
	ds_load_b64 v[40:41], v63 offset:29136
	ds_load_b64 v[42:43], v64 offset:29120
	s_wait_dscnt 0x0
	v_pk_mul_f32 v[44:45], v[42:43], v[40:41] op_sel:[1,1] op_sel_hi:[0,1]
	s_delay_alu instid0(VALU_DEP_1) | instskip(SKIP_1) | instid1(VALU_DEP_2)
	v_pk_fma_f32 v[98:99], v[42:43], v[40:41], v[44:45] op_sel_hi:[1,0,1]
	v_pk_fma_f32 v[40:41], v[42:43], v[40:41], v[44:45] neg_lo:[0,0,1] neg_hi:[0,0,1]
	v_mov_b32_e32 v41, v99
	s_delay_alu instid0(VALU_DEP_1)
	v_pk_add_f32 v[40:41], v[40:41], 0 op_sel_hi:[1,0]
	s_and_saveexec_b32 s21, s11
	s_cbranch_execz .LBB57_924
; %bb.923:                              ;   in Loop: Header=BB57_3 Depth=1
	ds_load_b64 v[42:43], v47 offset:29648
	ds_load_b64 v[44:45], v7 offset:29128
	s_wait_dscnt 0x0
	v_pk_mul_f32 v[98:99], v[44:45], v[42:43] op_sel:[1,1] op_sel_hi:[0,1]
	s_delay_alu instid0(VALU_DEP_1) | instskip(SKIP_1) | instid1(VALU_DEP_2)
	v_pk_fma_f32 v[100:101], v[44:45], v[42:43], v[98:99] op_sel_hi:[1,0,1]
	v_pk_fma_f32 v[42:43], v[44:45], v[42:43], v[98:99] neg_lo:[0,0,1] neg_hi:[0,0,1]
	v_mov_b32_e32 v43, v101
	s_delay_alu instid0(VALU_DEP_1)
	v_pk_add_f32 v[40:41], v[40:41], v[42:43]
.LBB57_924:                             ;   in Loop: Header=BB57_3 Depth=1
	s_or_b32 exec_lo, exec_lo, s21
	s_delay_alu instid0(VALU_DEP_1)
	v_pk_add_f32 v[40:41], v[40:41], 0 neg_lo:[1,1] neg_hi:[1,1]
.LBB57_925:                             ;   in Loop: Header=BB57_3 Depth=1
	s_or_b32 exec_lo, exec_lo, s19
	s_and_saveexec_b32 s19, s92
; %bb.926:                              ;   in Loop: Header=BB57_3 Depth=1
	ds_store_b64 v53, v[40:41]
; %bb.927:                              ;   in Loop: Header=BB57_3 Depth=1
	s_or_b32 exec_lo, exec_lo, s19
	s_wait_dscnt 0x0
	s_barrier_signal -1
	s_barrier_wait -1
	s_and_saveexec_b32 s19, s93
	s_cbranch_execz .LBB57_929
; %bb.928:                              ;   in Loop: Header=BB57_3 Depth=1
	ds_load_b64 v[42:43], v7 offset:30168
	ds_load_b64 v[44:45], v53
	s_wait_dscnt 0x0
	v_pk_mul_f32 v[98:99], v[44:45], v[42:43] op_sel:[1,1] op_sel_hi:[0,1]
	s_delay_alu instid0(VALU_DEP_1) | instskip(SKIP_1) | instid1(VALU_DEP_2)
	v_pk_fma_f32 v[100:101], v[44:45], v[42:43], v[98:99] op_sel_hi:[1,0,1]
	v_pk_fma_f32 v[42:43], v[44:45], v[42:43], v[98:99] neg_lo:[0,0,1] neg_hi:[0,0,1]
	v_mov_b32_e32 v43, v101
	s_delay_alu instid0(VALU_DEP_1)
	v_pk_add_f32 v[40:41], v[40:41], v[42:43]
.LBB57_929:                             ;   in Loop: Header=BB57_3 Depth=1
	s_or_b32 exec_lo, exec_lo, s19
	s_barrier_signal -1
	s_barrier_wait -1
	s_and_saveexec_b32 s19, s93
; %bb.930:                              ;   in Loop: Header=BB57_3 Depth=1
	ds_store_b64 v53, v[40:41]
; %bb.931:                              ;   in Loop: Header=BB57_3 Depth=1
	s_or_b32 exec_lo, exec_lo, s19
	s_wait_dscnt 0x0
	s_barrier_signal -1
	s_barrier_wait -1
	s_barrier_signal -1
	s_barrier_wait -1
	s_and_saveexec_b32 s19, s0
; %bb.932:                              ;   in Loop: Header=BB57_3 Depth=1
	v_pk_add_f32 v[40:41], v[40:41], 0 neg_lo:[1,1] neg_hi:[1,1]
	ds_store_b64 v63, v[40:41] offset:29136
; %bb.933:                              ;   in Loop: Header=BB57_3 Depth=1
	s_or_b32 exec_lo, exec_lo, s19
	s_wait_dscnt 0x0
	s_barrier_signal -1
	s_barrier_wait -1
	s_barrier_signal -1
	s_barrier_wait -1
	s_and_saveexec_b32 s19, s94
	s_cbranch_execz .LBB57_935
; %bb.934:                              ;   in Loop: Header=BB57_3 Depth=1
	ds_load_b64 v[40:41], v48 offset:29136
	s_wait_dscnt 0x0
	ds_store_b64 v47, v[40:41] offset:30144
	ds_load_b64 v[40:41], v48 offset:29144
	s_wait_dscnt 0x0
	ds_store_b64 v47, v[40:41] offset:30656
.LBB57_935:                             ;   in Loop: Header=BB57_3 Depth=1
	s_or_b32 exec_lo, exec_lo, s19
	s_wait_dscnt 0x0
	s_barrier_signal -1
	s_barrier_wait -1
	s_and_saveexec_b32 s19, s10
	s_cbranch_execz .LBB57_937
; %bb.936:                              ;   in Loop: Header=BB57_3 Depth=1
	ds_load_b64 v[40:41], v7 offset:30168
	v_add_nc_u32_e64 v3, 0x1d0, 0
	ds_store_b64 v7, v[26:27] offset:30680
	s_wait_dscnt 0x1
	ds_store_2addr_stride64_b64 v3, v[26:27], v[40:41] offset0:58 offset1:59
.LBB57_937:                             ;   in Loop: Header=BB57_3 Depth=1
	s_or_b32 exec_lo, exec_lo, s19
	v_mov_b64_e32 v[40:41], 0
	s_wait_dscnt 0x0
	s_barrier_signal -1
	s_barrier_wait -1
	s_and_saveexec_b32 s61, s2
	s_cbranch_execz .LBB57_943
; %bb.938:                              ;   in Loop: Header=BB57_3 Depth=1
	ds_load_b64 v[40:41], v67 offset:29152
	ds_load_b64 v[42:43], v55 offset:29120
	s_wait_dscnt 0x0
	v_dual_mul_f32 v3, v43, v41 :: v_dual_mul_f32 v41, v42, v41
	s_delay_alu instid0(VALU_DEP_1) | instskip(NEXT) | instid1(VALU_DEP_1)
	v_dual_fma_f32 v3, v42, v40, -v3 :: v_dual_fmac_f32 v41, v43, v40
	v_dual_add_f32 v40, 0, v3 :: v_dual_add_f32 v41, 0, v41
	s_and_saveexec_b32 s19, s12
	s_cbranch_execnz .LBB57_1124
; %bb.939:                              ;   in Loop: Header=BB57_3 Depth=1
	s_or_b32 exec_lo, exec_lo, s19
	s_and_saveexec_b32 s19, s13
	s_cbranch_execnz .LBB57_1125
.LBB57_940:                             ;   in Loop: Header=BB57_3 Depth=1
	s_or_b32 exec_lo, exec_lo, s19
	s_and_saveexec_b32 s19, s0
	s_cbranch_execz .LBB57_942
.LBB57_941:                             ;   in Loop: Header=BB57_3 Depth=1
	ds_load_b64 v[42:43], v49 offset:30688
	ds_load_b64 v[44:45], v7 offset:29144
	s_wait_dscnt 0x0
	v_dual_mul_f32 v3, v45, v43 :: v_dual_mul_f32 v99, v44, v43
	s_delay_alu instid0(VALU_DEP_1) | instskip(NEXT) | instid1(VALU_DEP_2)
	v_fma_f32 v98, v44, v42, -v3
	v_fmac_f32_e32 v99, v45, v42
	s_delay_alu instid0(VALU_DEP_1)
	v_pk_add_f32 v[40:41], v[40:41], v[98:99]
.LBB57_942:                             ;   in Loop: Header=BB57_3 Depth=1
	s_or_b32 exec_lo, exec_lo, s19
	s_delay_alu instid0(VALU_DEP_1)
	v_pk_add_f32 v[40:41], v[40:41], 0 neg_lo:[1,1] neg_hi:[1,1]
.LBB57_943:                             ;   in Loop: Header=BB57_3 Depth=1
	s_or_b32 exec_lo, exec_lo, s61
	s_and_saveexec_b32 s19, s95
; %bb.944:                              ;   in Loop: Header=BB57_3 Depth=1
	ds_store_b64 v65, v[40:41]
; %bb.945:                              ;   in Loop: Header=BB57_3 Depth=1
	s_or_b32 exec_lo, exec_lo, s19
	s_wait_dscnt 0x0
	s_barrier_signal -1
	s_barrier_wait -1
	s_and_saveexec_b32 s19, s96
	s_cbranch_execz .LBB57_947
; %bb.946:                              ;   in Loop: Header=BB57_3 Depth=1
	ds_load_b64 v[42:43], v62 offset:31200
	ds_load_b64 v[44:45], v65
	s_wait_dscnt 0x0
	v_pk_mul_f32 v[98:99], v[44:45], v[42:43] op_sel:[1,1] op_sel_hi:[0,1]
	s_delay_alu instid0(VALU_DEP_1) | instskip(SKIP_1) | instid1(VALU_DEP_2)
	v_pk_fma_f32 v[100:101], v[44:45], v[42:43], v[98:99] op_sel_hi:[1,0,1]
	v_pk_fma_f32 v[42:43], v[44:45], v[42:43], v[98:99] neg_lo:[0,0,1] neg_hi:[0,0,1]
	v_mov_b32_e32 v43, v101
	s_delay_alu instid0(VALU_DEP_1)
	v_pk_add_f32 v[40:41], v[40:41], v[42:43]
.LBB57_947:                             ;   in Loop: Header=BB57_3 Depth=1
	s_or_b32 exec_lo, exec_lo, s19
	s_barrier_signal -1
	s_barrier_wait -1
	s_and_saveexec_b32 s19, s97
; %bb.948:                              ;   in Loop: Header=BB57_3 Depth=1
	ds_store_b64 v65, v[40:41]
; %bb.949:                              ;   in Loop: Header=BB57_3 Depth=1
	s_or_b32 exec_lo, exec_lo, s19
	s_wait_dscnt 0x0
	s_barrier_signal -1
	s_barrier_wait -1
	s_and_saveexec_b32 s19, s98
	s_cbranch_execz .LBB57_951
; %bb.950:                              ;   in Loop: Header=BB57_3 Depth=1
	ds_load_b64 v[42:43], v62 offset:31712
	ds_load_b64 v[44:45], v65
	s_wait_dscnt 0x0
	v_pk_mul_f32 v[98:99], v[44:45], v[42:43] op_sel:[1,1] op_sel_hi:[0,1]
	s_delay_alu instid0(VALU_DEP_1) | instskip(SKIP_1) | instid1(VALU_DEP_2)
	v_pk_fma_f32 v[100:101], v[44:45], v[42:43], v[98:99] op_sel_hi:[1,0,1]
	v_pk_fma_f32 v[42:43], v[44:45], v[42:43], v[98:99] neg_lo:[0,0,1] neg_hi:[0,0,1]
	v_mov_b32_e32 v43, v101
	s_delay_alu instid0(VALU_DEP_1)
	v_pk_add_f32 v[40:41], v[40:41], v[42:43]
.LBB57_951:                             ;   in Loop: Header=BB57_3 Depth=1
	s_or_b32 exec_lo, exec_lo, s19
	s_barrier_signal -1
	s_barrier_wait -1
	s_and_saveexec_b32 s19, s99
; %bb.952:                              ;   in Loop: Header=BB57_3 Depth=1
	ds_store_b64 v65, v[40:41]
; %bb.953:                              ;   in Loop: Header=BB57_3 Depth=1
	s_or_b32 exec_lo, exec_lo, s19
	s_wait_dscnt 0x0
	s_barrier_signal -1
	s_barrier_wait -1
	s_and_saveexec_b32 s19, s100
	s_cbranch_execz .LBB57_955
; %bb.954:                              ;   in Loop: Header=BB57_3 Depth=1
	ds_load_b64 v[42:43], v7 offset:32248
	ds_load_b64 v[44:45], v65
	s_wait_dscnt 0x0
	v_pk_mul_f32 v[98:99], v[44:45], v[42:43] op_sel:[1,1] op_sel_hi:[0,1]
	s_delay_alu instid0(VALU_DEP_1) | instskip(SKIP_1) | instid1(VALU_DEP_2)
	v_pk_fma_f32 v[100:101], v[44:45], v[42:43], v[98:99] op_sel_hi:[1,0,1]
	v_pk_fma_f32 v[42:43], v[44:45], v[42:43], v[98:99] neg_lo:[0,0,1] neg_hi:[0,0,1]
	v_mov_b32_e32 v43, v101
	s_delay_alu instid0(VALU_DEP_1)
	v_pk_add_f32 v[40:41], v[40:41], v[42:43]
.LBB57_955:                             ;   in Loop: Header=BB57_3 Depth=1
	s_or_b32 exec_lo, exec_lo, s19
	s_barrier_signal -1
	s_barrier_wait -1
	s_and_saveexec_b32 s19, s100
; %bb.956:                              ;   in Loop: Header=BB57_3 Depth=1
	ds_store_b64 v65, v[40:41]
; %bb.957:                              ;   in Loop: Header=BB57_3 Depth=1
	s_or_b32 exec_lo, exec_lo, s19
	s_wait_dscnt 0x0
	s_barrier_signal -1
	s_barrier_wait -1
	s_barrier_signal -1
	s_barrier_wait -1
	s_and_saveexec_b32 s19, s2
; %bb.958:                              ;   in Loop: Header=BB57_3 Depth=1
	v_pk_add_f32 v[40:41], v[40:41], 0 neg_lo:[1,1] neg_hi:[1,1]
	ds_store_b64 v67, v[40:41] offset:29152
; %bb.959:                              ;   in Loop: Header=BB57_3 Depth=1
	s_or_b32 exec_lo, exec_lo, s19
	s_wait_dscnt 0x0
	s_barrier_signal -1
	s_barrier_wait -1
	s_barrier_signal -1
	s_barrier_wait -1
	s_and_saveexec_b32 s19, s101
	s_cbranch_execz .LBB57_961
; %bb.960:                              ;   in Loop: Header=BB57_3 Depth=1
	ds_load_b64 v[40:41], v50 offset:29152
	s_wait_dscnt 0x0
	ds_store_b64 v51, v[40:41] offset:31168
	ds_load_b64 v[40:41], v50 offset:29160
	s_wait_dscnt 0x0
	ds_store_b64 v51, v[40:41] offset:31680
	;; [unrolled: 3-line block ×4, first 2 shown]
.LBB57_961:                             ;   in Loop: Header=BB57_3 Depth=1
	s_or_b32 exec_lo, exec_lo, s19
	s_wait_dscnt 0x0
	s_barrier_signal -1
	s_barrier_wait -1
	s_and_saveexec_b32 s19, s10
	s_cbranch_execz .LBB57_963
; %bb.962:                              ;   in Loop: Header=BB57_3 Depth=1
	ds_load_b64 v[40:41], v7 offset:31208
	v_add_nc_u32_e64 v3, 0x1e0, 0
	ds_store_b64 v7, v[26:27] offset:31720
	s_wait_dscnt 0x1
	ds_store_2addr_stride64_b64 v3, v[26:27], v[40:41] offset0:60 offset1:61
.LBB57_963:                             ;   in Loop: Header=BB57_3 Depth=1
	s_or_b32 exec_lo, exec_lo, s19
	v_mov_b64_e32 v[40:41], 0
	s_wait_dscnt 0x0
	s_barrier_signal -1
	s_barrier_wait -1
	s_and_saveexec_b32 s19, s0
	s_cbranch_execz .LBB57_967
; %bb.964:                              ;   in Loop: Header=BB57_3 Depth=1
	ds_load_b64 v[40:41], v63 offset:31216
	ds_load_b64 v[42:43], v64 offset:31200
	s_wait_dscnt 0x0
	v_pk_mul_f32 v[44:45], v[42:43], v[40:41] op_sel:[1,1] op_sel_hi:[0,1]
	s_delay_alu instid0(VALU_DEP_1) | instskip(SKIP_1) | instid1(VALU_DEP_2)
	v_pk_fma_f32 v[98:99], v[42:43], v[40:41], v[44:45] op_sel_hi:[1,0,1]
	v_pk_fma_f32 v[40:41], v[42:43], v[40:41], v[44:45] neg_lo:[0,0,1] neg_hi:[0,0,1]
	v_mov_b32_e32 v41, v99
	s_delay_alu instid0(VALU_DEP_1)
	v_pk_add_f32 v[40:41], v[40:41], 0 op_sel_hi:[1,0]
	s_and_saveexec_b32 s21, s11
	s_cbranch_execz .LBB57_966
; %bb.965:                              ;   in Loop: Header=BB57_3 Depth=1
	ds_load_b64 v[42:43], v51 offset:31728
	ds_load_b64 v[44:45], v7 offset:31208
	s_wait_dscnt 0x0
	v_pk_mul_f32 v[98:99], v[44:45], v[42:43] op_sel:[1,1] op_sel_hi:[0,1]
	s_delay_alu instid0(VALU_DEP_1) | instskip(SKIP_1) | instid1(VALU_DEP_2)
	v_pk_fma_f32 v[100:101], v[44:45], v[42:43], v[98:99] op_sel_hi:[1,0,1]
	v_pk_fma_f32 v[42:43], v[44:45], v[42:43], v[98:99] neg_lo:[0,0,1] neg_hi:[0,0,1]
	v_mov_b32_e32 v43, v101
	s_delay_alu instid0(VALU_DEP_1)
	v_pk_add_f32 v[40:41], v[40:41], v[42:43]
.LBB57_966:                             ;   in Loop: Header=BB57_3 Depth=1
	s_or_b32 exec_lo, exec_lo, s21
	s_delay_alu instid0(VALU_DEP_1)
	v_pk_add_f32 v[40:41], v[40:41], 0 neg_lo:[1,1] neg_hi:[1,1]
.LBB57_967:                             ;   in Loop: Header=BB57_3 Depth=1
	s_or_b32 exec_lo, exec_lo, s19
	s_and_saveexec_b32 s19, s92
; %bb.968:                              ;   in Loop: Header=BB57_3 Depth=1
	ds_store_b64 v53, v[40:41]
; %bb.969:                              ;   in Loop: Header=BB57_3 Depth=1
	s_or_b32 exec_lo, exec_lo, s19
	s_wait_dscnt 0x0
	s_barrier_signal -1
	s_barrier_wait -1
	s_and_saveexec_b32 s19, s93
	s_cbranch_execz .LBB57_971
; %bb.970:                              ;   in Loop: Header=BB57_3 Depth=1
	ds_load_b64 v[42:43], v7 offset:32248
	ds_load_b64 v[44:45], v53
	s_wait_dscnt 0x0
	v_pk_mul_f32 v[98:99], v[44:45], v[42:43] op_sel:[1,1] op_sel_hi:[0,1]
	s_delay_alu instid0(VALU_DEP_1) | instskip(SKIP_1) | instid1(VALU_DEP_2)
	v_pk_fma_f32 v[100:101], v[44:45], v[42:43], v[98:99] op_sel_hi:[1,0,1]
	v_pk_fma_f32 v[42:43], v[44:45], v[42:43], v[98:99] neg_lo:[0,0,1] neg_hi:[0,0,1]
	v_mov_b32_e32 v43, v101
	s_delay_alu instid0(VALU_DEP_1)
	v_pk_add_f32 v[40:41], v[40:41], v[42:43]
.LBB57_971:                             ;   in Loop: Header=BB57_3 Depth=1
	s_or_b32 exec_lo, exec_lo, s19
	s_barrier_signal -1
	s_barrier_wait -1
	s_and_saveexec_b32 s19, s93
; %bb.972:                              ;   in Loop: Header=BB57_3 Depth=1
	ds_store_b64 v53, v[40:41]
; %bb.973:                              ;   in Loop: Header=BB57_3 Depth=1
	s_or_b32 exec_lo, exec_lo, s19
	s_wait_dscnt 0x0
	s_barrier_signal -1
	s_barrier_wait -1
	s_barrier_signal -1
	s_barrier_wait -1
	s_and_saveexec_b32 s19, s0
; %bb.974:                              ;   in Loop: Header=BB57_3 Depth=1
	v_pk_add_f32 v[40:41], v[40:41], 0 neg_lo:[1,1] neg_hi:[1,1]
	ds_store_b64 v63, v[40:41] offset:31216
; %bb.975:                              ;   in Loop: Header=BB57_3 Depth=1
	s_or_b32 exec_lo, exec_lo, s19
	s_wait_dscnt 0x0
	s_barrier_signal -1
	s_barrier_wait -1
	s_barrier_signal -1
	s_barrier_wait -1
	s_and_saveexec_b32 s19, s94
	s_cbranch_execz .LBB57_977
; %bb.976:                              ;   in Loop: Header=BB57_3 Depth=1
	ds_load_b64 v[40:41], v52 offset:31216
	s_wait_dscnt 0x0
	ds_store_b64 v51, v[40:41] offset:32224
	ds_load_b64 v[40:41], v52 offset:31224
	s_wait_dscnt 0x0
	ds_store_b64 v51, v[40:41] offset:32736
.LBB57_977:                             ;   in Loop: Header=BB57_3 Depth=1
	s_or_b32 exec_lo, exec_lo, s19
	s_wait_dscnt 0x0
	s_barrier_signal -1
	s_barrier_wait -1
	s_and_saveexec_b32 s19, s10
	s_cbranch_execz .LBB57_979
; %bb.978:                              ;   in Loop: Header=BB57_3 Depth=1
	ds_load_b64 v[40:41], v7 offset:32248
	v_add_nc_u32_e64 v3, 0x1f0, 0
	ds_store_b64 v7, v[26:27] offset:32760
	s_wait_dscnt 0x1
	ds_store_2addr_stride64_b64 v3, v[26:27], v[40:41] offset0:62 offset1:63
.LBB57_979:                             ;   in Loop: Header=BB57_3 Depth=1
	s_or_b32 exec_lo, exec_lo, s19
.LBB57_980:                             ;   in Loop: Header=BB57_3 Depth=1
	v_mov_b64_e32 v[40:41], 0
	s_mul_u64 s[60:61], s[72:73], s[76:77]
	s_wait_dscnt 0x0
	s_lshl_b64 s[60:61], s[60:61], 3
	s_barrier_signal -1
	s_add_nc_u64 s[82:83], s[66:67], s[60:61]
	s_barrier_wait -1
	s_and_saveexec_b32 s19, s58
	s_cbranch_execz .LBB57_982
; %bb.981:                              ;   in Loop: Header=BB57_3 Depth=1
	v_lshl_add_u64 v[40:41], v[14:15], 3, s[82:83]
	global_load_b64 v[40:41], v[40:41], off
	s_wait_loadcnt 0x0
	v_pk_mul_f32 v[42:43], v[38:39], v[40:41] op_sel:[1,0] neg_lo:[1,0]
	s_delay_alu instid0(VALU_DEP_1)
	v_pk_fma_f32 v[40:41], v[38:39], v[40:41], v[42:43] op_sel:[0,0,1] op_sel_hi:[0,1,0] neg_lo:[1,0,0] neg_hi:[1,0,0]
.LBB57_982:                             ;   in Loop: Header=BB57_3 Depth=1
	s_or_b32 exec_lo, exec_lo, s19
	s_delay_alu instid0(SALU_CYCLE_1)
	s_and_not1_b32 vcc_lo, exec_lo, s59
	s_cbranch_vccnz .LBB57_1017
; %bb.983:                              ;   in Loop: Header=BB57_3 Depth=1
	v_mov_b32_e32 v3, -1
	s_lshl_b64 s[60:61], s[76:77], 2
	s_delay_alu instid0(SALU_CYCLE_1)
	s_add_nc_u64 s[84:85], s[74:75], s[60:61]
	s_mov_b32 s61, 0
	s_branch .LBB57_986
.LBB57_984:                             ;   in Loop: Header=BB57_986 Depth=2
	s_wait_xcnt 0x0
	ds_load_b64 v[38:39], v84 offset:384
	s_wait_loadcnt_dscnt 0x0
	v_pk_mul_f32 v[44:45], v[44:45], v[38:39] op_sel:[0,1] op_sel_hi:[0,0]
	s_delay_alu instid0(VALU_DEP_1) | instskip(SKIP_1) | instid1(VALU_DEP_2)
	v_pk_fma_f32 v[98:99], v[42:43], v[38:39], v[44:45] op_sel_hi:[0,1,1] neg_lo:[0,0,1] neg_hi:[0,0,1]
	v_pk_fma_f32 v[38:39], v[42:43], v[38:39], v[44:45]
	v_mov_b32_e32 v39, v99
	s_delay_alu instid0(VALU_DEP_1)
	v_pk_add_f32 v[40:41], v[40:41], v[38:39]
.LBB57_985:                             ;   in Loop: Header=BB57_986 Depth=2
	s_or_b32 exec_lo, exec_lo, s60
	s_add_co_i32 s61, s61, 1
	s_delay_alu instid0(SALU_CYCLE_1)
	s_cmp_eq_u32 s61, s87
	s_cbranch_scc1 .LBB57_1017
.LBB57_986:                             ;   Parent Loop BB57_3 Depth=1
                                        ; =>  This Loop Header: Depth=2
                                        ;       Child Loop BB57_988 Depth 3
	v_cmp_gt_i32_e32 vcc_lo, s61, v3
	s_and_b32 s21, s31, vcc_lo
	s_delay_alu instid0(SALU_CYCLE_1)
	s_and_saveexec_b32 s19, s21
	s_cbranch_execz .LBB57_989
; %bb.987:                              ;   in Loop: Header=BB57_986 Depth=2
	global_load_b32 v3, v7, s[84:85]
	s_wait_loadcnt 0x0
	v_cmp_le_i32_e32 vcc_lo, s61, v3
	s_cbranch_vccnz .LBB57_989
.LBB57_988:                             ;   Parent Loop BB57_3 Depth=1
                                        ;     Parent Loop BB57_986 Depth=2
                                        ; =>    This Inner Loop Header: Depth=3
	global_wb scope:SCOPE_DEV
	s_wait_storecnt 0x0
	global_inv scope:SCOPE_DEV
	global_load_b32 v3, v7, s[84:85]
	s_wait_loadcnt 0x0
	v_cmp_gt_i32_e32 vcc_lo, s61, v3
	s_cbranch_vccnz .LBB57_988
.LBB57_989:                             ;   in Loop: Header=BB57_986 Depth=2
	s_or_b32 exec_lo, exec_lo, s19
	s_sub_co_i32 s60, s88, s61
	global_wb scope:SCOPE_DEV
	s_wait_storecnt 0x0
	global_inv scope:SCOPE_DEV
	s_lshl_b32 s19, s60, 6
	s_wait_loadcnt 0x0
	s_barrier_signal -1
	s_barrier_wait -1
	s_and_saveexec_b32 s21, s33
	s_cbranch_execz .LBB57_994
; %bb.990:                              ;   in Loop: Header=BB57_986 Depth=2
	s_ashr_i32 vcc_lo, s19, 31
	s_delay_alu instid0(SALU_CYCLE_1) | instskip(NEXT) | instid1(VALU_DEP_1)
	v_dual_mov_b32 v39, vcc_lo :: v_dual_bitop2_b32 v38, s19, v8 bitop3:0x54
	v_cmp_le_i64_e32 vcc_lo, s[78:79], v[38:39]
	s_and_saveexec_b32 s23, vcc_lo
	s_delay_alu instid0(SALU_CYCLE_1)
	s_xor_b32 vcc_lo, exec_lo, s23
; %bb.991:                              ;   in Loop: Header=BB57_986 Depth=2
	ds_store_b64 v90, v[24:25]
                                        ; implicit-def: $vgpr38_vgpr39
; %bb.992:                              ;   in Loop: Header=BB57_986 Depth=2
	s_and_not1_saveexec_b32 s23, vcc_lo
	s_cbranch_execz .LBB57_994
; %bb.993:                              ;   in Loop: Header=BB57_986 Depth=2
	v_mul_u64_e32 v[38:39], s[70:71], v[38:39]
	s_delay_alu instid0(VALU_DEP_1)
	v_lshl_add_u64 v[38:39], v[38:39], 3, s[82:83]
	global_load_b64 v[38:39], v[38:39], off
	s_wait_loadcnt 0x0
	ds_store_b64 v90, v[38:39]
.LBB57_994:                             ;   in Loop: Header=BB57_986 Depth=2
	s_or_b32 exec_lo, exec_lo, s21
	v_add_nc_u32_e32 v42, s19, v2
	s_cmp_lg_u32 s60, s57
	s_wait_dscnt 0x0
	s_cselect_b32 s19, -1, 0
	s_barrier_signal -1
	v_ashrrev_i32_e32 v43, 31, v42
	v_cmp_gt_i32_e32 vcc_lo, s78, v42
	s_barrier_wait -1
	s_delay_alu instid0(VALU_DEP_2) | instskip(SKIP_2) | instid1(SALU_CYCLE_1)
	v_lshl_add_u64 v[38:39], v[42:43], 3, v[36:37]
	v_cndmask_b32_e64 v43, 0, 1, s19
	s_and_b32 s21, vcc_lo, s5
	s_and_saveexec_b32 s60, s21
	s_cbranch_execz .LBB57_1000
; %bb.995:                              ;   in Loop: Header=BB57_986 Depth=2
	v_mov_b32_e32 v44, v28
	s_and_not1_b32 vcc_lo, exec_lo, s19
	s_cbranch_vccnz .LBB57_997
; %bb.996:                              ;   in Loop: Header=BB57_986 Depth=2
	global_load_b32 v44, v[38:39], off
.LBB57_997:                             ;   in Loop: Header=BB57_986 Depth=2
	v_cmp_ne_u32_e32 vcc_lo, 1, v43
	v_mov_b32_e32 v46, v29
	s_cbranch_vccnz .LBB57_999
; %bb.998:                              ;   in Loop: Header=BB57_986 Depth=2
	global_load_b32 v46, v[38:39], off offset:4
.LBB57_999:                             ;   in Loop: Header=BB57_986 Depth=2
	ds_load_b64 v[98:99], v84
	s_wait_loadcnt_dscnt 0x0
	v_pk_mul_f32 v[100:101], v[46:47], v[98:99] op_sel:[0,1] op_sel_hi:[0,0]
	s_delay_alu instid0(VALU_DEP_1) | instskip(SKIP_1) | instid1(VALU_DEP_2)
	v_pk_fma_f32 v[102:103], v[44:45], v[98:99], v[100:101] op_sel_hi:[0,1,1] neg_lo:[0,0,1] neg_hi:[0,0,1]
	v_pk_fma_f32 v[44:45], v[44:45], v[98:99], v[100:101]
	v_mov_b32_e32 v45, v103
	s_delay_alu instid0(VALU_DEP_1)
	v_pk_add_f32 v[40:41], v[40:41], v[44:45]
.LBB57_1000:                            ;   in Loop: Header=BB57_986 Depth=2
	s_or_b32 exec_lo, exec_lo, s60
	v_add_nc_u32_e32 v44, 16, v42
	s_delay_alu instid0(VALU_DEP_1) | instskip(SKIP_1) | instid1(SALU_CYCLE_1)
	v_cmp_gt_i32_e32 vcc_lo, s78, v44
	s_and_b32 s19, vcc_lo, s5
	s_and_saveexec_b32 s60, s19
	s_cbranch_execz .LBB57_1006
; %bb.1001:                             ;   in Loop: Header=BB57_986 Depth=2
	v_cmp_ne_u32_e32 vcc_lo, 1, v43
	v_mov_b32_e32 v44, v30
	s_cbranch_vccnz .LBB57_1003
; %bb.1002:                             ;   in Loop: Header=BB57_986 Depth=2
	global_load_b32 v44, v[38:39], off offset:128
.LBB57_1003:                            ;   in Loop: Header=BB57_986 Depth=2
	v_cmp_ne_u32_e32 vcc_lo, 1, v43
	v_mov_b32_e32 v45, v31
	s_cbranch_vccnz .LBB57_1005
; %bb.1004:                             ;   in Loop: Header=BB57_986 Depth=2
	global_load_b32 v45, v[38:39], off offset:132
.LBB57_1005:                            ;   in Loop: Header=BB57_986 Depth=2
	ds_load_b64 v[98:99], v84 offset:128
	s_wait_loadcnt 0x0
	v_dual_mov_b32 v100, v45 :: v_dual_mov_b32 v101, v44
	s_wait_dscnt 0x0
	v_dual_mul_f32 v46, v45, v98 :: v_dual_mul_f32 v102, v45, v99
	s_delay_alu instid0(VALU_DEP_1) | instskip(NEXT) | instid1(VALU_DEP_2)
	v_pk_fma_f32 v[100:101], v[100:101], v[98:99], v[46:47] op_sel_hi:[1,1,0] neg_lo:[0,0,1] neg_hi:[0,0,1]
	v_pk_fma_f32 v[44:45], v[44:45], v[98:99], v[102:103] op_sel_hi:[1,1,0]
	s_delay_alu instid0(VALU_DEP_2) | instskip(NEXT) | instid1(VALU_DEP_1)
	v_mov_b32_e32 v45, v101
	v_pk_add_f32 v[40:41], v[40:41], v[44:45]
.LBB57_1006:                            ;   in Loop: Header=BB57_986 Depth=2
	s_or_b32 exec_lo, exec_lo, s60
	v_add_nc_u32_e32 v44, 32, v42
	s_delay_alu instid0(VALU_DEP_1) | instskip(SKIP_1) | instid1(SALU_CYCLE_1)
	v_cmp_gt_i32_e32 vcc_lo, s78, v44
	s_and_b32 s19, vcc_lo, s5
	s_and_saveexec_b32 s60, s19
	s_cbranch_execz .LBB57_1012
; %bb.1007:                             ;   in Loop: Header=BB57_986 Depth=2
	v_cmp_ne_u32_e32 vcc_lo, 1, v43
	v_mov_b32_e32 v44, v32
	s_cbranch_vccnz .LBB57_1009
; %bb.1008:                             ;   in Loop: Header=BB57_986 Depth=2
	global_load_b32 v44, v[38:39], off offset:256
.LBB57_1009:                            ;   in Loop: Header=BB57_986 Depth=2
	v_cmp_ne_u32_e32 vcc_lo, 1, v43
	v_mov_b32_e32 v46, v33
	s_cbranch_vccnz .LBB57_1011
; %bb.1010:                             ;   in Loop: Header=BB57_986 Depth=2
	global_load_b32 v46, v[38:39], off offset:260
.LBB57_1011:                            ;   in Loop: Header=BB57_986 Depth=2
	ds_load_b64 v[98:99], v84 offset:256
	s_wait_loadcnt_dscnt 0x0
	v_pk_mul_f32 v[100:101], v[46:47], v[98:99] op_sel:[0,1] op_sel_hi:[0,0]
	s_delay_alu instid0(VALU_DEP_1) | instskip(SKIP_1) | instid1(VALU_DEP_2)
	v_pk_fma_f32 v[102:103], v[44:45], v[98:99], v[100:101] op_sel_hi:[0,1,1] neg_lo:[0,0,1] neg_hi:[0,0,1]
	v_pk_fma_f32 v[44:45], v[44:45], v[98:99], v[100:101]
	v_mov_b32_e32 v45, v103
	s_delay_alu instid0(VALU_DEP_1)
	v_pk_add_f32 v[40:41], v[40:41], v[44:45]
.LBB57_1012:                            ;   in Loop: Header=BB57_986 Depth=2
	s_or_b32 exec_lo, exec_lo, s60
	v_add_nc_u32_e32 v42, 48, v42
	s_delay_alu instid0(VALU_DEP_1) | instskip(SKIP_1) | instid1(SALU_CYCLE_1)
	v_cmp_gt_i32_e32 vcc_lo, s78, v42
	s_and_b32 s19, vcc_lo, s5
	s_and_saveexec_b32 s60, s19
	s_cbranch_execz .LBB57_985
; %bb.1013:                             ;   in Loop: Header=BB57_986 Depth=2
	v_cmp_ne_u32_e32 vcc_lo, 1, v43
	v_mov_b32_e32 v42, v34
	s_cbranch_vccnz .LBB57_1015
; %bb.1014:                             ;   in Loop: Header=BB57_986 Depth=2
	global_load_b32 v42, v[38:39], off offset:384
.LBB57_1015:                            ;   in Loop: Header=BB57_986 Depth=2
	v_cmp_ne_u32_e32 vcc_lo, 1, v43
	v_mov_b32_e32 v44, v35
	s_cbranch_vccnz .LBB57_984
; %bb.1016:                             ;   in Loop: Header=BB57_986 Depth=2
	global_load_b32 v44, v[38:39], off offset:388
	s_branch .LBB57_984
.LBB57_1017:                            ;   in Loop: Header=BB57_3 Depth=1
	ds_store_b64 v91, v[40:41]
	s_wait_dscnt 0x0
	s_barrier_signal -1
	s_barrier_wait -1
	s_and_saveexec_b32 s60, s1
	s_cbranch_execz .LBB57_1019
; %bb.1018:                             ;   in Loop: Header=BB57_3 Depth=1
	ds_load_2addr_stride64_b64 v[36:39], v92 offset0:1 offset1:2
	ds_load_2addr_stride64_b64 v[42:45], v92 offset0:3 offset1:4
	;; [unrolled: 1-line block ×3, first 2 shown]
	s_wait_dscnt 0x2
	v_pk_add_f32 v[36:37], v[40:41], v[36:37]
	s_delay_alu instid0(VALU_DEP_1) | instskip(SKIP_3) | instid1(VALU_DEP_1)
	v_pk_add_f32 v[40:41], v[36:37], v[38:39]
	ds_load_2addr_stride64_b64 v[36:39], v92 offset0:7 offset1:8
	s_wait_dscnt 0x2
	v_pk_add_f32 v[40:41], v[40:41], v[42:43]
	v_pk_add_f32 v[44:45], v[40:41], v[44:45]
	ds_load_2addr_stride64_b64 v[40:43], v92 offset0:9 offset1:10
	s_wait_dscnt 0x2
	v_pk_add_f32 v[44:45], v[44:45], v[98:99]
	s_delay_alu instid0(VALU_DEP_1) | instskip(SKIP_3) | instid1(VALU_DEP_1)
	v_pk_add_f32 v[44:45], v[44:45], v[100:101]
	ds_load_2addr_stride64_b64 v[98:101], v92 offset0:11 offset1:12
	s_wait_dscnt 0x2
	v_pk_add_f32 v[36:37], v[44:45], v[36:37]
	v_pk_add_f32 v[44:45], v[36:37], v[38:39]
	ds_load_2addr_stride64_b64 v[36:39], v92 offset0:13 offset1:14
	s_wait_dscnt 0x2
	v_pk_add_f32 v[40:41], v[44:45], v[40:41]
	s_delay_alu instid0(VALU_DEP_1) | instskip(SKIP_3) | instid1(VALU_DEP_1)
	v_pk_add_f32 v[40:41], v[40:41], v[42:43]
	ds_load_b64 v[42:43], v92 offset:7680
	s_wait_dscnt 0x2
	v_pk_add_f32 v[40:41], v[40:41], v[98:99]
	v_pk_add_f32 v[40:41], v[40:41], v[100:101]
	s_wait_dscnt 0x1
	s_delay_alu instid0(VALU_DEP_1) | instskip(NEXT) | instid1(VALU_DEP_1)
	v_pk_add_f32 v[36:37], v[40:41], v[36:37]
	v_pk_add_f32 v[36:37], v[36:37], v[38:39]
	s_wait_dscnt 0x0
	s_delay_alu instid0(VALU_DEP_1) | instskip(NEXT) | instid1(VALU_DEP_1)
	v_pk_add_f32 v[36:37], v[36:37], v[42:43]
	v_cndmask_b32_e64 v41, -v37, 0, s54
	s_delay_alu instid0(VALU_DEP_2)
	v_cndmask_b32_e64 v40, -v36, 0, s54
.LBB57_1019:                            ;   in Loop: Header=BB57_3 Depth=1
	s_or_b32 exec_lo, exec_lo, s60
	s_delay_alu instid0(SALU_CYCLE_1)
	s_and_not1_b32 vcc_lo, exec_lo, s91
	s_cbranch_vccnz .LBB57_1029
; %bb.1020:                             ;   in Loop: Header=BB57_3 Depth=1
	s_and_saveexec_b32 s19, s1
; %bb.1021:                             ;   in Loop: Header=BB57_3 Depth=1
	ds_store_b64 v94, v[40:41]
; %bb.1022:                             ;   in Loop: Header=BB57_3 Depth=1
	s_or_b32 exec_lo, exec_lo, s19
	v_mov_b64_e32 v[36:37], 0
	s_wait_dscnt 0x0
	s_barrier_signal -1
	s_barrier_wait -1
	s_and_saveexec_b32 s19, s6
	s_cbranch_execnz .LBB57_1069
; %bb.1023:                             ;   in Loop: Header=BB57_3 Depth=1
	s_or_b32 exec_lo, exec_lo, s19
	s_and_saveexec_b32 s19, s7
	s_cbranch_execnz .LBB57_1070
.LBB57_1024:                            ;   in Loop: Header=BB57_3 Depth=1
	s_or_b32 exec_lo, exec_lo, s19
	s_and_saveexec_b32 s19, s8
	s_cbranch_execnz .LBB57_1071
.LBB57_1025:                            ;   in Loop: Header=BB57_3 Depth=1
	s_or_b32 exec_lo, exec_lo, s19
	s_and_saveexec_b32 s19, s9
	s_cbranch_execz .LBB57_1027
.LBB57_1026:                            ;   in Loop: Header=BB57_3 Depth=1
	ds_load_b64 v[38:39], v93 offset:24576
	ds_load_b64 v[42:43], v84 offset:384
	s_wait_dscnt 0x0
	v_pk_mul_f32 v[44:45], v[42:43], v[38:39] op_sel:[1,1] op_sel_hi:[0,1]
	s_delay_alu instid0(VALU_DEP_1) | instskip(SKIP_1) | instid1(VALU_DEP_2)
	v_pk_fma_f32 v[98:99], v[42:43], v[38:39], v[44:45] op_sel_hi:[1,0,1]
	v_pk_fma_f32 v[38:39], v[42:43], v[38:39], v[44:45] neg_lo:[0,0,1] neg_hi:[0,0,1]
	v_mov_b32_e32 v39, v99
	s_delay_alu instid0(VALU_DEP_1)
	v_pk_add_f32 v[36:37], v[36:37], v[38:39]
.LBB57_1027:                            ;   in Loop: Header=BB57_3 Depth=1
	s_or_b32 exec_lo, exec_lo, s19
	s_mov_b32 s61, 0
	s_mov_b32 s84, 0
	ds_store_b64 v91, v[36:37]
	s_wait_dscnt 0x0
	s_barrier_signal -1
	s_barrier_wait -1
                                        ; implicit-def: $vgpr38_vgpr39
	s_and_saveexec_b32 s60, s1
	s_cbranch_execz .LBB57_1072
; %bb.1028:                             ;   in Loop: Header=BB57_3 Depth=1
	ds_load_2addr_stride64_b64 v[42:45], v92 offset0:1 offset1:2
	ds_load_2addr_stride64_b64 v[98:101], v92 offset0:3 offset1:4
	;; [unrolled: 1-line block ×3, first 2 shown]
	s_mov_b32 s84, exec_lo
	s_wait_dscnt 0x2
	v_pk_add_f32 v[36:37], v[36:37], v[42:43]
	s_delay_alu instid0(VALU_DEP_1) | instskip(SKIP_3) | instid1(VALU_DEP_1)
	v_pk_add_f32 v[42:43], v[36:37], v[44:45]
	ds_load_2addr_stride64_b64 v[36:39], v92 offset0:7 offset1:8
	s_wait_dscnt 0x2
	v_pk_add_f32 v[42:43], v[42:43], v[98:99]
	v_pk_add_f32 v[98:99], v[42:43], v[100:101]
	ds_load_2addr_stride64_b64 v[42:45], v92 offset0:9 offset1:10
	s_wait_dscnt 0x2
	v_pk_add_f32 v[98:99], v[98:99], v[102:103]
	s_delay_alu instid0(VALU_DEP_1) | instskip(SKIP_3) | instid1(VALU_DEP_1)
	v_pk_add_f32 v[102:103], v[98:99], v[104:105]
	ds_load_2addr_stride64_b64 v[98:101], v92 offset0:11 offset1:12
	s_wait_dscnt 0x2
	v_pk_add_f32 v[36:37], v[102:103], v[36:37]
	v_pk_add_f32 v[36:37], v[36:37], v[38:39]
	s_wait_dscnt 0x1
	s_delay_alu instid0(VALU_DEP_1)
	v_pk_add_f32 v[42:43], v[36:37], v[42:43]
	ds_load_2addr_stride64_b64 v[36:39], v92 offset0:13 offset1:14
	v_pk_add_f32 v[42:43], v[42:43], v[44:45]
	ds_load_b64 v[44:45], v92 offset:7680
	s_wait_dscnt 0x2
	v_pk_add_f32 v[42:43], v[42:43], v[98:99]
	s_delay_alu instid0(VALU_DEP_1) | instskip(SKIP_1) | instid1(VALU_DEP_1)
	v_pk_add_f32 v[42:43], v[42:43], v[100:101]
	s_wait_dscnt 0x1
	v_pk_add_f32 v[36:37], v[42:43], v[36:37]
	s_delay_alu instid0(VALU_DEP_1) | instskip(SKIP_1) | instid1(VALU_DEP_1)
	v_pk_add_f32 v[36:37], v[36:37], v[38:39]
	s_wait_dscnt 0x0
	v_pk_add_f32 v[38:39], v[36:37], v[44:45]
	s_or_b32 exec_lo, exec_lo, s60
	s_delay_alu instid0(SALU_CYCLE_1)
	s_and_b32 vcc_lo, exec_lo, s61
	s_cbranch_vccnz .LBB57_1030
	s_branch .LBB57_1073
.LBB57_1029:                            ;   in Loop: Header=BB57_3 Depth=1
	s_mov_b32 s84, 0
                                        ; implicit-def: $vgpr38_vgpr39
	s_cbranch_execz .LBB57_1073
.LBB57_1030:                            ;   in Loop: Header=BB57_3 Depth=1
	v_dual_mov_b32 v3, v96 :: v_dual_mov_b32 v36, v86
	s_mov_b32 s61, 63
	s_branch .LBB57_1032
.LBB57_1031:                            ;   in Loop: Header=BB57_1032 Depth=2
	s_or_b32 exec_lo, exec_lo, s19
	v_add_nc_u32_e32 v36, 0xfffff800, v36
	v_add_nc_u32_e32 v3, 4, v3
	s_add_co_i32 s61, s61, -4
	s_cmp_lg_u32 s85, 0
	s_barrier_signal -1
	s_barrier_wait -1
	s_cbranch_scc0 .LBB57_1048
.LBB57_1032:                            ;   Parent Loop BB57_3 Depth=1
                                        ; =>  This Inner Loop Header: Depth=2
	s_delay_alu instid0(VALU_DEP_1) | instskip(SKIP_1) | instid1(SALU_CYCLE_1)
	v_cmp_eq_u32_e32 vcc_lo, 0, v3
	s_and_b32 s21, s1, vcc_lo
	s_and_saveexec_b32 s19, s21
; %bb.1033:                             ;   in Loop: Header=BB57_1032 Depth=2
	ds_store_b64 v7, v[40:41] offset:41472
; %bb.1034:                             ;   in Loop: Header=BB57_1032 Depth=2
	s_or_b32 exec_lo, exec_lo, s19
	v_cmp_gt_u32_e32 vcc_lo, s61, v4
	s_wait_dscnt 0x0
	s_barrier_signal -1
	s_barrier_wait -1
	s_and_b32 s21, s1, vcc_lo
	s_delay_alu instid0(SALU_CYCLE_1)
	s_and_saveexec_b32 s19, s21
	s_cbranch_execz .LBB57_1036
; %bb.1035:                             ;   in Loop: Header=BB57_1032 Depth=2
	ds_load_b64 v[38:39], v36 offset:1536
	ds_load_b64 v[42:43], v7 offset:41472
	s_wait_dscnt 0x0
	v_pk_mul_f32 v[44:45], v[42:43], v[38:39] op_sel:[1,1] op_sel_hi:[0,1]
	s_delay_alu instid0(VALU_DEP_1) | instskip(SKIP_1) | instid1(VALU_DEP_2)
	v_pk_fma_f32 v[98:99], v[42:43], v[38:39], v[44:45] op_sel_hi:[1,0,1]
	v_pk_fma_f32 v[38:39], v[42:43], v[38:39], v[44:45] neg_lo:[0,0,1] neg_hi:[0,0,1]
	v_mov_b32_e32 v39, v99
	s_delay_alu instid0(VALU_DEP_1)
	v_pk_add_f32 v[40:41], v[40:41], v[38:39]
.LBB57_1036:                            ;   in Loop: Header=BB57_1032 Depth=2
	s_or_b32 exec_lo, exec_lo, s19
	s_add_co_i32 s19, s61, -1
	s_delay_alu instid0(SALU_CYCLE_1) | instskip(SKIP_3) | instid1(SALU_CYCLE_1)
	v_cmp_eq_u32_e32 vcc_lo, s19, v4
	s_barrier_signal -1
	s_barrier_wait -1
	s_and_b32 s23, s1, vcc_lo
	s_and_saveexec_b32 s21, s23
; %bb.1037:                             ;   in Loop: Header=BB57_1032 Depth=2
	ds_store_b64 v7, v[40:41] offset:41472
; %bb.1038:                             ;   in Loop: Header=BB57_1032 Depth=2
	s_or_b32 exec_lo, exec_lo, s21
	v_cmp_gt_u32_e32 vcc_lo, s19, v4
	s_wait_dscnt 0x0
	s_barrier_signal -1
	s_barrier_wait -1
	s_and_b32 s21, s1, vcc_lo
	s_delay_alu instid0(SALU_CYCLE_1)
	s_and_saveexec_b32 s19, s21
	s_cbranch_execz .LBB57_1040
; %bb.1039:                             ;   in Loop: Header=BB57_1032 Depth=2
	ds_load_b64 v[38:39], v36 offset:1024
	ds_load_b64 v[42:43], v7 offset:41472
	s_wait_dscnt 0x0
	v_pk_mul_f32 v[44:45], v[42:43], v[38:39] op_sel:[1,1] op_sel_hi:[0,1]
	s_delay_alu instid0(VALU_DEP_1) | instskip(SKIP_1) | instid1(VALU_DEP_2)
	v_pk_fma_f32 v[98:99], v[42:43], v[38:39], v[44:45] op_sel_hi:[1,0,1]
	v_pk_fma_f32 v[38:39], v[42:43], v[38:39], v[44:45] neg_lo:[0,0,1] neg_hi:[0,0,1]
	v_mov_b32_e32 v39, v99
	s_delay_alu instid0(VALU_DEP_1)
	v_pk_add_f32 v[40:41], v[40:41], v[38:39]
.LBB57_1040:                            ;   in Loop: Header=BB57_1032 Depth=2
	s_or_b32 exec_lo, exec_lo, s19
	s_add_co_i32 s19, s61, -2
	s_delay_alu instid0(SALU_CYCLE_1) | instskip(SKIP_3) | instid1(SALU_CYCLE_1)
	v_cmp_eq_u32_e32 vcc_lo, s19, v4
	s_barrier_signal -1
	s_barrier_wait -1
	;; [unrolled: 32-line block ×3, first 2 shown]
	s_and_b32 s21, s1, vcc_lo
	s_and_saveexec_b32 s19, s21
; %bb.1045:                             ;   in Loop: Header=BB57_1032 Depth=2
	ds_store_b64 v7, v[40:41] offset:41472
; %bb.1046:                             ;   in Loop: Header=BB57_1032 Depth=2
	s_or_b32 exec_lo, exec_lo, s19
	v_cmp_gt_u32_e32 vcc_lo, s85, v4
	s_wait_dscnt 0x0
	s_barrier_signal -1
	s_barrier_wait -1
	s_and_b32 s21, s1, vcc_lo
	s_delay_alu instid0(SALU_CYCLE_1)
	s_and_saveexec_b32 s19, s21
	s_cbranch_execz .LBB57_1031
; %bb.1047:                             ;   in Loop: Header=BB57_1032 Depth=2
	ds_load_b64 v[38:39], v36
	ds_load_b64 v[42:43], v7 offset:41472
	s_wait_dscnt 0x0
	v_pk_mul_f32 v[44:45], v[42:43], v[38:39] op_sel:[1,1] op_sel_hi:[0,1]
	s_delay_alu instid0(VALU_DEP_1) | instskip(SKIP_1) | instid1(VALU_DEP_2)
	v_pk_fma_f32 v[98:99], v[42:43], v[38:39], v[44:45] op_sel_hi:[1,0,1]
	v_pk_fma_f32 v[38:39], v[42:43], v[38:39], v[44:45] neg_lo:[0,0,1] neg_hi:[0,0,1]
	v_mov_b32_e32 v39, v99
	s_delay_alu instid0(VALU_DEP_1)
	v_pk_add_f32 v[40:41], v[40:41], v[38:39]
	s_branch .LBB57_1031
.LBB57_1048:                            ;   in Loop: Header=BB57_3 Depth=1
	s_and_b32 vcc_lo, exec_lo, s89
	s_mov_b32 s19, -1
	s_cbranch_vccnz .LBB57_1074
; %bb.1049:                             ;   in Loop: Header=BB57_3 Depth=1
	s_and_not1_b32 vcc_lo, exec_lo, s19
	s_cbranch_vccz .LBB57_1075
.LBB57_1050:                            ;   in Loop: Header=BB57_3 Depth=1
	s_and_saveexec_b32 s19, s84
	s_cbranch_execz .LBB57_1052
.LBB57_1051:                            ;   in Loop: Header=BB57_3 Depth=1
	v_lshl_add_u64 v[36:37], v[0:1], 3, s[82:83]
	global_store_b64 v[36:37], v[40:41], off
.LBB57_1052:                            ;   in Loop: Header=BB57_3 Depth=1
	s_wait_xcnt 0x0
	s_or_b32 exec_lo, exec_lo, s19
	global_wb scope:SCOPE_DEV
	s_wait_storecnt 0x0
	global_inv scope:SCOPE_DEV
	s_wait_loadcnt 0x0
	s_barrier_signal -1
	s_barrier_wait -1
	s_and_saveexec_b32 s19, s31
	s_cbranch_execz .LBB57_2
; %bb.1053:                             ;   in Loop: Header=BB57_3 Depth=1
	s_lshl_b64 s[60:61], s[76:77], 2
	s_delay_alu instid0(SALU_CYCLE_1)
	s_add_nc_u64 s[60:61], s[74:75], s[60:61]
	global_load_b32 v3, v7, s[60:61]
	s_wait_loadcnt 0x0
	v_add_nc_u32_e32 v3, 1, v3
	global_store_b32 v7, v3, s[60:61]
	s_branch .LBB57_2
.LBB57_1054:                            ;   in Loop: Header=BB57_3 Depth=1
	v_readlane_b32 s23, v97, 3
	s_and_saveexec_b32 s21, s23
; %bb.1055:                             ;   in Loop: Header=BB57_3 Depth=1
	ds_store_b64 v80, v[24:25]
; %bb.1056:                             ;   in Loop: Header=BB57_3 Depth=1
	s_or_b32 exec_lo, exec_lo, s21
	s_and_not1_saveexec_b32 s19, s19
	s_cbranch_execz .LBB57_16
.LBB57_1057:                            ;   in Loop: Header=BB57_3 Depth=1
	v_lshl_add_u64 v[42:43], v[22:23], 3, v[40:41]
	global_load_b64 v[42:43], v[42:43], off
	s_wait_loadcnt 0x0
	v_xor_b32_e32 v42, 0x80000000, v42
	ds_store_b64 v80, v[42:43]
	s_or_b32 exec_lo, exec_lo, s19
	s_and_saveexec_b32 s19, s7
	s_delay_alu instid0(SALU_CYCLE_1)
	s_xor_b32 s19, exec_lo, s19
	s_cbranch_execz .LBB57_17
.LBB57_1058:                            ;   in Loop: Header=BB57_3 Depth=1
	v_readlane_b32 s23, v97, 4
	s_and_saveexec_b32 s21, s23
; %bb.1059:                             ;   in Loop: Header=BB57_3 Depth=1
	ds_store_b64 v81, v[24:25]
; %bb.1060:                             ;   in Loop: Header=BB57_3 Depth=1
	s_or_b32 exec_lo, exec_lo, s21
	s_and_not1_saveexec_b32 s19, s19
	s_cbranch_execz .LBB57_18
.LBB57_1061:                            ;   in Loop: Header=BB57_3 Depth=1
	v_lshl_add_u64 v[42:43], v[16:17], 3, v[40:41]
	global_load_b64 v[42:43], v[42:43], off
	s_wait_loadcnt 0x0
	v_xor_b32_e32 v42, 0x80000000, v42
	ds_store_b64 v81, v[42:43]
	s_or_b32 exec_lo, exec_lo, s19
	s_and_saveexec_b32 s19, s8
	s_delay_alu instid0(SALU_CYCLE_1)
	s_xor_b32 s19, exec_lo, s19
	s_cbranch_execz .LBB57_19
.LBB57_1062:                            ;   in Loop: Header=BB57_3 Depth=1
	v_readlane_b32 s23, v97, 5
	s_and_saveexec_b32 s21, s23
; %bb.1063:                             ;   in Loop: Header=BB57_3 Depth=1
	ds_store_b64 v82, v[24:25]
; %bb.1064:                             ;   in Loop: Header=BB57_3 Depth=1
	s_or_b32 exec_lo, exec_lo, s21
	s_and_not1_saveexec_b32 s19, s19
	s_cbranch_execz .LBB57_20
.LBB57_1065:                            ;   in Loop: Header=BB57_3 Depth=1
	v_lshl_add_u64 v[42:43], v[18:19], 3, v[40:41]
	global_load_b64 v[42:43], v[42:43], off
	s_wait_loadcnt 0x0
	v_xor_b32_e32 v42, 0x80000000, v42
	ds_store_b64 v82, v[42:43]
	s_or_b32 exec_lo, exec_lo, s19
	s_and_saveexec_b32 s19, s9
	s_delay_alu instid0(SALU_CYCLE_1)
	s_xor_b32 s19, exec_lo, s19
	s_cbranch_execz .LBB57_21
.LBB57_1066:                            ;   in Loop: Header=BB57_3 Depth=1
	v_readlane_b32 s23, v97, 6
	s_and_saveexec_b32 s21, s23
; %bb.1067:                             ;   in Loop: Header=BB57_3 Depth=1
	ds_store_b64 v83, v[24:25]
; %bb.1068:                             ;   in Loop: Header=BB57_3 Depth=1
	s_or_b32 exec_lo, exec_lo, s21
	s_and_not1_saveexec_b32 s19, s19
	s_cbranch_execnz .LBB57_22
	s_branch .LBB57_23
.LBB57_1069:                            ;   in Loop: Header=BB57_3 Depth=1
	ds_load_b64 v[36:37], v93
	ds_load_b64 v[38:39], v84
	s_wait_dscnt 0x0
	v_dual_mul_f32 v3, v39, v37 :: v_dual_mul_f32 v37, v38, v37
	s_delay_alu instid0(VALU_DEP_1) | instskip(NEXT) | instid1(VALU_DEP_1)
	v_dual_fma_f32 v3, v38, v36, -v3 :: v_dual_fmac_f32 v37, v39, v36
	v_dual_add_f32 v36, 0, v3 :: v_dual_add_f32 v37, 0, v37
	s_or_b32 exec_lo, exec_lo, s19
	s_and_saveexec_b32 s19, s7
	s_cbranch_execz .LBB57_1024
.LBB57_1070:                            ;   in Loop: Header=BB57_3 Depth=1
	ds_load_b64 v[38:39], v93 offset:8192
	ds_load_b64 v[42:43], v84 offset:128
	s_wait_dscnt 0x0
	v_dual_mul_f32 v3, v43, v39 :: v_dual_mul_f32 v45, v42, v39
	s_delay_alu instid0(VALU_DEP_1) | instskip(NEXT) | instid1(VALU_DEP_1)
	v_dual_fma_f32 v44, v42, v38, -v3 :: v_dual_fmac_f32 v45, v43, v38
	v_pk_add_f32 v[36:37], v[36:37], v[44:45]
	s_or_b32 exec_lo, exec_lo, s19
	s_and_saveexec_b32 s19, s8
	s_cbranch_execz .LBB57_1025
.LBB57_1071:                            ;   in Loop: Header=BB57_3 Depth=1
	ds_load_b64 v[38:39], v93 offset:16384
	ds_load_b64 v[42:43], v84 offset:256
	s_wait_dscnt 0x0
	v_pk_mul_f32 v[44:45], v[42:43], v[38:39] op_sel:[1,1] op_sel_hi:[0,1]
	s_delay_alu instid0(VALU_DEP_1) | instskip(SKIP_1) | instid1(VALU_DEP_2)
	v_pk_fma_f32 v[98:99], v[42:43], v[38:39], v[44:45] op_sel_hi:[1,0,1]
	v_pk_fma_f32 v[38:39], v[42:43], v[38:39], v[44:45] neg_lo:[0,0,1] neg_hi:[0,0,1]
	v_mov_b32_e32 v39, v99
	s_delay_alu instid0(VALU_DEP_1)
	v_pk_add_f32 v[36:37], v[36:37], v[38:39]
	s_or_b32 exec_lo, exec_lo, s19
	s_and_saveexec_b32 s19, s9
	s_cbranch_execnz .LBB57_1026
	s_branch .LBB57_1027
.LBB57_1072:                            ;   in Loop: Header=BB57_3 Depth=1
	s_or_b32 exec_lo, exec_lo, s60
	s_delay_alu instid0(SALU_CYCLE_1)
	s_and_b32 vcc_lo, exec_lo, s61
	s_cbranch_vccnz .LBB57_1030
.LBB57_1073:                            ;   in Loop: Header=BB57_3 Depth=1
	v_mov_b64_e32 v[40:41], v[38:39]
	s_and_saveexec_b32 s19, s84
	s_cbranch_execnz .LBB57_1051
	s_branch .LBB57_1052
.LBB57_1074:                            ;   in Loop: Header=BB57_3 Depth=1
	s_and_not1_b32 s21, s84, exec_lo
	s_and_b32 s23, s1, exec_lo
	s_delay_alu instid0(SALU_CYCLE_1)
	s_or_b32 s84, s21, s23
	s_cbranch_execnz .LBB57_1050
.LBB57_1075:                            ;   in Loop: Header=BB57_3 Depth=1
	v_readlane_b32 s21, v106, 15
	s_and_not1_b32 s19, s84, exec_lo
	s_and_b32 s21, s21, exec_lo
	s_delay_alu instid0(SALU_CYCLE_1) | instskip(NEXT) | instid1(SALU_CYCLE_1)
	s_or_b32 s84, s19, s21
	s_and_saveexec_b32 s19, s84
	s_cbranch_execnz .LBB57_1051
	s_branch .LBB57_1052
.LBB57_1076:                            ;   in Loop: Header=BB57_3 Depth=1
	ds_load_b64 v[42:43], v68 offset:544
	ds_load_b64 v[44:45], v55 offset:8
	s_wait_dscnt 0x0
	v_dual_mul_f32 v3, v45, v43 :: v_dual_mul_f32 v43, v44, v43
	s_delay_alu instid0(VALU_DEP_1) | instskip(NEXT) | instid1(VALU_DEP_1)
	v_fmac_f32_e32 v43, v45, v42
	v_dual_fma_f32 v3, v44, v42, -v3 :: v_dual_add_f32 v41, v41, v43
	s_delay_alu instid0(VALU_DEP_1)
	v_add_f32_e32 v40, v40, v3
	s_or_b32 exec_lo, exec_lo, s19
	s_and_saveexec_b32 s19, s13
	s_cbranch_execz .LBB57_72
.LBB57_1077:                            ;   in Loop: Header=BB57_3 Depth=1
	ds_load_b64 v[42:43], v67 offset:1056
	ds_load_b64 v[44:45], v55 offset:16
	s_wait_dscnt 0x0
	v_dual_mul_f32 v3, v45, v43 :: v_dual_mul_f32 v43, v44, v43
	s_delay_alu instid0(VALU_DEP_1) | instskip(NEXT) | instid1(VALU_DEP_1)
	v_fmac_f32_e32 v43, v45, v42
	v_dual_fma_f32 v3, v44, v42, -v3 :: v_dual_add_f32 v41, v41, v43
	s_delay_alu instid0(VALU_DEP_1)
	v_add_f32_e32 v40, v40, v3
	s_or_b32 exec_lo, exec_lo, s19
	s_and_saveexec_b32 s19, s0
	s_cbranch_execnz .LBB57_73
	s_branch .LBB57_74
.LBB57_1078:                            ;   in Loop: Header=BB57_3 Depth=1
	ds_load_b64 v[42:43], v72 offset:576
	ds_load_b64 v[44:45], v57 offset:8
	s_wait_dscnt 0x0
	v_dual_mul_f32 v3, v45, v43 :: v_dual_mul_f32 v43, v44, v43
	s_delay_alu instid0(VALU_DEP_1) | instskip(NEXT) | instid1(VALU_DEP_1)
	v_fmac_f32_e32 v43, v45, v42
	v_dual_fma_f32 v3, v44, v42, -v3 :: v_dual_add_f32 v41, v41, v43
	s_delay_alu instid0(VALU_DEP_1)
	v_add_f32_e32 v40, v40, v3
	s_or_b32 exec_lo, exec_lo, s19
	s_and_saveexec_b32 s19, s15
	s_cbranch_execz .LBB57_114
.LBB57_1079:                            ;   in Loop: Header=BB57_3 Depth=1
	ds_load_b64 v[42:43], v72 offset:1088
	ds_load_b64 v[44:45], v57 offset:16
	s_wait_dscnt 0x0
	v_dual_mul_f32 v3, v45, v43 :: v_dual_mul_f32 v43, v44, v43
	s_delay_alu instid0(VALU_DEP_1) | instskip(NEXT) | instid1(VALU_DEP_1)
	v_fmac_f32_e32 v43, v45, v42
	v_dual_fma_f32 v3, v44, v42, -v3 :: v_dual_add_f32 v41, v41, v43
	s_delay_alu instid0(VALU_DEP_1)
	v_add_f32_e32 v40, v40, v3
	s_or_b32 exec_lo, exec_lo, s19
	s_and_saveexec_b32 s19, s16
	s_cbranch_execz .LBB57_115
.LBB57_1080:                            ;   in Loop: Header=BB57_3 Depth=1
	ds_load_b64 v[42:43], v72 offset:1600
	ds_load_b64 v[44:45], v57 offset:24
	s_wait_dscnt 0x0
	v_dual_mul_f32 v3, v45, v43 :: v_dual_mul_f32 v43, v44, v43
	s_delay_alu instid0(VALU_DEP_1) | instskip(NEXT) | instid1(VALU_DEP_1)
	v_fmac_f32_e32 v43, v45, v42
	v_dual_fma_f32 v3, v44, v42, -v3 :: v_dual_add_f32 v41, v41, v43
	s_delay_alu instid0(VALU_DEP_1)
	v_add_f32_e32 v40, v40, v3
	s_or_b32 exec_lo, exec_lo, s19
	s_and_saveexec_b32 s19, s17
	s_cbranch_execz .LBB57_116
.LBB57_1081:                            ;   in Loop: Header=BB57_3 Depth=1
	ds_load_b64 v[42:43], v71 offset:2112
	ds_load_b64 v[44:45], v57 offset:32
	s_wait_dscnt 0x0
	v_dual_mul_f32 v3, v45, v43 :: v_dual_mul_f32 v43, v44, v43
	s_delay_alu instid0(VALU_DEP_1) | instskip(NEXT) | instid1(VALU_DEP_1)
	v_fmac_f32_e32 v43, v45, v42
	v_dual_fma_f32 v3, v44, v42, -v3 :: v_dual_add_f32 v41, v41, v43
	s_delay_alu instid0(VALU_DEP_1)
	v_add_f32_e32 v40, v40, v3
	s_or_b32 exec_lo, exec_lo, s19
	s_and_saveexec_b32 s19, s18
	s_cbranch_execz .LBB57_117
.LBB57_1082:                            ;   in Loop: Header=BB57_3 Depth=1
	ds_load_b64 v[42:43], v72 offset:2624
	ds_load_b64 v[44:45], v57 offset:40
	s_wait_dscnt 0x0
	v_dual_mul_f32 v3, v45, v43 :: v_dual_mul_f32 v99, v44, v43
	s_delay_alu instid0(VALU_DEP_1) | instskip(NEXT) | instid1(VALU_DEP_2)
	v_fma_f32 v98, v44, v42, -v3
	v_fmac_f32_e32 v99, v45, v42
	s_delay_alu instid0(VALU_DEP_1)
	v_pk_add_f32 v[40:41], v[40:41], v[98:99]
	s_or_b32 exec_lo, exec_lo, s19
	s_and_saveexec_b32 s19, s2
	s_cbranch_execz .LBB57_118
.LBB57_1083:                            ;   in Loop: Header=BB57_3 Depth=1
	ds_load_b64 v[42:43], v71 offset:3136
	ds_load_b64 v[44:45], v57 offset:48
	s_wait_dscnt 0x0
	v_pk_mul_f32 v[98:99], v[44:45], v[42:43] op_sel:[1,1] op_sel_hi:[0,1]
	s_delay_alu instid0(VALU_DEP_1) | instskip(SKIP_1) | instid1(VALU_DEP_2)
	v_pk_fma_f32 v[100:101], v[44:45], v[42:43], v[98:99] op_sel_hi:[1,0,1]
	v_pk_fma_f32 v[42:43], v[44:45], v[42:43], v[98:99] neg_lo:[0,0,1] neg_hi:[0,0,1]
	v_mov_b32_e32 v43, v101
	s_delay_alu instid0(VALU_DEP_1)
	v_pk_add_f32 v[40:41], v[40:41], v[42:43]
	s_or_b32 exec_lo, exec_lo, s19
	s_and_saveexec_b32 s19, s13
	s_cbranch_execnz .LBB57_119
	s_branch .LBB57_120
.LBB57_1084:                            ;   in Loop: Header=BB57_3 Depth=1
	ds_load_b64 v[42:43], v68 offset:4704
	ds_load_b64 v[44:45], v55 offset:4168
	s_wait_dscnt 0x0
	v_dual_mul_f32 v3, v45, v43 :: v_dual_mul_f32 v43, v44, v43
	s_delay_alu instid0(VALU_DEP_1) | instskip(NEXT) | instid1(VALU_DEP_1)
	v_fmac_f32_e32 v43, v45, v42
	v_dual_fma_f32 v3, v44, v42, -v3 :: v_dual_add_f32 v41, v41, v43
	s_delay_alu instid0(VALU_DEP_1)
	v_add_f32_e32 v40, v40, v3
	s_or_b32 exec_lo, exec_lo, s19
	s_and_saveexec_b32 s19, s13
	s_cbranch_execz .LBB57_176
.LBB57_1085:                            ;   in Loop: Header=BB57_3 Depth=1
	ds_load_b64 v[42:43], v67 offset:5216
	ds_load_b64 v[44:45], v55 offset:4176
	s_wait_dscnt 0x0
	v_dual_mul_f32 v3, v45, v43 :: v_dual_mul_f32 v43, v44, v43
	s_delay_alu instid0(VALU_DEP_1) | instskip(NEXT) | instid1(VALU_DEP_1)
	v_fmac_f32_e32 v43, v45, v42
	v_dual_fma_f32 v3, v44, v42, -v3 :: v_dual_add_f32 v41, v41, v43
	s_delay_alu instid0(VALU_DEP_1)
	v_add_f32_e32 v40, v40, v3
	s_or_b32 exec_lo, exec_lo, s19
	s_and_saveexec_b32 s19, s0
	s_cbranch_execnz .LBB57_177
	s_branch .LBB57_178
.LBB57_1086:                            ;   in Loop: Header=BB57_3 Depth=1
	ds_load_b64 v[42:43], v75 offset:5760
	ds_load_b64 v[44:45], v59 offset:88
	s_wait_dscnt 0x0
	v_dual_mul_f32 v3, v45, v43 :: v_dual_mul_f32 v43, v44, v43
	s_delay_alu instid0(VALU_DEP_1) | instskip(NEXT) | instid1(VALU_DEP_1)
	v_fmac_f32_e32 v43, v45, v42
	v_dual_fma_f32 v3, v44, v42, -v3 :: v_dual_add_f32 v41, v41, v43
	s_delay_alu instid0(VALU_DEP_1)
	v_add_f32_e32 v40, v40, v3
	s_or_b32 exec_lo, exec_lo, s19
	s_and_saveexec_b32 s19, s3
	s_cbranch_execz .LBB57_238
.LBB57_1087:                            ;   in Loop: Header=BB57_3 Depth=1
	ds_load_b64 v[42:43], v74 offset:6272
	ds_load_b64 v[44:45], v59 offset:96
	s_wait_dscnt 0x0
	v_dual_mul_f32 v3, v45, v43 :: v_dual_mul_f32 v43, v44, v43
	s_delay_alu instid0(VALU_DEP_1) | instskip(NEXT) | instid1(VALU_DEP_1)
	v_fmac_f32_e32 v43, v45, v42
	v_dual_fma_f32 v3, v44, v42, -v3 :: v_dual_add_f32 v41, v41, v43
	s_delay_alu instid0(VALU_DEP_1)
	v_add_f32_e32 v40, v40, v3
	s_or_b32 exec_lo, exec_lo, s19
	s_and_saveexec_b32 s19, s15
	s_cbranch_execz .LBB57_239
.LBB57_1088:                            ;   in Loop: Header=BB57_3 Depth=1
	ds_load_b64 v[42:43], v75 offset:6784
	ds_load_b64 v[44:45], v59 offset:104
	s_wait_dscnt 0x0
	v_dual_mul_f32 v3, v45, v43 :: v_dual_mul_f32 v43, v44, v43
	s_delay_alu instid0(VALU_DEP_1) | instskip(NEXT) | instid1(VALU_DEP_1)
	v_fmac_f32_e32 v43, v45, v42
	v_dual_fma_f32 v3, v44, v42, -v3 :: v_dual_add_f32 v41, v41, v43
	s_delay_alu instid0(VALU_DEP_1)
	v_add_f32_e32 v40, v40, v3
	s_or_b32 exec_lo, exec_lo, s19
	s_and_saveexec_b32 s19, s17
	s_cbranch_execz .LBB57_240
.LBB57_1089:                            ;   in Loop: Header=BB57_3 Depth=1
	ds_load_b64 v[42:43], v74 offset:7296
	ds_load_b64 v[44:45], v59 offset:112
	s_wait_dscnt 0x0
	v_dual_mul_f32 v3, v45, v43 :: v_dual_mul_f32 v43, v44, v43
	s_delay_alu instid0(VALU_DEP_1) | instskip(NEXT) | instid1(VALU_DEP_1)
	v_fmac_f32_e32 v43, v45, v42
	v_dual_fma_f32 v3, v44, v42, -v3 :: v_dual_add_f32 v41, v41, v43
	s_delay_alu instid0(VALU_DEP_1)
	v_add_f32_e32 v40, v40, v3
	s_or_b32 exec_lo, exec_lo, s19
	s_and_saveexec_b32 s19, s2
	s_cbranch_execnz .LBB57_241
	s_branch .LBB57_242
.LBB57_1090:                            ;   in Loop: Header=BB57_3 Depth=1
	ds_load_b64 v[42:43], v68 offset:8864
	ds_load_b64 v[44:45], v55 offset:8328
	s_wait_dscnt 0x0
	v_dual_mul_f32 v3, v45, v43 :: v_dual_mul_f32 v43, v44, v43
	s_delay_alu instid0(VALU_DEP_1) | instskip(NEXT) | instid1(VALU_DEP_1)
	v_fmac_f32_e32 v43, v45, v42
	v_dual_fma_f32 v3, v44, v42, -v3 :: v_dual_add_f32 v41, v41, v43
	s_delay_alu instid0(VALU_DEP_1)
	v_add_f32_e32 v40, v40, v3
	s_or_b32 exec_lo, exec_lo, s19
	s_and_saveexec_b32 s19, s13
	s_cbranch_execz .LBB57_330
.LBB57_1091:                            ;   in Loop: Header=BB57_3 Depth=1
	ds_load_b64 v[42:43], v67 offset:9376
	ds_load_b64 v[44:45], v55 offset:8336
	s_wait_dscnt 0x0
	v_dual_mul_f32 v3, v45, v43 :: v_dual_mul_f32 v43, v44, v43
	s_delay_alu instid0(VALU_DEP_1) | instskip(NEXT) | instid1(VALU_DEP_1)
	v_fmac_f32_e32 v43, v45, v42
	v_dual_fma_f32 v3, v44, v42, -v3 :: v_dual_add_f32 v41, v41, v43
	s_delay_alu instid0(VALU_DEP_1)
	v_add_f32_e32 v40, v40, v3
	s_or_b32 exec_lo, exec_lo, s19
	s_and_saveexec_b32 s19, s0
	s_cbranch_execnz .LBB57_331
	s_branch .LBB57_332
.LBB57_1092:                            ;   in Loop: Header=BB57_3 Depth=1
	ds_load_b64 v[42:43], v72 offset:8896
	ds_load_b64 v[44:45], v57 offset:8328
	s_wait_dscnt 0x0
	v_dual_mul_f32 v3, v45, v43 :: v_dual_mul_f32 v43, v44, v43
	s_delay_alu instid0(VALU_DEP_1) | instskip(NEXT) | instid1(VALU_DEP_1)
	v_fmac_f32_e32 v43, v45, v42
	v_dual_fma_f32 v3, v44, v42, -v3 :: v_dual_add_f32 v41, v41, v43
	s_delay_alu instid0(VALU_DEP_1)
	v_add_f32_e32 v40, v40, v3
	s_or_b32 exec_lo, exec_lo, s19
	s_and_saveexec_b32 s19, s15
	s_cbranch_execz .LBB57_372
.LBB57_1093:                            ;   in Loop: Header=BB57_3 Depth=1
	ds_load_b64 v[42:43], v72 offset:9408
	ds_load_b64 v[44:45], v57 offset:8336
	s_wait_dscnt 0x0
	v_dual_mul_f32 v3, v45, v43 :: v_dual_mul_f32 v43, v44, v43
	s_delay_alu instid0(VALU_DEP_1) | instskip(NEXT) | instid1(VALU_DEP_1)
	v_fmac_f32_e32 v43, v45, v42
	v_dual_fma_f32 v3, v44, v42, -v3 :: v_dual_add_f32 v41, v41, v43
	s_delay_alu instid0(VALU_DEP_1)
	v_add_f32_e32 v40, v40, v3
	s_or_b32 exec_lo, exec_lo, s19
	s_and_saveexec_b32 s19, s16
	s_cbranch_execz .LBB57_373
.LBB57_1094:                            ;   in Loop: Header=BB57_3 Depth=1
	ds_load_b64 v[42:43], v72 offset:9920
	ds_load_b64 v[44:45], v57 offset:8344
	s_wait_dscnt 0x0
	v_dual_mul_f32 v3, v45, v43 :: v_dual_mul_f32 v43, v44, v43
	s_delay_alu instid0(VALU_DEP_1) | instskip(NEXT) | instid1(VALU_DEP_1)
	v_fmac_f32_e32 v43, v45, v42
	v_dual_fma_f32 v3, v44, v42, -v3 :: v_dual_add_f32 v41, v41, v43
	s_delay_alu instid0(VALU_DEP_1)
	v_add_f32_e32 v40, v40, v3
	s_or_b32 exec_lo, exec_lo, s19
	s_and_saveexec_b32 s19, s17
	s_cbranch_execz .LBB57_374
.LBB57_1095:                            ;   in Loop: Header=BB57_3 Depth=1
	ds_load_b64 v[42:43], v71 offset:10432
	ds_load_b64 v[44:45], v57 offset:8352
	s_wait_dscnt 0x0
	v_dual_mul_f32 v3, v45, v43 :: v_dual_mul_f32 v43, v44, v43
	s_delay_alu instid0(VALU_DEP_1) | instskip(NEXT) | instid1(VALU_DEP_1)
	v_fmac_f32_e32 v43, v45, v42
	v_dual_fma_f32 v3, v44, v42, -v3 :: v_dual_add_f32 v41, v41, v43
	s_delay_alu instid0(VALU_DEP_1)
	v_add_f32_e32 v40, v40, v3
	s_or_b32 exec_lo, exec_lo, s19
	s_and_saveexec_b32 s19, s18
	s_cbranch_execz .LBB57_375
.LBB57_1096:                            ;   in Loop: Header=BB57_3 Depth=1
	ds_load_b64 v[42:43], v72 offset:10944
	ds_load_b64 v[44:45], v57 offset:8360
	s_wait_dscnt 0x0
	v_dual_mul_f32 v3, v45, v43 :: v_dual_mul_f32 v99, v44, v43
	s_delay_alu instid0(VALU_DEP_1) | instskip(NEXT) | instid1(VALU_DEP_2)
	v_fma_f32 v98, v44, v42, -v3
	v_fmac_f32_e32 v99, v45, v42
	s_delay_alu instid0(VALU_DEP_1)
	v_pk_add_f32 v[40:41], v[40:41], v[98:99]
	s_or_b32 exec_lo, exec_lo, s19
	s_and_saveexec_b32 s19, s2
	s_cbranch_execz .LBB57_376
.LBB57_1097:                            ;   in Loop: Header=BB57_3 Depth=1
	ds_load_b64 v[42:43], v71 offset:11456
	ds_load_b64 v[44:45], v57 offset:8368
	s_wait_dscnt 0x0
	v_pk_mul_f32 v[98:99], v[44:45], v[42:43] op_sel:[1,1] op_sel_hi:[0,1]
	s_delay_alu instid0(VALU_DEP_1) | instskip(SKIP_1) | instid1(VALU_DEP_2)
	v_pk_fma_f32 v[100:101], v[44:45], v[42:43], v[98:99] op_sel_hi:[1,0,1]
	v_pk_fma_f32 v[42:43], v[44:45], v[42:43], v[98:99] neg_lo:[0,0,1] neg_hi:[0,0,1]
	v_mov_b32_e32 v43, v101
	s_delay_alu instid0(VALU_DEP_1)
	v_pk_add_f32 v[40:41], v[40:41], v[42:43]
	s_or_b32 exec_lo, exec_lo, s19
	s_and_saveexec_b32 s19, s13
	s_cbranch_execnz .LBB57_377
	s_branch .LBB57_378
.LBB57_1098:                            ;   in Loop: Header=BB57_3 Depth=1
	ds_load_b64 v[42:43], v68 offset:13024
	ds_load_b64 v[44:45], v55 offset:12488
	s_wait_dscnt 0x0
	v_dual_mul_f32 v3, v45, v43 :: v_dual_mul_f32 v43, v44, v43
	s_delay_alu instid0(VALU_DEP_1) | instskip(NEXT) | instid1(VALU_DEP_1)
	v_fmac_f32_e32 v43, v45, v42
	v_dual_fma_f32 v3, v44, v42, -v3 :: v_dual_add_f32 v41, v41, v43
	s_delay_alu instid0(VALU_DEP_1)
	v_add_f32_e32 v40, v40, v3
	s_or_b32 exec_lo, exec_lo, s19
	s_and_saveexec_b32 s19, s13
	s_cbranch_execz .LBB57_434
.LBB57_1099:                            ;   in Loop: Header=BB57_3 Depth=1
	ds_load_b64 v[42:43], v67 offset:13536
	ds_load_b64 v[44:45], v55 offset:12496
	s_wait_dscnt 0x0
	v_dual_mul_f32 v3, v45, v43 :: v_dual_mul_f32 v43, v44, v43
	s_delay_alu instid0(VALU_DEP_1) | instskip(NEXT) | instid1(VALU_DEP_1)
	v_fmac_f32_e32 v43, v45, v42
	v_dual_fma_f32 v3, v44, v42, -v3 :: v_dual_add_f32 v41, v41, v43
	s_delay_alu instid0(VALU_DEP_1)
	v_add_f32_e32 v40, v40, v3
	s_or_b32 exec_lo, exec_lo, s19
	s_and_saveexec_b32 s19, s0
	s_cbranch_execnz .LBB57_435
	s_branch .LBB57_436
.LBB57_1100:                            ;   in Loop: Header=BB57_3 Depth=1
	ds_load_b64 v[44:45], v42 offset:15104
	ds_load_b64 v[98:99], v3 offset:232
	s_wait_dscnt 0x0
	v_pk_mul_f32 v[100:101], v[98:99], v[44:45] op_sel:[1,1] op_sel_hi:[0,1]
	s_delay_alu instid0(VALU_DEP_1) | instskip(SKIP_1) | instid1(VALU_DEP_2)
	v_pk_fma_f32 v[102:103], v[98:99], v[44:45], v[100:101] op_sel_hi:[1,0,1]
	v_pk_fma_f32 v[44:45], v[98:99], v[44:45], v[100:101] neg_lo:[0,0,1] neg_hi:[0,0,1]
	v_mov_b32_e32 v45, v103
	s_delay_alu instid0(VALU_DEP_1)
	v_pk_add_f32 v[40:41], v[40:41], v[44:45]
	s_or_b32 exec_lo, exec_lo, s19
	s_and_saveexec_b32 s19, s3
	s_cbranch_execz .LBB57_532
.LBB57_1101:                            ;   in Loop: Header=BB57_3 Depth=1
	ds_load_b64 v[42:43], v42 offset:15616
	ds_load_b64 v[44:45], v3 offset:240
	s_wait_dscnt 0x0
	v_pk_mul_f32 v[98:99], v[44:45], v[42:43] op_sel:[1,1] op_sel_hi:[0,1]
	s_delay_alu instid0(VALU_DEP_1) | instskip(SKIP_1) | instid1(VALU_DEP_2)
	v_pk_fma_f32 v[100:101], v[44:45], v[42:43], v[98:99] op_sel_hi:[1,0,1]
	v_pk_fma_f32 v[42:43], v[44:45], v[42:43], v[98:99] neg_lo:[0,0,1] neg_hi:[0,0,1]
	v_mov_b32_e32 v43, v101
	s_delay_alu instid0(VALU_DEP_1)
	v_pk_add_f32 v[40:41], v[40:41], v[42:43]
	s_or_b32 exec_lo, exec_lo, s19
	s_and_saveexec_b32 s19, s17
	s_cbranch_execnz .LBB57_533
	s_branch .LBB57_534
.LBB57_1102:                            ;   in Loop: Header=BB57_3 Depth=1
	ds_load_b64 v[42:43], v68 offset:17184
	ds_load_b64 v[44:45], v55 offset:16648
	s_wait_dscnt 0x0
	v_dual_mul_f32 v3, v45, v43 :: v_dual_mul_f32 v43, v44, v43
	s_delay_alu instid0(VALU_DEP_1) | instskip(NEXT) | instid1(VALU_DEP_1)
	v_fmac_f32_e32 v43, v45, v42
	v_dual_fma_f32 v3, v44, v42, -v3 :: v_dual_add_f32 v41, v41, v43
	s_delay_alu instid0(VALU_DEP_1)
	v_add_f32_e32 v40, v40, v3
	s_or_b32 exec_lo, exec_lo, s19
	s_and_saveexec_b32 s19, s13
	s_cbranch_execz .LBB57_578
.LBB57_1103:                            ;   in Loop: Header=BB57_3 Depth=1
	ds_load_b64 v[42:43], v67 offset:17696
	ds_load_b64 v[44:45], v55 offset:16656
	s_wait_dscnt 0x0
	v_dual_mul_f32 v3, v45, v43 :: v_dual_mul_f32 v43, v44, v43
	s_delay_alu instid0(VALU_DEP_1) | instskip(NEXT) | instid1(VALU_DEP_1)
	v_fmac_f32_e32 v43, v45, v42
	v_dual_fma_f32 v3, v44, v42, -v3 :: v_dual_add_f32 v41, v41, v43
	s_delay_alu instid0(VALU_DEP_1)
	v_add_f32_e32 v40, v40, v3
	s_or_b32 exec_lo, exec_lo, s19
	s_and_saveexec_b32 s19, s0
	s_cbranch_execnz .LBB57_579
	s_branch .LBB57_580
.LBB57_1104:                            ;   in Loop: Header=BB57_3 Depth=1
	ds_load_b64 v[42:43], v72 offset:17216
	ds_load_b64 v[44:45], v57 offset:16648
	s_wait_dscnt 0x0
	v_dual_mul_f32 v3, v45, v43 :: v_dual_mul_f32 v43, v44, v43
	s_delay_alu instid0(VALU_DEP_1) | instskip(NEXT) | instid1(VALU_DEP_1)
	v_fmac_f32_e32 v43, v45, v42
	v_dual_fma_f32 v3, v44, v42, -v3 :: v_dual_add_f32 v41, v41, v43
	s_delay_alu instid0(VALU_DEP_1)
	v_add_f32_e32 v40, v40, v3
	s_or_b32 exec_lo, exec_lo, s19
	s_and_saveexec_b32 s19, s15
	s_cbranch_execz .LBB57_620
.LBB57_1105:                            ;   in Loop: Header=BB57_3 Depth=1
	ds_load_b64 v[42:43], v72 offset:17728
	ds_load_b64 v[44:45], v57 offset:16656
	s_wait_dscnt 0x0
	v_dual_mul_f32 v3, v45, v43 :: v_dual_mul_f32 v43, v44, v43
	s_delay_alu instid0(VALU_DEP_1) | instskip(NEXT) | instid1(VALU_DEP_1)
	v_fmac_f32_e32 v43, v45, v42
	v_dual_fma_f32 v3, v44, v42, -v3 :: v_dual_add_f32 v41, v41, v43
	s_delay_alu instid0(VALU_DEP_1)
	v_add_f32_e32 v40, v40, v3
	s_or_b32 exec_lo, exec_lo, s19
	s_and_saveexec_b32 s19, s16
	s_cbranch_execz .LBB57_621
.LBB57_1106:                            ;   in Loop: Header=BB57_3 Depth=1
	ds_load_b64 v[42:43], v72 offset:18240
	ds_load_b64 v[44:45], v57 offset:16664
	s_wait_dscnt 0x0
	v_dual_mul_f32 v3, v45, v43 :: v_dual_mul_f32 v43, v44, v43
	s_delay_alu instid0(VALU_DEP_1) | instskip(NEXT) | instid1(VALU_DEP_1)
	v_fmac_f32_e32 v43, v45, v42
	v_dual_fma_f32 v3, v44, v42, -v3 :: v_dual_add_f32 v41, v41, v43
	s_delay_alu instid0(VALU_DEP_1)
	v_add_f32_e32 v40, v40, v3
	s_or_b32 exec_lo, exec_lo, s19
	s_and_saveexec_b32 s19, s17
	s_cbranch_execz .LBB57_622
.LBB57_1107:                            ;   in Loop: Header=BB57_3 Depth=1
	ds_load_b64 v[42:43], v71 offset:18752
	ds_load_b64 v[44:45], v57 offset:16672
	s_wait_dscnt 0x0
	v_dual_mul_f32 v3, v45, v43 :: v_dual_mul_f32 v43, v44, v43
	s_delay_alu instid0(VALU_DEP_1) | instskip(NEXT) | instid1(VALU_DEP_1)
	v_fmac_f32_e32 v43, v45, v42
	v_dual_fma_f32 v3, v44, v42, -v3 :: v_dual_add_f32 v41, v41, v43
	s_delay_alu instid0(VALU_DEP_1)
	v_add_f32_e32 v40, v40, v3
	s_or_b32 exec_lo, exec_lo, s19
	s_and_saveexec_b32 s19, s18
	s_cbranch_execz .LBB57_623
.LBB57_1108:                            ;   in Loop: Header=BB57_3 Depth=1
	ds_load_b64 v[42:43], v72 offset:19264
	ds_load_b64 v[44:45], v57 offset:16680
	s_wait_dscnt 0x0
	v_dual_mul_f32 v3, v45, v43 :: v_dual_mul_f32 v99, v44, v43
	s_delay_alu instid0(VALU_DEP_1) | instskip(NEXT) | instid1(VALU_DEP_2)
	v_fma_f32 v98, v44, v42, -v3
	v_fmac_f32_e32 v99, v45, v42
	s_delay_alu instid0(VALU_DEP_1)
	v_pk_add_f32 v[40:41], v[40:41], v[98:99]
	s_or_b32 exec_lo, exec_lo, s19
	s_and_saveexec_b32 s19, s2
	s_cbranch_execz .LBB57_624
.LBB57_1109:                            ;   in Loop: Header=BB57_3 Depth=1
	ds_load_b64 v[42:43], v71 offset:19776
	ds_load_b64 v[44:45], v57 offset:16688
	s_wait_dscnt 0x0
	v_pk_mul_f32 v[98:99], v[44:45], v[42:43] op_sel:[1,1] op_sel_hi:[0,1]
	s_delay_alu instid0(VALU_DEP_1) | instskip(SKIP_1) | instid1(VALU_DEP_2)
	v_pk_fma_f32 v[100:101], v[44:45], v[42:43], v[98:99] op_sel_hi:[1,0,1]
	v_pk_fma_f32 v[42:43], v[44:45], v[42:43], v[98:99] neg_lo:[0,0,1] neg_hi:[0,0,1]
	v_mov_b32_e32 v43, v101
	s_delay_alu instid0(VALU_DEP_1)
	v_pk_add_f32 v[40:41], v[40:41], v[42:43]
	s_or_b32 exec_lo, exec_lo, s19
	s_and_saveexec_b32 s19, s13
	s_cbranch_execnz .LBB57_625
	s_branch .LBB57_626
.LBB57_1110:                            ;   in Loop: Header=BB57_3 Depth=1
	ds_load_b64 v[42:43], v68 offset:21344
	ds_load_b64 v[44:45], v55 offset:20808
	s_wait_dscnt 0x0
	v_dual_mul_f32 v3, v45, v43 :: v_dual_mul_f32 v43, v44, v43
	s_delay_alu instid0(VALU_DEP_1) | instskip(NEXT) | instid1(VALU_DEP_1)
	v_fmac_f32_e32 v43, v45, v42
	v_dual_fma_f32 v3, v44, v42, -v3 :: v_dual_add_f32 v41, v41, v43
	s_delay_alu instid0(VALU_DEP_1)
	v_add_f32_e32 v40, v40, v3
	s_or_b32 exec_lo, exec_lo, s19
	s_and_saveexec_b32 s19, s13
	s_cbranch_execz .LBB57_682
.LBB57_1111:                            ;   in Loop: Header=BB57_3 Depth=1
	ds_load_b64 v[42:43], v67 offset:21856
	ds_load_b64 v[44:45], v55 offset:20816
	s_wait_dscnt 0x0
	v_dual_mul_f32 v3, v45, v43 :: v_dual_mul_f32 v43, v44, v43
	s_delay_alu instid0(VALU_DEP_1) | instskip(NEXT) | instid1(VALU_DEP_1)
	v_fmac_f32_e32 v43, v45, v42
	v_dual_fma_f32 v3, v44, v42, -v3 :: v_dual_add_f32 v41, v41, v43
	s_delay_alu instid0(VALU_DEP_1)
	v_add_f32_e32 v40, v40, v3
	s_or_b32 exec_lo, exec_lo, s19
	s_and_saveexec_b32 s19, s0
	s_cbranch_execnz .LBB57_683
	s_branch .LBB57_684
.LBB57_1112:                            ;   in Loop: Header=BB57_3 Depth=1
	ds_load_b64 v[42:43], v75 offset:22400
	ds_load_b64 v[44:45], v59 offset:16728
	s_wait_dscnt 0x0
	v_dual_mul_f32 v3, v45, v43 :: v_dual_mul_f32 v43, v44, v43
	s_delay_alu instid0(VALU_DEP_1) | instskip(NEXT) | instid1(VALU_DEP_1)
	v_fmac_f32_e32 v43, v45, v42
	v_dual_fma_f32 v3, v44, v42, -v3 :: v_dual_add_f32 v41, v41, v43
	s_delay_alu instid0(VALU_DEP_1)
	v_add_f32_e32 v40, v40, v3
	s_or_b32 exec_lo, exec_lo, s19
	s_and_saveexec_b32 s19, s3
	s_cbranch_execz .LBB57_744
.LBB57_1113:                            ;   in Loop: Header=BB57_3 Depth=1
	ds_load_b64 v[42:43], v74 offset:22912
	ds_load_b64 v[44:45], v59 offset:16736
	s_wait_dscnt 0x0
	v_dual_mul_f32 v3, v45, v43 :: v_dual_mul_f32 v43, v44, v43
	s_delay_alu instid0(VALU_DEP_1) | instskip(NEXT) | instid1(VALU_DEP_1)
	v_fmac_f32_e32 v43, v45, v42
	v_dual_fma_f32 v3, v44, v42, -v3 :: v_dual_add_f32 v41, v41, v43
	s_delay_alu instid0(VALU_DEP_1)
	v_add_f32_e32 v40, v40, v3
	s_or_b32 exec_lo, exec_lo, s19
	s_and_saveexec_b32 s19, s15
	s_cbranch_execz .LBB57_745
.LBB57_1114:                            ;   in Loop: Header=BB57_3 Depth=1
	ds_load_b64 v[42:43], v75 offset:23424
	ds_load_b64 v[44:45], v59 offset:16744
	s_wait_dscnt 0x0
	v_dual_mul_f32 v3, v45, v43 :: v_dual_mul_f32 v43, v44, v43
	s_delay_alu instid0(VALU_DEP_1) | instskip(NEXT) | instid1(VALU_DEP_1)
	v_fmac_f32_e32 v43, v45, v42
	v_dual_fma_f32 v3, v44, v42, -v3 :: v_dual_add_f32 v41, v41, v43
	s_delay_alu instid0(VALU_DEP_1)
	v_add_f32_e32 v40, v40, v3
	s_or_b32 exec_lo, exec_lo, s19
	s_and_saveexec_b32 s19, s17
	s_cbranch_execz .LBB57_746
.LBB57_1115:                            ;   in Loop: Header=BB57_3 Depth=1
	ds_load_b64 v[42:43], v74 offset:23936
	ds_load_b64 v[44:45], v59 offset:16752
	s_wait_dscnt 0x0
	v_dual_mul_f32 v3, v45, v43 :: v_dual_mul_f32 v43, v44, v43
	s_delay_alu instid0(VALU_DEP_1) | instskip(NEXT) | instid1(VALU_DEP_1)
	v_fmac_f32_e32 v43, v45, v42
	v_dual_fma_f32 v3, v44, v42, -v3 :: v_dual_add_f32 v41, v41, v43
	s_delay_alu instid0(VALU_DEP_1)
	v_add_f32_e32 v40, v40, v3
	s_or_b32 exec_lo, exec_lo, s19
	s_and_saveexec_b32 s19, s2
	s_cbranch_execnz .LBB57_747
	s_branch .LBB57_748
.LBB57_1116:                            ;   in Loop: Header=BB57_3 Depth=1
	ds_load_b64 v[42:43], v68 offset:25504
	ds_load_b64 v[44:45], v55 offset:24968
	s_wait_dscnt 0x0
	v_dual_mul_f32 v3, v45, v43 :: v_dual_mul_f32 v43, v44, v43
	s_delay_alu instid0(VALU_DEP_1) | instskip(NEXT) | instid1(VALU_DEP_1)
	v_fmac_f32_e32 v43, v45, v42
	v_dual_fma_f32 v3, v44, v42, -v3 :: v_dual_add_f32 v41, v41, v43
	s_delay_alu instid0(VALU_DEP_1)
	v_add_f32_e32 v40, v40, v3
	s_or_b32 exec_lo, exec_lo, s19
	s_and_saveexec_b32 s19, s13
	s_cbranch_execz .LBB57_836
.LBB57_1117:                            ;   in Loop: Header=BB57_3 Depth=1
	ds_load_b64 v[42:43], v67 offset:26016
	ds_load_b64 v[44:45], v55 offset:24976
	s_wait_dscnt 0x0
	v_dual_mul_f32 v3, v45, v43 :: v_dual_mul_f32 v43, v44, v43
	s_delay_alu instid0(VALU_DEP_1) | instskip(NEXT) | instid1(VALU_DEP_1)
	v_fmac_f32_e32 v43, v45, v42
	v_dual_fma_f32 v3, v44, v42, -v3 :: v_dual_add_f32 v41, v41, v43
	s_delay_alu instid0(VALU_DEP_1)
	v_add_f32_e32 v40, v40, v3
	s_or_b32 exec_lo, exec_lo, s19
	s_and_saveexec_b32 s19, s0
	s_cbranch_execnz .LBB57_837
	s_branch .LBB57_838
.LBB57_1118:                            ;   in Loop: Header=BB57_3 Depth=1
	ds_load_b64 v[42:43], v72 offset:25536
	ds_load_b64 v[44:45], v57 offset:24968
	s_wait_dscnt 0x0
	v_dual_mul_f32 v3, v45, v43 :: v_dual_mul_f32 v43, v44, v43
	s_delay_alu instid0(VALU_DEP_1) | instskip(NEXT) | instid1(VALU_DEP_1)
	v_fmac_f32_e32 v43, v45, v42
	v_dual_fma_f32 v3, v44, v42, -v3 :: v_dual_add_f32 v41, v41, v43
	s_delay_alu instid0(VALU_DEP_1)
	v_add_f32_e32 v40, v40, v3
	s_or_b32 exec_lo, exec_lo, s19
	s_and_saveexec_b32 s19, s15
	s_cbranch_execz .LBB57_878
.LBB57_1119:                            ;   in Loop: Header=BB57_3 Depth=1
	ds_load_b64 v[42:43], v72 offset:26048
	ds_load_b64 v[44:45], v57 offset:24976
	s_wait_dscnt 0x0
	v_dual_mul_f32 v3, v45, v43 :: v_dual_mul_f32 v43, v44, v43
	s_delay_alu instid0(VALU_DEP_1) | instskip(NEXT) | instid1(VALU_DEP_1)
	v_fmac_f32_e32 v43, v45, v42
	v_dual_fma_f32 v3, v44, v42, -v3 :: v_dual_add_f32 v41, v41, v43
	s_delay_alu instid0(VALU_DEP_1)
	v_add_f32_e32 v40, v40, v3
	s_or_b32 exec_lo, exec_lo, s19
	s_and_saveexec_b32 s19, s16
	s_cbranch_execz .LBB57_879
.LBB57_1120:                            ;   in Loop: Header=BB57_3 Depth=1
	ds_load_b64 v[42:43], v72 offset:26560
	ds_load_b64 v[44:45], v57 offset:24984
	s_wait_dscnt 0x0
	v_dual_mul_f32 v3, v45, v43 :: v_dual_mul_f32 v43, v44, v43
	s_delay_alu instid0(VALU_DEP_1) | instskip(NEXT) | instid1(VALU_DEP_1)
	v_fmac_f32_e32 v43, v45, v42
	v_dual_fma_f32 v3, v44, v42, -v3 :: v_dual_add_f32 v41, v41, v43
	s_delay_alu instid0(VALU_DEP_1)
	v_add_f32_e32 v40, v40, v3
	s_or_b32 exec_lo, exec_lo, s19
	s_and_saveexec_b32 s19, s17
	s_cbranch_execz .LBB57_880
.LBB57_1121:                            ;   in Loop: Header=BB57_3 Depth=1
	ds_load_b64 v[42:43], v71 offset:27072
	ds_load_b64 v[44:45], v57 offset:24992
	s_wait_dscnt 0x0
	v_dual_mul_f32 v3, v45, v43 :: v_dual_mul_f32 v43, v44, v43
	s_delay_alu instid0(VALU_DEP_1) | instskip(NEXT) | instid1(VALU_DEP_1)
	v_fmac_f32_e32 v43, v45, v42
	v_dual_fma_f32 v3, v44, v42, -v3 :: v_dual_add_f32 v41, v41, v43
	s_delay_alu instid0(VALU_DEP_1)
	v_add_f32_e32 v40, v40, v3
	s_or_b32 exec_lo, exec_lo, s19
	s_and_saveexec_b32 s19, s18
	s_cbranch_execz .LBB57_881
.LBB57_1122:                            ;   in Loop: Header=BB57_3 Depth=1
	ds_load_b64 v[42:43], v72 offset:27584
	ds_load_b64 v[44:45], v57 offset:25000
	s_wait_dscnt 0x0
	v_dual_mul_f32 v3, v45, v43 :: v_dual_mul_f32 v99, v44, v43
	s_delay_alu instid0(VALU_DEP_1) | instskip(NEXT) | instid1(VALU_DEP_2)
	v_fma_f32 v98, v44, v42, -v3
	v_fmac_f32_e32 v99, v45, v42
	s_delay_alu instid0(VALU_DEP_1)
	v_pk_add_f32 v[40:41], v[40:41], v[98:99]
	s_or_b32 exec_lo, exec_lo, s19
	s_and_saveexec_b32 s19, s2
	s_cbranch_execz .LBB57_882
.LBB57_1123:                            ;   in Loop: Header=BB57_3 Depth=1
	ds_load_b64 v[42:43], v71 offset:28096
	ds_load_b64 v[44:45], v57 offset:25008
	s_wait_dscnt 0x0
	v_pk_mul_f32 v[98:99], v[44:45], v[42:43] op_sel:[1,1] op_sel_hi:[0,1]
	s_delay_alu instid0(VALU_DEP_1) | instskip(SKIP_1) | instid1(VALU_DEP_2)
	v_pk_fma_f32 v[100:101], v[44:45], v[42:43], v[98:99] op_sel_hi:[1,0,1]
	v_pk_fma_f32 v[42:43], v[44:45], v[42:43], v[98:99] neg_lo:[0,0,1] neg_hi:[0,0,1]
	v_mov_b32_e32 v43, v101
	s_delay_alu instid0(VALU_DEP_1)
	v_pk_add_f32 v[40:41], v[40:41], v[42:43]
	s_or_b32 exec_lo, exec_lo, s19
	s_and_saveexec_b32 s19, s13
	s_cbranch_execnz .LBB57_883
	s_branch .LBB57_884
.LBB57_1124:                            ;   in Loop: Header=BB57_3 Depth=1
	ds_load_b64 v[42:43], v68 offset:29664
	ds_load_b64 v[44:45], v55 offset:29128
	s_wait_dscnt 0x0
	v_dual_mul_f32 v3, v45, v43 :: v_dual_mul_f32 v43, v44, v43
	s_delay_alu instid0(VALU_DEP_1) | instskip(NEXT) | instid1(VALU_DEP_1)
	v_fmac_f32_e32 v43, v45, v42
	v_dual_fma_f32 v3, v44, v42, -v3 :: v_dual_add_f32 v41, v41, v43
	s_delay_alu instid0(VALU_DEP_1)
	v_add_f32_e32 v40, v40, v3
	s_or_b32 exec_lo, exec_lo, s19
	s_and_saveexec_b32 s19, s13
	s_cbranch_execz .LBB57_940
.LBB57_1125:                            ;   in Loop: Header=BB57_3 Depth=1
	ds_load_b64 v[42:43], v67 offset:30176
	ds_load_b64 v[44:45], v55 offset:29136
	s_wait_dscnt 0x0
	v_dual_mul_f32 v3, v45, v43 :: v_dual_mul_f32 v43, v44, v43
	s_delay_alu instid0(VALU_DEP_1) | instskip(NEXT) | instid1(VALU_DEP_1)
	v_fmac_f32_e32 v43, v45, v42
	v_dual_fma_f32 v3, v44, v42, -v3 :: v_dual_add_f32 v41, v41, v43
	s_delay_alu instid0(VALU_DEP_1)
	v_add_f32_e32 v40, v40, v3
	s_or_b32 exec_lo, exec_lo, s19
	s_and_saveexec_b32 s19, s0
	s_cbranch_execnz .LBB57_941
	s_branch .LBB57_942
.LBB57_1126:
	s_endpgm
	.section	.rodata,"a",@progbits
	.p2align	6, 0x0
	.amdhsa_kernel _ZL19rocblas_trsv_deviceILi64ELi16ELb1ELb1ELb1ELb1E19rocblas_complex_numIfEPKS1_S3_PS1_EviT7_lllT6_T8_lllPii
		.amdhsa_group_segment_fixed_size 41480
		.amdhsa_private_segment_fixed_size 0
		.amdhsa_kernarg_size 352
		.amdhsa_user_sgpr_count 2
		.amdhsa_user_sgpr_dispatch_ptr 0
		.amdhsa_user_sgpr_queue_ptr 0
		.amdhsa_user_sgpr_kernarg_segment_ptr 1
		.amdhsa_user_sgpr_dispatch_id 0
		.amdhsa_user_sgpr_kernarg_preload_length 0
		.amdhsa_user_sgpr_kernarg_preload_offset 0
		.amdhsa_user_sgpr_private_segment_size 0
		.amdhsa_wavefront_size32 1
		.amdhsa_uses_dynamic_stack 0
		.amdhsa_enable_private_segment 0
		.amdhsa_system_sgpr_workgroup_id_x 1
		.amdhsa_system_sgpr_workgroup_id_y 0
		.amdhsa_system_sgpr_workgroup_id_z 1
		.amdhsa_system_sgpr_workgroup_info 0
		.amdhsa_system_vgpr_workitem_id 1
		.amdhsa_next_free_vgpr 107
		.amdhsa_next_free_sgpr 105
		.amdhsa_named_barrier_count 0
		.amdhsa_reserve_vcc 1
		.amdhsa_float_round_mode_32 0
		.amdhsa_float_round_mode_16_64 0
		.amdhsa_float_denorm_mode_32 3
		.amdhsa_float_denorm_mode_16_64 3
		.amdhsa_fp16_overflow 0
		.amdhsa_memory_ordered 1
		.amdhsa_forward_progress 1
		.amdhsa_inst_pref_size 255
		.amdhsa_round_robin_scheduling 0
		.amdhsa_exception_fp_ieee_invalid_op 0
		.amdhsa_exception_fp_denorm_src 0
		.amdhsa_exception_fp_ieee_div_zero 0
		.amdhsa_exception_fp_ieee_overflow 0
		.amdhsa_exception_fp_ieee_underflow 0
		.amdhsa_exception_fp_ieee_inexact 0
		.amdhsa_exception_int_div_zero 0
	.end_amdhsa_kernel
	.section	.text._ZL19rocblas_trsv_deviceILi64ELi16ELb1ELb1ELb1ELb1E19rocblas_complex_numIfEPKS1_S3_PS1_EviT7_lllT6_T8_lllPii,"axG",@progbits,_ZL19rocblas_trsv_deviceILi64ELi16ELb1ELb1ELb1ELb1E19rocblas_complex_numIfEPKS1_S3_PS1_EviT7_lllT6_T8_lllPii,comdat
.Lfunc_end57:
	.size	_ZL19rocblas_trsv_deviceILi64ELi16ELb1ELb1ELb1ELb1E19rocblas_complex_numIfEPKS1_S3_PS1_EviT7_lllT6_T8_lllPii, .Lfunc_end57-_ZL19rocblas_trsv_deviceILi64ELi16ELb1ELb1ELb1ELb1E19rocblas_complex_numIfEPKS1_S3_PS1_EviT7_lllT6_T8_lllPii
                                        ; -- End function
	.set _ZL19rocblas_trsv_deviceILi64ELi16ELb1ELb1ELb1ELb1E19rocblas_complex_numIfEPKS1_S3_PS1_EviT7_lllT6_T8_lllPii.num_vgpr, 107
	.set _ZL19rocblas_trsv_deviceILi64ELi16ELb1ELb1ELb1ELb1E19rocblas_complex_numIfEPKS1_S3_PS1_EviT7_lllT6_T8_lllPii.num_agpr, 0
	.set _ZL19rocblas_trsv_deviceILi64ELi16ELb1ELb1ELb1ELb1E19rocblas_complex_numIfEPKS1_S3_PS1_EviT7_lllT6_T8_lllPii.numbered_sgpr, 105
	.set _ZL19rocblas_trsv_deviceILi64ELi16ELb1ELb1ELb1ELb1E19rocblas_complex_numIfEPKS1_S3_PS1_EviT7_lllT6_T8_lllPii.num_named_barrier, 0
	.set _ZL19rocblas_trsv_deviceILi64ELi16ELb1ELb1ELb1ELb1E19rocblas_complex_numIfEPKS1_S3_PS1_EviT7_lllT6_T8_lllPii.private_seg_size, 0
	.set _ZL19rocblas_trsv_deviceILi64ELi16ELb1ELb1ELb1ELb1E19rocblas_complex_numIfEPKS1_S3_PS1_EviT7_lllT6_T8_lllPii.uses_vcc, 1
	.set _ZL19rocblas_trsv_deviceILi64ELi16ELb1ELb1ELb1ELb1E19rocblas_complex_numIfEPKS1_S3_PS1_EviT7_lllT6_T8_lllPii.uses_flat_scratch, 0
	.set _ZL19rocblas_trsv_deviceILi64ELi16ELb1ELb1ELb1ELb1E19rocblas_complex_numIfEPKS1_S3_PS1_EviT7_lllT6_T8_lllPii.has_dyn_sized_stack, 0
	.set _ZL19rocblas_trsv_deviceILi64ELi16ELb1ELb1ELb1ELb1E19rocblas_complex_numIfEPKS1_S3_PS1_EviT7_lllT6_T8_lllPii.has_recursion, 0
	.set _ZL19rocblas_trsv_deviceILi64ELi16ELb1ELb1ELb1ELb1E19rocblas_complex_numIfEPKS1_S3_PS1_EviT7_lllT6_T8_lllPii.has_indirect_call, 0
	.section	.AMDGPU.csdata,"",@progbits
; Kernel info:
; codeLenInByte = 41616
; TotalNumSgprs: 107
; NumVgprs: 107
; ScratchSize: 0
; MemoryBound: 0
; FloatMode: 240
; IeeeMode: 1
; LDSByteSize: 41480 bytes/workgroup (compile time only)
; SGPRBlocks: 0
; VGPRBlocks: 6
; NumSGPRsForWavesPerEU: 107
; NumVGPRsForWavesPerEU: 107
; NamedBarCnt: 0
; Occupancy: 9
; WaveLimiterHint : 0
; COMPUTE_PGM_RSRC2:SCRATCH_EN: 0
; COMPUTE_PGM_RSRC2:USER_SGPR: 2
; COMPUTE_PGM_RSRC2:TRAP_HANDLER: 0
; COMPUTE_PGM_RSRC2:TGID_X_EN: 1
; COMPUTE_PGM_RSRC2:TGID_Y_EN: 0
; COMPUTE_PGM_RSRC2:TGID_Z_EN: 1
; COMPUTE_PGM_RSRC2:TIDIG_COMP_CNT: 1
	.section	.text._ZL19rocblas_trsv_deviceILi64ELi16ELb1ELb0ELb0ELb0E19rocblas_complex_numIfEPKS1_S3_PS1_EviT7_lllT6_T8_lllPii,"axG",@progbits,_ZL19rocblas_trsv_deviceILi64ELi16ELb1ELb0ELb0ELb0E19rocblas_complex_numIfEPKS1_S3_PS1_EviT7_lllT6_T8_lllPii,comdat
	.globl	_ZL19rocblas_trsv_deviceILi64ELi16ELb1ELb0ELb0ELb0E19rocblas_complex_numIfEPKS1_S3_PS1_EviT7_lllT6_T8_lllPii ; -- Begin function _ZL19rocblas_trsv_deviceILi64ELi16ELb1ELb0ELb0ELb0E19rocblas_complex_numIfEPKS1_S3_PS1_EviT7_lllT6_T8_lllPii
	.p2align	8
	.type	_ZL19rocblas_trsv_deviceILi64ELi16ELb1ELb0ELb0ELb0E19rocblas_complex_numIfEPKS1_S3_PS1_EviT7_lllT6_T8_lllPii,@function
_ZL19rocblas_trsv_deviceILi64ELi16ELb1ELb0ELb0ELb0E19rocblas_complex_numIfEPKS1_S3_PS1_EviT7_lllT6_T8_lllPii: ; @_ZL19rocblas_trsv_deviceILi64ELi16ELb1ELb0ELb0ELb0E19rocblas_complex_numIfEPKS1_S3_PS1_EviT7_lllT6_T8_lllPii
; %bb.0:
	s_load_b32 s100, s[0:1], 0x58
	s_bfe_u32 s2, ttmp6, 0x40014
	s_lshr_b32 s3, ttmp7, 16
	s_add_co_i32 s2, s2, 1
	s_bfe_u32 s5, ttmp6, 0x40008
	s_mul_i32 s4, s3, s2
	s_getreg_b32 s2, hwreg(HW_REG_IB_STS2, 6, 4)
	s_add_co_i32 s5, s5, s4
	s_cmp_eq_u32 s2, 0
	s_mov_b32 s89, 0
	s_cselect_b32 s88, s3, s5
	s_wait_kmcnt 0x0
	s_cmp_ge_u32 s88, s100
	s_cbranch_scc1 .LBB58_1098
; %bb.1:
	s_clause 0x2
	s_load_b512 s[68:83], s[0:1], 0x8
	s_load_b32 s3, s[0:1], 0x6c
	s_load_b32 s101, s[0:1], 0x0
	s_bfe_u32 s5, ttmp6, 0x4000c
	s_and_b32 s4, ttmp6, 15
	s_add_co_i32 s5, s5, 1
	s_load_b128 s[84:87], s[0:1], 0x48
	s_wait_xcnt 0x0
	s_mul_i32 s0, ttmp9, s5
                                        ; implicit-def: $vgpr90 : SGPR spill to VGPR lane
	v_bfe_u32 v42, v0, 10, 10
	s_add_co_i32 s6, s4, s0
	v_mov_b32_e32 v1, 0
	v_and_b32_e32 v2, 0x3ff, v0
                                        ; implicit-def: $vgpr89 : SGPR spill to VGPR lane
                                        ; implicit-def: $vgpr88 : SGPR spill to VGPR lane
	v_mov_b64_e32 v[32:33], 0
	v_dual_lshlrev_b32 v12, 6, v42 :: v_dual_add_nc_u32 v37, 32, v42
	s_delay_alu instid0(VALU_DEP_4) | instskip(SKIP_2) | instid1(VALU_DEP_4)
	v_dual_mov_b32 v5, v1 :: v_dual_add_nc_u32 v38, 48, v42
	v_mov_b32_e32 v3, v1
	v_lshl_add_u32 v68, v42, 3, 0xa000
	v_or_b32_e32 v41, v37, v2
	s_wait_kmcnt 0x0
	s_lshl_b64 s[0:1], s[70:71], 3
	s_lshl_b64 s[4:5], s[80:81], 3
	s_cmp_eq_u32 s2, 0
	s_add_nc_u64 s[0:1], s[68:69], s[0:1]
	s_cselect_b32 s102, ttmp9, s6
	s_add_co_i32 s2, s101, -1
	s_and_b32 s6, s3, 0xffff
	s_ashr_i32 s3, s101, 31
	s_ashr_i32 s7, s2, 31
	s_lshr_b32 s3, s3, 26
	s_lshr_b32 s7, s7, 26
	s_add_co_i32 s3, s101, s3
	s_add_co_i32 s2, s2, s7
	s_and_not1_b32 s3, s3, 63
	s_ashr_i32 s2, s2, 6
	s_sub_co_i32 s15, s101, s3
	v_writelane_b32 v90, s0, 0
	s_cmp_eq_u32 s2, s102
	s_add_nc_u64 s[4:5], s[78:79], s[4:5]
	s_cselect_b32 s7, -1, 0
	s_cmp_lg_u32 s15, 0
	v_writelane_b32 v90, s1, 1
	s_cselect_b32 s0, -1, 0
	s_lshl_b32 s10, s102, 6
	s_delay_alu instid0(SALU_CYCLE_1)
	v_dual_add_nc_u32 v6, s10, v2 :: v_dual_bitop2_b32 v13, v12, v2 bitop3:0x14
	v_add_nc_u32_e32 v20, s10, v42
	s_add_nc_u64 s[2:3], s[72:73], 1
	v_writelane_b32 v90, s4, 2
	v_mad_nc_u64_u32 v[18:19], s2, s10, v[2:3]
	v_dual_add_nc_u32 v34, v12, v2 :: v_dual_bitop2_b32 v3, v12, v2 bitop3:0x40
	v_subrev_nc_u32_e32 v10, 64, v20
	v_writelane_b32 v90, s5, 3
	v_sub_co_u32 v43, s1, s102, 1
	s_xor_b32 s1, s1, -1
	v_ashrrev_i32_e32 v11, 31, v10
	s_ashr_i32 s11, s10, 31
	v_writelane_b32 v90, s1, 4
	s_mul_i32 s1, s3, s10
	s_mul_i32 s2, s2, s11
	v_mul_u64_e32 v[8:9], s[72:73], v[10:11]
	v_lshrrev_b16 v11, 1, v13
	v_add3_u32 v19, s2, s1, v19
	v_lshrrev_b32_e32 v13, 10, v0
	s_and_b32 s16, s0, s7
	v_mad_u32_u24 v4, v42, s6, v2
	v_add_nc_u16 v3, v3, v11
	v_dual_ashrrev_i32 v7, 31, v6 :: v_dual_bitop2_b32 v11, 1, v0 bitop3:0x40
	s_xor_b32 s104, s16, -1
	v_bitop3_b32 v35, v0, v13, 0x3ff bitop3:0xa8
	s_delay_alu instid0(VALU_DEP_3) | instskip(NEXT) | instid1(VALU_DEP_3)
	v_and_b32_e32 v12, 0xffff, v3
	v_lshlrev_b32_e32 v14, 3, v11
	v_cmp_eq_u32_e64 s2, 1, v11
	v_dual_lshrrev_b32 v11, 2, v34 :: v_dual_bitop2_b32 v13, 3, v0 bitop3:0x40
	s_delay_alu instid0(VALU_DEP_4) | instskip(NEXT) | instid1(VALU_DEP_4)
	v_lshl_add_u32 v3, v12, 3, 0x8000
	v_lshl_or_b32 v44, v12, 9, v14
	v_mul_u32_u24_e32 v45, 0x208, v12
	s_delay_alu instid0(VALU_DEP_4)
	v_dual_lshlrev_b32 v46, 3, v2 :: v_dual_lshlrev_b32 v12, 3, v11
	v_mul_u32_u24_e32 v47, 0x208, v11
	s_cmp_gt_i32 s102, 4
	v_lshlrev_b32_e32 v49, 3, v13
	s_cselect_b32 s1, -1, 0
	v_add_nc_u32_e32 v48, 0x8000, v12
	s_and_b32 vcc_hi, s1, s104
	v_cmp_gt_u32_e64 s1, 4, v34
	v_sub_nc_u32_e32 v12, v47, v12
	s_xor_b32 s3, s2, -1
	v_cmp_ne_u32_e64 s4, 0, v13
	v_cmp_eq_u32_e64 s5, 1, v13
	s_and_b32 s43, s3, s1
	s_and_b32 s44, s2, s1
	v_cmp_gt_u32_e64 s2, 16, v34
	v_cmp_eq_u32_e64 s3, 0, v13
	v_lshl_or_b32 v50, v11, 9, v49
	v_dual_add_nc_u32 v51, v12, v49 :: v_dual_lshrrev_b32 v11, 3, v34
	s_and_b32 s46, s4, s2
	s_and_b32 s45, s3, s2
	;; [unrolled: 1-line block ×3, first 2 shown]
	v_cmp_lt_u32_e64 s3, 1, v13
	v_cmp_eq_u32_e64 s4, 2, v13
	v_cmp_eq_u32_e64 s5, 3, v13
	v_and_b32_e32 v13, 0x1fff8, v34
	v_mul_u32_u24_e32 v52, 0x208, v11
	v_and_b32_e32 v12, 7, v0
	s_and_b32 s48, s3, s2
	s_and_b32 s49, s4, s2
	v_cmp_gt_u32_e64 s3, 64, v34
	v_sub_nc_u32_e32 v14, v52, v13
	v_cmp_eq_u32_e64 s4, 0, v12
	s_and_b32 s50, s5, s2
	v_cmp_ne_u32_e64 s5, 0, v12
	v_cmp_lt_u32_e64 s6, 1, v12
	v_lshlrev_b32_e32 v53, 3, v12
	s_and_b32 s51, s4, s3
	v_cmp_eq_u32_e64 s4, 1, v12
	v_cmp_eq_u32_e64 s7, 2, v12
	v_cmp_lt_u32_e64 s8, 2, v12
	s_and_b32 s52, s5, s3
	s_and_b32 s54, s6, s3
	;; [unrolled: 1-line block ×3, first 2 shown]
	v_cmp_eq_u32_e64 s4, 3, v12
	v_cmp_lt_u32_e64 s5, 3, v12
	v_cmp_eq_u32_e64 s6, 4, v12
	v_lshl_or_b32 v55, v11, 9, v53
	s_and_b32 s55, s7, s3
	s_and_b32 s56, s8, s3
	v_cmp_lt_u32_e64 s7, 4, v12
	v_cmp_eq_u32_e64 s8, 5, v12
	s_and_b32 s57, s4, s3
	s_and_b32 s58, s5, s3
	;; [unrolled: 1-line block ×3, first 2 shown]
	v_dual_lshrrev_b32 v11, 4, v34 :: v_dual_add_nc_u32 v56, v14, v53
	v_cmp_lt_u32_e64 s4, 5, v12
	v_cmp_eq_u32_e64 s5, 6, v12
	v_cmp_eq_u32_e64 s6, 7, v12
	v_and_b32_e32 v12, 15, v0
	s_and_b32 s60, s7, s3
	s_and_b32 s62, s4, s3
	s_and_b32 s63, s5, s3
	v_cmp_gt_u32_e64 s4, 0x100, v34
	v_cmp_eq_u32_e64 s5, 0, v12
	s_and_b32 s64, s6, s3
	v_cmp_ne_u32_e64 s6, 0, v12
	v_cmp_eq_u32_e64 s7, 1, v12
	s_and_b32 s61, s8, s3
	s_and_b32 s5, s5, s4
	v_cmp_eq_u32_e64 s8, 2, v12
	v_writelane_b32 v90, s5, 5
	s_and_b32 s6, s6, s4
	v_cmp_lt_u32_e64 s5, 1, v12
	v_cmp_le_i32_e64 s14, s15, v2
	s_and_b32 s69, s8, s4
	v_writelane_b32 v90, s6, 6
	s_and_b32 s6, s7, s4
	s_and_b32 s5, s5, s4
	v_cmp_lt_u32_e64 s7, 3, v12
	v_cmp_lt_u32_e64 s8, 4, v12
	v_writelane_b32 v90, s6, 7
	v_cmp_lt_u32_e64 s6, 2, v12
	v_add_nc_u32_e32 v54, 0x8000, v13
	s_and_b32 s23, s7, s4
	s_and_b32 s27, s8, s4
	v_writelane_b32 v90, s5, 8
	v_cmp_eq_u32_e64 s5, 3, v12
	s_and_b32 s12, s6, s4
	v_cmp_eq_u32_e64 s6, 4, v12
	v_cmp_eq_u32_e64 s7, 6, v12
	v_cmp_eq_u32_e64 s8, 7, v12
	s_and_b32 s13, s5, s4
	v_cmp_eq_u32_e64 s5, 5, v12
	s_and_b32 s25, s6, s4
	v_cmp_lt_u32_e64 s6, 5, v12
	s_and_b32 s34, s7, s4
	s_and_b32 s39, s8, s4
	;; [unrolled: 1-line block ×3, first 2 shown]
	v_cmp_lt_u32_e64 s5, 6, v12
	s_and_b32 s31, s6, s4
	v_cmp_lt_u32_e64 s6, 7, v12
	v_cmp_lt_u32_e64 s7, 8, v12
	;; [unrolled: 1-line block ×3, first 2 shown]
	s_and_b32 s38, s5, s4
	v_cmp_eq_u32_e64 s5, 8, v12
	s_and_b32 s40, s6, s4
	v_cmp_eq_u32_e64 s6, 9, v12
	s_and_b32 s42, s7, s4
	s_and_b32 s24, s8, s4
	;; [unrolled: 1-line block ×3, first 2 shown]
	v_cmp_eq_u32_e64 s5, 10, v12
	s_and_b32 s9, s6, s4
	v_cmp_lt_u32_e64 s6, 10, v12
	v_cmp_eq_u32_e64 s7, 11, v12
	v_cmp_eq_u32_e64 s8, 12, v12
	s_and_b32 s26, s5, s4
	v_cmp_lt_u32_e64 s5, 11, v12
	s_and_b32 s28, s6, s4
	v_cmp_lt_u32_e64 s6, 12, v12
	v_dual_lshlrev_b32 v13, 3, v11 :: v_dual_lshlrev_b32 v58, 3, v12
	s_and_b32 s33, s5, s4
	v_cmp_eq_u32_e64 s5, 13, v12
	v_mul_u32_u24_e32 v57, 0x208, v11
	s_and_b32 s81, s6, s4
	v_cmp_eq_u32_e64 s6, 14, v12
	s_and_b32 s30, s7, s4
	s_and_b32 s80, s8, s4
	v_cmp_lt_u32_e64 s7, 13, v12
	v_cmp_eq_u32_e64 s8, 15, v12
	s_and_b32 s78, s5, s4
	v_cmp_eq_u32_e64 s5, 0, v42
	s_and_b32 s66, s14, s16
	v_cmp_gt_i32_e32 vcc_lo, s15, v2
	v_sub_nc_u32_e32 v14, v57, v13
	s_and_b32 s103, s6, s4
	s_xor_b32 s6, s66, -1
	s_and_b32 s79, s7, s4
	s_and_b32 s65, s8, s4
	;; [unrolled: 1-line block ×3, first 2 shown]
	s_cmp_gt_i32 s102, 0
	v_cmp_gt_i32_e64 s0, s101, v6
	v_lshl_or_b32 v60, v11, 9, v58
	v_lshrrev_b32_e32 v11, 5, v34
	v_dual_add_nc_u32 v61, v14, v58 :: v_dual_bitop2_b32 v62, 31, v0 bitop3:0x40
	s_cselect_b32 s68, -1, 0
	v_add_nc_u64_e32 v[14:15], s[10:11], v[4:5]
	v_subrev_nc_u32_e32 v5, 48, v20
	s_and_b32 s6, s5, vcc_lo
	v_cmp_gt_i32_e32 vcc_lo, s101, v10
	v_writelane_b32 v90, s6, 9
	v_subrev_nc_u32_e32 v12, 32, v20
	v_cmp_gt_i32_e64 s6, s101, v5
	v_dual_lshlrev_b32 v63, 3, v11 :: v_dual_lshlrev_b32 v64, 9, v11
	s_and_b32 s8, s0, vcc_lo
	v_cmp_gt_i32_e64 s7, s101, v12
	v_writelane_b32 v90, s8, 10
	s_and_b32 s6, s0, s6
	v_dual_lshlrev_b32 v65, 3, v62 :: v_dual_add_nc_u32 v0, s10, v4
	v_cmp_le_i32_e32 vcc_lo, s15, v42
	v_writelane_b32 v90, s6, 11
	s_and_b32 s6, s0, s7
	v_cmp_le_u32_e64 s7, v2, v42
	v_dual_add_nc_u32 v36, 16, v42 :: v_dual_bitop2_b32 v67, v64, v65 bitop3:0x54
	v_writelane_b32 v90, s6, 12
	s_or_b32 s6, vcc_lo, s14
	v_cmp_le_i32_e64 s8, s15, v37
	s_or_b32 s6, s6, s7
	v_cmp_le_u32_e64 s10, v2, v36
	v_writelane_b32 v90, s7, 13
	v_cmp_le_i32_e32 vcc_lo, s15, v36
	s_or_b32 s7, s8, s14
	v_cmp_ne_u32_e64 s8, v2, v37
	v_add_max_i32_e64 v39, v20, -16, v6
	v_writelane_b32 v90, s6, 14
	s_or_b32 s6, vcc_lo, s14
	v_cmp_le_i32_e32 vcc_lo, s15, v38
	s_or_b32 s6, s6, s10
	v_or_b32_e32 v40, v36, v2
	v_writelane_b32 v90, s10, 15
	v_cmp_ne_u32_e64 s10, v2, v38
	v_or_b32_e32 v79, v38, v2
	v_mbcnt_lo_u32_b32 v5, -1, 0
	v_dual_mov_b32 v26, 0 :: v_dual_add_nc_u32 v59, 0x8000, v13
	v_writelane_b32 v90, s6, 16
	v_cmp_le_u32_e64 s6, v2, v37
	s_delay_alu instid0(VALU_DEP_4) | instskip(SKIP_2) | instid1(VALU_DEP_4)
	v_dual_lshlrev_b32 v27, 20, v5 :: v_dual_lshlrev_b32 v28, 9, v62
	v_mul_u64_e32 v[14:15], s[82:83], v[14:15]
	v_mul_u64_e32 v[30:31], s[82:83], v[0:1]
	v_writelane_b32 v90, s6, 17
	s_or_b32 s6, s7, s6
	v_cmp_le_u32_e64 s7, v2, v38
	v_add_nc_u64_e32 v[20:21], src_flat_scratch_base_lo, v[26:27]
	v_mov_b32_e32 v26, 8
	v_writelane_b32 v90, s6, 18
	s_or_b32 s6, vcc_lo, s14
	v_add_nc_u32_e32 v72, v65, v28
	s_or_b32 s6, s6, s7
	v_add_nc_u64_e32 v[22:23], src_flat_scratch_base_lo, v[26:27]
	v_writelane_b32 v90, s7, 19
	v_cmp_ne_u32_e64 s7, v2, v36
	v_mov_b32_e32 v26, 16
	v_mul_u64_e32 v[28:29], s[82:83], v[6:7]
	v_mad_nc_u64_u32 v[10:11], s72, v42, v[18:19]
	v_writelane_b32 v90, s6, 20
	v_cmp_ne_u32_e64 s6, v2, v42
	v_add_nc_u64_e32 v[24:25], src_flat_scratch_base_lo, v[26:27]
	v_mov_b32_e32 v26, 24
	v_mad_nc_u64_u32 v[12:13], s72, v36, v[18:19]
	v_mad_nc_u64_u32 v[16:17], s72, v37, v[18:19]
	v_writelane_b32 v90, s6, 21
	s_or_b32 s6, s14, s6
	v_mad_nc_u64_u32 v[18:19], s72, v38, v[18:19]
	v_add_nc_u64_e32 v[26:27], src_flat_scratch_base_lo, v[26:27]
	v_mad_u32 v11, s73, v42, v11
	v_writelane_b32 v90, s6, 22
	s_or_b32 s6, s14, s7
	v_cmp_lt_u32_e32 vcc_lo, 0x3ff, v34
	v_add_nc_u32_e32 v66, 0x8000, v63
	v_mad_u32 v13, s73, v36, v13
	v_writelane_b32 v90, s7, 23
	v_mad_u32 v17, s73, v37, v17
	v_lshl_add_u32 v5, v4, 3, 0xa000
	v_mad_u32 v19, s73, v38, v19
	v_lshl_add_u32 v69, v34, 3, 0x8000
	v_writelane_b32 v90, s6, 24
	s_or_b32 s6, s14, s8
	v_add_nc_u32_e32 v70, 0x8000, v46
	v_lshl_add_u32 v71, v42, 9, v46
	v_add_nc_u32_e32 v73, v68, v46
	v_writelane_b32 v90, s8, 25
	v_lshl_add_u32 v74, v2, 9, v46
	v_lshl_add_u32 v75, v36, 9, v46
	;; [unrolled: 1-line block ×4, first 2 shown]
	v_writelane_b32 v90, s6, 26
	s_or_b32 s6, s14, s10
	v_or_b32_e32 v78, 0x4100, v65
	v_cmp_eq_u32_e64 s14, 0, v35
	v_cmp_gt_u32_e64 s15, 2, v34
	v_writelane_b32 v90, s10, 27
	v_cmp_gt_u32_e64 s16, 12, v34
	v_cmp_gt_u32_e64 s17, 8, v34
	;; [unrolled: 1-line block ×4, first 2 shown]
	v_writelane_b32 v90, s6, 28
	v_cmp_gt_u32_e64 s6, 0xf0, v34
	v_cmp_gt_u32_e64 s20, 40, v34
	;; [unrolled: 1-line block ×5, first 2 shown]
	v_writelane_b32 v90, s6, 29
	v_cmp_gt_u32_e64 s6, 0xe0, v34
	v_cmp_gt_u32_e64 s35, 0x400, v34
	v_cmp_eq_u32_e64 s36, 0, v4
	v_cmp_gt_u32_e64 s37, 64, v4
	s_xor_b32 s10, vcc_lo, -1
	v_writelane_b32 v90, s6, 30
	v_cmp_gt_u32_e64 s6, 0xd0, v34
	s_lshl_b64 s[90:91], s[72:73], 7
	s_lshl_b64 s[92:93], s[72:73], 8
	s_mul_u64 s[94:95], s[72:73], 0x180
	v_writelane_b32 v90, s6, 31
	v_cmp_gt_u32_e64 s6, 0xc0, v34
	s_delay_alu instid0(VALU_DEP_1) | instskip(SKIP_1) | instid1(VALU_DEP_1)
	v_writelane_b32 v89, s6, 0
	v_cmp_gt_u32_e64 s6, 0xb0, v34
	v_writelane_b32 v89, s6, 1
	v_cmp_gt_u32_e64 s6, 0xa0, v34
	s_delay_alu instid0(VALU_DEP_1) | instskip(SKIP_1) | instid1(VALU_DEP_1)
	v_writelane_b32 v89, s6, 2
	v_cmp_gt_u32_e64 s6, 0x90, v34
	;; [unrolled: 5-line block ×3, first 2 shown]
	v_writelane_b32 v89, s6, 5
	v_cmp_gt_u32_e64 s6, 0x50, v34
	s_delay_alu instid0(VALU_DEP_1) | instskip(SKIP_1) | instid1(VALU_DEP_1)
	v_writelane_b32 v89, s6, 6
	v_cmp_ge_u32_e64 s6, v2, v42
	v_writelane_b32 v89, s6, 7
	v_cmp_ge_u32_e64 s6, v2, v36
	s_delay_alu instid0(VALU_DEP_1) | instskip(SKIP_1) | instid1(VALU_DEP_1)
	v_writelane_b32 v89, s6, 8
	v_cmp_ge_u32_e64 s6, v2, v37
	v_writelane_b32 v89, s6, 9
	v_cmp_ge_u32_e64 s6, v2, v38
	s_delay_alu instid0(VALU_DEP_1) | instskip(SKIP_1) | instid1(VALU_DEP_1)
	v_writelane_b32 v89, s6, 10
	v_cmp_le_i32_e64 s6, s101, v39
	v_writelane_b32 v89, s6, 11
	v_cmp_gt_u32_e64 s6, 64, v35
	s_delay_alu instid0(VALU_DEP_1) | instskip(SKIP_1) | instid1(VALU_DEP_1)
	v_writelane_b32 v89, s6, 12
	v_cmp_gt_u32_e64 s6, 64, v40
	v_writelane_b32 v89, s6, 13
	v_cmp_gt_u32_e64 s6, 64, v41
	s_delay_alu instid0(VALU_DEP_1) | instskip(SKIP_1) | instid1(VALU_DEP_1)
	v_writelane_b32 v89, s6, 14
	v_cmp_gt_u32_e64 s6, 64, v79
	v_writelane_b32 v89, s6, 15
	v_cmp_gt_u32_e64 s6, 0x3e0, v34
	s_delay_alu instid0(VALU_DEP_1) | instskip(SKIP_1) | instid1(VALU_DEP_1)
	v_writelane_b32 v89, s6, 16
	v_cmp_gt_u32_e64 s6, 0x3c0, v34
	v_writelane_b32 v89, s6, 17
	v_cmp_gt_u32_e64 s6, 0x3a0, v34
	s_delay_alu instid0(VALU_DEP_1) | instskip(SKIP_1) | instid1(VALU_DEP_1)
	v_writelane_b32 v89, s6, 18
	v_cmp_gt_u32_e64 s6, 0x380, v34
	v_writelane_b32 v89, s6, 19
	v_cmp_gt_u32_e64 s6, 0x360, v34
	s_delay_alu instid0(VALU_DEP_1) | instskip(SKIP_1) | instid1(VALU_DEP_1)
	v_writelane_b32 v89, s6, 20
	v_cmp_gt_u32_e64 s6, 0x340, v34
	v_writelane_b32 v89, s6, 21
	v_cmp_gt_u32_e64 s6, 0x320, v34
	s_delay_alu instid0(VALU_DEP_1) | instskip(SKIP_1) | instid1(VALU_DEP_1)
	v_writelane_b32 v89, s6, 22
	v_cmp_gt_u32_e64 s6, 0x300, v34
	v_writelane_b32 v89, s6, 23
	v_cmp_gt_u32_e64 s6, 0x2e0, v34
	s_delay_alu instid0(VALU_DEP_1) | instskip(SKIP_1) | instid1(VALU_DEP_1)
	v_writelane_b32 v89, s6, 24
	v_cmp_gt_u32_e64 s6, 0x2c0, v34
	v_writelane_b32 v89, s6, 25
	v_cmp_gt_u32_e64 s6, 0x2a0, v34
	s_delay_alu instid0(VALU_DEP_1) | instskip(SKIP_1) | instid1(VALU_DEP_1)
	v_writelane_b32 v89, s6, 26
	v_cmp_gt_u32_e64 s6, 0x280, v34
	v_writelane_b32 v89, s6, 27
	v_cmp_gt_u32_e64 s6, 0x260, v34
	s_delay_alu instid0(VALU_DEP_1) | instskip(SKIP_1) | instid1(VALU_DEP_1)
	v_writelane_b32 v89, s6, 28
	v_cmp_gt_u32_e64 s6, 0x240, v34
	v_writelane_b32 v89, s6, 29
	v_cmp_gt_u32_e64 s6, 0x220, v34
	s_delay_alu instid0(VALU_DEP_1) | instskip(SKIP_1) | instid1(VALU_DEP_1)
	v_writelane_b32 v89, s6, 30
	v_cmp_gt_u32_e64 s6, 0x200, v34
	v_writelane_b32 v89, s6, 31
	v_cmp_gt_u32_e64 s6, 0x1e0, v34
	s_delay_alu instid0(VALU_DEP_1) | instskip(SKIP_1) | instid1(VALU_DEP_1)
	v_writelane_b32 v88, s6, 0
	v_cmp_gt_u32_e64 s6, 0x1c0, v34
	v_writelane_b32 v88, s6, 1
	v_cmp_gt_u32_e64 s6, 0x1a0, v34
	s_delay_alu instid0(VALU_DEP_1) | instskip(SKIP_1) | instid1(VALU_DEP_1)
	v_writelane_b32 v88, s6, 2
	v_cmp_gt_u32_e64 s6, 0x180, v34
	v_writelane_b32 v88, s6, 3
	v_cmp_gt_u32_e64 s6, 0x160, v34
	s_delay_alu instid0(VALU_DEP_1) | instskip(SKIP_1) | instid1(VALU_DEP_1)
	v_writelane_b32 v88, s6, 4
	v_cmp_gt_u32_e64 s6, 0x140, v34
	v_writelane_b32 v88, s6, 5
	v_cmp_gt_u32_e64 s6, 0x120, v34
	s_delay_alu instid0(VALU_DEP_1)
	v_writelane_b32 v88, s6, 6
	s_branch .LBB58_3
.LBB58_2:                               ;   in Loop: Header=BB58_3 Depth=1
	s_wait_xcnt 0x0
	s_or_b32 exec_lo, exec_lo, s6
	s_add_co_i32 s88, s88, 0x10000
	global_wb scope:SCOPE_DEV
	s_wait_storecnt 0x0
	global_inv scope:SCOPE_DEV
	s_cmp_lt_u32 s88, s100
	s_cbranch_scc0 .LBB58_1098
.LBB58_3:                               ; =>This Loop Header: Depth=1
                                        ;     Child Loop BB58_587 Depth 2
                                        ;     Child Loop BB58_995 Depth 2
                                        ;       Child Loop BB58_997 Depth 3
                                        ;     Child Loop BB58_1029 Depth 2
	global_load_b64 v[34:35], v1, s[76:77]
	v_readlane_b32 s6, v90, 4
	s_mul_u64 s[70:71], s[74:75], s[88:89]
	s_delay_alu instid0(SALU_CYCLE_1)
	s_lshl_b64 s[70:71], s[70:71], 3
	s_and_not1_b32 vcc_lo, exec_lo, s6
	v_readlane_b32 s6, v90, 0
	v_readlane_b32 s7, v90, 1
	s_add_nc_u64 s[70:71], s[6:7], s[70:71]
	s_cbranch_vccz .LBB58_6
; %bb.4:                                ;   in Loop: Header=BB58_3 Depth=1
	s_and_not1_b32 vcc_lo, exec_lo, s104
	s_mov_b32 s6, -1
	s_cbranch_vccz .LBB58_17
.LBB58_5:                               ;   in Loop: Header=BB58_3 Depth=1
	s_and_b32 vcc_lo, exec_lo, s6
	s_cbranch_vccnz .LBB58_74
	s_branch .LBB58_131
.LBB58_6:                               ;   in Loop: Header=BB58_3 Depth=1
	v_lshl_add_u64 v[36:37], v[8:9], 3, s[70:71]
	v_dual_mov_b32 v38, 0 :: v_dual_mov_b32 v40, 0
	v_mov_b32_e32 v41, 0
	v_readlane_b32 s7, v90, 10
	s_delay_alu instid0(VALU_DEP_4)
	v_lshl_add_u64 v[36:37], v[6:7], 3, v[36:37]
	s_wait_loadcnt 0x0
	s_barrier_signal -1
	s_barrier_wait -1
	s_wait_xcnt 0x0
	s_and_saveexec_b32 s6, s7
	s_cbranch_execz .LBB58_8
; %bb.7:                                ;   in Loop: Header=BB58_3 Depth=1
	global_load_b64 v[40:41], v[36:37], off
.LBB58_8:                               ;   in Loop: Header=BB58_3 Depth=1
	s_wait_xcnt 0x0
	s_or_b32 exec_lo, exec_lo, s6
	v_mov_b32_e32 v39, 0
	v_readlane_b32 s7, v90, 11
	s_wait_loadcnt 0x0
	scratch_store_b64 off, v[40:41], off
	s_wait_storecnt 0x0
	s_barrier_signal -1
	s_barrier_wait -1
	s_wait_xcnt 0x0
	s_and_saveexec_b32 s6, s7
	s_cbranch_execz .LBB58_10
; %bb.9:                                ;   in Loop: Header=BB58_3 Depth=1
	v_add_nc_u64_e32 v[38:39], s[90:91], v[36:37]
	global_load_b64 v[38:39], v[38:39], off
.LBB58_10:                              ;   in Loop: Header=BB58_3 Depth=1
	s_wait_xcnt 0x0
	s_or_b32 exec_lo, exec_lo, s6
	s_wait_loadcnt 0x0
	scratch_store_b64 off, v[38:39], off offset:8
	s_wait_xcnt 0x0
	v_dual_mov_b32 v38, 0 :: v_dual_mov_b32 v39, 0
	v_readlane_b32 s7, v90, 12
	s_wait_storecnt 0x0
	s_barrier_signal -1
	s_barrier_wait -1
	s_and_saveexec_b32 s6, s7
	s_cbranch_execz .LBB58_12
; %bb.11:                               ;   in Loop: Header=BB58_3 Depth=1
	v_add_nc_u64_e32 v[38:39], s[92:93], v[36:37]
	global_load_b64 v[38:39], v[38:39], off
.LBB58_12:                              ;   in Loop: Header=BB58_3 Depth=1
	s_wait_xcnt 0x0
	s_or_b32 exec_lo, exec_lo, s6
	v_readlane_b32 s7, v89, 11
	s_wait_loadcnt 0x0
	scratch_store_b64 off, v[38:39], off offset:16
	s_wait_storecnt 0x0
	s_barrier_signal -1
	s_barrier_wait -1
	s_wait_xcnt 0x0
	s_and_saveexec_b32 s6, s7
	s_delay_alu instid0(SALU_CYCLE_1)
	s_xor_b32 s6, exec_lo, s6
	s_cbranch_execz .LBB58_14
; %bb.13:                               ;   in Loop: Header=BB58_3 Depth=1
	scratch_store_b64 off, v[32:33], off offset:24
                                        ; implicit-def: $vgpr36_vgpr37
.LBB58_14:                              ;   in Loop: Header=BB58_3 Depth=1
	s_wait_xcnt 0x0
	s_and_not1_saveexec_b32 s6, s6
	s_cbranch_execz .LBB58_16
; %bb.15:                               ;   in Loop: Header=BB58_3 Depth=1
	v_add_nc_u64_e32 v[36:37], s[94:95], v[36:37]
	global_load_b64 v[36:37], v[36:37], off
	s_wait_loadcnt 0x0
	scratch_store_b64 off, v[36:37], off offset:24
.LBB58_16:                              ;   in Loop: Header=BB58_3 Depth=1
	s_wait_xcnt 0x0
	s_or_b32 exec_lo, exec_lo, s6
	s_delay_alu instid0(SALU_CYCLE_1)
	s_and_not1_b32 vcc_lo, exec_lo, s104
	s_mov_b32 s6, -1
	s_cbranch_vccnz .LBB58_5
.LBB58_17:                              ;   in Loop: Header=BB58_3 Depth=1
	v_readlane_b32 s7, v90, 13
	s_wait_xcnt 0x0
	s_and_saveexec_b32 s6, s7
	s_delay_alu instid0(SALU_CYCLE_1)
	s_xor_b32 s96, exec_lo, s6
	s_cbranch_execz .LBB58_29
; %bb.18:                               ;   in Loop: Header=BB58_3 Depth=1
	v_readlane_b32 s7, v90, 21
	s_and_saveexec_b32 s6, s7
	s_delay_alu instid0(SALU_CYCLE_1)
	s_xor_b32 s6, exec_lo, s6
	s_cbranch_execz .LBB58_22
; %bb.19:                               ;   in Loop: Header=BB58_3 Depth=1
	v_readlane_b32 s7, v89, 12
	s_and_saveexec_b32 s97, s7
; %bb.20:                               ;   in Loop: Header=BB58_3 Depth=1
	ds_store_b64 v71, v[32:33]
; %bb.21:                               ;   in Loop: Header=BB58_3 Depth=1
	s_or_b32 exec_lo, exec_lo, s97
.LBB58_22:                              ;   in Loop: Header=BB58_3 Depth=1
	s_and_not1_saveexec_b32 s97, s6
	s_cbranch_execz .LBB58_28
; %bb.23:                               ;   in Loop: Header=BB58_3 Depth=1
	v_lshl_add_u64 v[36:37], v[10:11], 3, s[70:71]
	s_mov_b32 s98, exec_lo
                                        ; implicit-def: $vgpr38_vgpr39
	global_load_b64 v[36:37], v[36:37], off
	s_wait_loadcnt 0x0
	v_cmpx_ngt_f32_e64 |v36|, |v37|
	s_xor_b32 s98, exec_lo, s98
	s_cbranch_execz .LBB58_25
; %bb.24:                               ;   in Loop: Header=BB58_3 Depth=1
	v_div_scale_f32 v0, null, v37, v37, v36
	v_div_scale_f32 v40, vcc_lo, v36, v37, v36
	s_delay_alu instid0(VALU_DEP_2) | instskip(SKIP_1) | instid1(TRANS32_DEP_1)
	v_rcp_f32_e32 v38, v0
	v_nop
	v_fma_f32 v39, -v0, v38, 1.0
	s_delay_alu instid0(VALU_DEP_1) | instskip(NEXT) | instid1(VALU_DEP_1)
	v_fmac_f32_e32 v38, v39, v38
	v_mul_f32_e32 v39, v40, v38
	s_delay_alu instid0(VALU_DEP_1) | instskip(NEXT) | instid1(VALU_DEP_1)
	v_fma_f32 v41, -v0, v39, v40
	v_fmac_f32_e32 v39, v41, v38
	s_delay_alu instid0(VALU_DEP_1) | instskip(NEXT) | instid1(VALU_DEP_1)
	v_fma_f32 v0, -v0, v39, v40
	v_div_fmas_f32 v0, v0, v38, v39
	s_delay_alu instid0(VALU_DEP_1) | instskip(NEXT) | instid1(VALU_DEP_1)
	v_div_fixup_f32 v0, v0, v37, v36
	v_fmac_f32_e32 v37, v36, v0
	s_delay_alu instid0(VALU_DEP_1) | instskip(SKIP_1) | instid1(VALU_DEP_2)
	v_div_scale_f32 v36, null, v37, v37, 1.0
	v_div_scale_f32 v40, vcc_lo, 1.0, v37, 1.0
	v_rcp_f32_e32 v38, v36
	v_nop
	s_delay_alu instid0(TRANS32_DEP_1) | instskip(NEXT) | instid1(VALU_DEP_1)
	v_fma_f32 v39, -v36, v38, 1.0
	v_fmac_f32_e32 v38, v39, v38
	s_delay_alu instid0(VALU_DEP_1) | instskip(NEXT) | instid1(VALU_DEP_1)
	v_mul_f32_e32 v39, v40, v38
	v_fma_f32 v41, -v36, v39, v40
	s_delay_alu instid0(VALU_DEP_1) | instskip(NEXT) | instid1(VALU_DEP_1)
	v_fmac_f32_e32 v39, v41, v38
	v_fma_f32 v36, -v36, v39, v40
	s_delay_alu instid0(VALU_DEP_1) | instskip(NEXT) | instid1(VALU_DEP_1)
	v_div_fmas_f32 v36, v36, v38, v39
	v_div_fixup_f32 v36, v36, v37, 1.0
	s_delay_alu instid0(VALU_DEP_1)
	v_mul_f32_e32 v38, v0, v36
	v_xor_b32_e32 v39, 0x80000000, v36
                                        ; implicit-def: $vgpr36_vgpr37
.LBB58_25:                              ;   in Loop: Header=BB58_3 Depth=1
	s_and_not1_saveexec_b32 s98, s98
	s_cbranch_execz .LBB58_27
; %bb.26:                               ;   in Loop: Header=BB58_3 Depth=1
	v_div_scale_f32 v0, null, v36, v36, v37
	v_div_scale_f32 v40, vcc_lo, v37, v36, v37
	s_delay_alu instid0(VALU_DEP_2) | instskip(SKIP_1) | instid1(TRANS32_DEP_1)
	v_rcp_f32_e32 v38, v0
	v_nop
	v_fma_f32 v39, -v0, v38, 1.0
	s_delay_alu instid0(VALU_DEP_1) | instskip(NEXT) | instid1(VALU_DEP_1)
	v_fmac_f32_e32 v38, v39, v38
	v_mul_f32_e32 v39, v40, v38
	s_delay_alu instid0(VALU_DEP_1) | instskip(NEXT) | instid1(VALU_DEP_1)
	v_fma_f32 v41, -v0, v39, v40
	v_fmac_f32_e32 v39, v41, v38
	s_delay_alu instid0(VALU_DEP_1) | instskip(NEXT) | instid1(VALU_DEP_1)
	v_fma_f32 v0, -v0, v39, v40
	v_div_fmas_f32 v0, v0, v38, v39
	s_delay_alu instid0(VALU_DEP_1) | instskip(NEXT) | instid1(VALU_DEP_1)
	v_div_fixup_f32 v0, v0, v36, v37
	v_fmac_f32_e32 v36, v37, v0
	s_delay_alu instid0(VALU_DEP_1) | instskip(NEXT) | instid1(VALU_DEP_1)
	v_div_scale_f32 v37, null, v36, v36, 1.0
	v_rcp_f32_e32 v38, v37
	v_nop
	s_delay_alu instid0(TRANS32_DEP_1) | instskip(NEXT) | instid1(VALU_DEP_1)
	v_fma_f32 v39, -v37, v38, 1.0
	v_fmac_f32_e32 v38, v39, v38
	v_div_scale_f32 v39, vcc_lo, 1.0, v36, 1.0
	s_delay_alu instid0(VALU_DEP_1) | instskip(NEXT) | instid1(VALU_DEP_1)
	v_mul_f32_e32 v40, v39, v38
	v_fma_f32 v41, -v37, v40, v39
	s_delay_alu instid0(VALU_DEP_1) | instskip(NEXT) | instid1(VALU_DEP_1)
	v_fmac_f32_e32 v40, v41, v38
	v_fma_f32 v37, -v37, v40, v39
	s_delay_alu instid0(VALU_DEP_1) | instskip(NEXT) | instid1(VALU_DEP_1)
	v_div_fmas_f32 v37, v37, v38, v40
	v_div_fixup_f32 v38, v37, v36, 1.0
	s_delay_alu instid0(VALU_DEP_1)
	v_mul_f32_e64 v39, v0, -v38
.LBB58_27:                              ;   in Loop: Header=BB58_3 Depth=1
	s_or_b32 exec_lo, exec_lo, s98
	ds_store_b64 v71, v[38:39]
.LBB58_28:                              ;   in Loop: Header=BB58_3 Depth=1
	s_or_b32 exec_lo, exec_lo, s97
.LBB58_29:                              ;   in Loop: Header=BB58_3 Depth=1
	s_and_not1_saveexec_b32 s6, s96
	s_cbranch_execz .LBB58_31
; %bb.30:                               ;   in Loop: Header=BB58_3 Depth=1
	v_lshl_add_u64 v[36:37], v[10:11], 3, s[70:71]
	global_load_b64 v[36:37], v[36:37], off
	s_wait_loadcnt 0x0
	v_pk_add_f32 v[36:37], v[36:37], 0 neg_lo:[1,1] neg_hi:[1,1]
	ds_store_b64 v71, v[36:37]
.LBB58_31:                              ;   in Loop: Header=BB58_3 Depth=1
	s_or_b32 exec_lo, exec_lo, s6
	v_readlane_b32 s7, v90, 15
	s_and_saveexec_b32 s6, s7
	s_delay_alu instid0(SALU_CYCLE_1)
	s_xor_b32 s96, exec_lo, s6
	s_cbranch_execz .LBB58_43
; %bb.32:                               ;   in Loop: Header=BB58_3 Depth=1
	v_readlane_b32 s7, v90, 23
	s_and_saveexec_b32 s6, s7
	s_delay_alu instid0(SALU_CYCLE_1)
	s_xor_b32 s6, exec_lo, s6
	s_cbranch_execz .LBB58_36
; %bb.33:                               ;   in Loop: Header=BB58_3 Depth=1
	v_readlane_b32 s7, v89, 13
	s_and_saveexec_b32 s97, s7
; %bb.34:                               ;   in Loop: Header=BB58_3 Depth=1
	ds_store_b64 v75, v[32:33]
; %bb.35:                               ;   in Loop: Header=BB58_3 Depth=1
	s_or_b32 exec_lo, exec_lo, s97
.LBB58_36:                              ;   in Loop: Header=BB58_3 Depth=1
	s_and_not1_saveexec_b32 s97, s6
	s_cbranch_execz .LBB58_42
; %bb.37:                               ;   in Loop: Header=BB58_3 Depth=1
	v_lshl_add_u64 v[36:37], v[12:13], 3, s[70:71]
	s_mov_b32 s98, exec_lo
                                        ; implicit-def: $vgpr38_vgpr39
	global_load_b64 v[36:37], v[36:37], off
	s_wait_loadcnt 0x0
	v_cmpx_ngt_f32_e64 |v36|, |v37|
	s_xor_b32 s98, exec_lo, s98
	s_cbranch_execz .LBB58_39
; %bb.38:                               ;   in Loop: Header=BB58_3 Depth=1
	v_div_scale_f32 v0, null, v37, v37, v36
	v_div_scale_f32 v40, vcc_lo, v36, v37, v36
	s_delay_alu instid0(VALU_DEP_2) | instskip(SKIP_1) | instid1(TRANS32_DEP_1)
	v_rcp_f32_e32 v38, v0
	v_nop
	v_fma_f32 v39, -v0, v38, 1.0
	s_delay_alu instid0(VALU_DEP_1) | instskip(NEXT) | instid1(VALU_DEP_1)
	v_fmac_f32_e32 v38, v39, v38
	v_mul_f32_e32 v39, v40, v38
	s_delay_alu instid0(VALU_DEP_1) | instskip(NEXT) | instid1(VALU_DEP_1)
	v_fma_f32 v41, -v0, v39, v40
	v_fmac_f32_e32 v39, v41, v38
	s_delay_alu instid0(VALU_DEP_1) | instskip(NEXT) | instid1(VALU_DEP_1)
	v_fma_f32 v0, -v0, v39, v40
	v_div_fmas_f32 v0, v0, v38, v39
	s_delay_alu instid0(VALU_DEP_1) | instskip(NEXT) | instid1(VALU_DEP_1)
	v_div_fixup_f32 v0, v0, v37, v36
	v_fmac_f32_e32 v37, v36, v0
	s_delay_alu instid0(VALU_DEP_1) | instskip(SKIP_1) | instid1(VALU_DEP_2)
	v_div_scale_f32 v36, null, v37, v37, 1.0
	v_div_scale_f32 v40, vcc_lo, 1.0, v37, 1.0
	v_rcp_f32_e32 v38, v36
	v_nop
	s_delay_alu instid0(TRANS32_DEP_1) | instskip(NEXT) | instid1(VALU_DEP_1)
	v_fma_f32 v39, -v36, v38, 1.0
	v_fmac_f32_e32 v38, v39, v38
	s_delay_alu instid0(VALU_DEP_1) | instskip(NEXT) | instid1(VALU_DEP_1)
	v_mul_f32_e32 v39, v40, v38
	v_fma_f32 v41, -v36, v39, v40
	s_delay_alu instid0(VALU_DEP_1) | instskip(NEXT) | instid1(VALU_DEP_1)
	v_fmac_f32_e32 v39, v41, v38
	v_fma_f32 v36, -v36, v39, v40
	s_delay_alu instid0(VALU_DEP_1) | instskip(NEXT) | instid1(VALU_DEP_1)
	v_div_fmas_f32 v36, v36, v38, v39
	v_div_fixup_f32 v36, v36, v37, 1.0
	s_delay_alu instid0(VALU_DEP_1)
	v_mul_f32_e32 v38, v0, v36
	v_xor_b32_e32 v39, 0x80000000, v36
                                        ; implicit-def: $vgpr36_vgpr37
.LBB58_39:                              ;   in Loop: Header=BB58_3 Depth=1
	s_and_not1_saveexec_b32 s98, s98
	s_cbranch_execz .LBB58_41
; %bb.40:                               ;   in Loop: Header=BB58_3 Depth=1
	v_div_scale_f32 v0, null, v36, v36, v37
	v_div_scale_f32 v40, vcc_lo, v37, v36, v37
	s_delay_alu instid0(VALU_DEP_2) | instskip(SKIP_1) | instid1(TRANS32_DEP_1)
	v_rcp_f32_e32 v38, v0
	v_nop
	v_fma_f32 v39, -v0, v38, 1.0
	s_delay_alu instid0(VALU_DEP_1) | instskip(NEXT) | instid1(VALU_DEP_1)
	v_fmac_f32_e32 v38, v39, v38
	v_mul_f32_e32 v39, v40, v38
	s_delay_alu instid0(VALU_DEP_1) | instskip(NEXT) | instid1(VALU_DEP_1)
	v_fma_f32 v41, -v0, v39, v40
	v_fmac_f32_e32 v39, v41, v38
	s_delay_alu instid0(VALU_DEP_1) | instskip(NEXT) | instid1(VALU_DEP_1)
	v_fma_f32 v0, -v0, v39, v40
	v_div_fmas_f32 v0, v0, v38, v39
	s_delay_alu instid0(VALU_DEP_1) | instskip(NEXT) | instid1(VALU_DEP_1)
	v_div_fixup_f32 v0, v0, v36, v37
	v_fmac_f32_e32 v36, v37, v0
	s_delay_alu instid0(VALU_DEP_1) | instskip(NEXT) | instid1(VALU_DEP_1)
	v_div_scale_f32 v37, null, v36, v36, 1.0
	v_rcp_f32_e32 v38, v37
	v_nop
	s_delay_alu instid0(TRANS32_DEP_1) | instskip(NEXT) | instid1(VALU_DEP_1)
	v_fma_f32 v39, -v37, v38, 1.0
	v_fmac_f32_e32 v38, v39, v38
	v_div_scale_f32 v39, vcc_lo, 1.0, v36, 1.0
	s_delay_alu instid0(VALU_DEP_1) | instskip(NEXT) | instid1(VALU_DEP_1)
	v_mul_f32_e32 v40, v39, v38
	v_fma_f32 v41, -v37, v40, v39
	s_delay_alu instid0(VALU_DEP_1) | instskip(NEXT) | instid1(VALU_DEP_1)
	v_fmac_f32_e32 v40, v41, v38
	v_fma_f32 v37, -v37, v40, v39
	s_delay_alu instid0(VALU_DEP_1) | instskip(NEXT) | instid1(VALU_DEP_1)
	v_div_fmas_f32 v37, v37, v38, v40
	v_div_fixup_f32 v38, v37, v36, 1.0
	s_delay_alu instid0(VALU_DEP_1)
	v_mul_f32_e64 v39, v0, -v38
.LBB58_41:                              ;   in Loop: Header=BB58_3 Depth=1
	s_or_b32 exec_lo, exec_lo, s98
	ds_store_b64 v75, v[38:39]
.LBB58_42:                              ;   in Loop: Header=BB58_3 Depth=1
	s_or_b32 exec_lo, exec_lo, s97
.LBB58_43:                              ;   in Loop: Header=BB58_3 Depth=1
	s_and_not1_saveexec_b32 s6, s96
	s_cbranch_execz .LBB58_45
; %bb.44:                               ;   in Loop: Header=BB58_3 Depth=1
	v_lshl_add_u64 v[36:37], v[12:13], 3, s[70:71]
	global_load_b64 v[36:37], v[36:37], off
	s_wait_loadcnt 0x0
	v_pk_add_f32 v[36:37], v[36:37], 0 neg_lo:[1,1] neg_hi:[1,1]
	ds_store_b64 v75, v[36:37]
.LBB58_45:                              ;   in Loop: Header=BB58_3 Depth=1
	s_or_b32 exec_lo, exec_lo, s6
	v_readlane_b32 s7, v90, 17
	s_and_saveexec_b32 s6, s7
	s_delay_alu instid0(SALU_CYCLE_1)
	s_xor_b32 s96, exec_lo, s6
	s_cbranch_execz .LBB58_57
; %bb.46:                               ;   in Loop: Header=BB58_3 Depth=1
	v_readlane_b32 s7, v90, 25
	s_and_saveexec_b32 s6, s7
	s_delay_alu instid0(SALU_CYCLE_1)
	s_xor_b32 s6, exec_lo, s6
	s_cbranch_execz .LBB58_50
; %bb.47:                               ;   in Loop: Header=BB58_3 Depth=1
	v_readlane_b32 s7, v89, 14
	s_and_saveexec_b32 s97, s7
; %bb.48:                               ;   in Loop: Header=BB58_3 Depth=1
	ds_store_b64 v76, v[32:33]
; %bb.49:                               ;   in Loop: Header=BB58_3 Depth=1
	s_or_b32 exec_lo, exec_lo, s97
.LBB58_50:                              ;   in Loop: Header=BB58_3 Depth=1
	s_and_not1_saveexec_b32 s97, s6
	s_cbranch_execz .LBB58_56
; %bb.51:                               ;   in Loop: Header=BB58_3 Depth=1
	v_lshl_add_u64 v[36:37], v[16:17], 3, s[70:71]
	s_mov_b32 s98, exec_lo
                                        ; implicit-def: $vgpr38_vgpr39
	global_load_b64 v[36:37], v[36:37], off
	s_wait_loadcnt 0x0
	v_cmpx_ngt_f32_e64 |v36|, |v37|
	s_xor_b32 s98, exec_lo, s98
	s_cbranch_execz .LBB58_53
; %bb.52:                               ;   in Loop: Header=BB58_3 Depth=1
	v_div_scale_f32 v0, null, v37, v37, v36
	v_div_scale_f32 v40, vcc_lo, v36, v37, v36
	s_delay_alu instid0(VALU_DEP_2) | instskip(SKIP_1) | instid1(TRANS32_DEP_1)
	v_rcp_f32_e32 v38, v0
	v_nop
	v_fma_f32 v39, -v0, v38, 1.0
	s_delay_alu instid0(VALU_DEP_1) | instskip(NEXT) | instid1(VALU_DEP_1)
	v_fmac_f32_e32 v38, v39, v38
	v_mul_f32_e32 v39, v40, v38
	s_delay_alu instid0(VALU_DEP_1) | instskip(NEXT) | instid1(VALU_DEP_1)
	v_fma_f32 v41, -v0, v39, v40
	v_fmac_f32_e32 v39, v41, v38
	s_delay_alu instid0(VALU_DEP_1) | instskip(NEXT) | instid1(VALU_DEP_1)
	v_fma_f32 v0, -v0, v39, v40
	v_div_fmas_f32 v0, v0, v38, v39
	s_delay_alu instid0(VALU_DEP_1) | instskip(NEXT) | instid1(VALU_DEP_1)
	v_div_fixup_f32 v0, v0, v37, v36
	v_fmac_f32_e32 v37, v36, v0
	s_delay_alu instid0(VALU_DEP_1) | instskip(SKIP_1) | instid1(VALU_DEP_2)
	v_div_scale_f32 v36, null, v37, v37, 1.0
	v_div_scale_f32 v40, vcc_lo, 1.0, v37, 1.0
	v_rcp_f32_e32 v38, v36
	v_nop
	s_delay_alu instid0(TRANS32_DEP_1) | instskip(NEXT) | instid1(VALU_DEP_1)
	v_fma_f32 v39, -v36, v38, 1.0
	v_fmac_f32_e32 v38, v39, v38
	s_delay_alu instid0(VALU_DEP_1) | instskip(NEXT) | instid1(VALU_DEP_1)
	v_mul_f32_e32 v39, v40, v38
	v_fma_f32 v41, -v36, v39, v40
	s_delay_alu instid0(VALU_DEP_1) | instskip(NEXT) | instid1(VALU_DEP_1)
	v_fmac_f32_e32 v39, v41, v38
	v_fma_f32 v36, -v36, v39, v40
	s_delay_alu instid0(VALU_DEP_1) | instskip(NEXT) | instid1(VALU_DEP_1)
	v_div_fmas_f32 v36, v36, v38, v39
	v_div_fixup_f32 v36, v36, v37, 1.0
	s_delay_alu instid0(VALU_DEP_1)
	v_mul_f32_e32 v38, v0, v36
	v_xor_b32_e32 v39, 0x80000000, v36
                                        ; implicit-def: $vgpr36_vgpr37
.LBB58_53:                              ;   in Loop: Header=BB58_3 Depth=1
	s_and_not1_saveexec_b32 s98, s98
	s_cbranch_execz .LBB58_55
; %bb.54:                               ;   in Loop: Header=BB58_3 Depth=1
	v_div_scale_f32 v0, null, v36, v36, v37
	v_div_scale_f32 v40, vcc_lo, v37, v36, v37
	s_delay_alu instid0(VALU_DEP_2) | instskip(SKIP_1) | instid1(TRANS32_DEP_1)
	v_rcp_f32_e32 v38, v0
	v_nop
	v_fma_f32 v39, -v0, v38, 1.0
	s_delay_alu instid0(VALU_DEP_1) | instskip(NEXT) | instid1(VALU_DEP_1)
	v_fmac_f32_e32 v38, v39, v38
	v_mul_f32_e32 v39, v40, v38
	s_delay_alu instid0(VALU_DEP_1) | instskip(NEXT) | instid1(VALU_DEP_1)
	v_fma_f32 v41, -v0, v39, v40
	v_fmac_f32_e32 v39, v41, v38
	s_delay_alu instid0(VALU_DEP_1) | instskip(NEXT) | instid1(VALU_DEP_1)
	v_fma_f32 v0, -v0, v39, v40
	v_div_fmas_f32 v0, v0, v38, v39
	s_delay_alu instid0(VALU_DEP_1) | instskip(NEXT) | instid1(VALU_DEP_1)
	v_div_fixup_f32 v0, v0, v36, v37
	v_fmac_f32_e32 v36, v37, v0
	s_delay_alu instid0(VALU_DEP_1) | instskip(NEXT) | instid1(VALU_DEP_1)
	v_div_scale_f32 v37, null, v36, v36, 1.0
	v_rcp_f32_e32 v38, v37
	v_nop
	s_delay_alu instid0(TRANS32_DEP_1) | instskip(NEXT) | instid1(VALU_DEP_1)
	v_fma_f32 v39, -v37, v38, 1.0
	v_fmac_f32_e32 v38, v39, v38
	v_div_scale_f32 v39, vcc_lo, 1.0, v36, 1.0
	s_delay_alu instid0(VALU_DEP_1) | instskip(NEXT) | instid1(VALU_DEP_1)
	v_mul_f32_e32 v40, v39, v38
	v_fma_f32 v41, -v37, v40, v39
	s_delay_alu instid0(VALU_DEP_1) | instskip(NEXT) | instid1(VALU_DEP_1)
	v_fmac_f32_e32 v40, v41, v38
	v_fma_f32 v37, -v37, v40, v39
	s_delay_alu instid0(VALU_DEP_1) | instskip(NEXT) | instid1(VALU_DEP_1)
	v_div_fmas_f32 v37, v37, v38, v40
	v_div_fixup_f32 v38, v37, v36, 1.0
	s_delay_alu instid0(VALU_DEP_1)
	v_mul_f32_e64 v39, v0, -v38
.LBB58_55:                              ;   in Loop: Header=BB58_3 Depth=1
	s_or_b32 exec_lo, exec_lo, s98
	ds_store_b64 v76, v[38:39]
.LBB58_56:                              ;   in Loop: Header=BB58_3 Depth=1
	s_or_b32 exec_lo, exec_lo, s97
.LBB58_57:                              ;   in Loop: Header=BB58_3 Depth=1
	s_and_not1_saveexec_b32 s6, s96
	s_cbranch_execz .LBB58_59
; %bb.58:                               ;   in Loop: Header=BB58_3 Depth=1
	v_lshl_add_u64 v[36:37], v[16:17], 3, s[70:71]
	global_load_b64 v[36:37], v[36:37], off
	s_wait_loadcnt 0x0
	v_pk_add_f32 v[36:37], v[36:37], 0 neg_lo:[1,1] neg_hi:[1,1]
	ds_store_b64 v76, v[36:37]
.LBB58_59:                              ;   in Loop: Header=BB58_3 Depth=1
	s_or_b32 exec_lo, exec_lo, s6
	v_readlane_b32 s7, v90, 19
	s_and_saveexec_b32 s6, s7
	s_delay_alu instid0(SALU_CYCLE_1)
	s_xor_b32 s96, exec_lo, s6
	s_cbranch_execz .LBB58_71
; %bb.60:                               ;   in Loop: Header=BB58_3 Depth=1
	v_readlane_b32 s7, v90, 27
	s_and_saveexec_b32 s6, s7
	s_delay_alu instid0(SALU_CYCLE_1)
	s_xor_b32 s6, exec_lo, s6
	s_cbranch_execz .LBB58_64
; %bb.61:                               ;   in Loop: Header=BB58_3 Depth=1
	v_readlane_b32 s7, v89, 15
	s_and_saveexec_b32 s97, s7
; %bb.62:                               ;   in Loop: Header=BB58_3 Depth=1
	ds_store_b64 v77, v[32:33]
; %bb.63:                               ;   in Loop: Header=BB58_3 Depth=1
	s_or_b32 exec_lo, exec_lo, s97
.LBB58_64:                              ;   in Loop: Header=BB58_3 Depth=1
	s_and_not1_saveexec_b32 s97, s6
	s_cbranch_execz .LBB58_70
; %bb.65:                               ;   in Loop: Header=BB58_3 Depth=1
	v_lshl_add_u64 v[36:37], v[18:19], 3, s[70:71]
	s_mov_b32 s98, exec_lo
                                        ; implicit-def: $vgpr38_vgpr39
	global_load_b64 v[36:37], v[36:37], off
	s_wait_loadcnt 0x0
	v_cmpx_ngt_f32_e64 |v36|, |v37|
	s_xor_b32 s98, exec_lo, s98
	s_cbranch_execz .LBB58_67
; %bb.66:                               ;   in Loop: Header=BB58_3 Depth=1
	v_div_scale_f32 v0, null, v37, v37, v36
	v_div_scale_f32 v40, vcc_lo, v36, v37, v36
	s_delay_alu instid0(VALU_DEP_2) | instskip(SKIP_1) | instid1(TRANS32_DEP_1)
	v_rcp_f32_e32 v38, v0
	v_nop
	v_fma_f32 v39, -v0, v38, 1.0
	s_delay_alu instid0(VALU_DEP_1) | instskip(NEXT) | instid1(VALU_DEP_1)
	v_fmac_f32_e32 v38, v39, v38
	v_mul_f32_e32 v39, v40, v38
	s_delay_alu instid0(VALU_DEP_1) | instskip(NEXT) | instid1(VALU_DEP_1)
	v_fma_f32 v41, -v0, v39, v40
	v_fmac_f32_e32 v39, v41, v38
	s_delay_alu instid0(VALU_DEP_1) | instskip(NEXT) | instid1(VALU_DEP_1)
	v_fma_f32 v0, -v0, v39, v40
	v_div_fmas_f32 v0, v0, v38, v39
	s_delay_alu instid0(VALU_DEP_1) | instskip(NEXT) | instid1(VALU_DEP_1)
	v_div_fixup_f32 v0, v0, v37, v36
	v_fmac_f32_e32 v37, v36, v0
	s_delay_alu instid0(VALU_DEP_1) | instskip(SKIP_1) | instid1(VALU_DEP_2)
	v_div_scale_f32 v36, null, v37, v37, 1.0
	v_div_scale_f32 v40, vcc_lo, 1.0, v37, 1.0
	v_rcp_f32_e32 v38, v36
	v_nop
	s_delay_alu instid0(TRANS32_DEP_1) | instskip(NEXT) | instid1(VALU_DEP_1)
	v_fma_f32 v39, -v36, v38, 1.0
	v_fmac_f32_e32 v38, v39, v38
	s_delay_alu instid0(VALU_DEP_1) | instskip(NEXT) | instid1(VALU_DEP_1)
	v_mul_f32_e32 v39, v40, v38
	v_fma_f32 v41, -v36, v39, v40
	s_delay_alu instid0(VALU_DEP_1) | instskip(NEXT) | instid1(VALU_DEP_1)
	v_fmac_f32_e32 v39, v41, v38
	v_fma_f32 v36, -v36, v39, v40
	s_delay_alu instid0(VALU_DEP_1) | instskip(NEXT) | instid1(VALU_DEP_1)
	v_div_fmas_f32 v36, v36, v38, v39
	v_div_fixup_f32 v36, v36, v37, 1.0
	s_delay_alu instid0(VALU_DEP_1)
	v_mul_f32_e32 v38, v0, v36
	v_xor_b32_e32 v39, 0x80000000, v36
                                        ; implicit-def: $vgpr36_vgpr37
.LBB58_67:                              ;   in Loop: Header=BB58_3 Depth=1
	s_and_not1_saveexec_b32 s98, s98
	s_cbranch_execz .LBB58_69
; %bb.68:                               ;   in Loop: Header=BB58_3 Depth=1
	v_div_scale_f32 v0, null, v36, v36, v37
	v_div_scale_f32 v40, vcc_lo, v37, v36, v37
	s_delay_alu instid0(VALU_DEP_2) | instskip(SKIP_1) | instid1(TRANS32_DEP_1)
	v_rcp_f32_e32 v38, v0
	v_nop
	v_fma_f32 v39, -v0, v38, 1.0
	s_delay_alu instid0(VALU_DEP_1) | instskip(NEXT) | instid1(VALU_DEP_1)
	v_fmac_f32_e32 v38, v39, v38
	v_mul_f32_e32 v39, v40, v38
	s_delay_alu instid0(VALU_DEP_1) | instskip(NEXT) | instid1(VALU_DEP_1)
	v_fma_f32 v41, -v0, v39, v40
	v_fmac_f32_e32 v39, v41, v38
	s_delay_alu instid0(VALU_DEP_1) | instskip(NEXT) | instid1(VALU_DEP_1)
	v_fma_f32 v0, -v0, v39, v40
	v_div_fmas_f32 v0, v0, v38, v39
	s_delay_alu instid0(VALU_DEP_1) | instskip(NEXT) | instid1(VALU_DEP_1)
	v_div_fixup_f32 v0, v0, v36, v37
	v_fmac_f32_e32 v36, v37, v0
	s_delay_alu instid0(VALU_DEP_1) | instskip(NEXT) | instid1(VALU_DEP_1)
	v_div_scale_f32 v37, null, v36, v36, 1.0
	v_rcp_f32_e32 v38, v37
	v_nop
	s_delay_alu instid0(TRANS32_DEP_1) | instskip(NEXT) | instid1(VALU_DEP_1)
	v_fma_f32 v39, -v37, v38, 1.0
	v_fmac_f32_e32 v38, v39, v38
	v_div_scale_f32 v39, vcc_lo, 1.0, v36, 1.0
	s_delay_alu instid0(VALU_DEP_1) | instskip(NEXT) | instid1(VALU_DEP_1)
	v_mul_f32_e32 v40, v39, v38
	v_fma_f32 v41, -v37, v40, v39
	s_delay_alu instid0(VALU_DEP_1) | instskip(NEXT) | instid1(VALU_DEP_1)
	v_fmac_f32_e32 v40, v41, v38
	v_fma_f32 v37, -v37, v40, v39
	s_delay_alu instid0(VALU_DEP_1) | instskip(NEXT) | instid1(VALU_DEP_1)
	v_div_fmas_f32 v37, v37, v38, v40
	v_div_fixup_f32 v38, v37, v36, 1.0
	s_delay_alu instid0(VALU_DEP_1)
	v_mul_f32_e64 v39, v0, -v38
.LBB58_69:                              ;   in Loop: Header=BB58_3 Depth=1
	s_or_b32 exec_lo, exec_lo, s98
	ds_store_b64 v77, v[38:39]
.LBB58_70:                              ;   in Loop: Header=BB58_3 Depth=1
	s_or_b32 exec_lo, exec_lo, s97
.LBB58_71:                              ;   in Loop: Header=BB58_3 Depth=1
	s_and_not1_saveexec_b32 s6, s96
	s_cbranch_execz .LBB58_73
; %bb.72:                               ;   in Loop: Header=BB58_3 Depth=1
	v_lshl_add_u64 v[36:37], v[18:19], 3, s[70:71]
	global_load_b64 v[36:37], v[36:37], off
	s_wait_loadcnt 0x0
	v_pk_add_f32 v[36:37], v[36:37], 0 neg_lo:[1,1] neg_hi:[1,1]
	ds_store_b64 v77, v[36:37]
.LBB58_73:                              ;   in Loop: Header=BB58_3 Depth=1
	s_or_b32 exec_lo, exec_lo, s6
	s_branch .LBB58_131
.LBB58_74:                              ;   in Loop: Header=BB58_3 Depth=1
	v_readlane_b32 s7, v90, 14
	s_wait_xcnt 0x0
	s_and_saveexec_b32 s6, s7
	s_delay_alu instid0(SALU_CYCLE_1)
	s_xor_b32 s96, exec_lo, s6
	s_cbranch_execz .LBB58_86
; %bb.75:                               ;   in Loop: Header=BB58_3 Depth=1
	v_readlane_b32 s7, v90, 22
	s_and_saveexec_b32 s6, s7
	s_delay_alu instid0(SALU_CYCLE_1)
	s_xor_b32 s6, exec_lo, s6
	s_cbranch_execz .LBB58_79
; %bb.76:                               ;   in Loop: Header=BB58_3 Depth=1
	v_readlane_b32 s7, v89, 12
	s_and_saveexec_b32 s97, s7
; %bb.77:                               ;   in Loop: Header=BB58_3 Depth=1
	ds_store_b64 v71, v[32:33]
; %bb.78:                               ;   in Loop: Header=BB58_3 Depth=1
	s_or_b32 exec_lo, exec_lo, s97
.LBB58_79:                              ;   in Loop: Header=BB58_3 Depth=1
	s_and_not1_saveexec_b32 s97, s6
	s_cbranch_execz .LBB58_85
; %bb.80:                               ;   in Loop: Header=BB58_3 Depth=1
	v_lshl_add_u64 v[36:37], v[10:11], 3, s[70:71]
	s_mov_b32 s98, exec_lo
                                        ; implicit-def: $vgpr38_vgpr39
	global_load_b64 v[36:37], v[36:37], off
	s_wait_loadcnt 0x0
	v_cmpx_ngt_f32_e64 |v36|, |v37|
	s_xor_b32 s98, exec_lo, s98
	s_cbranch_execz .LBB58_82
; %bb.81:                               ;   in Loop: Header=BB58_3 Depth=1
	v_div_scale_f32 v0, null, v37, v37, v36
	v_div_scale_f32 v40, vcc_lo, v36, v37, v36
	s_delay_alu instid0(VALU_DEP_2) | instskip(SKIP_1) | instid1(TRANS32_DEP_1)
	v_rcp_f32_e32 v38, v0
	v_nop
	v_fma_f32 v39, -v0, v38, 1.0
	s_delay_alu instid0(VALU_DEP_1) | instskip(NEXT) | instid1(VALU_DEP_1)
	v_fmac_f32_e32 v38, v39, v38
	v_mul_f32_e32 v39, v40, v38
	s_delay_alu instid0(VALU_DEP_1) | instskip(NEXT) | instid1(VALU_DEP_1)
	v_fma_f32 v41, -v0, v39, v40
	v_fmac_f32_e32 v39, v41, v38
	s_delay_alu instid0(VALU_DEP_1) | instskip(NEXT) | instid1(VALU_DEP_1)
	v_fma_f32 v0, -v0, v39, v40
	v_div_fmas_f32 v0, v0, v38, v39
	s_delay_alu instid0(VALU_DEP_1) | instskip(NEXT) | instid1(VALU_DEP_1)
	v_div_fixup_f32 v0, v0, v37, v36
	v_fmac_f32_e32 v37, v36, v0
	s_delay_alu instid0(VALU_DEP_1) | instskip(SKIP_1) | instid1(VALU_DEP_2)
	v_div_scale_f32 v36, null, v37, v37, 1.0
	v_div_scale_f32 v40, vcc_lo, 1.0, v37, 1.0
	v_rcp_f32_e32 v38, v36
	v_nop
	s_delay_alu instid0(TRANS32_DEP_1) | instskip(NEXT) | instid1(VALU_DEP_1)
	v_fma_f32 v39, -v36, v38, 1.0
	v_fmac_f32_e32 v38, v39, v38
	s_delay_alu instid0(VALU_DEP_1) | instskip(NEXT) | instid1(VALU_DEP_1)
	v_mul_f32_e32 v39, v40, v38
	v_fma_f32 v41, -v36, v39, v40
	s_delay_alu instid0(VALU_DEP_1) | instskip(NEXT) | instid1(VALU_DEP_1)
	v_fmac_f32_e32 v39, v41, v38
	v_fma_f32 v36, -v36, v39, v40
	s_delay_alu instid0(VALU_DEP_1) | instskip(NEXT) | instid1(VALU_DEP_1)
	v_div_fmas_f32 v36, v36, v38, v39
	v_div_fixup_f32 v36, v36, v37, 1.0
	s_delay_alu instid0(VALU_DEP_1)
	v_mul_f32_e32 v38, v0, v36
	v_xor_b32_e32 v39, 0x80000000, v36
                                        ; implicit-def: $vgpr36_vgpr37
.LBB58_82:                              ;   in Loop: Header=BB58_3 Depth=1
	s_and_not1_saveexec_b32 s98, s98
	s_cbranch_execz .LBB58_84
; %bb.83:                               ;   in Loop: Header=BB58_3 Depth=1
	v_div_scale_f32 v0, null, v36, v36, v37
	v_div_scale_f32 v40, vcc_lo, v37, v36, v37
	s_delay_alu instid0(VALU_DEP_2) | instskip(SKIP_1) | instid1(TRANS32_DEP_1)
	v_rcp_f32_e32 v38, v0
	v_nop
	v_fma_f32 v39, -v0, v38, 1.0
	s_delay_alu instid0(VALU_DEP_1) | instskip(NEXT) | instid1(VALU_DEP_1)
	v_fmac_f32_e32 v38, v39, v38
	v_mul_f32_e32 v39, v40, v38
	s_delay_alu instid0(VALU_DEP_1) | instskip(NEXT) | instid1(VALU_DEP_1)
	v_fma_f32 v41, -v0, v39, v40
	v_fmac_f32_e32 v39, v41, v38
	s_delay_alu instid0(VALU_DEP_1) | instskip(NEXT) | instid1(VALU_DEP_1)
	v_fma_f32 v0, -v0, v39, v40
	v_div_fmas_f32 v0, v0, v38, v39
	s_delay_alu instid0(VALU_DEP_1) | instskip(NEXT) | instid1(VALU_DEP_1)
	v_div_fixup_f32 v0, v0, v36, v37
	v_fmac_f32_e32 v36, v37, v0
	s_delay_alu instid0(VALU_DEP_1) | instskip(NEXT) | instid1(VALU_DEP_1)
	v_div_scale_f32 v37, null, v36, v36, 1.0
	v_rcp_f32_e32 v38, v37
	v_nop
	s_delay_alu instid0(TRANS32_DEP_1) | instskip(NEXT) | instid1(VALU_DEP_1)
	v_fma_f32 v39, -v37, v38, 1.0
	v_fmac_f32_e32 v38, v39, v38
	v_div_scale_f32 v39, vcc_lo, 1.0, v36, 1.0
	s_delay_alu instid0(VALU_DEP_1) | instskip(NEXT) | instid1(VALU_DEP_1)
	v_mul_f32_e32 v40, v39, v38
	v_fma_f32 v41, -v37, v40, v39
	s_delay_alu instid0(VALU_DEP_1) | instskip(NEXT) | instid1(VALU_DEP_1)
	v_fmac_f32_e32 v40, v41, v38
	v_fma_f32 v37, -v37, v40, v39
	s_delay_alu instid0(VALU_DEP_1) | instskip(NEXT) | instid1(VALU_DEP_1)
	v_div_fmas_f32 v37, v37, v38, v40
	v_div_fixup_f32 v38, v37, v36, 1.0
	s_delay_alu instid0(VALU_DEP_1)
	v_mul_f32_e64 v39, v0, -v38
.LBB58_84:                              ;   in Loop: Header=BB58_3 Depth=1
	s_or_b32 exec_lo, exec_lo, s98
	ds_store_b64 v71, v[38:39]
.LBB58_85:                              ;   in Loop: Header=BB58_3 Depth=1
	s_or_b32 exec_lo, exec_lo, s97
.LBB58_86:                              ;   in Loop: Header=BB58_3 Depth=1
	s_and_not1_saveexec_b32 s6, s96
	s_cbranch_execz .LBB58_88
; %bb.87:                               ;   in Loop: Header=BB58_3 Depth=1
	v_lshl_add_u64 v[36:37], v[10:11], 3, s[70:71]
	global_load_b64 v[36:37], v[36:37], off
	s_wait_loadcnt 0x0
	v_pk_add_f32 v[36:37], v[36:37], 0 neg_lo:[1,1] neg_hi:[1,1]
	ds_store_b64 v71, v[36:37]
.LBB58_88:                              ;   in Loop: Header=BB58_3 Depth=1
	s_or_b32 exec_lo, exec_lo, s6
	v_readlane_b32 s7, v90, 16
	s_and_saveexec_b32 s6, s7
	s_delay_alu instid0(SALU_CYCLE_1)
	s_xor_b32 s96, exec_lo, s6
	s_cbranch_execz .LBB58_100
; %bb.89:                               ;   in Loop: Header=BB58_3 Depth=1
	v_readlane_b32 s7, v90, 24
	s_and_saveexec_b32 s6, s7
	s_delay_alu instid0(SALU_CYCLE_1)
	s_xor_b32 s6, exec_lo, s6
	s_cbranch_execz .LBB58_93
; %bb.90:                               ;   in Loop: Header=BB58_3 Depth=1
	v_readlane_b32 s7, v89, 13
	s_and_saveexec_b32 s97, s7
; %bb.91:                               ;   in Loop: Header=BB58_3 Depth=1
	ds_store_b64 v75, v[32:33]
; %bb.92:                               ;   in Loop: Header=BB58_3 Depth=1
	s_or_b32 exec_lo, exec_lo, s97
.LBB58_93:                              ;   in Loop: Header=BB58_3 Depth=1
	s_and_not1_saveexec_b32 s97, s6
	s_cbranch_execz .LBB58_99
; %bb.94:                               ;   in Loop: Header=BB58_3 Depth=1
	v_lshl_add_u64 v[36:37], v[12:13], 3, s[70:71]
	s_mov_b32 s98, exec_lo
                                        ; implicit-def: $vgpr38_vgpr39
	global_load_b64 v[36:37], v[36:37], off
	s_wait_loadcnt 0x0
	v_cmpx_ngt_f32_e64 |v36|, |v37|
	s_xor_b32 s98, exec_lo, s98
	s_cbranch_execz .LBB58_96
; %bb.95:                               ;   in Loop: Header=BB58_3 Depth=1
	v_div_scale_f32 v0, null, v37, v37, v36
	v_div_scale_f32 v40, vcc_lo, v36, v37, v36
	s_delay_alu instid0(VALU_DEP_2) | instskip(SKIP_1) | instid1(TRANS32_DEP_1)
	v_rcp_f32_e32 v38, v0
	v_nop
	v_fma_f32 v39, -v0, v38, 1.0
	s_delay_alu instid0(VALU_DEP_1) | instskip(NEXT) | instid1(VALU_DEP_1)
	v_fmac_f32_e32 v38, v39, v38
	v_mul_f32_e32 v39, v40, v38
	s_delay_alu instid0(VALU_DEP_1) | instskip(NEXT) | instid1(VALU_DEP_1)
	v_fma_f32 v41, -v0, v39, v40
	v_fmac_f32_e32 v39, v41, v38
	s_delay_alu instid0(VALU_DEP_1) | instskip(NEXT) | instid1(VALU_DEP_1)
	v_fma_f32 v0, -v0, v39, v40
	v_div_fmas_f32 v0, v0, v38, v39
	s_delay_alu instid0(VALU_DEP_1) | instskip(NEXT) | instid1(VALU_DEP_1)
	v_div_fixup_f32 v0, v0, v37, v36
	v_fmac_f32_e32 v37, v36, v0
	s_delay_alu instid0(VALU_DEP_1) | instskip(SKIP_1) | instid1(VALU_DEP_2)
	v_div_scale_f32 v36, null, v37, v37, 1.0
	v_div_scale_f32 v40, vcc_lo, 1.0, v37, 1.0
	v_rcp_f32_e32 v38, v36
	v_nop
	s_delay_alu instid0(TRANS32_DEP_1) | instskip(NEXT) | instid1(VALU_DEP_1)
	v_fma_f32 v39, -v36, v38, 1.0
	v_fmac_f32_e32 v38, v39, v38
	s_delay_alu instid0(VALU_DEP_1) | instskip(NEXT) | instid1(VALU_DEP_1)
	v_mul_f32_e32 v39, v40, v38
	v_fma_f32 v41, -v36, v39, v40
	s_delay_alu instid0(VALU_DEP_1) | instskip(NEXT) | instid1(VALU_DEP_1)
	v_fmac_f32_e32 v39, v41, v38
	v_fma_f32 v36, -v36, v39, v40
	s_delay_alu instid0(VALU_DEP_1) | instskip(NEXT) | instid1(VALU_DEP_1)
	v_div_fmas_f32 v36, v36, v38, v39
	v_div_fixup_f32 v36, v36, v37, 1.0
	s_delay_alu instid0(VALU_DEP_1)
	v_mul_f32_e32 v38, v0, v36
	v_xor_b32_e32 v39, 0x80000000, v36
                                        ; implicit-def: $vgpr36_vgpr37
.LBB58_96:                              ;   in Loop: Header=BB58_3 Depth=1
	s_and_not1_saveexec_b32 s98, s98
	s_cbranch_execz .LBB58_98
; %bb.97:                               ;   in Loop: Header=BB58_3 Depth=1
	v_div_scale_f32 v0, null, v36, v36, v37
	v_div_scale_f32 v40, vcc_lo, v37, v36, v37
	s_delay_alu instid0(VALU_DEP_2) | instskip(SKIP_1) | instid1(TRANS32_DEP_1)
	v_rcp_f32_e32 v38, v0
	v_nop
	v_fma_f32 v39, -v0, v38, 1.0
	s_delay_alu instid0(VALU_DEP_1) | instskip(NEXT) | instid1(VALU_DEP_1)
	v_fmac_f32_e32 v38, v39, v38
	v_mul_f32_e32 v39, v40, v38
	s_delay_alu instid0(VALU_DEP_1) | instskip(NEXT) | instid1(VALU_DEP_1)
	v_fma_f32 v41, -v0, v39, v40
	v_fmac_f32_e32 v39, v41, v38
	s_delay_alu instid0(VALU_DEP_1) | instskip(NEXT) | instid1(VALU_DEP_1)
	v_fma_f32 v0, -v0, v39, v40
	v_div_fmas_f32 v0, v0, v38, v39
	s_delay_alu instid0(VALU_DEP_1) | instskip(NEXT) | instid1(VALU_DEP_1)
	v_div_fixup_f32 v0, v0, v36, v37
	v_fmac_f32_e32 v36, v37, v0
	s_delay_alu instid0(VALU_DEP_1) | instskip(NEXT) | instid1(VALU_DEP_1)
	v_div_scale_f32 v37, null, v36, v36, 1.0
	v_rcp_f32_e32 v38, v37
	v_nop
	s_delay_alu instid0(TRANS32_DEP_1) | instskip(NEXT) | instid1(VALU_DEP_1)
	v_fma_f32 v39, -v37, v38, 1.0
	v_fmac_f32_e32 v38, v39, v38
	v_div_scale_f32 v39, vcc_lo, 1.0, v36, 1.0
	s_delay_alu instid0(VALU_DEP_1) | instskip(NEXT) | instid1(VALU_DEP_1)
	v_mul_f32_e32 v40, v39, v38
	v_fma_f32 v41, -v37, v40, v39
	s_delay_alu instid0(VALU_DEP_1) | instskip(NEXT) | instid1(VALU_DEP_1)
	v_fmac_f32_e32 v40, v41, v38
	v_fma_f32 v37, -v37, v40, v39
	s_delay_alu instid0(VALU_DEP_1) | instskip(NEXT) | instid1(VALU_DEP_1)
	v_div_fmas_f32 v37, v37, v38, v40
	v_div_fixup_f32 v38, v37, v36, 1.0
	s_delay_alu instid0(VALU_DEP_1)
	v_mul_f32_e64 v39, v0, -v38
.LBB58_98:                              ;   in Loop: Header=BB58_3 Depth=1
	s_or_b32 exec_lo, exec_lo, s98
	ds_store_b64 v75, v[38:39]
.LBB58_99:                              ;   in Loop: Header=BB58_3 Depth=1
	s_or_b32 exec_lo, exec_lo, s97
.LBB58_100:                             ;   in Loop: Header=BB58_3 Depth=1
	s_and_not1_saveexec_b32 s6, s96
	s_cbranch_execz .LBB58_102
; %bb.101:                              ;   in Loop: Header=BB58_3 Depth=1
	v_lshl_add_u64 v[36:37], v[12:13], 3, s[70:71]
	global_load_b64 v[36:37], v[36:37], off
	s_wait_loadcnt 0x0
	v_pk_add_f32 v[36:37], v[36:37], 0 neg_lo:[1,1] neg_hi:[1,1]
	ds_store_b64 v75, v[36:37]
.LBB58_102:                             ;   in Loop: Header=BB58_3 Depth=1
	s_or_b32 exec_lo, exec_lo, s6
	v_readlane_b32 s7, v90, 18
	s_and_saveexec_b32 s6, s7
	s_delay_alu instid0(SALU_CYCLE_1)
	s_xor_b32 s96, exec_lo, s6
	s_cbranch_execz .LBB58_114
; %bb.103:                              ;   in Loop: Header=BB58_3 Depth=1
	v_readlane_b32 s7, v90, 26
	s_and_saveexec_b32 s6, s7
	s_delay_alu instid0(SALU_CYCLE_1)
	s_xor_b32 s6, exec_lo, s6
	s_cbranch_execz .LBB58_107
; %bb.104:                              ;   in Loop: Header=BB58_3 Depth=1
	v_readlane_b32 s7, v89, 14
	s_and_saveexec_b32 s97, s7
; %bb.105:                              ;   in Loop: Header=BB58_3 Depth=1
	ds_store_b64 v76, v[32:33]
; %bb.106:                              ;   in Loop: Header=BB58_3 Depth=1
	s_or_b32 exec_lo, exec_lo, s97
.LBB58_107:                             ;   in Loop: Header=BB58_3 Depth=1
	s_and_not1_saveexec_b32 s97, s6
	s_cbranch_execz .LBB58_113
; %bb.108:                              ;   in Loop: Header=BB58_3 Depth=1
	v_lshl_add_u64 v[36:37], v[16:17], 3, s[70:71]
	s_mov_b32 s98, exec_lo
                                        ; implicit-def: $vgpr38_vgpr39
	global_load_b64 v[36:37], v[36:37], off
	s_wait_loadcnt 0x0
	v_cmpx_ngt_f32_e64 |v36|, |v37|
	s_xor_b32 s98, exec_lo, s98
	s_cbranch_execz .LBB58_110
; %bb.109:                              ;   in Loop: Header=BB58_3 Depth=1
	v_div_scale_f32 v0, null, v37, v37, v36
	v_div_scale_f32 v40, vcc_lo, v36, v37, v36
	s_delay_alu instid0(VALU_DEP_2) | instskip(SKIP_1) | instid1(TRANS32_DEP_1)
	v_rcp_f32_e32 v38, v0
	v_nop
	v_fma_f32 v39, -v0, v38, 1.0
	s_delay_alu instid0(VALU_DEP_1) | instskip(NEXT) | instid1(VALU_DEP_1)
	v_fmac_f32_e32 v38, v39, v38
	v_mul_f32_e32 v39, v40, v38
	s_delay_alu instid0(VALU_DEP_1) | instskip(NEXT) | instid1(VALU_DEP_1)
	v_fma_f32 v41, -v0, v39, v40
	v_fmac_f32_e32 v39, v41, v38
	s_delay_alu instid0(VALU_DEP_1) | instskip(NEXT) | instid1(VALU_DEP_1)
	v_fma_f32 v0, -v0, v39, v40
	v_div_fmas_f32 v0, v0, v38, v39
	s_delay_alu instid0(VALU_DEP_1) | instskip(NEXT) | instid1(VALU_DEP_1)
	v_div_fixup_f32 v0, v0, v37, v36
	v_fmac_f32_e32 v37, v36, v0
	s_delay_alu instid0(VALU_DEP_1) | instskip(SKIP_1) | instid1(VALU_DEP_2)
	v_div_scale_f32 v36, null, v37, v37, 1.0
	v_div_scale_f32 v40, vcc_lo, 1.0, v37, 1.0
	v_rcp_f32_e32 v38, v36
	v_nop
	s_delay_alu instid0(TRANS32_DEP_1) | instskip(NEXT) | instid1(VALU_DEP_1)
	v_fma_f32 v39, -v36, v38, 1.0
	v_fmac_f32_e32 v38, v39, v38
	s_delay_alu instid0(VALU_DEP_1) | instskip(NEXT) | instid1(VALU_DEP_1)
	v_mul_f32_e32 v39, v40, v38
	v_fma_f32 v41, -v36, v39, v40
	s_delay_alu instid0(VALU_DEP_1) | instskip(NEXT) | instid1(VALU_DEP_1)
	v_fmac_f32_e32 v39, v41, v38
	v_fma_f32 v36, -v36, v39, v40
	s_delay_alu instid0(VALU_DEP_1) | instskip(NEXT) | instid1(VALU_DEP_1)
	v_div_fmas_f32 v36, v36, v38, v39
	v_div_fixup_f32 v36, v36, v37, 1.0
	s_delay_alu instid0(VALU_DEP_1)
	v_mul_f32_e32 v38, v0, v36
	v_xor_b32_e32 v39, 0x80000000, v36
                                        ; implicit-def: $vgpr36_vgpr37
.LBB58_110:                             ;   in Loop: Header=BB58_3 Depth=1
	s_and_not1_saveexec_b32 s98, s98
	s_cbranch_execz .LBB58_112
; %bb.111:                              ;   in Loop: Header=BB58_3 Depth=1
	v_div_scale_f32 v0, null, v36, v36, v37
	v_div_scale_f32 v40, vcc_lo, v37, v36, v37
	s_delay_alu instid0(VALU_DEP_2) | instskip(SKIP_1) | instid1(TRANS32_DEP_1)
	v_rcp_f32_e32 v38, v0
	v_nop
	v_fma_f32 v39, -v0, v38, 1.0
	s_delay_alu instid0(VALU_DEP_1) | instskip(NEXT) | instid1(VALU_DEP_1)
	v_fmac_f32_e32 v38, v39, v38
	v_mul_f32_e32 v39, v40, v38
	s_delay_alu instid0(VALU_DEP_1) | instskip(NEXT) | instid1(VALU_DEP_1)
	v_fma_f32 v41, -v0, v39, v40
	v_fmac_f32_e32 v39, v41, v38
	s_delay_alu instid0(VALU_DEP_1) | instskip(NEXT) | instid1(VALU_DEP_1)
	v_fma_f32 v0, -v0, v39, v40
	v_div_fmas_f32 v0, v0, v38, v39
	s_delay_alu instid0(VALU_DEP_1) | instskip(NEXT) | instid1(VALU_DEP_1)
	v_div_fixup_f32 v0, v0, v36, v37
	v_fmac_f32_e32 v36, v37, v0
	s_delay_alu instid0(VALU_DEP_1) | instskip(NEXT) | instid1(VALU_DEP_1)
	v_div_scale_f32 v37, null, v36, v36, 1.0
	v_rcp_f32_e32 v38, v37
	v_nop
	s_delay_alu instid0(TRANS32_DEP_1) | instskip(NEXT) | instid1(VALU_DEP_1)
	v_fma_f32 v39, -v37, v38, 1.0
	v_fmac_f32_e32 v38, v39, v38
	v_div_scale_f32 v39, vcc_lo, 1.0, v36, 1.0
	s_delay_alu instid0(VALU_DEP_1) | instskip(NEXT) | instid1(VALU_DEP_1)
	v_mul_f32_e32 v40, v39, v38
	v_fma_f32 v41, -v37, v40, v39
	s_delay_alu instid0(VALU_DEP_1) | instskip(NEXT) | instid1(VALU_DEP_1)
	v_fmac_f32_e32 v40, v41, v38
	v_fma_f32 v37, -v37, v40, v39
	s_delay_alu instid0(VALU_DEP_1) | instskip(NEXT) | instid1(VALU_DEP_1)
	v_div_fmas_f32 v37, v37, v38, v40
	v_div_fixup_f32 v38, v37, v36, 1.0
	s_delay_alu instid0(VALU_DEP_1)
	v_mul_f32_e64 v39, v0, -v38
.LBB58_112:                             ;   in Loop: Header=BB58_3 Depth=1
	s_or_b32 exec_lo, exec_lo, s98
	ds_store_b64 v76, v[38:39]
.LBB58_113:                             ;   in Loop: Header=BB58_3 Depth=1
	s_or_b32 exec_lo, exec_lo, s97
.LBB58_114:                             ;   in Loop: Header=BB58_3 Depth=1
	s_and_not1_saveexec_b32 s6, s96
	s_cbranch_execz .LBB58_116
; %bb.115:                              ;   in Loop: Header=BB58_3 Depth=1
	v_lshl_add_u64 v[36:37], v[16:17], 3, s[70:71]
	global_load_b64 v[36:37], v[36:37], off
	s_wait_loadcnt 0x0
	v_pk_add_f32 v[36:37], v[36:37], 0 neg_lo:[1,1] neg_hi:[1,1]
	ds_store_b64 v76, v[36:37]
.LBB58_116:                             ;   in Loop: Header=BB58_3 Depth=1
	s_or_b32 exec_lo, exec_lo, s6
	v_readlane_b32 s7, v90, 20
	s_and_saveexec_b32 s6, s7
	s_delay_alu instid0(SALU_CYCLE_1)
	s_xor_b32 s96, exec_lo, s6
	s_cbranch_execz .LBB58_128
; %bb.117:                              ;   in Loop: Header=BB58_3 Depth=1
	v_readlane_b32 s7, v90, 28
	s_and_saveexec_b32 s6, s7
	s_delay_alu instid0(SALU_CYCLE_1)
	s_xor_b32 s6, exec_lo, s6
	s_cbranch_execz .LBB58_121
; %bb.118:                              ;   in Loop: Header=BB58_3 Depth=1
	v_readlane_b32 s7, v89, 15
	s_and_saveexec_b32 s97, s7
; %bb.119:                              ;   in Loop: Header=BB58_3 Depth=1
	ds_store_b64 v77, v[32:33]
; %bb.120:                              ;   in Loop: Header=BB58_3 Depth=1
	s_or_b32 exec_lo, exec_lo, s97
.LBB58_121:                             ;   in Loop: Header=BB58_3 Depth=1
	s_and_not1_saveexec_b32 s97, s6
	s_cbranch_execz .LBB58_127
; %bb.122:                              ;   in Loop: Header=BB58_3 Depth=1
	v_lshl_add_u64 v[36:37], v[18:19], 3, s[70:71]
	s_mov_b32 s98, exec_lo
                                        ; implicit-def: $vgpr38_vgpr39
	global_load_b64 v[36:37], v[36:37], off
	s_wait_loadcnt 0x0
	v_cmpx_ngt_f32_e64 |v36|, |v37|
	s_xor_b32 s98, exec_lo, s98
	s_cbranch_execz .LBB58_124
; %bb.123:                              ;   in Loop: Header=BB58_3 Depth=1
	v_div_scale_f32 v0, null, v37, v37, v36
	v_div_scale_f32 v40, vcc_lo, v36, v37, v36
	s_delay_alu instid0(VALU_DEP_2) | instskip(SKIP_1) | instid1(TRANS32_DEP_1)
	v_rcp_f32_e32 v38, v0
	v_nop
	v_fma_f32 v39, -v0, v38, 1.0
	s_delay_alu instid0(VALU_DEP_1) | instskip(NEXT) | instid1(VALU_DEP_1)
	v_fmac_f32_e32 v38, v39, v38
	v_mul_f32_e32 v39, v40, v38
	s_delay_alu instid0(VALU_DEP_1) | instskip(NEXT) | instid1(VALU_DEP_1)
	v_fma_f32 v41, -v0, v39, v40
	v_fmac_f32_e32 v39, v41, v38
	s_delay_alu instid0(VALU_DEP_1) | instskip(NEXT) | instid1(VALU_DEP_1)
	v_fma_f32 v0, -v0, v39, v40
	v_div_fmas_f32 v0, v0, v38, v39
	s_delay_alu instid0(VALU_DEP_1) | instskip(NEXT) | instid1(VALU_DEP_1)
	v_div_fixup_f32 v0, v0, v37, v36
	v_fmac_f32_e32 v37, v36, v0
	s_delay_alu instid0(VALU_DEP_1) | instskip(SKIP_1) | instid1(VALU_DEP_2)
	v_div_scale_f32 v36, null, v37, v37, 1.0
	v_div_scale_f32 v40, vcc_lo, 1.0, v37, 1.0
	v_rcp_f32_e32 v38, v36
	v_nop
	s_delay_alu instid0(TRANS32_DEP_1) | instskip(NEXT) | instid1(VALU_DEP_1)
	v_fma_f32 v39, -v36, v38, 1.0
	v_fmac_f32_e32 v38, v39, v38
	s_delay_alu instid0(VALU_DEP_1) | instskip(NEXT) | instid1(VALU_DEP_1)
	v_mul_f32_e32 v39, v40, v38
	v_fma_f32 v41, -v36, v39, v40
	s_delay_alu instid0(VALU_DEP_1) | instskip(NEXT) | instid1(VALU_DEP_1)
	v_fmac_f32_e32 v39, v41, v38
	v_fma_f32 v36, -v36, v39, v40
	s_delay_alu instid0(VALU_DEP_1) | instskip(NEXT) | instid1(VALU_DEP_1)
	v_div_fmas_f32 v36, v36, v38, v39
	v_div_fixup_f32 v36, v36, v37, 1.0
	s_delay_alu instid0(VALU_DEP_1)
	v_mul_f32_e32 v38, v0, v36
	v_xor_b32_e32 v39, 0x80000000, v36
                                        ; implicit-def: $vgpr36_vgpr37
.LBB58_124:                             ;   in Loop: Header=BB58_3 Depth=1
	s_and_not1_saveexec_b32 s98, s98
	s_cbranch_execz .LBB58_126
; %bb.125:                              ;   in Loop: Header=BB58_3 Depth=1
	v_div_scale_f32 v0, null, v36, v36, v37
	v_div_scale_f32 v40, vcc_lo, v37, v36, v37
	s_delay_alu instid0(VALU_DEP_2) | instskip(SKIP_1) | instid1(TRANS32_DEP_1)
	v_rcp_f32_e32 v38, v0
	v_nop
	v_fma_f32 v39, -v0, v38, 1.0
	s_delay_alu instid0(VALU_DEP_1) | instskip(NEXT) | instid1(VALU_DEP_1)
	v_fmac_f32_e32 v38, v39, v38
	v_mul_f32_e32 v39, v40, v38
	s_delay_alu instid0(VALU_DEP_1) | instskip(NEXT) | instid1(VALU_DEP_1)
	v_fma_f32 v41, -v0, v39, v40
	v_fmac_f32_e32 v39, v41, v38
	s_delay_alu instid0(VALU_DEP_1) | instskip(NEXT) | instid1(VALU_DEP_1)
	v_fma_f32 v0, -v0, v39, v40
	v_div_fmas_f32 v0, v0, v38, v39
	s_delay_alu instid0(VALU_DEP_1) | instskip(NEXT) | instid1(VALU_DEP_1)
	v_div_fixup_f32 v0, v0, v36, v37
	v_fmac_f32_e32 v36, v37, v0
	s_delay_alu instid0(VALU_DEP_1) | instskip(NEXT) | instid1(VALU_DEP_1)
	v_div_scale_f32 v37, null, v36, v36, 1.0
	v_rcp_f32_e32 v38, v37
	v_nop
	s_delay_alu instid0(TRANS32_DEP_1) | instskip(NEXT) | instid1(VALU_DEP_1)
	v_fma_f32 v39, -v37, v38, 1.0
	v_fmac_f32_e32 v38, v39, v38
	v_div_scale_f32 v39, vcc_lo, 1.0, v36, 1.0
	s_delay_alu instid0(VALU_DEP_1) | instskip(NEXT) | instid1(VALU_DEP_1)
	v_mul_f32_e32 v40, v39, v38
	v_fma_f32 v41, -v37, v40, v39
	s_delay_alu instid0(VALU_DEP_1) | instskip(NEXT) | instid1(VALU_DEP_1)
	v_fmac_f32_e32 v40, v41, v38
	v_fma_f32 v37, -v37, v40, v39
	s_delay_alu instid0(VALU_DEP_1) | instskip(NEXT) | instid1(VALU_DEP_1)
	v_div_fmas_f32 v37, v37, v38, v40
	v_div_fixup_f32 v38, v37, v36, 1.0
	s_delay_alu instid0(VALU_DEP_1)
	v_mul_f32_e64 v39, v0, -v38
.LBB58_126:                             ;   in Loop: Header=BB58_3 Depth=1
	s_or_b32 exec_lo, exec_lo, s98
	ds_store_b64 v77, v[38:39]
.LBB58_127:                             ;   in Loop: Header=BB58_3 Depth=1
	s_or_b32 exec_lo, exec_lo, s97
.LBB58_128:                             ;   in Loop: Header=BB58_3 Depth=1
	s_and_not1_saveexec_b32 s6, s96
	s_cbranch_execz .LBB58_130
; %bb.129:                              ;   in Loop: Header=BB58_3 Depth=1
	v_lshl_add_u64 v[36:37], v[18:19], 3, s[70:71]
	global_load_b64 v[36:37], v[36:37], off
	s_wait_loadcnt 0x0
	v_pk_add_f32 v[36:37], v[36:37], 0 neg_lo:[1,1] neg_hi:[1,1]
	ds_store_b64 v77, v[36:37]
.LBB58_130:                             ;   in Loop: Header=BB58_3 Depth=1
	s_or_b32 exec_lo, exec_lo, s6
.LBB58_131:                             ;   in Loop: Header=BB58_3 Depth=1
	s_delay_alu instid0(SALU_CYCLE_1)
	s_and_not1_b32 vcc_lo, exec_lo, vcc_hi
	s_wait_storecnt 0x0
	s_wait_loadcnt_dscnt 0x0
	s_barrier_signal -1
	s_barrier_wait -1
	s_cbranch_vccnz .LBB58_990
; %bb.132:                              ;   in Loop: Header=BB58_3 Depth=1
	s_and_saveexec_b32 s96, s14
	s_cbranch_execz .LBB58_134
; %bb.133:                              ;   in Loop: Header=BB58_3 Depth=1
	ds_load_b128 v[36:39], v1
	ds_load_b64 v[40:41], v1 offset:520
	s_wait_dscnt 0x1
	v_dual_mov_b32 v80, v39 :: v_dual_mov_b32 v81, v38
	s_wait_dscnt 0x0
	v_dual_mul_f32 v79, v41, v37 :: v_dual_mul_f32 v0, v40, v37
	s_delay_alu instid0(VALU_DEP_1) | instskip(NEXT) | instid1(VALU_DEP_1)
	v_xor_b32_e32 v82, 0x80000000, v79
	v_dual_fmac_f32 v0, v41, v36 :: v_dual_fmac_f32 v82, v40, v36
	s_delay_alu instid0(VALU_DEP_1) | instskip(NEXT) | instid1(VALU_DEP_1)
	v_pk_mul_f32 v[36:37], v[0:1], v[80:81] op_sel_hi:[0,1]
	v_pk_fma_f32 v[40:41], v[82:83], v[38:39], v[36:37] op_sel_hi:[0,1,1]
	v_pk_fma_f32 v[36:37], v[82:83], v[38:39], v[36:37] neg_lo:[0,0,1] neg_hi:[0,0,1]
	s_delay_alu instid0(VALU_DEP_2)
	v_mov_b32_e32 v37, v41
	ds_store_b64 v1, v[36:37] offset:8
.LBB58_134:                             ;   in Loop: Header=BB58_3 Depth=1
	s_or_b32 exec_lo, exec_lo, s96
	v_mov_b32_e32 v37, 0
	s_wait_dscnt 0x0
	s_barrier_signal -1
	s_barrier_wait -1
	s_delay_alu instid0(VALU_DEP_1)
	v_mov_b32_e32 v36, v37
	s_and_saveexec_b32 s96, s1
	s_cbranch_execz .LBB58_138
; %bb.135:                              ;   in Loop: Header=BB58_3 Depth=1
	ds_load_b64 v[36:37], v44 offset:16
	ds_load_b64 v[38:39], v45
	s_wait_dscnt 0x0
	v_dual_mul_f32 v0, v39, v37 :: v_dual_mul_f32 v41, v38, v37
	s_delay_alu instid0(VALU_DEP_1) | instskip(NEXT) | instid1(VALU_DEP_1)
	v_dual_fma_f32 v40, v38, v36, -v0 :: v_dual_fmac_f32 v41, v39, v36
	v_pk_add_f32 v[36:37], v[40:41], 0 op_sel_hi:[1,0]
	s_and_saveexec_b32 s6, s15
	s_cbranch_execz .LBB58_137
; %bb.136:                              ;   in Loop: Header=BB58_3 Depth=1
	ds_load_b64 v[38:39], v46 offset:528
	ds_load_b64 v[40:41], v1 offset:8
	s_wait_dscnt 0x0
	v_pk_mul_f32 v[80:81], v[40:41], v[38:39] op_sel:[1,1] op_sel_hi:[0,1]
	s_delay_alu instid0(VALU_DEP_1) | instskip(SKIP_1) | instid1(VALU_DEP_2)
	v_pk_fma_f32 v[82:83], v[40:41], v[38:39], v[80:81] op_sel_hi:[1,0,1]
	v_pk_fma_f32 v[38:39], v[40:41], v[38:39], v[80:81] neg_lo:[0,0,1] neg_hi:[0,0,1]
	v_mov_b32_e32 v39, v83
	s_delay_alu instid0(VALU_DEP_1)
	v_pk_add_f32 v[36:37], v[36:37], v[38:39]
.LBB58_137:                             ;   in Loop: Header=BB58_3 Depth=1
	s_or_b32 exec_lo, exec_lo, s6
	s_delay_alu instid0(VALU_DEP_1)
	v_pk_add_f32 v[36:37], v[36:37], 0 neg_lo:[1,1] neg_hi:[1,1]
.LBB58_138:                             ;   in Loop: Header=BB58_3 Depth=1
	s_or_b32 exec_lo, exec_lo, s96
	s_and_saveexec_b32 s6, s43
	s_cbranch_execz .LBB58_140
; %bb.139:                              ;   in Loop: Header=BB58_3 Depth=1
	ds_load_b64 v[38:39], v1 offset:1040
	s_wait_dscnt 0x0
	v_pk_mul_f32 v[40:41], v[36:37], v[38:39] op_sel:[1,1] op_sel_hi:[1,0]
	s_delay_alu instid0(VALU_DEP_1) | instskip(SKIP_1) | instid1(VALU_DEP_2)
	v_pk_fma_f32 v[80:81], v[36:37], v[38:39], v[40:41] op_sel_hi:[0,1,1]
	v_pk_fma_f32 v[38:39], v[36:37], v[38:39], v[40:41] neg_lo:[0,0,1] neg_hi:[0,0,1]
	v_mov_b32_e32 v39, v81
	s_delay_alu instid0(VALU_DEP_1)
	v_mov_b64_e32 v[36:37], v[38:39]
	ds_store_b64 v3, v[38:39]
.LBB58_140:                             ;   in Loop: Header=BB58_3 Depth=1
	s_or_b32 exec_lo, exec_lo, s6
	s_wait_dscnt 0x0
	s_barrier_signal -1
	s_barrier_wait -1
	s_and_saveexec_b32 s6, s44
	s_cbranch_execz .LBB58_142
; %bb.141:                              ;   in Loop: Header=BB58_3 Depth=1
	ds_load_b64 v[38:39], v1 offset:1048
	ds_load_b64 v[40:41], v3
	s_wait_dscnt 0x0
	v_pk_mul_f32 v[80:81], v[40:41], v[38:39] op_sel:[1,1] op_sel_hi:[0,1]
	s_delay_alu instid0(VALU_DEP_1) | instskip(SKIP_1) | instid1(VALU_DEP_2)
	v_pk_fma_f32 v[82:83], v[40:41], v[38:39], v[80:81] op_sel_hi:[1,0,1]
	v_pk_fma_f32 v[38:39], v[40:41], v[38:39], v[80:81] neg_lo:[0,0,1] neg_hi:[0,0,1]
	v_mov_b32_e32 v39, v83
	s_delay_alu instid0(VALU_DEP_1)
	v_pk_add_f32 v[36:37], v[36:37], v[38:39]
.LBB58_142:                             ;   in Loop: Header=BB58_3 Depth=1
	s_or_b32 exec_lo, exec_lo, s6
	s_barrier_signal -1
	s_barrier_wait -1
	s_and_saveexec_b32 s6, s44
	s_cbranch_execz .LBB58_144
; %bb.143:                              ;   in Loop: Header=BB58_3 Depth=1
	ds_load_b64 v[38:39], v1 offset:1560
	s_wait_dscnt 0x0
	v_pk_mul_f32 v[40:41], v[36:37], v[38:39] op_sel:[1,1] op_sel_hi:[1,0]
	s_delay_alu instid0(VALU_DEP_1) | instskip(SKIP_1) | instid1(VALU_DEP_2)
	v_pk_fma_f32 v[80:81], v[36:37], v[38:39], v[40:41] op_sel_hi:[0,1,1]
	v_pk_fma_f32 v[38:39], v[36:37], v[38:39], v[40:41] neg_lo:[0,0,1] neg_hi:[0,0,1]
	v_mov_b32_e32 v39, v81
	s_delay_alu instid0(VALU_DEP_1)
	v_mov_b64_e32 v[36:37], v[38:39]
	ds_store_b64 v3, v[38:39]
.LBB58_144:                             ;   in Loop: Header=BB58_3 Depth=1
	s_or_b32 exec_lo, exec_lo, s6
	s_wait_dscnt 0x0
	s_barrier_signal -1
	s_barrier_wait -1
	s_barrier_signal -1
	s_barrier_wait -1
	s_and_saveexec_b32 s6, s1
; %bb.145:                              ;   in Loop: Header=BB58_3 Depth=1
	v_pk_add_f32 v[36:37], v[36:37], 0 neg_lo:[1,1] neg_hi:[1,1]
	ds_store_b64 v44, v[36:37] offset:16
; %bb.146:                              ;   in Loop: Header=BB58_3 Depth=1
	s_or_b32 exec_lo, exec_lo, s6
	s_wait_dscnt 0x0
	s_barrier_signal -1
	s_barrier_wait -1
	s_barrier_signal -1
	s_barrier_wait -1
	s_and_saveexec_b32 s96, s14
	s_cbranch_execz .LBB58_148
; %bb.147:                              ;   in Loop: Header=BB58_3 Depth=1
	ds_load_b128 v[36:39], v1 offset:1040
	ds_load_b64 v[40:41], v1 offset:1560
	s_wait_dscnt 0x1
	v_dual_mov_b32 v80, v39 :: v_dual_mov_b32 v81, v38
	s_wait_dscnt 0x0
	v_dual_mul_f32 v79, v41, v37 :: v_dual_mul_f32 v0, v40, v37
	s_delay_alu instid0(VALU_DEP_1) | instskip(NEXT) | instid1(VALU_DEP_1)
	v_xor_b32_e32 v82, 0x80000000, v79
	v_dual_fmac_f32 v0, v41, v36 :: v_dual_fmac_f32 v82, v40, v36
	s_delay_alu instid0(VALU_DEP_1) | instskip(NEXT) | instid1(VALU_DEP_1)
	v_pk_mul_f32 v[36:37], v[0:1], v[80:81] op_sel_hi:[0,1]
	v_pk_fma_f32 v[40:41], v[82:83], v[38:39], v[36:37] op_sel_hi:[0,1,1]
	v_pk_fma_f32 v[36:37], v[82:83], v[38:39], v[36:37] neg_lo:[0,0,1] neg_hi:[0,0,1]
	s_delay_alu instid0(VALU_DEP_2)
	v_mov_b32_e32 v37, v41
	ds_store_b64 v1, v[36:37] offset:1048
.LBB58_148:                             ;   in Loop: Header=BB58_3 Depth=1
	s_or_b32 exec_lo, exec_lo, s96
	v_mov_b32_e32 v36, 0
	s_wait_dscnt 0x0
	s_barrier_signal -1
	s_barrier_wait -1
	s_delay_alu instid0(VALU_DEP_1)
	v_mov_b32_e32 v37, v36
	s_and_saveexec_b32 s96, s2
	s_cbranch_execz .LBB58_154
; %bb.149:                              ;   in Loop: Header=BB58_3 Depth=1
	ds_load_b64 v[36:37], v50 offset:32
	ds_load_b64 v[38:39], v47
	s_wait_dscnt 0x0
	v_pk_mul_f32 v[40:41], v[38:39], v[36:37] op_sel:[0,1]
	s_delay_alu instid0(VALU_DEP_1) | instskip(SKIP_1) | instid1(VALU_DEP_2)
	v_pk_fma_f32 v[80:81], v[38:39], v[36:37], v[40:41] op_sel:[1,0,0] op_sel_hi:[0,0,1] neg_lo:[0,0,1] neg_hi:[0,0,1]
	v_pk_fma_f32 v[36:37], v[38:39], v[36:37], v[40:41] op_sel:[1,0,0] op_sel_hi:[0,1,1]
	v_mov_b32_e32 v37, v81
	s_delay_alu instid0(VALU_DEP_1)
	v_pk_add_f32 v[36:37], v[36:37], 0 op_sel_hi:[1,0]
	s_and_saveexec_b32 s6, s16
	s_cbranch_execnz .LBB58_1047
; %bb.150:                              ;   in Loop: Header=BB58_3 Depth=1
	s_or_b32 exec_lo, exec_lo, s6
	s_and_saveexec_b32 s6, s17
	s_cbranch_execnz .LBB58_1048
.LBB58_151:                             ;   in Loop: Header=BB58_3 Depth=1
	s_or_b32 exec_lo, exec_lo, s6
	s_and_saveexec_b32 s6, s1
	s_cbranch_execz .LBB58_153
.LBB58_152:                             ;   in Loop: Header=BB58_3 Depth=1
	ds_load_b64 v[38:39], v46 offset:1568
	ds_load_b64 v[40:41], v1 offset:24
	s_wait_dscnt 0x0
	v_pk_mul_f32 v[80:81], v[40:41], v[38:39] op_sel:[0,1]
	s_delay_alu instid0(VALU_DEP_1) | instskip(SKIP_1) | instid1(VALU_DEP_2)
	v_pk_fma_f32 v[82:83], v[40:41], v[38:39], v[80:81] op_sel:[1,0,0] op_sel_hi:[0,0,1] neg_lo:[0,0,1] neg_hi:[0,0,1]
	v_pk_fma_f32 v[38:39], v[40:41], v[38:39], v[80:81] op_sel:[1,0,0] op_sel_hi:[0,1,1]
	v_mov_b32_e32 v39, v83
	s_delay_alu instid0(VALU_DEP_1)
	v_pk_add_f32 v[36:37], v[36:37], v[38:39]
.LBB58_153:                             ;   in Loop: Header=BB58_3 Depth=1
	s_or_b32 exec_lo, exec_lo, s6
	s_delay_alu instid0(VALU_DEP_1) | instskip(NEXT) | instid1(VALU_DEP_1)
	v_pk_add_f32 v[38:39], v[36:37], 0 neg_lo:[1,1] neg_hi:[1,1]
	v_dual_mov_b32 v36, v39 :: v_dual_mov_b32 v37, v38
.LBB58_154:                             ;   in Loop: Header=BB58_3 Depth=1
	s_or_b32 exec_lo, exec_lo, s96
	s_and_saveexec_b32 s6, s45
	s_cbranch_execz .LBB58_156
; %bb.155:                              ;   in Loop: Header=BB58_3 Depth=1
	ds_load_b64 v[38:39], v1 offset:2080
	v_dual_mov_b32 v40, v37 :: v_dual_mov_b32 v41, v36
	s_wait_dscnt 0x0
	s_delay_alu instid0(VALU_DEP_1) | instskip(NEXT) | instid1(VALU_DEP_1)
	v_dual_mul_f32 v0, v40, v38 :: v_dual_mul_f32 v80, v37, v39
	v_pk_fma_f32 v[40:41], v[40:41], v[38:39], v[0:1] op_sel_hi:[1,1,0]
	s_delay_alu instid0(VALU_DEP_2) | instskip(NEXT) | instid1(VALU_DEP_2)
	v_pk_fma_f32 v[36:37], v[36:37], v[38:39], v[80:81] op_sel_hi:[1,1,0] neg_lo:[0,0,1] neg_hi:[0,0,1]
	v_mov_b32_e32 v37, v41
	ds_store_b64 v48, v[36:37]
.LBB58_156:                             ;   in Loop: Header=BB58_3 Depth=1
	s_or_b32 exec_lo, exec_lo, s6
	s_wait_dscnt 0x0
	s_barrier_signal -1
	s_barrier_wait -1
	s_and_saveexec_b32 s6, s46
	s_cbranch_execz .LBB58_158
; %bb.157:                              ;   in Loop: Header=BB58_3 Depth=1
	ds_load_b64 v[38:39], v49 offset:2080
	ds_load_b64 v[40:41], v48
	s_wait_dscnt 0x0
	v_dual_mul_f32 v0, v41, v39 :: v_dual_mul_f32 v81, v40, v39
	s_delay_alu instid0(VALU_DEP_1) | instskip(NEXT) | instid1(VALU_DEP_1)
	v_dual_fma_f32 v80, v40, v38, -v0 :: v_dual_fmac_f32 v81, v41, v38
	v_pk_add_f32 v[36:37], v[36:37], v[80:81]
.LBB58_158:                             ;   in Loop: Header=BB58_3 Depth=1
	s_or_b32 exec_lo, exec_lo, s6
	s_barrier_signal -1
	s_barrier_wait -1
	s_and_saveexec_b32 s6, s47
	s_cbranch_execz .LBB58_160
; %bb.159:                              ;   in Loop: Header=BB58_3 Depth=1
	ds_load_b64 v[38:39], v1 offset:2600
	s_wait_dscnt 0x0
	v_pk_mul_f32 v[40:41], v[36:37], v[38:39] op_sel:[1,1] op_sel_hi:[1,0]
	s_delay_alu instid0(VALU_DEP_1) | instskip(SKIP_1) | instid1(VALU_DEP_2)
	v_pk_fma_f32 v[80:81], v[36:37], v[38:39], v[40:41] op_sel_hi:[0,1,1]
	v_pk_fma_f32 v[38:39], v[36:37], v[38:39], v[40:41] neg_lo:[0,0,1] neg_hi:[0,0,1]
	v_mov_b32_e32 v39, v81
	s_delay_alu instid0(VALU_DEP_1)
	v_mov_b64_e32 v[36:37], v[38:39]
	ds_store_b64 v48, v[38:39]
.LBB58_160:                             ;   in Loop: Header=BB58_3 Depth=1
	s_or_b32 exec_lo, exec_lo, s6
	s_wait_dscnt 0x0
	s_barrier_signal -1
	s_barrier_wait -1
	s_and_saveexec_b32 s6, s48
	s_cbranch_execz .LBB58_162
; %bb.161:                              ;   in Loop: Header=BB58_3 Depth=1
	ds_load_b64 v[38:39], v49 offset:2592
	ds_load_b64 v[40:41], v48
	s_wait_dscnt 0x0
	v_pk_mul_f32 v[80:81], v[40:41], v[38:39] op_sel:[1,1] op_sel_hi:[0,1]
	s_delay_alu instid0(VALU_DEP_1) | instskip(SKIP_1) | instid1(VALU_DEP_2)
	v_pk_fma_f32 v[82:83], v[40:41], v[38:39], v[80:81] op_sel_hi:[1,0,1]
	v_pk_fma_f32 v[38:39], v[40:41], v[38:39], v[80:81] neg_lo:[0,0,1] neg_hi:[0,0,1]
	v_mov_b32_e32 v39, v83
	s_delay_alu instid0(VALU_DEP_1)
	v_pk_add_f32 v[36:37], v[36:37], v[38:39]
.LBB58_162:                             ;   in Loop: Header=BB58_3 Depth=1
	s_or_b32 exec_lo, exec_lo, s6
	s_barrier_signal -1
	s_barrier_wait -1
	s_and_saveexec_b32 s6, s49
	s_cbranch_execz .LBB58_164
; %bb.163:                              ;   in Loop: Header=BB58_3 Depth=1
	ds_load_b64 v[38:39], v1 offset:3120
	s_wait_dscnt 0x0
	v_pk_mul_f32 v[40:41], v[36:37], v[38:39] op_sel:[1,1] op_sel_hi:[1,0]
	s_delay_alu instid0(VALU_DEP_1) | instskip(SKIP_1) | instid1(VALU_DEP_2)
	v_pk_fma_f32 v[80:81], v[36:37], v[38:39], v[40:41] op_sel_hi:[0,1,1]
	v_pk_fma_f32 v[38:39], v[36:37], v[38:39], v[40:41] neg_lo:[0,0,1] neg_hi:[0,0,1]
	v_mov_b32_e32 v39, v81
	s_delay_alu instid0(VALU_DEP_1)
	v_mov_b64_e32 v[36:37], v[38:39]
	ds_store_b64 v48, v[38:39]
.LBB58_164:                             ;   in Loop: Header=BB58_3 Depth=1
	s_or_b32 exec_lo, exec_lo, s6
	s_wait_dscnt 0x0
	s_barrier_signal -1
	s_barrier_wait -1
	s_and_saveexec_b32 s6, s50
	s_cbranch_execz .LBB58_166
; %bb.165:                              ;   in Loop: Header=BB58_3 Depth=1
	ds_load_b64 v[38:39], v1 offset:3128
	ds_load_b64 v[40:41], v48
	s_wait_dscnt 0x0
	v_pk_mul_f32 v[80:81], v[40:41], v[38:39] op_sel:[1,1] op_sel_hi:[0,1]
	s_delay_alu instid0(VALU_DEP_1) | instskip(SKIP_1) | instid1(VALU_DEP_2)
	v_pk_fma_f32 v[82:83], v[40:41], v[38:39], v[80:81] op_sel_hi:[1,0,1]
	v_pk_fma_f32 v[38:39], v[40:41], v[38:39], v[80:81] neg_lo:[0,0,1] neg_hi:[0,0,1]
	v_mov_b32_e32 v39, v83
	s_delay_alu instid0(VALU_DEP_1)
	v_pk_add_f32 v[36:37], v[36:37], v[38:39]
.LBB58_166:                             ;   in Loop: Header=BB58_3 Depth=1
	s_or_b32 exec_lo, exec_lo, s6
	s_barrier_signal -1
	s_barrier_wait -1
	s_and_saveexec_b32 s6, s50
	s_cbranch_execz .LBB58_168
; %bb.167:                              ;   in Loop: Header=BB58_3 Depth=1
	ds_load_b64 v[38:39], v1 offset:3640
	s_wait_dscnt 0x0
	v_pk_mul_f32 v[40:41], v[36:37], v[38:39] op_sel:[1,1] op_sel_hi:[1,0]
	s_delay_alu instid0(VALU_DEP_1) | instskip(SKIP_1) | instid1(VALU_DEP_2)
	v_pk_fma_f32 v[80:81], v[36:37], v[38:39], v[40:41] op_sel_hi:[0,1,1]
	v_pk_fma_f32 v[38:39], v[36:37], v[38:39], v[40:41] neg_lo:[0,0,1] neg_hi:[0,0,1]
	v_mov_b32_e32 v39, v81
	s_delay_alu instid0(VALU_DEP_1)
	v_mov_b64_e32 v[36:37], v[38:39]
	ds_store_b64 v48, v[38:39]
.LBB58_168:                             ;   in Loop: Header=BB58_3 Depth=1
	s_or_b32 exec_lo, exec_lo, s6
	s_wait_dscnt 0x0
	s_barrier_signal -1
	s_barrier_wait -1
	s_barrier_signal -1
	s_barrier_wait -1
	s_and_saveexec_b32 s6, s2
; %bb.169:                              ;   in Loop: Header=BB58_3 Depth=1
	v_pk_add_f32 v[36:37], v[36:37], 0 neg_lo:[1,1] neg_hi:[1,1]
	ds_store_b64 v50, v[36:37] offset:32
; %bb.170:                              ;   in Loop: Header=BB58_3 Depth=1
	s_or_b32 exec_lo, exec_lo, s6
	s_wait_dscnt 0x0
	s_barrier_signal -1
	s_barrier_wait -1
	s_barrier_signal -1
	s_barrier_wait -1
	s_and_saveexec_b32 s96, s14
	s_cbranch_execz .LBB58_172
; %bb.171:                              ;   in Loop: Header=BB58_3 Depth=1
	ds_load_b128 v[36:39], v1 offset:2080
	ds_load_b64 v[40:41], v1 offset:2600
	s_wait_dscnt 0x1
	v_dual_mov_b32 v80, v39 :: v_dual_mov_b32 v81, v38
	s_wait_dscnt 0x0
	v_dual_mul_f32 v79, v41, v37 :: v_dual_mul_f32 v0, v40, v37
	s_delay_alu instid0(VALU_DEP_1) | instskip(NEXT) | instid1(VALU_DEP_1)
	v_xor_b32_e32 v82, 0x80000000, v79
	v_dual_fmac_f32 v0, v41, v36 :: v_dual_fmac_f32 v82, v40, v36
	s_delay_alu instid0(VALU_DEP_1) | instskip(NEXT) | instid1(VALU_DEP_1)
	v_pk_mul_f32 v[36:37], v[0:1], v[80:81] op_sel_hi:[0,1]
	v_pk_fma_f32 v[40:41], v[82:83], v[38:39], v[36:37] op_sel_hi:[0,1,1]
	v_pk_fma_f32 v[36:37], v[82:83], v[38:39], v[36:37] neg_lo:[0,0,1] neg_hi:[0,0,1]
	s_delay_alu instid0(VALU_DEP_2)
	v_mov_b32_e32 v37, v41
	ds_store_b64 v1, v[36:37] offset:2088
.LBB58_172:                             ;   in Loop: Header=BB58_3 Depth=1
	s_or_b32 exec_lo, exec_lo, s96
	v_mov_b32_e32 v37, 0
	s_wait_dscnt 0x0
	s_barrier_signal -1
	s_barrier_wait -1
	s_delay_alu instid0(VALU_DEP_1)
	v_mov_b32_e32 v36, v37
	s_and_saveexec_b32 s96, s1
	s_cbranch_execz .LBB58_176
; %bb.173:                              ;   in Loop: Header=BB58_3 Depth=1
	ds_load_b64 v[36:37], v44 offset:2096
	ds_load_b64 v[38:39], v45 offset:2080
	s_wait_dscnt 0x0
	v_dual_mul_f32 v0, v39, v37 :: v_dual_mul_f32 v41, v38, v37
	s_delay_alu instid0(VALU_DEP_1) | instskip(NEXT) | instid1(VALU_DEP_1)
	v_dual_fma_f32 v40, v38, v36, -v0 :: v_dual_fmac_f32 v41, v39, v36
	v_pk_add_f32 v[36:37], v[40:41], 0 op_sel_hi:[1,0]
	s_and_saveexec_b32 s6, s15
	s_cbranch_execz .LBB58_175
; %bb.174:                              ;   in Loop: Header=BB58_3 Depth=1
	ds_load_b64 v[38:39], v46 offset:2608
	ds_load_b64 v[40:41], v1 offset:2088
	s_wait_dscnt 0x0
	v_pk_mul_f32 v[80:81], v[40:41], v[38:39] op_sel:[1,1] op_sel_hi:[0,1]
	s_delay_alu instid0(VALU_DEP_1) | instskip(SKIP_1) | instid1(VALU_DEP_2)
	v_pk_fma_f32 v[82:83], v[40:41], v[38:39], v[80:81] op_sel_hi:[1,0,1]
	v_pk_fma_f32 v[38:39], v[40:41], v[38:39], v[80:81] neg_lo:[0,0,1] neg_hi:[0,0,1]
	v_mov_b32_e32 v39, v83
	s_delay_alu instid0(VALU_DEP_1)
	v_pk_add_f32 v[36:37], v[36:37], v[38:39]
.LBB58_175:                             ;   in Loop: Header=BB58_3 Depth=1
	s_or_b32 exec_lo, exec_lo, s6
	s_delay_alu instid0(VALU_DEP_1)
	v_pk_add_f32 v[36:37], v[36:37], 0 neg_lo:[1,1] neg_hi:[1,1]
.LBB58_176:                             ;   in Loop: Header=BB58_3 Depth=1
	s_or_b32 exec_lo, exec_lo, s96
	s_and_saveexec_b32 s6, s43
	s_cbranch_execz .LBB58_178
; %bb.177:                              ;   in Loop: Header=BB58_3 Depth=1
	ds_load_b64 v[38:39], v1 offset:3120
	s_wait_dscnt 0x0
	v_pk_mul_f32 v[40:41], v[36:37], v[38:39] op_sel:[1,1] op_sel_hi:[1,0]
	s_delay_alu instid0(VALU_DEP_1) | instskip(SKIP_1) | instid1(VALU_DEP_2)
	v_pk_fma_f32 v[80:81], v[36:37], v[38:39], v[40:41] op_sel_hi:[0,1,1]
	v_pk_fma_f32 v[38:39], v[36:37], v[38:39], v[40:41] neg_lo:[0,0,1] neg_hi:[0,0,1]
	v_mov_b32_e32 v39, v81
	s_delay_alu instid0(VALU_DEP_1)
	v_mov_b64_e32 v[36:37], v[38:39]
	ds_store_b64 v3, v[38:39]
.LBB58_178:                             ;   in Loop: Header=BB58_3 Depth=1
	s_or_b32 exec_lo, exec_lo, s6
	s_wait_dscnt 0x0
	s_barrier_signal -1
	s_barrier_wait -1
	s_and_saveexec_b32 s6, s44
	s_cbranch_execz .LBB58_180
; %bb.179:                              ;   in Loop: Header=BB58_3 Depth=1
	ds_load_b64 v[38:39], v1 offset:3128
	ds_load_b64 v[40:41], v3
	s_wait_dscnt 0x0
	v_pk_mul_f32 v[80:81], v[40:41], v[38:39] op_sel:[1,1] op_sel_hi:[0,1]
	s_delay_alu instid0(VALU_DEP_1) | instskip(SKIP_1) | instid1(VALU_DEP_2)
	v_pk_fma_f32 v[82:83], v[40:41], v[38:39], v[80:81] op_sel_hi:[1,0,1]
	v_pk_fma_f32 v[38:39], v[40:41], v[38:39], v[80:81] neg_lo:[0,0,1] neg_hi:[0,0,1]
	v_mov_b32_e32 v39, v83
	s_delay_alu instid0(VALU_DEP_1)
	v_pk_add_f32 v[36:37], v[36:37], v[38:39]
.LBB58_180:                             ;   in Loop: Header=BB58_3 Depth=1
	s_or_b32 exec_lo, exec_lo, s6
	s_barrier_signal -1
	s_barrier_wait -1
	s_and_saveexec_b32 s6, s44
	s_cbranch_execz .LBB58_182
; %bb.181:                              ;   in Loop: Header=BB58_3 Depth=1
	ds_load_b64 v[38:39], v1 offset:3640
	s_wait_dscnt 0x0
	v_pk_mul_f32 v[40:41], v[36:37], v[38:39] op_sel:[1,1] op_sel_hi:[1,0]
	s_delay_alu instid0(VALU_DEP_1) | instskip(SKIP_1) | instid1(VALU_DEP_2)
	v_pk_fma_f32 v[80:81], v[36:37], v[38:39], v[40:41] op_sel_hi:[0,1,1]
	v_pk_fma_f32 v[38:39], v[36:37], v[38:39], v[40:41] neg_lo:[0,0,1] neg_hi:[0,0,1]
	v_mov_b32_e32 v39, v81
	s_delay_alu instid0(VALU_DEP_1)
	v_mov_b64_e32 v[36:37], v[38:39]
	ds_store_b64 v3, v[38:39]
.LBB58_182:                             ;   in Loop: Header=BB58_3 Depth=1
	s_or_b32 exec_lo, exec_lo, s6
	s_wait_dscnt 0x0
	s_barrier_signal -1
	s_barrier_wait -1
	s_barrier_signal -1
	s_barrier_wait -1
	s_and_saveexec_b32 s6, s1
; %bb.183:                              ;   in Loop: Header=BB58_3 Depth=1
	v_pk_add_f32 v[36:37], v[36:37], 0 neg_lo:[1,1] neg_hi:[1,1]
	ds_store_b64 v44, v[36:37] offset:2096
; %bb.184:                              ;   in Loop: Header=BB58_3 Depth=1
	s_or_b32 exec_lo, exec_lo, s6
	s_wait_dscnt 0x0
	s_barrier_signal -1
	s_barrier_wait -1
	s_barrier_signal -1
	s_barrier_wait -1
	s_and_saveexec_b32 s96, s14
	s_cbranch_execz .LBB58_186
; %bb.185:                              ;   in Loop: Header=BB58_3 Depth=1
	ds_load_b128 v[36:39], v1 offset:3120
	ds_load_b64 v[40:41], v1 offset:3640
	s_wait_dscnt 0x1
	v_dual_mov_b32 v80, v39 :: v_dual_mov_b32 v81, v38
	s_wait_dscnt 0x0
	v_dual_mul_f32 v79, v41, v37 :: v_dual_mul_f32 v0, v40, v37
	s_delay_alu instid0(VALU_DEP_1) | instskip(NEXT) | instid1(VALU_DEP_1)
	v_xor_b32_e32 v82, 0x80000000, v79
	v_dual_fmac_f32 v0, v41, v36 :: v_dual_fmac_f32 v82, v40, v36
	s_delay_alu instid0(VALU_DEP_1) | instskip(NEXT) | instid1(VALU_DEP_1)
	v_pk_mul_f32 v[36:37], v[0:1], v[80:81] op_sel_hi:[0,1]
	v_pk_fma_f32 v[40:41], v[82:83], v[38:39], v[36:37] op_sel_hi:[0,1,1]
	v_pk_fma_f32 v[36:37], v[82:83], v[38:39], v[36:37] neg_lo:[0,0,1] neg_hi:[0,0,1]
	s_delay_alu instid0(VALU_DEP_2)
	v_mov_b32_e32 v37, v41
	ds_store_b64 v1, v[36:37] offset:3128
.LBB58_186:                             ;   in Loop: Header=BB58_3 Depth=1
	s_or_b32 exec_lo, exec_lo, s96
	v_mov_b32_e32 v36, 0
	s_wait_dscnt 0x0
	s_barrier_signal -1
	s_barrier_wait -1
	s_delay_alu instid0(VALU_DEP_1)
	v_mov_b32_e32 v37, v36
	s_and_saveexec_b32 s96, s3
	s_cbranch_execz .LBB58_196
; %bb.187:                              ;   in Loop: Header=BB58_3 Depth=1
	ds_load_b64 v[36:37], v55 offset:64
	ds_load_b64 v[38:39], v52
	s_wait_dscnt 0x0
	v_dual_mul_f32 v0, v39, v37 :: v_dual_mul_f32 v40, v38, v37
	s_delay_alu instid0(VALU_DEP_1) | instskip(NEXT) | instid1(VALU_DEP_2)
	v_fma_f32 v0, v38, v36, -v0
	v_fmac_f32_e32 v40, v39, v36
	s_delay_alu instid0(VALU_DEP_2) | instskip(NEXT) | instid1(VALU_DEP_2)
	v_add_f32_e32 v37, 0, v0
	v_add_f32_e32 v36, 0, v40
	s_and_saveexec_b32 s6, s18
	s_cbranch_execnz .LBB58_1049
; %bb.188:                              ;   in Loop: Header=BB58_3 Depth=1
	s_or_b32 exec_lo, exec_lo, s6
	s_and_saveexec_b32 s6, s19
	s_cbranch_execnz .LBB58_1050
.LBB58_189:                             ;   in Loop: Header=BB58_3 Depth=1
	s_or_b32 exec_lo, exec_lo, s6
	s_and_saveexec_b32 s6, s20
	s_cbranch_execnz .LBB58_1051
.LBB58_190:                             ;   in Loop: Header=BB58_3 Depth=1
	s_or_b32 exec_lo, exec_lo, s6
	s_and_saveexec_b32 s6, s21
	s_cbranch_execnz .LBB58_1052
.LBB58_191:                             ;   in Loop: Header=BB58_3 Depth=1
	s_or_b32 exec_lo, exec_lo, s6
	s_and_saveexec_b32 s6, s22
	s_cbranch_execnz .LBB58_1053
.LBB58_192:                             ;   in Loop: Header=BB58_3 Depth=1
	s_or_b32 exec_lo, exec_lo, s6
	s_and_saveexec_b32 s6, s2
	s_cbranch_execnz .LBB58_1054
.LBB58_193:                             ;   in Loop: Header=BB58_3 Depth=1
	s_or_b32 exec_lo, exec_lo, s6
	s_and_saveexec_b32 s6, s17
	s_cbranch_execz .LBB58_195
.LBB58_194:                             ;   in Loop: Header=BB58_3 Depth=1
	ds_load_b64 v[38:39], v46 offset:3648
	ds_load_b64 v[40:41], v1 offset:56
	s_wait_dscnt 0x0
	v_pk_mul_f32 v[80:81], v[40:41], v[38:39] op_sel:[0,1]
	s_delay_alu instid0(VALU_DEP_1) | instskip(SKIP_1) | instid1(VALU_DEP_2)
	v_pk_fma_f32 v[82:83], v[40:41], v[38:39], v[80:81] op_sel:[1,0,0] op_sel_hi:[0,0,1] neg_lo:[0,0,1] neg_hi:[0,0,1]
	v_pk_fma_f32 v[38:39], v[40:41], v[38:39], v[80:81] op_sel:[1,0,0] op_sel_hi:[0,1,1]
	v_mov_b32_e32 v39, v83
	s_delay_alu instid0(VALU_DEP_1)
	v_pk_add_f32 v[36:37], v[36:37], v[38:39]
.LBB58_195:                             ;   in Loop: Header=BB58_3 Depth=1
	s_or_b32 exec_lo, exec_lo, s6
	s_delay_alu instid0(VALU_DEP_1) | instskip(NEXT) | instid1(VALU_DEP_1)
	v_pk_add_f32 v[38:39], v[36:37], 0 neg_lo:[1,1] neg_hi:[1,1]
	v_dual_mov_b32 v36, v39 :: v_dual_mov_b32 v37, v38
.LBB58_196:                             ;   in Loop: Header=BB58_3 Depth=1
	s_or_b32 exec_lo, exec_lo, s96
	s_and_saveexec_b32 s6, s51
	s_cbranch_execz .LBB58_198
; %bb.197:                              ;   in Loop: Header=BB58_3 Depth=1
	ds_load_b64 v[38:39], v1 offset:4160
	v_dual_mov_b32 v40, v37 :: v_dual_mov_b32 v41, v36
	s_wait_dscnt 0x0
	s_delay_alu instid0(VALU_DEP_1) | instskip(NEXT) | instid1(VALU_DEP_1)
	v_dual_mul_f32 v0, v40, v38 :: v_dual_mul_f32 v80, v37, v39
	v_pk_fma_f32 v[40:41], v[40:41], v[38:39], v[0:1] op_sel_hi:[1,1,0]
	s_delay_alu instid0(VALU_DEP_2) | instskip(NEXT) | instid1(VALU_DEP_2)
	v_pk_fma_f32 v[36:37], v[36:37], v[38:39], v[80:81] op_sel_hi:[1,1,0] neg_lo:[0,0,1] neg_hi:[0,0,1]
	v_mov_b32_e32 v37, v41
	ds_store_b64 v54, v[36:37]
.LBB58_198:                             ;   in Loop: Header=BB58_3 Depth=1
	s_or_b32 exec_lo, exec_lo, s6
	s_wait_dscnt 0x0
	s_barrier_signal -1
	s_barrier_wait -1
	s_and_saveexec_b32 s6, s52
	s_cbranch_execz .LBB58_200
; %bb.199:                              ;   in Loop: Header=BB58_3 Depth=1
	ds_load_b64 v[38:39], v53 offset:4160
	ds_load_b64 v[40:41], v54
	s_wait_dscnt 0x0
	v_dual_mul_f32 v0, v41, v39 :: v_dual_mul_f32 v81, v40, v39
	s_delay_alu instid0(VALU_DEP_1) | instskip(NEXT) | instid1(VALU_DEP_1)
	v_dual_fma_f32 v80, v40, v38, -v0 :: v_dual_fmac_f32 v81, v41, v38
	v_pk_add_f32 v[36:37], v[36:37], v[80:81]
.LBB58_200:                             ;   in Loop: Header=BB58_3 Depth=1
	s_or_b32 exec_lo, exec_lo, s6
	s_barrier_signal -1
	s_barrier_wait -1
	s_and_saveexec_b32 s6, s53
	s_cbranch_execz .LBB58_202
; %bb.201:                              ;   in Loop: Header=BB58_3 Depth=1
	ds_load_b64 v[38:39], v1 offset:4680
	s_wait_dscnt 0x0
	v_pk_mul_f32 v[40:41], v[36:37], v[38:39] op_sel:[1,1] op_sel_hi:[1,0]
	s_delay_alu instid0(VALU_DEP_1) | instskip(SKIP_1) | instid1(VALU_DEP_2)
	v_pk_fma_f32 v[80:81], v[36:37], v[38:39], v[40:41] op_sel_hi:[0,1,1]
	v_pk_fma_f32 v[36:37], v[36:37], v[38:39], v[40:41] op_sel_hi:[0,1,1] neg_lo:[0,0,1] neg_hi:[0,0,1]
	v_mov_b32_e32 v37, v81
	ds_store_b64 v54, v[36:37]
.LBB58_202:                             ;   in Loop: Header=BB58_3 Depth=1
	s_or_b32 exec_lo, exec_lo, s6
	s_wait_dscnt 0x0
	s_barrier_signal -1
	s_barrier_wait -1
	s_and_saveexec_b32 s6, s54
	s_cbranch_execz .LBB58_204
; %bb.203:                              ;   in Loop: Header=BB58_3 Depth=1
	ds_load_b64 v[38:39], v53 offset:4672
	ds_load_b64 v[40:41], v54
	s_wait_dscnt 0x0
	v_pk_mul_f32 v[80:81], v[40:41], v[38:39] op_sel:[1,1] op_sel_hi:[0,1]
	s_delay_alu instid0(VALU_DEP_1) | instskip(SKIP_1) | instid1(VALU_DEP_2)
	v_pk_fma_f32 v[82:83], v[40:41], v[38:39], v[80:81] op_sel_hi:[1,0,1]
	v_pk_fma_f32 v[38:39], v[40:41], v[38:39], v[80:81] op_sel_hi:[1,0,1] neg_lo:[0,0,1] neg_hi:[0,0,1]
	v_mov_b32_e32 v39, v83
	s_delay_alu instid0(VALU_DEP_1)
	v_pk_add_f32 v[36:37], v[36:37], v[38:39]
.LBB58_204:                             ;   in Loop: Header=BB58_3 Depth=1
	s_or_b32 exec_lo, exec_lo, s6
	s_barrier_signal -1
	s_barrier_wait -1
	s_and_saveexec_b32 s6, s55
	s_cbranch_execz .LBB58_206
; %bb.205:                              ;   in Loop: Header=BB58_3 Depth=1
	ds_load_b64 v[38:39], v1 offset:5200
	s_wait_dscnt 0x0
	v_pk_mul_f32 v[40:41], v[36:37], v[38:39] op_sel:[1,1] op_sel_hi:[1,0]
	s_delay_alu instid0(VALU_DEP_1) | instskip(SKIP_1) | instid1(VALU_DEP_2)
	v_pk_fma_f32 v[80:81], v[36:37], v[38:39], v[40:41] op_sel_hi:[0,1,1]
	v_pk_fma_f32 v[36:37], v[36:37], v[38:39], v[40:41] op_sel_hi:[0,1,1] neg_lo:[0,0,1] neg_hi:[0,0,1]
	v_mov_b32_e32 v37, v81
	ds_store_b64 v54, v[36:37]
.LBB58_206:                             ;   in Loop: Header=BB58_3 Depth=1
	s_or_b32 exec_lo, exec_lo, s6
	s_wait_dscnt 0x0
	s_barrier_signal -1
	s_barrier_wait -1
	s_and_saveexec_b32 s6, s56
	s_cbranch_execz .LBB58_208
; %bb.207:                              ;   in Loop: Header=BB58_3 Depth=1
	ds_load_b64 v[38:39], v53 offset:5184
	ds_load_b64 v[40:41], v54
	s_wait_dscnt 0x0
	v_pk_mul_f32 v[80:81], v[40:41], v[38:39] op_sel:[1,1] op_sel_hi:[0,1]
	s_delay_alu instid0(VALU_DEP_1) | instskip(SKIP_1) | instid1(VALU_DEP_2)
	v_pk_fma_f32 v[82:83], v[40:41], v[38:39], v[80:81] op_sel_hi:[1,0,1]
	v_pk_fma_f32 v[38:39], v[40:41], v[38:39], v[80:81] op_sel_hi:[1,0,1] neg_lo:[0,0,1] neg_hi:[0,0,1]
	v_mov_b32_e32 v39, v83
	s_delay_alu instid0(VALU_DEP_1)
	v_pk_add_f32 v[36:37], v[36:37], v[38:39]
.LBB58_208:                             ;   in Loop: Header=BB58_3 Depth=1
	;; [unrolled: 33-line block ×3, first 2 shown]
	s_or_b32 exec_lo, exec_lo, s6
	s_barrier_signal -1
	s_barrier_wait -1
	s_and_saveexec_b32 s6, s59
	s_cbranch_execz .LBB58_214
; %bb.213:                              ;   in Loop: Header=BB58_3 Depth=1
	ds_load_b64 v[38:39], v1 offset:6240
	s_wait_dscnt 0x0
	v_dual_mul_f32 v0, v36, v39 :: v_dual_mul_f32 v40, v37, v39
	s_delay_alu instid0(VALU_DEP_1) | instskip(NEXT) | instid1(VALU_DEP_2)
	v_pk_fma_f32 v[80:81], v[36:37], v[38:39], v[0:1] op_sel:[0,1,0] op_sel_hi:[1,0,0]
	v_pk_fma_f32 v[38:39], v[36:37], v[38:39], v[40:41] op_sel_hi:[1,1,0] neg_lo:[0,0,1] neg_hi:[0,0,1]
	s_delay_alu instid0(VALU_DEP_2) | instskip(NEXT) | instid1(VALU_DEP_1)
	v_mov_b32_e32 v39, v81
	v_mov_b64_e32 v[36:37], v[38:39]
	ds_store_b64 v54, v[38:39]
.LBB58_214:                             ;   in Loop: Header=BB58_3 Depth=1
	s_or_b32 exec_lo, exec_lo, s6
	s_wait_dscnt 0x0
	s_barrier_signal -1
	s_barrier_wait -1
	s_and_saveexec_b32 s6, s60
	s_cbranch_execz .LBB58_216
; %bb.215:                              ;   in Loop: Header=BB58_3 Depth=1
	ds_load_b64 v[38:39], v53 offset:6208
	ds_load_b64 v[40:41], v54
	s_wait_dscnt 0x0
	v_dual_mul_f32 v0, v41, v39 :: v_dual_mul_f32 v81, v40, v39
	s_delay_alu instid0(VALU_DEP_1) | instskip(NEXT) | instid1(VALU_DEP_1)
	v_dual_fma_f32 v80, v40, v38, -v0 :: v_dual_fmac_f32 v81, v41, v38
	v_pk_add_f32 v[36:37], v[36:37], v[80:81]
.LBB58_216:                             ;   in Loop: Header=BB58_3 Depth=1
	s_or_b32 exec_lo, exec_lo, s6
	s_barrier_signal -1
	s_barrier_wait -1
	s_and_saveexec_b32 s6, s61
	s_cbranch_execz .LBB58_218
; %bb.217:                              ;   in Loop: Header=BB58_3 Depth=1
	ds_load_b64 v[38:39], v1 offset:6760
	s_wait_dscnt 0x0
	v_pk_mul_f32 v[40:41], v[36:37], v[38:39] op_sel:[1,1] op_sel_hi:[1,0]
	s_delay_alu instid0(VALU_DEP_1) | instskip(SKIP_1) | instid1(VALU_DEP_2)
	v_pk_fma_f32 v[80:81], v[36:37], v[38:39], v[40:41] op_sel_hi:[0,1,1]
	v_pk_fma_f32 v[38:39], v[36:37], v[38:39], v[40:41] neg_lo:[0,0,1] neg_hi:[0,0,1]
	v_mov_b32_e32 v39, v81
	s_delay_alu instid0(VALU_DEP_1)
	v_mov_b64_e32 v[36:37], v[38:39]
	ds_store_b64 v54, v[38:39]
.LBB58_218:                             ;   in Loop: Header=BB58_3 Depth=1
	s_or_b32 exec_lo, exec_lo, s6
	s_wait_dscnt 0x0
	s_barrier_signal -1
	s_barrier_wait -1
	s_and_saveexec_b32 s6, s62
	s_cbranch_execz .LBB58_220
; %bb.219:                              ;   in Loop: Header=BB58_3 Depth=1
	ds_load_b64 v[38:39], v53 offset:6720
	ds_load_b64 v[40:41], v54
	s_wait_dscnt 0x0
	v_pk_mul_f32 v[80:81], v[40:41], v[38:39] op_sel:[1,1] op_sel_hi:[0,1]
	s_delay_alu instid0(VALU_DEP_1) | instskip(SKIP_1) | instid1(VALU_DEP_2)
	v_pk_fma_f32 v[82:83], v[40:41], v[38:39], v[80:81] op_sel_hi:[1,0,1]
	v_pk_fma_f32 v[38:39], v[40:41], v[38:39], v[80:81] neg_lo:[0,0,1] neg_hi:[0,0,1]
	v_mov_b32_e32 v39, v83
	s_delay_alu instid0(VALU_DEP_1)
	v_pk_add_f32 v[36:37], v[36:37], v[38:39]
.LBB58_220:                             ;   in Loop: Header=BB58_3 Depth=1
	s_or_b32 exec_lo, exec_lo, s6
	s_barrier_signal -1
	s_barrier_wait -1
	s_and_saveexec_b32 s6, s63
	s_cbranch_execz .LBB58_222
; %bb.221:                              ;   in Loop: Header=BB58_3 Depth=1
	ds_load_b64 v[38:39], v1 offset:7280
	s_wait_dscnt 0x0
	v_pk_mul_f32 v[40:41], v[36:37], v[38:39] op_sel:[1,1] op_sel_hi:[1,0]
	s_delay_alu instid0(VALU_DEP_1) | instskip(SKIP_1) | instid1(VALU_DEP_2)
	v_pk_fma_f32 v[80:81], v[36:37], v[38:39], v[40:41] op_sel_hi:[0,1,1]
	v_pk_fma_f32 v[38:39], v[36:37], v[38:39], v[40:41] neg_lo:[0,0,1] neg_hi:[0,0,1]
	v_mov_b32_e32 v39, v81
	s_delay_alu instid0(VALU_DEP_1)
	v_mov_b64_e32 v[36:37], v[38:39]
	ds_store_b64 v54, v[38:39]
.LBB58_222:                             ;   in Loop: Header=BB58_3 Depth=1
	s_or_b32 exec_lo, exec_lo, s6
	s_wait_dscnt 0x0
	s_barrier_signal -1
	s_barrier_wait -1
	s_and_saveexec_b32 s6, s64
	s_cbranch_execz .LBB58_224
; %bb.223:                              ;   in Loop: Header=BB58_3 Depth=1
	ds_load_b64 v[38:39], v1 offset:7288
	ds_load_b64 v[40:41], v54
	s_wait_dscnt 0x0
	v_pk_mul_f32 v[80:81], v[40:41], v[38:39] op_sel:[1,1] op_sel_hi:[0,1]
	s_delay_alu instid0(VALU_DEP_1) | instskip(SKIP_1) | instid1(VALU_DEP_2)
	v_pk_fma_f32 v[82:83], v[40:41], v[38:39], v[80:81] op_sel_hi:[1,0,1]
	v_pk_fma_f32 v[38:39], v[40:41], v[38:39], v[80:81] neg_lo:[0,0,1] neg_hi:[0,0,1]
	v_mov_b32_e32 v39, v83
	s_delay_alu instid0(VALU_DEP_1)
	v_pk_add_f32 v[36:37], v[36:37], v[38:39]
.LBB58_224:                             ;   in Loop: Header=BB58_3 Depth=1
	s_or_b32 exec_lo, exec_lo, s6
	s_barrier_signal -1
	s_barrier_wait -1
	s_and_saveexec_b32 s6, s64
	s_cbranch_execz .LBB58_226
; %bb.225:                              ;   in Loop: Header=BB58_3 Depth=1
	ds_load_b64 v[38:39], v1 offset:7800
	s_wait_dscnt 0x0
	v_pk_mul_f32 v[40:41], v[36:37], v[38:39] op_sel:[1,1] op_sel_hi:[1,0]
	s_delay_alu instid0(VALU_DEP_1) | instskip(SKIP_1) | instid1(VALU_DEP_2)
	v_pk_fma_f32 v[80:81], v[36:37], v[38:39], v[40:41] op_sel_hi:[0,1,1]
	v_pk_fma_f32 v[38:39], v[36:37], v[38:39], v[40:41] neg_lo:[0,0,1] neg_hi:[0,0,1]
	v_mov_b32_e32 v39, v81
	s_delay_alu instid0(VALU_DEP_1)
	v_mov_b64_e32 v[36:37], v[38:39]
	ds_store_b64 v54, v[38:39]
.LBB58_226:                             ;   in Loop: Header=BB58_3 Depth=1
	s_or_b32 exec_lo, exec_lo, s6
	s_wait_dscnt 0x0
	s_barrier_signal -1
	s_barrier_wait -1
	s_barrier_signal -1
	s_barrier_wait -1
	s_and_saveexec_b32 s6, s3
; %bb.227:                              ;   in Loop: Header=BB58_3 Depth=1
	v_pk_add_f32 v[36:37], v[36:37], 0 neg_lo:[1,1] neg_hi:[1,1]
	ds_store_b64 v55, v[36:37] offset:64
; %bb.228:                              ;   in Loop: Header=BB58_3 Depth=1
	s_or_b32 exec_lo, exec_lo, s6
	s_wait_dscnt 0x0
	s_barrier_signal -1
	s_barrier_wait -1
	s_barrier_signal -1
	s_barrier_wait -1
	s_and_saveexec_b32 s96, s14
	s_cbranch_execz .LBB58_230
; %bb.229:                              ;   in Loop: Header=BB58_3 Depth=1
	ds_load_b128 v[36:39], v1 offset:4160
	ds_load_b64 v[40:41], v1 offset:4680
	s_wait_dscnt 0x1
	v_dual_mov_b32 v80, v39 :: v_dual_mov_b32 v81, v38
	s_wait_dscnt 0x0
	v_dual_mul_f32 v79, v41, v37 :: v_dual_mul_f32 v0, v40, v37
	s_delay_alu instid0(VALU_DEP_1) | instskip(NEXT) | instid1(VALU_DEP_1)
	v_xor_b32_e32 v82, 0x80000000, v79
	v_dual_fmac_f32 v0, v41, v36 :: v_dual_fmac_f32 v82, v40, v36
	s_delay_alu instid0(VALU_DEP_1) | instskip(NEXT) | instid1(VALU_DEP_1)
	v_pk_mul_f32 v[36:37], v[0:1], v[80:81] op_sel_hi:[0,1]
	v_pk_fma_f32 v[40:41], v[82:83], v[38:39], v[36:37] op_sel_hi:[0,1,1]
	v_pk_fma_f32 v[36:37], v[82:83], v[38:39], v[36:37] neg_lo:[0,0,1] neg_hi:[0,0,1]
	s_delay_alu instid0(VALU_DEP_2)
	v_mov_b32_e32 v37, v41
	ds_store_b64 v1, v[36:37] offset:4168
.LBB58_230:                             ;   in Loop: Header=BB58_3 Depth=1
	s_or_b32 exec_lo, exec_lo, s96
	v_mov_b32_e32 v37, 0
	s_wait_dscnt 0x0
	s_barrier_signal -1
	s_barrier_wait -1
	s_delay_alu instid0(VALU_DEP_1)
	v_mov_b32_e32 v36, v37
	s_and_saveexec_b32 s96, s1
	s_cbranch_execz .LBB58_234
; %bb.231:                              ;   in Loop: Header=BB58_3 Depth=1
	ds_load_b64 v[36:37], v44 offset:4176
	ds_load_b64 v[38:39], v45 offset:4160
	s_wait_dscnt 0x0
	v_dual_mul_f32 v0, v39, v37 :: v_dual_mul_f32 v41, v38, v37
	s_delay_alu instid0(VALU_DEP_1) | instskip(NEXT) | instid1(VALU_DEP_1)
	v_dual_fma_f32 v40, v38, v36, -v0 :: v_dual_fmac_f32 v41, v39, v36
	v_pk_add_f32 v[36:37], v[40:41], 0 op_sel_hi:[1,0]
	s_and_saveexec_b32 s6, s15
	s_cbranch_execz .LBB58_233
; %bb.232:                              ;   in Loop: Header=BB58_3 Depth=1
	ds_load_b64 v[38:39], v46 offset:4688
	ds_load_b64 v[40:41], v1 offset:4168
	s_wait_dscnt 0x0
	v_pk_mul_f32 v[80:81], v[40:41], v[38:39] op_sel:[1,1] op_sel_hi:[0,1]
	s_delay_alu instid0(VALU_DEP_1) | instskip(SKIP_1) | instid1(VALU_DEP_2)
	v_pk_fma_f32 v[82:83], v[40:41], v[38:39], v[80:81] op_sel_hi:[1,0,1]
	v_pk_fma_f32 v[38:39], v[40:41], v[38:39], v[80:81] neg_lo:[0,0,1] neg_hi:[0,0,1]
	v_mov_b32_e32 v39, v83
	s_delay_alu instid0(VALU_DEP_1)
	v_pk_add_f32 v[36:37], v[36:37], v[38:39]
.LBB58_233:                             ;   in Loop: Header=BB58_3 Depth=1
	s_or_b32 exec_lo, exec_lo, s6
	s_delay_alu instid0(VALU_DEP_1)
	v_pk_add_f32 v[36:37], v[36:37], 0 neg_lo:[1,1] neg_hi:[1,1]
.LBB58_234:                             ;   in Loop: Header=BB58_3 Depth=1
	s_or_b32 exec_lo, exec_lo, s96
	s_and_saveexec_b32 s6, s43
	s_cbranch_execz .LBB58_236
; %bb.235:                              ;   in Loop: Header=BB58_3 Depth=1
	ds_load_b64 v[38:39], v1 offset:5200
	s_wait_dscnt 0x0
	v_pk_mul_f32 v[40:41], v[36:37], v[38:39] op_sel:[1,1] op_sel_hi:[1,0]
	s_delay_alu instid0(VALU_DEP_1) | instskip(SKIP_1) | instid1(VALU_DEP_2)
	v_pk_fma_f32 v[80:81], v[36:37], v[38:39], v[40:41] op_sel_hi:[0,1,1]
	v_pk_fma_f32 v[38:39], v[36:37], v[38:39], v[40:41] neg_lo:[0,0,1] neg_hi:[0,0,1]
	v_mov_b32_e32 v39, v81
	s_delay_alu instid0(VALU_DEP_1)
	v_mov_b64_e32 v[36:37], v[38:39]
	ds_store_b64 v3, v[38:39]
.LBB58_236:                             ;   in Loop: Header=BB58_3 Depth=1
	s_or_b32 exec_lo, exec_lo, s6
	s_wait_dscnt 0x0
	s_barrier_signal -1
	s_barrier_wait -1
	s_and_saveexec_b32 s6, s44
	s_cbranch_execz .LBB58_238
; %bb.237:                              ;   in Loop: Header=BB58_3 Depth=1
	ds_load_b64 v[38:39], v1 offset:5208
	ds_load_b64 v[40:41], v3
	s_wait_dscnt 0x0
	v_pk_mul_f32 v[80:81], v[40:41], v[38:39] op_sel:[1,1] op_sel_hi:[0,1]
	s_delay_alu instid0(VALU_DEP_1) | instskip(SKIP_1) | instid1(VALU_DEP_2)
	v_pk_fma_f32 v[82:83], v[40:41], v[38:39], v[80:81] op_sel_hi:[1,0,1]
	v_pk_fma_f32 v[38:39], v[40:41], v[38:39], v[80:81] neg_lo:[0,0,1] neg_hi:[0,0,1]
	v_mov_b32_e32 v39, v83
	s_delay_alu instid0(VALU_DEP_1)
	v_pk_add_f32 v[36:37], v[36:37], v[38:39]
.LBB58_238:                             ;   in Loop: Header=BB58_3 Depth=1
	s_or_b32 exec_lo, exec_lo, s6
	s_barrier_signal -1
	s_barrier_wait -1
	s_and_saveexec_b32 s6, s44
	s_cbranch_execz .LBB58_240
; %bb.239:                              ;   in Loop: Header=BB58_3 Depth=1
	ds_load_b64 v[38:39], v1 offset:5720
	s_wait_dscnt 0x0
	v_pk_mul_f32 v[40:41], v[36:37], v[38:39] op_sel:[1,1] op_sel_hi:[1,0]
	s_delay_alu instid0(VALU_DEP_1) | instskip(SKIP_1) | instid1(VALU_DEP_2)
	v_pk_fma_f32 v[80:81], v[36:37], v[38:39], v[40:41] op_sel_hi:[0,1,1]
	v_pk_fma_f32 v[38:39], v[36:37], v[38:39], v[40:41] neg_lo:[0,0,1] neg_hi:[0,0,1]
	v_mov_b32_e32 v39, v81
	s_delay_alu instid0(VALU_DEP_1)
	v_mov_b64_e32 v[36:37], v[38:39]
	ds_store_b64 v3, v[38:39]
.LBB58_240:                             ;   in Loop: Header=BB58_3 Depth=1
	s_or_b32 exec_lo, exec_lo, s6
	s_wait_dscnt 0x0
	s_barrier_signal -1
	s_barrier_wait -1
	s_barrier_signal -1
	s_barrier_wait -1
	s_and_saveexec_b32 s6, s1
; %bb.241:                              ;   in Loop: Header=BB58_3 Depth=1
	v_pk_add_f32 v[36:37], v[36:37], 0 neg_lo:[1,1] neg_hi:[1,1]
	ds_store_b64 v44, v[36:37] offset:4176
; %bb.242:                              ;   in Loop: Header=BB58_3 Depth=1
	s_or_b32 exec_lo, exec_lo, s6
	s_wait_dscnt 0x0
	s_barrier_signal -1
	s_barrier_wait -1
	s_barrier_signal -1
	s_barrier_wait -1
	s_and_saveexec_b32 s96, s14
	s_cbranch_execz .LBB58_244
; %bb.243:                              ;   in Loop: Header=BB58_3 Depth=1
	ds_load_b128 v[36:39], v1 offset:5200
	ds_load_b64 v[40:41], v1 offset:5720
	s_wait_dscnt 0x1
	v_dual_mov_b32 v80, v39 :: v_dual_mov_b32 v81, v38
	s_wait_dscnt 0x0
	v_dual_mul_f32 v79, v41, v37 :: v_dual_mul_f32 v0, v40, v37
	s_delay_alu instid0(VALU_DEP_1) | instskip(NEXT) | instid1(VALU_DEP_1)
	v_xor_b32_e32 v82, 0x80000000, v79
	v_dual_fmac_f32 v0, v41, v36 :: v_dual_fmac_f32 v82, v40, v36
	s_delay_alu instid0(VALU_DEP_1) | instskip(NEXT) | instid1(VALU_DEP_1)
	v_pk_mul_f32 v[36:37], v[0:1], v[80:81] op_sel_hi:[0,1]
	v_pk_fma_f32 v[40:41], v[82:83], v[38:39], v[36:37] op_sel_hi:[0,1,1]
	v_pk_fma_f32 v[36:37], v[82:83], v[38:39], v[36:37] neg_lo:[0,0,1] neg_hi:[0,0,1]
	s_delay_alu instid0(VALU_DEP_2)
	v_mov_b32_e32 v37, v41
	ds_store_b64 v1, v[36:37] offset:5208
.LBB58_244:                             ;   in Loop: Header=BB58_3 Depth=1
	s_or_b32 exec_lo, exec_lo, s96
	v_mov_b32_e32 v36, 0
	s_wait_dscnt 0x0
	s_barrier_signal -1
	s_barrier_wait -1
	s_delay_alu instid0(VALU_DEP_1)
	v_mov_b32_e32 v37, v36
	s_and_saveexec_b32 s96, s2
	s_cbranch_execz .LBB58_250
; %bb.245:                              ;   in Loop: Header=BB58_3 Depth=1
	ds_load_b64 v[36:37], v50 offset:4192
	ds_load_b64 v[38:39], v47 offset:4160
	s_wait_dscnt 0x0
	v_pk_mul_f32 v[40:41], v[38:39], v[36:37] op_sel:[0,1]
	s_delay_alu instid0(VALU_DEP_1) | instskip(SKIP_1) | instid1(VALU_DEP_2)
	v_pk_fma_f32 v[80:81], v[38:39], v[36:37], v[40:41] op_sel:[1,0,0] op_sel_hi:[0,0,1] neg_lo:[0,0,1] neg_hi:[0,0,1]
	v_pk_fma_f32 v[36:37], v[38:39], v[36:37], v[40:41] op_sel:[1,0,0] op_sel_hi:[0,1,1]
	v_mov_b32_e32 v37, v81
	s_delay_alu instid0(VALU_DEP_1)
	v_pk_add_f32 v[36:37], v[36:37], 0 op_sel_hi:[1,0]
	s_and_saveexec_b32 s6, s16
	s_cbranch_execnz .LBB58_1055
; %bb.246:                              ;   in Loop: Header=BB58_3 Depth=1
	s_or_b32 exec_lo, exec_lo, s6
	s_and_saveexec_b32 s6, s17
	s_cbranch_execnz .LBB58_1056
.LBB58_247:                             ;   in Loop: Header=BB58_3 Depth=1
	s_or_b32 exec_lo, exec_lo, s6
	s_and_saveexec_b32 s6, s1
	s_cbranch_execz .LBB58_249
.LBB58_248:                             ;   in Loop: Header=BB58_3 Depth=1
	ds_load_b64 v[38:39], v46 offset:5728
	ds_load_b64 v[40:41], v1 offset:4184
	s_wait_dscnt 0x0
	v_pk_mul_f32 v[80:81], v[40:41], v[38:39] op_sel:[0,1]
	s_delay_alu instid0(VALU_DEP_1) | instskip(SKIP_1) | instid1(VALU_DEP_2)
	v_pk_fma_f32 v[82:83], v[40:41], v[38:39], v[80:81] op_sel:[1,0,0] op_sel_hi:[0,0,1] neg_lo:[0,0,1] neg_hi:[0,0,1]
	v_pk_fma_f32 v[38:39], v[40:41], v[38:39], v[80:81] op_sel:[1,0,0] op_sel_hi:[0,1,1]
	v_mov_b32_e32 v39, v83
	s_delay_alu instid0(VALU_DEP_1)
	v_pk_add_f32 v[36:37], v[36:37], v[38:39]
.LBB58_249:                             ;   in Loop: Header=BB58_3 Depth=1
	s_or_b32 exec_lo, exec_lo, s6
	s_delay_alu instid0(VALU_DEP_1) | instskip(NEXT) | instid1(VALU_DEP_1)
	v_pk_add_f32 v[38:39], v[36:37], 0 neg_lo:[1,1] neg_hi:[1,1]
	v_dual_mov_b32 v36, v39 :: v_dual_mov_b32 v37, v38
.LBB58_250:                             ;   in Loop: Header=BB58_3 Depth=1
	s_or_b32 exec_lo, exec_lo, s96
	s_and_saveexec_b32 s6, s45
	s_cbranch_execz .LBB58_252
; %bb.251:                              ;   in Loop: Header=BB58_3 Depth=1
	ds_load_b64 v[38:39], v1 offset:6240
	v_dual_mov_b32 v40, v37 :: v_dual_mov_b32 v41, v36
	s_wait_dscnt 0x0
	s_delay_alu instid0(VALU_DEP_1) | instskip(NEXT) | instid1(VALU_DEP_1)
	v_dual_mul_f32 v0, v40, v38 :: v_dual_mul_f32 v80, v37, v39
	v_pk_fma_f32 v[40:41], v[40:41], v[38:39], v[0:1] op_sel_hi:[1,1,0]
	s_delay_alu instid0(VALU_DEP_2) | instskip(NEXT) | instid1(VALU_DEP_2)
	v_pk_fma_f32 v[36:37], v[36:37], v[38:39], v[80:81] op_sel_hi:[1,1,0] neg_lo:[0,0,1] neg_hi:[0,0,1]
	v_mov_b32_e32 v37, v41
	ds_store_b64 v48, v[36:37]
.LBB58_252:                             ;   in Loop: Header=BB58_3 Depth=1
	s_or_b32 exec_lo, exec_lo, s6
	s_wait_dscnt 0x0
	s_barrier_signal -1
	s_barrier_wait -1
	s_and_saveexec_b32 s6, s46
	s_cbranch_execz .LBB58_254
; %bb.253:                              ;   in Loop: Header=BB58_3 Depth=1
	ds_load_b64 v[38:39], v49 offset:6240
	ds_load_b64 v[40:41], v48
	s_wait_dscnt 0x0
	v_dual_mul_f32 v0, v41, v39 :: v_dual_mul_f32 v81, v40, v39
	s_delay_alu instid0(VALU_DEP_1) | instskip(NEXT) | instid1(VALU_DEP_1)
	v_dual_fma_f32 v80, v40, v38, -v0 :: v_dual_fmac_f32 v81, v41, v38
	v_pk_add_f32 v[36:37], v[36:37], v[80:81]
.LBB58_254:                             ;   in Loop: Header=BB58_3 Depth=1
	s_or_b32 exec_lo, exec_lo, s6
	s_barrier_signal -1
	s_barrier_wait -1
	s_and_saveexec_b32 s6, s47
	s_cbranch_execz .LBB58_256
; %bb.255:                              ;   in Loop: Header=BB58_3 Depth=1
	ds_load_b64 v[38:39], v1 offset:6760
	s_wait_dscnt 0x0
	v_pk_mul_f32 v[40:41], v[36:37], v[38:39] op_sel:[1,1] op_sel_hi:[1,0]
	s_delay_alu instid0(VALU_DEP_1) | instskip(SKIP_1) | instid1(VALU_DEP_2)
	v_pk_fma_f32 v[80:81], v[36:37], v[38:39], v[40:41] op_sel_hi:[0,1,1]
	v_pk_fma_f32 v[38:39], v[36:37], v[38:39], v[40:41] neg_lo:[0,0,1] neg_hi:[0,0,1]
	v_mov_b32_e32 v39, v81
	s_delay_alu instid0(VALU_DEP_1)
	v_mov_b64_e32 v[36:37], v[38:39]
	ds_store_b64 v48, v[38:39]
.LBB58_256:                             ;   in Loop: Header=BB58_3 Depth=1
	s_or_b32 exec_lo, exec_lo, s6
	s_wait_dscnt 0x0
	s_barrier_signal -1
	s_barrier_wait -1
	s_and_saveexec_b32 s6, s48
	s_cbranch_execz .LBB58_258
; %bb.257:                              ;   in Loop: Header=BB58_3 Depth=1
	ds_load_b64 v[38:39], v49 offset:6752
	ds_load_b64 v[40:41], v48
	s_wait_dscnt 0x0
	v_pk_mul_f32 v[80:81], v[40:41], v[38:39] op_sel:[1,1] op_sel_hi:[0,1]
	s_delay_alu instid0(VALU_DEP_1) | instskip(SKIP_1) | instid1(VALU_DEP_2)
	v_pk_fma_f32 v[82:83], v[40:41], v[38:39], v[80:81] op_sel_hi:[1,0,1]
	v_pk_fma_f32 v[38:39], v[40:41], v[38:39], v[80:81] neg_lo:[0,0,1] neg_hi:[0,0,1]
	v_mov_b32_e32 v39, v83
	s_delay_alu instid0(VALU_DEP_1)
	v_pk_add_f32 v[36:37], v[36:37], v[38:39]
.LBB58_258:                             ;   in Loop: Header=BB58_3 Depth=1
	s_or_b32 exec_lo, exec_lo, s6
	s_barrier_signal -1
	s_barrier_wait -1
	s_and_saveexec_b32 s6, s49
	s_cbranch_execz .LBB58_260
; %bb.259:                              ;   in Loop: Header=BB58_3 Depth=1
	ds_load_b64 v[38:39], v1 offset:7280
	s_wait_dscnt 0x0
	v_pk_mul_f32 v[40:41], v[36:37], v[38:39] op_sel:[1,1] op_sel_hi:[1,0]
	s_delay_alu instid0(VALU_DEP_1) | instskip(SKIP_1) | instid1(VALU_DEP_2)
	v_pk_fma_f32 v[80:81], v[36:37], v[38:39], v[40:41] op_sel_hi:[0,1,1]
	v_pk_fma_f32 v[38:39], v[36:37], v[38:39], v[40:41] neg_lo:[0,0,1] neg_hi:[0,0,1]
	v_mov_b32_e32 v39, v81
	s_delay_alu instid0(VALU_DEP_1)
	v_mov_b64_e32 v[36:37], v[38:39]
	ds_store_b64 v48, v[38:39]
.LBB58_260:                             ;   in Loop: Header=BB58_3 Depth=1
	s_or_b32 exec_lo, exec_lo, s6
	s_wait_dscnt 0x0
	s_barrier_signal -1
	s_barrier_wait -1
	s_and_saveexec_b32 s6, s50
	s_cbranch_execz .LBB58_262
; %bb.261:                              ;   in Loop: Header=BB58_3 Depth=1
	ds_load_b64 v[38:39], v1 offset:7288
	ds_load_b64 v[40:41], v48
	s_wait_dscnt 0x0
	v_pk_mul_f32 v[80:81], v[40:41], v[38:39] op_sel:[1,1] op_sel_hi:[0,1]
	s_delay_alu instid0(VALU_DEP_1) | instskip(SKIP_1) | instid1(VALU_DEP_2)
	v_pk_fma_f32 v[82:83], v[40:41], v[38:39], v[80:81] op_sel_hi:[1,0,1]
	v_pk_fma_f32 v[38:39], v[40:41], v[38:39], v[80:81] neg_lo:[0,0,1] neg_hi:[0,0,1]
	v_mov_b32_e32 v39, v83
	s_delay_alu instid0(VALU_DEP_1)
	v_pk_add_f32 v[36:37], v[36:37], v[38:39]
.LBB58_262:                             ;   in Loop: Header=BB58_3 Depth=1
	s_or_b32 exec_lo, exec_lo, s6
	s_barrier_signal -1
	s_barrier_wait -1
	s_and_saveexec_b32 s6, s50
	s_cbranch_execz .LBB58_264
; %bb.263:                              ;   in Loop: Header=BB58_3 Depth=1
	ds_load_b64 v[38:39], v1 offset:7800
	s_wait_dscnt 0x0
	v_pk_mul_f32 v[40:41], v[36:37], v[38:39] op_sel:[1,1] op_sel_hi:[1,0]
	s_delay_alu instid0(VALU_DEP_1) | instskip(SKIP_1) | instid1(VALU_DEP_2)
	v_pk_fma_f32 v[80:81], v[36:37], v[38:39], v[40:41] op_sel_hi:[0,1,1]
	v_pk_fma_f32 v[38:39], v[36:37], v[38:39], v[40:41] neg_lo:[0,0,1] neg_hi:[0,0,1]
	v_mov_b32_e32 v39, v81
	s_delay_alu instid0(VALU_DEP_1)
	v_mov_b64_e32 v[36:37], v[38:39]
	ds_store_b64 v48, v[38:39]
.LBB58_264:                             ;   in Loop: Header=BB58_3 Depth=1
	s_or_b32 exec_lo, exec_lo, s6
	s_wait_dscnt 0x0
	s_barrier_signal -1
	s_barrier_wait -1
	s_barrier_signal -1
	s_barrier_wait -1
	s_and_saveexec_b32 s6, s2
; %bb.265:                              ;   in Loop: Header=BB58_3 Depth=1
	v_pk_add_f32 v[36:37], v[36:37], 0 neg_lo:[1,1] neg_hi:[1,1]
	ds_store_b64 v50, v[36:37] offset:4192
; %bb.266:                              ;   in Loop: Header=BB58_3 Depth=1
	s_or_b32 exec_lo, exec_lo, s6
	s_wait_dscnt 0x0
	s_barrier_signal -1
	s_barrier_wait -1
	s_barrier_signal -1
	s_barrier_wait -1
	s_and_saveexec_b32 s96, s14
	s_cbranch_execz .LBB58_268
; %bb.267:                              ;   in Loop: Header=BB58_3 Depth=1
	ds_load_b128 v[36:39], v1 offset:6240
	ds_load_b64 v[40:41], v1 offset:6760
	s_wait_dscnt 0x1
	v_dual_mov_b32 v80, v39 :: v_dual_mov_b32 v81, v38
	s_wait_dscnt 0x0
	v_dual_mul_f32 v79, v41, v37 :: v_dual_mul_f32 v0, v40, v37
	s_delay_alu instid0(VALU_DEP_1) | instskip(NEXT) | instid1(VALU_DEP_1)
	v_xor_b32_e32 v82, 0x80000000, v79
	v_dual_fmac_f32 v0, v41, v36 :: v_dual_fmac_f32 v82, v40, v36
	s_delay_alu instid0(VALU_DEP_1) | instskip(NEXT) | instid1(VALU_DEP_1)
	v_pk_mul_f32 v[36:37], v[0:1], v[80:81] op_sel_hi:[0,1]
	v_pk_fma_f32 v[40:41], v[82:83], v[38:39], v[36:37] op_sel_hi:[0,1,1]
	v_pk_fma_f32 v[36:37], v[82:83], v[38:39], v[36:37] neg_lo:[0,0,1] neg_hi:[0,0,1]
	s_delay_alu instid0(VALU_DEP_2)
	v_mov_b32_e32 v37, v41
	ds_store_b64 v1, v[36:37] offset:6248
.LBB58_268:                             ;   in Loop: Header=BB58_3 Depth=1
	s_or_b32 exec_lo, exec_lo, s96
	v_mov_b32_e32 v37, 0
	s_wait_dscnt 0x0
	s_barrier_signal -1
	s_barrier_wait -1
	s_delay_alu instid0(VALU_DEP_1)
	v_mov_b32_e32 v36, v37
	s_and_saveexec_b32 s96, s1
	s_cbranch_execz .LBB58_272
; %bb.269:                              ;   in Loop: Header=BB58_3 Depth=1
	ds_load_b64 v[36:37], v44 offset:6256
	ds_load_b64 v[38:39], v45 offset:6240
	s_wait_dscnt 0x0
	v_dual_mul_f32 v0, v39, v37 :: v_dual_mul_f32 v41, v38, v37
	s_delay_alu instid0(VALU_DEP_1) | instskip(NEXT) | instid1(VALU_DEP_1)
	v_dual_fma_f32 v40, v38, v36, -v0 :: v_dual_fmac_f32 v41, v39, v36
	v_pk_add_f32 v[36:37], v[40:41], 0 op_sel_hi:[1,0]
	s_and_saveexec_b32 s6, s15
	s_cbranch_execz .LBB58_271
; %bb.270:                              ;   in Loop: Header=BB58_3 Depth=1
	ds_load_b64 v[38:39], v46 offset:6768
	ds_load_b64 v[40:41], v1 offset:6248
	s_wait_dscnt 0x0
	v_pk_mul_f32 v[80:81], v[40:41], v[38:39] op_sel:[1,1] op_sel_hi:[0,1]
	s_delay_alu instid0(VALU_DEP_1) | instskip(SKIP_1) | instid1(VALU_DEP_2)
	v_pk_fma_f32 v[82:83], v[40:41], v[38:39], v[80:81] op_sel_hi:[1,0,1]
	v_pk_fma_f32 v[38:39], v[40:41], v[38:39], v[80:81] neg_lo:[0,0,1] neg_hi:[0,0,1]
	v_mov_b32_e32 v39, v83
	s_delay_alu instid0(VALU_DEP_1)
	v_pk_add_f32 v[36:37], v[36:37], v[38:39]
.LBB58_271:                             ;   in Loop: Header=BB58_3 Depth=1
	s_or_b32 exec_lo, exec_lo, s6
	s_delay_alu instid0(VALU_DEP_1)
	v_pk_add_f32 v[36:37], v[36:37], 0 neg_lo:[1,1] neg_hi:[1,1]
.LBB58_272:                             ;   in Loop: Header=BB58_3 Depth=1
	s_or_b32 exec_lo, exec_lo, s96
	s_and_saveexec_b32 s6, s43
	s_cbranch_execz .LBB58_274
; %bb.273:                              ;   in Loop: Header=BB58_3 Depth=1
	ds_load_b64 v[38:39], v1 offset:7280
	s_wait_dscnt 0x0
	v_pk_mul_f32 v[40:41], v[36:37], v[38:39] op_sel:[1,1] op_sel_hi:[1,0]
	s_delay_alu instid0(VALU_DEP_1) | instskip(SKIP_1) | instid1(VALU_DEP_2)
	v_pk_fma_f32 v[80:81], v[36:37], v[38:39], v[40:41] op_sel_hi:[0,1,1]
	v_pk_fma_f32 v[38:39], v[36:37], v[38:39], v[40:41] neg_lo:[0,0,1] neg_hi:[0,0,1]
	v_mov_b32_e32 v39, v81
	s_delay_alu instid0(VALU_DEP_1)
	v_mov_b64_e32 v[36:37], v[38:39]
	ds_store_b64 v3, v[38:39]
.LBB58_274:                             ;   in Loop: Header=BB58_3 Depth=1
	s_or_b32 exec_lo, exec_lo, s6
	s_wait_dscnt 0x0
	s_barrier_signal -1
	s_barrier_wait -1
	s_and_saveexec_b32 s6, s44
	s_cbranch_execz .LBB58_276
; %bb.275:                              ;   in Loop: Header=BB58_3 Depth=1
	ds_load_b64 v[38:39], v1 offset:7288
	ds_load_b64 v[40:41], v3
	s_wait_dscnt 0x0
	v_pk_mul_f32 v[80:81], v[40:41], v[38:39] op_sel:[1,1] op_sel_hi:[0,1]
	s_delay_alu instid0(VALU_DEP_1) | instskip(SKIP_1) | instid1(VALU_DEP_2)
	v_pk_fma_f32 v[82:83], v[40:41], v[38:39], v[80:81] op_sel_hi:[1,0,1]
	v_pk_fma_f32 v[38:39], v[40:41], v[38:39], v[80:81] neg_lo:[0,0,1] neg_hi:[0,0,1]
	v_mov_b32_e32 v39, v83
	s_delay_alu instid0(VALU_DEP_1)
	v_pk_add_f32 v[36:37], v[36:37], v[38:39]
.LBB58_276:                             ;   in Loop: Header=BB58_3 Depth=1
	s_or_b32 exec_lo, exec_lo, s6
	s_barrier_signal -1
	s_barrier_wait -1
	s_and_saveexec_b32 s6, s44
	s_cbranch_execz .LBB58_278
; %bb.277:                              ;   in Loop: Header=BB58_3 Depth=1
	ds_load_b64 v[38:39], v1 offset:7800
	s_wait_dscnt 0x0
	v_pk_mul_f32 v[40:41], v[36:37], v[38:39] op_sel:[1,1] op_sel_hi:[1,0]
	s_delay_alu instid0(VALU_DEP_1) | instskip(SKIP_1) | instid1(VALU_DEP_2)
	v_pk_fma_f32 v[80:81], v[36:37], v[38:39], v[40:41] op_sel_hi:[0,1,1]
	v_pk_fma_f32 v[38:39], v[36:37], v[38:39], v[40:41] neg_lo:[0,0,1] neg_hi:[0,0,1]
	v_mov_b32_e32 v39, v81
	s_delay_alu instid0(VALU_DEP_1)
	v_mov_b64_e32 v[36:37], v[38:39]
	ds_store_b64 v3, v[38:39]
.LBB58_278:                             ;   in Loop: Header=BB58_3 Depth=1
	s_or_b32 exec_lo, exec_lo, s6
	s_wait_dscnt 0x0
	s_barrier_signal -1
	s_barrier_wait -1
	s_barrier_signal -1
	s_barrier_wait -1
	s_and_saveexec_b32 s6, s1
; %bb.279:                              ;   in Loop: Header=BB58_3 Depth=1
	v_pk_add_f32 v[36:37], v[36:37], 0 neg_lo:[1,1] neg_hi:[1,1]
	ds_store_b64 v44, v[36:37] offset:6256
; %bb.280:                              ;   in Loop: Header=BB58_3 Depth=1
	s_or_b32 exec_lo, exec_lo, s6
	s_wait_dscnt 0x0
	s_barrier_signal -1
	s_barrier_wait -1
	s_barrier_signal -1
	s_barrier_wait -1
	s_and_saveexec_b32 s96, s14
	s_cbranch_execz .LBB58_282
; %bb.281:                              ;   in Loop: Header=BB58_3 Depth=1
	ds_load_b128 v[36:39], v1 offset:7280
	ds_load_b64 v[40:41], v1 offset:7800
	s_wait_dscnt 0x1
	v_dual_mov_b32 v80, v39 :: v_dual_mov_b32 v81, v38
	s_wait_dscnt 0x0
	v_dual_mul_f32 v79, v41, v37 :: v_dual_mul_f32 v0, v40, v37
	s_delay_alu instid0(VALU_DEP_1) | instskip(NEXT) | instid1(VALU_DEP_1)
	v_xor_b32_e32 v82, 0x80000000, v79
	v_dual_fmac_f32 v0, v41, v36 :: v_dual_fmac_f32 v82, v40, v36
	s_delay_alu instid0(VALU_DEP_1) | instskip(NEXT) | instid1(VALU_DEP_1)
	v_pk_mul_f32 v[36:37], v[0:1], v[80:81] op_sel_hi:[0,1]
	v_pk_fma_f32 v[40:41], v[82:83], v[38:39], v[36:37] op_sel_hi:[0,1,1]
	v_pk_fma_f32 v[36:37], v[82:83], v[38:39], v[36:37] neg_lo:[0,0,1] neg_hi:[0,0,1]
	s_delay_alu instid0(VALU_DEP_2)
	v_mov_b32_e32 v37, v41
	ds_store_b64 v1, v[36:37] offset:7288
.LBB58_282:                             ;   in Loop: Header=BB58_3 Depth=1
	s_or_b32 exec_lo, exec_lo, s96
	v_mov_b32_e32 v36, 0
	s_wait_dscnt 0x0
	s_barrier_signal -1
	s_barrier_wait -1
	s_delay_alu instid0(VALU_DEP_1)
	v_mov_b32_e32 v37, v36
	s_and_saveexec_b32 s96, s4
	s_cbranch_execz .LBB58_310
; %bb.283:                              ;   in Loop: Header=BB58_3 Depth=1
	ds_load_b64 v[36:37], v60 offset:128
	ds_load_b64 v[38:39], v57
	v_readlane_b32 s7, v90, 29
	s_wait_dscnt 0x0
	v_dual_mul_f32 v0, v39, v37 :: v_dual_mul_f32 v40, v38, v37
	s_delay_alu instid0(VALU_DEP_1) | instskip(NEXT) | instid1(VALU_DEP_2)
	v_fma_f32 v0, v38, v36, -v0
	v_fmac_f32_e32 v40, v39, v36
	s_delay_alu instid0(VALU_DEP_2) | instskip(NEXT) | instid1(VALU_DEP_2)
	v_add_f32_e32 v37, 0, v0
	v_add_f32_e32 v36, 0, v40
	s_and_saveexec_b32 s6, s7
	s_cbranch_execz .LBB58_285
; %bb.284:                              ;   in Loop: Header=BB58_3 Depth=1
	ds_load_b64 v[38:39], v61 offset:640
	ds_load_b64 v[40:41], v57 offset:8
	s_wait_dscnt 0x0
	v_dual_mul_f32 v0, v41, v39 :: v_dual_mul_f32 v39, v40, v39
	s_delay_alu instid0(VALU_DEP_1) | instskip(NEXT) | instid1(VALU_DEP_1)
	v_dual_fma_f32 v0, v40, v38, -v0 :: v_dual_fmac_f32 v39, v41, v38
	v_dual_add_f32 v37, v37, v0 :: v_dual_add_f32 v36, v36, v39
.LBB58_285:                             ;   in Loop: Header=BB58_3 Depth=1
	s_or_b32 exec_lo, exec_lo, s6
	v_readlane_b32 s7, v90, 30
	s_and_saveexec_b32 s6, s7
	s_cbranch_execz .LBB58_287
; %bb.286:                              ;   in Loop: Header=BB58_3 Depth=1
	ds_load_b64 v[38:39], v61 offset:1152
	ds_load_b64 v[40:41], v57 offset:16
	s_wait_dscnt 0x0
	v_dual_mul_f32 v0, v41, v39 :: v_dual_mul_f32 v39, v40, v39
	s_delay_alu instid0(VALU_DEP_1) | instskip(NEXT) | instid1(VALU_DEP_1)
	v_dual_fma_f32 v0, v40, v38, -v0 :: v_dual_fmac_f32 v39, v41, v38
	v_dual_add_f32 v37, v37, v0 :: v_dual_add_f32 v36, v36, v39
.LBB58_287:                             ;   in Loop: Header=BB58_3 Depth=1
	s_or_b32 exec_lo, exec_lo, s6
	v_readlane_b32 s7, v90, 31
	;; [unrolled: 13-line block ×8, first 2 shown]
	s_and_saveexec_b32 s6, s7
	s_cbranch_execz .LBB58_301
; %bb.300:                              ;   in Loop: Header=BB58_3 Depth=1
	ds_load_b64 v[38:39], v61 offset:4736
	ds_load_b64 v[40:41], v57 offset:72
	s_wait_dscnt 0x0
	v_dual_mul_f32 v0, v41, v39 :: v_dual_mul_f32 v39, v40, v39
	s_delay_alu instid0(VALU_DEP_1) | instskip(NEXT) | instid1(VALU_DEP_1)
	v_dual_fma_f32 v0, v40, v38, -v0 :: v_dual_fmac_f32 v39, v41, v38
	v_dual_add_f32 v37, v37, v0 :: v_dual_add_f32 v36, v36, v39
.LBB58_301:                             ;   in Loop: Header=BB58_3 Depth=1
	s_or_b32 exec_lo, exec_lo, s6
	s_and_saveexec_b32 s6, s11
	s_cbranch_execz .LBB58_303
; %bb.302:                              ;   in Loop: Header=BB58_3 Depth=1
	ds_load_b64 v[38:39], v61 offset:5248
	ds_load_b64 v[40:41], v57 offset:80
	s_wait_dscnt 0x0
	v_dual_mul_f32 v0, v41, v39 :: v_dual_mul_f32 v39, v40, v39
	s_delay_alu instid0(VALU_DEP_1) | instskip(NEXT) | instid1(VALU_DEP_1)
	v_dual_fma_f32 v0, v40, v38, -v0 :: v_dual_fmac_f32 v39, v41, v38
	v_dual_add_f32 v37, v37, v0 :: v_dual_add_f32 v36, v36, v39
.LBB58_303:                             ;   in Loop: Header=BB58_3 Depth=1
	s_or_b32 exec_lo, exec_lo, s6
	v_readlane_b32 s7, v89, 6
	s_and_saveexec_b32 s6, s7
	s_cbranch_execnz .LBB58_1057
; %bb.304:                              ;   in Loop: Header=BB58_3 Depth=1
	s_or_b32 exec_lo, exec_lo, s6
	s_and_saveexec_b32 s6, s3
	s_cbranch_execnz .LBB58_1058
.LBB58_305:                             ;   in Loop: Header=BB58_3 Depth=1
	s_or_b32 exec_lo, exec_lo, s6
	s_and_saveexec_b32 s6, s19
	s_cbranch_execnz .LBB58_1059
.LBB58_306:                             ;   in Loop: Header=BB58_3 Depth=1
	s_or_b32 exec_lo, exec_lo, s6
	s_and_saveexec_b32 s6, s21
	s_cbranch_execnz .LBB58_1060
.LBB58_307:                             ;   in Loop: Header=BB58_3 Depth=1
	s_or_b32 exec_lo, exec_lo, s6
	s_and_saveexec_b32 s6, s2
	s_cbranch_execz .LBB58_309
.LBB58_308:                             ;   in Loop: Header=BB58_3 Depth=1
	ds_load_b64 v[38:39], v46 offset:7808
	ds_load_b64 v[40:41], v1 offset:120
	s_wait_dscnt 0x0
	v_pk_mul_f32 v[80:81], v[40:41], v[38:39] op_sel:[0,1]
	s_delay_alu instid0(VALU_DEP_1) | instskip(SKIP_1) | instid1(VALU_DEP_2)
	v_pk_fma_f32 v[82:83], v[40:41], v[38:39], v[80:81] op_sel:[1,0,0] op_sel_hi:[0,0,1] neg_lo:[0,0,1] neg_hi:[0,0,1]
	v_pk_fma_f32 v[38:39], v[40:41], v[38:39], v[80:81] op_sel:[1,0,0] op_sel_hi:[0,1,1]
	v_mov_b32_e32 v39, v83
	s_delay_alu instid0(VALU_DEP_1)
	v_pk_add_f32 v[36:37], v[36:37], v[38:39]
.LBB58_309:                             ;   in Loop: Header=BB58_3 Depth=1
	s_or_b32 exec_lo, exec_lo, s6
	s_delay_alu instid0(VALU_DEP_1) | instskip(NEXT) | instid1(VALU_DEP_1)
	v_pk_add_f32 v[38:39], v[36:37], 0 neg_lo:[1,1] neg_hi:[1,1]
	v_dual_mov_b32 v36, v39 :: v_dual_mov_b32 v37, v38
.LBB58_310:                             ;   in Loop: Header=BB58_3 Depth=1
	s_or_b32 exec_lo, exec_lo, s96
	v_readlane_b32 s7, v90, 5
	s_and_saveexec_b32 s6, s7
	s_cbranch_execz .LBB58_312
; %bb.311:                              ;   in Loop: Header=BB58_3 Depth=1
	ds_load_b64 v[38:39], v1 offset:8320
	v_dual_mov_b32 v40, v37 :: v_dual_mov_b32 v41, v36
	s_wait_dscnt 0x0
	s_delay_alu instid0(VALU_DEP_1) | instskip(NEXT) | instid1(VALU_DEP_1)
	v_dual_mul_f32 v0, v40, v38 :: v_dual_mul_f32 v80, v37, v39
	v_pk_fma_f32 v[40:41], v[40:41], v[38:39], v[0:1] op_sel_hi:[1,1,0]
	s_delay_alu instid0(VALU_DEP_2) | instskip(NEXT) | instid1(VALU_DEP_2)
	v_pk_fma_f32 v[36:37], v[36:37], v[38:39], v[80:81] op_sel_hi:[1,1,0] neg_lo:[0,0,1] neg_hi:[0,0,1]
	v_mov_b32_e32 v37, v41
	ds_store_b64 v59, v[36:37]
.LBB58_312:                             ;   in Loop: Header=BB58_3 Depth=1
	s_or_b32 exec_lo, exec_lo, s6
	v_readlane_b32 s7, v90, 6
	s_wait_dscnt 0x0
	s_barrier_signal -1
	s_barrier_wait -1
	s_and_saveexec_b32 s6, s7
	s_cbranch_execz .LBB58_314
; %bb.313:                              ;   in Loop: Header=BB58_3 Depth=1
	ds_load_b64 v[38:39], v58 offset:8320
	ds_load_b64 v[40:41], v59
	s_wait_dscnt 0x0
	v_dual_mul_f32 v0, v41, v39 :: v_dual_mul_f32 v81, v40, v39
	s_delay_alu instid0(VALU_DEP_1) | instskip(NEXT) | instid1(VALU_DEP_1)
	v_dual_fma_f32 v80, v40, v38, -v0 :: v_dual_fmac_f32 v81, v41, v38
	v_pk_add_f32 v[36:37], v[36:37], v[80:81]
.LBB58_314:                             ;   in Loop: Header=BB58_3 Depth=1
	s_or_b32 exec_lo, exec_lo, s6
	v_readlane_b32 s7, v90, 7
	s_barrier_signal -1
	s_barrier_wait -1
	s_and_saveexec_b32 s6, s7
	s_cbranch_execz .LBB58_316
; %bb.315:                              ;   in Loop: Header=BB58_3 Depth=1
	ds_load_b64 v[38:39], v1 offset:8840
	s_wait_dscnt 0x0
	v_pk_mul_f32 v[40:41], v[36:37], v[38:39] op_sel:[1,1] op_sel_hi:[1,0]
	s_delay_alu instid0(VALU_DEP_1) | instskip(SKIP_1) | instid1(VALU_DEP_2)
	v_pk_fma_f32 v[80:81], v[36:37], v[38:39], v[40:41] op_sel_hi:[0,1,1]
	v_pk_fma_f32 v[36:37], v[36:37], v[38:39], v[40:41] op_sel_hi:[0,1,1] neg_lo:[0,0,1] neg_hi:[0,0,1]
	v_mov_b32_e32 v37, v81
	ds_store_b64 v59, v[36:37]
.LBB58_316:                             ;   in Loop: Header=BB58_3 Depth=1
	s_or_b32 exec_lo, exec_lo, s6
	v_readlane_b32 s7, v90, 8
	s_wait_dscnt 0x0
	s_barrier_signal -1
	s_barrier_wait -1
	s_and_saveexec_b32 s6, s7
	s_cbranch_execz .LBB58_318
; %bb.317:                              ;   in Loop: Header=BB58_3 Depth=1
	ds_load_b64 v[38:39], v58 offset:8832
	ds_load_b64 v[40:41], v59
	s_wait_dscnt 0x0
	v_pk_mul_f32 v[80:81], v[40:41], v[38:39] op_sel:[1,1] op_sel_hi:[0,1]
	s_delay_alu instid0(VALU_DEP_1) | instskip(SKIP_1) | instid1(VALU_DEP_2)
	v_pk_fma_f32 v[82:83], v[40:41], v[38:39], v[80:81] op_sel_hi:[1,0,1]
	v_pk_fma_f32 v[38:39], v[40:41], v[38:39], v[80:81] op_sel_hi:[1,0,1] neg_lo:[0,0,1] neg_hi:[0,0,1]
	v_mov_b32_e32 v39, v83
	s_delay_alu instid0(VALU_DEP_1)
	v_pk_add_f32 v[36:37], v[36:37], v[38:39]
.LBB58_318:                             ;   in Loop: Header=BB58_3 Depth=1
	s_or_b32 exec_lo, exec_lo, s6
	s_barrier_signal -1
	s_barrier_wait -1
	s_and_saveexec_b32 s6, s69
	s_cbranch_execz .LBB58_320
; %bb.319:                              ;   in Loop: Header=BB58_3 Depth=1
	ds_load_b64 v[38:39], v1 offset:9360
	s_wait_dscnt 0x0
	v_pk_mul_f32 v[40:41], v[36:37], v[38:39] op_sel:[1,1] op_sel_hi:[1,0]
	s_delay_alu instid0(VALU_DEP_1) | instskip(SKIP_1) | instid1(VALU_DEP_2)
	v_pk_fma_f32 v[80:81], v[36:37], v[38:39], v[40:41] op_sel_hi:[0,1,1]
	v_pk_fma_f32 v[36:37], v[36:37], v[38:39], v[40:41] op_sel_hi:[0,1,1] neg_lo:[0,0,1] neg_hi:[0,0,1]
	v_mov_b32_e32 v37, v81
	ds_store_b64 v59, v[36:37]
.LBB58_320:                             ;   in Loop: Header=BB58_3 Depth=1
	s_or_b32 exec_lo, exec_lo, s6
	s_wait_dscnt 0x0
	s_barrier_signal -1
	s_barrier_wait -1
	s_and_saveexec_b32 s6, s12
	s_cbranch_execz .LBB58_322
; %bb.321:                              ;   in Loop: Header=BB58_3 Depth=1
	ds_load_b64 v[38:39], v58 offset:9344
	ds_load_b64 v[40:41], v59
	s_wait_dscnt 0x0
	v_pk_mul_f32 v[80:81], v[40:41], v[38:39] op_sel:[1,1] op_sel_hi:[0,1]
	s_delay_alu instid0(VALU_DEP_1) | instskip(SKIP_1) | instid1(VALU_DEP_2)
	v_pk_fma_f32 v[82:83], v[40:41], v[38:39], v[80:81] op_sel_hi:[1,0,1]
	v_pk_fma_f32 v[38:39], v[40:41], v[38:39], v[80:81] op_sel_hi:[1,0,1] neg_lo:[0,0,1] neg_hi:[0,0,1]
	v_mov_b32_e32 v39, v83
	s_delay_alu instid0(VALU_DEP_1)
	v_pk_add_f32 v[36:37], v[36:37], v[38:39]
.LBB58_322:                             ;   in Loop: Header=BB58_3 Depth=1
	s_or_b32 exec_lo, exec_lo, s6
	s_barrier_signal -1
	s_barrier_wait -1
	s_and_saveexec_b32 s6, s13
	s_cbranch_execz .LBB58_324
; %bb.323:                              ;   in Loop: Header=BB58_3 Depth=1
	ds_load_b64 v[38:39], v1 offset:9880
	s_wait_dscnt 0x0
	v_pk_mul_f32 v[40:41], v[36:37], v[38:39] op_sel:[1,1] op_sel_hi:[1,0]
	s_delay_alu instid0(VALU_DEP_1) | instskip(SKIP_1) | instid1(VALU_DEP_2)
	v_pk_fma_f32 v[80:81], v[36:37], v[38:39], v[40:41] op_sel_hi:[0,1,1]
	v_pk_fma_f32 v[36:37], v[36:37], v[38:39], v[40:41] op_sel_hi:[0,1,1] neg_lo:[0,0,1] neg_hi:[0,0,1]
	v_mov_b32_e32 v37, v81
	ds_store_b64 v59, v[36:37]
.LBB58_324:                             ;   in Loop: Header=BB58_3 Depth=1
	s_or_b32 exec_lo, exec_lo, s6
	s_wait_dscnt 0x0
	s_barrier_signal -1
	s_barrier_wait -1
	s_and_saveexec_b32 s6, s23
	s_cbranch_execz .LBB58_326
; %bb.325:                              ;   in Loop: Header=BB58_3 Depth=1
	ds_load_b64 v[38:39], v58 offset:9856
	ds_load_b64 v[40:41], v59
	s_wait_dscnt 0x0
	v_pk_mul_f32 v[80:81], v[40:41], v[38:39] op_sel:[1,1] op_sel_hi:[0,1]
	s_delay_alu instid0(VALU_DEP_1) | instskip(SKIP_1) | instid1(VALU_DEP_2)
	v_pk_fma_f32 v[82:83], v[40:41], v[38:39], v[80:81] op_sel_hi:[1,0,1]
	v_pk_fma_f32 v[38:39], v[40:41], v[38:39], v[80:81] op_sel_hi:[1,0,1] neg_lo:[0,0,1] neg_hi:[0,0,1]
	v_mov_b32_e32 v39, v83
	s_delay_alu instid0(VALU_DEP_1)
	v_pk_add_f32 v[36:37], v[36:37], v[38:39]
.LBB58_326:                             ;   in Loop: Header=BB58_3 Depth=1
	s_or_b32 exec_lo, exec_lo, s6
	s_barrier_signal -1
	s_barrier_wait -1
	s_and_saveexec_b32 s6, s25
	s_cbranch_execz .LBB58_328
; %bb.327:                              ;   in Loop: Header=BB58_3 Depth=1
	ds_load_b64 v[38:39], v1 offset:10400
	s_wait_dscnt 0x0
	v_dual_mul_f32 v0, v36, v39 :: v_dual_mul_f32 v40, v37, v39
	s_delay_alu instid0(VALU_DEP_1) | instskip(NEXT) | instid1(VALU_DEP_2)
	v_pk_fma_f32 v[80:81], v[36:37], v[38:39], v[0:1] op_sel:[0,1,0] op_sel_hi:[1,0,0]
	v_pk_fma_f32 v[38:39], v[36:37], v[38:39], v[40:41] op_sel_hi:[1,1,0] neg_lo:[0,0,1] neg_hi:[0,0,1]
	s_delay_alu instid0(VALU_DEP_2) | instskip(NEXT) | instid1(VALU_DEP_1)
	v_mov_b32_e32 v39, v81
	v_mov_b64_e32 v[36:37], v[38:39]
	ds_store_b64 v59, v[38:39]
.LBB58_328:                             ;   in Loop: Header=BB58_3 Depth=1
	s_or_b32 exec_lo, exec_lo, s6
	s_wait_dscnt 0x0
	s_barrier_signal -1
	s_barrier_wait -1
	s_and_saveexec_b32 s6, s27
	s_cbranch_execz .LBB58_330
; %bb.329:                              ;   in Loop: Header=BB58_3 Depth=1
	ds_load_b64 v[38:39], v58 offset:10368
	ds_load_b64 v[40:41], v59
	s_wait_dscnt 0x0
	v_dual_mul_f32 v0, v41, v39 :: v_dual_mul_f32 v81, v40, v39
	s_delay_alu instid0(VALU_DEP_1) | instskip(NEXT) | instid1(VALU_DEP_1)
	v_dual_fma_f32 v80, v40, v38, -v0 :: v_dual_fmac_f32 v81, v41, v38
	v_pk_add_f32 v[36:37], v[36:37], v[80:81]
.LBB58_330:                             ;   in Loop: Header=BB58_3 Depth=1
	s_or_b32 exec_lo, exec_lo, s6
	s_barrier_signal -1
	s_barrier_wait -1
	s_and_saveexec_b32 s6, s29
	s_cbranch_execz .LBB58_332
; %bb.331:                              ;   in Loop: Header=BB58_3 Depth=1
	ds_load_b64 v[38:39], v1 offset:10920
	s_wait_dscnt 0x0
	v_pk_mul_f32 v[40:41], v[36:37], v[38:39] op_sel:[1,1] op_sel_hi:[1,0]
	s_delay_alu instid0(VALU_DEP_1) | instskip(SKIP_1) | instid1(VALU_DEP_2)
	v_pk_fma_f32 v[80:81], v[36:37], v[38:39], v[40:41] op_sel_hi:[0,1,1]
	v_pk_fma_f32 v[36:37], v[36:37], v[38:39], v[40:41] op_sel_hi:[0,1,1] neg_lo:[0,0,1] neg_hi:[0,0,1]
	v_mov_b32_e32 v37, v81
	ds_store_b64 v59, v[36:37]
.LBB58_332:                             ;   in Loop: Header=BB58_3 Depth=1
	s_or_b32 exec_lo, exec_lo, s6
	s_wait_dscnt 0x0
	s_barrier_signal -1
	s_barrier_wait -1
	s_and_saveexec_b32 s6, s31
	s_cbranch_execz .LBB58_334
; %bb.333:                              ;   in Loop: Header=BB58_3 Depth=1
	ds_load_b64 v[38:39], v58 offset:10880
	ds_load_b64 v[40:41], v59
	s_wait_dscnt 0x0
	v_pk_mul_f32 v[80:81], v[40:41], v[38:39] op_sel:[1,1] op_sel_hi:[0,1]
	s_delay_alu instid0(VALU_DEP_1) | instskip(SKIP_1) | instid1(VALU_DEP_2)
	v_pk_fma_f32 v[82:83], v[40:41], v[38:39], v[80:81] op_sel_hi:[1,0,1]
	v_pk_fma_f32 v[38:39], v[40:41], v[38:39], v[80:81] op_sel_hi:[1,0,1] neg_lo:[0,0,1] neg_hi:[0,0,1]
	v_mov_b32_e32 v39, v83
	s_delay_alu instid0(VALU_DEP_1)
	v_pk_add_f32 v[36:37], v[36:37], v[38:39]
.LBB58_334:                             ;   in Loop: Header=BB58_3 Depth=1
	s_or_b32 exec_lo, exec_lo, s6
	s_barrier_signal -1
	s_barrier_wait -1
	s_and_saveexec_b32 s6, s34
	s_cbranch_execz .LBB58_336
; %bb.335:                              ;   in Loop: Header=BB58_3 Depth=1
	ds_load_b64 v[38:39], v1 offset:11440
	s_wait_dscnt 0x0
	v_pk_mul_f32 v[40:41], v[36:37], v[38:39] op_sel:[1,1] op_sel_hi:[1,0]
	s_delay_alu instid0(VALU_DEP_1) | instskip(SKIP_1) | instid1(VALU_DEP_2)
	v_pk_fma_f32 v[80:81], v[36:37], v[38:39], v[40:41] op_sel_hi:[0,1,1]
	v_pk_fma_f32 v[36:37], v[36:37], v[38:39], v[40:41] op_sel_hi:[0,1,1] neg_lo:[0,0,1] neg_hi:[0,0,1]
	v_mov_b32_e32 v37, v81
	ds_store_b64 v59, v[36:37]
.LBB58_336:                             ;   in Loop: Header=BB58_3 Depth=1
	s_or_b32 exec_lo, exec_lo, s6
	s_wait_dscnt 0x0
	s_barrier_signal -1
	s_barrier_wait -1
	s_and_saveexec_b32 s6, s38
	s_cbranch_execz .LBB58_338
; %bb.337:                              ;   in Loop: Header=BB58_3 Depth=1
	ds_load_b64 v[38:39], v58 offset:11392
	ds_load_b64 v[40:41], v59
	s_wait_dscnt 0x0
	v_pk_mul_f32 v[80:81], v[40:41], v[38:39] op_sel:[1,1] op_sel_hi:[0,1]
	s_delay_alu instid0(VALU_DEP_1) | instskip(SKIP_1) | instid1(VALU_DEP_2)
	v_pk_fma_f32 v[82:83], v[40:41], v[38:39], v[80:81] op_sel_hi:[1,0,1]
	v_pk_fma_f32 v[38:39], v[40:41], v[38:39], v[80:81] op_sel_hi:[1,0,1] neg_lo:[0,0,1] neg_hi:[0,0,1]
	v_mov_b32_e32 v39, v83
	s_delay_alu instid0(VALU_DEP_1)
	v_pk_add_f32 v[36:37], v[36:37], v[38:39]
.LBB58_338:                             ;   in Loop: Header=BB58_3 Depth=1
	;; [unrolled: 33-line block ×3, first 2 shown]
	s_or_b32 exec_lo, exec_lo, s6
	s_barrier_signal -1
	s_barrier_wait -1
	s_and_saveexec_b32 s6, s41
	s_cbranch_execz .LBB58_344
; %bb.343:                              ;   in Loop: Header=BB58_3 Depth=1
	ds_load_b64 v[38:39], v1 offset:12480
	s_wait_dscnt 0x0
	v_dual_mul_f32 v0, v36, v39 :: v_dual_mul_f32 v40, v37, v39
	s_delay_alu instid0(VALU_DEP_1) | instskip(NEXT) | instid1(VALU_DEP_2)
	v_pk_fma_f32 v[80:81], v[36:37], v[38:39], v[0:1] op_sel:[0,1,0] op_sel_hi:[1,0,0]
	v_pk_fma_f32 v[38:39], v[36:37], v[38:39], v[40:41] op_sel_hi:[1,1,0] neg_lo:[0,0,1] neg_hi:[0,0,1]
	s_delay_alu instid0(VALU_DEP_2) | instskip(NEXT) | instid1(VALU_DEP_1)
	v_mov_b32_e32 v39, v81
	v_mov_b64_e32 v[36:37], v[38:39]
	ds_store_b64 v59, v[38:39]
.LBB58_344:                             ;   in Loop: Header=BB58_3 Depth=1
	s_or_b32 exec_lo, exec_lo, s6
	s_wait_dscnt 0x0
	s_barrier_signal -1
	s_barrier_wait -1
	s_and_saveexec_b32 s6, s42
	s_cbranch_execz .LBB58_346
; %bb.345:                              ;   in Loop: Header=BB58_3 Depth=1
	ds_load_b64 v[38:39], v58 offset:12416
	ds_load_b64 v[40:41], v59
	s_wait_dscnt 0x0
	v_dual_mul_f32 v0, v41, v39 :: v_dual_mul_f32 v81, v40, v39
	s_delay_alu instid0(VALU_DEP_1) | instskip(NEXT) | instid1(VALU_DEP_1)
	v_dual_fma_f32 v80, v40, v38, -v0 :: v_dual_fmac_f32 v81, v41, v38
	v_pk_add_f32 v[36:37], v[36:37], v[80:81]
.LBB58_346:                             ;   in Loop: Header=BB58_3 Depth=1
	s_or_b32 exec_lo, exec_lo, s6
	s_barrier_signal -1
	s_barrier_wait -1
	s_and_saveexec_b32 s6, s9
	s_cbranch_execz .LBB58_348
; %bb.347:                              ;   in Loop: Header=BB58_3 Depth=1
	ds_load_b64 v[38:39], v1 offset:13000
	s_wait_dscnt 0x0
	v_pk_mul_f32 v[40:41], v[36:37], v[38:39] op_sel:[1,1] op_sel_hi:[1,0]
	s_delay_alu instid0(VALU_DEP_1) | instskip(SKIP_1) | instid1(VALU_DEP_2)
	v_pk_fma_f32 v[80:81], v[36:37], v[38:39], v[40:41] op_sel_hi:[0,1,1]
	v_pk_fma_f32 v[36:37], v[36:37], v[38:39], v[40:41] op_sel_hi:[0,1,1] neg_lo:[0,0,1] neg_hi:[0,0,1]
	v_mov_b32_e32 v37, v81
	ds_store_b64 v59, v[36:37]
.LBB58_348:                             ;   in Loop: Header=BB58_3 Depth=1
	s_or_b32 exec_lo, exec_lo, s6
	s_wait_dscnt 0x0
	s_barrier_signal -1
	s_barrier_wait -1
	s_and_saveexec_b32 s6, s24
	s_cbranch_execz .LBB58_350
; %bb.349:                              ;   in Loop: Header=BB58_3 Depth=1
	ds_load_b64 v[38:39], v58 offset:12928
	ds_load_b64 v[40:41], v59
	s_wait_dscnt 0x0
	v_pk_mul_f32 v[80:81], v[40:41], v[38:39] op_sel:[1,1] op_sel_hi:[0,1]
	s_delay_alu instid0(VALU_DEP_1) | instskip(SKIP_1) | instid1(VALU_DEP_2)
	v_pk_fma_f32 v[82:83], v[40:41], v[38:39], v[80:81] op_sel_hi:[1,0,1]
	v_pk_fma_f32 v[38:39], v[40:41], v[38:39], v[80:81] op_sel_hi:[1,0,1] neg_lo:[0,0,1] neg_hi:[0,0,1]
	v_mov_b32_e32 v39, v83
	s_delay_alu instid0(VALU_DEP_1)
	v_pk_add_f32 v[36:37], v[36:37], v[38:39]
.LBB58_350:                             ;   in Loop: Header=BB58_3 Depth=1
	s_or_b32 exec_lo, exec_lo, s6
	s_barrier_signal -1
	s_barrier_wait -1
	s_and_saveexec_b32 s6, s26
	s_cbranch_execz .LBB58_352
; %bb.351:                              ;   in Loop: Header=BB58_3 Depth=1
	ds_load_b64 v[38:39], v1 offset:13520
	s_wait_dscnt 0x0
	v_pk_mul_f32 v[40:41], v[36:37], v[38:39] op_sel:[1,1] op_sel_hi:[1,0]
	s_delay_alu instid0(VALU_DEP_1) | instskip(SKIP_1) | instid1(VALU_DEP_2)
	v_pk_fma_f32 v[80:81], v[36:37], v[38:39], v[40:41] op_sel_hi:[0,1,1]
	v_pk_fma_f32 v[36:37], v[36:37], v[38:39], v[40:41] op_sel_hi:[0,1,1] neg_lo:[0,0,1] neg_hi:[0,0,1]
	v_mov_b32_e32 v37, v81
	ds_store_b64 v59, v[36:37]
.LBB58_352:                             ;   in Loop: Header=BB58_3 Depth=1
	s_or_b32 exec_lo, exec_lo, s6
	s_wait_dscnt 0x0
	s_barrier_signal -1
	s_barrier_wait -1
	s_and_saveexec_b32 s6, s28
	s_cbranch_execz .LBB58_354
; %bb.353:                              ;   in Loop: Header=BB58_3 Depth=1
	ds_load_b64 v[38:39], v58 offset:13440
	ds_load_b64 v[40:41], v59
	s_wait_dscnt 0x0
	v_pk_mul_f32 v[80:81], v[40:41], v[38:39] op_sel:[1,1] op_sel_hi:[0,1]
	s_delay_alu instid0(VALU_DEP_1) | instskip(SKIP_1) | instid1(VALU_DEP_2)
	v_pk_fma_f32 v[82:83], v[40:41], v[38:39], v[80:81] op_sel_hi:[1,0,1]
	v_pk_fma_f32 v[38:39], v[40:41], v[38:39], v[80:81] op_sel_hi:[1,0,1] neg_lo:[0,0,1] neg_hi:[0,0,1]
	v_mov_b32_e32 v39, v83
	s_delay_alu instid0(VALU_DEP_1)
	v_pk_add_f32 v[36:37], v[36:37], v[38:39]
.LBB58_354:                             ;   in Loop: Header=BB58_3 Depth=1
	;; [unrolled: 33-line block ×3, first 2 shown]
	s_or_b32 exec_lo, exec_lo, s6
	s_barrier_signal -1
	s_barrier_wait -1
	s_and_saveexec_b32 s6, s80
	s_cbranch_execz .LBB58_360
; %bb.359:                              ;   in Loop: Header=BB58_3 Depth=1
	ds_load_b64 v[38:39], v1 offset:14560
	s_wait_dscnt 0x0
	v_dual_mul_f32 v0, v36, v39 :: v_dual_mul_f32 v40, v37, v39
	s_delay_alu instid0(VALU_DEP_1) | instskip(NEXT) | instid1(VALU_DEP_2)
	v_pk_fma_f32 v[80:81], v[36:37], v[38:39], v[0:1] op_sel:[0,1,0] op_sel_hi:[1,0,0]
	v_pk_fma_f32 v[38:39], v[36:37], v[38:39], v[40:41] op_sel_hi:[1,1,0] neg_lo:[0,0,1] neg_hi:[0,0,1]
	s_delay_alu instid0(VALU_DEP_2) | instskip(NEXT) | instid1(VALU_DEP_1)
	v_mov_b32_e32 v39, v81
	v_mov_b64_e32 v[36:37], v[38:39]
	ds_store_b64 v59, v[38:39]
.LBB58_360:                             ;   in Loop: Header=BB58_3 Depth=1
	s_or_b32 exec_lo, exec_lo, s6
	s_wait_dscnt 0x0
	s_barrier_signal -1
	s_barrier_wait -1
	s_and_saveexec_b32 s6, s81
	s_cbranch_execz .LBB58_362
; %bb.361:                              ;   in Loop: Header=BB58_3 Depth=1
	ds_load_b64 v[38:39], v58 offset:14464
	ds_load_b64 v[40:41], v59
	s_wait_dscnt 0x0
	v_dual_mul_f32 v0, v41, v39 :: v_dual_mul_f32 v81, v40, v39
	s_delay_alu instid0(VALU_DEP_1) | instskip(NEXT) | instid1(VALU_DEP_1)
	v_dual_fma_f32 v80, v40, v38, -v0 :: v_dual_fmac_f32 v81, v41, v38
	v_pk_add_f32 v[36:37], v[36:37], v[80:81]
.LBB58_362:                             ;   in Loop: Header=BB58_3 Depth=1
	s_or_b32 exec_lo, exec_lo, s6
	s_barrier_signal -1
	s_barrier_wait -1
	s_and_saveexec_b32 s6, s78
	s_cbranch_execz .LBB58_364
; %bb.363:                              ;   in Loop: Header=BB58_3 Depth=1
	ds_load_b64 v[38:39], v1 offset:15080
	s_wait_dscnt 0x0
	v_pk_mul_f32 v[40:41], v[36:37], v[38:39] op_sel:[1,1] op_sel_hi:[1,0]
	s_delay_alu instid0(VALU_DEP_1) | instskip(SKIP_1) | instid1(VALU_DEP_2)
	v_pk_fma_f32 v[80:81], v[36:37], v[38:39], v[40:41] op_sel_hi:[0,1,1]
	v_pk_fma_f32 v[38:39], v[36:37], v[38:39], v[40:41] neg_lo:[0,0,1] neg_hi:[0,0,1]
	v_mov_b32_e32 v39, v81
	s_delay_alu instid0(VALU_DEP_1)
	v_mov_b64_e32 v[36:37], v[38:39]
	ds_store_b64 v59, v[38:39]
.LBB58_364:                             ;   in Loop: Header=BB58_3 Depth=1
	s_or_b32 exec_lo, exec_lo, s6
	s_wait_dscnt 0x0
	s_barrier_signal -1
	s_barrier_wait -1
	s_and_saveexec_b32 s6, s79
	s_cbranch_execz .LBB58_366
; %bb.365:                              ;   in Loop: Header=BB58_3 Depth=1
	ds_load_b64 v[38:39], v58 offset:14976
	ds_load_b64 v[40:41], v59
	s_wait_dscnt 0x0
	v_pk_mul_f32 v[80:81], v[40:41], v[38:39] op_sel:[1,1] op_sel_hi:[0,1]
	s_delay_alu instid0(VALU_DEP_1) | instskip(SKIP_1) | instid1(VALU_DEP_2)
	v_pk_fma_f32 v[82:83], v[40:41], v[38:39], v[80:81] op_sel_hi:[1,0,1]
	v_pk_fma_f32 v[38:39], v[40:41], v[38:39], v[80:81] neg_lo:[0,0,1] neg_hi:[0,0,1]
	v_mov_b32_e32 v39, v83
	s_delay_alu instid0(VALU_DEP_1)
	v_pk_add_f32 v[36:37], v[36:37], v[38:39]
.LBB58_366:                             ;   in Loop: Header=BB58_3 Depth=1
	s_or_b32 exec_lo, exec_lo, s6
	s_barrier_signal -1
	s_barrier_wait -1
	s_and_saveexec_b32 s6, s103
	s_cbranch_execz .LBB58_368
; %bb.367:                              ;   in Loop: Header=BB58_3 Depth=1
	ds_load_b64 v[38:39], v1 offset:15600
	s_wait_dscnt 0x0
	v_pk_mul_f32 v[40:41], v[36:37], v[38:39] op_sel:[1,1] op_sel_hi:[1,0]
	s_delay_alu instid0(VALU_DEP_1) | instskip(SKIP_1) | instid1(VALU_DEP_2)
	v_pk_fma_f32 v[80:81], v[36:37], v[38:39], v[40:41] op_sel_hi:[0,1,1]
	v_pk_fma_f32 v[38:39], v[36:37], v[38:39], v[40:41] neg_lo:[0,0,1] neg_hi:[0,0,1]
	v_mov_b32_e32 v39, v81
	s_delay_alu instid0(VALU_DEP_1)
	v_mov_b64_e32 v[36:37], v[38:39]
	ds_store_b64 v59, v[38:39]
.LBB58_368:                             ;   in Loop: Header=BB58_3 Depth=1
	s_or_b32 exec_lo, exec_lo, s6
	s_wait_dscnt 0x0
	s_barrier_signal -1
	s_barrier_wait -1
	s_and_saveexec_b32 s6, s65
	s_cbranch_execz .LBB58_370
; %bb.369:                              ;   in Loop: Header=BB58_3 Depth=1
	ds_load_b64 v[38:39], v1 offset:15608
	ds_load_b64 v[40:41], v59
	s_wait_dscnt 0x0
	v_pk_mul_f32 v[80:81], v[40:41], v[38:39] op_sel:[1,1] op_sel_hi:[0,1]
	s_delay_alu instid0(VALU_DEP_1) | instskip(SKIP_1) | instid1(VALU_DEP_2)
	v_pk_fma_f32 v[82:83], v[40:41], v[38:39], v[80:81] op_sel_hi:[1,0,1]
	v_pk_fma_f32 v[38:39], v[40:41], v[38:39], v[80:81] neg_lo:[0,0,1] neg_hi:[0,0,1]
	v_mov_b32_e32 v39, v83
	s_delay_alu instid0(VALU_DEP_1)
	v_pk_add_f32 v[36:37], v[36:37], v[38:39]
.LBB58_370:                             ;   in Loop: Header=BB58_3 Depth=1
	s_or_b32 exec_lo, exec_lo, s6
	s_barrier_signal -1
	s_barrier_wait -1
	s_and_saveexec_b32 s6, s65
	s_cbranch_execz .LBB58_372
; %bb.371:                              ;   in Loop: Header=BB58_3 Depth=1
	ds_load_b64 v[38:39], v1 offset:16120
	s_wait_dscnt 0x0
	v_pk_mul_f32 v[40:41], v[36:37], v[38:39] op_sel:[1,1] op_sel_hi:[1,0]
	s_delay_alu instid0(VALU_DEP_1) | instskip(SKIP_1) | instid1(VALU_DEP_2)
	v_pk_fma_f32 v[80:81], v[36:37], v[38:39], v[40:41] op_sel_hi:[0,1,1]
	v_pk_fma_f32 v[38:39], v[36:37], v[38:39], v[40:41] neg_lo:[0,0,1] neg_hi:[0,0,1]
	v_mov_b32_e32 v39, v81
	s_delay_alu instid0(VALU_DEP_1)
	v_mov_b64_e32 v[36:37], v[38:39]
	ds_store_b64 v59, v[38:39]
.LBB58_372:                             ;   in Loop: Header=BB58_3 Depth=1
	s_or_b32 exec_lo, exec_lo, s6
	s_wait_dscnt 0x0
	s_barrier_signal -1
	s_barrier_wait -1
	s_barrier_signal -1
	s_barrier_wait -1
	s_and_saveexec_b32 s6, s4
; %bb.373:                              ;   in Loop: Header=BB58_3 Depth=1
	v_pk_add_f32 v[36:37], v[36:37], 0 neg_lo:[1,1] neg_hi:[1,1]
	ds_store_b64 v60, v[36:37] offset:128
; %bb.374:                              ;   in Loop: Header=BB58_3 Depth=1
	s_or_b32 exec_lo, exec_lo, s6
	s_wait_dscnt 0x0
	s_barrier_signal -1
	s_barrier_wait -1
	s_barrier_signal -1
	s_barrier_wait -1
	s_and_saveexec_b32 s96, s14
	s_cbranch_execz .LBB58_376
; %bb.375:                              ;   in Loop: Header=BB58_3 Depth=1
	ds_load_b128 v[36:39], v1 offset:8320
	ds_load_b64 v[40:41], v1 offset:8840
	s_wait_dscnt 0x1
	v_dual_mov_b32 v80, v39 :: v_dual_mov_b32 v81, v38
	s_wait_dscnt 0x0
	v_dual_mul_f32 v79, v41, v37 :: v_dual_mul_f32 v0, v40, v37
	s_delay_alu instid0(VALU_DEP_1) | instskip(NEXT) | instid1(VALU_DEP_1)
	v_xor_b32_e32 v82, 0x80000000, v79
	v_dual_fmac_f32 v0, v41, v36 :: v_dual_fmac_f32 v82, v40, v36
	s_delay_alu instid0(VALU_DEP_1) | instskip(NEXT) | instid1(VALU_DEP_1)
	v_pk_mul_f32 v[36:37], v[0:1], v[80:81] op_sel_hi:[0,1]
	v_pk_fma_f32 v[40:41], v[82:83], v[38:39], v[36:37] op_sel_hi:[0,1,1]
	v_pk_fma_f32 v[36:37], v[82:83], v[38:39], v[36:37] neg_lo:[0,0,1] neg_hi:[0,0,1]
	s_delay_alu instid0(VALU_DEP_2)
	v_mov_b32_e32 v37, v41
	ds_store_b64 v1, v[36:37] offset:8328
.LBB58_376:                             ;   in Loop: Header=BB58_3 Depth=1
	s_or_b32 exec_lo, exec_lo, s96
	v_mov_b32_e32 v37, 0
	s_wait_dscnt 0x0
	s_barrier_signal -1
	s_barrier_wait -1
	s_delay_alu instid0(VALU_DEP_1)
	v_mov_b32_e32 v36, v37
	s_and_saveexec_b32 s96, s1
	s_cbranch_execz .LBB58_380
; %bb.377:                              ;   in Loop: Header=BB58_3 Depth=1
	ds_load_b64 v[36:37], v44 offset:8336
	ds_load_b64 v[38:39], v45 offset:8320
	s_wait_dscnt 0x0
	v_dual_mul_f32 v0, v39, v37 :: v_dual_mul_f32 v41, v38, v37
	s_delay_alu instid0(VALU_DEP_1) | instskip(NEXT) | instid1(VALU_DEP_1)
	v_dual_fma_f32 v40, v38, v36, -v0 :: v_dual_fmac_f32 v41, v39, v36
	v_pk_add_f32 v[36:37], v[40:41], 0 op_sel_hi:[1,0]
	s_and_saveexec_b32 s6, s15
	s_cbranch_execz .LBB58_379
; %bb.378:                              ;   in Loop: Header=BB58_3 Depth=1
	ds_load_b64 v[38:39], v46 offset:8848
	ds_load_b64 v[40:41], v1 offset:8328
	s_wait_dscnt 0x0
	v_pk_mul_f32 v[80:81], v[40:41], v[38:39] op_sel:[1,1] op_sel_hi:[0,1]
	s_delay_alu instid0(VALU_DEP_1) | instskip(SKIP_1) | instid1(VALU_DEP_2)
	v_pk_fma_f32 v[82:83], v[40:41], v[38:39], v[80:81] op_sel_hi:[1,0,1]
	v_pk_fma_f32 v[38:39], v[40:41], v[38:39], v[80:81] neg_lo:[0,0,1] neg_hi:[0,0,1]
	v_mov_b32_e32 v39, v83
	s_delay_alu instid0(VALU_DEP_1)
	v_pk_add_f32 v[36:37], v[36:37], v[38:39]
.LBB58_379:                             ;   in Loop: Header=BB58_3 Depth=1
	s_or_b32 exec_lo, exec_lo, s6
	s_delay_alu instid0(VALU_DEP_1)
	v_pk_add_f32 v[36:37], v[36:37], 0 neg_lo:[1,1] neg_hi:[1,1]
.LBB58_380:                             ;   in Loop: Header=BB58_3 Depth=1
	s_or_b32 exec_lo, exec_lo, s96
	s_and_saveexec_b32 s6, s43
	s_cbranch_execz .LBB58_382
; %bb.381:                              ;   in Loop: Header=BB58_3 Depth=1
	ds_load_b64 v[38:39], v1 offset:9360
	s_wait_dscnt 0x0
	v_pk_mul_f32 v[40:41], v[36:37], v[38:39] op_sel:[1,1] op_sel_hi:[1,0]
	s_delay_alu instid0(VALU_DEP_1) | instskip(SKIP_1) | instid1(VALU_DEP_2)
	v_pk_fma_f32 v[80:81], v[36:37], v[38:39], v[40:41] op_sel_hi:[0,1,1]
	v_pk_fma_f32 v[38:39], v[36:37], v[38:39], v[40:41] neg_lo:[0,0,1] neg_hi:[0,0,1]
	v_mov_b32_e32 v39, v81
	s_delay_alu instid0(VALU_DEP_1)
	v_mov_b64_e32 v[36:37], v[38:39]
	ds_store_b64 v3, v[38:39]
.LBB58_382:                             ;   in Loop: Header=BB58_3 Depth=1
	s_or_b32 exec_lo, exec_lo, s6
	s_wait_dscnt 0x0
	s_barrier_signal -1
	s_barrier_wait -1
	s_and_saveexec_b32 s6, s44
	s_cbranch_execz .LBB58_384
; %bb.383:                              ;   in Loop: Header=BB58_3 Depth=1
	ds_load_b64 v[38:39], v1 offset:9368
	ds_load_b64 v[40:41], v3
	s_wait_dscnt 0x0
	v_pk_mul_f32 v[80:81], v[40:41], v[38:39] op_sel:[1,1] op_sel_hi:[0,1]
	s_delay_alu instid0(VALU_DEP_1) | instskip(SKIP_1) | instid1(VALU_DEP_2)
	v_pk_fma_f32 v[82:83], v[40:41], v[38:39], v[80:81] op_sel_hi:[1,0,1]
	v_pk_fma_f32 v[38:39], v[40:41], v[38:39], v[80:81] neg_lo:[0,0,1] neg_hi:[0,0,1]
	v_mov_b32_e32 v39, v83
	s_delay_alu instid0(VALU_DEP_1)
	v_pk_add_f32 v[36:37], v[36:37], v[38:39]
.LBB58_384:                             ;   in Loop: Header=BB58_3 Depth=1
	s_or_b32 exec_lo, exec_lo, s6
	s_barrier_signal -1
	s_barrier_wait -1
	s_and_saveexec_b32 s6, s44
	s_cbranch_execz .LBB58_386
; %bb.385:                              ;   in Loop: Header=BB58_3 Depth=1
	ds_load_b64 v[38:39], v1 offset:9880
	s_wait_dscnt 0x0
	v_pk_mul_f32 v[40:41], v[36:37], v[38:39] op_sel:[1,1] op_sel_hi:[1,0]
	s_delay_alu instid0(VALU_DEP_1) | instskip(SKIP_1) | instid1(VALU_DEP_2)
	v_pk_fma_f32 v[80:81], v[36:37], v[38:39], v[40:41] op_sel_hi:[0,1,1]
	v_pk_fma_f32 v[38:39], v[36:37], v[38:39], v[40:41] neg_lo:[0,0,1] neg_hi:[0,0,1]
	v_mov_b32_e32 v39, v81
	s_delay_alu instid0(VALU_DEP_1)
	v_mov_b64_e32 v[36:37], v[38:39]
	ds_store_b64 v3, v[38:39]
.LBB58_386:                             ;   in Loop: Header=BB58_3 Depth=1
	s_or_b32 exec_lo, exec_lo, s6
	s_wait_dscnt 0x0
	s_barrier_signal -1
	s_barrier_wait -1
	s_barrier_signal -1
	s_barrier_wait -1
	s_and_saveexec_b32 s6, s1
; %bb.387:                              ;   in Loop: Header=BB58_3 Depth=1
	v_pk_add_f32 v[36:37], v[36:37], 0 neg_lo:[1,1] neg_hi:[1,1]
	ds_store_b64 v44, v[36:37] offset:8336
; %bb.388:                              ;   in Loop: Header=BB58_3 Depth=1
	s_or_b32 exec_lo, exec_lo, s6
	s_wait_dscnt 0x0
	s_barrier_signal -1
	s_barrier_wait -1
	s_barrier_signal -1
	s_barrier_wait -1
	s_and_saveexec_b32 s96, s14
	s_cbranch_execz .LBB58_390
; %bb.389:                              ;   in Loop: Header=BB58_3 Depth=1
	ds_load_b128 v[36:39], v1 offset:9360
	ds_load_b64 v[40:41], v1 offset:9880
	s_wait_dscnt 0x1
	v_dual_mov_b32 v80, v39 :: v_dual_mov_b32 v81, v38
	s_wait_dscnt 0x0
	v_dual_mul_f32 v79, v41, v37 :: v_dual_mul_f32 v0, v40, v37
	s_delay_alu instid0(VALU_DEP_1) | instskip(NEXT) | instid1(VALU_DEP_1)
	v_xor_b32_e32 v82, 0x80000000, v79
	v_dual_fmac_f32 v0, v41, v36 :: v_dual_fmac_f32 v82, v40, v36
	s_delay_alu instid0(VALU_DEP_1) | instskip(NEXT) | instid1(VALU_DEP_1)
	v_pk_mul_f32 v[36:37], v[0:1], v[80:81] op_sel_hi:[0,1]
	v_pk_fma_f32 v[40:41], v[82:83], v[38:39], v[36:37] op_sel_hi:[0,1,1]
	v_pk_fma_f32 v[36:37], v[82:83], v[38:39], v[36:37] neg_lo:[0,0,1] neg_hi:[0,0,1]
	s_delay_alu instid0(VALU_DEP_2)
	v_mov_b32_e32 v37, v41
	ds_store_b64 v1, v[36:37] offset:9368
.LBB58_390:                             ;   in Loop: Header=BB58_3 Depth=1
	s_or_b32 exec_lo, exec_lo, s96
	v_mov_b32_e32 v36, 0
	s_wait_dscnt 0x0
	s_barrier_signal -1
	s_barrier_wait -1
	s_delay_alu instid0(VALU_DEP_1)
	v_mov_b32_e32 v37, v36
	s_and_saveexec_b32 s96, s2
	s_cbranch_execz .LBB58_396
; %bb.391:                              ;   in Loop: Header=BB58_3 Depth=1
	ds_load_b64 v[36:37], v50 offset:8352
	ds_load_b64 v[38:39], v47 offset:8320
	s_wait_dscnt 0x0
	v_pk_mul_f32 v[40:41], v[38:39], v[36:37] op_sel:[0,1]
	s_delay_alu instid0(VALU_DEP_1) | instskip(SKIP_1) | instid1(VALU_DEP_2)
	v_pk_fma_f32 v[80:81], v[38:39], v[36:37], v[40:41] op_sel:[1,0,0] op_sel_hi:[0,0,1] neg_lo:[0,0,1] neg_hi:[0,0,1]
	v_pk_fma_f32 v[36:37], v[38:39], v[36:37], v[40:41] op_sel:[1,0,0] op_sel_hi:[0,1,1]
	v_mov_b32_e32 v37, v81
	s_delay_alu instid0(VALU_DEP_1)
	v_pk_add_f32 v[36:37], v[36:37], 0 op_sel_hi:[1,0]
	s_and_saveexec_b32 s6, s16
	s_cbranch_execnz .LBB58_1061
; %bb.392:                              ;   in Loop: Header=BB58_3 Depth=1
	s_or_b32 exec_lo, exec_lo, s6
	s_and_saveexec_b32 s6, s17
	s_cbranch_execnz .LBB58_1062
.LBB58_393:                             ;   in Loop: Header=BB58_3 Depth=1
	s_or_b32 exec_lo, exec_lo, s6
	s_and_saveexec_b32 s6, s1
	s_cbranch_execz .LBB58_395
.LBB58_394:                             ;   in Loop: Header=BB58_3 Depth=1
	ds_load_b64 v[38:39], v46 offset:9888
	ds_load_b64 v[40:41], v1 offset:8344
	s_wait_dscnt 0x0
	v_pk_mul_f32 v[80:81], v[40:41], v[38:39] op_sel:[0,1]
	s_delay_alu instid0(VALU_DEP_1) | instskip(SKIP_1) | instid1(VALU_DEP_2)
	v_pk_fma_f32 v[82:83], v[40:41], v[38:39], v[80:81] op_sel:[1,0,0] op_sel_hi:[0,0,1] neg_lo:[0,0,1] neg_hi:[0,0,1]
	v_pk_fma_f32 v[38:39], v[40:41], v[38:39], v[80:81] op_sel:[1,0,0] op_sel_hi:[0,1,1]
	v_mov_b32_e32 v39, v83
	s_delay_alu instid0(VALU_DEP_1)
	v_pk_add_f32 v[36:37], v[36:37], v[38:39]
.LBB58_395:                             ;   in Loop: Header=BB58_3 Depth=1
	s_or_b32 exec_lo, exec_lo, s6
	s_delay_alu instid0(VALU_DEP_1) | instskip(NEXT) | instid1(VALU_DEP_1)
	v_pk_add_f32 v[38:39], v[36:37], 0 neg_lo:[1,1] neg_hi:[1,1]
	v_dual_mov_b32 v36, v39 :: v_dual_mov_b32 v37, v38
.LBB58_396:                             ;   in Loop: Header=BB58_3 Depth=1
	s_or_b32 exec_lo, exec_lo, s96
	s_and_saveexec_b32 s6, s45
	s_cbranch_execz .LBB58_398
; %bb.397:                              ;   in Loop: Header=BB58_3 Depth=1
	ds_load_b64 v[38:39], v1 offset:10400
	v_dual_mov_b32 v40, v37 :: v_dual_mov_b32 v41, v36
	s_wait_dscnt 0x0
	s_delay_alu instid0(VALU_DEP_1) | instskip(NEXT) | instid1(VALU_DEP_1)
	v_dual_mul_f32 v0, v40, v38 :: v_dual_mul_f32 v80, v37, v39
	v_pk_fma_f32 v[40:41], v[40:41], v[38:39], v[0:1] op_sel_hi:[1,1,0]
	s_delay_alu instid0(VALU_DEP_2) | instskip(NEXT) | instid1(VALU_DEP_2)
	v_pk_fma_f32 v[36:37], v[36:37], v[38:39], v[80:81] op_sel_hi:[1,1,0] neg_lo:[0,0,1] neg_hi:[0,0,1]
	v_mov_b32_e32 v37, v41
	ds_store_b64 v48, v[36:37]
.LBB58_398:                             ;   in Loop: Header=BB58_3 Depth=1
	s_or_b32 exec_lo, exec_lo, s6
	s_wait_dscnt 0x0
	s_barrier_signal -1
	s_barrier_wait -1
	s_and_saveexec_b32 s6, s46
	s_cbranch_execz .LBB58_400
; %bb.399:                              ;   in Loop: Header=BB58_3 Depth=1
	ds_load_b64 v[38:39], v49 offset:10400
	ds_load_b64 v[40:41], v48
	s_wait_dscnt 0x0
	v_dual_mul_f32 v0, v41, v39 :: v_dual_mul_f32 v81, v40, v39
	s_delay_alu instid0(VALU_DEP_1) | instskip(NEXT) | instid1(VALU_DEP_1)
	v_dual_fma_f32 v80, v40, v38, -v0 :: v_dual_fmac_f32 v81, v41, v38
	v_pk_add_f32 v[36:37], v[36:37], v[80:81]
.LBB58_400:                             ;   in Loop: Header=BB58_3 Depth=1
	s_or_b32 exec_lo, exec_lo, s6
	s_barrier_signal -1
	s_barrier_wait -1
	s_and_saveexec_b32 s6, s47
	s_cbranch_execz .LBB58_402
; %bb.401:                              ;   in Loop: Header=BB58_3 Depth=1
	ds_load_b64 v[38:39], v1 offset:10920
	s_wait_dscnt 0x0
	v_pk_mul_f32 v[40:41], v[36:37], v[38:39] op_sel:[1,1] op_sel_hi:[1,0]
	s_delay_alu instid0(VALU_DEP_1) | instskip(SKIP_1) | instid1(VALU_DEP_2)
	v_pk_fma_f32 v[80:81], v[36:37], v[38:39], v[40:41] op_sel_hi:[0,1,1]
	v_pk_fma_f32 v[38:39], v[36:37], v[38:39], v[40:41] neg_lo:[0,0,1] neg_hi:[0,0,1]
	v_mov_b32_e32 v39, v81
	s_delay_alu instid0(VALU_DEP_1)
	v_mov_b64_e32 v[36:37], v[38:39]
	ds_store_b64 v48, v[38:39]
.LBB58_402:                             ;   in Loop: Header=BB58_3 Depth=1
	s_or_b32 exec_lo, exec_lo, s6
	s_wait_dscnt 0x0
	s_barrier_signal -1
	s_barrier_wait -1
	s_and_saveexec_b32 s6, s48
	s_cbranch_execz .LBB58_404
; %bb.403:                              ;   in Loop: Header=BB58_3 Depth=1
	ds_load_b64 v[38:39], v49 offset:10912
	ds_load_b64 v[40:41], v48
	s_wait_dscnt 0x0
	v_pk_mul_f32 v[80:81], v[40:41], v[38:39] op_sel:[1,1] op_sel_hi:[0,1]
	s_delay_alu instid0(VALU_DEP_1) | instskip(SKIP_1) | instid1(VALU_DEP_2)
	v_pk_fma_f32 v[82:83], v[40:41], v[38:39], v[80:81] op_sel_hi:[1,0,1]
	v_pk_fma_f32 v[38:39], v[40:41], v[38:39], v[80:81] neg_lo:[0,0,1] neg_hi:[0,0,1]
	v_mov_b32_e32 v39, v83
	s_delay_alu instid0(VALU_DEP_1)
	v_pk_add_f32 v[36:37], v[36:37], v[38:39]
.LBB58_404:                             ;   in Loop: Header=BB58_3 Depth=1
	s_or_b32 exec_lo, exec_lo, s6
	s_barrier_signal -1
	s_barrier_wait -1
	s_and_saveexec_b32 s6, s49
	s_cbranch_execz .LBB58_406
; %bb.405:                              ;   in Loop: Header=BB58_3 Depth=1
	ds_load_b64 v[38:39], v1 offset:11440
	s_wait_dscnt 0x0
	v_pk_mul_f32 v[40:41], v[36:37], v[38:39] op_sel:[1,1] op_sel_hi:[1,0]
	s_delay_alu instid0(VALU_DEP_1) | instskip(SKIP_1) | instid1(VALU_DEP_2)
	v_pk_fma_f32 v[80:81], v[36:37], v[38:39], v[40:41] op_sel_hi:[0,1,1]
	v_pk_fma_f32 v[38:39], v[36:37], v[38:39], v[40:41] neg_lo:[0,0,1] neg_hi:[0,0,1]
	v_mov_b32_e32 v39, v81
	s_delay_alu instid0(VALU_DEP_1)
	v_mov_b64_e32 v[36:37], v[38:39]
	ds_store_b64 v48, v[38:39]
.LBB58_406:                             ;   in Loop: Header=BB58_3 Depth=1
	s_or_b32 exec_lo, exec_lo, s6
	s_wait_dscnt 0x0
	s_barrier_signal -1
	s_barrier_wait -1
	s_and_saveexec_b32 s6, s50
	s_cbranch_execz .LBB58_408
; %bb.407:                              ;   in Loop: Header=BB58_3 Depth=1
	ds_load_b64 v[38:39], v1 offset:11448
	ds_load_b64 v[40:41], v48
	s_wait_dscnt 0x0
	v_pk_mul_f32 v[80:81], v[40:41], v[38:39] op_sel:[1,1] op_sel_hi:[0,1]
	s_delay_alu instid0(VALU_DEP_1) | instskip(SKIP_1) | instid1(VALU_DEP_2)
	v_pk_fma_f32 v[82:83], v[40:41], v[38:39], v[80:81] op_sel_hi:[1,0,1]
	v_pk_fma_f32 v[38:39], v[40:41], v[38:39], v[80:81] neg_lo:[0,0,1] neg_hi:[0,0,1]
	v_mov_b32_e32 v39, v83
	s_delay_alu instid0(VALU_DEP_1)
	v_pk_add_f32 v[36:37], v[36:37], v[38:39]
.LBB58_408:                             ;   in Loop: Header=BB58_3 Depth=1
	s_or_b32 exec_lo, exec_lo, s6
	s_barrier_signal -1
	s_barrier_wait -1
	s_and_saveexec_b32 s6, s50
	s_cbranch_execz .LBB58_410
; %bb.409:                              ;   in Loop: Header=BB58_3 Depth=1
	ds_load_b64 v[38:39], v1 offset:11960
	s_wait_dscnt 0x0
	v_pk_mul_f32 v[40:41], v[36:37], v[38:39] op_sel:[1,1] op_sel_hi:[1,0]
	s_delay_alu instid0(VALU_DEP_1) | instskip(SKIP_1) | instid1(VALU_DEP_2)
	v_pk_fma_f32 v[80:81], v[36:37], v[38:39], v[40:41] op_sel_hi:[0,1,1]
	v_pk_fma_f32 v[38:39], v[36:37], v[38:39], v[40:41] neg_lo:[0,0,1] neg_hi:[0,0,1]
	v_mov_b32_e32 v39, v81
	s_delay_alu instid0(VALU_DEP_1)
	v_mov_b64_e32 v[36:37], v[38:39]
	ds_store_b64 v48, v[38:39]
.LBB58_410:                             ;   in Loop: Header=BB58_3 Depth=1
	s_or_b32 exec_lo, exec_lo, s6
	s_wait_dscnt 0x0
	s_barrier_signal -1
	s_barrier_wait -1
	s_barrier_signal -1
	s_barrier_wait -1
	s_and_saveexec_b32 s6, s2
; %bb.411:                              ;   in Loop: Header=BB58_3 Depth=1
	v_pk_add_f32 v[36:37], v[36:37], 0 neg_lo:[1,1] neg_hi:[1,1]
	ds_store_b64 v50, v[36:37] offset:8352
; %bb.412:                              ;   in Loop: Header=BB58_3 Depth=1
	s_or_b32 exec_lo, exec_lo, s6
	s_wait_dscnt 0x0
	s_barrier_signal -1
	s_barrier_wait -1
	s_barrier_signal -1
	s_barrier_wait -1
	s_and_saveexec_b32 s96, s14
	s_cbranch_execz .LBB58_414
; %bb.413:                              ;   in Loop: Header=BB58_3 Depth=1
	ds_load_b128 v[36:39], v1 offset:10400
	ds_load_b64 v[40:41], v1 offset:10920
	s_wait_dscnt 0x1
	v_dual_mov_b32 v80, v39 :: v_dual_mov_b32 v81, v38
	s_wait_dscnt 0x0
	v_dual_mul_f32 v79, v41, v37 :: v_dual_mul_f32 v0, v40, v37
	s_delay_alu instid0(VALU_DEP_1) | instskip(NEXT) | instid1(VALU_DEP_1)
	v_xor_b32_e32 v82, 0x80000000, v79
	v_dual_fmac_f32 v0, v41, v36 :: v_dual_fmac_f32 v82, v40, v36
	s_delay_alu instid0(VALU_DEP_1) | instskip(NEXT) | instid1(VALU_DEP_1)
	v_pk_mul_f32 v[36:37], v[0:1], v[80:81] op_sel_hi:[0,1]
	v_pk_fma_f32 v[40:41], v[82:83], v[38:39], v[36:37] op_sel_hi:[0,1,1]
	v_pk_fma_f32 v[36:37], v[82:83], v[38:39], v[36:37] neg_lo:[0,0,1] neg_hi:[0,0,1]
	s_delay_alu instid0(VALU_DEP_2)
	v_mov_b32_e32 v37, v41
	ds_store_b64 v1, v[36:37] offset:10408
.LBB58_414:                             ;   in Loop: Header=BB58_3 Depth=1
	s_or_b32 exec_lo, exec_lo, s96
	v_mov_b32_e32 v37, 0
	s_wait_dscnt 0x0
	s_barrier_signal -1
	s_barrier_wait -1
	s_delay_alu instid0(VALU_DEP_1)
	v_mov_b32_e32 v36, v37
	s_and_saveexec_b32 s96, s1
	s_cbranch_execz .LBB58_418
; %bb.415:                              ;   in Loop: Header=BB58_3 Depth=1
	ds_load_b64 v[36:37], v44 offset:10416
	ds_load_b64 v[38:39], v45 offset:10400
	s_wait_dscnt 0x0
	v_dual_mul_f32 v0, v39, v37 :: v_dual_mul_f32 v41, v38, v37
	s_delay_alu instid0(VALU_DEP_1) | instskip(NEXT) | instid1(VALU_DEP_1)
	v_dual_fma_f32 v40, v38, v36, -v0 :: v_dual_fmac_f32 v41, v39, v36
	v_pk_add_f32 v[36:37], v[40:41], 0 op_sel_hi:[1,0]
	s_and_saveexec_b32 s6, s15
	s_cbranch_execz .LBB58_417
; %bb.416:                              ;   in Loop: Header=BB58_3 Depth=1
	ds_load_b64 v[38:39], v46 offset:10928
	ds_load_b64 v[40:41], v1 offset:10408
	s_wait_dscnt 0x0
	v_pk_mul_f32 v[80:81], v[40:41], v[38:39] op_sel:[1,1] op_sel_hi:[0,1]
	s_delay_alu instid0(VALU_DEP_1) | instskip(SKIP_1) | instid1(VALU_DEP_2)
	v_pk_fma_f32 v[82:83], v[40:41], v[38:39], v[80:81] op_sel_hi:[1,0,1]
	v_pk_fma_f32 v[38:39], v[40:41], v[38:39], v[80:81] neg_lo:[0,0,1] neg_hi:[0,0,1]
	v_mov_b32_e32 v39, v83
	s_delay_alu instid0(VALU_DEP_1)
	v_pk_add_f32 v[36:37], v[36:37], v[38:39]
.LBB58_417:                             ;   in Loop: Header=BB58_3 Depth=1
	s_or_b32 exec_lo, exec_lo, s6
	s_delay_alu instid0(VALU_DEP_1)
	v_pk_add_f32 v[36:37], v[36:37], 0 neg_lo:[1,1] neg_hi:[1,1]
.LBB58_418:                             ;   in Loop: Header=BB58_3 Depth=1
	s_or_b32 exec_lo, exec_lo, s96
	s_and_saveexec_b32 s6, s43
	s_cbranch_execz .LBB58_420
; %bb.419:                              ;   in Loop: Header=BB58_3 Depth=1
	ds_load_b64 v[38:39], v1 offset:11440
	s_wait_dscnt 0x0
	v_pk_mul_f32 v[40:41], v[36:37], v[38:39] op_sel:[1,1] op_sel_hi:[1,0]
	s_delay_alu instid0(VALU_DEP_1) | instskip(SKIP_1) | instid1(VALU_DEP_2)
	v_pk_fma_f32 v[80:81], v[36:37], v[38:39], v[40:41] op_sel_hi:[0,1,1]
	v_pk_fma_f32 v[38:39], v[36:37], v[38:39], v[40:41] neg_lo:[0,0,1] neg_hi:[0,0,1]
	v_mov_b32_e32 v39, v81
	s_delay_alu instid0(VALU_DEP_1)
	v_mov_b64_e32 v[36:37], v[38:39]
	ds_store_b64 v3, v[38:39]
.LBB58_420:                             ;   in Loop: Header=BB58_3 Depth=1
	s_or_b32 exec_lo, exec_lo, s6
	s_wait_dscnt 0x0
	s_barrier_signal -1
	s_barrier_wait -1
	s_and_saveexec_b32 s6, s44
	s_cbranch_execz .LBB58_422
; %bb.421:                              ;   in Loop: Header=BB58_3 Depth=1
	ds_load_b64 v[38:39], v1 offset:11448
	ds_load_b64 v[40:41], v3
	s_wait_dscnt 0x0
	v_pk_mul_f32 v[80:81], v[40:41], v[38:39] op_sel:[1,1] op_sel_hi:[0,1]
	s_delay_alu instid0(VALU_DEP_1) | instskip(SKIP_1) | instid1(VALU_DEP_2)
	v_pk_fma_f32 v[82:83], v[40:41], v[38:39], v[80:81] op_sel_hi:[1,0,1]
	v_pk_fma_f32 v[38:39], v[40:41], v[38:39], v[80:81] neg_lo:[0,0,1] neg_hi:[0,0,1]
	v_mov_b32_e32 v39, v83
	s_delay_alu instid0(VALU_DEP_1)
	v_pk_add_f32 v[36:37], v[36:37], v[38:39]
.LBB58_422:                             ;   in Loop: Header=BB58_3 Depth=1
	s_or_b32 exec_lo, exec_lo, s6
	s_barrier_signal -1
	s_barrier_wait -1
	s_and_saveexec_b32 s6, s44
	s_cbranch_execz .LBB58_424
; %bb.423:                              ;   in Loop: Header=BB58_3 Depth=1
	ds_load_b64 v[38:39], v1 offset:11960
	s_wait_dscnt 0x0
	v_pk_mul_f32 v[40:41], v[36:37], v[38:39] op_sel:[1,1] op_sel_hi:[1,0]
	s_delay_alu instid0(VALU_DEP_1) | instskip(SKIP_1) | instid1(VALU_DEP_2)
	v_pk_fma_f32 v[80:81], v[36:37], v[38:39], v[40:41] op_sel_hi:[0,1,1]
	v_pk_fma_f32 v[38:39], v[36:37], v[38:39], v[40:41] neg_lo:[0,0,1] neg_hi:[0,0,1]
	v_mov_b32_e32 v39, v81
	s_delay_alu instid0(VALU_DEP_1)
	v_mov_b64_e32 v[36:37], v[38:39]
	ds_store_b64 v3, v[38:39]
.LBB58_424:                             ;   in Loop: Header=BB58_3 Depth=1
	s_or_b32 exec_lo, exec_lo, s6
	s_wait_dscnt 0x0
	s_barrier_signal -1
	s_barrier_wait -1
	s_barrier_signal -1
	s_barrier_wait -1
	s_and_saveexec_b32 s6, s1
; %bb.425:                              ;   in Loop: Header=BB58_3 Depth=1
	v_pk_add_f32 v[36:37], v[36:37], 0 neg_lo:[1,1] neg_hi:[1,1]
	ds_store_b64 v44, v[36:37] offset:10416
; %bb.426:                              ;   in Loop: Header=BB58_3 Depth=1
	s_or_b32 exec_lo, exec_lo, s6
	s_wait_dscnt 0x0
	s_barrier_signal -1
	s_barrier_wait -1
	s_barrier_signal -1
	s_barrier_wait -1
	s_and_saveexec_b32 s96, s14
	s_cbranch_execz .LBB58_428
; %bb.427:                              ;   in Loop: Header=BB58_3 Depth=1
	ds_load_b128 v[36:39], v1 offset:11440
	ds_load_b64 v[40:41], v1 offset:11960
	s_wait_dscnt 0x1
	v_dual_mov_b32 v80, v39 :: v_dual_mov_b32 v81, v38
	s_wait_dscnt 0x0
	v_dual_mul_f32 v79, v41, v37 :: v_dual_mul_f32 v0, v40, v37
	s_delay_alu instid0(VALU_DEP_1) | instskip(NEXT) | instid1(VALU_DEP_1)
	v_xor_b32_e32 v82, 0x80000000, v79
	v_dual_fmac_f32 v0, v41, v36 :: v_dual_fmac_f32 v82, v40, v36
	s_delay_alu instid0(VALU_DEP_1) | instskip(NEXT) | instid1(VALU_DEP_1)
	v_pk_mul_f32 v[36:37], v[0:1], v[80:81] op_sel_hi:[0,1]
	v_pk_fma_f32 v[40:41], v[82:83], v[38:39], v[36:37] op_sel_hi:[0,1,1]
	v_pk_fma_f32 v[36:37], v[82:83], v[38:39], v[36:37] neg_lo:[0,0,1] neg_hi:[0,0,1]
	s_delay_alu instid0(VALU_DEP_2)
	v_mov_b32_e32 v37, v41
	ds_store_b64 v1, v[36:37] offset:11448
.LBB58_428:                             ;   in Loop: Header=BB58_3 Depth=1
	s_or_b32 exec_lo, exec_lo, s96
	v_mov_b32_e32 v36, 0
	s_wait_dscnt 0x0
	s_barrier_signal -1
	s_barrier_wait -1
	s_delay_alu instid0(VALU_DEP_1)
	v_mov_b32_e32 v37, v36
	s_and_saveexec_b32 s96, s3
	s_cbranch_execz .LBB58_438
; %bb.429:                              ;   in Loop: Header=BB58_3 Depth=1
	ds_load_b64 v[36:37], v55 offset:8384
	ds_load_b64 v[38:39], v52 offset:8320
	s_wait_dscnt 0x0
	v_dual_mul_f32 v0, v39, v37 :: v_dual_mul_f32 v40, v38, v37
	s_delay_alu instid0(VALU_DEP_1) | instskip(NEXT) | instid1(VALU_DEP_2)
	v_fma_f32 v0, v38, v36, -v0
	v_fmac_f32_e32 v40, v39, v36
	s_delay_alu instid0(VALU_DEP_2) | instskip(NEXT) | instid1(VALU_DEP_2)
	v_add_f32_e32 v37, 0, v0
	v_add_f32_e32 v36, 0, v40
	s_and_saveexec_b32 s6, s18
	s_cbranch_execnz .LBB58_1063
; %bb.430:                              ;   in Loop: Header=BB58_3 Depth=1
	s_or_b32 exec_lo, exec_lo, s6
	s_and_saveexec_b32 s6, s19
	s_cbranch_execnz .LBB58_1064
.LBB58_431:                             ;   in Loop: Header=BB58_3 Depth=1
	s_or_b32 exec_lo, exec_lo, s6
	s_and_saveexec_b32 s6, s20
	s_cbranch_execnz .LBB58_1065
.LBB58_432:                             ;   in Loop: Header=BB58_3 Depth=1
	s_or_b32 exec_lo, exec_lo, s6
	s_and_saveexec_b32 s6, s21
	s_cbranch_execnz .LBB58_1066
.LBB58_433:                             ;   in Loop: Header=BB58_3 Depth=1
	s_or_b32 exec_lo, exec_lo, s6
	s_and_saveexec_b32 s6, s22
	s_cbranch_execnz .LBB58_1067
.LBB58_434:                             ;   in Loop: Header=BB58_3 Depth=1
	s_or_b32 exec_lo, exec_lo, s6
	s_and_saveexec_b32 s6, s2
	s_cbranch_execnz .LBB58_1068
.LBB58_435:                             ;   in Loop: Header=BB58_3 Depth=1
	s_or_b32 exec_lo, exec_lo, s6
	s_and_saveexec_b32 s6, s17
	s_cbranch_execz .LBB58_437
.LBB58_436:                             ;   in Loop: Header=BB58_3 Depth=1
	ds_load_b64 v[38:39], v46 offset:11968
	ds_load_b64 v[40:41], v1 offset:8376
	s_wait_dscnt 0x0
	v_pk_mul_f32 v[80:81], v[40:41], v[38:39] op_sel:[0,1]
	s_delay_alu instid0(VALU_DEP_1) | instskip(SKIP_1) | instid1(VALU_DEP_2)
	v_pk_fma_f32 v[82:83], v[40:41], v[38:39], v[80:81] op_sel:[1,0,0] op_sel_hi:[0,0,1] neg_lo:[0,0,1] neg_hi:[0,0,1]
	v_pk_fma_f32 v[38:39], v[40:41], v[38:39], v[80:81] op_sel:[1,0,0] op_sel_hi:[0,1,1]
	v_mov_b32_e32 v39, v83
	s_delay_alu instid0(VALU_DEP_1)
	v_pk_add_f32 v[36:37], v[36:37], v[38:39]
.LBB58_437:                             ;   in Loop: Header=BB58_3 Depth=1
	s_or_b32 exec_lo, exec_lo, s6
	s_delay_alu instid0(VALU_DEP_1) | instskip(NEXT) | instid1(VALU_DEP_1)
	v_pk_add_f32 v[38:39], v[36:37], 0 neg_lo:[1,1] neg_hi:[1,1]
	v_dual_mov_b32 v36, v39 :: v_dual_mov_b32 v37, v38
.LBB58_438:                             ;   in Loop: Header=BB58_3 Depth=1
	s_or_b32 exec_lo, exec_lo, s96
	s_and_saveexec_b32 s6, s51
	s_cbranch_execz .LBB58_440
; %bb.439:                              ;   in Loop: Header=BB58_3 Depth=1
	ds_load_b64 v[38:39], v1 offset:12480
	v_dual_mov_b32 v40, v37 :: v_dual_mov_b32 v41, v36
	s_wait_dscnt 0x0
	s_delay_alu instid0(VALU_DEP_1) | instskip(NEXT) | instid1(VALU_DEP_1)
	v_dual_mul_f32 v0, v40, v38 :: v_dual_mul_f32 v80, v37, v39
	v_pk_fma_f32 v[40:41], v[40:41], v[38:39], v[0:1] op_sel_hi:[1,1,0]
	s_delay_alu instid0(VALU_DEP_2) | instskip(NEXT) | instid1(VALU_DEP_2)
	v_pk_fma_f32 v[36:37], v[36:37], v[38:39], v[80:81] op_sel_hi:[1,1,0] neg_lo:[0,0,1] neg_hi:[0,0,1]
	v_mov_b32_e32 v37, v41
	ds_store_b64 v54, v[36:37]
.LBB58_440:                             ;   in Loop: Header=BB58_3 Depth=1
	s_or_b32 exec_lo, exec_lo, s6
	s_wait_dscnt 0x0
	s_barrier_signal -1
	s_barrier_wait -1
	s_and_saveexec_b32 s6, s52
	s_cbranch_execz .LBB58_442
; %bb.441:                              ;   in Loop: Header=BB58_3 Depth=1
	ds_load_b64 v[38:39], v53 offset:12480
	ds_load_b64 v[40:41], v54
	s_wait_dscnt 0x0
	v_dual_mul_f32 v0, v41, v39 :: v_dual_mul_f32 v81, v40, v39
	s_delay_alu instid0(VALU_DEP_1) | instskip(NEXT) | instid1(VALU_DEP_1)
	v_dual_fma_f32 v80, v40, v38, -v0 :: v_dual_fmac_f32 v81, v41, v38
	v_pk_add_f32 v[36:37], v[36:37], v[80:81]
.LBB58_442:                             ;   in Loop: Header=BB58_3 Depth=1
	s_or_b32 exec_lo, exec_lo, s6
	s_barrier_signal -1
	s_barrier_wait -1
	s_and_saveexec_b32 s6, s53
	s_cbranch_execz .LBB58_444
; %bb.443:                              ;   in Loop: Header=BB58_3 Depth=1
	ds_load_b64 v[38:39], v1 offset:13000
	s_wait_dscnt 0x0
	v_pk_mul_f32 v[40:41], v[36:37], v[38:39] op_sel:[1,1] op_sel_hi:[1,0]
	s_delay_alu instid0(VALU_DEP_1) | instskip(SKIP_1) | instid1(VALU_DEP_2)
	v_pk_fma_f32 v[80:81], v[36:37], v[38:39], v[40:41] op_sel_hi:[0,1,1]
	v_pk_fma_f32 v[36:37], v[36:37], v[38:39], v[40:41] op_sel_hi:[0,1,1] neg_lo:[0,0,1] neg_hi:[0,0,1]
	v_mov_b32_e32 v37, v81
	ds_store_b64 v54, v[36:37]
.LBB58_444:                             ;   in Loop: Header=BB58_3 Depth=1
	s_or_b32 exec_lo, exec_lo, s6
	s_wait_dscnt 0x0
	s_barrier_signal -1
	s_barrier_wait -1
	s_and_saveexec_b32 s6, s54
	s_cbranch_execz .LBB58_446
; %bb.445:                              ;   in Loop: Header=BB58_3 Depth=1
	ds_load_b64 v[38:39], v53 offset:12992
	ds_load_b64 v[40:41], v54
	s_wait_dscnt 0x0
	v_pk_mul_f32 v[80:81], v[40:41], v[38:39] op_sel:[1,1] op_sel_hi:[0,1]
	s_delay_alu instid0(VALU_DEP_1) | instskip(SKIP_1) | instid1(VALU_DEP_2)
	v_pk_fma_f32 v[82:83], v[40:41], v[38:39], v[80:81] op_sel_hi:[1,0,1]
	v_pk_fma_f32 v[38:39], v[40:41], v[38:39], v[80:81] op_sel_hi:[1,0,1] neg_lo:[0,0,1] neg_hi:[0,0,1]
	v_mov_b32_e32 v39, v83
	s_delay_alu instid0(VALU_DEP_1)
	v_pk_add_f32 v[36:37], v[36:37], v[38:39]
.LBB58_446:                             ;   in Loop: Header=BB58_3 Depth=1
	s_or_b32 exec_lo, exec_lo, s6
	s_barrier_signal -1
	s_barrier_wait -1
	s_and_saveexec_b32 s6, s55
	s_cbranch_execz .LBB58_448
; %bb.447:                              ;   in Loop: Header=BB58_3 Depth=1
	ds_load_b64 v[38:39], v1 offset:13520
	s_wait_dscnt 0x0
	v_pk_mul_f32 v[40:41], v[36:37], v[38:39] op_sel:[1,1] op_sel_hi:[1,0]
	s_delay_alu instid0(VALU_DEP_1) | instskip(SKIP_1) | instid1(VALU_DEP_2)
	v_pk_fma_f32 v[80:81], v[36:37], v[38:39], v[40:41] op_sel_hi:[0,1,1]
	v_pk_fma_f32 v[36:37], v[36:37], v[38:39], v[40:41] op_sel_hi:[0,1,1] neg_lo:[0,0,1] neg_hi:[0,0,1]
	v_mov_b32_e32 v37, v81
	ds_store_b64 v54, v[36:37]
.LBB58_448:                             ;   in Loop: Header=BB58_3 Depth=1
	s_or_b32 exec_lo, exec_lo, s6
	s_wait_dscnt 0x0
	s_barrier_signal -1
	s_barrier_wait -1
	s_and_saveexec_b32 s6, s56
	s_cbranch_execz .LBB58_450
; %bb.449:                              ;   in Loop: Header=BB58_3 Depth=1
	ds_load_b64 v[38:39], v53 offset:13504
	ds_load_b64 v[40:41], v54
	s_wait_dscnt 0x0
	v_pk_mul_f32 v[80:81], v[40:41], v[38:39] op_sel:[1,1] op_sel_hi:[0,1]
	s_delay_alu instid0(VALU_DEP_1) | instskip(SKIP_1) | instid1(VALU_DEP_2)
	v_pk_fma_f32 v[82:83], v[40:41], v[38:39], v[80:81] op_sel_hi:[1,0,1]
	v_pk_fma_f32 v[38:39], v[40:41], v[38:39], v[80:81] op_sel_hi:[1,0,1] neg_lo:[0,0,1] neg_hi:[0,0,1]
	v_mov_b32_e32 v39, v83
	s_delay_alu instid0(VALU_DEP_1)
	v_pk_add_f32 v[36:37], v[36:37], v[38:39]
.LBB58_450:                             ;   in Loop: Header=BB58_3 Depth=1
	;; [unrolled: 33-line block ×3, first 2 shown]
	s_or_b32 exec_lo, exec_lo, s6
	s_barrier_signal -1
	s_barrier_wait -1
	s_and_saveexec_b32 s6, s59
	s_cbranch_execz .LBB58_456
; %bb.455:                              ;   in Loop: Header=BB58_3 Depth=1
	ds_load_b64 v[38:39], v1 offset:14560
	s_wait_dscnt 0x0
	v_dual_mul_f32 v0, v36, v39 :: v_dual_mul_f32 v40, v37, v39
	s_delay_alu instid0(VALU_DEP_1) | instskip(NEXT) | instid1(VALU_DEP_2)
	v_pk_fma_f32 v[80:81], v[36:37], v[38:39], v[0:1] op_sel:[0,1,0] op_sel_hi:[1,0,0]
	v_pk_fma_f32 v[38:39], v[36:37], v[38:39], v[40:41] op_sel_hi:[1,1,0] neg_lo:[0,0,1] neg_hi:[0,0,1]
	s_delay_alu instid0(VALU_DEP_2) | instskip(NEXT) | instid1(VALU_DEP_1)
	v_mov_b32_e32 v39, v81
	v_mov_b64_e32 v[36:37], v[38:39]
	ds_store_b64 v54, v[38:39]
.LBB58_456:                             ;   in Loop: Header=BB58_3 Depth=1
	s_or_b32 exec_lo, exec_lo, s6
	s_wait_dscnt 0x0
	s_barrier_signal -1
	s_barrier_wait -1
	s_and_saveexec_b32 s6, s60
	s_cbranch_execz .LBB58_458
; %bb.457:                              ;   in Loop: Header=BB58_3 Depth=1
	ds_load_b64 v[38:39], v53 offset:14528
	ds_load_b64 v[40:41], v54
	s_wait_dscnt 0x0
	v_dual_mul_f32 v0, v41, v39 :: v_dual_mul_f32 v81, v40, v39
	s_delay_alu instid0(VALU_DEP_1) | instskip(NEXT) | instid1(VALU_DEP_1)
	v_dual_fma_f32 v80, v40, v38, -v0 :: v_dual_fmac_f32 v81, v41, v38
	v_pk_add_f32 v[36:37], v[36:37], v[80:81]
.LBB58_458:                             ;   in Loop: Header=BB58_3 Depth=1
	s_or_b32 exec_lo, exec_lo, s6
	s_barrier_signal -1
	s_barrier_wait -1
	s_and_saveexec_b32 s6, s61
	s_cbranch_execz .LBB58_460
; %bb.459:                              ;   in Loop: Header=BB58_3 Depth=1
	ds_load_b64 v[38:39], v1 offset:15080
	s_wait_dscnt 0x0
	v_pk_mul_f32 v[40:41], v[36:37], v[38:39] op_sel:[1,1] op_sel_hi:[1,0]
	s_delay_alu instid0(VALU_DEP_1) | instskip(SKIP_1) | instid1(VALU_DEP_2)
	v_pk_fma_f32 v[80:81], v[36:37], v[38:39], v[40:41] op_sel_hi:[0,1,1]
	v_pk_fma_f32 v[38:39], v[36:37], v[38:39], v[40:41] neg_lo:[0,0,1] neg_hi:[0,0,1]
	v_mov_b32_e32 v39, v81
	s_delay_alu instid0(VALU_DEP_1)
	v_mov_b64_e32 v[36:37], v[38:39]
	ds_store_b64 v54, v[38:39]
.LBB58_460:                             ;   in Loop: Header=BB58_3 Depth=1
	s_or_b32 exec_lo, exec_lo, s6
	s_wait_dscnt 0x0
	s_barrier_signal -1
	s_barrier_wait -1
	s_and_saveexec_b32 s6, s62
	s_cbranch_execz .LBB58_462
; %bb.461:                              ;   in Loop: Header=BB58_3 Depth=1
	ds_load_b64 v[38:39], v53 offset:15040
	ds_load_b64 v[40:41], v54
	s_wait_dscnt 0x0
	v_pk_mul_f32 v[80:81], v[40:41], v[38:39] op_sel:[1,1] op_sel_hi:[0,1]
	s_delay_alu instid0(VALU_DEP_1) | instskip(SKIP_1) | instid1(VALU_DEP_2)
	v_pk_fma_f32 v[82:83], v[40:41], v[38:39], v[80:81] op_sel_hi:[1,0,1]
	v_pk_fma_f32 v[38:39], v[40:41], v[38:39], v[80:81] neg_lo:[0,0,1] neg_hi:[0,0,1]
	v_mov_b32_e32 v39, v83
	s_delay_alu instid0(VALU_DEP_1)
	v_pk_add_f32 v[36:37], v[36:37], v[38:39]
.LBB58_462:                             ;   in Loop: Header=BB58_3 Depth=1
	s_or_b32 exec_lo, exec_lo, s6
	s_barrier_signal -1
	s_barrier_wait -1
	s_and_saveexec_b32 s6, s63
	s_cbranch_execz .LBB58_464
; %bb.463:                              ;   in Loop: Header=BB58_3 Depth=1
	ds_load_b64 v[38:39], v1 offset:15600
	s_wait_dscnt 0x0
	v_pk_mul_f32 v[40:41], v[36:37], v[38:39] op_sel:[1,1] op_sel_hi:[1,0]
	s_delay_alu instid0(VALU_DEP_1) | instskip(SKIP_1) | instid1(VALU_DEP_2)
	v_pk_fma_f32 v[80:81], v[36:37], v[38:39], v[40:41] op_sel_hi:[0,1,1]
	v_pk_fma_f32 v[38:39], v[36:37], v[38:39], v[40:41] neg_lo:[0,0,1] neg_hi:[0,0,1]
	v_mov_b32_e32 v39, v81
	s_delay_alu instid0(VALU_DEP_1)
	v_mov_b64_e32 v[36:37], v[38:39]
	ds_store_b64 v54, v[38:39]
.LBB58_464:                             ;   in Loop: Header=BB58_3 Depth=1
	s_or_b32 exec_lo, exec_lo, s6
	s_wait_dscnt 0x0
	s_barrier_signal -1
	s_barrier_wait -1
	s_and_saveexec_b32 s6, s64
	s_cbranch_execz .LBB58_466
; %bb.465:                              ;   in Loop: Header=BB58_3 Depth=1
	ds_load_b64 v[38:39], v1 offset:15608
	ds_load_b64 v[40:41], v54
	s_wait_dscnt 0x0
	v_pk_mul_f32 v[80:81], v[40:41], v[38:39] op_sel:[1,1] op_sel_hi:[0,1]
	s_delay_alu instid0(VALU_DEP_1) | instskip(SKIP_1) | instid1(VALU_DEP_2)
	v_pk_fma_f32 v[82:83], v[40:41], v[38:39], v[80:81] op_sel_hi:[1,0,1]
	v_pk_fma_f32 v[38:39], v[40:41], v[38:39], v[80:81] neg_lo:[0,0,1] neg_hi:[0,0,1]
	v_mov_b32_e32 v39, v83
	s_delay_alu instid0(VALU_DEP_1)
	v_pk_add_f32 v[36:37], v[36:37], v[38:39]
.LBB58_466:                             ;   in Loop: Header=BB58_3 Depth=1
	s_or_b32 exec_lo, exec_lo, s6
	s_barrier_signal -1
	s_barrier_wait -1
	s_and_saveexec_b32 s6, s64
	s_cbranch_execz .LBB58_468
; %bb.467:                              ;   in Loop: Header=BB58_3 Depth=1
	ds_load_b64 v[38:39], v1 offset:16120
	s_wait_dscnt 0x0
	v_pk_mul_f32 v[40:41], v[36:37], v[38:39] op_sel:[1,1] op_sel_hi:[1,0]
	s_delay_alu instid0(VALU_DEP_1) | instskip(SKIP_1) | instid1(VALU_DEP_2)
	v_pk_fma_f32 v[80:81], v[36:37], v[38:39], v[40:41] op_sel_hi:[0,1,1]
	v_pk_fma_f32 v[38:39], v[36:37], v[38:39], v[40:41] neg_lo:[0,0,1] neg_hi:[0,0,1]
	v_mov_b32_e32 v39, v81
	s_delay_alu instid0(VALU_DEP_1)
	v_mov_b64_e32 v[36:37], v[38:39]
	ds_store_b64 v54, v[38:39]
.LBB58_468:                             ;   in Loop: Header=BB58_3 Depth=1
	s_or_b32 exec_lo, exec_lo, s6
	s_wait_dscnt 0x0
	s_barrier_signal -1
	s_barrier_wait -1
	s_barrier_signal -1
	s_barrier_wait -1
	s_and_saveexec_b32 s6, s3
; %bb.469:                              ;   in Loop: Header=BB58_3 Depth=1
	v_pk_add_f32 v[36:37], v[36:37], 0 neg_lo:[1,1] neg_hi:[1,1]
	ds_store_b64 v55, v[36:37] offset:8384
; %bb.470:                              ;   in Loop: Header=BB58_3 Depth=1
	s_or_b32 exec_lo, exec_lo, s6
	s_wait_dscnt 0x0
	s_barrier_signal -1
	s_barrier_wait -1
	s_barrier_signal -1
	s_barrier_wait -1
	s_and_saveexec_b32 s96, s14
	s_cbranch_execz .LBB58_472
; %bb.471:                              ;   in Loop: Header=BB58_3 Depth=1
	ds_load_b128 v[36:39], v1 offset:12480
	ds_load_b64 v[40:41], v1 offset:13000
	s_wait_dscnt 0x1
	v_dual_mov_b32 v80, v39 :: v_dual_mov_b32 v81, v38
	s_wait_dscnt 0x0
	v_dual_mul_f32 v79, v41, v37 :: v_dual_mul_f32 v0, v40, v37
	s_delay_alu instid0(VALU_DEP_1) | instskip(NEXT) | instid1(VALU_DEP_1)
	v_xor_b32_e32 v82, 0x80000000, v79
	v_dual_fmac_f32 v0, v41, v36 :: v_dual_fmac_f32 v82, v40, v36
	s_delay_alu instid0(VALU_DEP_1) | instskip(NEXT) | instid1(VALU_DEP_1)
	v_pk_mul_f32 v[36:37], v[0:1], v[80:81] op_sel_hi:[0,1]
	v_pk_fma_f32 v[40:41], v[82:83], v[38:39], v[36:37] op_sel_hi:[0,1,1]
	v_pk_fma_f32 v[36:37], v[82:83], v[38:39], v[36:37] neg_lo:[0,0,1] neg_hi:[0,0,1]
	s_delay_alu instid0(VALU_DEP_2)
	v_mov_b32_e32 v37, v41
	ds_store_b64 v1, v[36:37] offset:12488
.LBB58_472:                             ;   in Loop: Header=BB58_3 Depth=1
	s_or_b32 exec_lo, exec_lo, s96
	v_mov_b32_e32 v37, 0
	s_wait_dscnt 0x0
	s_barrier_signal -1
	s_barrier_wait -1
	s_delay_alu instid0(VALU_DEP_1)
	v_mov_b32_e32 v36, v37
	s_and_saveexec_b32 s96, s1
	s_cbranch_execz .LBB58_476
; %bb.473:                              ;   in Loop: Header=BB58_3 Depth=1
	ds_load_b64 v[36:37], v44 offset:12496
	ds_load_b64 v[38:39], v45 offset:12480
	s_wait_dscnt 0x0
	v_dual_mul_f32 v0, v39, v37 :: v_dual_mul_f32 v41, v38, v37
	s_delay_alu instid0(VALU_DEP_1) | instskip(NEXT) | instid1(VALU_DEP_1)
	v_dual_fma_f32 v40, v38, v36, -v0 :: v_dual_fmac_f32 v41, v39, v36
	v_pk_add_f32 v[36:37], v[40:41], 0 op_sel_hi:[1,0]
	s_and_saveexec_b32 s6, s15
	s_cbranch_execz .LBB58_475
; %bb.474:                              ;   in Loop: Header=BB58_3 Depth=1
	ds_load_b64 v[38:39], v46 offset:13008
	ds_load_b64 v[40:41], v1 offset:12488
	s_wait_dscnt 0x0
	v_pk_mul_f32 v[80:81], v[40:41], v[38:39] op_sel:[1,1] op_sel_hi:[0,1]
	s_delay_alu instid0(VALU_DEP_1) | instskip(SKIP_1) | instid1(VALU_DEP_2)
	v_pk_fma_f32 v[82:83], v[40:41], v[38:39], v[80:81] op_sel_hi:[1,0,1]
	v_pk_fma_f32 v[38:39], v[40:41], v[38:39], v[80:81] neg_lo:[0,0,1] neg_hi:[0,0,1]
	v_mov_b32_e32 v39, v83
	s_delay_alu instid0(VALU_DEP_1)
	v_pk_add_f32 v[36:37], v[36:37], v[38:39]
.LBB58_475:                             ;   in Loop: Header=BB58_3 Depth=1
	s_or_b32 exec_lo, exec_lo, s6
	s_delay_alu instid0(VALU_DEP_1)
	v_pk_add_f32 v[36:37], v[36:37], 0 neg_lo:[1,1] neg_hi:[1,1]
.LBB58_476:                             ;   in Loop: Header=BB58_3 Depth=1
	s_or_b32 exec_lo, exec_lo, s96
	s_and_saveexec_b32 s6, s43
	s_cbranch_execz .LBB58_478
; %bb.477:                              ;   in Loop: Header=BB58_3 Depth=1
	ds_load_b64 v[38:39], v1 offset:13520
	s_wait_dscnt 0x0
	v_pk_mul_f32 v[40:41], v[36:37], v[38:39] op_sel:[1,1] op_sel_hi:[1,0]
	s_delay_alu instid0(VALU_DEP_1) | instskip(SKIP_1) | instid1(VALU_DEP_2)
	v_pk_fma_f32 v[80:81], v[36:37], v[38:39], v[40:41] op_sel_hi:[0,1,1]
	v_pk_fma_f32 v[38:39], v[36:37], v[38:39], v[40:41] neg_lo:[0,0,1] neg_hi:[0,0,1]
	v_mov_b32_e32 v39, v81
	s_delay_alu instid0(VALU_DEP_1)
	v_mov_b64_e32 v[36:37], v[38:39]
	ds_store_b64 v3, v[38:39]
.LBB58_478:                             ;   in Loop: Header=BB58_3 Depth=1
	s_or_b32 exec_lo, exec_lo, s6
	s_wait_dscnt 0x0
	s_barrier_signal -1
	s_barrier_wait -1
	s_and_saveexec_b32 s6, s44
	s_cbranch_execz .LBB58_480
; %bb.479:                              ;   in Loop: Header=BB58_3 Depth=1
	ds_load_b64 v[38:39], v1 offset:13528
	ds_load_b64 v[40:41], v3
	s_wait_dscnt 0x0
	v_pk_mul_f32 v[80:81], v[40:41], v[38:39] op_sel:[1,1] op_sel_hi:[0,1]
	s_delay_alu instid0(VALU_DEP_1) | instskip(SKIP_1) | instid1(VALU_DEP_2)
	v_pk_fma_f32 v[82:83], v[40:41], v[38:39], v[80:81] op_sel_hi:[1,0,1]
	v_pk_fma_f32 v[38:39], v[40:41], v[38:39], v[80:81] neg_lo:[0,0,1] neg_hi:[0,0,1]
	v_mov_b32_e32 v39, v83
	s_delay_alu instid0(VALU_DEP_1)
	v_pk_add_f32 v[36:37], v[36:37], v[38:39]
.LBB58_480:                             ;   in Loop: Header=BB58_3 Depth=1
	s_or_b32 exec_lo, exec_lo, s6
	s_barrier_signal -1
	s_barrier_wait -1
	s_and_saveexec_b32 s6, s44
	s_cbranch_execz .LBB58_482
; %bb.481:                              ;   in Loop: Header=BB58_3 Depth=1
	ds_load_b64 v[38:39], v1 offset:14040
	s_wait_dscnt 0x0
	v_pk_mul_f32 v[40:41], v[36:37], v[38:39] op_sel:[1,1] op_sel_hi:[1,0]
	s_delay_alu instid0(VALU_DEP_1) | instskip(SKIP_1) | instid1(VALU_DEP_2)
	v_pk_fma_f32 v[80:81], v[36:37], v[38:39], v[40:41] op_sel_hi:[0,1,1]
	v_pk_fma_f32 v[38:39], v[36:37], v[38:39], v[40:41] neg_lo:[0,0,1] neg_hi:[0,0,1]
	v_mov_b32_e32 v39, v81
	s_delay_alu instid0(VALU_DEP_1)
	v_mov_b64_e32 v[36:37], v[38:39]
	ds_store_b64 v3, v[38:39]
.LBB58_482:                             ;   in Loop: Header=BB58_3 Depth=1
	s_or_b32 exec_lo, exec_lo, s6
	s_wait_dscnt 0x0
	s_barrier_signal -1
	s_barrier_wait -1
	s_barrier_signal -1
	s_barrier_wait -1
	s_and_saveexec_b32 s6, s1
; %bb.483:                              ;   in Loop: Header=BB58_3 Depth=1
	v_pk_add_f32 v[36:37], v[36:37], 0 neg_lo:[1,1] neg_hi:[1,1]
	ds_store_b64 v44, v[36:37] offset:12496
; %bb.484:                              ;   in Loop: Header=BB58_3 Depth=1
	s_or_b32 exec_lo, exec_lo, s6
	s_wait_dscnt 0x0
	s_barrier_signal -1
	s_barrier_wait -1
	s_barrier_signal -1
	s_barrier_wait -1
	s_and_saveexec_b32 s96, s14
	s_cbranch_execz .LBB58_486
; %bb.485:                              ;   in Loop: Header=BB58_3 Depth=1
	ds_load_b128 v[36:39], v1 offset:13520
	ds_load_b64 v[40:41], v1 offset:14040
	s_wait_dscnt 0x1
	v_dual_mov_b32 v80, v39 :: v_dual_mov_b32 v81, v38
	s_wait_dscnt 0x0
	v_dual_mul_f32 v79, v41, v37 :: v_dual_mul_f32 v0, v40, v37
	s_delay_alu instid0(VALU_DEP_1) | instskip(NEXT) | instid1(VALU_DEP_1)
	v_xor_b32_e32 v82, 0x80000000, v79
	v_dual_fmac_f32 v0, v41, v36 :: v_dual_fmac_f32 v82, v40, v36
	s_delay_alu instid0(VALU_DEP_1) | instskip(NEXT) | instid1(VALU_DEP_1)
	v_pk_mul_f32 v[36:37], v[0:1], v[80:81] op_sel_hi:[0,1]
	v_pk_fma_f32 v[40:41], v[82:83], v[38:39], v[36:37] op_sel_hi:[0,1,1]
	v_pk_fma_f32 v[36:37], v[82:83], v[38:39], v[36:37] neg_lo:[0,0,1] neg_hi:[0,0,1]
	s_delay_alu instid0(VALU_DEP_2)
	v_mov_b32_e32 v37, v41
	ds_store_b64 v1, v[36:37] offset:13528
.LBB58_486:                             ;   in Loop: Header=BB58_3 Depth=1
	s_or_b32 exec_lo, exec_lo, s96
	v_mov_b32_e32 v36, 0
	s_wait_dscnt 0x0
	s_barrier_signal -1
	s_barrier_wait -1
	s_delay_alu instid0(VALU_DEP_1)
	v_mov_b32_e32 v37, v36
	s_and_saveexec_b32 s96, s2
	s_cbranch_execz .LBB58_492
; %bb.487:                              ;   in Loop: Header=BB58_3 Depth=1
	ds_load_b64 v[36:37], v50 offset:12512
	ds_load_b64 v[38:39], v47 offset:12480
	s_wait_dscnt 0x0
	v_pk_mul_f32 v[40:41], v[38:39], v[36:37] op_sel:[0,1]
	s_delay_alu instid0(VALU_DEP_1) | instskip(SKIP_1) | instid1(VALU_DEP_2)
	v_pk_fma_f32 v[80:81], v[38:39], v[36:37], v[40:41] op_sel:[1,0,0] op_sel_hi:[0,0,1] neg_lo:[0,0,1] neg_hi:[0,0,1]
	v_pk_fma_f32 v[36:37], v[38:39], v[36:37], v[40:41] op_sel:[1,0,0] op_sel_hi:[0,1,1]
	v_mov_b32_e32 v37, v81
	s_delay_alu instid0(VALU_DEP_1)
	v_pk_add_f32 v[36:37], v[36:37], 0 op_sel_hi:[1,0]
	s_and_saveexec_b32 s6, s16
	s_cbranch_execnz .LBB58_1069
; %bb.488:                              ;   in Loop: Header=BB58_3 Depth=1
	s_or_b32 exec_lo, exec_lo, s6
	s_and_saveexec_b32 s6, s17
	s_cbranch_execnz .LBB58_1070
.LBB58_489:                             ;   in Loop: Header=BB58_3 Depth=1
	s_or_b32 exec_lo, exec_lo, s6
	s_and_saveexec_b32 s6, s1
	s_cbranch_execz .LBB58_491
.LBB58_490:                             ;   in Loop: Header=BB58_3 Depth=1
	ds_load_b64 v[38:39], v46 offset:14048
	ds_load_b64 v[40:41], v1 offset:12504
	s_wait_dscnt 0x0
	v_pk_mul_f32 v[80:81], v[40:41], v[38:39] op_sel:[0,1]
	s_delay_alu instid0(VALU_DEP_1) | instskip(SKIP_1) | instid1(VALU_DEP_2)
	v_pk_fma_f32 v[82:83], v[40:41], v[38:39], v[80:81] op_sel:[1,0,0] op_sel_hi:[0,0,1] neg_lo:[0,0,1] neg_hi:[0,0,1]
	v_pk_fma_f32 v[38:39], v[40:41], v[38:39], v[80:81] op_sel:[1,0,0] op_sel_hi:[0,1,1]
	v_mov_b32_e32 v39, v83
	s_delay_alu instid0(VALU_DEP_1)
	v_pk_add_f32 v[36:37], v[36:37], v[38:39]
.LBB58_491:                             ;   in Loop: Header=BB58_3 Depth=1
	s_or_b32 exec_lo, exec_lo, s6
	s_delay_alu instid0(VALU_DEP_1) | instskip(NEXT) | instid1(VALU_DEP_1)
	v_pk_add_f32 v[38:39], v[36:37], 0 neg_lo:[1,1] neg_hi:[1,1]
	v_dual_mov_b32 v36, v39 :: v_dual_mov_b32 v37, v38
.LBB58_492:                             ;   in Loop: Header=BB58_3 Depth=1
	s_or_b32 exec_lo, exec_lo, s96
	s_and_saveexec_b32 s6, s45
	s_cbranch_execz .LBB58_494
; %bb.493:                              ;   in Loop: Header=BB58_3 Depth=1
	ds_load_b64 v[38:39], v1 offset:14560
	v_dual_mov_b32 v40, v37 :: v_dual_mov_b32 v41, v36
	s_wait_dscnt 0x0
	s_delay_alu instid0(VALU_DEP_1) | instskip(NEXT) | instid1(VALU_DEP_1)
	v_dual_mul_f32 v0, v40, v38 :: v_dual_mul_f32 v80, v37, v39
	v_pk_fma_f32 v[40:41], v[40:41], v[38:39], v[0:1] op_sel_hi:[1,1,0]
	s_delay_alu instid0(VALU_DEP_2) | instskip(NEXT) | instid1(VALU_DEP_2)
	v_pk_fma_f32 v[36:37], v[36:37], v[38:39], v[80:81] op_sel_hi:[1,1,0] neg_lo:[0,0,1] neg_hi:[0,0,1]
	v_mov_b32_e32 v37, v41
	ds_store_b64 v48, v[36:37]
.LBB58_494:                             ;   in Loop: Header=BB58_3 Depth=1
	s_or_b32 exec_lo, exec_lo, s6
	s_wait_dscnt 0x0
	s_barrier_signal -1
	s_barrier_wait -1
	s_and_saveexec_b32 s6, s46
	s_cbranch_execz .LBB58_496
; %bb.495:                              ;   in Loop: Header=BB58_3 Depth=1
	ds_load_b64 v[38:39], v49 offset:14560
	ds_load_b64 v[40:41], v48
	s_wait_dscnt 0x0
	v_dual_mul_f32 v0, v41, v39 :: v_dual_mul_f32 v81, v40, v39
	s_delay_alu instid0(VALU_DEP_1) | instskip(NEXT) | instid1(VALU_DEP_1)
	v_dual_fma_f32 v80, v40, v38, -v0 :: v_dual_fmac_f32 v81, v41, v38
	v_pk_add_f32 v[36:37], v[36:37], v[80:81]
.LBB58_496:                             ;   in Loop: Header=BB58_3 Depth=1
	s_or_b32 exec_lo, exec_lo, s6
	s_barrier_signal -1
	s_barrier_wait -1
	s_and_saveexec_b32 s6, s47
	s_cbranch_execz .LBB58_498
; %bb.497:                              ;   in Loop: Header=BB58_3 Depth=1
	ds_load_b64 v[38:39], v1 offset:15080
	s_wait_dscnt 0x0
	v_pk_mul_f32 v[40:41], v[36:37], v[38:39] op_sel:[1,1] op_sel_hi:[1,0]
	s_delay_alu instid0(VALU_DEP_1) | instskip(SKIP_1) | instid1(VALU_DEP_2)
	v_pk_fma_f32 v[80:81], v[36:37], v[38:39], v[40:41] op_sel_hi:[0,1,1]
	v_pk_fma_f32 v[38:39], v[36:37], v[38:39], v[40:41] neg_lo:[0,0,1] neg_hi:[0,0,1]
	v_mov_b32_e32 v39, v81
	s_delay_alu instid0(VALU_DEP_1)
	v_mov_b64_e32 v[36:37], v[38:39]
	ds_store_b64 v48, v[38:39]
.LBB58_498:                             ;   in Loop: Header=BB58_3 Depth=1
	s_or_b32 exec_lo, exec_lo, s6
	s_wait_dscnt 0x0
	s_barrier_signal -1
	s_barrier_wait -1
	s_and_saveexec_b32 s6, s48
	s_cbranch_execz .LBB58_500
; %bb.499:                              ;   in Loop: Header=BB58_3 Depth=1
	ds_load_b64 v[38:39], v49 offset:15072
	ds_load_b64 v[40:41], v48
	s_wait_dscnt 0x0
	v_pk_mul_f32 v[80:81], v[40:41], v[38:39] op_sel:[1,1] op_sel_hi:[0,1]
	s_delay_alu instid0(VALU_DEP_1) | instskip(SKIP_1) | instid1(VALU_DEP_2)
	v_pk_fma_f32 v[82:83], v[40:41], v[38:39], v[80:81] op_sel_hi:[1,0,1]
	v_pk_fma_f32 v[38:39], v[40:41], v[38:39], v[80:81] neg_lo:[0,0,1] neg_hi:[0,0,1]
	v_mov_b32_e32 v39, v83
	s_delay_alu instid0(VALU_DEP_1)
	v_pk_add_f32 v[36:37], v[36:37], v[38:39]
.LBB58_500:                             ;   in Loop: Header=BB58_3 Depth=1
	s_or_b32 exec_lo, exec_lo, s6
	s_barrier_signal -1
	s_barrier_wait -1
	s_and_saveexec_b32 s6, s49
	s_cbranch_execz .LBB58_502
; %bb.501:                              ;   in Loop: Header=BB58_3 Depth=1
	ds_load_b64 v[38:39], v1 offset:15600
	s_wait_dscnt 0x0
	v_pk_mul_f32 v[40:41], v[36:37], v[38:39] op_sel:[1,1] op_sel_hi:[1,0]
	s_delay_alu instid0(VALU_DEP_1) | instskip(SKIP_1) | instid1(VALU_DEP_2)
	v_pk_fma_f32 v[80:81], v[36:37], v[38:39], v[40:41] op_sel_hi:[0,1,1]
	v_pk_fma_f32 v[38:39], v[36:37], v[38:39], v[40:41] neg_lo:[0,0,1] neg_hi:[0,0,1]
	v_mov_b32_e32 v39, v81
	s_delay_alu instid0(VALU_DEP_1)
	v_mov_b64_e32 v[36:37], v[38:39]
	ds_store_b64 v48, v[38:39]
.LBB58_502:                             ;   in Loop: Header=BB58_3 Depth=1
	s_or_b32 exec_lo, exec_lo, s6
	s_wait_dscnt 0x0
	s_barrier_signal -1
	s_barrier_wait -1
	s_and_saveexec_b32 s6, s50
	s_cbranch_execz .LBB58_504
; %bb.503:                              ;   in Loop: Header=BB58_3 Depth=1
	ds_load_b64 v[38:39], v1 offset:15608
	ds_load_b64 v[40:41], v48
	s_wait_dscnt 0x0
	v_pk_mul_f32 v[80:81], v[40:41], v[38:39] op_sel:[1,1] op_sel_hi:[0,1]
	s_delay_alu instid0(VALU_DEP_1) | instskip(SKIP_1) | instid1(VALU_DEP_2)
	v_pk_fma_f32 v[82:83], v[40:41], v[38:39], v[80:81] op_sel_hi:[1,0,1]
	v_pk_fma_f32 v[38:39], v[40:41], v[38:39], v[80:81] neg_lo:[0,0,1] neg_hi:[0,0,1]
	v_mov_b32_e32 v39, v83
	s_delay_alu instid0(VALU_DEP_1)
	v_pk_add_f32 v[36:37], v[36:37], v[38:39]
.LBB58_504:                             ;   in Loop: Header=BB58_3 Depth=1
	s_or_b32 exec_lo, exec_lo, s6
	s_barrier_signal -1
	s_barrier_wait -1
	s_and_saveexec_b32 s6, s50
	s_cbranch_execz .LBB58_506
; %bb.505:                              ;   in Loop: Header=BB58_3 Depth=1
	ds_load_b64 v[38:39], v1 offset:16120
	s_wait_dscnt 0x0
	v_pk_mul_f32 v[40:41], v[36:37], v[38:39] op_sel:[1,1] op_sel_hi:[1,0]
	s_delay_alu instid0(VALU_DEP_1) | instskip(SKIP_1) | instid1(VALU_DEP_2)
	v_pk_fma_f32 v[80:81], v[36:37], v[38:39], v[40:41] op_sel_hi:[0,1,1]
	v_pk_fma_f32 v[38:39], v[36:37], v[38:39], v[40:41] neg_lo:[0,0,1] neg_hi:[0,0,1]
	v_mov_b32_e32 v39, v81
	s_delay_alu instid0(VALU_DEP_1)
	v_mov_b64_e32 v[36:37], v[38:39]
	ds_store_b64 v48, v[38:39]
.LBB58_506:                             ;   in Loop: Header=BB58_3 Depth=1
	s_or_b32 exec_lo, exec_lo, s6
	s_wait_dscnt 0x0
	s_barrier_signal -1
	s_barrier_wait -1
	s_barrier_signal -1
	s_barrier_wait -1
	s_and_saveexec_b32 s6, s2
; %bb.507:                              ;   in Loop: Header=BB58_3 Depth=1
	v_pk_add_f32 v[36:37], v[36:37], 0 neg_lo:[1,1] neg_hi:[1,1]
	ds_store_b64 v50, v[36:37] offset:12512
; %bb.508:                              ;   in Loop: Header=BB58_3 Depth=1
	s_or_b32 exec_lo, exec_lo, s6
	s_wait_dscnt 0x0
	s_barrier_signal -1
	s_barrier_wait -1
	s_barrier_signal -1
	s_barrier_wait -1
	s_and_saveexec_b32 s96, s14
	s_cbranch_execz .LBB58_510
; %bb.509:                              ;   in Loop: Header=BB58_3 Depth=1
	ds_load_b128 v[36:39], v1 offset:14560
	ds_load_b64 v[40:41], v1 offset:15080
	s_wait_dscnt 0x1
	v_dual_mov_b32 v80, v39 :: v_dual_mov_b32 v81, v38
	s_wait_dscnt 0x0
	v_dual_mul_f32 v79, v41, v37 :: v_dual_mul_f32 v0, v40, v37
	s_delay_alu instid0(VALU_DEP_1) | instskip(NEXT) | instid1(VALU_DEP_1)
	v_xor_b32_e32 v82, 0x80000000, v79
	v_dual_fmac_f32 v0, v41, v36 :: v_dual_fmac_f32 v82, v40, v36
	s_delay_alu instid0(VALU_DEP_1) | instskip(NEXT) | instid1(VALU_DEP_1)
	v_pk_mul_f32 v[36:37], v[0:1], v[80:81] op_sel_hi:[0,1]
	v_pk_fma_f32 v[40:41], v[82:83], v[38:39], v[36:37] op_sel_hi:[0,1,1]
	v_pk_fma_f32 v[36:37], v[82:83], v[38:39], v[36:37] neg_lo:[0,0,1] neg_hi:[0,0,1]
	s_delay_alu instid0(VALU_DEP_2)
	v_mov_b32_e32 v37, v41
	ds_store_b64 v1, v[36:37] offset:14568
.LBB58_510:                             ;   in Loop: Header=BB58_3 Depth=1
	s_or_b32 exec_lo, exec_lo, s96
	v_mov_b32_e32 v37, 0
	s_wait_dscnt 0x0
	s_barrier_signal -1
	s_barrier_wait -1
	s_delay_alu instid0(VALU_DEP_1)
	v_mov_b32_e32 v36, v37
	s_and_saveexec_b32 s96, s1
	s_cbranch_execz .LBB58_514
; %bb.511:                              ;   in Loop: Header=BB58_3 Depth=1
	ds_load_b64 v[36:37], v44 offset:14576
	ds_load_b64 v[38:39], v45 offset:14560
	s_wait_dscnt 0x0
	v_dual_mul_f32 v0, v39, v37 :: v_dual_mul_f32 v41, v38, v37
	s_delay_alu instid0(VALU_DEP_1) | instskip(NEXT) | instid1(VALU_DEP_1)
	v_dual_fma_f32 v40, v38, v36, -v0 :: v_dual_fmac_f32 v41, v39, v36
	v_pk_add_f32 v[36:37], v[40:41], 0 op_sel_hi:[1,0]
	s_and_saveexec_b32 s6, s15
	s_cbranch_execz .LBB58_513
; %bb.512:                              ;   in Loop: Header=BB58_3 Depth=1
	ds_load_b64 v[38:39], v46 offset:15088
	ds_load_b64 v[40:41], v1 offset:14568
	s_wait_dscnt 0x0
	v_pk_mul_f32 v[80:81], v[40:41], v[38:39] op_sel:[1,1] op_sel_hi:[0,1]
	s_delay_alu instid0(VALU_DEP_1) | instskip(SKIP_1) | instid1(VALU_DEP_2)
	v_pk_fma_f32 v[82:83], v[40:41], v[38:39], v[80:81] op_sel_hi:[1,0,1]
	v_pk_fma_f32 v[38:39], v[40:41], v[38:39], v[80:81] neg_lo:[0,0,1] neg_hi:[0,0,1]
	v_mov_b32_e32 v39, v83
	s_delay_alu instid0(VALU_DEP_1)
	v_pk_add_f32 v[36:37], v[36:37], v[38:39]
.LBB58_513:                             ;   in Loop: Header=BB58_3 Depth=1
	s_or_b32 exec_lo, exec_lo, s6
	s_delay_alu instid0(VALU_DEP_1)
	v_pk_add_f32 v[36:37], v[36:37], 0 neg_lo:[1,1] neg_hi:[1,1]
.LBB58_514:                             ;   in Loop: Header=BB58_3 Depth=1
	s_or_b32 exec_lo, exec_lo, s96
	s_and_saveexec_b32 s6, s43
	s_cbranch_execz .LBB58_516
; %bb.515:                              ;   in Loop: Header=BB58_3 Depth=1
	ds_load_b64 v[38:39], v1 offset:15600
	s_wait_dscnt 0x0
	v_pk_mul_f32 v[40:41], v[36:37], v[38:39] op_sel:[1,1] op_sel_hi:[1,0]
	s_delay_alu instid0(VALU_DEP_1) | instskip(SKIP_1) | instid1(VALU_DEP_2)
	v_pk_fma_f32 v[80:81], v[36:37], v[38:39], v[40:41] op_sel_hi:[0,1,1]
	v_pk_fma_f32 v[38:39], v[36:37], v[38:39], v[40:41] neg_lo:[0,0,1] neg_hi:[0,0,1]
	v_mov_b32_e32 v39, v81
	s_delay_alu instid0(VALU_DEP_1)
	v_mov_b64_e32 v[36:37], v[38:39]
	ds_store_b64 v3, v[38:39]
.LBB58_516:                             ;   in Loop: Header=BB58_3 Depth=1
	s_or_b32 exec_lo, exec_lo, s6
	s_wait_dscnt 0x0
	s_barrier_signal -1
	s_barrier_wait -1
	s_and_saveexec_b32 s6, s44
	s_cbranch_execz .LBB58_518
; %bb.517:                              ;   in Loop: Header=BB58_3 Depth=1
	ds_load_b64 v[38:39], v1 offset:15608
	ds_load_b64 v[40:41], v3
	s_wait_dscnt 0x0
	v_pk_mul_f32 v[80:81], v[40:41], v[38:39] op_sel:[1,1] op_sel_hi:[0,1]
	s_delay_alu instid0(VALU_DEP_1) | instskip(SKIP_1) | instid1(VALU_DEP_2)
	v_pk_fma_f32 v[82:83], v[40:41], v[38:39], v[80:81] op_sel_hi:[1,0,1]
	v_pk_fma_f32 v[38:39], v[40:41], v[38:39], v[80:81] neg_lo:[0,0,1] neg_hi:[0,0,1]
	v_mov_b32_e32 v39, v83
	s_delay_alu instid0(VALU_DEP_1)
	v_pk_add_f32 v[36:37], v[36:37], v[38:39]
.LBB58_518:                             ;   in Loop: Header=BB58_3 Depth=1
	s_or_b32 exec_lo, exec_lo, s6
	s_barrier_signal -1
	s_barrier_wait -1
	s_and_saveexec_b32 s6, s44
	s_cbranch_execz .LBB58_520
; %bb.519:                              ;   in Loop: Header=BB58_3 Depth=1
	ds_load_b64 v[38:39], v1 offset:16120
	s_wait_dscnt 0x0
	v_pk_mul_f32 v[40:41], v[36:37], v[38:39] op_sel:[1,1] op_sel_hi:[1,0]
	s_delay_alu instid0(VALU_DEP_1) | instskip(SKIP_1) | instid1(VALU_DEP_2)
	v_pk_fma_f32 v[80:81], v[36:37], v[38:39], v[40:41] op_sel_hi:[0,1,1]
	v_pk_fma_f32 v[38:39], v[36:37], v[38:39], v[40:41] neg_lo:[0,0,1] neg_hi:[0,0,1]
	v_mov_b32_e32 v39, v81
	s_delay_alu instid0(VALU_DEP_1)
	v_mov_b64_e32 v[36:37], v[38:39]
	ds_store_b64 v3, v[38:39]
.LBB58_520:                             ;   in Loop: Header=BB58_3 Depth=1
	s_or_b32 exec_lo, exec_lo, s6
	s_wait_dscnt 0x0
	s_barrier_signal -1
	s_barrier_wait -1
	s_barrier_signal -1
	s_barrier_wait -1
	s_and_saveexec_b32 s6, s1
; %bb.521:                              ;   in Loop: Header=BB58_3 Depth=1
	v_pk_add_f32 v[36:37], v[36:37], 0 neg_lo:[1,1] neg_hi:[1,1]
	ds_store_b64 v44, v[36:37] offset:14576
; %bb.522:                              ;   in Loop: Header=BB58_3 Depth=1
	s_or_b32 exec_lo, exec_lo, s6
	s_wait_dscnt 0x0
	s_barrier_signal -1
	s_barrier_wait -1
	s_barrier_signal -1
	s_barrier_wait -1
	s_and_saveexec_b32 s96, s14
	s_cbranch_execz .LBB58_524
; %bb.523:                              ;   in Loop: Header=BB58_3 Depth=1
	ds_load_b128 v[36:39], v1 offset:15600
	ds_load_b64 v[40:41], v1 offset:16120
	s_wait_dscnt 0x1
	v_dual_mov_b32 v80, v39 :: v_dual_mov_b32 v81, v38
	s_wait_dscnt 0x0
	v_dual_mul_f32 v79, v41, v37 :: v_dual_mul_f32 v0, v40, v37
	s_delay_alu instid0(VALU_DEP_1) | instskip(NEXT) | instid1(VALU_DEP_1)
	v_xor_b32_e32 v82, 0x80000000, v79
	v_dual_fmac_f32 v0, v41, v36 :: v_dual_fmac_f32 v82, v40, v36
	s_delay_alu instid0(VALU_DEP_1) | instskip(NEXT) | instid1(VALU_DEP_1)
	v_pk_mul_f32 v[36:37], v[0:1], v[80:81] op_sel_hi:[0,1]
	v_pk_fma_f32 v[40:41], v[82:83], v[38:39], v[36:37] op_sel_hi:[0,1,1]
	v_pk_fma_f32 v[36:37], v[82:83], v[38:39], v[36:37] neg_lo:[0,0,1] neg_hi:[0,0,1]
	s_delay_alu instid0(VALU_DEP_2)
	v_mov_b32_e32 v37, v41
	ds_store_b64 v1, v[36:37] offset:15608
.LBB58_524:                             ;   in Loop: Header=BB58_3 Depth=1
	s_or_b32 exec_lo, exec_lo, s96
	v_mov_b64_e32 v[36:37], 0
	s_wait_dscnt 0x0
	s_barrier_signal -1
	s_barrier_wait -1
	s_and_saveexec_b32 s96, s35
	s_cbranch_execz .LBB58_585
; %bb.525:                              ;   in Loop: Header=BB58_3 Depth=1
	v_dual_add_nc_u32 v38, v65, v64 :: v_dual_add_nc_u32 v0, v64, v63
	v_readlane_b32 s7, v89, 16
	ds_load_b64 v[36:37], v38 offset:256
	ds_load_b64 v[40:41], v0
	s_wait_dscnt 0x0
	v_pk_mul_f32 v[80:81], v[40:41], v[36:37] op_sel:[1,1] op_sel_hi:[0,1]
	s_delay_alu instid0(VALU_DEP_1) | instskip(SKIP_1) | instid1(VALU_DEP_2)
	v_pk_fma_f32 v[82:83], v[40:41], v[36:37], v[80:81] op_sel_hi:[1,0,1]
	v_pk_fma_f32 v[36:37], v[40:41], v[36:37], v[80:81] neg_lo:[0,0,1] neg_hi:[0,0,1]
	v_mov_b32_e32 v37, v83
	s_delay_alu instid0(VALU_DEP_1)
	v_pk_add_f32 v[36:37], v[36:37], 0 op_sel_hi:[1,0]
	s_and_saveexec_b32 s6, s7
	s_cbranch_execz .LBB58_527
; %bb.526:                              ;   in Loop: Header=BB58_3 Depth=1
	ds_load_b64 v[40:41], v38 offset:768
	ds_load_b64 v[80:81], v0 offset:8
	s_wait_dscnt 0x0
	v_pk_mul_f32 v[82:83], v[80:81], v[40:41] op_sel:[1,1] op_sel_hi:[0,1]
	s_delay_alu instid0(VALU_DEP_1) | instskip(SKIP_1) | instid1(VALU_DEP_2)
	v_pk_fma_f32 v[84:85], v[80:81], v[40:41], v[82:83] op_sel_hi:[1,0,1]
	v_pk_fma_f32 v[40:41], v[80:81], v[40:41], v[82:83] neg_lo:[0,0,1] neg_hi:[0,0,1]
	v_mov_b32_e32 v41, v85
	s_delay_alu instid0(VALU_DEP_1)
	v_pk_add_f32 v[36:37], v[36:37], v[40:41]
.LBB58_527:                             ;   in Loop: Header=BB58_3 Depth=1
	s_or_b32 exec_lo, exec_lo, s6
	v_readlane_b32 s7, v89, 17
	s_and_saveexec_b32 s6, s7
	s_cbranch_execz .LBB58_529
; %bb.528:                              ;   in Loop: Header=BB58_3 Depth=1
	ds_load_b64 v[40:41], v38 offset:1280
	ds_load_b64 v[80:81], v0 offset:16
	s_wait_dscnt 0x0
	v_pk_mul_f32 v[82:83], v[80:81], v[40:41] op_sel:[1,1] op_sel_hi:[0,1]
	s_delay_alu instid0(VALU_DEP_1) | instskip(SKIP_1) | instid1(VALU_DEP_2)
	v_pk_fma_f32 v[84:85], v[80:81], v[40:41], v[82:83] op_sel_hi:[1,0,1]
	v_pk_fma_f32 v[40:41], v[80:81], v[40:41], v[82:83] neg_lo:[0,0,1] neg_hi:[0,0,1]
	v_mov_b32_e32 v41, v85
	s_delay_alu instid0(VALU_DEP_1)
	v_pk_add_f32 v[36:37], v[36:37], v[40:41]
.LBB58_529:                             ;   in Loop: Header=BB58_3 Depth=1
	s_or_b32 exec_lo, exec_lo, s6
	v_readlane_b32 s7, v89, 18
	;; [unrolled: 16-line block ×22, first 2 shown]
	s_and_saveexec_b32 s6, s7
	s_cbranch_execz .LBB58_571
; %bb.570:                              ;   in Loop: Header=BB58_3 Depth=1
	ds_load_b64 v[40:41], v38 offset:12032
	ds_load_b64 v[80:81], v0 offset:184
	s_wait_dscnt 0x0
	v_pk_mul_f32 v[82:83], v[80:81], v[40:41] op_sel:[1,1] op_sel_hi:[0,1]
	s_delay_alu instid0(VALU_DEP_1) | instskip(SKIP_1) | instid1(VALU_DEP_2)
	v_pk_fma_f32 v[84:85], v[80:81], v[40:41], v[82:83] op_sel_hi:[1,0,1]
	v_pk_fma_f32 v[40:41], v[80:81], v[40:41], v[82:83] neg_lo:[0,0,1] neg_hi:[0,0,1]
	v_mov_b32_e32 v41, v85
	s_delay_alu instid0(VALU_DEP_1)
	v_pk_add_f32 v[36:37], v[36:37], v[40:41]
.LBB58_571:                             ;   in Loop: Header=BB58_3 Depth=1
	s_or_b32 exec_lo, exec_lo, s6
	s_and_saveexec_b32 s6, s4
	s_cbranch_execz .LBB58_573
; %bb.572:                              ;   in Loop: Header=BB58_3 Depth=1
	ds_load_b64 v[40:41], v38 offset:12544
	ds_load_b64 v[80:81], v0 offset:192
	s_wait_dscnt 0x0
	v_pk_mul_f32 v[82:83], v[80:81], v[40:41] op_sel:[1,1] op_sel_hi:[0,1]
	s_delay_alu instid0(VALU_DEP_1) | instskip(SKIP_1) | instid1(VALU_DEP_2)
	v_pk_fma_f32 v[84:85], v[80:81], v[40:41], v[82:83] op_sel_hi:[1,0,1]
	v_pk_fma_f32 v[40:41], v[80:81], v[40:41], v[82:83] neg_lo:[0,0,1] neg_hi:[0,0,1]
	v_mov_b32_e32 v41, v85
	s_delay_alu instid0(VALU_DEP_1)
	v_pk_add_f32 v[36:37], v[36:37], v[40:41]
.LBB58_573:                             ;   in Loop: Header=BB58_3 Depth=1
	s_or_b32 exec_lo, exec_lo, s6
	v_readlane_b32 s7, v90, 30
	s_and_saveexec_b32 s6, s7
	s_cbranch_execz .LBB58_575
; %bb.574:                              ;   in Loop: Header=BB58_3 Depth=1
	ds_load_b64 v[40:41], v38 offset:13056
	ds_load_b64 v[80:81], v0 offset:200
	s_wait_dscnt 0x0
	v_pk_mul_f32 v[82:83], v[80:81], v[40:41] op_sel:[1,1] op_sel_hi:[0,1]
	s_delay_alu instid0(VALU_DEP_1) | instskip(SKIP_1) | instid1(VALU_DEP_2)
	v_pk_fma_f32 v[84:85], v[80:81], v[40:41], v[82:83] op_sel_hi:[1,0,1]
	v_pk_fma_f32 v[40:41], v[80:81], v[40:41], v[82:83] neg_lo:[0,0,1] neg_hi:[0,0,1]
	v_mov_b32_e32 v41, v85
	s_delay_alu instid0(VALU_DEP_1)
	v_pk_add_f32 v[36:37], v[36:37], v[40:41]
.LBB58_575:                             ;   in Loop: Header=BB58_3 Depth=1
	s_or_b32 exec_lo, exec_lo, s6
	v_readlane_b32 s7, v89, 0
	;; [unrolled: 16-line block ×4, first 2 shown]
	s_and_saveexec_b32 s6, s7
	s_cbranch_execnz .LBB58_1071
; %bb.580:                              ;   in Loop: Header=BB58_3 Depth=1
	s_or_b32 exec_lo, exec_lo, s6
	s_and_saveexec_b32 s6, s11
	s_cbranch_execnz .LBB58_1072
.LBB58_581:                             ;   in Loop: Header=BB58_3 Depth=1
	s_or_b32 exec_lo, exec_lo, s6
	s_and_saveexec_b32 s6, s3
	s_cbranch_execnz .LBB58_1073
.LBB58_582:                             ;   in Loop: Header=BB58_3 Depth=1
	s_or_b32 exec_lo, exec_lo, s6
	s_and_saveexec_b32 s6, s21
	s_cbranch_execz .LBB58_584
.LBB58_583:                             ;   in Loop: Header=BB58_3 Depth=1
	ds_load_b64 v[38:39], v65 offset:16128
	ds_load_b64 v[40:41], v0 offset:248
	s_wait_dscnt 0x0
	v_pk_mul_f32 v[80:81], v[40:41], v[38:39] op_sel:[1,1] op_sel_hi:[0,1]
	s_delay_alu instid0(VALU_DEP_1) | instskip(SKIP_1) | instid1(VALU_DEP_2)
	v_pk_fma_f32 v[82:83], v[40:41], v[38:39], v[80:81] op_sel_hi:[1,0,1]
	v_pk_fma_f32 v[38:39], v[40:41], v[38:39], v[80:81] neg_lo:[0,0,1] neg_hi:[0,0,1]
	v_mov_b32_e32 v39, v83
	s_delay_alu instid0(VALU_DEP_1)
	v_pk_add_f32 v[36:37], v[36:37], v[38:39]
.LBB58_584:                             ;   in Loop: Header=BB58_3 Depth=1
	s_or_b32 exec_lo, exec_lo, s6
	s_delay_alu instid0(VALU_DEP_1)
	v_pk_add_f32 v[36:37], v[36:37], 0 neg_lo:[1,1] neg_hi:[1,1]
.LBB58_585:                             ;   in Loop: Header=BB58_3 Depth=1
	s_or_b32 exec_lo, exec_lo, s96
	v_dual_mov_b32 v0, v62 :: v_dual_mov_b32 v38, v78
	s_mov_b32 s96, 0
	s_branch .LBB58_587
.LBB58_586:                             ;   in Loop: Header=BB58_587 Depth=2
	s_or_b32 exec_lo, exec_lo, s6
	v_add_nc_u32_e32 v38, 0x400, v38
	v_add_nc_u32_e32 v0, -2, v0
	s_add_co_i32 s96, s96, 2
	s_delay_alu instid0(SALU_CYCLE_1)
	s_cmp_eq_u32 s96, 32
	s_barrier_signal -1
	s_barrier_wait -1
	s_cbranch_scc1 .LBB58_595
.LBB58_587:                             ;   Parent Loop BB58_3 Depth=1
                                        ; =>  This Inner Loop Header: Depth=2
	s_delay_alu instid0(VALU_DEP_1) | instskip(SKIP_1) | instid1(SALU_CYCLE_1)
	v_cmp_eq_u32_e32 vcc_lo, 0, v0
	s_and_b32 s97, s10, vcc_lo
	s_and_saveexec_b32 s6, s97
	s_cbranch_execz .LBB58_589
; %bb.588:                              ;   in Loop: Header=BB58_587 Depth=2
	ds_load_b64 v[40:41], v72 offset:16640
	s_wait_dscnt 0x0
	v_pk_mul_f32 v[80:81], v[36:37], v[40:41] op_sel:[1,1] op_sel_hi:[1,0]
	s_delay_alu instid0(VALU_DEP_1) | instskip(SKIP_1) | instid1(VALU_DEP_2)
	v_pk_fma_f32 v[82:83], v[36:37], v[40:41], v[80:81] op_sel_hi:[0,1,1]
	v_pk_fma_f32 v[40:41], v[36:37], v[40:41], v[80:81] neg_lo:[0,0,1] neg_hi:[0,0,1]
	v_mov_b32_e32 v41, v83
	s_delay_alu instid0(VALU_DEP_1)
	v_mov_b64_e32 v[36:37], v[40:41]
	ds_store_b64 v66, v[40:41]
.LBB58_589:                             ;   in Loop: Header=BB58_587 Depth=2
	s_or_b32 exec_lo, exec_lo, s6
	v_cmp_lt_u32_e32 vcc_lo, s96, v62
	s_wait_dscnt 0x0
	s_barrier_signal -1
	s_barrier_wait -1
	s_and_b32 s97, s10, vcc_lo
	s_delay_alu instid0(SALU_CYCLE_1)
	s_and_saveexec_b32 s6, s97
	s_cbranch_execz .LBB58_591
; %bb.590:                              ;   in Loop: Header=BB58_587 Depth=2
	ds_load_b64 v[40:41], v38
	ds_load_b64 v[80:81], v66
	s_wait_dscnt 0x0
	v_pk_mul_f32 v[82:83], v[80:81], v[40:41] op_sel:[1,1] op_sel_hi:[0,1]
	s_delay_alu instid0(VALU_DEP_1) | instskip(SKIP_1) | instid1(VALU_DEP_2)
	v_pk_fma_f32 v[84:85], v[80:81], v[40:41], v[82:83] op_sel_hi:[1,0,1]
	v_pk_fma_f32 v[40:41], v[80:81], v[40:41], v[82:83] neg_lo:[0,0,1] neg_hi:[0,0,1]
	v_mov_b32_e32 v41, v85
	s_delay_alu instid0(VALU_DEP_1)
	v_pk_add_f32 v[36:37], v[36:37], v[40:41]
.LBB58_591:                             ;   in Loop: Header=BB58_587 Depth=2
	s_or_b32 exec_lo, exec_lo, s6
	s_or_b32 s6, s96, 1
	s_delay_alu instid0(SALU_CYCLE_1) | instskip(SKIP_3) | instid1(SALU_CYCLE_1)
	v_cmp_eq_u32_e32 vcc_lo, s6, v62
	s_barrier_signal -1
	s_barrier_wait -1
	s_and_b32 s98, s10, vcc_lo
	s_and_saveexec_b32 s97, s98
	s_cbranch_execz .LBB58_593
; %bb.592:                              ;   in Loop: Header=BB58_587 Depth=2
	ds_load_b64 v[40:41], v72 offset:16640
	s_wait_dscnt 0x0
	v_pk_mul_f32 v[80:81], v[36:37], v[40:41] op_sel:[1,1] op_sel_hi:[1,0]
	s_delay_alu instid0(VALU_DEP_1) | instskip(SKIP_1) | instid1(VALU_DEP_2)
	v_pk_fma_f32 v[82:83], v[36:37], v[40:41], v[80:81] op_sel_hi:[0,1,1]
	v_pk_fma_f32 v[40:41], v[36:37], v[40:41], v[80:81] neg_lo:[0,0,1] neg_hi:[0,0,1]
	v_mov_b32_e32 v41, v83
	s_delay_alu instid0(VALU_DEP_1)
	v_mov_b64_e32 v[36:37], v[40:41]
	ds_store_b64 v66, v[40:41]
.LBB58_593:                             ;   in Loop: Header=BB58_587 Depth=2
	s_or_b32 exec_lo, exec_lo, s97
	v_cmp_lt_u32_e32 vcc_lo, s6, v62
	s_wait_dscnt 0x0
	s_barrier_signal -1
	s_barrier_wait -1
	s_and_b32 s97, s10, vcc_lo
	s_delay_alu instid0(SALU_CYCLE_1)
	s_and_saveexec_b32 s6, s97
	s_cbranch_execz .LBB58_586
; %bb.594:                              ;   in Loop: Header=BB58_587 Depth=2
	ds_load_b64 v[40:41], v38 offset:512
	ds_load_b64 v[80:81], v66
	s_wait_dscnt 0x0
	v_pk_mul_f32 v[82:83], v[80:81], v[40:41] op_sel:[1,1] op_sel_hi:[0,1]
	s_delay_alu instid0(VALU_DEP_1) | instskip(SKIP_1) | instid1(VALU_DEP_2)
	v_pk_fma_f32 v[84:85], v[80:81], v[40:41], v[82:83] op_sel_hi:[1,0,1]
	v_pk_fma_f32 v[40:41], v[80:81], v[40:41], v[82:83] neg_lo:[0,0,1] neg_hi:[0,0,1]
	v_mov_b32_e32 v41, v85
	s_delay_alu instid0(VALU_DEP_1)
	v_pk_add_f32 v[36:37], v[36:37], v[40:41]
	s_branch .LBB58_586
.LBB58_595:                             ;   in Loop: Header=BB58_3 Depth=1
	s_and_saveexec_b32 s6, s35
; %bb.596:                              ;   in Loop: Header=BB58_3 Depth=1
	v_pk_add_f32 v[36:37], v[36:37], 0 neg_lo:[1,1] neg_hi:[1,1]
	ds_store_b64 v67, v[36:37] offset:256
; %bb.597:                              ;   in Loop: Header=BB58_3 Depth=1
	s_or_b32 exec_lo, exec_lo, s6
	s_wait_dscnt 0x0
	s_barrier_signal -1
	s_barrier_wait -1
	s_barrier_signal -1
	s_barrier_wait -1
	s_and_saveexec_b32 s96, s14
	s_cbranch_execz .LBB58_599
; %bb.598:                              ;   in Loop: Header=BB58_3 Depth=1
	ds_load_b128 v[36:39], v1 offset:16640
	ds_load_b64 v[40:41], v1 offset:17160
	s_wait_dscnt 0x1
	v_dual_mov_b32 v80, v39 :: v_dual_mov_b32 v81, v38
	s_wait_dscnt 0x0
	v_dual_mul_f32 v79, v41, v37 :: v_dual_mul_f32 v0, v40, v37
	s_delay_alu instid0(VALU_DEP_1) | instskip(NEXT) | instid1(VALU_DEP_1)
	v_xor_b32_e32 v82, 0x80000000, v79
	v_dual_fmac_f32 v0, v41, v36 :: v_dual_fmac_f32 v82, v40, v36
	s_delay_alu instid0(VALU_DEP_1) | instskip(NEXT) | instid1(VALU_DEP_1)
	v_pk_mul_f32 v[36:37], v[0:1], v[80:81] op_sel_hi:[0,1]
	v_pk_fma_f32 v[40:41], v[82:83], v[38:39], v[36:37] op_sel_hi:[0,1,1]
	v_pk_fma_f32 v[36:37], v[82:83], v[38:39], v[36:37] neg_lo:[0,0,1] neg_hi:[0,0,1]
	s_delay_alu instid0(VALU_DEP_2)
	v_mov_b32_e32 v37, v41
	ds_store_b64 v1, v[36:37] offset:16648
.LBB58_599:                             ;   in Loop: Header=BB58_3 Depth=1
	s_or_b32 exec_lo, exec_lo, s96
	v_mov_b32_e32 v37, 0
	s_wait_dscnt 0x0
	s_barrier_signal -1
	s_barrier_wait -1
	s_delay_alu instid0(VALU_DEP_1)
	v_mov_b32_e32 v36, v37
	s_and_saveexec_b32 s96, s1
	s_cbranch_execz .LBB58_603
; %bb.600:                              ;   in Loop: Header=BB58_3 Depth=1
	ds_load_b64 v[36:37], v44 offset:16656
	ds_load_b64 v[38:39], v45 offset:16640
	s_wait_dscnt 0x0
	v_dual_mul_f32 v0, v39, v37 :: v_dual_mul_f32 v41, v38, v37
	s_delay_alu instid0(VALU_DEP_1) | instskip(NEXT) | instid1(VALU_DEP_1)
	v_dual_fma_f32 v40, v38, v36, -v0 :: v_dual_fmac_f32 v41, v39, v36
	v_pk_add_f32 v[36:37], v[40:41], 0 op_sel_hi:[1,0]
	s_and_saveexec_b32 s6, s15
	s_cbranch_execz .LBB58_602
; %bb.601:                              ;   in Loop: Header=BB58_3 Depth=1
	ds_load_b64 v[38:39], v46 offset:17168
	ds_load_b64 v[40:41], v1 offset:16648
	s_wait_dscnt 0x0
	v_pk_mul_f32 v[80:81], v[40:41], v[38:39] op_sel:[1,1] op_sel_hi:[0,1]
	s_delay_alu instid0(VALU_DEP_1) | instskip(SKIP_1) | instid1(VALU_DEP_2)
	v_pk_fma_f32 v[82:83], v[40:41], v[38:39], v[80:81] op_sel_hi:[1,0,1]
	v_pk_fma_f32 v[38:39], v[40:41], v[38:39], v[80:81] neg_lo:[0,0,1] neg_hi:[0,0,1]
	v_mov_b32_e32 v39, v83
	s_delay_alu instid0(VALU_DEP_1)
	v_pk_add_f32 v[36:37], v[36:37], v[38:39]
.LBB58_602:                             ;   in Loop: Header=BB58_3 Depth=1
	s_or_b32 exec_lo, exec_lo, s6
	s_delay_alu instid0(VALU_DEP_1)
	v_pk_add_f32 v[36:37], v[36:37], 0 neg_lo:[1,1] neg_hi:[1,1]
.LBB58_603:                             ;   in Loop: Header=BB58_3 Depth=1
	s_or_b32 exec_lo, exec_lo, s96
	s_and_saveexec_b32 s6, s43
	s_cbranch_execz .LBB58_605
; %bb.604:                              ;   in Loop: Header=BB58_3 Depth=1
	ds_load_b64 v[38:39], v1 offset:17680
	s_wait_dscnt 0x0
	v_pk_mul_f32 v[40:41], v[36:37], v[38:39] op_sel:[1,1] op_sel_hi:[1,0]
	s_delay_alu instid0(VALU_DEP_1) | instskip(SKIP_1) | instid1(VALU_DEP_2)
	v_pk_fma_f32 v[80:81], v[36:37], v[38:39], v[40:41] op_sel_hi:[0,1,1]
	v_pk_fma_f32 v[38:39], v[36:37], v[38:39], v[40:41] neg_lo:[0,0,1] neg_hi:[0,0,1]
	v_mov_b32_e32 v39, v81
	s_delay_alu instid0(VALU_DEP_1)
	v_mov_b64_e32 v[36:37], v[38:39]
	ds_store_b64 v3, v[38:39]
.LBB58_605:                             ;   in Loop: Header=BB58_3 Depth=1
	s_or_b32 exec_lo, exec_lo, s6
	s_wait_dscnt 0x0
	s_barrier_signal -1
	s_barrier_wait -1
	s_and_saveexec_b32 s6, s44
	s_cbranch_execz .LBB58_607
; %bb.606:                              ;   in Loop: Header=BB58_3 Depth=1
	ds_load_b64 v[38:39], v1 offset:17688
	ds_load_b64 v[40:41], v3
	s_wait_dscnt 0x0
	v_pk_mul_f32 v[80:81], v[40:41], v[38:39] op_sel:[1,1] op_sel_hi:[0,1]
	s_delay_alu instid0(VALU_DEP_1) | instskip(SKIP_1) | instid1(VALU_DEP_2)
	v_pk_fma_f32 v[82:83], v[40:41], v[38:39], v[80:81] op_sel_hi:[1,0,1]
	v_pk_fma_f32 v[38:39], v[40:41], v[38:39], v[80:81] neg_lo:[0,0,1] neg_hi:[0,0,1]
	v_mov_b32_e32 v39, v83
	s_delay_alu instid0(VALU_DEP_1)
	v_pk_add_f32 v[36:37], v[36:37], v[38:39]
.LBB58_607:                             ;   in Loop: Header=BB58_3 Depth=1
	s_or_b32 exec_lo, exec_lo, s6
	s_barrier_signal -1
	s_barrier_wait -1
	s_and_saveexec_b32 s6, s44
	s_cbranch_execz .LBB58_609
; %bb.608:                              ;   in Loop: Header=BB58_3 Depth=1
	ds_load_b64 v[38:39], v1 offset:18200
	s_wait_dscnt 0x0
	v_pk_mul_f32 v[40:41], v[36:37], v[38:39] op_sel:[1,1] op_sel_hi:[1,0]
	s_delay_alu instid0(VALU_DEP_1) | instskip(SKIP_1) | instid1(VALU_DEP_2)
	v_pk_fma_f32 v[80:81], v[36:37], v[38:39], v[40:41] op_sel_hi:[0,1,1]
	v_pk_fma_f32 v[38:39], v[36:37], v[38:39], v[40:41] neg_lo:[0,0,1] neg_hi:[0,0,1]
	v_mov_b32_e32 v39, v81
	s_delay_alu instid0(VALU_DEP_1)
	v_mov_b64_e32 v[36:37], v[38:39]
	ds_store_b64 v3, v[38:39]
.LBB58_609:                             ;   in Loop: Header=BB58_3 Depth=1
	s_or_b32 exec_lo, exec_lo, s6
	s_wait_dscnt 0x0
	s_barrier_signal -1
	s_barrier_wait -1
	s_barrier_signal -1
	s_barrier_wait -1
	s_and_saveexec_b32 s6, s1
; %bb.610:                              ;   in Loop: Header=BB58_3 Depth=1
	v_pk_add_f32 v[36:37], v[36:37], 0 neg_lo:[1,1] neg_hi:[1,1]
	ds_store_b64 v44, v[36:37] offset:16656
; %bb.611:                              ;   in Loop: Header=BB58_3 Depth=1
	s_or_b32 exec_lo, exec_lo, s6
	s_wait_dscnt 0x0
	s_barrier_signal -1
	s_barrier_wait -1
	s_barrier_signal -1
	s_barrier_wait -1
	s_and_saveexec_b32 s96, s14
	s_cbranch_execz .LBB58_613
; %bb.612:                              ;   in Loop: Header=BB58_3 Depth=1
	ds_load_b128 v[36:39], v1 offset:17680
	ds_load_b64 v[40:41], v1 offset:18200
	s_wait_dscnt 0x1
	v_dual_mov_b32 v80, v39 :: v_dual_mov_b32 v81, v38
	s_wait_dscnt 0x0
	v_dual_mul_f32 v79, v41, v37 :: v_dual_mul_f32 v0, v40, v37
	s_delay_alu instid0(VALU_DEP_1) | instskip(NEXT) | instid1(VALU_DEP_1)
	v_xor_b32_e32 v82, 0x80000000, v79
	v_dual_fmac_f32 v0, v41, v36 :: v_dual_fmac_f32 v82, v40, v36
	s_delay_alu instid0(VALU_DEP_1) | instskip(NEXT) | instid1(VALU_DEP_1)
	v_pk_mul_f32 v[36:37], v[0:1], v[80:81] op_sel_hi:[0,1]
	v_pk_fma_f32 v[40:41], v[82:83], v[38:39], v[36:37] op_sel_hi:[0,1,1]
	v_pk_fma_f32 v[36:37], v[82:83], v[38:39], v[36:37] neg_lo:[0,0,1] neg_hi:[0,0,1]
	s_delay_alu instid0(VALU_DEP_2)
	v_mov_b32_e32 v37, v41
	ds_store_b64 v1, v[36:37] offset:17688
.LBB58_613:                             ;   in Loop: Header=BB58_3 Depth=1
	s_or_b32 exec_lo, exec_lo, s96
	v_mov_b32_e32 v36, 0
	s_wait_dscnt 0x0
	s_barrier_signal -1
	s_barrier_wait -1
	s_delay_alu instid0(VALU_DEP_1)
	v_mov_b32_e32 v37, v36
	s_and_saveexec_b32 s96, s2
	s_cbranch_execz .LBB58_619
; %bb.614:                              ;   in Loop: Header=BB58_3 Depth=1
	ds_load_b64 v[36:37], v50 offset:16672
	ds_load_b64 v[38:39], v47 offset:16640
	s_wait_dscnt 0x0
	v_pk_mul_f32 v[40:41], v[38:39], v[36:37] op_sel:[0,1]
	s_delay_alu instid0(VALU_DEP_1) | instskip(SKIP_1) | instid1(VALU_DEP_2)
	v_pk_fma_f32 v[80:81], v[38:39], v[36:37], v[40:41] op_sel:[1,0,0] op_sel_hi:[0,0,1] neg_lo:[0,0,1] neg_hi:[0,0,1]
	v_pk_fma_f32 v[36:37], v[38:39], v[36:37], v[40:41] op_sel:[1,0,0] op_sel_hi:[0,1,1]
	v_mov_b32_e32 v37, v81
	s_delay_alu instid0(VALU_DEP_1)
	v_pk_add_f32 v[36:37], v[36:37], 0 op_sel_hi:[1,0]
	s_and_saveexec_b32 s6, s16
	s_cbranch_execnz .LBB58_1074
; %bb.615:                              ;   in Loop: Header=BB58_3 Depth=1
	s_or_b32 exec_lo, exec_lo, s6
	s_and_saveexec_b32 s6, s17
	s_cbranch_execnz .LBB58_1075
.LBB58_616:                             ;   in Loop: Header=BB58_3 Depth=1
	s_or_b32 exec_lo, exec_lo, s6
	s_and_saveexec_b32 s6, s1
	s_cbranch_execz .LBB58_618
.LBB58_617:                             ;   in Loop: Header=BB58_3 Depth=1
	ds_load_b64 v[38:39], v46 offset:18208
	ds_load_b64 v[40:41], v1 offset:16664
	s_wait_dscnt 0x0
	v_pk_mul_f32 v[80:81], v[40:41], v[38:39] op_sel:[0,1]
	s_delay_alu instid0(VALU_DEP_1) | instskip(SKIP_1) | instid1(VALU_DEP_2)
	v_pk_fma_f32 v[82:83], v[40:41], v[38:39], v[80:81] op_sel:[1,0,0] op_sel_hi:[0,0,1] neg_lo:[0,0,1] neg_hi:[0,0,1]
	v_pk_fma_f32 v[38:39], v[40:41], v[38:39], v[80:81] op_sel:[1,0,0] op_sel_hi:[0,1,1]
	v_mov_b32_e32 v39, v83
	s_delay_alu instid0(VALU_DEP_1)
	v_pk_add_f32 v[36:37], v[36:37], v[38:39]
.LBB58_618:                             ;   in Loop: Header=BB58_3 Depth=1
	s_or_b32 exec_lo, exec_lo, s6
	s_delay_alu instid0(VALU_DEP_1) | instskip(NEXT) | instid1(VALU_DEP_1)
	v_pk_add_f32 v[38:39], v[36:37], 0 neg_lo:[1,1] neg_hi:[1,1]
	v_dual_mov_b32 v36, v39 :: v_dual_mov_b32 v37, v38
.LBB58_619:                             ;   in Loop: Header=BB58_3 Depth=1
	s_or_b32 exec_lo, exec_lo, s96
	s_and_saveexec_b32 s6, s45
	s_cbranch_execz .LBB58_621
; %bb.620:                              ;   in Loop: Header=BB58_3 Depth=1
	ds_load_b64 v[38:39], v1 offset:18720
	v_dual_mov_b32 v40, v37 :: v_dual_mov_b32 v41, v36
	s_wait_dscnt 0x0
	s_delay_alu instid0(VALU_DEP_1) | instskip(NEXT) | instid1(VALU_DEP_1)
	v_dual_mul_f32 v0, v40, v38 :: v_dual_mul_f32 v80, v37, v39
	v_pk_fma_f32 v[40:41], v[40:41], v[38:39], v[0:1] op_sel_hi:[1,1,0]
	s_delay_alu instid0(VALU_DEP_2) | instskip(NEXT) | instid1(VALU_DEP_2)
	v_pk_fma_f32 v[36:37], v[36:37], v[38:39], v[80:81] op_sel_hi:[1,1,0] neg_lo:[0,0,1] neg_hi:[0,0,1]
	v_mov_b32_e32 v37, v41
	ds_store_b64 v48, v[36:37]
.LBB58_621:                             ;   in Loop: Header=BB58_3 Depth=1
	s_or_b32 exec_lo, exec_lo, s6
	s_wait_dscnt 0x0
	s_barrier_signal -1
	s_barrier_wait -1
	s_and_saveexec_b32 s6, s46
	s_cbranch_execz .LBB58_623
; %bb.622:                              ;   in Loop: Header=BB58_3 Depth=1
	ds_load_b64 v[38:39], v49 offset:18720
	ds_load_b64 v[40:41], v48
	s_wait_dscnt 0x0
	v_dual_mul_f32 v0, v41, v39 :: v_dual_mul_f32 v81, v40, v39
	s_delay_alu instid0(VALU_DEP_1) | instskip(NEXT) | instid1(VALU_DEP_1)
	v_dual_fma_f32 v80, v40, v38, -v0 :: v_dual_fmac_f32 v81, v41, v38
	v_pk_add_f32 v[36:37], v[36:37], v[80:81]
.LBB58_623:                             ;   in Loop: Header=BB58_3 Depth=1
	s_or_b32 exec_lo, exec_lo, s6
	s_barrier_signal -1
	s_barrier_wait -1
	s_and_saveexec_b32 s6, s47
	s_cbranch_execz .LBB58_625
; %bb.624:                              ;   in Loop: Header=BB58_3 Depth=1
	ds_load_b64 v[38:39], v1 offset:19240
	s_wait_dscnt 0x0
	v_pk_mul_f32 v[40:41], v[36:37], v[38:39] op_sel:[1,1] op_sel_hi:[1,0]
	s_delay_alu instid0(VALU_DEP_1) | instskip(SKIP_1) | instid1(VALU_DEP_2)
	v_pk_fma_f32 v[80:81], v[36:37], v[38:39], v[40:41] op_sel_hi:[0,1,1]
	v_pk_fma_f32 v[38:39], v[36:37], v[38:39], v[40:41] neg_lo:[0,0,1] neg_hi:[0,0,1]
	v_mov_b32_e32 v39, v81
	s_delay_alu instid0(VALU_DEP_1)
	v_mov_b64_e32 v[36:37], v[38:39]
	ds_store_b64 v48, v[38:39]
.LBB58_625:                             ;   in Loop: Header=BB58_3 Depth=1
	s_or_b32 exec_lo, exec_lo, s6
	s_wait_dscnt 0x0
	s_barrier_signal -1
	s_barrier_wait -1
	s_and_saveexec_b32 s6, s48
	s_cbranch_execz .LBB58_627
; %bb.626:                              ;   in Loop: Header=BB58_3 Depth=1
	ds_load_b64 v[38:39], v49 offset:19232
	ds_load_b64 v[40:41], v48
	s_wait_dscnt 0x0
	v_pk_mul_f32 v[80:81], v[40:41], v[38:39] op_sel:[1,1] op_sel_hi:[0,1]
	s_delay_alu instid0(VALU_DEP_1) | instskip(SKIP_1) | instid1(VALU_DEP_2)
	v_pk_fma_f32 v[82:83], v[40:41], v[38:39], v[80:81] op_sel_hi:[1,0,1]
	v_pk_fma_f32 v[38:39], v[40:41], v[38:39], v[80:81] neg_lo:[0,0,1] neg_hi:[0,0,1]
	v_mov_b32_e32 v39, v83
	s_delay_alu instid0(VALU_DEP_1)
	v_pk_add_f32 v[36:37], v[36:37], v[38:39]
.LBB58_627:                             ;   in Loop: Header=BB58_3 Depth=1
	s_or_b32 exec_lo, exec_lo, s6
	s_barrier_signal -1
	s_barrier_wait -1
	s_and_saveexec_b32 s6, s49
	s_cbranch_execz .LBB58_629
; %bb.628:                              ;   in Loop: Header=BB58_3 Depth=1
	ds_load_b64 v[38:39], v1 offset:19760
	s_wait_dscnt 0x0
	v_pk_mul_f32 v[40:41], v[36:37], v[38:39] op_sel:[1,1] op_sel_hi:[1,0]
	s_delay_alu instid0(VALU_DEP_1) | instskip(SKIP_1) | instid1(VALU_DEP_2)
	v_pk_fma_f32 v[80:81], v[36:37], v[38:39], v[40:41] op_sel_hi:[0,1,1]
	v_pk_fma_f32 v[38:39], v[36:37], v[38:39], v[40:41] neg_lo:[0,0,1] neg_hi:[0,0,1]
	v_mov_b32_e32 v39, v81
	s_delay_alu instid0(VALU_DEP_1)
	v_mov_b64_e32 v[36:37], v[38:39]
	ds_store_b64 v48, v[38:39]
.LBB58_629:                             ;   in Loop: Header=BB58_3 Depth=1
	s_or_b32 exec_lo, exec_lo, s6
	s_wait_dscnt 0x0
	s_barrier_signal -1
	s_barrier_wait -1
	s_and_saveexec_b32 s6, s50
	s_cbranch_execz .LBB58_631
; %bb.630:                              ;   in Loop: Header=BB58_3 Depth=1
	ds_load_b64 v[38:39], v1 offset:19768
	ds_load_b64 v[40:41], v48
	s_wait_dscnt 0x0
	v_pk_mul_f32 v[80:81], v[40:41], v[38:39] op_sel:[1,1] op_sel_hi:[0,1]
	s_delay_alu instid0(VALU_DEP_1) | instskip(SKIP_1) | instid1(VALU_DEP_2)
	v_pk_fma_f32 v[82:83], v[40:41], v[38:39], v[80:81] op_sel_hi:[1,0,1]
	v_pk_fma_f32 v[38:39], v[40:41], v[38:39], v[80:81] neg_lo:[0,0,1] neg_hi:[0,0,1]
	v_mov_b32_e32 v39, v83
	s_delay_alu instid0(VALU_DEP_1)
	v_pk_add_f32 v[36:37], v[36:37], v[38:39]
.LBB58_631:                             ;   in Loop: Header=BB58_3 Depth=1
	s_or_b32 exec_lo, exec_lo, s6
	s_barrier_signal -1
	s_barrier_wait -1
	s_and_saveexec_b32 s6, s50
	s_cbranch_execz .LBB58_633
; %bb.632:                              ;   in Loop: Header=BB58_3 Depth=1
	ds_load_b64 v[38:39], v1 offset:20280
	s_wait_dscnt 0x0
	v_pk_mul_f32 v[40:41], v[36:37], v[38:39] op_sel:[1,1] op_sel_hi:[1,0]
	s_delay_alu instid0(VALU_DEP_1) | instskip(SKIP_1) | instid1(VALU_DEP_2)
	v_pk_fma_f32 v[80:81], v[36:37], v[38:39], v[40:41] op_sel_hi:[0,1,1]
	v_pk_fma_f32 v[38:39], v[36:37], v[38:39], v[40:41] neg_lo:[0,0,1] neg_hi:[0,0,1]
	v_mov_b32_e32 v39, v81
	s_delay_alu instid0(VALU_DEP_1)
	v_mov_b64_e32 v[36:37], v[38:39]
	ds_store_b64 v48, v[38:39]
.LBB58_633:                             ;   in Loop: Header=BB58_3 Depth=1
	s_or_b32 exec_lo, exec_lo, s6
	s_wait_dscnt 0x0
	s_barrier_signal -1
	s_barrier_wait -1
	s_barrier_signal -1
	s_barrier_wait -1
	s_and_saveexec_b32 s6, s2
; %bb.634:                              ;   in Loop: Header=BB58_3 Depth=1
	v_pk_add_f32 v[36:37], v[36:37], 0 neg_lo:[1,1] neg_hi:[1,1]
	ds_store_b64 v50, v[36:37] offset:16672
; %bb.635:                              ;   in Loop: Header=BB58_3 Depth=1
	s_or_b32 exec_lo, exec_lo, s6
	s_wait_dscnt 0x0
	s_barrier_signal -1
	s_barrier_wait -1
	s_barrier_signal -1
	s_barrier_wait -1
	s_and_saveexec_b32 s96, s14
	s_cbranch_execz .LBB58_637
; %bb.636:                              ;   in Loop: Header=BB58_3 Depth=1
	ds_load_b128 v[36:39], v1 offset:18720
	ds_load_b64 v[40:41], v1 offset:19240
	s_wait_dscnt 0x1
	v_dual_mov_b32 v80, v39 :: v_dual_mov_b32 v81, v38
	s_wait_dscnt 0x0
	v_dual_mul_f32 v79, v41, v37 :: v_dual_mul_f32 v0, v40, v37
	s_delay_alu instid0(VALU_DEP_1) | instskip(NEXT) | instid1(VALU_DEP_1)
	v_xor_b32_e32 v82, 0x80000000, v79
	v_dual_fmac_f32 v0, v41, v36 :: v_dual_fmac_f32 v82, v40, v36
	s_delay_alu instid0(VALU_DEP_1) | instskip(NEXT) | instid1(VALU_DEP_1)
	v_pk_mul_f32 v[36:37], v[0:1], v[80:81] op_sel_hi:[0,1]
	v_pk_fma_f32 v[40:41], v[82:83], v[38:39], v[36:37] op_sel_hi:[0,1,1]
	v_pk_fma_f32 v[36:37], v[82:83], v[38:39], v[36:37] neg_lo:[0,0,1] neg_hi:[0,0,1]
	s_delay_alu instid0(VALU_DEP_2)
	v_mov_b32_e32 v37, v41
	ds_store_b64 v1, v[36:37] offset:18728
.LBB58_637:                             ;   in Loop: Header=BB58_3 Depth=1
	s_or_b32 exec_lo, exec_lo, s96
	v_mov_b32_e32 v37, 0
	s_wait_dscnt 0x0
	s_barrier_signal -1
	s_barrier_wait -1
	s_delay_alu instid0(VALU_DEP_1)
	v_mov_b32_e32 v36, v37
	s_and_saveexec_b32 s96, s1
	s_cbranch_execz .LBB58_641
; %bb.638:                              ;   in Loop: Header=BB58_3 Depth=1
	ds_load_b64 v[36:37], v44 offset:18736
	ds_load_b64 v[38:39], v45 offset:18720
	s_wait_dscnt 0x0
	v_dual_mul_f32 v0, v39, v37 :: v_dual_mul_f32 v41, v38, v37
	s_delay_alu instid0(VALU_DEP_1) | instskip(NEXT) | instid1(VALU_DEP_1)
	v_dual_fma_f32 v40, v38, v36, -v0 :: v_dual_fmac_f32 v41, v39, v36
	v_pk_add_f32 v[36:37], v[40:41], 0 op_sel_hi:[1,0]
	s_and_saveexec_b32 s6, s15
	s_cbranch_execz .LBB58_640
; %bb.639:                              ;   in Loop: Header=BB58_3 Depth=1
	ds_load_b64 v[38:39], v46 offset:19248
	ds_load_b64 v[40:41], v1 offset:18728
	s_wait_dscnt 0x0
	v_pk_mul_f32 v[80:81], v[40:41], v[38:39] op_sel:[1,1] op_sel_hi:[0,1]
	s_delay_alu instid0(VALU_DEP_1) | instskip(SKIP_1) | instid1(VALU_DEP_2)
	v_pk_fma_f32 v[82:83], v[40:41], v[38:39], v[80:81] op_sel_hi:[1,0,1]
	v_pk_fma_f32 v[38:39], v[40:41], v[38:39], v[80:81] neg_lo:[0,0,1] neg_hi:[0,0,1]
	v_mov_b32_e32 v39, v83
	s_delay_alu instid0(VALU_DEP_1)
	v_pk_add_f32 v[36:37], v[36:37], v[38:39]
.LBB58_640:                             ;   in Loop: Header=BB58_3 Depth=1
	s_or_b32 exec_lo, exec_lo, s6
	s_delay_alu instid0(VALU_DEP_1)
	v_pk_add_f32 v[36:37], v[36:37], 0 neg_lo:[1,1] neg_hi:[1,1]
.LBB58_641:                             ;   in Loop: Header=BB58_3 Depth=1
	s_or_b32 exec_lo, exec_lo, s96
	s_and_saveexec_b32 s6, s43
	s_cbranch_execz .LBB58_643
; %bb.642:                              ;   in Loop: Header=BB58_3 Depth=1
	ds_load_b64 v[38:39], v1 offset:19760
	s_wait_dscnt 0x0
	v_pk_mul_f32 v[40:41], v[36:37], v[38:39] op_sel:[1,1] op_sel_hi:[1,0]
	s_delay_alu instid0(VALU_DEP_1) | instskip(SKIP_1) | instid1(VALU_DEP_2)
	v_pk_fma_f32 v[80:81], v[36:37], v[38:39], v[40:41] op_sel_hi:[0,1,1]
	v_pk_fma_f32 v[38:39], v[36:37], v[38:39], v[40:41] neg_lo:[0,0,1] neg_hi:[0,0,1]
	v_mov_b32_e32 v39, v81
	s_delay_alu instid0(VALU_DEP_1)
	v_mov_b64_e32 v[36:37], v[38:39]
	ds_store_b64 v3, v[38:39]
.LBB58_643:                             ;   in Loop: Header=BB58_3 Depth=1
	s_or_b32 exec_lo, exec_lo, s6
	s_wait_dscnt 0x0
	s_barrier_signal -1
	s_barrier_wait -1
	s_and_saveexec_b32 s6, s44
	s_cbranch_execz .LBB58_645
; %bb.644:                              ;   in Loop: Header=BB58_3 Depth=1
	ds_load_b64 v[38:39], v1 offset:19768
	ds_load_b64 v[40:41], v3
	s_wait_dscnt 0x0
	v_pk_mul_f32 v[80:81], v[40:41], v[38:39] op_sel:[1,1] op_sel_hi:[0,1]
	s_delay_alu instid0(VALU_DEP_1) | instskip(SKIP_1) | instid1(VALU_DEP_2)
	v_pk_fma_f32 v[82:83], v[40:41], v[38:39], v[80:81] op_sel_hi:[1,0,1]
	v_pk_fma_f32 v[38:39], v[40:41], v[38:39], v[80:81] neg_lo:[0,0,1] neg_hi:[0,0,1]
	v_mov_b32_e32 v39, v83
	s_delay_alu instid0(VALU_DEP_1)
	v_pk_add_f32 v[36:37], v[36:37], v[38:39]
.LBB58_645:                             ;   in Loop: Header=BB58_3 Depth=1
	s_or_b32 exec_lo, exec_lo, s6
	s_barrier_signal -1
	s_barrier_wait -1
	s_and_saveexec_b32 s6, s44
	s_cbranch_execz .LBB58_647
; %bb.646:                              ;   in Loop: Header=BB58_3 Depth=1
	ds_load_b64 v[38:39], v1 offset:20280
	s_wait_dscnt 0x0
	v_pk_mul_f32 v[40:41], v[36:37], v[38:39] op_sel:[1,1] op_sel_hi:[1,0]
	s_delay_alu instid0(VALU_DEP_1) | instskip(SKIP_1) | instid1(VALU_DEP_2)
	v_pk_fma_f32 v[80:81], v[36:37], v[38:39], v[40:41] op_sel_hi:[0,1,1]
	v_pk_fma_f32 v[38:39], v[36:37], v[38:39], v[40:41] neg_lo:[0,0,1] neg_hi:[0,0,1]
	v_mov_b32_e32 v39, v81
	s_delay_alu instid0(VALU_DEP_1)
	v_mov_b64_e32 v[36:37], v[38:39]
	ds_store_b64 v3, v[38:39]
.LBB58_647:                             ;   in Loop: Header=BB58_3 Depth=1
	s_or_b32 exec_lo, exec_lo, s6
	s_wait_dscnt 0x0
	s_barrier_signal -1
	s_barrier_wait -1
	s_barrier_signal -1
	s_barrier_wait -1
	s_and_saveexec_b32 s6, s1
; %bb.648:                              ;   in Loop: Header=BB58_3 Depth=1
	v_pk_add_f32 v[36:37], v[36:37], 0 neg_lo:[1,1] neg_hi:[1,1]
	ds_store_b64 v44, v[36:37] offset:18736
; %bb.649:                              ;   in Loop: Header=BB58_3 Depth=1
	s_or_b32 exec_lo, exec_lo, s6
	s_wait_dscnt 0x0
	s_barrier_signal -1
	s_barrier_wait -1
	s_barrier_signal -1
	s_barrier_wait -1
	s_and_saveexec_b32 s96, s14
	s_cbranch_execz .LBB58_651
; %bb.650:                              ;   in Loop: Header=BB58_3 Depth=1
	ds_load_b128 v[36:39], v1 offset:19760
	ds_load_b64 v[40:41], v1 offset:20280
	s_wait_dscnt 0x1
	v_dual_mov_b32 v80, v39 :: v_dual_mov_b32 v81, v38
	s_wait_dscnt 0x0
	v_dual_mul_f32 v79, v41, v37 :: v_dual_mul_f32 v0, v40, v37
	s_delay_alu instid0(VALU_DEP_1) | instskip(NEXT) | instid1(VALU_DEP_1)
	v_xor_b32_e32 v82, 0x80000000, v79
	v_dual_fmac_f32 v0, v41, v36 :: v_dual_fmac_f32 v82, v40, v36
	s_delay_alu instid0(VALU_DEP_1) | instskip(NEXT) | instid1(VALU_DEP_1)
	v_pk_mul_f32 v[36:37], v[0:1], v[80:81] op_sel_hi:[0,1]
	v_pk_fma_f32 v[40:41], v[82:83], v[38:39], v[36:37] op_sel_hi:[0,1,1]
	v_pk_fma_f32 v[36:37], v[82:83], v[38:39], v[36:37] neg_lo:[0,0,1] neg_hi:[0,0,1]
	s_delay_alu instid0(VALU_DEP_2)
	v_mov_b32_e32 v37, v41
	ds_store_b64 v1, v[36:37] offset:19768
.LBB58_651:                             ;   in Loop: Header=BB58_3 Depth=1
	s_or_b32 exec_lo, exec_lo, s96
	v_mov_b32_e32 v36, 0
	s_wait_dscnt 0x0
	s_barrier_signal -1
	s_barrier_wait -1
	s_delay_alu instid0(VALU_DEP_1)
	v_mov_b32_e32 v37, v36
	s_and_saveexec_b32 s96, s3
	s_cbranch_execz .LBB58_661
; %bb.652:                              ;   in Loop: Header=BB58_3 Depth=1
	ds_load_b64 v[36:37], v55 offset:16704
	ds_load_b64 v[38:39], v52 offset:16640
	s_wait_dscnt 0x0
	v_dual_mul_f32 v0, v39, v37 :: v_dual_mul_f32 v40, v38, v37
	s_delay_alu instid0(VALU_DEP_1) | instskip(NEXT) | instid1(VALU_DEP_2)
	v_fma_f32 v0, v38, v36, -v0
	v_fmac_f32_e32 v40, v39, v36
	s_delay_alu instid0(VALU_DEP_2) | instskip(NEXT) | instid1(VALU_DEP_2)
	v_add_f32_e32 v37, 0, v0
	v_add_f32_e32 v36, 0, v40
	s_and_saveexec_b32 s6, s18
	s_cbranch_execnz .LBB58_1076
; %bb.653:                              ;   in Loop: Header=BB58_3 Depth=1
	s_or_b32 exec_lo, exec_lo, s6
	s_and_saveexec_b32 s6, s19
	s_cbranch_execnz .LBB58_1077
.LBB58_654:                             ;   in Loop: Header=BB58_3 Depth=1
	s_or_b32 exec_lo, exec_lo, s6
	s_and_saveexec_b32 s6, s20
	s_cbranch_execnz .LBB58_1078
.LBB58_655:                             ;   in Loop: Header=BB58_3 Depth=1
	s_or_b32 exec_lo, exec_lo, s6
	s_and_saveexec_b32 s6, s21
	s_cbranch_execnz .LBB58_1079
.LBB58_656:                             ;   in Loop: Header=BB58_3 Depth=1
	s_or_b32 exec_lo, exec_lo, s6
	s_and_saveexec_b32 s6, s22
	s_cbranch_execnz .LBB58_1080
.LBB58_657:                             ;   in Loop: Header=BB58_3 Depth=1
	s_or_b32 exec_lo, exec_lo, s6
	s_and_saveexec_b32 s6, s2
	s_cbranch_execnz .LBB58_1081
.LBB58_658:                             ;   in Loop: Header=BB58_3 Depth=1
	s_or_b32 exec_lo, exec_lo, s6
	s_and_saveexec_b32 s6, s17
	s_cbranch_execz .LBB58_660
.LBB58_659:                             ;   in Loop: Header=BB58_3 Depth=1
	ds_load_b64 v[38:39], v46 offset:20288
	ds_load_b64 v[40:41], v1 offset:16696
	s_wait_dscnt 0x0
	v_pk_mul_f32 v[80:81], v[40:41], v[38:39] op_sel:[0,1]
	s_delay_alu instid0(VALU_DEP_1) | instskip(SKIP_1) | instid1(VALU_DEP_2)
	v_pk_fma_f32 v[82:83], v[40:41], v[38:39], v[80:81] op_sel:[1,0,0] op_sel_hi:[0,0,1] neg_lo:[0,0,1] neg_hi:[0,0,1]
	v_pk_fma_f32 v[38:39], v[40:41], v[38:39], v[80:81] op_sel:[1,0,0] op_sel_hi:[0,1,1]
	v_mov_b32_e32 v39, v83
	s_delay_alu instid0(VALU_DEP_1)
	v_pk_add_f32 v[36:37], v[36:37], v[38:39]
.LBB58_660:                             ;   in Loop: Header=BB58_3 Depth=1
	s_or_b32 exec_lo, exec_lo, s6
	s_delay_alu instid0(VALU_DEP_1) | instskip(NEXT) | instid1(VALU_DEP_1)
	v_pk_add_f32 v[38:39], v[36:37], 0 neg_lo:[1,1] neg_hi:[1,1]
	v_dual_mov_b32 v36, v39 :: v_dual_mov_b32 v37, v38
.LBB58_661:                             ;   in Loop: Header=BB58_3 Depth=1
	s_or_b32 exec_lo, exec_lo, s96
	s_and_saveexec_b32 s6, s51
	s_cbranch_execz .LBB58_663
; %bb.662:                              ;   in Loop: Header=BB58_3 Depth=1
	ds_load_b64 v[38:39], v1 offset:20800
	v_dual_mov_b32 v40, v37 :: v_dual_mov_b32 v41, v36
	s_wait_dscnt 0x0
	s_delay_alu instid0(VALU_DEP_1) | instskip(NEXT) | instid1(VALU_DEP_1)
	v_dual_mul_f32 v0, v40, v38 :: v_dual_mul_f32 v80, v37, v39
	v_pk_fma_f32 v[40:41], v[40:41], v[38:39], v[0:1] op_sel_hi:[1,1,0]
	s_delay_alu instid0(VALU_DEP_2) | instskip(NEXT) | instid1(VALU_DEP_2)
	v_pk_fma_f32 v[36:37], v[36:37], v[38:39], v[80:81] op_sel_hi:[1,1,0] neg_lo:[0,0,1] neg_hi:[0,0,1]
	v_mov_b32_e32 v37, v41
	ds_store_b64 v54, v[36:37]
.LBB58_663:                             ;   in Loop: Header=BB58_3 Depth=1
	s_or_b32 exec_lo, exec_lo, s6
	s_wait_dscnt 0x0
	s_barrier_signal -1
	s_barrier_wait -1
	s_and_saveexec_b32 s6, s52
	s_cbranch_execz .LBB58_665
; %bb.664:                              ;   in Loop: Header=BB58_3 Depth=1
	ds_load_b64 v[38:39], v53 offset:20800
	ds_load_b64 v[40:41], v54
	s_wait_dscnt 0x0
	v_dual_mul_f32 v0, v41, v39 :: v_dual_mul_f32 v81, v40, v39
	s_delay_alu instid0(VALU_DEP_1) | instskip(NEXT) | instid1(VALU_DEP_1)
	v_dual_fma_f32 v80, v40, v38, -v0 :: v_dual_fmac_f32 v81, v41, v38
	v_pk_add_f32 v[36:37], v[36:37], v[80:81]
.LBB58_665:                             ;   in Loop: Header=BB58_3 Depth=1
	s_or_b32 exec_lo, exec_lo, s6
	s_barrier_signal -1
	s_barrier_wait -1
	s_and_saveexec_b32 s6, s53
	s_cbranch_execz .LBB58_667
; %bb.666:                              ;   in Loop: Header=BB58_3 Depth=1
	ds_load_b64 v[38:39], v1 offset:21320
	s_wait_dscnt 0x0
	v_pk_mul_f32 v[40:41], v[36:37], v[38:39] op_sel:[1,1] op_sel_hi:[1,0]
	s_delay_alu instid0(VALU_DEP_1) | instskip(SKIP_1) | instid1(VALU_DEP_2)
	v_pk_fma_f32 v[80:81], v[36:37], v[38:39], v[40:41] op_sel_hi:[0,1,1]
	v_pk_fma_f32 v[36:37], v[36:37], v[38:39], v[40:41] op_sel_hi:[0,1,1] neg_lo:[0,0,1] neg_hi:[0,0,1]
	v_mov_b32_e32 v37, v81
	ds_store_b64 v54, v[36:37]
.LBB58_667:                             ;   in Loop: Header=BB58_3 Depth=1
	s_or_b32 exec_lo, exec_lo, s6
	s_wait_dscnt 0x0
	s_barrier_signal -1
	s_barrier_wait -1
	s_and_saveexec_b32 s6, s54
	s_cbranch_execz .LBB58_669
; %bb.668:                              ;   in Loop: Header=BB58_3 Depth=1
	ds_load_b64 v[38:39], v53 offset:21312
	ds_load_b64 v[40:41], v54
	s_wait_dscnt 0x0
	v_pk_mul_f32 v[80:81], v[40:41], v[38:39] op_sel:[1,1] op_sel_hi:[0,1]
	s_delay_alu instid0(VALU_DEP_1) | instskip(SKIP_1) | instid1(VALU_DEP_2)
	v_pk_fma_f32 v[82:83], v[40:41], v[38:39], v[80:81] op_sel_hi:[1,0,1]
	v_pk_fma_f32 v[38:39], v[40:41], v[38:39], v[80:81] op_sel_hi:[1,0,1] neg_lo:[0,0,1] neg_hi:[0,0,1]
	v_mov_b32_e32 v39, v83
	s_delay_alu instid0(VALU_DEP_1)
	v_pk_add_f32 v[36:37], v[36:37], v[38:39]
.LBB58_669:                             ;   in Loop: Header=BB58_3 Depth=1
	s_or_b32 exec_lo, exec_lo, s6
	s_barrier_signal -1
	s_barrier_wait -1
	s_and_saveexec_b32 s6, s55
	s_cbranch_execz .LBB58_671
; %bb.670:                              ;   in Loop: Header=BB58_3 Depth=1
	ds_load_b64 v[38:39], v1 offset:21840
	s_wait_dscnt 0x0
	v_pk_mul_f32 v[40:41], v[36:37], v[38:39] op_sel:[1,1] op_sel_hi:[1,0]
	s_delay_alu instid0(VALU_DEP_1) | instskip(SKIP_1) | instid1(VALU_DEP_2)
	v_pk_fma_f32 v[80:81], v[36:37], v[38:39], v[40:41] op_sel_hi:[0,1,1]
	v_pk_fma_f32 v[36:37], v[36:37], v[38:39], v[40:41] op_sel_hi:[0,1,1] neg_lo:[0,0,1] neg_hi:[0,0,1]
	v_mov_b32_e32 v37, v81
	ds_store_b64 v54, v[36:37]
.LBB58_671:                             ;   in Loop: Header=BB58_3 Depth=1
	s_or_b32 exec_lo, exec_lo, s6
	s_wait_dscnt 0x0
	s_barrier_signal -1
	s_barrier_wait -1
	s_and_saveexec_b32 s6, s56
	s_cbranch_execz .LBB58_673
; %bb.672:                              ;   in Loop: Header=BB58_3 Depth=1
	ds_load_b64 v[38:39], v53 offset:21824
	ds_load_b64 v[40:41], v54
	s_wait_dscnt 0x0
	v_pk_mul_f32 v[80:81], v[40:41], v[38:39] op_sel:[1,1] op_sel_hi:[0,1]
	s_delay_alu instid0(VALU_DEP_1) | instskip(SKIP_1) | instid1(VALU_DEP_2)
	v_pk_fma_f32 v[82:83], v[40:41], v[38:39], v[80:81] op_sel_hi:[1,0,1]
	v_pk_fma_f32 v[38:39], v[40:41], v[38:39], v[80:81] op_sel_hi:[1,0,1] neg_lo:[0,0,1] neg_hi:[0,0,1]
	v_mov_b32_e32 v39, v83
	s_delay_alu instid0(VALU_DEP_1)
	v_pk_add_f32 v[36:37], v[36:37], v[38:39]
.LBB58_673:                             ;   in Loop: Header=BB58_3 Depth=1
	;; [unrolled: 33-line block ×3, first 2 shown]
	s_or_b32 exec_lo, exec_lo, s6
	s_barrier_signal -1
	s_barrier_wait -1
	s_and_saveexec_b32 s6, s59
	s_cbranch_execz .LBB58_679
; %bb.678:                              ;   in Loop: Header=BB58_3 Depth=1
	ds_load_b64 v[38:39], v1 offset:22880
	s_wait_dscnt 0x0
	v_dual_mul_f32 v0, v36, v39 :: v_dual_mul_f32 v40, v37, v39
	s_delay_alu instid0(VALU_DEP_1) | instskip(NEXT) | instid1(VALU_DEP_2)
	v_pk_fma_f32 v[80:81], v[36:37], v[38:39], v[0:1] op_sel:[0,1,0] op_sel_hi:[1,0,0]
	v_pk_fma_f32 v[38:39], v[36:37], v[38:39], v[40:41] op_sel_hi:[1,1,0] neg_lo:[0,0,1] neg_hi:[0,0,1]
	s_delay_alu instid0(VALU_DEP_2) | instskip(NEXT) | instid1(VALU_DEP_1)
	v_mov_b32_e32 v39, v81
	v_mov_b64_e32 v[36:37], v[38:39]
	ds_store_b64 v54, v[38:39]
.LBB58_679:                             ;   in Loop: Header=BB58_3 Depth=1
	s_or_b32 exec_lo, exec_lo, s6
	s_wait_dscnt 0x0
	s_barrier_signal -1
	s_barrier_wait -1
	s_and_saveexec_b32 s6, s60
	s_cbranch_execz .LBB58_681
; %bb.680:                              ;   in Loop: Header=BB58_3 Depth=1
	ds_load_b64 v[38:39], v53 offset:22848
	ds_load_b64 v[40:41], v54
	s_wait_dscnt 0x0
	v_dual_mul_f32 v0, v41, v39 :: v_dual_mul_f32 v81, v40, v39
	s_delay_alu instid0(VALU_DEP_1) | instskip(NEXT) | instid1(VALU_DEP_1)
	v_dual_fma_f32 v80, v40, v38, -v0 :: v_dual_fmac_f32 v81, v41, v38
	v_pk_add_f32 v[36:37], v[36:37], v[80:81]
.LBB58_681:                             ;   in Loop: Header=BB58_3 Depth=1
	s_or_b32 exec_lo, exec_lo, s6
	s_barrier_signal -1
	s_barrier_wait -1
	s_and_saveexec_b32 s6, s61
	s_cbranch_execz .LBB58_683
; %bb.682:                              ;   in Loop: Header=BB58_3 Depth=1
	ds_load_b64 v[38:39], v1 offset:23400
	s_wait_dscnt 0x0
	v_pk_mul_f32 v[40:41], v[36:37], v[38:39] op_sel:[1,1] op_sel_hi:[1,0]
	s_delay_alu instid0(VALU_DEP_1) | instskip(SKIP_1) | instid1(VALU_DEP_2)
	v_pk_fma_f32 v[80:81], v[36:37], v[38:39], v[40:41] op_sel_hi:[0,1,1]
	v_pk_fma_f32 v[38:39], v[36:37], v[38:39], v[40:41] neg_lo:[0,0,1] neg_hi:[0,0,1]
	v_mov_b32_e32 v39, v81
	s_delay_alu instid0(VALU_DEP_1)
	v_mov_b64_e32 v[36:37], v[38:39]
	ds_store_b64 v54, v[38:39]
.LBB58_683:                             ;   in Loop: Header=BB58_3 Depth=1
	s_or_b32 exec_lo, exec_lo, s6
	s_wait_dscnt 0x0
	s_barrier_signal -1
	s_barrier_wait -1
	s_and_saveexec_b32 s6, s62
	s_cbranch_execz .LBB58_685
; %bb.684:                              ;   in Loop: Header=BB58_3 Depth=1
	ds_load_b64 v[38:39], v53 offset:23360
	ds_load_b64 v[40:41], v54
	s_wait_dscnt 0x0
	v_pk_mul_f32 v[80:81], v[40:41], v[38:39] op_sel:[1,1] op_sel_hi:[0,1]
	s_delay_alu instid0(VALU_DEP_1) | instskip(SKIP_1) | instid1(VALU_DEP_2)
	v_pk_fma_f32 v[82:83], v[40:41], v[38:39], v[80:81] op_sel_hi:[1,0,1]
	v_pk_fma_f32 v[38:39], v[40:41], v[38:39], v[80:81] neg_lo:[0,0,1] neg_hi:[0,0,1]
	v_mov_b32_e32 v39, v83
	s_delay_alu instid0(VALU_DEP_1)
	v_pk_add_f32 v[36:37], v[36:37], v[38:39]
.LBB58_685:                             ;   in Loop: Header=BB58_3 Depth=1
	s_or_b32 exec_lo, exec_lo, s6
	s_barrier_signal -1
	s_barrier_wait -1
	s_and_saveexec_b32 s6, s63
	s_cbranch_execz .LBB58_687
; %bb.686:                              ;   in Loop: Header=BB58_3 Depth=1
	ds_load_b64 v[38:39], v1 offset:23920
	s_wait_dscnt 0x0
	v_pk_mul_f32 v[40:41], v[36:37], v[38:39] op_sel:[1,1] op_sel_hi:[1,0]
	s_delay_alu instid0(VALU_DEP_1) | instskip(SKIP_1) | instid1(VALU_DEP_2)
	v_pk_fma_f32 v[80:81], v[36:37], v[38:39], v[40:41] op_sel_hi:[0,1,1]
	v_pk_fma_f32 v[38:39], v[36:37], v[38:39], v[40:41] neg_lo:[0,0,1] neg_hi:[0,0,1]
	v_mov_b32_e32 v39, v81
	s_delay_alu instid0(VALU_DEP_1)
	v_mov_b64_e32 v[36:37], v[38:39]
	ds_store_b64 v54, v[38:39]
.LBB58_687:                             ;   in Loop: Header=BB58_3 Depth=1
	s_or_b32 exec_lo, exec_lo, s6
	s_wait_dscnt 0x0
	s_barrier_signal -1
	s_barrier_wait -1
	s_and_saveexec_b32 s6, s64
	s_cbranch_execz .LBB58_689
; %bb.688:                              ;   in Loop: Header=BB58_3 Depth=1
	ds_load_b64 v[38:39], v1 offset:23928
	ds_load_b64 v[40:41], v54
	s_wait_dscnt 0x0
	v_pk_mul_f32 v[80:81], v[40:41], v[38:39] op_sel:[1,1] op_sel_hi:[0,1]
	s_delay_alu instid0(VALU_DEP_1) | instskip(SKIP_1) | instid1(VALU_DEP_2)
	v_pk_fma_f32 v[82:83], v[40:41], v[38:39], v[80:81] op_sel_hi:[1,0,1]
	v_pk_fma_f32 v[38:39], v[40:41], v[38:39], v[80:81] neg_lo:[0,0,1] neg_hi:[0,0,1]
	v_mov_b32_e32 v39, v83
	s_delay_alu instid0(VALU_DEP_1)
	v_pk_add_f32 v[36:37], v[36:37], v[38:39]
.LBB58_689:                             ;   in Loop: Header=BB58_3 Depth=1
	s_or_b32 exec_lo, exec_lo, s6
	s_barrier_signal -1
	s_barrier_wait -1
	s_and_saveexec_b32 s6, s64
	s_cbranch_execz .LBB58_691
; %bb.690:                              ;   in Loop: Header=BB58_3 Depth=1
	ds_load_b64 v[38:39], v1 offset:24440
	s_wait_dscnt 0x0
	v_pk_mul_f32 v[40:41], v[36:37], v[38:39] op_sel:[1,1] op_sel_hi:[1,0]
	s_delay_alu instid0(VALU_DEP_1) | instskip(SKIP_1) | instid1(VALU_DEP_2)
	v_pk_fma_f32 v[80:81], v[36:37], v[38:39], v[40:41] op_sel_hi:[0,1,1]
	v_pk_fma_f32 v[38:39], v[36:37], v[38:39], v[40:41] neg_lo:[0,0,1] neg_hi:[0,0,1]
	v_mov_b32_e32 v39, v81
	s_delay_alu instid0(VALU_DEP_1)
	v_mov_b64_e32 v[36:37], v[38:39]
	ds_store_b64 v54, v[38:39]
.LBB58_691:                             ;   in Loop: Header=BB58_3 Depth=1
	s_or_b32 exec_lo, exec_lo, s6
	s_wait_dscnt 0x0
	s_barrier_signal -1
	s_barrier_wait -1
	s_barrier_signal -1
	s_barrier_wait -1
	s_and_saveexec_b32 s6, s3
; %bb.692:                              ;   in Loop: Header=BB58_3 Depth=1
	v_pk_add_f32 v[36:37], v[36:37], 0 neg_lo:[1,1] neg_hi:[1,1]
	ds_store_b64 v55, v[36:37] offset:16704
; %bb.693:                              ;   in Loop: Header=BB58_3 Depth=1
	s_or_b32 exec_lo, exec_lo, s6
	s_wait_dscnt 0x0
	s_barrier_signal -1
	s_barrier_wait -1
	s_barrier_signal -1
	s_barrier_wait -1
	s_and_saveexec_b32 s96, s14
	s_cbranch_execz .LBB58_695
; %bb.694:                              ;   in Loop: Header=BB58_3 Depth=1
	ds_load_b128 v[36:39], v1 offset:20800
	ds_load_b64 v[40:41], v1 offset:21320
	s_wait_dscnt 0x1
	v_dual_mov_b32 v80, v39 :: v_dual_mov_b32 v81, v38
	s_wait_dscnt 0x0
	v_dual_mul_f32 v79, v41, v37 :: v_dual_mul_f32 v0, v40, v37
	s_delay_alu instid0(VALU_DEP_1) | instskip(NEXT) | instid1(VALU_DEP_1)
	v_xor_b32_e32 v82, 0x80000000, v79
	v_dual_fmac_f32 v0, v41, v36 :: v_dual_fmac_f32 v82, v40, v36
	s_delay_alu instid0(VALU_DEP_1) | instskip(NEXT) | instid1(VALU_DEP_1)
	v_pk_mul_f32 v[36:37], v[0:1], v[80:81] op_sel_hi:[0,1]
	v_pk_fma_f32 v[40:41], v[82:83], v[38:39], v[36:37] op_sel_hi:[0,1,1]
	v_pk_fma_f32 v[36:37], v[82:83], v[38:39], v[36:37] neg_lo:[0,0,1] neg_hi:[0,0,1]
	s_delay_alu instid0(VALU_DEP_2)
	v_mov_b32_e32 v37, v41
	ds_store_b64 v1, v[36:37] offset:20808
.LBB58_695:                             ;   in Loop: Header=BB58_3 Depth=1
	s_or_b32 exec_lo, exec_lo, s96
	v_mov_b32_e32 v37, 0
	s_wait_dscnt 0x0
	s_barrier_signal -1
	s_barrier_wait -1
	s_delay_alu instid0(VALU_DEP_1)
	v_mov_b32_e32 v36, v37
	s_and_saveexec_b32 s96, s1
	s_cbranch_execz .LBB58_699
; %bb.696:                              ;   in Loop: Header=BB58_3 Depth=1
	ds_load_b64 v[36:37], v44 offset:20816
	ds_load_b64 v[38:39], v45 offset:20800
	s_wait_dscnt 0x0
	v_dual_mul_f32 v0, v39, v37 :: v_dual_mul_f32 v41, v38, v37
	s_delay_alu instid0(VALU_DEP_1) | instskip(NEXT) | instid1(VALU_DEP_1)
	v_dual_fma_f32 v40, v38, v36, -v0 :: v_dual_fmac_f32 v41, v39, v36
	v_pk_add_f32 v[36:37], v[40:41], 0 op_sel_hi:[1,0]
	s_and_saveexec_b32 s6, s15
	s_cbranch_execz .LBB58_698
; %bb.697:                              ;   in Loop: Header=BB58_3 Depth=1
	ds_load_b64 v[38:39], v46 offset:21328
	ds_load_b64 v[40:41], v1 offset:20808
	s_wait_dscnt 0x0
	v_pk_mul_f32 v[80:81], v[40:41], v[38:39] op_sel:[1,1] op_sel_hi:[0,1]
	s_delay_alu instid0(VALU_DEP_1) | instskip(SKIP_1) | instid1(VALU_DEP_2)
	v_pk_fma_f32 v[82:83], v[40:41], v[38:39], v[80:81] op_sel_hi:[1,0,1]
	v_pk_fma_f32 v[38:39], v[40:41], v[38:39], v[80:81] neg_lo:[0,0,1] neg_hi:[0,0,1]
	v_mov_b32_e32 v39, v83
	s_delay_alu instid0(VALU_DEP_1)
	v_pk_add_f32 v[36:37], v[36:37], v[38:39]
.LBB58_698:                             ;   in Loop: Header=BB58_3 Depth=1
	s_or_b32 exec_lo, exec_lo, s6
	s_delay_alu instid0(VALU_DEP_1)
	v_pk_add_f32 v[36:37], v[36:37], 0 neg_lo:[1,1] neg_hi:[1,1]
.LBB58_699:                             ;   in Loop: Header=BB58_3 Depth=1
	s_or_b32 exec_lo, exec_lo, s96
	s_and_saveexec_b32 s6, s43
	s_cbranch_execz .LBB58_701
; %bb.700:                              ;   in Loop: Header=BB58_3 Depth=1
	ds_load_b64 v[38:39], v1 offset:21840
	s_wait_dscnt 0x0
	v_pk_mul_f32 v[40:41], v[36:37], v[38:39] op_sel:[1,1] op_sel_hi:[1,0]
	s_delay_alu instid0(VALU_DEP_1) | instskip(SKIP_1) | instid1(VALU_DEP_2)
	v_pk_fma_f32 v[80:81], v[36:37], v[38:39], v[40:41] op_sel_hi:[0,1,1]
	v_pk_fma_f32 v[38:39], v[36:37], v[38:39], v[40:41] neg_lo:[0,0,1] neg_hi:[0,0,1]
	v_mov_b32_e32 v39, v81
	s_delay_alu instid0(VALU_DEP_1)
	v_mov_b64_e32 v[36:37], v[38:39]
	ds_store_b64 v3, v[38:39]
.LBB58_701:                             ;   in Loop: Header=BB58_3 Depth=1
	s_or_b32 exec_lo, exec_lo, s6
	s_wait_dscnt 0x0
	s_barrier_signal -1
	s_barrier_wait -1
	s_and_saveexec_b32 s6, s44
	s_cbranch_execz .LBB58_703
; %bb.702:                              ;   in Loop: Header=BB58_3 Depth=1
	ds_load_b64 v[38:39], v1 offset:21848
	ds_load_b64 v[40:41], v3
	s_wait_dscnt 0x0
	v_pk_mul_f32 v[80:81], v[40:41], v[38:39] op_sel:[1,1] op_sel_hi:[0,1]
	s_delay_alu instid0(VALU_DEP_1) | instskip(SKIP_1) | instid1(VALU_DEP_2)
	v_pk_fma_f32 v[82:83], v[40:41], v[38:39], v[80:81] op_sel_hi:[1,0,1]
	v_pk_fma_f32 v[38:39], v[40:41], v[38:39], v[80:81] neg_lo:[0,0,1] neg_hi:[0,0,1]
	v_mov_b32_e32 v39, v83
	s_delay_alu instid0(VALU_DEP_1)
	v_pk_add_f32 v[36:37], v[36:37], v[38:39]
.LBB58_703:                             ;   in Loop: Header=BB58_3 Depth=1
	s_or_b32 exec_lo, exec_lo, s6
	s_barrier_signal -1
	s_barrier_wait -1
	s_and_saveexec_b32 s6, s44
	s_cbranch_execz .LBB58_705
; %bb.704:                              ;   in Loop: Header=BB58_3 Depth=1
	ds_load_b64 v[38:39], v1 offset:22360
	s_wait_dscnt 0x0
	v_pk_mul_f32 v[40:41], v[36:37], v[38:39] op_sel:[1,1] op_sel_hi:[1,0]
	s_delay_alu instid0(VALU_DEP_1) | instskip(SKIP_1) | instid1(VALU_DEP_2)
	v_pk_fma_f32 v[80:81], v[36:37], v[38:39], v[40:41] op_sel_hi:[0,1,1]
	v_pk_fma_f32 v[38:39], v[36:37], v[38:39], v[40:41] neg_lo:[0,0,1] neg_hi:[0,0,1]
	v_mov_b32_e32 v39, v81
	s_delay_alu instid0(VALU_DEP_1)
	v_mov_b64_e32 v[36:37], v[38:39]
	ds_store_b64 v3, v[38:39]
.LBB58_705:                             ;   in Loop: Header=BB58_3 Depth=1
	s_or_b32 exec_lo, exec_lo, s6
	s_wait_dscnt 0x0
	s_barrier_signal -1
	s_barrier_wait -1
	s_barrier_signal -1
	s_barrier_wait -1
	s_and_saveexec_b32 s6, s1
; %bb.706:                              ;   in Loop: Header=BB58_3 Depth=1
	v_pk_add_f32 v[36:37], v[36:37], 0 neg_lo:[1,1] neg_hi:[1,1]
	ds_store_b64 v44, v[36:37] offset:20816
; %bb.707:                              ;   in Loop: Header=BB58_3 Depth=1
	s_or_b32 exec_lo, exec_lo, s6
	s_wait_dscnt 0x0
	s_barrier_signal -1
	s_barrier_wait -1
	s_barrier_signal -1
	s_barrier_wait -1
	s_and_saveexec_b32 s96, s14
	s_cbranch_execz .LBB58_709
; %bb.708:                              ;   in Loop: Header=BB58_3 Depth=1
	ds_load_b128 v[36:39], v1 offset:21840
	ds_load_b64 v[40:41], v1 offset:22360
	s_wait_dscnt 0x1
	v_dual_mov_b32 v80, v39 :: v_dual_mov_b32 v81, v38
	s_wait_dscnt 0x0
	v_dual_mul_f32 v79, v41, v37 :: v_dual_mul_f32 v0, v40, v37
	s_delay_alu instid0(VALU_DEP_1) | instskip(NEXT) | instid1(VALU_DEP_1)
	v_xor_b32_e32 v82, 0x80000000, v79
	v_dual_fmac_f32 v0, v41, v36 :: v_dual_fmac_f32 v82, v40, v36
	s_delay_alu instid0(VALU_DEP_1) | instskip(NEXT) | instid1(VALU_DEP_1)
	v_pk_mul_f32 v[36:37], v[0:1], v[80:81] op_sel_hi:[0,1]
	v_pk_fma_f32 v[40:41], v[82:83], v[38:39], v[36:37] op_sel_hi:[0,1,1]
	v_pk_fma_f32 v[36:37], v[82:83], v[38:39], v[36:37] neg_lo:[0,0,1] neg_hi:[0,0,1]
	s_delay_alu instid0(VALU_DEP_2)
	v_mov_b32_e32 v37, v41
	ds_store_b64 v1, v[36:37] offset:21848
.LBB58_709:                             ;   in Loop: Header=BB58_3 Depth=1
	s_or_b32 exec_lo, exec_lo, s96
	v_mov_b32_e32 v36, 0
	s_wait_dscnt 0x0
	s_barrier_signal -1
	s_barrier_wait -1
	s_delay_alu instid0(VALU_DEP_1)
	v_mov_b32_e32 v37, v36
	s_and_saveexec_b32 s96, s2
	s_cbranch_execz .LBB58_715
; %bb.710:                              ;   in Loop: Header=BB58_3 Depth=1
	ds_load_b64 v[36:37], v50 offset:20832
	ds_load_b64 v[38:39], v47 offset:20800
	s_wait_dscnt 0x0
	v_pk_mul_f32 v[40:41], v[38:39], v[36:37] op_sel:[0,1]
	s_delay_alu instid0(VALU_DEP_1) | instskip(SKIP_1) | instid1(VALU_DEP_2)
	v_pk_fma_f32 v[80:81], v[38:39], v[36:37], v[40:41] op_sel:[1,0,0] op_sel_hi:[0,0,1] neg_lo:[0,0,1] neg_hi:[0,0,1]
	v_pk_fma_f32 v[36:37], v[38:39], v[36:37], v[40:41] op_sel:[1,0,0] op_sel_hi:[0,1,1]
	v_mov_b32_e32 v37, v81
	s_delay_alu instid0(VALU_DEP_1)
	v_pk_add_f32 v[36:37], v[36:37], 0 op_sel_hi:[1,0]
	s_and_saveexec_b32 s6, s16
	s_cbranch_execnz .LBB58_1082
; %bb.711:                              ;   in Loop: Header=BB58_3 Depth=1
	s_or_b32 exec_lo, exec_lo, s6
	s_and_saveexec_b32 s6, s17
	s_cbranch_execnz .LBB58_1083
.LBB58_712:                             ;   in Loop: Header=BB58_3 Depth=1
	s_or_b32 exec_lo, exec_lo, s6
	s_and_saveexec_b32 s6, s1
	s_cbranch_execz .LBB58_714
.LBB58_713:                             ;   in Loop: Header=BB58_3 Depth=1
	ds_load_b64 v[38:39], v46 offset:22368
	ds_load_b64 v[40:41], v1 offset:20824
	s_wait_dscnt 0x0
	v_pk_mul_f32 v[80:81], v[40:41], v[38:39] op_sel:[0,1]
	s_delay_alu instid0(VALU_DEP_1) | instskip(SKIP_1) | instid1(VALU_DEP_2)
	v_pk_fma_f32 v[82:83], v[40:41], v[38:39], v[80:81] op_sel:[1,0,0] op_sel_hi:[0,0,1] neg_lo:[0,0,1] neg_hi:[0,0,1]
	v_pk_fma_f32 v[38:39], v[40:41], v[38:39], v[80:81] op_sel:[1,0,0] op_sel_hi:[0,1,1]
	v_mov_b32_e32 v39, v83
	s_delay_alu instid0(VALU_DEP_1)
	v_pk_add_f32 v[36:37], v[36:37], v[38:39]
.LBB58_714:                             ;   in Loop: Header=BB58_3 Depth=1
	s_or_b32 exec_lo, exec_lo, s6
	s_delay_alu instid0(VALU_DEP_1) | instskip(NEXT) | instid1(VALU_DEP_1)
	v_pk_add_f32 v[38:39], v[36:37], 0 neg_lo:[1,1] neg_hi:[1,1]
	v_dual_mov_b32 v36, v39 :: v_dual_mov_b32 v37, v38
.LBB58_715:                             ;   in Loop: Header=BB58_3 Depth=1
	s_or_b32 exec_lo, exec_lo, s96
	s_and_saveexec_b32 s6, s45
	s_cbranch_execz .LBB58_717
; %bb.716:                              ;   in Loop: Header=BB58_3 Depth=1
	ds_load_b64 v[38:39], v1 offset:22880
	v_dual_mov_b32 v40, v37 :: v_dual_mov_b32 v41, v36
	s_wait_dscnt 0x0
	s_delay_alu instid0(VALU_DEP_1) | instskip(NEXT) | instid1(VALU_DEP_1)
	v_dual_mul_f32 v0, v40, v38 :: v_dual_mul_f32 v80, v37, v39
	v_pk_fma_f32 v[40:41], v[40:41], v[38:39], v[0:1] op_sel_hi:[1,1,0]
	s_delay_alu instid0(VALU_DEP_2) | instskip(NEXT) | instid1(VALU_DEP_2)
	v_pk_fma_f32 v[36:37], v[36:37], v[38:39], v[80:81] op_sel_hi:[1,1,0] neg_lo:[0,0,1] neg_hi:[0,0,1]
	v_mov_b32_e32 v37, v41
	ds_store_b64 v48, v[36:37]
.LBB58_717:                             ;   in Loop: Header=BB58_3 Depth=1
	s_or_b32 exec_lo, exec_lo, s6
	s_wait_dscnt 0x0
	s_barrier_signal -1
	s_barrier_wait -1
	s_and_saveexec_b32 s6, s46
	s_cbranch_execz .LBB58_719
; %bb.718:                              ;   in Loop: Header=BB58_3 Depth=1
	ds_load_b64 v[38:39], v49 offset:22880
	ds_load_b64 v[40:41], v48
	s_wait_dscnt 0x0
	v_dual_mul_f32 v0, v41, v39 :: v_dual_mul_f32 v81, v40, v39
	s_delay_alu instid0(VALU_DEP_1) | instskip(NEXT) | instid1(VALU_DEP_1)
	v_dual_fma_f32 v80, v40, v38, -v0 :: v_dual_fmac_f32 v81, v41, v38
	v_pk_add_f32 v[36:37], v[36:37], v[80:81]
.LBB58_719:                             ;   in Loop: Header=BB58_3 Depth=1
	s_or_b32 exec_lo, exec_lo, s6
	s_barrier_signal -1
	s_barrier_wait -1
	s_and_saveexec_b32 s6, s47
	s_cbranch_execz .LBB58_721
; %bb.720:                              ;   in Loop: Header=BB58_3 Depth=1
	ds_load_b64 v[38:39], v1 offset:23400
	s_wait_dscnt 0x0
	v_pk_mul_f32 v[40:41], v[36:37], v[38:39] op_sel:[1,1] op_sel_hi:[1,0]
	s_delay_alu instid0(VALU_DEP_1) | instskip(SKIP_1) | instid1(VALU_DEP_2)
	v_pk_fma_f32 v[80:81], v[36:37], v[38:39], v[40:41] op_sel_hi:[0,1,1]
	v_pk_fma_f32 v[38:39], v[36:37], v[38:39], v[40:41] neg_lo:[0,0,1] neg_hi:[0,0,1]
	v_mov_b32_e32 v39, v81
	s_delay_alu instid0(VALU_DEP_1)
	v_mov_b64_e32 v[36:37], v[38:39]
	ds_store_b64 v48, v[38:39]
.LBB58_721:                             ;   in Loop: Header=BB58_3 Depth=1
	s_or_b32 exec_lo, exec_lo, s6
	s_wait_dscnt 0x0
	s_barrier_signal -1
	s_barrier_wait -1
	s_and_saveexec_b32 s6, s48
	s_cbranch_execz .LBB58_723
; %bb.722:                              ;   in Loop: Header=BB58_3 Depth=1
	ds_load_b64 v[38:39], v49 offset:23392
	ds_load_b64 v[40:41], v48
	s_wait_dscnt 0x0
	v_pk_mul_f32 v[80:81], v[40:41], v[38:39] op_sel:[1,1] op_sel_hi:[0,1]
	s_delay_alu instid0(VALU_DEP_1) | instskip(SKIP_1) | instid1(VALU_DEP_2)
	v_pk_fma_f32 v[82:83], v[40:41], v[38:39], v[80:81] op_sel_hi:[1,0,1]
	v_pk_fma_f32 v[38:39], v[40:41], v[38:39], v[80:81] neg_lo:[0,0,1] neg_hi:[0,0,1]
	v_mov_b32_e32 v39, v83
	s_delay_alu instid0(VALU_DEP_1)
	v_pk_add_f32 v[36:37], v[36:37], v[38:39]
.LBB58_723:                             ;   in Loop: Header=BB58_3 Depth=1
	s_or_b32 exec_lo, exec_lo, s6
	s_barrier_signal -1
	s_barrier_wait -1
	s_and_saveexec_b32 s6, s49
	s_cbranch_execz .LBB58_725
; %bb.724:                              ;   in Loop: Header=BB58_3 Depth=1
	ds_load_b64 v[38:39], v1 offset:23920
	s_wait_dscnt 0x0
	v_pk_mul_f32 v[40:41], v[36:37], v[38:39] op_sel:[1,1] op_sel_hi:[1,0]
	s_delay_alu instid0(VALU_DEP_1) | instskip(SKIP_1) | instid1(VALU_DEP_2)
	v_pk_fma_f32 v[80:81], v[36:37], v[38:39], v[40:41] op_sel_hi:[0,1,1]
	v_pk_fma_f32 v[38:39], v[36:37], v[38:39], v[40:41] neg_lo:[0,0,1] neg_hi:[0,0,1]
	v_mov_b32_e32 v39, v81
	s_delay_alu instid0(VALU_DEP_1)
	v_mov_b64_e32 v[36:37], v[38:39]
	ds_store_b64 v48, v[38:39]
.LBB58_725:                             ;   in Loop: Header=BB58_3 Depth=1
	s_or_b32 exec_lo, exec_lo, s6
	s_wait_dscnt 0x0
	s_barrier_signal -1
	s_barrier_wait -1
	s_and_saveexec_b32 s6, s50
	s_cbranch_execz .LBB58_727
; %bb.726:                              ;   in Loop: Header=BB58_3 Depth=1
	ds_load_b64 v[38:39], v1 offset:23928
	ds_load_b64 v[40:41], v48
	s_wait_dscnt 0x0
	v_pk_mul_f32 v[80:81], v[40:41], v[38:39] op_sel:[1,1] op_sel_hi:[0,1]
	s_delay_alu instid0(VALU_DEP_1) | instskip(SKIP_1) | instid1(VALU_DEP_2)
	v_pk_fma_f32 v[82:83], v[40:41], v[38:39], v[80:81] op_sel_hi:[1,0,1]
	v_pk_fma_f32 v[38:39], v[40:41], v[38:39], v[80:81] neg_lo:[0,0,1] neg_hi:[0,0,1]
	v_mov_b32_e32 v39, v83
	s_delay_alu instid0(VALU_DEP_1)
	v_pk_add_f32 v[36:37], v[36:37], v[38:39]
.LBB58_727:                             ;   in Loop: Header=BB58_3 Depth=1
	s_or_b32 exec_lo, exec_lo, s6
	s_barrier_signal -1
	s_barrier_wait -1
	s_and_saveexec_b32 s6, s50
	s_cbranch_execz .LBB58_729
; %bb.728:                              ;   in Loop: Header=BB58_3 Depth=1
	ds_load_b64 v[38:39], v1 offset:24440
	s_wait_dscnt 0x0
	v_pk_mul_f32 v[40:41], v[36:37], v[38:39] op_sel:[1,1] op_sel_hi:[1,0]
	s_delay_alu instid0(VALU_DEP_1) | instskip(SKIP_1) | instid1(VALU_DEP_2)
	v_pk_fma_f32 v[80:81], v[36:37], v[38:39], v[40:41] op_sel_hi:[0,1,1]
	v_pk_fma_f32 v[38:39], v[36:37], v[38:39], v[40:41] neg_lo:[0,0,1] neg_hi:[0,0,1]
	v_mov_b32_e32 v39, v81
	s_delay_alu instid0(VALU_DEP_1)
	v_mov_b64_e32 v[36:37], v[38:39]
	ds_store_b64 v48, v[38:39]
.LBB58_729:                             ;   in Loop: Header=BB58_3 Depth=1
	s_or_b32 exec_lo, exec_lo, s6
	s_wait_dscnt 0x0
	s_barrier_signal -1
	s_barrier_wait -1
	s_barrier_signal -1
	s_barrier_wait -1
	s_and_saveexec_b32 s6, s2
; %bb.730:                              ;   in Loop: Header=BB58_3 Depth=1
	v_pk_add_f32 v[36:37], v[36:37], 0 neg_lo:[1,1] neg_hi:[1,1]
	ds_store_b64 v50, v[36:37] offset:20832
; %bb.731:                              ;   in Loop: Header=BB58_3 Depth=1
	s_or_b32 exec_lo, exec_lo, s6
	s_wait_dscnt 0x0
	s_barrier_signal -1
	s_barrier_wait -1
	s_barrier_signal -1
	s_barrier_wait -1
	s_and_saveexec_b32 s96, s14
	s_cbranch_execz .LBB58_733
; %bb.732:                              ;   in Loop: Header=BB58_3 Depth=1
	ds_load_b128 v[36:39], v1 offset:22880
	ds_load_b64 v[40:41], v1 offset:23400
	s_wait_dscnt 0x1
	v_dual_mov_b32 v80, v39 :: v_dual_mov_b32 v81, v38
	s_wait_dscnt 0x0
	v_dual_mul_f32 v79, v41, v37 :: v_dual_mul_f32 v0, v40, v37
	s_delay_alu instid0(VALU_DEP_1) | instskip(NEXT) | instid1(VALU_DEP_1)
	v_xor_b32_e32 v82, 0x80000000, v79
	v_dual_fmac_f32 v0, v41, v36 :: v_dual_fmac_f32 v82, v40, v36
	s_delay_alu instid0(VALU_DEP_1) | instskip(NEXT) | instid1(VALU_DEP_1)
	v_pk_mul_f32 v[36:37], v[0:1], v[80:81] op_sel_hi:[0,1]
	v_pk_fma_f32 v[40:41], v[82:83], v[38:39], v[36:37] op_sel_hi:[0,1,1]
	v_pk_fma_f32 v[36:37], v[82:83], v[38:39], v[36:37] neg_lo:[0,0,1] neg_hi:[0,0,1]
	s_delay_alu instid0(VALU_DEP_2)
	v_mov_b32_e32 v37, v41
	ds_store_b64 v1, v[36:37] offset:22888
.LBB58_733:                             ;   in Loop: Header=BB58_3 Depth=1
	s_or_b32 exec_lo, exec_lo, s96
	v_mov_b32_e32 v37, 0
	s_wait_dscnt 0x0
	s_barrier_signal -1
	s_barrier_wait -1
	s_delay_alu instid0(VALU_DEP_1)
	v_mov_b32_e32 v36, v37
	s_and_saveexec_b32 s96, s1
	s_cbranch_execz .LBB58_737
; %bb.734:                              ;   in Loop: Header=BB58_3 Depth=1
	ds_load_b64 v[36:37], v44 offset:22896
	ds_load_b64 v[38:39], v45 offset:22880
	s_wait_dscnt 0x0
	v_dual_mul_f32 v0, v39, v37 :: v_dual_mul_f32 v41, v38, v37
	s_delay_alu instid0(VALU_DEP_1) | instskip(NEXT) | instid1(VALU_DEP_1)
	v_dual_fma_f32 v40, v38, v36, -v0 :: v_dual_fmac_f32 v41, v39, v36
	v_pk_add_f32 v[36:37], v[40:41], 0 op_sel_hi:[1,0]
	s_and_saveexec_b32 s6, s15
	s_cbranch_execz .LBB58_736
; %bb.735:                              ;   in Loop: Header=BB58_3 Depth=1
	ds_load_b64 v[38:39], v46 offset:23408
	ds_load_b64 v[40:41], v1 offset:22888
	s_wait_dscnt 0x0
	v_pk_mul_f32 v[80:81], v[40:41], v[38:39] op_sel:[1,1] op_sel_hi:[0,1]
	s_delay_alu instid0(VALU_DEP_1) | instskip(SKIP_1) | instid1(VALU_DEP_2)
	v_pk_fma_f32 v[82:83], v[40:41], v[38:39], v[80:81] op_sel_hi:[1,0,1]
	v_pk_fma_f32 v[38:39], v[40:41], v[38:39], v[80:81] neg_lo:[0,0,1] neg_hi:[0,0,1]
	v_mov_b32_e32 v39, v83
	s_delay_alu instid0(VALU_DEP_1)
	v_pk_add_f32 v[36:37], v[36:37], v[38:39]
.LBB58_736:                             ;   in Loop: Header=BB58_3 Depth=1
	s_or_b32 exec_lo, exec_lo, s6
	s_delay_alu instid0(VALU_DEP_1)
	v_pk_add_f32 v[36:37], v[36:37], 0 neg_lo:[1,1] neg_hi:[1,1]
.LBB58_737:                             ;   in Loop: Header=BB58_3 Depth=1
	s_or_b32 exec_lo, exec_lo, s96
	s_and_saveexec_b32 s6, s43
	s_cbranch_execz .LBB58_739
; %bb.738:                              ;   in Loop: Header=BB58_3 Depth=1
	ds_load_b64 v[38:39], v1 offset:23920
	s_wait_dscnt 0x0
	v_pk_mul_f32 v[40:41], v[36:37], v[38:39] op_sel:[1,1] op_sel_hi:[1,0]
	s_delay_alu instid0(VALU_DEP_1) | instskip(SKIP_1) | instid1(VALU_DEP_2)
	v_pk_fma_f32 v[80:81], v[36:37], v[38:39], v[40:41] op_sel_hi:[0,1,1]
	v_pk_fma_f32 v[38:39], v[36:37], v[38:39], v[40:41] neg_lo:[0,0,1] neg_hi:[0,0,1]
	v_mov_b32_e32 v39, v81
	s_delay_alu instid0(VALU_DEP_1)
	v_mov_b64_e32 v[36:37], v[38:39]
	ds_store_b64 v3, v[38:39]
.LBB58_739:                             ;   in Loop: Header=BB58_3 Depth=1
	s_or_b32 exec_lo, exec_lo, s6
	s_wait_dscnt 0x0
	s_barrier_signal -1
	s_barrier_wait -1
	s_and_saveexec_b32 s6, s44
	s_cbranch_execz .LBB58_741
; %bb.740:                              ;   in Loop: Header=BB58_3 Depth=1
	ds_load_b64 v[38:39], v1 offset:23928
	ds_load_b64 v[40:41], v3
	s_wait_dscnt 0x0
	v_pk_mul_f32 v[80:81], v[40:41], v[38:39] op_sel:[1,1] op_sel_hi:[0,1]
	s_delay_alu instid0(VALU_DEP_1) | instskip(SKIP_1) | instid1(VALU_DEP_2)
	v_pk_fma_f32 v[82:83], v[40:41], v[38:39], v[80:81] op_sel_hi:[1,0,1]
	v_pk_fma_f32 v[38:39], v[40:41], v[38:39], v[80:81] neg_lo:[0,0,1] neg_hi:[0,0,1]
	v_mov_b32_e32 v39, v83
	s_delay_alu instid0(VALU_DEP_1)
	v_pk_add_f32 v[36:37], v[36:37], v[38:39]
.LBB58_741:                             ;   in Loop: Header=BB58_3 Depth=1
	s_or_b32 exec_lo, exec_lo, s6
	s_barrier_signal -1
	s_barrier_wait -1
	s_and_saveexec_b32 s6, s44
	s_cbranch_execz .LBB58_743
; %bb.742:                              ;   in Loop: Header=BB58_3 Depth=1
	ds_load_b64 v[38:39], v1 offset:24440
	s_wait_dscnt 0x0
	v_pk_mul_f32 v[40:41], v[36:37], v[38:39] op_sel:[1,1] op_sel_hi:[1,0]
	s_delay_alu instid0(VALU_DEP_1) | instskip(SKIP_1) | instid1(VALU_DEP_2)
	v_pk_fma_f32 v[80:81], v[36:37], v[38:39], v[40:41] op_sel_hi:[0,1,1]
	v_pk_fma_f32 v[38:39], v[36:37], v[38:39], v[40:41] neg_lo:[0,0,1] neg_hi:[0,0,1]
	v_mov_b32_e32 v39, v81
	s_delay_alu instid0(VALU_DEP_1)
	v_mov_b64_e32 v[36:37], v[38:39]
	ds_store_b64 v3, v[38:39]
.LBB58_743:                             ;   in Loop: Header=BB58_3 Depth=1
	s_or_b32 exec_lo, exec_lo, s6
	s_wait_dscnt 0x0
	s_barrier_signal -1
	s_barrier_wait -1
	s_barrier_signal -1
	s_barrier_wait -1
	s_and_saveexec_b32 s6, s1
; %bb.744:                              ;   in Loop: Header=BB58_3 Depth=1
	v_pk_add_f32 v[36:37], v[36:37], 0 neg_lo:[1,1] neg_hi:[1,1]
	ds_store_b64 v44, v[36:37] offset:22896
; %bb.745:                              ;   in Loop: Header=BB58_3 Depth=1
	s_or_b32 exec_lo, exec_lo, s6
	s_wait_dscnt 0x0
	s_barrier_signal -1
	s_barrier_wait -1
	s_barrier_signal -1
	s_barrier_wait -1
	s_and_saveexec_b32 s96, s14
	s_cbranch_execz .LBB58_747
; %bb.746:                              ;   in Loop: Header=BB58_3 Depth=1
	ds_load_b128 v[36:39], v1 offset:23920
	ds_load_b64 v[40:41], v1 offset:24440
	s_wait_dscnt 0x1
	v_dual_mov_b32 v80, v39 :: v_dual_mov_b32 v81, v38
	s_wait_dscnt 0x0
	v_dual_mul_f32 v79, v41, v37 :: v_dual_mul_f32 v0, v40, v37
	s_delay_alu instid0(VALU_DEP_1) | instskip(NEXT) | instid1(VALU_DEP_1)
	v_xor_b32_e32 v82, 0x80000000, v79
	v_dual_fmac_f32 v0, v41, v36 :: v_dual_fmac_f32 v82, v40, v36
	s_delay_alu instid0(VALU_DEP_1) | instskip(NEXT) | instid1(VALU_DEP_1)
	v_pk_mul_f32 v[36:37], v[0:1], v[80:81] op_sel_hi:[0,1]
	v_pk_fma_f32 v[40:41], v[82:83], v[38:39], v[36:37] op_sel_hi:[0,1,1]
	v_pk_fma_f32 v[36:37], v[82:83], v[38:39], v[36:37] neg_lo:[0,0,1] neg_hi:[0,0,1]
	s_delay_alu instid0(VALU_DEP_2)
	v_mov_b32_e32 v37, v41
	ds_store_b64 v1, v[36:37] offset:23928
.LBB58_747:                             ;   in Loop: Header=BB58_3 Depth=1
	s_or_b32 exec_lo, exec_lo, s96
	v_mov_b32_e32 v36, 0
	s_wait_dscnt 0x0
	s_barrier_signal -1
	s_barrier_wait -1
	s_delay_alu instid0(VALU_DEP_1)
	v_mov_b32_e32 v37, v36
	s_and_saveexec_b32 s96, s4
	s_cbranch_execz .LBB58_775
; %bb.748:                              ;   in Loop: Header=BB58_3 Depth=1
	ds_load_b64 v[36:37], v60 offset:16768
	ds_load_b64 v[38:39], v57 offset:16640
	v_readlane_b32 s7, v90, 29
	s_wait_dscnt 0x0
	v_dual_mul_f32 v0, v39, v37 :: v_dual_mul_f32 v40, v38, v37
	s_delay_alu instid0(VALU_DEP_1) | instskip(NEXT) | instid1(VALU_DEP_2)
	v_fma_f32 v0, v38, v36, -v0
	v_fmac_f32_e32 v40, v39, v36
	s_delay_alu instid0(VALU_DEP_2) | instskip(NEXT) | instid1(VALU_DEP_2)
	v_add_f32_e32 v37, 0, v0
	v_add_f32_e32 v36, 0, v40
	s_and_saveexec_b32 s6, s7
	s_cbranch_execz .LBB58_750
; %bb.749:                              ;   in Loop: Header=BB58_3 Depth=1
	ds_load_b64 v[38:39], v61 offset:17280
	ds_load_b64 v[40:41], v57 offset:16648
	s_wait_dscnt 0x0
	v_dual_mul_f32 v0, v41, v39 :: v_dual_mul_f32 v39, v40, v39
	s_delay_alu instid0(VALU_DEP_1) | instskip(NEXT) | instid1(VALU_DEP_1)
	v_dual_fma_f32 v0, v40, v38, -v0 :: v_dual_fmac_f32 v39, v41, v38
	v_dual_add_f32 v37, v37, v0 :: v_dual_add_f32 v36, v36, v39
.LBB58_750:                             ;   in Loop: Header=BB58_3 Depth=1
	s_or_b32 exec_lo, exec_lo, s6
	v_readlane_b32 s7, v90, 30
	s_and_saveexec_b32 s6, s7
	s_cbranch_execz .LBB58_752
; %bb.751:                              ;   in Loop: Header=BB58_3 Depth=1
	ds_load_b64 v[38:39], v61 offset:17792
	ds_load_b64 v[40:41], v57 offset:16656
	s_wait_dscnt 0x0
	v_dual_mul_f32 v0, v41, v39 :: v_dual_mul_f32 v39, v40, v39
	s_delay_alu instid0(VALU_DEP_1) | instskip(NEXT) | instid1(VALU_DEP_1)
	v_dual_fma_f32 v0, v40, v38, -v0 :: v_dual_fmac_f32 v39, v41, v38
	v_dual_add_f32 v37, v37, v0 :: v_dual_add_f32 v36, v36, v39
.LBB58_752:                             ;   in Loop: Header=BB58_3 Depth=1
	s_or_b32 exec_lo, exec_lo, s6
	v_readlane_b32 s7, v90, 31
	;; [unrolled: 13-line block ×8, first 2 shown]
	s_and_saveexec_b32 s6, s7
	s_cbranch_execz .LBB58_766
; %bb.765:                              ;   in Loop: Header=BB58_3 Depth=1
	ds_load_b64 v[38:39], v61 offset:21376
	ds_load_b64 v[40:41], v57 offset:16712
	s_wait_dscnt 0x0
	v_dual_mul_f32 v0, v41, v39 :: v_dual_mul_f32 v39, v40, v39
	s_delay_alu instid0(VALU_DEP_1) | instskip(NEXT) | instid1(VALU_DEP_1)
	v_dual_fma_f32 v0, v40, v38, -v0 :: v_dual_fmac_f32 v39, v41, v38
	v_dual_add_f32 v37, v37, v0 :: v_dual_add_f32 v36, v36, v39
.LBB58_766:                             ;   in Loop: Header=BB58_3 Depth=1
	s_or_b32 exec_lo, exec_lo, s6
	s_and_saveexec_b32 s6, s11
	s_cbranch_execz .LBB58_768
; %bb.767:                              ;   in Loop: Header=BB58_3 Depth=1
	ds_load_b64 v[38:39], v61 offset:21888
	ds_load_b64 v[40:41], v57 offset:16720
	s_wait_dscnt 0x0
	v_dual_mul_f32 v0, v41, v39 :: v_dual_mul_f32 v39, v40, v39
	s_delay_alu instid0(VALU_DEP_1) | instskip(NEXT) | instid1(VALU_DEP_1)
	v_dual_fma_f32 v0, v40, v38, -v0 :: v_dual_fmac_f32 v39, v41, v38
	v_dual_add_f32 v37, v37, v0 :: v_dual_add_f32 v36, v36, v39
.LBB58_768:                             ;   in Loop: Header=BB58_3 Depth=1
	s_or_b32 exec_lo, exec_lo, s6
	v_readlane_b32 s7, v89, 6
	s_and_saveexec_b32 s6, s7
	s_cbranch_execnz .LBB58_1084
; %bb.769:                              ;   in Loop: Header=BB58_3 Depth=1
	s_or_b32 exec_lo, exec_lo, s6
	s_and_saveexec_b32 s6, s3
	s_cbranch_execnz .LBB58_1085
.LBB58_770:                             ;   in Loop: Header=BB58_3 Depth=1
	s_or_b32 exec_lo, exec_lo, s6
	s_and_saveexec_b32 s6, s19
	s_cbranch_execnz .LBB58_1086
.LBB58_771:                             ;   in Loop: Header=BB58_3 Depth=1
	s_or_b32 exec_lo, exec_lo, s6
	s_and_saveexec_b32 s6, s21
	s_cbranch_execnz .LBB58_1087
.LBB58_772:                             ;   in Loop: Header=BB58_3 Depth=1
	s_or_b32 exec_lo, exec_lo, s6
	s_and_saveexec_b32 s6, s2
	s_cbranch_execz .LBB58_774
.LBB58_773:                             ;   in Loop: Header=BB58_3 Depth=1
	ds_load_b64 v[38:39], v46 offset:24448
	ds_load_b64 v[40:41], v1 offset:16760
	s_wait_dscnt 0x0
	v_pk_mul_f32 v[80:81], v[40:41], v[38:39] op_sel:[0,1]
	s_delay_alu instid0(VALU_DEP_1) | instskip(SKIP_1) | instid1(VALU_DEP_2)
	v_pk_fma_f32 v[82:83], v[40:41], v[38:39], v[80:81] op_sel:[1,0,0] op_sel_hi:[0,0,1] neg_lo:[0,0,1] neg_hi:[0,0,1]
	v_pk_fma_f32 v[38:39], v[40:41], v[38:39], v[80:81] op_sel:[1,0,0] op_sel_hi:[0,1,1]
	v_mov_b32_e32 v39, v83
	s_delay_alu instid0(VALU_DEP_1)
	v_pk_add_f32 v[36:37], v[36:37], v[38:39]
.LBB58_774:                             ;   in Loop: Header=BB58_3 Depth=1
	s_or_b32 exec_lo, exec_lo, s6
	s_delay_alu instid0(VALU_DEP_1) | instskip(NEXT) | instid1(VALU_DEP_1)
	v_pk_add_f32 v[38:39], v[36:37], 0 neg_lo:[1,1] neg_hi:[1,1]
	v_dual_mov_b32 v36, v39 :: v_dual_mov_b32 v37, v38
.LBB58_775:                             ;   in Loop: Header=BB58_3 Depth=1
	s_or_b32 exec_lo, exec_lo, s96
	v_readlane_b32 s7, v90, 5
	s_and_saveexec_b32 s6, s7
	s_cbranch_execz .LBB58_777
; %bb.776:                              ;   in Loop: Header=BB58_3 Depth=1
	ds_load_b64 v[38:39], v1 offset:24960
	v_dual_mov_b32 v40, v37 :: v_dual_mov_b32 v41, v36
	s_wait_dscnt 0x0
	s_delay_alu instid0(VALU_DEP_1) | instskip(NEXT) | instid1(VALU_DEP_1)
	v_dual_mul_f32 v0, v40, v38 :: v_dual_mul_f32 v80, v37, v39
	v_pk_fma_f32 v[40:41], v[40:41], v[38:39], v[0:1] op_sel_hi:[1,1,0]
	s_delay_alu instid0(VALU_DEP_2) | instskip(NEXT) | instid1(VALU_DEP_2)
	v_pk_fma_f32 v[36:37], v[36:37], v[38:39], v[80:81] op_sel_hi:[1,1,0] neg_lo:[0,0,1] neg_hi:[0,0,1]
	v_mov_b32_e32 v37, v41
	ds_store_b64 v59, v[36:37]
.LBB58_777:                             ;   in Loop: Header=BB58_3 Depth=1
	s_or_b32 exec_lo, exec_lo, s6
	v_readlane_b32 s7, v90, 6
	s_wait_dscnt 0x0
	s_barrier_signal -1
	s_barrier_wait -1
	s_and_saveexec_b32 s6, s7
	s_cbranch_execz .LBB58_779
; %bb.778:                              ;   in Loop: Header=BB58_3 Depth=1
	ds_load_b64 v[38:39], v58 offset:24960
	ds_load_b64 v[40:41], v59
	s_wait_dscnt 0x0
	v_dual_mul_f32 v0, v41, v39 :: v_dual_mul_f32 v81, v40, v39
	s_delay_alu instid0(VALU_DEP_1) | instskip(NEXT) | instid1(VALU_DEP_1)
	v_dual_fma_f32 v80, v40, v38, -v0 :: v_dual_fmac_f32 v81, v41, v38
	v_pk_add_f32 v[36:37], v[36:37], v[80:81]
.LBB58_779:                             ;   in Loop: Header=BB58_3 Depth=1
	s_or_b32 exec_lo, exec_lo, s6
	v_readlane_b32 s7, v90, 7
	s_barrier_signal -1
	s_barrier_wait -1
	s_and_saveexec_b32 s6, s7
	s_cbranch_execz .LBB58_781
; %bb.780:                              ;   in Loop: Header=BB58_3 Depth=1
	ds_load_b64 v[38:39], v1 offset:25480
	s_wait_dscnt 0x0
	v_pk_mul_f32 v[40:41], v[36:37], v[38:39] op_sel:[1,1] op_sel_hi:[1,0]
	s_delay_alu instid0(VALU_DEP_1) | instskip(SKIP_1) | instid1(VALU_DEP_2)
	v_pk_fma_f32 v[80:81], v[36:37], v[38:39], v[40:41] op_sel_hi:[0,1,1]
	v_pk_fma_f32 v[36:37], v[36:37], v[38:39], v[40:41] op_sel_hi:[0,1,1] neg_lo:[0,0,1] neg_hi:[0,0,1]
	v_mov_b32_e32 v37, v81
	ds_store_b64 v59, v[36:37]
.LBB58_781:                             ;   in Loop: Header=BB58_3 Depth=1
	s_or_b32 exec_lo, exec_lo, s6
	v_readlane_b32 s7, v90, 8
	s_wait_dscnt 0x0
	s_barrier_signal -1
	s_barrier_wait -1
	s_and_saveexec_b32 s6, s7
	s_cbranch_execz .LBB58_783
; %bb.782:                              ;   in Loop: Header=BB58_3 Depth=1
	ds_load_b64 v[38:39], v58 offset:25472
	ds_load_b64 v[40:41], v59
	s_wait_dscnt 0x0
	v_pk_mul_f32 v[80:81], v[40:41], v[38:39] op_sel:[1,1] op_sel_hi:[0,1]
	s_delay_alu instid0(VALU_DEP_1) | instskip(SKIP_1) | instid1(VALU_DEP_2)
	v_pk_fma_f32 v[82:83], v[40:41], v[38:39], v[80:81] op_sel_hi:[1,0,1]
	v_pk_fma_f32 v[38:39], v[40:41], v[38:39], v[80:81] op_sel_hi:[1,0,1] neg_lo:[0,0,1] neg_hi:[0,0,1]
	v_mov_b32_e32 v39, v83
	s_delay_alu instid0(VALU_DEP_1)
	v_pk_add_f32 v[36:37], v[36:37], v[38:39]
.LBB58_783:                             ;   in Loop: Header=BB58_3 Depth=1
	s_or_b32 exec_lo, exec_lo, s6
	s_barrier_signal -1
	s_barrier_wait -1
	s_and_saveexec_b32 s6, s69
	s_cbranch_execz .LBB58_785
; %bb.784:                              ;   in Loop: Header=BB58_3 Depth=1
	ds_load_b64 v[38:39], v1 offset:26000
	s_wait_dscnt 0x0
	v_pk_mul_f32 v[40:41], v[36:37], v[38:39] op_sel:[1,1] op_sel_hi:[1,0]
	s_delay_alu instid0(VALU_DEP_1) | instskip(SKIP_1) | instid1(VALU_DEP_2)
	v_pk_fma_f32 v[80:81], v[36:37], v[38:39], v[40:41] op_sel_hi:[0,1,1]
	v_pk_fma_f32 v[36:37], v[36:37], v[38:39], v[40:41] op_sel_hi:[0,1,1] neg_lo:[0,0,1] neg_hi:[0,0,1]
	v_mov_b32_e32 v37, v81
	ds_store_b64 v59, v[36:37]
.LBB58_785:                             ;   in Loop: Header=BB58_3 Depth=1
	s_or_b32 exec_lo, exec_lo, s6
	s_wait_dscnt 0x0
	s_barrier_signal -1
	s_barrier_wait -1
	s_and_saveexec_b32 s6, s12
	s_cbranch_execz .LBB58_787
; %bb.786:                              ;   in Loop: Header=BB58_3 Depth=1
	ds_load_b64 v[38:39], v58 offset:25984
	ds_load_b64 v[40:41], v59
	s_wait_dscnt 0x0
	v_pk_mul_f32 v[80:81], v[40:41], v[38:39] op_sel:[1,1] op_sel_hi:[0,1]
	s_delay_alu instid0(VALU_DEP_1) | instskip(SKIP_1) | instid1(VALU_DEP_2)
	v_pk_fma_f32 v[82:83], v[40:41], v[38:39], v[80:81] op_sel_hi:[1,0,1]
	v_pk_fma_f32 v[38:39], v[40:41], v[38:39], v[80:81] op_sel_hi:[1,0,1] neg_lo:[0,0,1] neg_hi:[0,0,1]
	v_mov_b32_e32 v39, v83
	s_delay_alu instid0(VALU_DEP_1)
	v_pk_add_f32 v[36:37], v[36:37], v[38:39]
.LBB58_787:                             ;   in Loop: Header=BB58_3 Depth=1
	s_or_b32 exec_lo, exec_lo, s6
	s_barrier_signal -1
	s_barrier_wait -1
	s_and_saveexec_b32 s6, s13
	s_cbranch_execz .LBB58_789
; %bb.788:                              ;   in Loop: Header=BB58_3 Depth=1
	ds_load_b64 v[38:39], v1 offset:26520
	s_wait_dscnt 0x0
	v_pk_mul_f32 v[40:41], v[36:37], v[38:39] op_sel:[1,1] op_sel_hi:[1,0]
	s_delay_alu instid0(VALU_DEP_1) | instskip(SKIP_1) | instid1(VALU_DEP_2)
	v_pk_fma_f32 v[80:81], v[36:37], v[38:39], v[40:41] op_sel_hi:[0,1,1]
	v_pk_fma_f32 v[36:37], v[36:37], v[38:39], v[40:41] op_sel_hi:[0,1,1] neg_lo:[0,0,1] neg_hi:[0,0,1]
	v_mov_b32_e32 v37, v81
	ds_store_b64 v59, v[36:37]
.LBB58_789:                             ;   in Loop: Header=BB58_3 Depth=1
	s_or_b32 exec_lo, exec_lo, s6
	s_wait_dscnt 0x0
	s_barrier_signal -1
	s_barrier_wait -1
	s_and_saveexec_b32 s6, s23
	s_cbranch_execz .LBB58_791
; %bb.790:                              ;   in Loop: Header=BB58_3 Depth=1
	ds_load_b64 v[38:39], v58 offset:26496
	ds_load_b64 v[40:41], v59
	s_wait_dscnt 0x0
	v_pk_mul_f32 v[80:81], v[40:41], v[38:39] op_sel:[1,1] op_sel_hi:[0,1]
	s_delay_alu instid0(VALU_DEP_1) | instskip(SKIP_1) | instid1(VALU_DEP_2)
	v_pk_fma_f32 v[82:83], v[40:41], v[38:39], v[80:81] op_sel_hi:[1,0,1]
	v_pk_fma_f32 v[38:39], v[40:41], v[38:39], v[80:81] op_sel_hi:[1,0,1] neg_lo:[0,0,1] neg_hi:[0,0,1]
	v_mov_b32_e32 v39, v83
	s_delay_alu instid0(VALU_DEP_1)
	v_pk_add_f32 v[36:37], v[36:37], v[38:39]
.LBB58_791:                             ;   in Loop: Header=BB58_3 Depth=1
	s_or_b32 exec_lo, exec_lo, s6
	s_barrier_signal -1
	s_barrier_wait -1
	s_and_saveexec_b32 s6, s25
	s_cbranch_execz .LBB58_793
; %bb.792:                              ;   in Loop: Header=BB58_3 Depth=1
	ds_load_b64 v[38:39], v1 offset:27040
	s_wait_dscnt 0x0
	v_dual_mul_f32 v0, v36, v39 :: v_dual_mul_f32 v40, v37, v39
	s_delay_alu instid0(VALU_DEP_1) | instskip(NEXT) | instid1(VALU_DEP_2)
	v_pk_fma_f32 v[80:81], v[36:37], v[38:39], v[0:1] op_sel:[0,1,0] op_sel_hi:[1,0,0]
	v_pk_fma_f32 v[38:39], v[36:37], v[38:39], v[40:41] op_sel_hi:[1,1,0] neg_lo:[0,0,1] neg_hi:[0,0,1]
	s_delay_alu instid0(VALU_DEP_2) | instskip(NEXT) | instid1(VALU_DEP_1)
	v_mov_b32_e32 v39, v81
	v_mov_b64_e32 v[36:37], v[38:39]
	ds_store_b64 v59, v[38:39]
.LBB58_793:                             ;   in Loop: Header=BB58_3 Depth=1
	s_or_b32 exec_lo, exec_lo, s6
	s_wait_dscnt 0x0
	s_barrier_signal -1
	s_barrier_wait -1
	s_and_saveexec_b32 s6, s27
	s_cbranch_execz .LBB58_795
; %bb.794:                              ;   in Loop: Header=BB58_3 Depth=1
	ds_load_b64 v[38:39], v58 offset:27008
	ds_load_b64 v[40:41], v59
	s_wait_dscnt 0x0
	v_dual_mul_f32 v0, v41, v39 :: v_dual_mul_f32 v81, v40, v39
	s_delay_alu instid0(VALU_DEP_1) | instskip(NEXT) | instid1(VALU_DEP_1)
	v_dual_fma_f32 v80, v40, v38, -v0 :: v_dual_fmac_f32 v81, v41, v38
	v_pk_add_f32 v[36:37], v[36:37], v[80:81]
.LBB58_795:                             ;   in Loop: Header=BB58_3 Depth=1
	s_or_b32 exec_lo, exec_lo, s6
	s_barrier_signal -1
	s_barrier_wait -1
	s_and_saveexec_b32 s6, s29
	s_cbranch_execz .LBB58_797
; %bb.796:                              ;   in Loop: Header=BB58_3 Depth=1
	ds_load_b64 v[38:39], v1 offset:27560
	s_wait_dscnt 0x0
	v_pk_mul_f32 v[40:41], v[36:37], v[38:39] op_sel:[1,1] op_sel_hi:[1,0]
	s_delay_alu instid0(VALU_DEP_1) | instskip(SKIP_1) | instid1(VALU_DEP_2)
	v_pk_fma_f32 v[80:81], v[36:37], v[38:39], v[40:41] op_sel_hi:[0,1,1]
	v_pk_fma_f32 v[36:37], v[36:37], v[38:39], v[40:41] op_sel_hi:[0,1,1] neg_lo:[0,0,1] neg_hi:[0,0,1]
	v_mov_b32_e32 v37, v81
	ds_store_b64 v59, v[36:37]
.LBB58_797:                             ;   in Loop: Header=BB58_3 Depth=1
	s_or_b32 exec_lo, exec_lo, s6
	s_wait_dscnt 0x0
	s_barrier_signal -1
	s_barrier_wait -1
	s_and_saveexec_b32 s6, s31
	s_cbranch_execz .LBB58_799
; %bb.798:                              ;   in Loop: Header=BB58_3 Depth=1
	ds_load_b64 v[38:39], v58 offset:27520
	ds_load_b64 v[40:41], v59
	s_wait_dscnt 0x0
	v_pk_mul_f32 v[80:81], v[40:41], v[38:39] op_sel:[1,1] op_sel_hi:[0,1]
	s_delay_alu instid0(VALU_DEP_1) | instskip(SKIP_1) | instid1(VALU_DEP_2)
	v_pk_fma_f32 v[82:83], v[40:41], v[38:39], v[80:81] op_sel_hi:[1,0,1]
	v_pk_fma_f32 v[38:39], v[40:41], v[38:39], v[80:81] op_sel_hi:[1,0,1] neg_lo:[0,0,1] neg_hi:[0,0,1]
	v_mov_b32_e32 v39, v83
	s_delay_alu instid0(VALU_DEP_1)
	v_pk_add_f32 v[36:37], v[36:37], v[38:39]
.LBB58_799:                             ;   in Loop: Header=BB58_3 Depth=1
	s_or_b32 exec_lo, exec_lo, s6
	s_barrier_signal -1
	s_barrier_wait -1
	s_and_saveexec_b32 s6, s34
	s_cbranch_execz .LBB58_801
; %bb.800:                              ;   in Loop: Header=BB58_3 Depth=1
	ds_load_b64 v[38:39], v1 offset:28080
	s_wait_dscnt 0x0
	v_pk_mul_f32 v[40:41], v[36:37], v[38:39] op_sel:[1,1] op_sel_hi:[1,0]
	s_delay_alu instid0(VALU_DEP_1) | instskip(SKIP_1) | instid1(VALU_DEP_2)
	v_pk_fma_f32 v[80:81], v[36:37], v[38:39], v[40:41] op_sel_hi:[0,1,1]
	v_pk_fma_f32 v[36:37], v[36:37], v[38:39], v[40:41] op_sel_hi:[0,1,1] neg_lo:[0,0,1] neg_hi:[0,0,1]
	v_mov_b32_e32 v37, v81
	ds_store_b64 v59, v[36:37]
.LBB58_801:                             ;   in Loop: Header=BB58_3 Depth=1
	s_or_b32 exec_lo, exec_lo, s6
	s_wait_dscnt 0x0
	s_barrier_signal -1
	s_barrier_wait -1
	s_and_saveexec_b32 s6, s38
	s_cbranch_execz .LBB58_803
; %bb.802:                              ;   in Loop: Header=BB58_3 Depth=1
	ds_load_b64 v[38:39], v58 offset:28032
	ds_load_b64 v[40:41], v59
	s_wait_dscnt 0x0
	v_pk_mul_f32 v[80:81], v[40:41], v[38:39] op_sel:[1,1] op_sel_hi:[0,1]
	s_delay_alu instid0(VALU_DEP_1) | instskip(SKIP_1) | instid1(VALU_DEP_2)
	v_pk_fma_f32 v[82:83], v[40:41], v[38:39], v[80:81] op_sel_hi:[1,0,1]
	v_pk_fma_f32 v[38:39], v[40:41], v[38:39], v[80:81] op_sel_hi:[1,0,1] neg_lo:[0,0,1] neg_hi:[0,0,1]
	v_mov_b32_e32 v39, v83
	s_delay_alu instid0(VALU_DEP_1)
	v_pk_add_f32 v[36:37], v[36:37], v[38:39]
.LBB58_803:                             ;   in Loop: Header=BB58_3 Depth=1
	;; [unrolled: 33-line block ×3, first 2 shown]
	s_or_b32 exec_lo, exec_lo, s6
	s_barrier_signal -1
	s_barrier_wait -1
	s_and_saveexec_b32 s6, s41
	s_cbranch_execz .LBB58_809
; %bb.808:                              ;   in Loop: Header=BB58_3 Depth=1
	ds_load_b64 v[38:39], v1 offset:29120
	s_wait_dscnt 0x0
	v_dual_mul_f32 v0, v36, v39 :: v_dual_mul_f32 v40, v37, v39
	s_delay_alu instid0(VALU_DEP_1) | instskip(NEXT) | instid1(VALU_DEP_2)
	v_pk_fma_f32 v[80:81], v[36:37], v[38:39], v[0:1] op_sel:[0,1,0] op_sel_hi:[1,0,0]
	v_pk_fma_f32 v[38:39], v[36:37], v[38:39], v[40:41] op_sel_hi:[1,1,0] neg_lo:[0,0,1] neg_hi:[0,0,1]
	s_delay_alu instid0(VALU_DEP_2) | instskip(NEXT) | instid1(VALU_DEP_1)
	v_mov_b32_e32 v39, v81
	v_mov_b64_e32 v[36:37], v[38:39]
	ds_store_b64 v59, v[38:39]
.LBB58_809:                             ;   in Loop: Header=BB58_3 Depth=1
	s_or_b32 exec_lo, exec_lo, s6
	s_wait_dscnt 0x0
	s_barrier_signal -1
	s_barrier_wait -1
	s_and_saveexec_b32 s6, s42
	s_cbranch_execz .LBB58_811
; %bb.810:                              ;   in Loop: Header=BB58_3 Depth=1
	ds_load_b64 v[38:39], v58 offset:29056
	ds_load_b64 v[40:41], v59
	s_wait_dscnt 0x0
	v_dual_mul_f32 v0, v41, v39 :: v_dual_mul_f32 v81, v40, v39
	s_delay_alu instid0(VALU_DEP_1) | instskip(NEXT) | instid1(VALU_DEP_1)
	v_dual_fma_f32 v80, v40, v38, -v0 :: v_dual_fmac_f32 v81, v41, v38
	v_pk_add_f32 v[36:37], v[36:37], v[80:81]
.LBB58_811:                             ;   in Loop: Header=BB58_3 Depth=1
	s_or_b32 exec_lo, exec_lo, s6
	s_barrier_signal -1
	s_barrier_wait -1
	s_and_saveexec_b32 s6, s9
	s_cbranch_execz .LBB58_813
; %bb.812:                              ;   in Loop: Header=BB58_3 Depth=1
	ds_load_b64 v[38:39], v1 offset:29640
	s_wait_dscnt 0x0
	v_pk_mul_f32 v[40:41], v[36:37], v[38:39] op_sel:[1,1] op_sel_hi:[1,0]
	s_delay_alu instid0(VALU_DEP_1) | instskip(SKIP_1) | instid1(VALU_DEP_2)
	v_pk_fma_f32 v[80:81], v[36:37], v[38:39], v[40:41] op_sel_hi:[0,1,1]
	v_pk_fma_f32 v[36:37], v[36:37], v[38:39], v[40:41] op_sel_hi:[0,1,1] neg_lo:[0,0,1] neg_hi:[0,0,1]
	v_mov_b32_e32 v37, v81
	ds_store_b64 v59, v[36:37]
.LBB58_813:                             ;   in Loop: Header=BB58_3 Depth=1
	s_or_b32 exec_lo, exec_lo, s6
	s_wait_dscnt 0x0
	s_barrier_signal -1
	s_barrier_wait -1
	s_and_saveexec_b32 s6, s24
	s_cbranch_execz .LBB58_815
; %bb.814:                              ;   in Loop: Header=BB58_3 Depth=1
	ds_load_b64 v[38:39], v58 offset:29568
	ds_load_b64 v[40:41], v59
	s_wait_dscnt 0x0
	v_pk_mul_f32 v[80:81], v[40:41], v[38:39] op_sel:[1,1] op_sel_hi:[0,1]
	s_delay_alu instid0(VALU_DEP_1) | instskip(SKIP_1) | instid1(VALU_DEP_2)
	v_pk_fma_f32 v[82:83], v[40:41], v[38:39], v[80:81] op_sel_hi:[1,0,1]
	v_pk_fma_f32 v[38:39], v[40:41], v[38:39], v[80:81] op_sel_hi:[1,0,1] neg_lo:[0,0,1] neg_hi:[0,0,1]
	v_mov_b32_e32 v39, v83
	s_delay_alu instid0(VALU_DEP_1)
	v_pk_add_f32 v[36:37], v[36:37], v[38:39]
.LBB58_815:                             ;   in Loop: Header=BB58_3 Depth=1
	s_or_b32 exec_lo, exec_lo, s6
	s_barrier_signal -1
	s_barrier_wait -1
	s_and_saveexec_b32 s6, s26
	s_cbranch_execz .LBB58_817
; %bb.816:                              ;   in Loop: Header=BB58_3 Depth=1
	ds_load_b64 v[38:39], v1 offset:30160
	s_wait_dscnt 0x0
	v_pk_mul_f32 v[40:41], v[36:37], v[38:39] op_sel:[1,1] op_sel_hi:[1,0]
	s_delay_alu instid0(VALU_DEP_1) | instskip(SKIP_1) | instid1(VALU_DEP_2)
	v_pk_fma_f32 v[80:81], v[36:37], v[38:39], v[40:41] op_sel_hi:[0,1,1]
	v_pk_fma_f32 v[36:37], v[36:37], v[38:39], v[40:41] op_sel_hi:[0,1,1] neg_lo:[0,0,1] neg_hi:[0,0,1]
	v_mov_b32_e32 v37, v81
	ds_store_b64 v59, v[36:37]
.LBB58_817:                             ;   in Loop: Header=BB58_3 Depth=1
	s_or_b32 exec_lo, exec_lo, s6
	s_wait_dscnt 0x0
	s_barrier_signal -1
	s_barrier_wait -1
	s_and_saveexec_b32 s6, s28
	s_cbranch_execz .LBB58_819
; %bb.818:                              ;   in Loop: Header=BB58_3 Depth=1
	ds_load_b64 v[38:39], v58 offset:30080
	ds_load_b64 v[40:41], v59
	s_wait_dscnt 0x0
	v_pk_mul_f32 v[80:81], v[40:41], v[38:39] op_sel:[1,1] op_sel_hi:[0,1]
	s_delay_alu instid0(VALU_DEP_1) | instskip(SKIP_1) | instid1(VALU_DEP_2)
	v_pk_fma_f32 v[82:83], v[40:41], v[38:39], v[80:81] op_sel_hi:[1,0,1]
	v_pk_fma_f32 v[38:39], v[40:41], v[38:39], v[80:81] op_sel_hi:[1,0,1] neg_lo:[0,0,1] neg_hi:[0,0,1]
	v_mov_b32_e32 v39, v83
	s_delay_alu instid0(VALU_DEP_1)
	v_pk_add_f32 v[36:37], v[36:37], v[38:39]
.LBB58_819:                             ;   in Loop: Header=BB58_3 Depth=1
	;; [unrolled: 33-line block ×3, first 2 shown]
	s_or_b32 exec_lo, exec_lo, s6
	s_barrier_signal -1
	s_barrier_wait -1
	s_and_saveexec_b32 s6, s80
	s_cbranch_execz .LBB58_825
; %bb.824:                              ;   in Loop: Header=BB58_3 Depth=1
	ds_load_b64 v[38:39], v1 offset:31200
	s_wait_dscnt 0x0
	v_dual_mul_f32 v0, v36, v39 :: v_dual_mul_f32 v40, v37, v39
	s_delay_alu instid0(VALU_DEP_1) | instskip(NEXT) | instid1(VALU_DEP_2)
	v_pk_fma_f32 v[80:81], v[36:37], v[38:39], v[0:1] op_sel:[0,1,0] op_sel_hi:[1,0,0]
	v_pk_fma_f32 v[38:39], v[36:37], v[38:39], v[40:41] op_sel_hi:[1,1,0] neg_lo:[0,0,1] neg_hi:[0,0,1]
	s_delay_alu instid0(VALU_DEP_2) | instskip(NEXT) | instid1(VALU_DEP_1)
	v_mov_b32_e32 v39, v81
	v_mov_b64_e32 v[36:37], v[38:39]
	ds_store_b64 v59, v[38:39]
.LBB58_825:                             ;   in Loop: Header=BB58_3 Depth=1
	s_or_b32 exec_lo, exec_lo, s6
	s_wait_dscnt 0x0
	s_barrier_signal -1
	s_barrier_wait -1
	s_and_saveexec_b32 s6, s81
	s_cbranch_execz .LBB58_827
; %bb.826:                              ;   in Loop: Header=BB58_3 Depth=1
	ds_load_b64 v[38:39], v58 offset:31104
	ds_load_b64 v[40:41], v59
	s_wait_dscnt 0x0
	v_dual_mul_f32 v0, v41, v39 :: v_dual_mul_f32 v81, v40, v39
	s_delay_alu instid0(VALU_DEP_1) | instskip(NEXT) | instid1(VALU_DEP_1)
	v_dual_fma_f32 v80, v40, v38, -v0 :: v_dual_fmac_f32 v81, v41, v38
	v_pk_add_f32 v[36:37], v[36:37], v[80:81]
.LBB58_827:                             ;   in Loop: Header=BB58_3 Depth=1
	s_or_b32 exec_lo, exec_lo, s6
	s_barrier_signal -1
	s_barrier_wait -1
	s_and_saveexec_b32 s6, s78
	s_cbranch_execz .LBB58_829
; %bb.828:                              ;   in Loop: Header=BB58_3 Depth=1
	ds_load_b64 v[38:39], v1 offset:31720
	s_wait_dscnt 0x0
	v_pk_mul_f32 v[40:41], v[36:37], v[38:39] op_sel:[1,1] op_sel_hi:[1,0]
	s_delay_alu instid0(VALU_DEP_1) | instskip(SKIP_1) | instid1(VALU_DEP_2)
	v_pk_fma_f32 v[80:81], v[36:37], v[38:39], v[40:41] op_sel_hi:[0,1,1]
	v_pk_fma_f32 v[38:39], v[36:37], v[38:39], v[40:41] neg_lo:[0,0,1] neg_hi:[0,0,1]
	v_mov_b32_e32 v39, v81
	s_delay_alu instid0(VALU_DEP_1)
	v_mov_b64_e32 v[36:37], v[38:39]
	ds_store_b64 v59, v[38:39]
.LBB58_829:                             ;   in Loop: Header=BB58_3 Depth=1
	s_or_b32 exec_lo, exec_lo, s6
	s_wait_dscnt 0x0
	s_barrier_signal -1
	s_barrier_wait -1
	s_and_saveexec_b32 s6, s79
	s_cbranch_execz .LBB58_831
; %bb.830:                              ;   in Loop: Header=BB58_3 Depth=1
	ds_load_b64 v[38:39], v58 offset:31616
	ds_load_b64 v[40:41], v59
	s_wait_dscnt 0x0
	v_pk_mul_f32 v[80:81], v[40:41], v[38:39] op_sel:[1,1] op_sel_hi:[0,1]
	s_delay_alu instid0(VALU_DEP_1) | instskip(SKIP_1) | instid1(VALU_DEP_2)
	v_pk_fma_f32 v[82:83], v[40:41], v[38:39], v[80:81] op_sel_hi:[1,0,1]
	v_pk_fma_f32 v[38:39], v[40:41], v[38:39], v[80:81] neg_lo:[0,0,1] neg_hi:[0,0,1]
	v_mov_b32_e32 v39, v83
	s_delay_alu instid0(VALU_DEP_1)
	v_pk_add_f32 v[36:37], v[36:37], v[38:39]
.LBB58_831:                             ;   in Loop: Header=BB58_3 Depth=1
	s_or_b32 exec_lo, exec_lo, s6
	s_barrier_signal -1
	s_barrier_wait -1
	s_and_saveexec_b32 s6, s103
	s_cbranch_execz .LBB58_833
; %bb.832:                              ;   in Loop: Header=BB58_3 Depth=1
	ds_load_b64 v[38:39], v1 offset:32240
	s_wait_dscnt 0x0
	v_pk_mul_f32 v[40:41], v[36:37], v[38:39] op_sel:[1,1] op_sel_hi:[1,0]
	s_delay_alu instid0(VALU_DEP_1) | instskip(SKIP_1) | instid1(VALU_DEP_2)
	v_pk_fma_f32 v[80:81], v[36:37], v[38:39], v[40:41] op_sel_hi:[0,1,1]
	v_pk_fma_f32 v[38:39], v[36:37], v[38:39], v[40:41] neg_lo:[0,0,1] neg_hi:[0,0,1]
	v_mov_b32_e32 v39, v81
	s_delay_alu instid0(VALU_DEP_1)
	v_mov_b64_e32 v[36:37], v[38:39]
	ds_store_b64 v59, v[38:39]
.LBB58_833:                             ;   in Loop: Header=BB58_3 Depth=1
	s_or_b32 exec_lo, exec_lo, s6
	s_wait_dscnt 0x0
	s_barrier_signal -1
	s_barrier_wait -1
	s_and_saveexec_b32 s6, s65
	s_cbranch_execz .LBB58_835
; %bb.834:                              ;   in Loop: Header=BB58_3 Depth=1
	ds_load_b64 v[38:39], v1 offset:32248
	ds_load_b64 v[40:41], v59
	s_wait_dscnt 0x0
	v_pk_mul_f32 v[80:81], v[40:41], v[38:39] op_sel:[1,1] op_sel_hi:[0,1]
	s_delay_alu instid0(VALU_DEP_1) | instskip(SKIP_1) | instid1(VALU_DEP_2)
	v_pk_fma_f32 v[82:83], v[40:41], v[38:39], v[80:81] op_sel_hi:[1,0,1]
	v_pk_fma_f32 v[38:39], v[40:41], v[38:39], v[80:81] neg_lo:[0,0,1] neg_hi:[0,0,1]
	v_mov_b32_e32 v39, v83
	s_delay_alu instid0(VALU_DEP_1)
	v_pk_add_f32 v[36:37], v[36:37], v[38:39]
.LBB58_835:                             ;   in Loop: Header=BB58_3 Depth=1
	s_or_b32 exec_lo, exec_lo, s6
	s_barrier_signal -1
	s_barrier_wait -1
	s_and_saveexec_b32 s6, s65
	s_cbranch_execz .LBB58_837
; %bb.836:                              ;   in Loop: Header=BB58_3 Depth=1
	ds_load_b64 v[38:39], v1 offset:32760
	s_wait_dscnt 0x0
	v_pk_mul_f32 v[40:41], v[36:37], v[38:39] op_sel:[1,1] op_sel_hi:[1,0]
	s_delay_alu instid0(VALU_DEP_1) | instskip(SKIP_1) | instid1(VALU_DEP_2)
	v_pk_fma_f32 v[80:81], v[36:37], v[38:39], v[40:41] op_sel_hi:[0,1,1]
	v_pk_fma_f32 v[38:39], v[36:37], v[38:39], v[40:41] neg_lo:[0,0,1] neg_hi:[0,0,1]
	v_mov_b32_e32 v39, v81
	s_delay_alu instid0(VALU_DEP_1)
	v_mov_b64_e32 v[36:37], v[38:39]
	ds_store_b64 v59, v[38:39]
.LBB58_837:                             ;   in Loop: Header=BB58_3 Depth=1
	s_or_b32 exec_lo, exec_lo, s6
	s_wait_dscnt 0x0
	s_barrier_signal -1
	s_barrier_wait -1
	s_barrier_signal -1
	s_barrier_wait -1
	s_and_saveexec_b32 s6, s4
; %bb.838:                              ;   in Loop: Header=BB58_3 Depth=1
	v_pk_add_f32 v[36:37], v[36:37], 0 neg_lo:[1,1] neg_hi:[1,1]
	ds_store_b64 v60, v[36:37] offset:16768
; %bb.839:                              ;   in Loop: Header=BB58_3 Depth=1
	s_or_b32 exec_lo, exec_lo, s6
	s_wait_dscnt 0x0
	s_barrier_signal -1
	s_barrier_wait -1
	s_barrier_signal -1
	s_barrier_wait -1
	s_and_saveexec_b32 s96, s14
	s_cbranch_execz .LBB58_841
; %bb.840:                              ;   in Loop: Header=BB58_3 Depth=1
	ds_load_b128 v[36:39], v1 offset:24960
	ds_load_b64 v[40:41], v1 offset:25480
	s_wait_dscnt 0x1
	v_dual_mov_b32 v80, v39 :: v_dual_mov_b32 v81, v38
	s_wait_dscnt 0x0
	v_dual_mul_f32 v79, v41, v37 :: v_dual_mul_f32 v0, v40, v37
	s_delay_alu instid0(VALU_DEP_1) | instskip(NEXT) | instid1(VALU_DEP_1)
	v_xor_b32_e32 v82, 0x80000000, v79
	v_dual_fmac_f32 v0, v41, v36 :: v_dual_fmac_f32 v82, v40, v36
	s_delay_alu instid0(VALU_DEP_1) | instskip(NEXT) | instid1(VALU_DEP_1)
	v_pk_mul_f32 v[36:37], v[0:1], v[80:81] op_sel_hi:[0,1]
	v_pk_fma_f32 v[40:41], v[82:83], v[38:39], v[36:37] op_sel_hi:[0,1,1]
	v_pk_fma_f32 v[36:37], v[82:83], v[38:39], v[36:37] neg_lo:[0,0,1] neg_hi:[0,0,1]
	s_delay_alu instid0(VALU_DEP_2)
	v_mov_b32_e32 v37, v41
	ds_store_b64 v1, v[36:37] offset:24968
.LBB58_841:                             ;   in Loop: Header=BB58_3 Depth=1
	s_or_b32 exec_lo, exec_lo, s96
	v_mov_b32_e32 v37, 0
	s_wait_dscnt 0x0
	s_barrier_signal -1
	s_barrier_wait -1
	s_delay_alu instid0(VALU_DEP_1)
	v_mov_b32_e32 v36, v37
	s_and_saveexec_b32 s96, s1
	s_cbranch_execz .LBB58_845
; %bb.842:                              ;   in Loop: Header=BB58_3 Depth=1
	ds_load_b64 v[36:37], v44 offset:24976
	ds_load_b64 v[38:39], v45 offset:24960
	s_wait_dscnt 0x0
	v_dual_mul_f32 v0, v39, v37 :: v_dual_mul_f32 v41, v38, v37
	s_delay_alu instid0(VALU_DEP_1) | instskip(NEXT) | instid1(VALU_DEP_1)
	v_dual_fma_f32 v40, v38, v36, -v0 :: v_dual_fmac_f32 v41, v39, v36
	v_pk_add_f32 v[36:37], v[40:41], 0 op_sel_hi:[1,0]
	s_and_saveexec_b32 s6, s15
	s_cbranch_execz .LBB58_844
; %bb.843:                              ;   in Loop: Header=BB58_3 Depth=1
	ds_load_b64 v[38:39], v46 offset:25488
	ds_load_b64 v[40:41], v1 offset:24968
	s_wait_dscnt 0x0
	v_pk_mul_f32 v[80:81], v[40:41], v[38:39] op_sel:[1,1] op_sel_hi:[0,1]
	s_delay_alu instid0(VALU_DEP_1) | instskip(SKIP_1) | instid1(VALU_DEP_2)
	v_pk_fma_f32 v[82:83], v[40:41], v[38:39], v[80:81] op_sel_hi:[1,0,1]
	v_pk_fma_f32 v[38:39], v[40:41], v[38:39], v[80:81] neg_lo:[0,0,1] neg_hi:[0,0,1]
	v_mov_b32_e32 v39, v83
	s_delay_alu instid0(VALU_DEP_1)
	v_pk_add_f32 v[36:37], v[36:37], v[38:39]
.LBB58_844:                             ;   in Loop: Header=BB58_3 Depth=1
	s_or_b32 exec_lo, exec_lo, s6
	s_delay_alu instid0(VALU_DEP_1)
	v_pk_add_f32 v[36:37], v[36:37], 0 neg_lo:[1,1] neg_hi:[1,1]
.LBB58_845:                             ;   in Loop: Header=BB58_3 Depth=1
	s_or_b32 exec_lo, exec_lo, s96
	s_and_saveexec_b32 s6, s43
	s_cbranch_execz .LBB58_847
; %bb.846:                              ;   in Loop: Header=BB58_3 Depth=1
	ds_load_b64 v[38:39], v1 offset:26000
	s_wait_dscnt 0x0
	v_pk_mul_f32 v[40:41], v[36:37], v[38:39] op_sel:[1,1] op_sel_hi:[1,0]
	s_delay_alu instid0(VALU_DEP_1) | instskip(SKIP_1) | instid1(VALU_DEP_2)
	v_pk_fma_f32 v[80:81], v[36:37], v[38:39], v[40:41] op_sel_hi:[0,1,1]
	v_pk_fma_f32 v[38:39], v[36:37], v[38:39], v[40:41] neg_lo:[0,0,1] neg_hi:[0,0,1]
	v_mov_b32_e32 v39, v81
	s_delay_alu instid0(VALU_DEP_1)
	v_mov_b64_e32 v[36:37], v[38:39]
	ds_store_b64 v3, v[38:39]
.LBB58_847:                             ;   in Loop: Header=BB58_3 Depth=1
	s_or_b32 exec_lo, exec_lo, s6
	s_wait_dscnt 0x0
	s_barrier_signal -1
	s_barrier_wait -1
	s_and_saveexec_b32 s6, s44
	s_cbranch_execz .LBB58_849
; %bb.848:                              ;   in Loop: Header=BB58_3 Depth=1
	ds_load_b64 v[38:39], v1 offset:26008
	ds_load_b64 v[40:41], v3
	s_wait_dscnt 0x0
	v_pk_mul_f32 v[80:81], v[40:41], v[38:39] op_sel:[1,1] op_sel_hi:[0,1]
	s_delay_alu instid0(VALU_DEP_1) | instskip(SKIP_1) | instid1(VALU_DEP_2)
	v_pk_fma_f32 v[82:83], v[40:41], v[38:39], v[80:81] op_sel_hi:[1,0,1]
	v_pk_fma_f32 v[38:39], v[40:41], v[38:39], v[80:81] neg_lo:[0,0,1] neg_hi:[0,0,1]
	v_mov_b32_e32 v39, v83
	s_delay_alu instid0(VALU_DEP_1)
	v_pk_add_f32 v[36:37], v[36:37], v[38:39]
.LBB58_849:                             ;   in Loop: Header=BB58_3 Depth=1
	s_or_b32 exec_lo, exec_lo, s6
	s_barrier_signal -1
	s_barrier_wait -1
	s_and_saveexec_b32 s6, s44
	s_cbranch_execz .LBB58_851
; %bb.850:                              ;   in Loop: Header=BB58_3 Depth=1
	ds_load_b64 v[38:39], v1 offset:26520
	s_wait_dscnt 0x0
	v_pk_mul_f32 v[40:41], v[36:37], v[38:39] op_sel:[1,1] op_sel_hi:[1,0]
	s_delay_alu instid0(VALU_DEP_1) | instskip(SKIP_1) | instid1(VALU_DEP_2)
	v_pk_fma_f32 v[80:81], v[36:37], v[38:39], v[40:41] op_sel_hi:[0,1,1]
	v_pk_fma_f32 v[38:39], v[36:37], v[38:39], v[40:41] neg_lo:[0,0,1] neg_hi:[0,0,1]
	v_mov_b32_e32 v39, v81
	s_delay_alu instid0(VALU_DEP_1)
	v_mov_b64_e32 v[36:37], v[38:39]
	ds_store_b64 v3, v[38:39]
.LBB58_851:                             ;   in Loop: Header=BB58_3 Depth=1
	s_or_b32 exec_lo, exec_lo, s6
	s_wait_dscnt 0x0
	s_barrier_signal -1
	s_barrier_wait -1
	s_barrier_signal -1
	s_barrier_wait -1
	s_and_saveexec_b32 s6, s1
; %bb.852:                              ;   in Loop: Header=BB58_3 Depth=1
	v_pk_add_f32 v[36:37], v[36:37], 0 neg_lo:[1,1] neg_hi:[1,1]
	ds_store_b64 v44, v[36:37] offset:24976
; %bb.853:                              ;   in Loop: Header=BB58_3 Depth=1
	s_or_b32 exec_lo, exec_lo, s6
	s_wait_dscnt 0x0
	s_barrier_signal -1
	s_barrier_wait -1
	s_barrier_signal -1
	s_barrier_wait -1
	s_and_saveexec_b32 s96, s14
	s_cbranch_execz .LBB58_855
; %bb.854:                              ;   in Loop: Header=BB58_3 Depth=1
	ds_load_b128 v[36:39], v1 offset:26000
	ds_load_b64 v[40:41], v1 offset:26520
	s_wait_dscnt 0x1
	v_dual_mov_b32 v80, v39 :: v_dual_mov_b32 v81, v38
	s_wait_dscnt 0x0
	v_dual_mul_f32 v79, v41, v37 :: v_dual_mul_f32 v0, v40, v37
	s_delay_alu instid0(VALU_DEP_1) | instskip(NEXT) | instid1(VALU_DEP_1)
	v_xor_b32_e32 v82, 0x80000000, v79
	v_dual_fmac_f32 v0, v41, v36 :: v_dual_fmac_f32 v82, v40, v36
	s_delay_alu instid0(VALU_DEP_1) | instskip(NEXT) | instid1(VALU_DEP_1)
	v_pk_mul_f32 v[36:37], v[0:1], v[80:81] op_sel_hi:[0,1]
	v_pk_fma_f32 v[40:41], v[82:83], v[38:39], v[36:37] op_sel_hi:[0,1,1]
	v_pk_fma_f32 v[36:37], v[82:83], v[38:39], v[36:37] neg_lo:[0,0,1] neg_hi:[0,0,1]
	s_delay_alu instid0(VALU_DEP_2)
	v_mov_b32_e32 v37, v41
	ds_store_b64 v1, v[36:37] offset:26008
.LBB58_855:                             ;   in Loop: Header=BB58_3 Depth=1
	s_or_b32 exec_lo, exec_lo, s96
	v_mov_b32_e32 v36, 0
	s_wait_dscnt 0x0
	s_barrier_signal -1
	s_barrier_wait -1
	s_delay_alu instid0(VALU_DEP_1)
	v_mov_b32_e32 v37, v36
	s_and_saveexec_b32 s96, s2
	s_cbranch_execz .LBB58_861
; %bb.856:                              ;   in Loop: Header=BB58_3 Depth=1
	ds_load_b64 v[36:37], v50 offset:24992
	ds_load_b64 v[38:39], v47 offset:24960
	s_wait_dscnt 0x0
	v_pk_mul_f32 v[40:41], v[38:39], v[36:37] op_sel:[0,1]
	s_delay_alu instid0(VALU_DEP_1) | instskip(SKIP_1) | instid1(VALU_DEP_2)
	v_pk_fma_f32 v[80:81], v[38:39], v[36:37], v[40:41] op_sel:[1,0,0] op_sel_hi:[0,0,1] neg_lo:[0,0,1] neg_hi:[0,0,1]
	v_pk_fma_f32 v[36:37], v[38:39], v[36:37], v[40:41] op_sel:[1,0,0] op_sel_hi:[0,1,1]
	v_mov_b32_e32 v37, v81
	s_delay_alu instid0(VALU_DEP_1)
	v_pk_add_f32 v[36:37], v[36:37], 0 op_sel_hi:[1,0]
	s_and_saveexec_b32 s6, s16
	s_cbranch_execnz .LBB58_1088
; %bb.857:                              ;   in Loop: Header=BB58_3 Depth=1
	s_or_b32 exec_lo, exec_lo, s6
	s_and_saveexec_b32 s6, s17
	s_cbranch_execnz .LBB58_1089
.LBB58_858:                             ;   in Loop: Header=BB58_3 Depth=1
	s_or_b32 exec_lo, exec_lo, s6
	s_and_saveexec_b32 s6, s1
	s_cbranch_execz .LBB58_860
.LBB58_859:                             ;   in Loop: Header=BB58_3 Depth=1
	ds_load_b64 v[38:39], v46 offset:26528
	ds_load_b64 v[40:41], v1 offset:24984
	s_wait_dscnt 0x0
	v_pk_mul_f32 v[80:81], v[40:41], v[38:39] op_sel:[0,1]
	s_delay_alu instid0(VALU_DEP_1) | instskip(SKIP_1) | instid1(VALU_DEP_2)
	v_pk_fma_f32 v[82:83], v[40:41], v[38:39], v[80:81] op_sel:[1,0,0] op_sel_hi:[0,0,1] neg_lo:[0,0,1] neg_hi:[0,0,1]
	v_pk_fma_f32 v[38:39], v[40:41], v[38:39], v[80:81] op_sel:[1,0,0] op_sel_hi:[0,1,1]
	v_mov_b32_e32 v39, v83
	s_delay_alu instid0(VALU_DEP_1)
	v_pk_add_f32 v[36:37], v[36:37], v[38:39]
.LBB58_860:                             ;   in Loop: Header=BB58_3 Depth=1
	s_or_b32 exec_lo, exec_lo, s6
	s_delay_alu instid0(VALU_DEP_1) | instskip(NEXT) | instid1(VALU_DEP_1)
	v_pk_add_f32 v[38:39], v[36:37], 0 neg_lo:[1,1] neg_hi:[1,1]
	v_dual_mov_b32 v36, v39 :: v_dual_mov_b32 v37, v38
.LBB58_861:                             ;   in Loop: Header=BB58_3 Depth=1
	s_or_b32 exec_lo, exec_lo, s96
	s_and_saveexec_b32 s6, s45
	s_cbranch_execz .LBB58_863
; %bb.862:                              ;   in Loop: Header=BB58_3 Depth=1
	ds_load_b64 v[38:39], v1 offset:27040
	v_dual_mov_b32 v40, v37 :: v_dual_mov_b32 v41, v36
	s_wait_dscnt 0x0
	s_delay_alu instid0(VALU_DEP_1) | instskip(NEXT) | instid1(VALU_DEP_1)
	v_dual_mul_f32 v0, v40, v38 :: v_dual_mul_f32 v80, v37, v39
	v_pk_fma_f32 v[40:41], v[40:41], v[38:39], v[0:1] op_sel_hi:[1,1,0]
	s_delay_alu instid0(VALU_DEP_2) | instskip(NEXT) | instid1(VALU_DEP_2)
	v_pk_fma_f32 v[36:37], v[36:37], v[38:39], v[80:81] op_sel_hi:[1,1,0] neg_lo:[0,0,1] neg_hi:[0,0,1]
	v_mov_b32_e32 v37, v41
	ds_store_b64 v48, v[36:37]
.LBB58_863:                             ;   in Loop: Header=BB58_3 Depth=1
	s_or_b32 exec_lo, exec_lo, s6
	s_wait_dscnt 0x0
	s_barrier_signal -1
	s_barrier_wait -1
	s_and_saveexec_b32 s6, s46
	s_cbranch_execz .LBB58_865
; %bb.864:                              ;   in Loop: Header=BB58_3 Depth=1
	ds_load_b64 v[38:39], v49 offset:27040
	ds_load_b64 v[40:41], v48
	s_wait_dscnt 0x0
	v_dual_mul_f32 v0, v41, v39 :: v_dual_mul_f32 v81, v40, v39
	s_delay_alu instid0(VALU_DEP_1) | instskip(NEXT) | instid1(VALU_DEP_1)
	v_dual_fma_f32 v80, v40, v38, -v0 :: v_dual_fmac_f32 v81, v41, v38
	v_pk_add_f32 v[36:37], v[36:37], v[80:81]
.LBB58_865:                             ;   in Loop: Header=BB58_3 Depth=1
	s_or_b32 exec_lo, exec_lo, s6
	s_barrier_signal -1
	s_barrier_wait -1
	s_and_saveexec_b32 s6, s47
	s_cbranch_execz .LBB58_867
; %bb.866:                              ;   in Loop: Header=BB58_3 Depth=1
	ds_load_b64 v[38:39], v1 offset:27560
	s_wait_dscnt 0x0
	v_pk_mul_f32 v[40:41], v[36:37], v[38:39] op_sel:[1,1] op_sel_hi:[1,0]
	s_delay_alu instid0(VALU_DEP_1) | instskip(SKIP_1) | instid1(VALU_DEP_2)
	v_pk_fma_f32 v[80:81], v[36:37], v[38:39], v[40:41] op_sel_hi:[0,1,1]
	v_pk_fma_f32 v[38:39], v[36:37], v[38:39], v[40:41] neg_lo:[0,0,1] neg_hi:[0,0,1]
	v_mov_b32_e32 v39, v81
	s_delay_alu instid0(VALU_DEP_1)
	v_mov_b64_e32 v[36:37], v[38:39]
	ds_store_b64 v48, v[38:39]
.LBB58_867:                             ;   in Loop: Header=BB58_3 Depth=1
	s_or_b32 exec_lo, exec_lo, s6
	s_wait_dscnt 0x0
	s_barrier_signal -1
	s_barrier_wait -1
	s_and_saveexec_b32 s6, s48
	s_cbranch_execz .LBB58_869
; %bb.868:                              ;   in Loop: Header=BB58_3 Depth=1
	ds_load_b64 v[38:39], v49 offset:27552
	ds_load_b64 v[40:41], v48
	s_wait_dscnt 0x0
	v_pk_mul_f32 v[80:81], v[40:41], v[38:39] op_sel:[1,1] op_sel_hi:[0,1]
	s_delay_alu instid0(VALU_DEP_1) | instskip(SKIP_1) | instid1(VALU_DEP_2)
	v_pk_fma_f32 v[82:83], v[40:41], v[38:39], v[80:81] op_sel_hi:[1,0,1]
	v_pk_fma_f32 v[38:39], v[40:41], v[38:39], v[80:81] neg_lo:[0,0,1] neg_hi:[0,0,1]
	v_mov_b32_e32 v39, v83
	s_delay_alu instid0(VALU_DEP_1)
	v_pk_add_f32 v[36:37], v[36:37], v[38:39]
.LBB58_869:                             ;   in Loop: Header=BB58_3 Depth=1
	s_or_b32 exec_lo, exec_lo, s6
	s_barrier_signal -1
	s_barrier_wait -1
	s_and_saveexec_b32 s6, s49
	s_cbranch_execz .LBB58_871
; %bb.870:                              ;   in Loop: Header=BB58_3 Depth=1
	ds_load_b64 v[38:39], v1 offset:28080
	s_wait_dscnt 0x0
	v_pk_mul_f32 v[40:41], v[36:37], v[38:39] op_sel:[1,1] op_sel_hi:[1,0]
	s_delay_alu instid0(VALU_DEP_1) | instskip(SKIP_1) | instid1(VALU_DEP_2)
	v_pk_fma_f32 v[80:81], v[36:37], v[38:39], v[40:41] op_sel_hi:[0,1,1]
	v_pk_fma_f32 v[38:39], v[36:37], v[38:39], v[40:41] neg_lo:[0,0,1] neg_hi:[0,0,1]
	v_mov_b32_e32 v39, v81
	s_delay_alu instid0(VALU_DEP_1)
	v_mov_b64_e32 v[36:37], v[38:39]
	ds_store_b64 v48, v[38:39]
.LBB58_871:                             ;   in Loop: Header=BB58_3 Depth=1
	s_or_b32 exec_lo, exec_lo, s6
	s_wait_dscnt 0x0
	s_barrier_signal -1
	s_barrier_wait -1
	s_and_saveexec_b32 s6, s50
	s_cbranch_execz .LBB58_873
; %bb.872:                              ;   in Loop: Header=BB58_3 Depth=1
	ds_load_b64 v[38:39], v1 offset:28088
	ds_load_b64 v[40:41], v48
	s_wait_dscnt 0x0
	v_pk_mul_f32 v[80:81], v[40:41], v[38:39] op_sel:[1,1] op_sel_hi:[0,1]
	s_delay_alu instid0(VALU_DEP_1) | instskip(SKIP_1) | instid1(VALU_DEP_2)
	v_pk_fma_f32 v[82:83], v[40:41], v[38:39], v[80:81] op_sel_hi:[1,0,1]
	v_pk_fma_f32 v[38:39], v[40:41], v[38:39], v[80:81] neg_lo:[0,0,1] neg_hi:[0,0,1]
	v_mov_b32_e32 v39, v83
	s_delay_alu instid0(VALU_DEP_1)
	v_pk_add_f32 v[36:37], v[36:37], v[38:39]
.LBB58_873:                             ;   in Loop: Header=BB58_3 Depth=1
	s_or_b32 exec_lo, exec_lo, s6
	s_barrier_signal -1
	s_barrier_wait -1
	s_and_saveexec_b32 s6, s50
	s_cbranch_execz .LBB58_875
; %bb.874:                              ;   in Loop: Header=BB58_3 Depth=1
	ds_load_b64 v[38:39], v1 offset:28600
	s_wait_dscnt 0x0
	v_pk_mul_f32 v[40:41], v[36:37], v[38:39] op_sel:[1,1] op_sel_hi:[1,0]
	s_delay_alu instid0(VALU_DEP_1) | instskip(SKIP_1) | instid1(VALU_DEP_2)
	v_pk_fma_f32 v[80:81], v[36:37], v[38:39], v[40:41] op_sel_hi:[0,1,1]
	v_pk_fma_f32 v[38:39], v[36:37], v[38:39], v[40:41] neg_lo:[0,0,1] neg_hi:[0,0,1]
	v_mov_b32_e32 v39, v81
	s_delay_alu instid0(VALU_DEP_1)
	v_mov_b64_e32 v[36:37], v[38:39]
	ds_store_b64 v48, v[38:39]
.LBB58_875:                             ;   in Loop: Header=BB58_3 Depth=1
	s_or_b32 exec_lo, exec_lo, s6
	s_wait_dscnt 0x0
	s_barrier_signal -1
	s_barrier_wait -1
	s_barrier_signal -1
	s_barrier_wait -1
	s_and_saveexec_b32 s6, s2
; %bb.876:                              ;   in Loop: Header=BB58_3 Depth=1
	v_pk_add_f32 v[36:37], v[36:37], 0 neg_lo:[1,1] neg_hi:[1,1]
	ds_store_b64 v50, v[36:37] offset:24992
; %bb.877:                              ;   in Loop: Header=BB58_3 Depth=1
	s_or_b32 exec_lo, exec_lo, s6
	s_wait_dscnt 0x0
	s_barrier_signal -1
	s_barrier_wait -1
	s_barrier_signal -1
	s_barrier_wait -1
	s_and_saveexec_b32 s96, s14
	s_cbranch_execz .LBB58_879
; %bb.878:                              ;   in Loop: Header=BB58_3 Depth=1
	ds_load_b128 v[36:39], v1 offset:27040
	ds_load_b64 v[40:41], v1 offset:27560
	s_wait_dscnt 0x1
	v_dual_mov_b32 v80, v39 :: v_dual_mov_b32 v81, v38
	s_wait_dscnt 0x0
	v_dual_mul_f32 v79, v41, v37 :: v_dual_mul_f32 v0, v40, v37
	s_delay_alu instid0(VALU_DEP_1) | instskip(NEXT) | instid1(VALU_DEP_1)
	v_xor_b32_e32 v82, 0x80000000, v79
	v_dual_fmac_f32 v0, v41, v36 :: v_dual_fmac_f32 v82, v40, v36
	s_delay_alu instid0(VALU_DEP_1) | instskip(NEXT) | instid1(VALU_DEP_1)
	v_pk_mul_f32 v[36:37], v[0:1], v[80:81] op_sel_hi:[0,1]
	v_pk_fma_f32 v[40:41], v[82:83], v[38:39], v[36:37] op_sel_hi:[0,1,1]
	v_pk_fma_f32 v[36:37], v[82:83], v[38:39], v[36:37] neg_lo:[0,0,1] neg_hi:[0,0,1]
	s_delay_alu instid0(VALU_DEP_2)
	v_mov_b32_e32 v37, v41
	ds_store_b64 v1, v[36:37] offset:27048
.LBB58_879:                             ;   in Loop: Header=BB58_3 Depth=1
	s_or_b32 exec_lo, exec_lo, s96
	v_mov_b32_e32 v37, 0
	s_wait_dscnt 0x0
	s_barrier_signal -1
	s_barrier_wait -1
	s_delay_alu instid0(VALU_DEP_1)
	v_mov_b32_e32 v36, v37
	s_and_saveexec_b32 s96, s1
	s_cbranch_execz .LBB58_883
; %bb.880:                              ;   in Loop: Header=BB58_3 Depth=1
	ds_load_b64 v[36:37], v44 offset:27056
	ds_load_b64 v[38:39], v45 offset:27040
	s_wait_dscnt 0x0
	v_dual_mul_f32 v0, v39, v37 :: v_dual_mul_f32 v41, v38, v37
	s_delay_alu instid0(VALU_DEP_1) | instskip(NEXT) | instid1(VALU_DEP_1)
	v_dual_fma_f32 v40, v38, v36, -v0 :: v_dual_fmac_f32 v41, v39, v36
	v_pk_add_f32 v[36:37], v[40:41], 0 op_sel_hi:[1,0]
	s_and_saveexec_b32 s6, s15
	s_cbranch_execz .LBB58_882
; %bb.881:                              ;   in Loop: Header=BB58_3 Depth=1
	ds_load_b64 v[38:39], v46 offset:27568
	ds_load_b64 v[40:41], v1 offset:27048
	s_wait_dscnt 0x0
	v_pk_mul_f32 v[80:81], v[40:41], v[38:39] op_sel:[1,1] op_sel_hi:[0,1]
	s_delay_alu instid0(VALU_DEP_1) | instskip(SKIP_1) | instid1(VALU_DEP_2)
	v_pk_fma_f32 v[82:83], v[40:41], v[38:39], v[80:81] op_sel_hi:[1,0,1]
	v_pk_fma_f32 v[38:39], v[40:41], v[38:39], v[80:81] neg_lo:[0,0,1] neg_hi:[0,0,1]
	v_mov_b32_e32 v39, v83
	s_delay_alu instid0(VALU_DEP_1)
	v_pk_add_f32 v[36:37], v[36:37], v[38:39]
.LBB58_882:                             ;   in Loop: Header=BB58_3 Depth=1
	s_or_b32 exec_lo, exec_lo, s6
	s_delay_alu instid0(VALU_DEP_1)
	v_pk_add_f32 v[36:37], v[36:37], 0 neg_lo:[1,1] neg_hi:[1,1]
.LBB58_883:                             ;   in Loop: Header=BB58_3 Depth=1
	s_or_b32 exec_lo, exec_lo, s96
	s_and_saveexec_b32 s6, s43
	s_cbranch_execz .LBB58_885
; %bb.884:                              ;   in Loop: Header=BB58_3 Depth=1
	ds_load_b64 v[38:39], v1 offset:28080
	s_wait_dscnt 0x0
	v_pk_mul_f32 v[40:41], v[36:37], v[38:39] op_sel:[1,1] op_sel_hi:[1,0]
	s_delay_alu instid0(VALU_DEP_1) | instskip(SKIP_1) | instid1(VALU_DEP_2)
	v_pk_fma_f32 v[80:81], v[36:37], v[38:39], v[40:41] op_sel_hi:[0,1,1]
	v_pk_fma_f32 v[38:39], v[36:37], v[38:39], v[40:41] neg_lo:[0,0,1] neg_hi:[0,0,1]
	v_mov_b32_e32 v39, v81
	s_delay_alu instid0(VALU_DEP_1)
	v_mov_b64_e32 v[36:37], v[38:39]
	ds_store_b64 v3, v[38:39]
.LBB58_885:                             ;   in Loop: Header=BB58_3 Depth=1
	s_or_b32 exec_lo, exec_lo, s6
	s_wait_dscnt 0x0
	s_barrier_signal -1
	s_barrier_wait -1
	s_and_saveexec_b32 s6, s44
	s_cbranch_execz .LBB58_887
; %bb.886:                              ;   in Loop: Header=BB58_3 Depth=1
	ds_load_b64 v[38:39], v1 offset:28088
	ds_load_b64 v[40:41], v3
	s_wait_dscnt 0x0
	v_pk_mul_f32 v[80:81], v[40:41], v[38:39] op_sel:[1,1] op_sel_hi:[0,1]
	s_delay_alu instid0(VALU_DEP_1) | instskip(SKIP_1) | instid1(VALU_DEP_2)
	v_pk_fma_f32 v[82:83], v[40:41], v[38:39], v[80:81] op_sel_hi:[1,0,1]
	v_pk_fma_f32 v[38:39], v[40:41], v[38:39], v[80:81] neg_lo:[0,0,1] neg_hi:[0,0,1]
	v_mov_b32_e32 v39, v83
	s_delay_alu instid0(VALU_DEP_1)
	v_pk_add_f32 v[36:37], v[36:37], v[38:39]
.LBB58_887:                             ;   in Loop: Header=BB58_3 Depth=1
	s_or_b32 exec_lo, exec_lo, s6
	s_barrier_signal -1
	s_barrier_wait -1
	s_and_saveexec_b32 s6, s44
	s_cbranch_execz .LBB58_889
; %bb.888:                              ;   in Loop: Header=BB58_3 Depth=1
	ds_load_b64 v[38:39], v1 offset:28600
	s_wait_dscnt 0x0
	v_pk_mul_f32 v[40:41], v[36:37], v[38:39] op_sel:[1,1] op_sel_hi:[1,0]
	s_delay_alu instid0(VALU_DEP_1) | instskip(SKIP_1) | instid1(VALU_DEP_2)
	v_pk_fma_f32 v[80:81], v[36:37], v[38:39], v[40:41] op_sel_hi:[0,1,1]
	v_pk_fma_f32 v[38:39], v[36:37], v[38:39], v[40:41] neg_lo:[0,0,1] neg_hi:[0,0,1]
	v_mov_b32_e32 v39, v81
	s_delay_alu instid0(VALU_DEP_1)
	v_mov_b64_e32 v[36:37], v[38:39]
	ds_store_b64 v3, v[38:39]
.LBB58_889:                             ;   in Loop: Header=BB58_3 Depth=1
	s_or_b32 exec_lo, exec_lo, s6
	s_wait_dscnt 0x0
	s_barrier_signal -1
	s_barrier_wait -1
	s_barrier_signal -1
	s_barrier_wait -1
	s_and_saveexec_b32 s6, s1
; %bb.890:                              ;   in Loop: Header=BB58_3 Depth=1
	v_pk_add_f32 v[36:37], v[36:37], 0 neg_lo:[1,1] neg_hi:[1,1]
	ds_store_b64 v44, v[36:37] offset:27056
; %bb.891:                              ;   in Loop: Header=BB58_3 Depth=1
	s_or_b32 exec_lo, exec_lo, s6
	s_wait_dscnt 0x0
	s_barrier_signal -1
	s_barrier_wait -1
	s_barrier_signal -1
	s_barrier_wait -1
	s_and_saveexec_b32 s96, s14
	s_cbranch_execz .LBB58_893
; %bb.892:                              ;   in Loop: Header=BB58_3 Depth=1
	ds_load_b128 v[36:39], v1 offset:28080
	ds_load_b64 v[40:41], v1 offset:28600
	s_wait_dscnt 0x1
	v_dual_mov_b32 v80, v39 :: v_dual_mov_b32 v81, v38
	s_wait_dscnt 0x0
	v_dual_mul_f32 v79, v41, v37 :: v_dual_mul_f32 v0, v40, v37
	s_delay_alu instid0(VALU_DEP_1) | instskip(NEXT) | instid1(VALU_DEP_1)
	v_xor_b32_e32 v82, 0x80000000, v79
	v_dual_fmac_f32 v0, v41, v36 :: v_dual_fmac_f32 v82, v40, v36
	s_delay_alu instid0(VALU_DEP_1) | instskip(NEXT) | instid1(VALU_DEP_1)
	v_pk_mul_f32 v[36:37], v[0:1], v[80:81] op_sel_hi:[0,1]
	v_pk_fma_f32 v[40:41], v[82:83], v[38:39], v[36:37] op_sel_hi:[0,1,1]
	v_pk_fma_f32 v[36:37], v[82:83], v[38:39], v[36:37] neg_lo:[0,0,1] neg_hi:[0,0,1]
	s_delay_alu instid0(VALU_DEP_2)
	v_mov_b32_e32 v37, v41
	ds_store_b64 v1, v[36:37] offset:28088
.LBB58_893:                             ;   in Loop: Header=BB58_3 Depth=1
	s_or_b32 exec_lo, exec_lo, s96
	v_mov_b32_e32 v36, 0
	s_wait_dscnt 0x0
	s_barrier_signal -1
	s_barrier_wait -1
	s_delay_alu instid0(VALU_DEP_1)
	v_mov_b32_e32 v37, v36
	s_and_saveexec_b32 s96, s3
	s_cbranch_execz .LBB58_903
; %bb.894:                              ;   in Loop: Header=BB58_3 Depth=1
	ds_load_b64 v[36:37], v55 offset:25024
	ds_load_b64 v[38:39], v52 offset:24960
	s_wait_dscnt 0x0
	v_dual_mul_f32 v0, v39, v37 :: v_dual_mul_f32 v40, v38, v37
	s_delay_alu instid0(VALU_DEP_1) | instskip(NEXT) | instid1(VALU_DEP_2)
	v_fma_f32 v0, v38, v36, -v0
	v_fmac_f32_e32 v40, v39, v36
	s_delay_alu instid0(VALU_DEP_2) | instskip(NEXT) | instid1(VALU_DEP_2)
	v_add_f32_e32 v37, 0, v0
	v_add_f32_e32 v36, 0, v40
	s_and_saveexec_b32 s6, s18
	s_cbranch_execnz .LBB58_1090
; %bb.895:                              ;   in Loop: Header=BB58_3 Depth=1
	s_or_b32 exec_lo, exec_lo, s6
	s_and_saveexec_b32 s6, s19
	s_cbranch_execnz .LBB58_1091
.LBB58_896:                             ;   in Loop: Header=BB58_3 Depth=1
	s_or_b32 exec_lo, exec_lo, s6
	s_and_saveexec_b32 s6, s20
	s_cbranch_execnz .LBB58_1092
.LBB58_897:                             ;   in Loop: Header=BB58_3 Depth=1
	s_or_b32 exec_lo, exec_lo, s6
	s_and_saveexec_b32 s6, s21
	s_cbranch_execnz .LBB58_1093
.LBB58_898:                             ;   in Loop: Header=BB58_3 Depth=1
	s_or_b32 exec_lo, exec_lo, s6
	s_and_saveexec_b32 s6, s22
	s_cbranch_execnz .LBB58_1094
.LBB58_899:                             ;   in Loop: Header=BB58_3 Depth=1
	s_or_b32 exec_lo, exec_lo, s6
	s_and_saveexec_b32 s6, s2
	s_cbranch_execnz .LBB58_1095
.LBB58_900:                             ;   in Loop: Header=BB58_3 Depth=1
	s_or_b32 exec_lo, exec_lo, s6
	s_and_saveexec_b32 s6, s17
	s_cbranch_execz .LBB58_902
.LBB58_901:                             ;   in Loop: Header=BB58_3 Depth=1
	ds_load_b64 v[38:39], v46 offset:28608
	ds_load_b64 v[40:41], v1 offset:25016
	s_wait_dscnt 0x0
	v_pk_mul_f32 v[80:81], v[40:41], v[38:39] op_sel:[0,1]
	s_delay_alu instid0(VALU_DEP_1) | instskip(SKIP_1) | instid1(VALU_DEP_2)
	v_pk_fma_f32 v[82:83], v[40:41], v[38:39], v[80:81] op_sel:[1,0,0] op_sel_hi:[0,0,1] neg_lo:[0,0,1] neg_hi:[0,0,1]
	v_pk_fma_f32 v[38:39], v[40:41], v[38:39], v[80:81] op_sel:[1,0,0] op_sel_hi:[0,1,1]
	v_mov_b32_e32 v39, v83
	s_delay_alu instid0(VALU_DEP_1)
	v_pk_add_f32 v[36:37], v[36:37], v[38:39]
.LBB58_902:                             ;   in Loop: Header=BB58_3 Depth=1
	s_or_b32 exec_lo, exec_lo, s6
	s_delay_alu instid0(VALU_DEP_1) | instskip(NEXT) | instid1(VALU_DEP_1)
	v_pk_add_f32 v[38:39], v[36:37], 0 neg_lo:[1,1] neg_hi:[1,1]
	v_dual_mov_b32 v36, v39 :: v_dual_mov_b32 v37, v38
.LBB58_903:                             ;   in Loop: Header=BB58_3 Depth=1
	s_or_b32 exec_lo, exec_lo, s96
	s_and_saveexec_b32 s6, s51
	s_cbranch_execz .LBB58_905
; %bb.904:                              ;   in Loop: Header=BB58_3 Depth=1
	ds_load_b64 v[38:39], v1 offset:29120
	v_dual_mov_b32 v40, v37 :: v_dual_mov_b32 v41, v36
	s_wait_dscnt 0x0
	s_delay_alu instid0(VALU_DEP_1) | instskip(NEXT) | instid1(VALU_DEP_1)
	v_dual_mul_f32 v0, v40, v38 :: v_dual_mul_f32 v80, v37, v39
	v_pk_fma_f32 v[40:41], v[40:41], v[38:39], v[0:1] op_sel_hi:[1,1,0]
	s_delay_alu instid0(VALU_DEP_2) | instskip(NEXT) | instid1(VALU_DEP_2)
	v_pk_fma_f32 v[36:37], v[36:37], v[38:39], v[80:81] op_sel_hi:[1,1,0] neg_lo:[0,0,1] neg_hi:[0,0,1]
	v_mov_b32_e32 v37, v41
	ds_store_b64 v54, v[36:37]
.LBB58_905:                             ;   in Loop: Header=BB58_3 Depth=1
	s_or_b32 exec_lo, exec_lo, s6
	s_wait_dscnt 0x0
	s_barrier_signal -1
	s_barrier_wait -1
	s_and_saveexec_b32 s6, s52
	s_cbranch_execz .LBB58_907
; %bb.906:                              ;   in Loop: Header=BB58_3 Depth=1
	ds_load_b64 v[38:39], v53 offset:29120
	ds_load_b64 v[40:41], v54
	s_wait_dscnt 0x0
	v_dual_mul_f32 v0, v41, v39 :: v_dual_mul_f32 v81, v40, v39
	s_delay_alu instid0(VALU_DEP_1) | instskip(NEXT) | instid1(VALU_DEP_1)
	v_dual_fma_f32 v80, v40, v38, -v0 :: v_dual_fmac_f32 v81, v41, v38
	v_pk_add_f32 v[36:37], v[36:37], v[80:81]
.LBB58_907:                             ;   in Loop: Header=BB58_3 Depth=1
	s_or_b32 exec_lo, exec_lo, s6
	s_barrier_signal -1
	s_barrier_wait -1
	s_and_saveexec_b32 s6, s53
	s_cbranch_execz .LBB58_909
; %bb.908:                              ;   in Loop: Header=BB58_3 Depth=1
	ds_load_b64 v[38:39], v1 offset:29640
	s_wait_dscnt 0x0
	v_pk_mul_f32 v[40:41], v[36:37], v[38:39] op_sel:[1,1] op_sel_hi:[1,0]
	s_delay_alu instid0(VALU_DEP_1) | instskip(SKIP_1) | instid1(VALU_DEP_2)
	v_pk_fma_f32 v[80:81], v[36:37], v[38:39], v[40:41] op_sel_hi:[0,1,1]
	v_pk_fma_f32 v[36:37], v[36:37], v[38:39], v[40:41] op_sel_hi:[0,1,1] neg_lo:[0,0,1] neg_hi:[0,0,1]
	v_mov_b32_e32 v37, v81
	ds_store_b64 v54, v[36:37]
.LBB58_909:                             ;   in Loop: Header=BB58_3 Depth=1
	s_or_b32 exec_lo, exec_lo, s6
	s_wait_dscnt 0x0
	s_barrier_signal -1
	s_barrier_wait -1
	s_and_saveexec_b32 s6, s54
	s_cbranch_execz .LBB58_911
; %bb.910:                              ;   in Loop: Header=BB58_3 Depth=1
	ds_load_b64 v[38:39], v53 offset:29632
	ds_load_b64 v[40:41], v54
	s_wait_dscnt 0x0
	v_pk_mul_f32 v[80:81], v[40:41], v[38:39] op_sel:[1,1] op_sel_hi:[0,1]
	s_delay_alu instid0(VALU_DEP_1) | instskip(SKIP_1) | instid1(VALU_DEP_2)
	v_pk_fma_f32 v[82:83], v[40:41], v[38:39], v[80:81] op_sel_hi:[1,0,1]
	v_pk_fma_f32 v[38:39], v[40:41], v[38:39], v[80:81] op_sel_hi:[1,0,1] neg_lo:[0,0,1] neg_hi:[0,0,1]
	v_mov_b32_e32 v39, v83
	s_delay_alu instid0(VALU_DEP_1)
	v_pk_add_f32 v[36:37], v[36:37], v[38:39]
.LBB58_911:                             ;   in Loop: Header=BB58_3 Depth=1
	s_or_b32 exec_lo, exec_lo, s6
	s_barrier_signal -1
	s_barrier_wait -1
	s_and_saveexec_b32 s6, s55
	s_cbranch_execz .LBB58_913
; %bb.912:                              ;   in Loop: Header=BB58_3 Depth=1
	ds_load_b64 v[38:39], v1 offset:30160
	s_wait_dscnt 0x0
	v_pk_mul_f32 v[40:41], v[36:37], v[38:39] op_sel:[1,1] op_sel_hi:[1,0]
	s_delay_alu instid0(VALU_DEP_1) | instskip(SKIP_1) | instid1(VALU_DEP_2)
	v_pk_fma_f32 v[80:81], v[36:37], v[38:39], v[40:41] op_sel_hi:[0,1,1]
	v_pk_fma_f32 v[36:37], v[36:37], v[38:39], v[40:41] op_sel_hi:[0,1,1] neg_lo:[0,0,1] neg_hi:[0,0,1]
	v_mov_b32_e32 v37, v81
	ds_store_b64 v54, v[36:37]
.LBB58_913:                             ;   in Loop: Header=BB58_3 Depth=1
	s_or_b32 exec_lo, exec_lo, s6
	s_wait_dscnt 0x0
	s_barrier_signal -1
	s_barrier_wait -1
	s_and_saveexec_b32 s6, s56
	s_cbranch_execz .LBB58_915
; %bb.914:                              ;   in Loop: Header=BB58_3 Depth=1
	ds_load_b64 v[38:39], v53 offset:30144
	ds_load_b64 v[40:41], v54
	s_wait_dscnt 0x0
	v_pk_mul_f32 v[80:81], v[40:41], v[38:39] op_sel:[1,1] op_sel_hi:[0,1]
	s_delay_alu instid0(VALU_DEP_1) | instskip(SKIP_1) | instid1(VALU_DEP_2)
	v_pk_fma_f32 v[82:83], v[40:41], v[38:39], v[80:81] op_sel_hi:[1,0,1]
	v_pk_fma_f32 v[38:39], v[40:41], v[38:39], v[80:81] op_sel_hi:[1,0,1] neg_lo:[0,0,1] neg_hi:[0,0,1]
	v_mov_b32_e32 v39, v83
	s_delay_alu instid0(VALU_DEP_1)
	v_pk_add_f32 v[36:37], v[36:37], v[38:39]
.LBB58_915:                             ;   in Loop: Header=BB58_3 Depth=1
	;; [unrolled: 33-line block ×3, first 2 shown]
	s_or_b32 exec_lo, exec_lo, s6
	s_barrier_signal -1
	s_barrier_wait -1
	s_and_saveexec_b32 s6, s59
	s_cbranch_execz .LBB58_921
; %bb.920:                              ;   in Loop: Header=BB58_3 Depth=1
	ds_load_b64 v[38:39], v1 offset:31200
	s_wait_dscnt 0x0
	v_dual_mul_f32 v0, v36, v39 :: v_dual_mul_f32 v40, v37, v39
	s_delay_alu instid0(VALU_DEP_1) | instskip(NEXT) | instid1(VALU_DEP_2)
	v_pk_fma_f32 v[80:81], v[36:37], v[38:39], v[0:1] op_sel:[0,1,0] op_sel_hi:[1,0,0]
	v_pk_fma_f32 v[38:39], v[36:37], v[38:39], v[40:41] op_sel_hi:[1,1,0] neg_lo:[0,0,1] neg_hi:[0,0,1]
	s_delay_alu instid0(VALU_DEP_2) | instskip(NEXT) | instid1(VALU_DEP_1)
	v_mov_b32_e32 v39, v81
	v_mov_b64_e32 v[36:37], v[38:39]
	ds_store_b64 v54, v[38:39]
.LBB58_921:                             ;   in Loop: Header=BB58_3 Depth=1
	s_or_b32 exec_lo, exec_lo, s6
	s_wait_dscnt 0x0
	s_barrier_signal -1
	s_barrier_wait -1
	s_and_saveexec_b32 s6, s60
	s_cbranch_execz .LBB58_923
; %bb.922:                              ;   in Loop: Header=BB58_3 Depth=1
	ds_load_b64 v[38:39], v53 offset:31168
	ds_load_b64 v[40:41], v54
	s_wait_dscnt 0x0
	v_dual_mul_f32 v0, v41, v39 :: v_dual_mul_f32 v81, v40, v39
	s_delay_alu instid0(VALU_DEP_1) | instskip(NEXT) | instid1(VALU_DEP_1)
	v_dual_fma_f32 v80, v40, v38, -v0 :: v_dual_fmac_f32 v81, v41, v38
	v_pk_add_f32 v[36:37], v[36:37], v[80:81]
.LBB58_923:                             ;   in Loop: Header=BB58_3 Depth=1
	s_or_b32 exec_lo, exec_lo, s6
	s_barrier_signal -1
	s_barrier_wait -1
	s_and_saveexec_b32 s6, s61
	s_cbranch_execz .LBB58_925
; %bb.924:                              ;   in Loop: Header=BB58_3 Depth=1
	ds_load_b64 v[38:39], v1 offset:31720
	s_wait_dscnt 0x0
	v_pk_mul_f32 v[40:41], v[36:37], v[38:39] op_sel:[1,1] op_sel_hi:[1,0]
	s_delay_alu instid0(VALU_DEP_1) | instskip(SKIP_1) | instid1(VALU_DEP_2)
	v_pk_fma_f32 v[80:81], v[36:37], v[38:39], v[40:41] op_sel_hi:[0,1,1]
	v_pk_fma_f32 v[38:39], v[36:37], v[38:39], v[40:41] neg_lo:[0,0,1] neg_hi:[0,0,1]
	v_mov_b32_e32 v39, v81
	s_delay_alu instid0(VALU_DEP_1)
	v_mov_b64_e32 v[36:37], v[38:39]
	ds_store_b64 v54, v[38:39]
.LBB58_925:                             ;   in Loop: Header=BB58_3 Depth=1
	s_or_b32 exec_lo, exec_lo, s6
	s_wait_dscnt 0x0
	s_barrier_signal -1
	s_barrier_wait -1
	s_and_saveexec_b32 s6, s62
	s_cbranch_execz .LBB58_927
; %bb.926:                              ;   in Loop: Header=BB58_3 Depth=1
	ds_load_b64 v[38:39], v53 offset:31680
	ds_load_b64 v[40:41], v54
	s_wait_dscnt 0x0
	v_pk_mul_f32 v[80:81], v[40:41], v[38:39] op_sel:[1,1] op_sel_hi:[0,1]
	s_delay_alu instid0(VALU_DEP_1) | instskip(SKIP_1) | instid1(VALU_DEP_2)
	v_pk_fma_f32 v[82:83], v[40:41], v[38:39], v[80:81] op_sel_hi:[1,0,1]
	v_pk_fma_f32 v[38:39], v[40:41], v[38:39], v[80:81] neg_lo:[0,0,1] neg_hi:[0,0,1]
	v_mov_b32_e32 v39, v83
	s_delay_alu instid0(VALU_DEP_1)
	v_pk_add_f32 v[36:37], v[36:37], v[38:39]
.LBB58_927:                             ;   in Loop: Header=BB58_3 Depth=1
	s_or_b32 exec_lo, exec_lo, s6
	s_barrier_signal -1
	s_barrier_wait -1
	s_and_saveexec_b32 s6, s63
	s_cbranch_execz .LBB58_929
; %bb.928:                              ;   in Loop: Header=BB58_3 Depth=1
	ds_load_b64 v[38:39], v1 offset:32240
	s_wait_dscnt 0x0
	v_pk_mul_f32 v[40:41], v[36:37], v[38:39] op_sel:[1,1] op_sel_hi:[1,0]
	s_delay_alu instid0(VALU_DEP_1) | instskip(SKIP_1) | instid1(VALU_DEP_2)
	v_pk_fma_f32 v[80:81], v[36:37], v[38:39], v[40:41] op_sel_hi:[0,1,1]
	v_pk_fma_f32 v[38:39], v[36:37], v[38:39], v[40:41] neg_lo:[0,0,1] neg_hi:[0,0,1]
	v_mov_b32_e32 v39, v81
	s_delay_alu instid0(VALU_DEP_1)
	v_mov_b64_e32 v[36:37], v[38:39]
	ds_store_b64 v54, v[38:39]
.LBB58_929:                             ;   in Loop: Header=BB58_3 Depth=1
	s_or_b32 exec_lo, exec_lo, s6
	s_wait_dscnt 0x0
	s_barrier_signal -1
	s_barrier_wait -1
	s_and_saveexec_b32 s6, s64
	s_cbranch_execz .LBB58_931
; %bb.930:                              ;   in Loop: Header=BB58_3 Depth=1
	ds_load_b64 v[38:39], v1 offset:32248
	ds_load_b64 v[40:41], v54
	s_wait_dscnt 0x0
	v_pk_mul_f32 v[80:81], v[40:41], v[38:39] op_sel:[1,1] op_sel_hi:[0,1]
	s_delay_alu instid0(VALU_DEP_1) | instskip(SKIP_1) | instid1(VALU_DEP_2)
	v_pk_fma_f32 v[82:83], v[40:41], v[38:39], v[80:81] op_sel_hi:[1,0,1]
	v_pk_fma_f32 v[38:39], v[40:41], v[38:39], v[80:81] neg_lo:[0,0,1] neg_hi:[0,0,1]
	v_mov_b32_e32 v39, v83
	s_delay_alu instid0(VALU_DEP_1)
	v_pk_add_f32 v[36:37], v[36:37], v[38:39]
.LBB58_931:                             ;   in Loop: Header=BB58_3 Depth=1
	s_or_b32 exec_lo, exec_lo, s6
	s_barrier_signal -1
	s_barrier_wait -1
	s_and_saveexec_b32 s6, s64
	s_cbranch_execz .LBB58_933
; %bb.932:                              ;   in Loop: Header=BB58_3 Depth=1
	ds_load_b64 v[38:39], v1 offset:32760
	s_wait_dscnt 0x0
	v_pk_mul_f32 v[40:41], v[36:37], v[38:39] op_sel:[1,1] op_sel_hi:[1,0]
	s_delay_alu instid0(VALU_DEP_1) | instskip(SKIP_1) | instid1(VALU_DEP_2)
	v_pk_fma_f32 v[80:81], v[36:37], v[38:39], v[40:41] op_sel_hi:[0,1,1]
	v_pk_fma_f32 v[38:39], v[36:37], v[38:39], v[40:41] neg_lo:[0,0,1] neg_hi:[0,0,1]
	v_mov_b32_e32 v39, v81
	s_delay_alu instid0(VALU_DEP_1)
	v_mov_b64_e32 v[36:37], v[38:39]
	ds_store_b64 v54, v[38:39]
.LBB58_933:                             ;   in Loop: Header=BB58_3 Depth=1
	s_or_b32 exec_lo, exec_lo, s6
	s_wait_dscnt 0x0
	s_barrier_signal -1
	s_barrier_wait -1
	s_barrier_signal -1
	s_barrier_wait -1
	s_and_saveexec_b32 s6, s3
; %bb.934:                              ;   in Loop: Header=BB58_3 Depth=1
	v_pk_add_f32 v[36:37], v[36:37], 0 neg_lo:[1,1] neg_hi:[1,1]
	ds_store_b64 v55, v[36:37] offset:25024
; %bb.935:                              ;   in Loop: Header=BB58_3 Depth=1
	s_or_b32 exec_lo, exec_lo, s6
	s_wait_dscnt 0x0
	s_barrier_signal -1
	s_barrier_wait -1
	s_barrier_signal -1
	s_barrier_wait -1
	s_and_saveexec_b32 s96, s14
	s_cbranch_execz .LBB58_937
; %bb.936:                              ;   in Loop: Header=BB58_3 Depth=1
	ds_load_b128 v[36:39], v1 offset:29120
	ds_load_b64 v[40:41], v1 offset:29640
	s_wait_dscnt 0x1
	v_dual_mov_b32 v80, v39 :: v_dual_mov_b32 v81, v38
	s_wait_dscnt 0x0
	v_dual_mul_f32 v79, v41, v37 :: v_dual_mul_f32 v0, v40, v37
	s_delay_alu instid0(VALU_DEP_1) | instskip(NEXT) | instid1(VALU_DEP_1)
	v_xor_b32_e32 v82, 0x80000000, v79
	v_dual_fmac_f32 v0, v41, v36 :: v_dual_fmac_f32 v82, v40, v36
	s_delay_alu instid0(VALU_DEP_1) | instskip(NEXT) | instid1(VALU_DEP_1)
	v_pk_mul_f32 v[36:37], v[0:1], v[80:81] op_sel_hi:[0,1]
	v_pk_fma_f32 v[40:41], v[82:83], v[38:39], v[36:37] op_sel_hi:[0,1,1]
	v_pk_fma_f32 v[36:37], v[82:83], v[38:39], v[36:37] neg_lo:[0,0,1] neg_hi:[0,0,1]
	s_delay_alu instid0(VALU_DEP_2)
	v_mov_b32_e32 v37, v41
	ds_store_b64 v1, v[36:37] offset:29128
.LBB58_937:                             ;   in Loop: Header=BB58_3 Depth=1
	s_or_b32 exec_lo, exec_lo, s96
	v_mov_b32_e32 v37, 0
	s_wait_dscnt 0x0
	s_barrier_signal -1
	s_barrier_wait -1
	s_delay_alu instid0(VALU_DEP_1)
	v_mov_b32_e32 v36, v37
	s_and_saveexec_b32 s96, s1
	s_cbranch_execz .LBB58_941
; %bb.938:                              ;   in Loop: Header=BB58_3 Depth=1
	ds_load_b64 v[36:37], v44 offset:29136
	ds_load_b64 v[38:39], v45 offset:29120
	s_wait_dscnt 0x0
	v_dual_mul_f32 v0, v39, v37 :: v_dual_mul_f32 v41, v38, v37
	s_delay_alu instid0(VALU_DEP_1) | instskip(NEXT) | instid1(VALU_DEP_1)
	v_dual_fma_f32 v40, v38, v36, -v0 :: v_dual_fmac_f32 v41, v39, v36
	v_pk_add_f32 v[36:37], v[40:41], 0 op_sel_hi:[1,0]
	s_and_saveexec_b32 s6, s15
	s_cbranch_execz .LBB58_940
; %bb.939:                              ;   in Loop: Header=BB58_3 Depth=1
	ds_load_b64 v[38:39], v46 offset:29648
	ds_load_b64 v[40:41], v1 offset:29128
	s_wait_dscnt 0x0
	v_pk_mul_f32 v[80:81], v[40:41], v[38:39] op_sel:[1,1] op_sel_hi:[0,1]
	s_delay_alu instid0(VALU_DEP_1) | instskip(SKIP_1) | instid1(VALU_DEP_2)
	v_pk_fma_f32 v[82:83], v[40:41], v[38:39], v[80:81] op_sel_hi:[1,0,1]
	v_pk_fma_f32 v[38:39], v[40:41], v[38:39], v[80:81] neg_lo:[0,0,1] neg_hi:[0,0,1]
	v_mov_b32_e32 v39, v83
	s_delay_alu instid0(VALU_DEP_1)
	v_pk_add_f32 v[36:37], v[36:37], v[38:39]
.LBB58_940:                             ;   in Loop: Header=BB58_3 Depth=1
	s_or_b32 exec_lo, exec_lo, s6
	s_delay_alu instid0(VALU_DEP_1)
	v_pk_add_f32 v[36:37], v[36:37], 0 neg_lo:[1,1] neg_hi:[1,1]
.LBB58_941:                             ;   in Loop: Header=BB58_3 Depth=1
	s_or_b32 exec_lo, exec_lo, s96
	s_and_saveexec_b32 s6, s43
	s_cbranch_execz .LBB58_943
; %bb.942:                              ;   in Loop: Header=BB58_3 Depth=1
	ds_load_b64 v[38:39], v1 offset:30160
	s_wait_dscnt 0x0
	v_pk_mul_f32 v[40:41], v[36:37], v[38:39] op_sel:[1,1] op_sel_hi:[1,0]
	s_delay_alu instid0(VALU_DEP_1) | instskip(SKIP_1) | instid1(VALU_DEP_2)
	v_pk_fma_f32 v[80:81], v[36:37], v[38:39], v[40:41] op_sel_hi:[0,1,1]
	v_pk_fma_f32 v[38:39], v[36:37], v[38:39], v[40:41] neg_lo:[0,0,1] neg_hi:[0,0,1]
	v_mov_b32_e32 v39, v81
	s_delay_alu instid0(VALU_DEP_1)
	v_mov_b64_e32 v[36:37], v[38:39]
	ds_store_b64 v3, v[38:39]
.LBB58_943:                             ;   in Loop: Header=BB58_3 Depth=1
	s_or_b32 exec_lo, exec_lo, s6
	s_wait_dscnt 0x0
	s_barrier_signal -1
	s_barrier_wait -1
	s_and_saveexec_b32 s6, s44
	s_cbranch_execz .LBB58_945
; %bb.944:                              ;   in Loop: Header=BB58_3 Depth=1
	ds_load_b64 v[38:39], v1 offset:30168
	ds_load_b64 v[40:41], v3
	s_wait_dscnt 0x0
	v_pk_mul_f32 v[80:81], v[40:41], v[38:39] op_sel:[1,1] op_sel_hi:[0,1]
	s_delay_alu instid0(VALU_DEP_1) | instskip(SKIP_1) | instid1(VALU_DEP_2)
	v_pk_fma_f32 v[82:83], v[40:41], v[38:39], v[80:81] op_sel_hi:[1,0,1]
	v_pk_fma_f32 v[38:39], v[40:41], v[38:39], v[80:81] neg_lo:[0,0,1] neg_hi:[0,0,1]
	v_mov_b32_e32 v39, v83
	s_delay_alu instid0(VALU_DEP_1)
	v_pk_add_f32 v[36:37], v[36:37], v[38:39]
.LBB58_945:                             ;   in Loop: Header=BB58_3 Depth=1
	s_or_b32 exec_lo, exec_lo, s6
	s_barrier_signal -1
	s_barrier_wait -1
	s_and_saveexec_b32 s6, s44
	s_cbranch_execz .LBB58_947
; %bb.946:                              ;   in Loop: Header=BB58_3 Depth=1
	ds_load_b64 v[38:39], v1 offset:30680
	s_wait_dscnt 0x0
	v_pk_mul_f32 v[40:41], v[36:37], v[38:39] op_sel:[1,1] op_sel_hi:[1,0]
	s_delay_alu instid0(VALU_DEP_1) | instskip(SKIP_1) | instid1(VALU_DEP_2)
	v_pk_fma_f32 v[80:81], v[36:37], v[38:39], v[40:41] op_sel_hi:[0,1,1]
	v_pk_fma_f32 v[38:39], v[36:37], v[38:39], v[40:41] neg_lo:[0,0,1] neg_hi:[0,0,1]
	v_mov_b32_e32 v39, v81
	s_delay_alu instid0(VALU_DEP_1)
	v_mov_b64_e32 v[36:37], v[38:39]
	ds_store_b64 v3, v[38:39]
.LBB58_947:                             ;   in Loop: Header=BB58_3 Depth=1
	s_or_b32 exec_lo, exec_lo, s6
	s_wait_dscnt 0x0
	s_barrier_signal -1
	s_barrier_wait -1
	s_barrier_signal -1
	s_barrier_wait -1
	s_and_saveexec_b32 s6, s1
; %bb.948:                              ;   in Loop: Header=BB58_3 Depth=1
	v_pk_add_f32 v[36:37], v[36:37], 0 neg_lo:[1,1] neg_hi:[1,1]
	ds_store_b64 v44, v[36:37] offset:29136
; %bb.949:                              ;   in Loop: Header=BB58_3 Depth=1
	s_or_b32 exec_lo, exec_lo, s6
	s_wait_dscnt 0x0
	s_barrier_signal -1
	s_barrier_wait -1
	s_barrier_signal -1
	s_barrier_wait -1
	s_and_saveexec_b32 s96, s14
	s_cbranch_execz .LBB58_951
; %bb.950:                              ;   in Loop: Header=BB58_3 Depth=1
	ds_load_b128 v[36:39], v1 offset:30160
	ds_load_b64 v[40:41], v1 offset:30680
	s_wait_dscnt 0x1
	v_dual_mov_b32 v80, v39 :: v_dual_mov_b32 v81, v38
	s_wait_dscnt 0x0
	v_dual_mul_f32 v79, v41, v37 :: v_dual_mul_f32 v0, v40, v37
	s_delay_alu instid0(VALU_DEP_1) | instskip(NEXT) | instid1(VALU_DEP_1)
	v_xor_b32_e32 v82, 0x80000000, v79
	v_dual_fmac_f32 v0, v41, v36 :: v_dual_fmac_f32 v82, v40, v36
	s_delay_alu instid0(VALU_DEP_1) | instskip(NEXT) | instid1(VALU_DEP_1)
	v_pk_mul_f32 v[36:37], v[0:1], v[80:81] op_sel_hi:[0,1]
	v_pk_fma_f32 v[40:41], v[82:83], v[38:39], v[36:37] op_sel_hi:[0,1,1]
	v_pk_fma_f32 v[36:37], v[82:83], v[38:39], v[36:37] neg_lo:[0,0,1] neg_hi:[0,0,1]
	s_delay_alu instid0(VALU_DEP_2)
	v_mov_b32_e32 v37, v41
	ds_store_b64 v1, v[36:37] offset:30168
.LBB58_951:                             ;   in Loop: Header=BB58_3 Depth=1
	s_or_b32 exec_lo, exec_lo, s96
	v_mov_b32_e32 v36, 0
	s_wait_dscnt 0x0
	s_barrier_signal -1
	s_barrier_wait -1
	s_delay_alu instid0(VALU_DEP_1)
	v_mov_b32_e32 v37, v36
	s_and_saveexec_b32 s96, s2
	s_cbranch_execz .LBB58_957
; %bb.952:                              ;   in Loop: Header=BB58_3 Depth=1
	ds_load_b64 v[36:37], v50 offset:29152
	ds_load_b64 v[38:39], v47 offset:29120
	s_wait_dscnt 0x0
	v_pk_mul_f32 v[40:41], v[38:39], v[36:37] op_sel:[0,1]
	s_delay_alu instid0(VALU_DEP_1) | instskip(SKIP_1) | instid1(VALU_DEP_2)
	v_pk_fma_f32 v[80:81], v[38:39], v[36:37], v[40:41] op_sel:[1,0,0] op_sel_hi:[0,0,1] neg_lo:[0,0,1] neg_hi:[0,0,1]
	v_pk_fma_f32 v[36:37], v[38:39], v[36:37], v[40:41] op_sel:[1,0,0] op_sel_hi:[0,1,1]
	v_mov_b32_e32 v37, v81
	s_delay_alu instid0(VALU_DEP_1)
	v_pk_add_f32 v[36:37], v[36:37], 0 op_sel_hi:[1,0]
	s_and_saveexec_b32 s6, s16
	s_cbranch_execnz .LBB58_1096
; %bb.953:                              ;   in Loop: Header=BB58_3 Depth=1
	s_or_b32 exec_lo, exec_lo, s6
	s_and_saveexec_b32 s6, s17
	s_cbranch_execnz .LBB58_1097
.LBB58_954:                             ;   in Loop: Header=BB58_3 Depth=1
	s_or_b32 exec_lo, exec_lo, s6
	s_and_saveexec_b32 s6, s1
	s_cbranch_execz .LBB58_956
.LBB58_955:                             ;   in Loop: Header=BB58_3 Depth=1
	ds_load_b64 v[38:39], v46 offset:30688
	ds_load_b64 v[40:41], v1 offset:29144
	s_wait_dscnt 0x0
	v_pk_mul_f32 v[80:81], v[40:41], v[38:39] op_sel:[0,1]
	s_delay_alu instid0(VALU_DEP_1) | instskip(SKIP_1) | instid1(VALU_DEP_2)
	v_pk_fma_f32 v[82:83], v[40:41], v[38:39], v[80:81] op_sel:[1,0,0] op_sel_hi:[0,0,1] neg_lo:[0,0,1] neg_hi:[0,0,1]
	v_pk_fma_f32 v[38:39], v[40:41], v[38:39], v[80:81] op_sel:[1,0,0] op_sel_hi:[0,1,1]
	v_mov_b32_e32 v39, v83
	s_delay_alu instid0(VALU_DEP_1)
	v_pk_add_f32 v[36:37], v[36:37], v[38:39]
.LBB58_956:                             ;   in Loop: Header=BB58_3 Depth=1
	s_or_b32 exec_lo, exec_lo, s6
	s_delay_alu instid0(VALU_DEP_1) | instskip(NEXT) | instid1(VALU_DEP_1)
	v_pk_add_f32 v[38:39], v[36:37], 0 neg_lo:[1,1] neg_hi:[1,1]
	v_dual_mov_b32 v36, v39 :: v_dual_mov_b32 v37, v38
.LBB58_957:                             ;   in Loop: Header=BB58_3 Depth=1
	s_or_b32 exec_lo, exec_lo, s96
	s_and_saveexec_b32 s6, s45
	s_cbranch_execz .LBB58_959
; %bb.958:                              ;   in Loop: Header=BB58_3 Depth=1
	ds_load_b64 v[38:39], v1 offset:31200
	v_dual_mov_b32 v40, v37 :: v_dual_mov_b32 v41, v36
	s_wait_dscnt 0x0
	s_delay_alu instid0(VALU_DEP_1) | instskip(NEXT) | instid1(VALU_DEP_1)
	v_dual_mul_f32 v0, v40, v38 :: v_dual_mul_f32 v80, v37, v39
	v_pk_fma_f32 v[40:41], v[40:41], v[38:39], v[0:1] op_sel_hi:[1,1,0]
	s_delay_alu instid0(VALU_DEP_2) | instskip(NEXT) | instid1(VALU_DEP_2)
	v_pk_fma_f32 v[36:37], v[36:37], v[38:39], v[80:81] op_sel_hi:[1,1,0] neg_lo:[0,0,1] neg_hi:[0,0,1]
	v_mov_b32_e32 v37, v41
	ds_store_b64 v48, v[36:37]
.LBB58_959:                             ;   in Loop: Header=BB58_3 Depth=1
	s_or_b32 exec_lo, exec_lo, s6
	s_wait_dscnt 0x0
	s_barrier_signal -1
	s_barrier_wait -1
	s_and_saveexec_b32 s6, s46
	s_cbranch_execz .LBB58_961
; %bb.960:                              ;   in Loop: Header=BB58_3 Depth=1
	ds_load_b64 v[38:39], v49 offset:31200
	ds_load_b64 v[40:41], v48
	s_wait_dscnt 0x0
	v_dual_mul_f32 v0, v41, v39 :: v_dual_mul_f32 v81, v40, v39
	s_delay_alu instid0(VALU_DEP_1) | instskip(NEXT) | instid1(VALU_DEP_1)
	v_dual_fma_f32 v80, v40, v38, -v0 :: v_dual_fmac_f32 v81, v41, v38
	v_pk_add_f32 v[36:37], v[36:37], v[80:81]
.LBB58_961:                             ;   in Loop: Header=BB58_3 Depth=1
	s_or_b32 exec_lo, exec_lo, s6
	s_barrier_signal -1
	s_barrier_wait -1
	s_and_saveexec_b32 s6, s47
	s_cbranch_execz .LBB58_963
; %bb.962:                              ;   in Loop: Header=BB58_3 Depth=1
	ds_load_b64 v[38:39], v1 offset:31720
	s_wait_dscnt 0x0
	v_pk_mul_f32 v[40:41], v[36:37], v[38:39] op_sel:[1,1] op_sel_hi:[1,0]
	s_delay_alu instid0(VALU_DEP_1) | instskip(SKIP_1) | instid1(VALU_DEP_2)
	v_pk_fma_f32 v[80:81], v[36:37], v[38:39], v[40:41] op_sel_hi:[0,1,1]
	v_pk_fma_f32 v[38:39], v[36:37], v[38:39], v[40:41] neg_lo:[0,0,1] neg_hi:[0,0,1]
	v_mov_b32_e32 v39, v81
	s_delay_alu instid0(VALU_DEP_1)
	v_mov_b64_e32 v[36:37], v[38:39]
	ds_store_b64 v48, v[38:39]
.LBB58_963:                             ;   in Loop: Header=BB58_3 Depth=1
	s_or_b32 exec_lo, exec_lo, s6
	s_wait_dscnt 0x0
	s_barrier_signal -1
	s_barrier_wait -1
	s_and_saveexec_b32 s6, s48
	s_cbranch_execz .LBB58_965
; %bb.964:                              ;   in Loop: Header=BB58_3 Depth=1
	ds_load_b64 v[38:39], v49 offset:31712
	ds_load_b64 v[40:41], v48
	s_wait_dscnt 0x0
	v_pk_mul_f32 v[80:81], v[40:41], v[38:39] op_sel:[1,1] op_sel_hi:[0,1]
	s_delay_alu instid0(VALU_DEP_1) | instskip(SKIP_1) | instid1(VALU_DEP_2)
	v_pk_fma_f32 v[82:83], v[40:41], v[38:39], v[80:81] op_sel_hi:[1,0,1]
	v_pk_fma_f32 v[38:39], v[40:41], v[38:39], v[80:81] neg_lo:[0,0,1] neg_hi:[0,0,1]
	v_mov_b32_e32 v39, v83
	s_delay_alu instid0(VALU_DEP_1)
	v_pk_add_f32 v[36:37], v[36:37], v[38:39]
.LBB58_965:                             ;   in Loop: Header=BB58_3 Depth=1
	s_or_b32 exec_lo, exec_lo, s6
	s_barrier_signal -1
	s_barrier_wait -1
	s_and_saveexec_b32 s6, s49
	s_cbranch_execz .LBB58_967
; %bb.966:                              ;   in Loop: Header=BB58_3 Depth=1
	ds_load_b64 v[38:39], v1 offset:32240
	s_wait_dscnt 0x0
	v_pk_mul_f32 v[40:41], v[36:37], v[38:39] op_sel:[1,1] op_sel_hi:[1,0]
	s_delay_alu instid0(VALU_DEP_1) | instskip(SKIP_1) | instid1(VALU_DEP_2)
	v_pk_fma_f32 v[80:81], v[36:37], v[38:39], v[40:41] op_sel_hi:[0,1,1]
	v_pk_fma_f32 v[38:39], v[36:37], v[38:39], v[40:41] neg_lo:[0,0,1] neg_hi:[0,0,1]
	v_mov_b32_e32 v39, v81
	s_delay_alu instid0(VALU_DEP_1)
	v_mov_b64_e32 v[36:37], v[38:39]
	ds_store_b64 v48, v[38:39]
.LBB58_967:                             ;   in Loop: Header=BB58_3 Depth=1
	s_or_b32 exec_lo, exec_lo, s6
	s_wait_dscnt 0x0
	s_barrier_signal -1
	s_barrier_wait -1
	s_and_saveexec_b32 s6, s50
	s_cbranch_execz .LBB58_969
; %bb.968:                              ;   in Loop: Header=BB58_3 Depth=1
	ds_load_b64 v[38:39], v1 offset:32248
	ds_load_b64 v[40:41], v48
	s_wait_dscnt 0x0
	v_pk_mul_f32 v[80:81], v[40:41], v[38:39] op_sel:[1,1] op_sel_hi:[0,1]
	s_delay_alu instid0(VALU_DEP_1) | instskip(SKIP_1) | instid1(VALU_DEP_2)
	v_pk_fma_f32 v[82:83], v[40:41], v[38:39], v[80:81] op_sel_hi:[1,0,1]
	v_pk_fma_f32 v[38:39], v[40:41], v[38:39], v[80:81] neg_lo:[0,0,1] neg_hi:[0,0,1]
	v_mov_b32_e32 v39, v83
	s_delay_alu instid0(VALU_DEP_1)
	v_pk_add_f32 v[36:37], v[36:37], v[38:39]
.LBB58_969:                             ;   in Loop: Header=BB58_3 Depth=1
	s_or_b32 exec_lo, exec_lo, s6
	s_barrier_signal -1
	s_barrier_wait -1
	s_and_saveexec_b32 s6, s50
	s_cbranch_execz .LBB58_971
; %bb.970:                              ;   in Loop: Header=BB58_3 Depth=1
	ds_load_b64 v[38:39], v1 offset:32760
	s_wait_dscnt 0x0
	v_pk_mul_f32 v[40:41], v[36:37], v[38:39] op_sel:[1,1] op_sel_hi:[1,0]
	s_delay_alu instid0(VALU_DEP_1) | instskip(SKIP_1) | instid1(VALU_DEP_2)
	v_pk_fma_f32 v[80:81], v[36:37], v[38:39], v[40:41] op_sel_hi:[0,1,1]
	v_pk_fma_f32 v[38:39], v[36:37], v[38:39], v[40:41] neg_lo:[0,0,1] neg_hi:[0,0,1]
	v_mov_b32_e32 v39, v81
	s_delay_alu instid0(VALU_DEP_1)
	v_mov_b64_e32 v[36:37], v[38:39]
	ds_store_b64 v48, v[38:39]
.LBB58_971:                             ;   in Loop: Header=BB58_3 Depth=1
	s_or_b32 exec_lo, exec_lo, s6
	s_wait_dscnt 0x0
	s_barrier_signal -1
	s_barrier_wait -1
	s_barrier_signal -1
	s_barrier_wait -1
	s_and_saveexec_b32 s6, s2
; %bb.972:                              ;   in Loop: Header=BB58_3 Depth=1
	v_pk_add_f32 v[36:37], v[36:37], 0 neg_lo:[1,1] neg_hi:[1,1]
	ds_store_b64 v50, v[36:37] offset:29152
; %bb.973:                              ;   in Loop: Header=BB58_3 Depth=1
	s_or_b32 exec_lo, exec_lo, s6
	s_wait_dscnt 0x0
	s_barrier_signal -1
	s_barrier_wait -1
	s_barrier_signal -1
	s_barrier_wait -1
	s_and_saveexec_b32 s96, s14
	s_cbranch_execz .LBB58_975
; %bb.974:                              ;   in Loop: Header=BB58_3 Depth=1
	ds_load_b128 v[36:39], v1 offset:31200
	ds_load_b64 v[40:41], v1 offset:31720
	s_wait_dscnt 0x1
	v_dual_mov_b32 v80, v39 :: v_dual_mov_b32 v81, v38
	s_wait_dscnt 0x0
	v_dual_mul_f32 v79, v41, v37 :: v_dual_mul_f32 v0, v40, v37
	s_delay_alu instid0(VALU_DEP_1) | instskip(NEXT) | instid1(VALU_DEP_1)
	v_xor_b32_e32 v82, 0x80000000, v79
	v_dual_fmac_f32 v0, v41, v36 :: v_dual_fmac_f32 v82, v40, v36
	s_delay_alu instid0(VALU_DEP_1) | instskip(NEXT) | instid1(VALU_DEP_1)
	v_pk_mul_f32 v[36:37], v[0:1], v[80:81] op_sel_hi:[0,1]
	v_pk_fma_f32 v[40:41], v[82:83], v[38:39], v[36:37] op_sel_hi:[0,1,1]
	v_pk_fma_f32 v[36:37], v[82:83], v[38:39], v[36:37] neg_lo:[0,0,1] neg_hi:[0,0,1]
	s_delay_alu instid0(VALU_DEP_2)
	v_mov_b32_e32 v37, v41
	ds_store_b64 v1, v[36:37] offset:31208
.LBB58_975:                             ;   in Loop: Header=BB58_3 Depth=1
	s_or_b32 exec_lo, exec_lo, s96
	v_mov_b32_e32 v37, 0
	s_wait_dscnt 0x0
	s_barrier_signal -1
	s_barrier_wait -1
	s_delay_alu instid0(VALU_DEP_1)
	v_mov_b32_e32 v36, v37
	s_and_saveexec_b32 s96, s1
	s_cbranch_execz .LBB58_979
; %bb.976:                              ;   in Loop: Header=BB58_3 Depth=1
	ds_load_b64 v[36:37], v44 offset:31216
	ds_load_b64 v[38:39], v45 offset:31200
	s_wait_dscnt 0x0
	v_dual_mul_f32 v0, v39, v37 :: v_dual_mul_f32 v41, v38, v37
	s_delay_alu instid0(VALU_DEP_1) | instskip(NEXT) | instid1(VALU_DEP_1)
	v_dual_fma_f32 v40, v38, v36, -v0 :: v_dual_fmac_f32 v41, v39, v36
	v_pk_add_f32 v[36:37], v[40:41], 0 op_sel_hi:[1,0]
	s_and_saveexec_b32 s6, s15
	s_cbranch_execz .LBB58_978
; %bb.977:                              ;   in Loop: Header=BB58_3 Depth=1
	ds_load_b64 v[38:39], v46 offset:31728
	ds_load_b64 v[40:41], v1 offset:31208
	s_wait_dscnt 0x0
	v_pk_mul_f32 v[80:81], v[40:41], v[38:39] op_sel:[1,1] op_sel_hi:[0,1]
	s_delay_alu instid0(VALU_DEP_1) | instskip(SKIP_1) | instid1(VALU_DEP_2)
	v_pk_fma_f32 v[82:83], v[40:41], v[38:39], v[80:81] op_sel_hi:[1,0,1]
	v_pk_fma_f32 v[38:39], v[40:41], v[38:39], v[80:81] neg_lo:[0,0,1] neg_hi:[0,0,1]
	v_mov_b32_e32 v39, v83
	s_delay_alu instid0(VALU_DEP_1)
	v_pk_add_f32 v[36:37], v[36:37], v[38:39]
.LBB58_978:                             ;   in Loop: Header=BB58_3 Depth=1
	s_or_b32 exec_lo, exec_lo, s6
	s_delay_alu instid0(VALU_DEP_1)
	v_pk_add_f32 v[36:37], v[36:37], 0 neg_lo:[1,1] neg_hi:[1,1]
.LBB58_979:                             ;   in Loop: Header=BB58_3 Depth=1
	s_or_b32 exec_lo, exec_lo, s96
	s_and_saveexec_b32 s6, s43
	s_cbranch_execz .LBB58_981
; %bb.980:                              ;   in Loop: Header=BB58_3 Depth=1
	ds_load_b64 v[38:39], v1 offset:32240
	s_wait_dscnt 0x0
	v_pk_mul_f32 v[40:41], v[36:37], v[38:39] op_sel:[1,1] op_sel_hi:[1,0]
	s_delay_alu instid0(VALU_DEP_1) | instskip(SKIP_1) | instid1(VALU_DEP_2)
	v_pk_fma_f32 v[80:81], v[36:37], v[38:39], v[40:41] op_sel_hi:[0,1,1]
	v_pk_fma_f32 v[38:39], v[36:37], v[38:39], v[40:41] neg_lo:[0,0,1] neg_hi:[0,0,1]
	v_mov_b32_e32 v39, v81
	s_delay_alu instid0(VALU_DEP_1)
	v_mov_b64_e32 v[36:37], v[38:39]
	ds_store_b64 v3, v[38:39]
.LBB58_981:                             ;   in Loop: Header=BB58_3 Depth=1
	s_or_b32 exec_lo, exec_lo, s6
	s_wait_dscnt 0x0
	s_barrier_signal -1
	s_barrier_wait -1
	s_and_saveexec_b32 s6, s44
	s_cbranch_execz .LBB58_983
; %bb.982:                              ;   in Loop: Header=BB58_3 Depth=1
	ds_load_b64 v[38:39], v1 offset:32248
	ds_load_b64 v[40:41], v3
	s_wait_dscnt 0x0
	v_pk_mul_f32 v[80:81], v[40:41], v[38:39] op_sel:[1,1] op_sel_hi:[0,1]
	s_delay_alu instid0(VALU_DEP_1) | instskip(SKIP_1) | instid1(VALU_DEP_2)
	v_pk_fma_f32 v[82:83], v[40:41], v[38:39], v[80:81] op_sel_hi:[1,0,1]
	v_pk_fma_f32 v[38:39], v[40:41], v[38:39], v[80:81] neg_lo:[0,0,1] neg_hi:[0,0,1]
	v_mov_b32_e32 v39, v83
	s_delay_alu instid0(VALU_DEP_1)
	v_pk_add_f32 v[36:37], v[36:37], v[38:39]
.LBB58_983:                             ;   in Loop: Header=BB58_3 Depth=1
	s_or_b32 exec_lo, exec_lo, s6
	s_barrier_signal -1
	s_barrier_wait -1
	s_and_saveexec_b32 s6, s44
	s_cbranch_execz .LBB58_985
; %bb.984:                              ;   in Loop: Header=BB58_3 Depth=1
	ds_load_b64 v[38:39], v1 offset:32760
	s_wait_dscnt 0x0
	v_pk_mul_f32 v[40:41], v[36:37], v[38:39] op_sel:[1,1] op_sel_hi:[1,0]
	s_delay_alu instid0(VALU_DEP_1) | instskip(SKIP_1) | instid1(VALU_DEP_2)
	v_pk_fma_f32 v[80:81], v[36:37], v[38:39], v[40:41] op_sel_hi:[0,1,1]
	v_pk_fma_f32 v[38:39], v[36:37], v[38:39], v[40:41] neg_lo:[0,0,1] neg_hi:[0,0,1]
	v_mov_b32_e32 v39, v81
	s_delay_alu instid0(VALU_DEP_1)
	v_mov_b64_e32 v[36:37], v[38:39]
	ds_store_b64 v3, v[38:39]
.LBB58_985:                             ;   in Loop: Header=BB58_3 Depth=1
	s_or_b32 exec_lo, exec_lo, s6
	s_wait_dscnt 0x0
	s_barrier_signal -1
	s_barrier_wait -1
	s_barrier_signal -1
	s_barrier_wait -1
	s_and_saveexec_b32 s6, s1
; %bb.986:                              ;   in Loop: Header=BB58_3 Depth=1
	v_pk_add_f32 v[36:37], v[36:37], 0 neg_lo:[1,1] neg_hi:[1,1]
	ds_store_b64 v44, v[36:37] offset:31216
; %bb.987:                              ;   in Loop: Header=BB58_3 Depth=1
	s_or_b32 exec_lo, exec_lo, s6
	s_wait_dscnt 0x0
	s_barrier_signal -1
	s_barrier_wait -1
	s_barrier_signal -1
	s_barrier_wait -1
	s_and_saveexec_b32 s96, s14
	s_cbranch_execz .LBB58_989
; %bb.988:                              ;   in Loop: Header=BB58_3 Depth=1
	ds_load_b128 v[36:39], v1 offset:32240
	ds_load_b64 v[40:41], v1 offset:32760
	s_wait_dscnt 0x1
	v_dual_mov_b32 v80, v39 :: v_dual_mov_b32 v81, v38
	s_wait_dscnt 0x0
	v_dual_mul_f32 v79, v41, v37 :: v_dual_mul_f32 v0, v40, v37
	s_delay_alu instid0(VALU_DEP_1) | instskip(NEXT) | instid1(VALU_DEP_1)
	v_xor_b32_e32 v82, 0x80000000, v79
	v_dual_fmac_f32 v0, v41, v36 :: v_dual_fmac_f32 v82, v40, v36
	s_delay_alu instid0(VALU_DEP_1) | instskip(NEXT) | instid1(VALU_DEP_1)
	v_pk_mul_f32 v[36:37], v[0:1], v[80:81] op_sel_hi:[0,1]
	v_pk_fma_f32 v[40:41], v[82:83], v[38:39], v[36:37] op_sel_hi:[0,1,1]
	v_pk_fma_f32 v[36:37], v[82:83], v[38:39], v[36:37] neg_lo:[0,0,1] neg_hi:[0,0,1]
	s_delay_alu instid0(VALU_DEP_2)
	v_mov_b32_e32 v37, v41
	ds_store_b64 v1, v[36:37] offset:32248
.LBB58_989:                             ;   in Loop: Header=BB58_3 Depth=1
	s_or_b32 exec_lo, exec_lo, s96
.LBB58_990:                             ;   in Loop: Header=BB58_3 Depth=1
	v_readlane_b32 s6, v90, 2
	v_mov_b64_e32 v[36:37], 0
	v_readlane_b32 s7, v90, 3
	s_mul_u64 s[96:97], s[84:85], s[88:89]
	s_wait_dscnt 0x0
	s_lshl_b64 s[96:97], s[96:97], 3
	s_barrier_signal -1
	s_add_nc_u64 s[96:97], s[6:7], s[96:97]
	s_barrier_wait -1
	s_and_saveexec_b32 s6, s67
	s_cbranch_execz .LBB58_992
; %bb.991:                              ;   in Loop: Header=BB58_3 Depth=1
	v_lshl_add_u64 v[36:37], v[28:29], 3, s[96:97]
	global_load_b64 v[36:37], v[36:37], off
	s_wait_loadcnt 0x0
	v_pk_mul_f32 v[38:39], v[34:35], v[36:37] op_sel:[1,0] neg_lo:[1,0]
	s_delay_alu instid0(VALU_DEP_1)
	v_pk_fma_f32 v[36:37], v[34:35], v[36:37], v[38:39] op_sel:[0,0,1] op_sel_hi:[0,1,0] neg_lo:[1,0,0] neg_hi:[1,0,0]
.LBB58_992:                             ;   in Loop: Header=BB58_3 Depth=1
	s_or_b32 exec_lo, exec_lo, s6
	s_delay_alu instid0(SALU_CYCLE_1)
	s_and_not1_b32 vcc_lo, exec_lo, s68
	s_cbranch_vccnz .LBB58_1011
; %bb.993:                              ;   in Loop: Header=BB58_3 Depth=1
	v_lshl_add_u64 v[34:35], v[6:7], 3, s[70:71]
	v_mov_b32_e32 v40, -1
	s_lshl_b64 s[98:99], s[88:89], 2
	s_mov_b32 s71, 0
	s_add_nc_u64 s[98:99], s[86:87], s[98:99]
	s_branch .LBB58_995
.LBB58_994:                             ;   in Loop: Header=BB58_995 Depth=2
	s_or_b32 exec_lo, exec_lo, s6
	s_add_co_i32 s71, s71, 1
	s_delay_alu instid0(SALU_CYCLE_1)
	s_cmp_eq_u32 s71, s102
	s_cbranch_scc1 .LBB58_1011
.LBB58_995:                             ;   Parent Loop BB58_3 Depth=1
                                        ; =>  This Loop Header: Depth=2
                                        ;       Child Loop BB58_997 Depth 3
	v_cmp_gt_i32_e32 vcc_lo, s71, v40
	s_and_b32 s70, s36, vcc_lo
	s_delay_alu instid0(SALU_CYCLE_1)
	s_and_saveexec_b32 s6, s70
	s_cbranch_execz .LBB58_998
; %bb.996:                              ;   in Loop: Header=BB58_995 Depth=2
	global_load_b32 v40, v1, s[98:99]
	s_wait_loadcnt 0x0
	v_cmp_le_i32_e32 vcc_lo, s71, v40
	s_cbranch_vccnz .LBB58_998
.LBB58_997:                             ;   Parent Loop BB58_3 Depth=1
                                        ;     Parent Loop BB58_995 Depth=2
                                        ; =>    This Inner Loop Header: Depth=3
	global_wb scope:SCOPE_DEV
	s_wait_storecnt 0x0
	global_inv scope:SCOPE_DEV
	global_load_b32 v40, v1, s[98:99]
	s_wait_loadcnt 0x0
	v_cmp_gt_i32_e32 vcc_lo, s71, v40
	s_cbranch_vccnz .LBB58_997
.LBB58_998:                             ;   in Loop: Header=BB58_995 Depth=2
	s_or_b32 exec_lo, exec_lo, s6
	s_lshl_b32 s70, s71, 6
	global_wb scope:SCOPE_DEV
	s_wait_storecnt 0x0
	global_inv scope:SCOPE_DEV
	s_wait_loadcnt 0x0
	s_barrier_signal -1
	s_barrier_wait -1
	s_and_saveexec_b32 s6, s37
	s_cbranch_execz .LBB58_1003
; %bb.999:                              ;   in Loop: Header=BB58_995 Depth=2
	v_or_b32_e32 v0, s70, v4
	s_delay_alu instid0(VALU_DEP_1) | instskip(SKIP_1) | instid1(SALU_CYCLE_1)
	v_cmp_le_i32_e32 vcc_lo, s101, v0
	s_and_saveexec_b32 s7, vcc_lo
	s_xor_b32 vcc_lo, exec_lo, s7
; %bb.1000:                             ;   in Loop: Header=BB58_995 Depth=2
	ds_store_b64 v5, v[32:33]
; %bb.1001:                             ;   in Loop: Header=BB58_995 Depth=2
	s_and_not1_saveexec_b32 s7, vcc_lo
	s_cbranch_execz .LBB58_1003
; %bb.1002:                             ;   in Loop: Header=BB58_995 Depth=2
	v_mul_u64_e32 v[38:39], s[82:83], v[0:1]
	s_delay_alu instid0(VALU_DEP_1)
	v_lshl_add_u64 v[38:39], v[38:39], 3, s[96:97]
	global_load_b64 v[38:39], v[38:39], off
	s_wait_loadcnt 0x0
	ds_store_b64 v5, v[38:39]
.LBB58_1003:                            ;   in Loop: Header=BB58_995 Depth=2
	s_or_b32 exec_lo, exec_lo, s6
	v_add_nc_u32_e32 v0, s70, v42
	s_wait_dscnt 0x0
	v_cmp_eq_u32_e32 vcc_lo, s71, v43
	s_barrier_signal -1
	s_barrier_wait -1
	v_mul_u64_e32 v[38:39], s[72:73], v[0:1]
	v_cmp_gt_i32_e64 s70, s101, v0
	s_and_b32 s7, s0, s70
	v_lshl_add_u64 v[38:39], v[38:39], 3, v[34:35]
	s_and_saveexec_b32 s6, s7
	s_cbranch_execz .LBB58_1005
; %bb.1004:                             ;   in Loop: Header=BB58_995 Depth=2
	s_delay_alu instid0(VALU_DEP_1) | instskip(SKIP_4) | instid1(VALU_DEP_1)
	v_dual_cndmask_b32 v81, v39, v21 :: v_dual_cndmask_b32 v80, v38, v20
	ds_load_b64 v[82:83], v68
	flat_load_b64 v[80:81], v[80:81]
	s_wait_loadcnt_dscnt 0x0
	v_dual_mul_f32 v41, v83, v81 :: v_dual_mul_f32 v79, v82, v81
	v_dual_fma_f32 v41, v82, v80, -v41 :: v_dual_fmac_f32 v79, v83, v80
	s_delay_alu instid0(VALU_DEP_1)
	v_dual_add_f32 v36, v36, v41 :: v_dual_add_f32 v37, v37, v79
.LBB58_1005:                            ;   in Loop: Header=BB58_995 Depth=2
	s_or_b32 exec_lo, exec_lo, s6
	v_add_nc_u32_e32 v41, 16, v0
	s_delay_alu instid0(VALU_DEP_1) | instskip(SKIP_1) | instid1(SALU_CYCLE_1)
	v_cmp_gt_i32_e64 s70, s101, v41
	s_and_b32 s7, s0, s70
	s_and_saveexec_b32 s6, s7
	s_cbranch_execz .LBB58_1007
; %bb.1006:                             ;   in Loop: Header=BB58_995 Depth=2
	v_add_nc_u64_e32 v[80:81], s[90:91], v[38:39]
	ds_load_b64 v[82:83], v68 offset:128
	v_dual_cndmask_b32 v81, v81, v23 :: v_dual_cndmask_b32 v80, v80, v22
	flat_load_b64 v[80:81], v[80:81]
	s_wait_loadcnt_dscnt 0x0
	v_dual_mul_f32 v41, v83, v81 :: v_dual_mul_f32 v79, v82, v81
	s_delay_alu instid0(VALU_DEP_1) | instskip(NEXT) | instid1(VALU_DEP_1)
	v_dual_fma_f32 v41, v82, v80, -v41 :: v_dual_fmac_f32 v79, v83, v80
	v_dual_add_f32 v36, v36, v41 :: v_dual_add_f32 v37, v37, v79
.LBB58_1007:                            ;   in Loop: Header=BB58_995 Depth=2
	s_or_b32 exec_lo, exec_lo, s6
	v_add_nc_u32_e32 v41, 32, v0
	s_delay_alu instid0(VALU_DEP_1) | instskip(SKIP_1) | instid1(SALU_CYCLE_1)
	v_cmp_gt_i32_e64 s70, s101, v41
	s_and_b32 s7, s0, s70
	s_and_saveexec_b32 s6, s7
	s_cbranch_execz .LBB58_1009
; %bb.1008:                             ;   in Loop: Header=BB58_995 Depth=2
	v_add_nc_u64_e32 v[80:81], s[92:93], v[38:39]
	ds_load_b64 v[82:83], v68 offset:256
	v_dual_cndmask_b32 v81, v81, v25 :: v_dual_cndmask_b32 v80, v80, v24
	flat_load_b64 v[80:81], v[80:81]
	s_wait_loadcnt_dscnt 0x0
	v_dual_mul_f32 v41, v83, v81 :: v_dual_mul_f32 v85, v82, v81
	s_delay_alu instid0(VALU_DEP_1) | instskip(NEXT) | instid1(VALU_DEP_2)
	v_fma_f32 v84, v82, v80, -v41
	v_fmac_f32_e32 v85, v83, v80
	s_delay_alu instid0(VALU_DEP_1)
	v_pk_add_f32 v[36:37], v[36:37], v[84:85]
.LBB58_1009:                            ;   in Loop: Header=BB58_995 Depth=2
	s_or_b32 exec_lo, exec_lo, s6
	v_add_nc_u32_e32 v0, 48, v0
	s_delay_alu instid0(VALU_DEP_1) | instskip(SKIP_1) | instid1(SALU_CYCLE_1)
	v_cmp_gt_i32_e64 s70, s101, v0
	s_and_b32 s7, s0, s70
	s_and_saveexec_b32 s6, s7
	s_cbranch_execz .LBB58_994
; %bb.1010:                             ;   in Loop: Header=BB58_995 Depth=2
	v_add_nc_u64_e32 v[38:39], s[94:95], v[38:39]
	ds_load_b64 v[80:81], v68 offset:384
	v_dual_cndmask_b32 v39, v39, v27 :: v_dual_cndmask_b32 v38, v38, v26
	flat_load_b64 v[38:39], v[38:39]
	s_wait_loadcnt_dscnt 0x0
	v_pk_mul_f32 v[82:83], v[80:81], v[38:39] op_sel:[1,1] op_sel_hi:[0,1]
	s_delay_alu instid0(VALU_DEP_1) | instskip(SKIP_1) | instid1(VALU_DEP_2)
	v_pk_fma_f32 v[84:85], v[80:81], v[38:39], v[82:83] op_sel_hi:[1,0,1]
	v_pk_fma_f32 v[38:39], v[80:81], v[38:39], v[82:83] neg_lo:[0,0,1] neg_hi:[0,0,1]
	v_mov_b32_e32 v39, v85
	s_delay_alu instid0(VALU_DEP_1)
	v_pk_add_f32 v[36:37], v[36:37], v[38:39]
	s_branch .LBB58_994
.LBB58_1011:                            ;   in Loop: Header=BB58_3 Depth=1
	ds_store_b64 v69, v[36:37]
	s_wait_dscnt 0x0
	s_barrier_signal -1
	s_barrier_wait -1
	s_and_saveexec_b32 s70, s5
	s_cbranch_execz .LBB58_1013
; %bb.1012:                             ;   in Loop: Header=BB58_3 Depth=1
	ds_load_2addr_stride64_b64 v[38:41], v70 offset0:1 offset1:2
	ds_load_2addr_stride64_b64 v[80:83], v70 offset0:3 offset1:4
	ds_load_2addr_stride64_b64 v[84:87], v70 offset0:5 offset1:6
	s_wait_dscnt 0x2
	v_pk_add_f32 v[34:35], v[36:37], v[38:39]
	s_delay_alu instid0(VALU_DEP_1) | instskip(SKIP_3) | instid1(VALU_DEP_1)
	v_pk_add_f32 v[38:39], v[34:35], v[40:41]
	ds_load_2addr_stride64_b64 v[34:37], v70 offset0:7 offset1:8
	s_wait_dscnt 0x2
	v_pk_add_f32 v[38:39], v[38:39], v[80:81]
	v_pk_add_f32 v[80:81], v[38:39], v[82:83]
	ds_load_2addr_stride64_b64 v[38:41], v70 offset0:9 offset1:10
	s_wait_dscnt 0x2
	v_pk_add_f32 v[80:81], v[80:81], v[84:85]
	s_delay_alu instid0(VALU_DEP_1) | instskip(SKIP_3) | instid1(VALU_DEP_1)
	v_pk_add_f32 v[84:85], v[80:81], v[86:87]
	ds_load_2addr_stride64_b64 v[80:83], v70 offset0:11 offset1:12
	s_wait_dscnt 0x2
	v_pk_add_f32 v[34:35], v[84:85], v[34:35]
	v_pk_add_f32 v[84:85], v[34:35], v[36:37]
	ds_load_2addr_stride64_b64 v[34:37], v70 offset0:13 offset1:14
	s_wait_dscnt 0x2
	v_pk_add_f32 v[38:39], v[84:85], v[38:39]
	s_delay_alu instid0(VALU_DEP_1) | instskip(SKIP_3) | instid1(VALU_DEP_1)
	v_pk_add_f32 v[38:39], v[38:39], v[40:41]
	ds_load_b64 v[40:41], v70 offset:7680
	s_wait_dscnt 0x2
	v_pk_add_f32 v[38:39], v[38:39], v[80:81]
	v_pk_add_f32 v[38:39], v[38:39], v[82:83]
	s_wait_dscnt 0x1
	s_delay_alu instid0(VALU_DEP_1) | instskip(NEXT) | instid1(VALU_DEP_1)
	v_pk_add_f32 v[34:35], v[38:39], v[34:35]
	v_pk_add_f32 v[34:35], v[34:35], v[36:37]
	s_wait_dscnt 0x0
	s_delay_alu instid0(VALU_DEP_1) | instskip(NEXT) | instid1(VALU_DEP_1)
	v_pk_add_f32 v[34:35], v[34:35], v[40:41]
	v_cndmask_b32_e64 v37, -v35, 0, s66
	s_delay_alu instid0(VALU_DEP_2)
	v_cndmask_b32_e64 v36, -v34, 0, s66
.LBB58_1013:                            ;   in Loop: Header=BB58_3 Depth=1
	s_or_b32 exec_lo, exec_lo, s70
	s_delay_alu instid0(SALU_CYCLE_1)
	s_and_not1_b32 vcc_lo, exec_lo, vcc_hi
	s_cbranch_vccnz .LBB58_1026
; %bb.1014:                             ;   in Loop: Header=BB58_3 Depth=1
	s_and_saveexec_b32 s6, s5
; %bb.1015:                             ;   in Loop: Header=BB58_3 Depth=1
	ds_store_b64 v73, v[36:37]
; %bb.1016:                             ;   in Loop: Header=BB58_3 Depth=1
	s_or_b32 exec_lo, exec_lo, s6
	v_mov_b64_e32 v[34:35], 0
	s_wait_dscnt 0x0
	s_barrier_signal -1
	s_barrier_wait -1
	s_mov_b32 s6, exec_lo
	v_readlane_b32 s7, v89, 7
	s_and_b32 s7, s6, s7
	s_delay_alu instid0(SALU_CYCLE_1)
	s_mov_b32 exec_lo, s7
	s_cbranch_execz .LBB58_1018
; %bb.1017:                             ;   in Loop: Header=BB58_3 Depth=1
	ds_load_b64 v[34:35], v71
	ds_load_b64 v[38:39], v68
	s_wait_dscnt 0x0
	v_dual_mul_f32 v0, v39, v35 :: v_dual_mul_f32 v35, v38, v35
	s_delay_alu instid0(VALU_DEP_1) | instskip(NEXT) | instid1(VALU_DEP_1)
	v_dual_fma_f32 v0, v38, v34, -v0 :: v_dual_fmac_f32 v35, v39, v34
	v_dual_add_f32 v34, 0, v0 :: v_dual_add_f32 v35, 0, v35
.LBB58_1018:                            ;   in Loop: Header=BB58_3 Depth=1
	s_or_b32 exec_lo, exec_lo, s6
	s_delay_alu instid0(SALU_CYCLE_1) | instskip(SKIP_2) | instid1(SALU_CYCLE_1)
	s_mov_b32 s6, exec_lo
	v_readlane_b32 s7, v89, 8
	s_and_b32 s7, s6, s7
	s_mov_b32 exec_lo, s7
	s_cbranch_execz .LBB58_1020
; %bb.1019:                             ;   in Loop: Header=BB58_3 Depth=1
	ds_load_b64 v[38:39], v71 offset:8192
	ds_load_b64 v[40:41], v68 offset:128
	s_wait_dscnt 0x0
	v_dual_mul_f32 v0, v41, v39 :: v_dual_mul_f32 v81, v40, v39
	s_delay_alu instid0(VALU_DEP_1) | instskip(NEXT) | instid1(VALU_DEP_1)
	v_dual_fma_f32 v80, v40, v38, -v0 :: v_dual_fmac_f32 v81, v41, v38
	v_pk_add_f32 v[34:35], v[34:35], v[80:81]
.LBB58_1020:                            ;   in Loop: Header=BB58_3 Depth=1
	s_or_b32 exec_lo, exec_lo, s6
	s_delay_alu instid0(SALU_CYCLE_1) | instskip(SKIP_2) | instid1(SALU_CYCLE_1)
	s_mov_b32 s6, exec_lo
	v_readlane_b32 s7, v89, 9
	s_and_b32 s7, s6, s7
	s_mov_b32 exec_lo, s7
	s_cbranch_execz .LBB58_1022
; %bb.1021:                             ;   in Loop: Header=BB58_3 Depth=1
	ds_load_b64 v[38:39], v71 offset:16384
	ds_load_b64 v[40:41], v68 offset:256
	s_wait_dscnt 0x0
	v_pk_mul_f32 v[80:81], v[40:41], v[38:39] op_sel:[1,1] op_sel_hi:[0,1]
	s_delay_alu instid0(VALU_DEP_1) | instskip(SKIP_1) | instid1(VALU_DEP_2)
	v_pk_fma_f32 v[82:83], v[40:41], v[38:39], v[80:81] op_sel_hi:[1,0,1]
	v_pk_fma_f32 v[38:39], v[40:41], v[38:39], v[80:81] neg_lo:[0,0,1] neg_hi:[0,0,1]
	v_mov_b32_e32 v39, v83
	s_delay_alu instid0(VALU_DEP_1)
	v_pk_add_f32 v[34:35], v[34:35], v[38:39]
.LBB58_1022:                            ;   in Loop: Header=BB58_3 Depth=1
	s_or_b32 exec_lo, exec_lo, s6
	s_delay_alu instid0(SALU_CYCLE_1) | instskip(SKIP_2) | instid1(SALU_CYCLE_1)
	s_mov_b32 s6, exec_lo
	v_readlane_b32 s7, v89, 10
	s_and_b32 s7, s6, s7
	s_mov_b32 exec_lo, s7
	s_cbranch_execz .LBB58_1024
; %bb.1023:                             ;   in Loop: Header=BB58_3 Depth=1
	ds_load_b64 v[38:39], v71 offset:24576
	ds_load_b64 v[40:41], v68 offset:384
	s_wait_dscnt 0x0
	v_pk_mul_f32 v[80:81], v[40:41], v[38:39] op_sel:[1,1] op_sel_hi:[0,1]
	s_delay_alu instid0(VALU_DEP_1) | instskip(SKIP_1) | instid1(VALU_DEP_2)
	v_pk_fma_f32 v[82:83], v[40:41], v[38:39], v[80:81] op_sel_hi:[1,0,1]
	v_pk_fma_f32 v[38:39], v[40:41], v[38:39], v[80:81] neg_lo:[0,0,1] neg_hi:[0,0,1]
	v_mov_b32_e32 v39, v83
	s_delay_alu instid0(VALU_DEP_1)
	v_pk_add_f32 v[34:35], v[34:35], v[38:39]
.LBB58_1024:                            ;   in Loop: Header=BB58_3 Depth=1
	s_or_b32 exec_lo, exec_lo, s6
	s_mov_b32 s71, 0
	s_mov_b32 s70, 0
	ds_store_b64 v69, v[34:35]
	s_wait_dscnt 0x0
	s_barrier_signal -1
	s_barrier_wait -1
                                        ; implicit-def: $vgpr38_vgpr39
	s_and_saveexec_b32 s98, s5
	s_cbranch_execz .LBB58_1042
; %bb.1025:                             ;   in Loop: Header=BB58_3 Depth=1
	ds_load_2addr_stride64_b64 v[38:41], v70 offset0:1 offset1:2
	ds_load_2addr_stride64_b64 v[80:83], v70 offset0:3 offset1:4
	;; [unrolled: 1-line block ×3, first 2 shown]
	s_mov_b32 s70, exec_lo
	s_wait_dscnt 0x2
	v_pk_add_f32 v[34:35], v[34:35], v[38:39]
	s_delay_alu instid0(VALU_DEP_1) | instskip(SKIP_3) | instid1(VALU_DEP_1)
	v_pk_add_f32 v[34:35], v[34:35], v[40:41]
	ds_load_2addr_stride64_b64 v[38:41], v70 offset0:7 offset1:8
	s_wait_dscnt 0x2
	v_pk_add_f32 v[34:35], v[34:35], v[80:81]
	v_pk_add_f32 v[34:35], v[34:35], v[82:83]
	ds_load_2addr_stride64_b64 v[80:83], v70 offset0:9 offset1:10
	s_wait_dscnt 0x2
	v_pk_add_f32 v[34:35], v[34:35], v[84:85]
	s_delay_alu instid0(VALU_DEP_1) | instskip(SKIP_3) | instid1(VALU_DEP_1)
	v_pk_add_f32 v[34:35], v[34:35], v[86:87]
	ds_load_2addr_stride64_b64 v[84:87], v70 offset0:11 offset1:12
	s_wait_dscnt 0x2
	v_pk_add_f32 v[34:35], v[34:35], v[38:39]
	v_pk_add_f32 v[34:35], v[34:35], v[40:41]
	ds_load_2addr_stride64_b64 v[38:41], v70 offset0:13 offset1:14
	s_wait_dscnt 0x2
	v_pk_add_f32 v[34:35], v[34:35], v[80:81]
	ds_load_b64 v[80:81], v70 offset:7680
	v_pk_add_f32 v[34:35], v[34:35], v[82:83]
	s_wait_dscnt 0x2
	s_delay_alu instid0(VALU_DEP_1) | instskip(NEXT) | instid1(VALU_DEP_1)
	v_pk_add_f32 v[34:35], v[34:35], v[84:85]
	v_pk_add_f32 v[34:35], v[34:35], v[86:87]
	s_wait_dscnt 0x1
	s_delay_alu instid0(VALU_DEP_1) | instskip(NEXT) | instid1(VALU_DEP_1)
	v_pk_add_f32 v[34:35], v[34:35], v[38:39]
	v_pk_add_f32 v[34:35], v[34:35], v[40:41]
	s_wait_dscnt 0x0
	s_delay_alu instid0(VALU_DEP_1) | instskip(SKIP_1) | instid1(SALU_CYCLE_1)
	v_pk_add_f32 v[38:39], v[34:35], v[80:81]
	s_or_b32 exec_lo, exec_lo, s98
	s_and_b32 vcc_lo, exec_lo, s71
	s_cbranch_vccnz .LBB58_1027
	s_branch .LBB58_1043
.LBB58_1026:                            ;   in Loop: Header=BB58_3 Depth=1
	s_mov_b32 s70, 0
                                        ; implicit-def: $vgpr38_vgpr39
	s_cbranch_execz .LBB58_1043
.LBB58_1027:                            ;   in Loop: Header=BB58_3 Depth=1
	v_dual_mov_b32 v0, v2 :: v_dual_mov_b32 v34, v46
	s_mov_b32 s71, 0
	s_branch .LBB58_1029
.LBB58_1028:                            ;   in Loop: Header=BB58_1029 Depth=2
	s_or_b32 exec_lo, exec_lo, s6
	v_add_nc_u32_e32 v34, 0x400, v34
	v_add_nc_u32_e32 v0, -2, v0
	s_add_co_i32 s71, s71, 2
	s_delay_alu instid0(SALU_CYCLE_1)
	s_cmp_lg_u32 s71, 64
	s_barrier_signal -1
	s_barrier_wait -1
	s_cbranch_scc0 .LBB58_1037
.LBB58_1029:                            ;   Parent Loop BB58_3 Depth=1
                                        ; =>  This Inner Loop Header: Depth=2
	s_delay_alu instid0(VALU_DEP_1) | instskip(SKIP_1) | instid1(SALU_CYCLE_1)
	v_cmp_eq_u32_e32 vcc_lo, 0, v0
	s_and_b32 s7, s5, vcc_lo
	s_and_saveexec_b32 s6, s7
	s_cbranch_execz .LBB58_1031
; %bb.1030:                             ;   in Loop: Header=BB58_1029 Depth=2
	ds_load_b64 v[38:39], v74
	s_wait_dscnt 0x0
	v_pk_mul_f32 v[40:41], v[36:37], v[38:39] op_sel:[1,1] op_sel_hi:[1,0]
	s_delay_alu instid0(VALU_DEP_1) | instskip(SKIP_1) | instid1(VALU_DEP_2)
	v_pk_fma_f32 v[80:81], v[36:37], v[38:39], v[40:41] op_sel_hi:[0,1,1]
	v_pk_fma_f32 v[38:39], v[36:37], v[38:39], v[40:41] neg_lo:[0,0,1] neg_hi:[0,0,1]
	v_mov_b32_e32 v39, v81
	s_delay_alu instid0(VALU_DEP_1)
	v_mov_b64_e32 v[36:37], v[38:39]
	ds_store_b64 v1, v[38:39] offset:41472
.LBB58_1031:                            ;   in Loop: Header=BB58_1029 Depth=2
	s_or_b32 exec_lo, exec_lo, s6
	v_cmp_lt_u32_e32 vcc_lo, s71, v2
	s_wait_dscnt 0x0
	s_barrier_signal -1
	s_barrier_wait -1
	s_and_b32 s7, s5, vcc_lo
	s_delay_alu instid0(SALU_CYCLE_1)
	s_and_saveexec_b32 s6, s7
	s_cbranch_execz .LBB58_1033
; %bb.1032:                             ;   in Loop: Header=BB58_1029 Depth=2
	ds_load_b64 v[38:39], v34
	ds_load_b64 v[40:41], v1 offset:41472
	s_wait_dscnt 0x0
	v_pk_mul_f32 v[80:81], v[40:41], v[38:39] op_sel:[1,1] op_sel_hi:[0,1]
	s_delay_alu instid0(VALU_DEP_1) | instskip(SKIP_1) | instid1(VALU_DEP_2)
	v_pk_fma_f32 v[82:83], v[40:41], v[38:39], v[80:81] op_sel_hi:[1,0,1]
	v_pk_fma_f32 v[38:39], v[40:41], v[38:39], v[80:81] neg_lo:[0,0,1] neg_hi:[0,0,1]
	v_mov_b32_e32 v39, v83
	s_delay_alu instid0(VALU_DEP_1)
	v_pk_add_f32 v[36:37], v[36:37], v[38:39]
.LBB58_1033:                            ;   in Loop: Header=BB58_1029 Depth=2
	s_or_b32 exec_lo, exec_lo, s6
	s_or_b32 s6, s71, 1
	s_delay_alu instid0(SALU_CYCLE_1) | instskip(SKIP_3) | instid1(SALU_CYCLE_1)
	v_cmp_eq_u32_e32 vcc_lo, s6, v2
	s_barrier_signal -1
	s_barrier_wait -1
	s_and_b32 s7, s5, vcc_lo
	s_and_saveexec_b32 s98, s7
	s_cbranch_execz .LBB58_1035
; %bb.1034:                             ;   in Loop: Header=BB58_1029 Depth=2
	ds_load_b64 v[38:39], v74
	s_wait_dscnt 0x0
	v_pk_mul_f32 v[40:41], v[36:37], v[38:39] op_sel:[1,1] op_sel_hi:[1,0]
	s_delay_alu instid0(VALU_DEP_1) | instskip(SKIP_1) | instid1(VALU_DEP_2)
	v_pk_fma_f32 v[80:81], v[36:37], v[38:39], v[40:41] op_sel_hi:[0,1,1]
	v_pk_fma_f32 v[38:39], v[36:37], v[38:39], v[40:41] neg_lo:[0,0,1] neg_hi:[0,0,1]
	v_mov_b32_e32 v39, v81
	s_delay_alu instid0(VALU_DEP_1)
	v_mov_b64_e32 v[36:37], v[38:39]
	ds_store_b64 v1, v[38:39] offset:41472
.LBB58_1035:                            ;   in Loop: Header=BB58_1029 Depth=2
	s_or_b32 exec_lo, exec_lo, s98
	v_cmp_lt_u32_e32 vcc_lo, s6, v2
	s_wait_dscnt 0x0
	s_barrier_signal -1
	s_barrier_wait -1
	s_and_b32 s7, s5, vcc_lo
	s_delay_alu instid0(SALU_CYCLE_1)
	s_and_saveexec_b32 s6, s7
	s_cbranch_execz .LBB58_1028
; %bb.1036:                             ;   in Loop: Header=BB58_1029 Depth=2
	ds_load_b64 v[38:39], v34 offset:512
	ds_load_b64 v[40:41], v1 offset:41472
	s_wait_dscnt 0x0
	v_pk_mul_f32 v[80:81], v[40:41], v[38:39] op_sel:[1,1] op_sel_hi:[0,1]
	s_delay_alu instid0(VALU_DEP_1) | instskip(SKIP_1) | instid1(VALU_DEP_2)
	v_pk_fma_f32 v[82:83], v[40:41], v[38:39], v[80:81] op_sel_hi:[1,0,1]
	v_pk_fma_f32 v[38:39], v[40:41], v[38:39], v[80:81] neg_lo:[0,0,1] neg_hi:[0,0,1]
	v_mov_b32_e32 v39, v83
	s_delay_alu instid0(VALU_DEP_1)
	v_pk_add_f32 v[36:37], v[36:37], v[38:39]
	s_branch .LBB58_1028
.LBB58_1037:                            ;   in Loop: Header=BB58_3 Depth=1
	s_and_b32 vcc_lo, exec_lo, s104
	s_mov_b32 s6, -1
	s_cbranch_vccz .LBB58_1039
; %bb.1038:                             ;   in Loop: Header=BB58_3 Depth=1
	s_and_not1_b32 s7, s70, exec_lo
	s_and_b32 s8, s5, exec_lo
	s_mov_b32 s6, 0
	s_or_b32 s70, s7, s8
.LBB58_1039:                            ;   in Loop: Header=BB58_3 Depth=1
	s_and_not1_b32 vcc_lo, exec_lo, s6
	s_cbranch_vccnz .LBB58_1041
; %bb.1040:                             ;   in Loop: Header=BB58_3 Depth=1
	v_readlane_b32 s7, v90, 9
	s_and_not1_b32 s6, s70, exec_lo
	s_and_b32 s7, s7, exec_lo
	s_delay_alu instid0(SALU_CYCLE_1)
	s_or_b32 s70, s6, s7
.LBB58_1041:                            ;   in Loop: Header=BB58_3 Depth=1
	v_mov_b64_e32 v[34:35], v[14:15]
	s_and_saveexec_b32 s6, s70
	s_cbranch_execnz .LBB58_1044
	s_branch .LBB58_1045
.LBB58_1042:                            ;   in Loop: Header=BB58_3 Depth=1
	s_or_b32 exec_lo, exec_lo, s98
	s_delay_alu instid0(SALU_CYCLE_1)
	s_and_b32 vcc_lo, exec_lo, s71
	s_cbranch_vccnz .LBB58_1027
.LBB58_1043:                            ;   in Loop: Header=BB58_3 Depth=1
	v_mov_b64_e32 v[36:37], v[38:39]
	v_mov_b64_e32 v[34:35], v[30:31]
	s_and_saveexec_b32 s6, s70
	s_cbranch_execz .LBB58_1045
.LBB58_1044:                            ;   in Loop: Header=BB58_3 Depth=1
	s_delay_alu instid0(VALU_DEP_1)
	v_lshl_add_u64 v[34:35], v[34:35], 3, s[96:97]
	global_store_b64 v[34:35], v[36:37], off
.LBB58_1045:                            ;   in Loop: Header=BB58_3 Depth=1
	s_wait_xcnt 0x0
	s_or_b32 exec_lo, exec_lo, s6
	global_wb scope:SCOPE_DEV
	s_wait_storecnt 0x0
	global_inv scope:SCOPE_DEV
	s_wait_loadcnt 0x0
	s_barrier_signal -1
	s_barrier_wait -1
	s_and_saveexec_b32 s6, s36
	s_cbranch_execz .LBB58_2
; %bb.1046:                             ;   in Loop: Header=BB58_3 Depth=1
	s_lshl_b64 s[70:71], s[88:89], 2
	s_delay_alu instid0(SALU_CYCLE_1)
	s_add_nc_u64 s[70:71], s[86:87], s[70:71]
	global_load_b32 v0, v1, s[70:71]
	s_wait_loadcnt 0x0
	v_add_nc_u32_e32 v0, 1, v0
	global_store_b32 v1, v0, s[70:71]
	s_branch .LBB58_2
.LBB58_1047:                            ;   in Loop: Header=BB58_3 Depth=1
	ds_load_b64 v[38:39], v51 offset:544
	ds_load_b64 v[40:41], v47 offset:8
	s_wait_dscnt 0x0
	v_pk_mul_f32 v[80:81], v[40:41], v[38:39] op_sel:[0,1]
	s_delay_alu instid0(VALU_DEP_1) | instskip(SKIP_1) | instid1(VALU_DEP_2)
	v_pk_fma_f32 v[82:83], v[40:41], v[38:39], v[80:81] op_sel:[1,0,0] op_sel_hi:[0,0,1] neg_lo:[0,0,1] neg_hi:[0,0,1]
	v_pk_fma_f32 v[38:39], v[40:41], v[38:39], v[80:81] op_sel:[1,0,0] op_sel_hi:[0,1,1]
	v_mov_b32_e32 v39, v83
	s_delay_alu instid0(VALU_DEP_1)
	v_pk_add_f32 v[36:37], v[36:37], v[38:39]
	s_or_b32 exec_lo, exec_lo, s6
	s_and_saveexec_b32 s6, s17
	s_cbranch_execz .LBB58_151
.LBB58_1048:                            ;   in Loop: Header=BB58_3 Depth=1
	ds_load_b64 v[38:39], v50 offset:1056
	ds_load_b64 v[40:41], v47 offset:16
	s_wait_dscnt 0x0
	v_pk_mul_f32 v[80:81], v[40:41], v[38:39] op_sel:[0,1]
	s_delay_alu instid0(VALU_DEP_1) | instskip(SKIP_1) | instid1(VALU_DEP_2)
	v_pk_fma_f32 v[82:83], v[40:41], v[38:39], v[80:81] op_sel:[1,0,0] op_sel_hi:[0,0,1] neg_lo:[0,0,1] neg_hi:[0,0,1]
	v_pk_fma_f32 v[38:39], v[40:41], v[38:39], v[80:81] op_sel:[1,0,0] op_sel_hi:[0,1,1]
	v_mov_b32_e32 v39, v83
	s_delay_alu instid0(VALU_DEP_1)
	v_pk_add_f32 v[36:37], v[36:37], v[38:39]
	s_or_b32 exec_lo, exec_lo, s6
	s_and_saveexec_b32 s6, s1
	s_cbranch_execnz .LBB58_152
	s_branch .LBB58_153
.LBB58_1049:                            ;   in Loop: Header=BB58_3 Depth=1
	ds_load_b64 v[38:39], v56 offset:576
	ds_load_b64 v[40:41], v52 offset:8
	s_wait_dscnt 0x0
	v_dual_mul_f32 v0, v41, v39 :: v_dual_mul_f32 v39, v40, v39
	s_delay_alu instid0(VALU_DEP_1) | instskip(NEXT) | instid1(VALU_DEP_1)
	v_dual_fma_f32 v0, v40, v38, -v0 :: v_dual_fmac_f32 v39, v41, v38
	v_dual_add_f32 v37, v37, v0 :: v_dual_add_f32 v36, v36, v39
	s_or_b32 exec_lo, exec_lo, s6
	s_and_saveexec_b32 s6, s19
	s_cbranch_execz .LBB58_189
.LBB58_1050:                            ;   in Loop: Header=BB58_3 Depth=1
	ds_load_b64 v[38:39], v56 offset:1088
	ds_load_b64 v[40:41], v52 offset:16
	s_wait_dscnt 0x0
	v_dual_mul_f32 v0, v41, v39 :: v_dual_mul_f32 v39, v40, v39
	s_delay_alu instid0(VALU_DEP_1) | instskip(NEXT) | instid1(VALU_DEP_1)
	v_dual_fma_f32 v0, v40, v38, -v0 :: v_dual_fmac_f32 v39, v41, v38
	v_dual_add_f32 v37, v37, v0 :: v_dual_add_f32 v36, v36, v39
	s_or_b32 exec_lo, exec_lo, s6
	s_and_saveexec_b32 s6, s20
	s_cbranch_execz .LBB58_190
.LBB58_1051:                            ;   in Loop: Header=BB58_3 Depth=1
	ds_load_b64 v[38:39], v56 offset:1600
	ds_load_b64 v[40:41], v52 offset:24
	s_wait_dscnt 0x0
	v_dual_mul_f32 v0, v41, v39 :: v_dual_mul_f32 v39, v40, v39
	s_delay_alu instid0(VALU_DEP_1) | instskip(NEXT) | instid1(VALU_DEP_1)
	v_dual_fma_f32 v0, v40, v38, -v0 :: v_dual_fmac_f32 v39, v41, v38
	v_dual_add_f32 v37, v37, v0 :: v_dual_add_f32 v36, v36, v39
	s_or_b32 exec_lo, exec_lo, s6
	s_and_saveexec_b32 s6, s21
	s_cbranch_execz .LBB58_191
.LBB58_1052:                            ;   in Loop: Header=BB58_3 Depth=1
	ds_load_b64 v[38:39], v55 offset:2112
	ds_load_b64 v[40:41], v52 offset:32
	s_wait_dscnt 0x0
	v_dual_mul_f32 v0, v41, v39 :: v_dual_mul_f32 v80, v40, v39
	s_delay_alu instid0(VALU_DEP_1) | instskip(NEXT) | instid1(VALU_DEP_2)
	v_fma_f32 v81, v40, v38, -v0
	v_fmac_f32_e32 v80, v41, v38
	s_delay_alu instid0(VALU_DEP_1)
	v_pk_add_f32 v[36:37], v[36:37], v[80:81]
	s_or_b32 exec_lo, exec_lo, s6
	s_and_saveexec_b32 s6, s22
	s_cbranch_execz .LBB58_192
.LBB58_1053:                            ;   in Loop: Header=BB58_3 Depth=1
	ds_load_b64 v[38:39], v56 offset:2624
	ds_load_b64 v[40:41], v52 offset:40
	s_wait_dscnt 0x0
	v_pk_mul_f32 v[80:81], v[40:41], v[38:39] op_sel:[0,1]
	s_delay_alu instid0(VALU_DEP_1) | instskip(SKIP_1) | instid1(VALU_DEP_2)
	v_pk_fma_f32 v[82:83], v[40:41], v[38:39], v[80:81] op_sel:[1,0,0] op_sel_hi:[0,0,1] neg_lo:[0,0,1] neg_hi:[0,0,1]
	v_pk_fma_f32 v[38:39], v[40:41], v[38:39], v[80:81] op_sel:[1,0,0] op_sel_hi:[0,1,1]
	v_mov_b32_e32 v39, v83
	s_delay_alu instid0(VALU_DEP_1)
	v_pk_add_f32 v[36:37], v[36:37], v[38:39]
	s_or_b32 exec_lo, exec_lo, s6
	s_and_saveexec_b32 s6, s2
	s_cbranch_execz .LBB58_193
.LBB58_1054:                            ;   in Loop: Header=BB58_3 Depth=1
	ds_load_b64 v[38:39], v55 offset:3136
	ds_load_b64 v[40:41], v52 offset:48
	s_wait_dscnt 0x0
	v_pk_mul_f32 v[80:81], v[40:41], v[38:39] op_sel:[0,1]
	s_delay_alu instid0(VALU_DEP_1) | instskip(SKIP_1) | instid1(VALU_DEP_2)
	v_pk_fma_f32 v[82:83], v[40:41], v[38:39], v[80:81] op_sel:[1,0,0] op_sel_hi:[0,0,1] neg_lo:[0,0,1] neg_hi:[0,0,1]
	v_pk_fma_f32 v[38:39], v[40:41], v[38:39], v[80:81] op_sel:[1,0,0] op_sel_hi:[0,1,1]
	v_mov_b32_e32 v39, v83
	s_delay_alu instid0(VALU_DEP_1)
	v_pk_add_f32 v[36:37], v[36:37], v[38:39]
	s_or_b32 exec_lo, exec_lo, s6
	s_and_saveexec_b32 s6, s17
	s_cbranch_execnz .LBB58_194
	s_branch .LBB58_195
.LBB58_1055:                            ;   in Loop: Header=BB58_3 Depth=1
	ds_load_b64 v[38:39], v51 offset:4704
	ds_load_b64 v[40:41], v47 offset:4168
	s_wait_dscnt 0x0
	v_pk_mul_f32 v[80:81], v[40:41], v[38:39] op_sel:[0,1]
	s_delay_alu instid0(VALU_DEP_1) | instskip(SKIP_1) | instid1(VALU_DEP_2)
	v_pk_fma_f32 v[82:83], v[40:41], v[38:39], v[80:81] op_sel:[1,0,0] op_sel_hi:[0,0,1] neg_lo:[0,0,1] neg_hi:[0,0,1]
	v_pk_fma_f32 v[38:39], v[40:41], v[38:39], v[80:81] op_sel:[1,0,0] op_sel_hi:[0,1,1]
	v_mov_b32_e32 v39, v83
	s_delay_alu instid0(VALU_DEP_1)
	v_pk_add_f32 v[36:37], v[36:37], v[38:39]
	s_or_b32 exec_lo, exec_lo, s6
	s_and_saveexec_b32 s6, s17
	s_cbranch_execz .LBB58_247
.LBB58_1056:                            ;   in Loop: Header=BB58_3 Depth=1
	ds_load_b64 v[38:39], v50 offset:5216
	ds_load_b64 v[40:41], v47 offset:4176
	s_wait_dscnt 0x0
	v_pk_mul_f32 v[80:81], v[40:41], v[38:39] op_sel:[0,1]
	s_delay_alu instid0(VALU_DEP_1) | instskip(SKIP_1) | instid1(VALU_DEP_2)
	v_pk_fma_f32 v[82:83], v[40:41], v[38:39], v[80:81] op_sel:[1,0,0] op_sel_hi:[0,0,1] neg_lo:[0,0,1] neg_hi:[0,0,1]
	v_pk_fma_f32 v[38:39], v[40:41], v[38:39], v[80:81] op_sel:[1,0,0] op_sel_hi:[0,1,1]
	v_mov_b32_e32 v39, v83
	s_delay_alu instid0(VALU_DEP_1)
	v_pk_add_f32 v[36:37], v[36:37], v[38:39]
	s_or_b32 exec_lo, exec_lo, s6
	s_and_saveexec_b32 s6, s1
	s_cbranch_execnz .LBB58_248
	s_branch .LBB58_249
.LBB58_1057:                            ;   in Loop: Header=BB58_3 Depth=1
	ds_load_b64 v[38:39], v61 offset:5760
	ds_load_b64 v[40:41], v57 offset:88
	s_wait_dscnt 0x0
	v_dual_mul_f32 v0, v41, v39 :: v_dual_mul_f32 v39, v40, v39
	s_delay_alu instid0(VALU_DEP_1) | instskip(NEXT) | instid1(VALU_DEP_1)
	v_dual_fma_f32 v0, v40, v38, -v0 :: v_dual_fmac_f32 v39, v41, v38
	v_dual_add_f32 v37, v37, v0 :: v_dual_add_f32 v36, v36, v39
	s_or_b32 exec_lo, exec_lo, s6
	s_and_saveexec_b32 s6, s3
	s_cbranch_execz .LBB58_305
.LBB58_1058:                            ;   in Loop: Header=BB58_3 Depth=1
	ds_load_b64 v[38:39], v60 offset:6272
	ds_load_b64 v[40:41], v57 offset:96
	s_wait_dscnt 0x0
	v_dual_mul_f32 v0, v41, v39 :: v_dual_mul_f32 v80, v40, v39
	s_delay_alu instid0(VALU_DEP_1) | instskip(NEXT) | instid1(VALU_DEP_2)
	v_fma_f32 v81, v40, v38, -v0
	v_fmac_f32_e32 v80, v41, v38
	s_delay_alu instid0(VALU_DEP_1)
	v_pk_add_f32 v[36:37], v[36:37], v[80:81]
	s_or_b32 exec_lo, exec_lo, s6
	s_and_saveexec_b32 s6, s19
	s_cbranch_execz .LBB58_306
.LBB58_1059:                            ;   in Loop: Header=BB58_3 Depth=1
	ds_load_b64 v[38:39], v61 offset:6784
	ds_load_b64 v[40:41], v57 offset:104
	s_wait_dscnt 0x0
	v_pk_mul_f32 v[80:81], v[40:41], v[38:39] op_sel:[0,1]
	s_delay_alu instid0(VALU_DEP_1) | instskip(SKIP_1) | instid1(VALU_DEP_2)
	v_pk_fma_f32 v[82:83], v[40:41], v[38:39], v[80:81] op_sel:[1,0,0] op_sel_hi:[0,0,1] neg_lo:[0,0,1] neg_hi:[0,0,1]
	v_pk_fma_f32 v[38:39], v[40:41], v[38:39], v[80:81] op_sel:[1,0,0] op_sel_hi:[0,1,1]
	v_mov_b32_e32 v39, v83
	s_delay_alu instid0(VALU_DEP_1)
	v_pk_add_f32 v[36:37], v[36:37], v[38:39]
	s_or_b32 exec_lo, exec_lo, s6
	s_and_saveexec_b32 s6, s21
	s_cbranch_execz .LBB58_307
.LBB58_1060:                            ;   in Loop: Header=BB58_3 Depth=1
	ds_load_b64 v[38:39], v60 offset:7296
	ds_load_b64 v[40:41], v57 offset:112
	s_wait_dscnt 0x0
	v_pk_mul_f32 v[80:81], v[40:41], v[38:39] op_sel:[0,1]
	s_delay_alu instid0(VALU_DEP_1) | instskip(SKIP_1) | instid1(VALU_DEP_2)
	v_pk_fma_f32 v[82:83], v[40:41], v[38:39], v[80:81] op_sel:[1,0,0] op_sel_hi:[0,0,1] neg_lo:[0,0,1] neg_hi:[0,0,1]
	v_pk_fma_f32 v[38:39], v[40:41], v[38:39], v[80:81] op_sel:[1,0,0] op_sel_hi:[0,1,1]
	v_mov_b32_e32 v39, v83
	s_delay_alu instid0(VALU_DEP_1)
	v_pk_add_f32 v[36:37], v[36:37], v[38:39]
	s_or_b32 exec_lo, exec_lo, s6
	s_and_saveexec_b32 s6, s2
	s_cbranch_execnz .LBB58_308
	s_branch .LBB58_309
.LBB58_1061:                            ;   in Loop: Header=BB58_3 Depth=1
	ds_load_b64 v[38:39], v51 offset:8864
	ds_load_b64 v[40:41], v47 offset:8328
	s_wait_dscnt 0x0
	v_pk_mul_f32 v[80:81], v[40:41], v[38:39] op_sel:[0,1]
	s_delay_alu instid0(VALU_DEP_1) | instskip(SKIP_1) | instid1(VALU_DEP_2)
	v_pk_fma_f32 v[82:83], v[40:41], v[38:39], v[80:81] op_sel:[1,0,0] op_sel_hi:[0,0,1] neg_lo:[0,0,1] neg_hi:[0,0,1]
	v_pk_fma_f32 v[38:39], v[40:41], v[38:39], v[80:81] op_sel:[1,0,0] op_sel_hi:[0,1,1]
	v_mov_b32_e32 v39, v83
	s_delay_alu instid0(VALU_DEP_1)
	v_pk_add_f32 v[36:37], v[36:37], v[38:39]
	s_or_b32 exec_lo, exec_lo, s6
	s_and_saveexec_b32 s6, s17
	s_cbranch_execz .LBB58_393
.LBB58_1062:                            ;   in Loop: Header=BB58_3 Depth=1
	ds_load_b64 v[38:39], v50 offset:9376
	ds_load_b64 v[40:41], v47 offset:8336
	s_wait_dscnt 0x0
	v_pk_mul_f32 v[80:81], v[40:41], v[38:39] op_sel:[0,1]
	s_delay_alu instid0(VALU_DEP_1) | instskip(SKIP_1) | instid1(VALU_DEP_2)
	v_pk_fma_f32 v[82:83], v[40:41], v[38:39], v[80:81] op_sel:[1,0,0] op_sel_hi:[0,0,1] neg_lo:[0,0,1] neg_hi:[0,0,1]
	v_pk_fma_f32 v[38:39], v[40:41], v[38:39], v[80:81] op_sel:[1,0,0] op_sel_hi:[0,1,1]
	v_mov_b32_e32 v39, v83
	s_delay_alu instid0(VALU_DEP_1)
	v_pk_add_f32 v[36:37], v[36:37], v[38:39]
	s_or_b32 exec_lo, exec_lo, s6
	s_and_saveexec_b32 s6, s1
	s_cbranch_execnz .LBB58_394
	s_branch .LBB58_395
.LBB58_1063:                            ;   in Loop: Header=BB58_3 Depth=1
	ds_load_b64 v[38:39], v56 offset:8896
	ds_load_b64 v[40:41], v52 offset:8328
	s_wait_dscnt 0x0
	v_dual_mul_f32 v0, v41, v39 :: v_dual_mul_f32 v39, v40, v39
	s_delay_alu instid0(VALU_DEP_1) | instskip(NEXT) | instid1(VALU_DEP_1)
	v_dual_fma_f32 v0, v40, v38, -v0 :: v_dual_fmac_f32 v39, v41, v38
	v_dual_add_f32 v37, v37, v0 :: v_dual_add_f32 v36, v36, v39
	s_or_b32 exec_lo, exec_lo, s6
	s_and_saveexec_b32 s6, s19
	s_cbranch_execz .LBB58_431
.LBB58_1064:                            ;   in Loop: Header=BB58_3 Depth=1
	ds_load_b64 v[38:39], v56 offset:9408
	ds_load_b64 v[40:41], v52 offset:8336
	s_wait_dscnt 0x0
	v_dual_mul_f32 v0, v41, v39 :: v_dual_mul_f32 v39, v40, v39
	s_delay_alu instid0(VALU_DEP_1) | instskip(NEXT) | instid1(VALU_DEP_1)
	v_dual_fma_f32 v0, v40, v38, -v0 :: v_dual_fmac_f32 v39, v41, v38
	v_dual_add_f32 v37, v37, v0 :: v_dual_add_f32 v36, v36, v39
	s_or_b32 exec_lo, exec_lo, s6
	s_and_saveexec_b32 s6, s20
	s_cbranch_execz .LBB58_432
.LBB58_1065:                            ;   in Loop: Header=BB58_3 Depth=1
	ds_load_b64 v[38:39], v56 offset:9920
	ds_load_b64 v[40:41], v52 offset:8344
	s_wait_dscnt 0x0
	v_dual_mul_f32 v0, v41, v39 :: v_dual_mul_f32 v39, v40, v39
	s_delay_alu instid0(VALU_DEP_1) | instskip(NEXT) | instid1(VALU_DEP_1)
	v_dual_fma_f32 v0, v40, v38, -v0 :: v_dual_fmac_f32 v39, v41, v38
	v_dual_add_f32 v37, v37, v0 :: v_dual_add_f32 v36, v36, v39
	s_or_b32 exec_lo, exec_lo, s6
	s_and_saveexec_b32 s6, s21
	s_cbranch_execz .LBB58_433
.LBB58_1066:                            ;   in Loop: Header=BB58_3 Depth=1
	ds_load_b64 v[38:39], v55 offset:10432
	ds_load_b64 v[40:41], v52 offset:8352
	s_wait_dscnt 0x0
	v_dual_mul_f32 v0, v41, v39 :: v_dual_mul_f32 v80, v40, v39
	s_delay_alu instid0(VALU_DEP_1) | instskip(NEXT) | instid1(VALU_DEP_2)
	v_fma_f32 v81, v40, v38, -v0
	v_fmac_f32_e32 v80, v41, v38
	s_delay_alu instid0(VALU_DEP_1)
	v_pk_add_f32 v[36:37], v[36:37], v[80:81]
	s_or_b32 exec_lo, exec_lo, s6
	s_and_saveexec_b32 s6, s22
	s_cbranch_execz .LBB58_434
.LBB58_1067:                            ;   in Loop: Header=BB58_3 Depth=1
	ds_load_b64 v[38:39], v56 offset:10944
	ds_load_b64 v[40:41], v52 offset:8360
	s_wait_dscnt 0x0
	v_pk_mul_f32 v[80:81], v[40:41], v[38:39] op_sel:[0,1]
	s_delay_alu instid0(VALU_DEP_1) | instskip(SKIP_1) | instid1(VALU_DEP_2)
	v_pk_fma_f32 v[82:83], v[40:41], v[38:39], v[80:81] op_sel:[1,0,0] op_sel_hi:[0,0,1] neg_lo:[0,0,1] neg_hi:[0,0,1]
	v_pk_fma_f32 v[38:39], v[40:41], v[38:39], v[80:81] op_sel:[1,0,0] op_sel_hi:[0,1,1]
	v_mov_b32_e32 v39, v83
	s_delay_alu instid0(VALU_DEP_1)
	v_pk_add_f32 v[36:37], v[36:37], v[38:39]
	s_or_b32 exec_lo, exec_lo, s6
	s_and_saveexec_b32 s6, s2
	s_cbranch_execz .LBB58_435
.LBB58_1068:                            ;   in Loop: Header=BB58_3 Depth=1
	ds_load_b64 v[38:39], v55 offset:11456
	ds_load_b64 v[40:41], v52 offset:8368
	s_wait_dscnt 0x0
	v_pk_mul_f32 v[80:81], v[40:41], v[38:39] op_sel:[0,1]
	s_delay_alu instid0(VALU_DEP_1) | instskip(SKIP_1) | instid1(VALU_DEP_2)
	v_pk_fma_f32 v[82:83], v[40:41], v[38:39], v[80:81] op_sel:[1,0,0] op_sel_hi:[0,0,1] neg_lo:[0,0,1] neg_hi:[0,0,1]
	v_pk_fma_f32 v[38:39], v[40:41], v[38:39], v[80:81] op_sel:[1,0,0] op_sel_hi:[0,1,1]
	v_mov_b32_e32 v39, v83
	s_delay_alu instid0(VALU_DEP_1)
	v_pk_add_f32 v[36:37], v[36:37], v[38:39]
	s_or_b32 exec_lo, exec_lo, s6
	s_and_saveexec_b32 s6, s17
	s_cbranch_execnz .LBB58_436
	s_branch .LBB58_437
.LBB58_1069:                            ;   in Loop: Header=BB58_3 Depth=1
	ds_load_b64 v[38:39], v51 offset:13024
	ds_load_b64 v[40:41], v47 offset:12488
	s_wait_dscnt 0x0
	v_pk_mul_f32 v[80:81], v[40:41], v[38:39] op_sel:[0,1]
	s_delay_alu instid0(VALU_DEP_1) | instskip(SKIP_1) | instid1(VALU_DEP_2)
	v_pk_fma_f32 v[82:83], v[40:41], v[38:39], v[80:81] op_sel:[1,0,0] op_sel_hi:[0,0,1] neg_lo:[0,0,1] neg_hi:[0,0,1]
	v_pk_fma_f32 v[38:39], v[40:41], v[38:39], v[80:81] op_sel:[1,0,0] op_sel_hi:[0,1,1]
	v_mov_b32_e32 v39, v83
	s_delay_alu instid0(VALU_DEP_1)
	v_pk_add_f32 v[36:37], v[36:37], v[38:39]
	s_or_b32 exec_lo, exec_lo, s6
	s_and_saveexec_b32 s6, s17
	s_cbranch_execz .LBB58_489
.LBB58_1070:                            ;   in Loop: Header=BB58_3 Depth=1
	ds_load_b64 v[38:39], v50 offset:13536
	ds_load_b64 v[40:41], v47 offset:12496
	s_wait_dscnt 0x0
	v_pk_mul_f32 v[80:81], v[40:41], v[38:39] op_sel:[0,1]
	s_delay_alu instid0(VALU_DEP_1) | instskip(SKIP_1) | instid1(VALU_DEP_2)
	v_pk_fma_f32 v[82:83], v[40:41], v[38:39], v[80:81] op_sel:[1,0,0] op_sel_hi:[0,0,1] neg_lo:[0,0,1] neg_hi:[0,0,1]
	v_pk_fma_f32 v[38:39], v[40:41], v[38:39], v[80:81] op_sel:[1,0,0] op_sel_hi:[0,1,1]
	v_mov_b32_e32 v39, v83
	s_delay_alu instid0(VALU_DEP_1)
	v_pk_add_f32 v[36:37], v[36:37], v[38:39]
	s_or_b32 exec_lo, exec_lo, s6
	s_and_saveexec_b32 s6, s1
	s_cbranch_execnz .LBB58_490
	s_branch .LBB58_491
.LBB58_1071:                            ;   in Loop: Header=BB58_3 Depth=1
	ds_load_b64 v[40:41], v38 offset:14592
	ds_load_b64 v[80:81], v0 offset:224
	s_wait_dscnt 0x0
	v_pk_mul_f32 v[82:83], v[80:81], v[40:41] op_sel:[1,1] op_sel_hi:[0,1]
	s_delay_alu instid0(VALU_DEP_1) | instskip(SKIP_1) | instid1(VALU_DEP_2)
	v_pk_fma_f32 v[84:85], v[80:81], v[40:41], v[82:83] op_sel_hi:[1,0,1]
	v_pk_fma_f32 v[40:41], v[80:81], v[40:41], v[82:83] neg_lo:[0,0,1] neg_hi:[0,0,1]
	v_mov_b32_e32 v41, v85
	s_delay_alu instid0(VALU_DEP_1)
	v_pk_add_f32 v[36:37], v[36:37], v[40:41]
	s_or_b32 exec_lo, exec_lo, s6
	s_and_saveexec_b32 s6, s11
	s_cbranch_execz .LBB58_581
.LBB58_1072:                            ;   in Loop: Header=BB58_3 Depth=1
	ds_load_b64 v[40:41], v38 offset:15104
	ds_load_b64 v[80:81], v0 offset:232
	s_wait_dscnt 0x0
	v_pk_mul_f32 v[82:83], v[80:81], v[40:41] op_sel:[1,1] op_sel_hi:[0,1]
	s_delay_alu instid0(VALU_DEP_1) | instskip(SKIP_1) | instid1(VALU_DEP_2)
	v_pk_fma_f32 v[84:85], v[80:81], v[40:41], v[82:83] op_sel_hi:[1,0,1]
	v_pk_fma_f32 v[40:41], v[80:81], v[40:41], v[82:83] neg_lo:[0,0,1] neg_hi:[0,0,1]
	v_mov_b32_e32 v41, v85
	s_delay_alu instid0(VALU_DEP_1)
	v_pk_add_f32 v[36:37], v[36:37], v[40:41]
	s_or_b32 exec_lo, exec_lo, s6
	s_and_saveexec_b32 s6, s3
	s_cbranch_execz .LBB58_582
.LBB58_1073:                            ;   in Loop: Header=BB58_3 Depth=1
	ds_load_b64 v[38:39], v38 offset:15616
	ds_load_b64 v[40:41], v0 offset:240
	s_wait_dscnt 0x0
	v_pk_mul_f32 v[80:81], v[40:41], v[38:39] op_sel:[1,1] op_sel_hi:[0,1]
	s_delay_alu instid0(VALU_DEP_1) | instskip(SKIP_1) | instid1(VALU_DEP_2)
	v_pk_fma_f32 v[82:83], v[40:41], v[38:39], v[80:81] op_sel_hi:[1,0,1]
	v_pk_fma_f32 v[38:39], v[40:41], v[38:39], v[80:81] neg_lo:[0,0,1] neg_hi:[0,0,1]
	v_mov_b32_e32 v39, v83
	s_delay_alu instid0(VALU_DEP_1)
	v_pk_add_f32 v[36:37], v[36:37], v[38:39]
	s_or_b32 exec_lo, exec_lo, s6
	s_and_saveexec_b32 s6, s21
	s_cbranch_execnz .LBB58_583
	s_branch .LBB58_584
.LBB58_1074:                            ;   in Loop: Header=BB58_3 Depth=1
	ds_load_b64 v[38:39], v51 offset:17184
	ds_load_b64 v[40:41], v47 offset:16648
	s_wait_dscnt 0x0
	v_pk_mul_f32 v[80:81], v[40:41], v[38:39] op_sel:[0,1]
	s_delay_alu instid0(VALU_DEP_1) | instskip(SKIP_1) | instid1(VALU_DEP_2)
	v_pk_fma_f32 v[82:83], v[40:41], v[38:39], v[80:81] op_sel:[1,0,0] op_sel_hi:[0,0,1] neg_lo:[0,0,1] neg_hi:[0,0,1]
	v_pk_fma_f32 v[38:39], v[40:41], v[38:39], v[80:81] op_sel:[1,0,0] op_sel_hi:[0,1,1]
	v_mov_b32_e32 v39, v83
	s_delay_alu instid0(VALU_DEP_1)
	v_pk_add_f32 v[36:37], v[36:37], v[38:39]
	s_or_b32 exec_lo, exec_lo, s6
	s_and_saveexec_b32 s6, s17
	s_cbranch_execz .LBB58_616
.LBB58_1075:                            ;   in Loop: Header=BB58_3 Depth=1
	ds_load_b64 v[38:39], v50 offset:17696
	ds_load_b64 v[40:41], v47 offset:16656
	s_wait_dscnt 0x0
	v_pk_mul_f32 v[80:81], v[40:41], v[38:39] op_sel:[0,1]
	s_delay_alu instid0(VALU_DEP_1) | instskip(SKIP_1) | instid1(VALU_DEP_2)
	v_pk_fma_f32 v[82:83], v[40:41], v[38:39], v[80:81] op_sel:[1,0,0] op_sel_hi:[0,0,1] neg_lo:[0,0,1] neg_hi:[0,0,1]
	v_pk_fma_f32 v[38:39], v[40:41], v[38:39], v[80:81] op_sel:[1,0,0] op_sel_hi:[0,1,1]
	v_mov_b32_e32 v39, v83
	s_delay_alu instid0(VALU_DEP_1)
	v_pk_add_f32 v[36:37], v[36:37], v[38:39]
	s_or_b32 exec_lo, exec_lo, s6
	s_and_saveexec_b32 s6, s1
	s_cbranch_execnz .LBB58_617
	s_branch .LBB58_618
.LBB58_1076:                            ;   in Loop: Header=BB58_3 Depth=1
	ds_load_b64 v[38:39], v56 offset:17216
	ds_load_b64 v[40:41], v52 offset:16648
	s_wait_dscnt 0x0
	v_dual_mul_f32 v0, v41, v39 :: v_dual_mul_f32 v39, v40, v39
	s_delay_alu instid0(VALU_DEP_1) | instskip(NEXT) | instid1(VALU_DEP_1)
	v_dual_fma_f32 v0, v40, v38, -v0 :: v_dual_fmac_f32 v39, v41, v38
	v_dual_add_f32 v37, v37, v0 :: v_dual_add_f32 v36, v36, v39
	s_or_b32 exec_lo, exec_lo, s6
	s_and_saveexec_b32 s6, s19
	s_cbranch_execz .LBB58_654
.LBB58_1077:                            ;   in Loop: Header=BB58_3 Depth=1
	ds_load_b64 v[38:39], v56 offset:17728
	ds_load_b64 v[40:41], v52 offset:16656
	s_wait_dscnt 0x0
	v_dual_mul_f32 v0, v41, v39 :: v_dual_mul_f32 v39, v40, v39
	s_delay_alu instid0(VALU_DEP_1) | instskip(NEXT) | instid1(VALU_DEP_1)
	v_dual_fma_f32 v0, v40, v38, -v0 :: v_dual_fmac_f32 v39, v41, v38
	v_dual_add_f32 v37, v37, v0 :: v_dual_add_f32 v36, v36, v39
	s_or_b32 exec_lo, exec_lo, s6
	s_and_saveexec_b32 s6, s20
	s_cbranch_execz .LBB58_655
.LBB58_1078:                            ;   in Loop: Header=BB58_3 Depth=1
	ds_load_b64 v[38:39], v56 offset:18240
	ds_load_b64 v[40:41], v52 offset:16664
	s_wait_dscnt 0x0
	v_dual_mul_f32 v0, v41, v39 :: v_dual_mul_f32 v39, v40, v39
	s_delay_alu instid0(VALU_DEP_1) | instskip(NEXT) | instid1(VALU_DEP_1)
	v_dual_fma_f32 v0, v40, v38, -v0 :: v_dual_fmac_f32 v39, v41, v38
	v_dual_add_f32 v37, v37, v0 :: v_dual_add_f32 v36, v36, v39
	s_or_b32 exec_lo, exec_lo, s6
	s_and_saveexec_b32 s6, s21
	s_cbranch_execz .LBB58_656
.LBB58_1079:                            ;   in Loop: Header=BB58_3 Depth=1
	ds_load_b64 v[38:39], v55 offset:18752
	ds_load_b64 v[40:41], v52 offset:16672
	s_wait_dscnt 0x0
	v_dual_mul_f32 v0, v41, v39 :: v_dual_mul_f32 v80, v40, v39
	s_delay_alu instid0(VALU_DEP_1) | instskip(NEXT) | instid1(VALU_DEP_2)
	v_fma_f32 v81, v40, v38, -v0
	v_fmac_f32_e32 v80, v41, v38
	s_delay_alu instid0(VALU_DEP_1)
	v_pk_add_f32 v[36:37], v[36:37], v[80:81]
	s_or_b32 exec_lo, exec_lo, s6
	s_and_saveexec_b32 s6, s22
	s_cbranch_execz .LBB58_657
.LBB58_1080:                            ;   in Loop: Header=BB58_3 Depth=1
	ds_load_b64 v[38:39], v56 offset:19264
	ds_load_b64 v[40:41], v52 offset:16680
	s_wait_dscnt 0x0
	v_pk_mul_f32 v[80:81], v[40:41], v[38:39] op_sel:[0,1]
	s_delay_alu instid0(VALU_DEP_1) | instskip(SKIP_1) | instid1(VALU_DEP_2)
	v_pk_fma_f32 v[82:83], v[40:41], v[38:39], v[80:81] op_sel:[1,0,0] op_sel_hi:[0,0,1] neg_lo:[0,0,1] neg_hi:[0,0,1]
	v_pk_fma_f32 v[38:39], v[40:41], v[38:39], v[80:81] op_sel:[1,0,0] op_sel_hi:[0,1,1]
	v_mov_b32_e32 v39, v83
	s_delay_alu instid0(VALU_DEP_1)
	v_pk_add_f32 v[36:37], v[36:37], v[38:39]
	s_or_b32 exec_lo, exec_lo, s6
	s_and_saveexec_b32 s6, s2
	s_cbranch_execz .LBB58_658
.LBB58_1081:                            ;   in Loop: Header=BB58_3 Depth=1
	ds_load_b64 v[38:39], v55 offset:19776
	ds_load_b64 v[40:41], v52 offset:16688
	s_wait_dscnt 0x0
	v_pk_mul_f32 v[80:81], v[40:41], v[38:39] op_sel:[0,1]
	s_delay_alu instid0(VALU_DEP_1) | instskip(SKIP_1) | instid1(VALU_DEP_2)
	v_pk_fma_f32 v[82:83], v[40:41], v[38:39], v[80:81] op_sel:[1,0,0] op_sel_hi:[0,0,1] neg_lo:[0,0,1] neg_hi:[0,0,1]
	v_pk_fma_f32 v[38:39], v[40:41], v[38:39], v[80:81] op_sel:[1,0,0] op_sel_hi:[0,1,1]
	v_mov_b32_e32 v39, v83
	s_delay_alu instid0(VALU_DEP_1)
	v_pk_add_f32 v[36:37], v[36:37], v[38:39]
	s_or_b32 exec_lo, exec_lo, s6
	s_and_saveexec_b32 s6, s17
	s_cbranch_execnz .LBB58_659
	s_branch .LBB58_660
.LBB58_1082:                            ;   in Loop: Header=BB58_3 Depth=1
	ds_load_b64 v[38:39], v51 offset:21344
	ds_load_b64 v[40:41], v47 offset:20808
	s_wait_dscnt 0x0
	v_pk_mul_f32 v[80:81], v[40:41], v[38:39] op_sel:[0,1]
	s_delay_alu instid0(VALU_DEP_1) | instskip(SKIP_1) | instid1(VALU_DEP_2)
	v_pk_fma_f32 v[82:83], v[40:41], v[38:39], v[80:81] op_sel:[1,0,0] op_sel_hi:[0,0,1] neg_lo:[0,0,1] neg_hi:[0,0,1]
	v_pk_fma_f32 v[38:39], v[40:41], v[38:39], v[80:81] op_sel:[1,0,0] op_sel_hi:[0,1,1]
	v_mov_b32_e32 v39, v83
	s_delay_alu instid0(VALU_DEP_1)
	v_pk_add_f32 v[36:37], v[36:37], v[38:39]
	s_or_b32 exec_lo, exec_lo, s6
	s_and_saveexec_b32 s6, s17
	s_cbranch_execz .LBB58_712
.LBB58_1083:                            ;   in Loop: Header=BB58_3 Depth=1
	ds_load_b64 v[38:39], v50 offset:21856
	ds_load_b64 v[40:41], v47 offset:20816
	s_wait_dscnt 0x0
	v_pk_mul_f32 v[80:81], v[40:41], v[38:39] op_sel:[0,1]
	s_delay_alu instid0(VALU_DEP_1) | instskip(SKIP_1) | instid1(VALU_DEP_2)
	v_pk_fma_f32 v[82:83], v[40:41], v[38:39], v[80:81] op_sel:[1,0,0] op_sel_hi:[0,0,1] neg_lo:[0,0,1] neg_hi:[0,0,1]
	v_pk_fma_f32 v[38:39], v[40:41], v[38:39], v[80:81] op_sel:[1,0,0] op_sel_hi:[0,1,1]
	v_mov_b32_e32 v39, v83
	s_delay_alu instid0(VALU_DEP_1)
	v_pk_add_f32 v[36:37], v[36:37], v[38:39]
	s_or_b32 exec_lo, exec_lo, s6
	s_and_saveexec_b32 s6, s1
	s_cbranch_execnz .LBB58_713
	s_branch .LBB58_714
.LBB58_1084:                            ;   in Loop: Header=BB58_3 Depth=1
	ds_load_b64 v[38:39], v61 offset:22400
	ds_load_b64 v[40:41], v57 offset:16728
	s_wait_dscnt 0x0
	v_dual_mul_f32 v0, v41, v39 :: v_dual_mul_f32 v39, v40, v39
	s_delay_alu instid0(VALU_DEP_1) | instskip(NEXT) | instid1(VALU_DEP_1)
	v_dual_fma_f32 v0, v40, v38, -v0 :: v_dual_fmac_f32 v39, v41, v38
	v_dual_add_f32 v37, v37, v0 :: v_dual_add_f32 v36, v36, v39
	s_or_b32 exec_lo, exec_lo, s6
	s_and_saveexec_b32 s6, s3
	s_cbranch_execz .LBB58_770
.LBB58_1085:                            ;   in Loop: Header=BB58_3 Depth=1
	ds_load_b64 v[38:39], v60 offset:22912
	ds_load_b64 v[40:41], v57 offset:16736
	s_wait_dscnt 0x0
	v_dual_mul_f32 v0, v41, v39 :: v_dual_mul_f32 v80, v40, v39
	s_delay_alu instid0(VALU_DEP_1) | instskip(NEXT) | instid1(VALU_DEP_2)
	v_fma_f32 v81, v40, v38, -v0
	v_fmac_f32_e32 v80, v41, v38
	s_delay_alu instid0(VALU_DEP_1)
	v_pk_add_f32 v[36:37], v[36:37], v[80:81]
	s_or_b32 exec_lo, exec_lo, s6
	s_and_saveexec_b32 s6, s19
	s_cbranch_execz .LBB58_771
.LBB58_1086:                            ;   in Loop: Header=BB58_3 Depth=1
	ds_load_b64 v[38:39], v61 offset:23424
	ds_load_b64 v[40:41], v57 offset:16744
	s_wait_dscnt 0x0
	v_pk_mul_f32 v[80:81], v[40:41], v[38:39] op_sel:[0,1]
	s_delay_alu instid0(VALU_DEP_1) | instskip(SKIP_1) | instid1(VALU_DEP_2)
	v_pk_fma_f32 v[82:83], v[40:41], v[38:39], v[80:81] op_sel:[1,0,0] op_sel_hi:[0,0,1] neg_lo:[0,0,1] neg_hi:[0,0,1]
	v_pk_fma_f32 v[38:39], v[40:41], v[38:39], v[80:81] op_sel:[1,0,0] op_sel_hi:[0,1,1]
	v_mov_b32_e32 v39, v83
	s_delay_alu instid0(VALU_DEP_1)
	v_pk_add_f32 v[36:37], v[36:37], v[38:39]
	s_or_b32 exec_lo, exec_lo, s6
	s_and_saveexec_b32 s6, s21
	s_cbranch_execz .LBB58_772
.LBB58_1087:                            ;   in Loop: Header=BB58_3 Depth=1
	ds_load_b64 v[38:39], v60 offset:23936
	ds_load_b64 v[40:41], v57 offset:16752
	s_wait_dscnt 0x0
	v_pk_mul_f32 v[80:81], v[40:41], v[38:39] op_sel:[0,1]
	s_delay_alu instid0(VALU_DEP_1) | instskip(SKIP_1) | instid1(VALU_DEP_2)
	v_pk_fma_f32 v[82:83], v[40:41], v[38:39], v[80:81] op_sel:[1,0,0] op_sel_hi:[0,0,1] neg_lo:[0,0,1] neg_hi:[0,0,1]
	v_pk_fma_f32 v[38:39], v[40:41], v[38:39], v[80:81] op_sel:[1,0,0] op_sel_hi:[0,1,1]
	v_mov_b32_e32 v39, v83
	s_delay_alu instid0(VALU_DEP_1)
	v_pk_add_f32 v[36:37], v[36:37], v[38:39]
	s_or_b32 exec_lo, exec_lo, s6
	s_and_saveexec_b32 s6, s2
	s_cbranch_execnz .LBB58_773
	s_branch .LBB58_774
.LBB58_1088:                            ;   in Loop: Header=BB58_3 Depth=1
	ds_load_b64 v[38:39], v51 offset:25504
	ds_load_b64 v[40:41], v47 offset:24968
	s_wait_dscnt 0x0
	v_pk_mul_f32 v[80:81], v[40:41], v[38:39] op_sel:[0,1]
	s_delay_alu instid0(VALU_DEP_1) | instskip(SKIP_1) | instid1(VALU_DEP_2)
	v_pk_fma_f32 v[82:83], v[40:41], v[38:39], v[80:81] op_sel:[1,0,0] op_sel_hi:[0,0,1] neg_lo:[0,0,1] neg_hi:[0,0,1]
	v_pk_fma_f32 v[38:39], v[40:41], v[38:39], v[80:81] op_sel:[1,0,0] op_sel_hi:[0,1,1]
	v_mov_b32_e32 v39, v83
	s_delay_alu instid0(VALU_DEP_1)
	v_pk_add_f32 v[36:37], v[36:37], v[38:39]
	s_or_b32 exec_lo, exec_lo, s6
	s_and_saveexec_b32 s6, s17
	s_cbranch_execz .LBB58_858
.LBB58_1089:                            ;   in Loop: Header=BB58_3 Depth=1
	ds_load_b64 v[38:39], v50 offset:26016
	ds_load_b64 v[40:41], v47 offset:24976
	s_wait_dscnt 0x0
	v_pk_mul_f32 v[80:81], v[40:41], v[38:39] op_sel:[0,1]
	s_delay_alu instid0(VALU_DEP_1) | instskip(SKIP_1) | instid1(VALU_DEP_2)
	v_pk_fma_f32 v[82:83], v[40:41], v[38:39], v[80:81] op_sel:[1,0,0] op_sel_hi:[0,0,1] neg_lo:[0,0,1] neg_hi:[0,0,1]
	v_pk_fma_f32 v[38:39], v[40:41], v[38:39], v[80:81] op_sel:[1,0,0] op_sel_hi:[0,1,1]
	v_mov_b32_e32 v39, v83
	s_delay_alu instid0(VALU_DEP_1)
	v_pk_add_f32 v[36:37], v[36:37], v[38:39]
	s_or_b32 exec_lo, exec_lo, s6
	s_and_saveexec_b32 s6, s1
	s_cbranch_execnz .LBB58_859
	s_branch .LBB58_860
.LBB58_1090:                            ;   in Loop: Header=BB58_3 Depth=1
	ds_load_b64 v[38:39], v56 offset:25536
	ds_load_b64 v[40:41], v52 offset:24968
	s_wait_dscnt 0x0
	v_dual_mul_f32 v0, v41, v39 :: v_dual_mul_f32 v39, v40, v39
	s_delay_alu instid0(VALU_DEP_1) | instskip(NEXT) | instid1(VALU_DEP_1)
	v_dual_fma_f32 v0, v40, v38, -v0 :: v_dual_fmac_f32 v39, v41, v38
	v_dual_add_f32 v37, v37, v0 :: v_dual_add_f32 v36, v36, v39
	s_or_b32 exec_lo, exec_lo, s6
	s_and_saveexec_b32 s6, s19
	s_cbranch_execz .LBB58_896
.LBB58_1091:                            ;   in Loop: Header=BB58_3 Depth=1
	ds_load_b64 v[38:39], v56 offset:26048
	ds_load_b64 v[40:41], v52 offset:24976
	s_wait_dscnt 0x0
	v_dual_mul_f32 v0, v41, v39 :: v_dual_mul_f32 v39, v40, v39
	s_delay_alu instid0(VALU_DEP_1) | instskip(NEXT) | instid1(VALU_DEP_1)
	v_dual_fma_f32 v0, v40, v38, -v0 :: v_dual_fmac_f32 v39, v41, v38
	v_dual_add_f32 v37, v37, v0 :: v_dual_add_f32 v36, v36, v39
	s_or_b32 exec_lo, exec_lo, s6
	s_and_saveexec_b32 s6, s20
	s_cbranch_execz .LBB58_897
.LBB58_1092:                            ;   in Loop: Header=BB58_3 Depth=1
	ds_load_b64 v[38:39], v56 offset:26560
	ds_load_b64 v[40:41], v52 offset:24984
	s_wait_dscnt 0x0
	v_dual_mul_f32 v0, v41, v39 :: v_dual_mul_f32 v39, v40, v39
	s_delay_alu instid0(VALU_DEP_1) | instskip(NEXT) | instid1(VALU_DEP_1)
	v_dual_fma_f32 v0, v40, v38, -v0 :: v_dual_fmac_f32 v39, v41, v38
	v_dual_add_f32 v37, v37, v0 :: v_dual_add_f32 v36, v36, v39
	s_or_b32 exec_lo, exec_lo, s6
	s_and_saveexec_b32 s6, s21
	s_cbranch_execz .LBB58_898
.LBB58_1093:                            ;   in Loop: Header=BB58_3 Depth=1
	ds_load_b64 v[38:39], v55 offset:27072
	ds_load_b64 v[40:41], v52 offset:24992
	s_wait_dscnt 0x0
	v_dual_mul_f32 v0, v41, v39 :: v_dual_mul_f32 v80, v40, v39
	s_delay_alu instid0(VALU_DEP_1) | instskip(NEXT) | instid1(VALU_DEP_2)
	v_fma_f32 v81, v40, v38, -v0
	v_fmac_f32_e32 v80, v41, v38
	s_delay_alu instid0(VALU_DEP_1)
	v_pk_add_f32 v[36:37], v[36:37], v[80:81]
	s_or_b32 exec_lo, exec_lo, s6
	s_and_saveexec_b32 s6, s22
	s_cbranch_execz .LBB58_899
.LBB58_1094:                            ;   in Loop: Header=BB58_3 Depth=1
	ds_load_b64 v[38:39], v56 offset:27584
	ds_load_b64 v[40:41], v52 offset:25000
	s_wait_dscnt 0x0
	v_pk_mul_f32 v[80:81], v[40:41], v[38:39] op_sel:[0,1]
	s_delay_alu instid0(VALU_DEP_1) | instskip(SKIP_1) | instid1(VALU_DEP_2)
	v_pk_fma_f32 v[82:83], v[40:41], v[38:39], v[80:81] op_sel:[1,0,0] op_sel_hi:[0,0,1] neg_lo:[0,0,1] neg_hi:[0,0,1]
	v_pk_fma_f32 v[38:39], v[40:41], v[38:39], v[80:81] op_sel:[1,0,0] op_sel_hi:[0,1,1]
	v_mov_b32_e32 v39, v83
	s_delay_alu instid0(VALU_DEP_1)
	v_pk_add_f32 v[36:37], v[36:37], v[38:39]
	s_or_b32 exec_lo, exec_lo, s6
	s_and_saveexec_b32 s6, s2
	s_cbranch_execz .LBB58_900
.LBB58_1095:                            ;   in Loop: Header=BB58_3 Depth=1
	ds_load_b64 v[38:39], v55 offset:28096
	ds_load_b64 v[40:41], v52 offset:25008
	s_wait_dscnt 0x0
	v_pk_mul_f32 v[80:81], v[40:41], v[38:39] op_sel:[0,1]
	s_delay_alu instid0(VALU_DEP_1) | instskip(SKIP_1) | instid1(VALU_DEP_2)
	v_pk_fma_f32 v[82:83], v[40:41], v[38:39], v[80:81] op_sel:[1,0,0] op_sel_hi:[0,0,1] neg_lo:[0,0,1] neg_hi:[0,0,1]
	v_pk_fma_f32 v[38:39], v[40:41], v[38:39], v[80:81] op_sel:[1,0,0] op_sel_hi:[0,1,1]
	v_mov_b32_e32 v39, v83
	s_delay_alu instid0(VALU_DEP_1)
	v_pk_add_f32 v[36:37], v[36:37], v[38:39]
	s_or_b32 exec_lo, exec_lo, s6
	s_and_saveexec_b32 s6, s17
	s_cbranch_execnz .LBB58_901
	s_branch .LBB58_902
.LBB58_1096:                            ;   in Loop: Header=BB58_3 Depth=1
	ds_load_b64 v[38:39], v51 offset:29664
	ds_load_b64 v[40:41], v47 offset:29128
	s_wait_dscnt 0x0
	v_pk_mul_f32 v[80:81], v[40:41], v[38:39] op_sel:[0,1]
	s_delay_alu instid0(VALU_DEP_1) | instskip(SKIP_1) | instid1(VALU_DEP_2)
	v_pk_fma_f32 v[82:83], v[40:41], v[38:39], v[80:81] op_sel:[1,0,0] op_sel_hi:[0,0,1] neg_lo:[0,0,1] neg_hi:[0,0,1]
	v_pk_fma_f32 v[38:39], v[40:41], v[38:39], v[80:81] op_sel:[1,0,0] op_sel_hi:[0,1,1]
	v_mov_b32_e32 v39, v83
	s_delay_alu instid0(VALU_DEP_1)
	v_pk_add_f32 v[36:37], v[36:37], v[38:39]
	s_or_b32 exec_lo, exec_lo, s6
	s_and_saveexec_b32 s6, s17
	s_cbranch_execz .LBB58_954
.LBB58_1097:                            ;   in Loop: Header=BB58_3 Depth=1
	ds_load_b64 v[38:39], v50 offset:30176
	ds_load_b64 v[40:41], v47 offset:29136
	s_wait_dscnt 0x0
	v_pk_mul_f32 v[80:81], v[40:41], v[38:39] op_sel:[0,1]
	s_delay_alu instid0(VALU_DEP_1) | instskip(SKIP_1) | instid1(VALU_DEP_2)
	v_pk_fma_f32 v[82:83], v[40:41], v[38:39], v[80:81] op_sel:[1,0,0] op_sel_hi:[0,0,1] neg_lo:[0,0,1] neg_hi:[0,0,1]
	v_pk_fma_f32 v[38:39], v[40:41], v[38:39], v[80:81] op_sel:[1,0,0] op_sel_hi:[0,1,1]
	v_mov_b32_e32 v39, v83
	s_delay_alu instid0(VALU_DEP_1)
	v_pk_add_f32 v[36:37], v[36:37], v[38:39]
	s_or_b32 exec_lo, exec_lo, s6
	s_and_saveexec_b32 s6, s1
	s_cbranch_execnz .LBB58_955
	s_branch .LBB58_956
.LBB58_1098:
	s_endpgm
	.section	.rodata,"a",@progbits
	.p2align	6, 0x0
	.amdhsa_kernel _ZL19rocblas_trsv_deviceILi64ELi16ELb1ELb0ELb0ELb0E19rocblas_complex_numIfEPKS1_S3_PS1_EviT7_lllT6_T8_lllPii
		.amdhsa_group_segment_fixed_size 41480
		.amdhsa_private_segment_fixed_size 48
		.amdhsa_kernarg_size 352
		.amdhsa_user_sgpr_count 2
		.amdhsa_user_sgpr_dispatch_ptr 0
		.amdhsa_user_sgpr_queue_ptr 0
		.amdhsa_user_sgpr_kernarg_segment_ptr 1
		.amdhsa_user_sgpr_dispatch_id 0
		.amdhsa_user_sgpr_kernarg_preload_length 0
		.amdhsa_user_sgpr_kernarg_preload_offset 0
		.amdhsa_user_sgpr_private_segment_size 0
		.amdhsa_wavefront_size32 1
		.amdhsa_uses_dynamic_stack 0
		.amdhsa_enable_private_segment 1
		.amdhsa_system_sgpr_workgroup_id_x 1
		.amdhsa_system_sgpr_workgroup_id_y 0
		.amdhsa_system_sgpr_workgroup_id_z 1
		.amdhsa_system_sgpr_workgroup_info 0
		.amdhsa_system_vgpr_workitem_id 1
		.amdhsa_next_free_vgpr 91
		.amdhsa_next_free_sgpr 105
		.amdhsa_named_barrier_count 0
		.amdhsa_reserve_vcc 1
		.amdhsa_float_round_mode_32 0
		.amdhsa_float_round_mode_16_64 0
		.amdhsa_float_denorm_mode_32 3
		.amdhsa_float_denorm_mode_16_64 3
		.amdhsa_fp16_overflow 0
		.amdhsa_memory_ordered 1
		.amdhsa_forward_progress 1
		.amdhsa_inst_pref_size 255
		.amdhsa_round_robin_scheduling 0
		.amdhsa_exception_fp_ieee_invalid_op 0
		.amdhsa_exception_fp_denorm_src 0
		.amdhsa_exception_fp_ieee_div_zero 0
		.amdhsa_exception_fp_ieee_overflow 0
		.amdhsa_exception_fp_ieee_underflow 0
		.amdhsa_exception_fp_ieee_inexact 0
		.amdhsa_exception_int_div_zero 0
	.end_amdhsa_kernel
	.section	.text._ZL19rocblas_trsv_deviceILi64ELi16ELb1ELb0ELb0ELb0E19rocblas_complex_numIfEPKS1_S3_PS1_EviT7_lllT6_T8_lllPii,"axG",@progbits,_ZL19rocblas_trsv_deviceILi64ELi16ELb1ELb0ELb0ELb0E19rocblas_complex_numIfEPKS1_S3_PS1_EviT7_lllT6_T8_lllPii,comdat
.Lfunc_end58:
	.size	_ZL19rocblas_trsv_deviceILi64ELi16ELb1ELb0ELb0ELb0E19rocblas_complex_numIfEPKS1_S3_PS1_EviT7_lllT6_T8_lllPii, .Lfunc_end58-_ZL19rocblas_trsv_deviceILi64ELi16ELb1ELb0ELb0ELb0E19rocblas_complex_numIfEPKS1_S3_PS1_EviT7_lllT6_T8_lllPii
                                        ; -- End function
	.set _ZL19rocblas_trsv_deviceILi64ELi16ELb1ELb0ELb0ELb0E19rocblas_complex_numIfEPKS1_S3_PS1_EviT7_lllT6_T8_lllPii.num_vgpr, 91
	.set _ZL19rocblas_trsv_deviceILi64ELi16ELb1ELb0ELb0ELb0E19rocblas_complex_numIfEPKS1_S3_PS1_EviT7_lllT6_T8_lllPii.num_agpr, 0
	.set _ZL19rocblas_trsv_deviceILi64ELi16ELb1ELb0ELb0ELb0E19rocblas_complex_numIfEPKS1_S3_PS1_EviT7_lllT6_T8_lllPii.numbered_sgpr, 105
	.set _ZL19rocblas_trsv_deviceILi64ELi16ELb1ELb0ELb0ELb0E19rocblas_complex_numIfEPKS1_S3_PS1_EviT7_lllT6_T8_lllPii.num_named_barrier, 0
	.set _ZL19rocblas_trsv_deviceILi64ELi16ELb1ELb0ELb0ELb0E19rocblas_complex_numIfEPKS1_S3_PS1_EviT7_lllT6_T8_lllPii.private_seg_size, 48
	.set _ZL19rocblas_trsv_deviceILi64ELi16ELb1ELb0ELb0ELb0E19rocblas_complex_numIfEPKS1_S3_PS1_EviT7_lllT6_T8_lllPii.uses_vcc, 1
	.set _ZL19rocblas_trsv_deviceILi64ELi16ELb1ELb0ELb0ELb0E19rocblas_complex_numIfEPKS1_S3_PS1_EviT7_lllT6_T8_lllPii.uses_flat_scratch, 0
	.set _ZL19rocblas_trsv_deviceILi64ELi16ELb1ELb0ELb0ELb0E19rocblas_complex_numIfEPKS1_S3_PS1_EviT7_lllT6_T8_lllPii.has_dyn_sized_stack, 0
	.set _ZL19rocblas_trsv_deviceILi64ELi16ELb1ELb0ELb0ELb0E19rocblas_complex_numIfEPKS1_S3_PS1_EviT7_lllT6_T8_lllPii.has_recursion, 0
	.set _ZL19rocblas_trsv_deviceILi64ELi16ELb1ELb0ELb0ELb0E19rocblas_complex_numIfEPKS1_S3_PS1_EviT7_lllT6_T8_lllPii.has_indirect_call, 0
	.section	.AMDGPU.csdata,"",@progbits
; Kernel info:
; codeLenInByte = 49496
; TotalNumSgprs: 107
; NumVgprs: 91
; ScratchSize: 48
; MemoryBound: 0
; FloatMode: 240
; IeeeMode: 1
; LDSByteSize: 41480 bytes/workgroup (compile time only)
; SGPRBlocks: 0
; VGPRBlocks: 5
; NumSGPRsForWavesPerEU: 107
; NumVGPRsForWavesPerEU: 91
; NamedBarCnt: 0
; Occupancy: 10
; WaveLimiterHint : 0
; COMPUTE_PGM_RSRC2:SCRATCH_EN: 1
; COMPUTE_PGM_RSRC2:USER_SGPR: 2
; COMPUTE_PGM_RSRC2:TRAP_HANDLER: 0
; COMPUTE_PGM_RSRC2:TGID_X_EN: 1
; COMPUTE_PGM_RSRC2:TGID_Y_EN: 0
; COMPUTE_PGM_RSRC2:TGID_Z_EN: 1
; COMPUTE_PGM_RSRC2:TIDIG_COMP_CNT: 1
	.section	.text._ZL19rocblas_trsv_deviceILi64ELi16ELb1ELb1ELb0ELb0E19rocblas_complex_numIfEPKS1_S3_PS1_EviT7_lllT6_T8_lllPii,"axG",@progbits,_ZL19rocblas_trsv_deviceILi64ELi16ELb1ELb1ELb0ELb0E19rocblas_complex_numIfEPKS1_S3_PS1_EviT7_lllT6_T8_lllPii,comdat
	.globl	_ZL19rocblas_trsv_deviceILi64ELi16ELb1ELb1ELb0ELb0E19rocblas_complex_numIfEPKS1_S3_PS1_EviT7_lllT6_T8_lllPii ; -- Begin function _ZL19rocblas_trsv_deviceILi64ELi16ELb1ELb1ELb0ELb0E19rocblas_complex_numIfEPKS1_S3_PS1_EviT7_lllT6_T8_lllPii
	.p2align	8
	.type	_ZL19rocblas_trsv_deviceILi64ELi16ELb1ELb1ELb0ELb0E19rocblas_complex_numIfEPKS1_S3_PS1_EviT7_lllT6_T8_lllPii,@function
_ZL19rocblas_trsv_deviceILi64ELi16ELb1ELb1ELb0ELb0E19rocblas_complex_numIfEPKS1_S3_PS1_EviT7_lllT6_T8_lllPii: ; @_ZL19rocblas_trsv_deviceILi64ELi16ELb1ELb1ELb0ELb0E19rocblas_complex_numIfEPKS1_S3_PS1_EviT7_lllT6_T8_lllPii
; %bb.0:
	s_load_b32 s90, s[0:1], 0x58
	s_bfe_u32 s2, ttmp6, 0x40014
	s_lshr_b32 s3, ttmp7, 16
	s_add_co_i32 s2, s2, 1
	s_bfe_u32 s5, ttmp6, 0x40008
	s_mul_i32 s4, s3, s2
	s_getreg_b32 s2, hwreg(HW_REG_IB_STS2, 6, 4)
	s_add_co_i32 s5, s5, s4
	s_cmp_eq_u32 s2, 0
	s_mov_b32 s85, 0
	s_cselect_b32 s84, s3, s5
	s_wait_kmcnt 0x0
	s_cmp_ge_u32 s84, s90
	s_cbranch_scc1 .LBB59_1160
; %bb.1:
	s_clause 0x3
	s_load_b512 s[64:79], s[0:1], 0x8
	s_load_b32 s3, s[0:1], 0x6c
	s_load_b32 s92, s[0:1], 0x60
	;; [unrolled: 1-line block ×3, first 2 shown]
	s_bfe_u32 s5, ttmp6, 0x4000c
	s_and_b32 s4, ttmp6, 15
	s_add_co_i32 s5, s5, 1
	s_load_b128 s[80:83], s[0:1], 0x48
	s_mul_i32 s5, ttmp9, s5
	v_and_b32_e32 v2, 0x3ff, v0
	s_add_co_i32 s6, s4, s5
                                        ; implicit-def: $vgpr104 : SGPR spill to VGPR lane
	v_bfe_u32 v40, v0, 10, 10
	v_mov_b32_e32 v5, 0
                                        ; implicit-def: $vgpr103 : SGPR spill to VGPR lane
                                        ; implicit-def: $vgpr102 : SGPR spill to VGPR lane
	s_delay_alu instid0(VALU_DEP_3) | instskip(NEXT) | instid1(VALU_DEP_3)
	v_dual_mov_b32 v28, 0 :: v_dual_lshlrev_b32 v1, 6, v2
	v_dual_lshlrev_b32 v43, 3, v2 :: v_dual_add_nc_u32 v26, 16, v40
	s_delay_alu instid0(VALU_DEP_3) | instskip(SKIP_1) | instid1(VALU_DEP_4)
	v_mov_b32_e32 v3, v5
	v_lshl_add_u32 v30, v40, 6, v2
	v_add_nc_u32_e32 v10, v40, v1
	s_wait_kmcnt 0x0
	s_lshl_b64 s[0:1], s[66:67], 3
	s_lshl_b64 s[4:5], s[76:77], 3
	s_cmp_eq_u32 s2, 0
	s_add_nc_u64 s[0:1], s[64:65], s[0:1]
	s_cselect_b32 s91, ttmp9, s6
	s_add_co_i32 s2, s86, -1
	s_ashr_i32 s87, s86, 31
	s_and_b32 s6, s3, 0xffff
	s_ashr_i32 s3, s2, 31
	s_lshr_b32 s7, s87, 26
	s_lshr_b32 s3, s3, 26
	s_add_co_i32 s7, s86, s7
	s_add_co_i32 s92, s92, -1
	s_add_co_i32 s2, s2, s3
	s_and_not1_b32 s7, s7, 63
	s_sub_co_i32 s55, s92, s91
	s_ashr_i32 s2, s2, 6
	s_sub_co_i32 s9, s86, s7
	s_cmp_eq_u32 s2, s55
	v_add_nc_u32_e32 v11, v26, v1
	s_cselect_b32 s2, -1, 0
	s_cmp_lg_u32 s9, 0
	v_lshl_add_u32 v14, v26, 6, v2
	s_cselect_b32 s3, -1, 0
	v_mad_u32_u24 v4, v40, s6, v2
	s_and_b32 s14, s3, s2
	v_dual_add_nc_u32 v27, 32, v40 :: v_dual_add_nc_u32 v32, 48, v40
	s_xor_b32 s93, s14, -1
	s_cmp_lg_u32 s91, 0
	v_cmp_ne_u32_e64 s15, v2, v26
	s_cselect_b32 s2, -1, 0
	s_lshl_b32 s10, s55, 6
	v_writelane_b32 v104, s2, 0
	v_dual_add_nc_u32 v20, s10, v40 :: v_dual_add_nc_u32 v12, s10, v2
	s_add_nc_u64 s[2:3], s[68:69], 1
	s_cmp_lt_i32 s91, 5
	v_writelane_b32 v104, s0, 1
	v_mad_nc_u64_u32 v[18:19], s2, s10, v[2:3]
	s_cselect_b32 vcc_lo, -1, 0
	v_dual_cndmask_b32 v21, v30, v10 :: v_dual_add_nc_u32 v6, 64, v20
	v_writelane_b32 v104, s1, 2
	s_add_nc_u64 s[0:1], s[74:75], s[4:5]
	s_or_b32 vcc_lo, vcc_lo, s14
	s_delay_alu instid0(SALU_CYCLE_1) | instskip(SKIP_3) | instid1(VALU_DEP_3)
	v_dual_cndmask_b32 v22, v14, v11, vcc_lo :: v_dual_bitop2_b32 v3, 1, v0 bitop3:0x40
	v_writelane_b32 v104, s0, 3
	s_ashr_i32 s11, s10, 31
	v_dual_lshrrev_b32 v10, 10, v0 :: v_dual_lshrrev_b32 v11, 1, v30
	v_lshlrev_b32_e32 v14, 3, v3
	v_writelane_b32 v104, s1, 4
	s_mul_i32 s0, s2, s11
	s_mul_i32 s1, s3, s10
	v_cmp_eq_u32_e64 s2, 1, v3
	v_add3_u32 v19, s0, s1, v19
	v_cmp_gt_u32_e64 s0, 4, v30
	v_bitop3_b32 v31, v0, v10, 0x3ff bitop3:0xa8
	v_lshl_add_u32 v3, v11, 3, 0x8000
	s_xor_b32 s1, s2, -1
	v_lshl_or_b32 v41, v11, 9, v14
	v_mul_u32_u24_e32 v42, 0x208, v11
	s_and_b32 s96, s1, s0
	v_dual_lshrrev_b32 v10, 2, v30 :: v_dual_bitop2_b32 v11, 3, v0 bitop3:0x40
	v_cmp_eq_u32_e64 s1, 0, v40
	v_cmp_gt_u32_e64 s3, 2, v2
	s_and_b32 s97, s2, s0
	v_cmp_gt_u32_e64 s2, 16, v30
	v_dual_lshlrev_b32 v14, 3, v10 :: v_dual_lshlrev_b32 v45, 3, v11
	s_and_b32 s98, s1, s3
	v_cmp_eq_u32_e64 s3, 0, v11
	v_mul_u32_u24_e32 v44, 0x208, v10
	v_cmp_ne_u32_e64 s4, 0, v11
	v_cmp_lt_u32_e64 s5, 1, v11
	v_cmp_eq_u32_e64 s6, 3, v11
	s_and_b32 s99, s3, s2
	v_cmp_eq_u32_e64 s3, 1, v11
	v_sub_nc_u32_e32 v16, v44, v14
	s_and_b32 s100, s4, s2
	v_cmp_eq_u32_e64 s4, 2, v11
	v_and_b32_e32 v11, 7, v0
	s_and_b32 s101, s3, s2
	v_cmp_gt_u32_e64 s3, 4, v2
	s_and_b32 s102, s5, s2
	s_and_b32 s103, s4, s2
	v_cmp_eq_u32_e64 s4, 0, v11
	v_cmp_ne_u32_e64 s5, 0, v11
	s_and_b32 vcc_hi, s1, s3
	v_cmp_gt_u32_e64 s3, 64, v30
	v_lshl_or_b32 v48, v10, 9, v45
	v_dual_add_nc_u32 v49, v16, v45 :: v_dual_lshrrev_b32 v10, 3, v30
	s_and_b32 s104, s6, s2
	s_and_b32 s39, s4, s3
	;; [unrolled: 1-line block ×3, first 2 shown]
	v_cmp_eq_u32_e64 s4, 1, v11
	v_cmp_lt_u32_e64 s5, 1, v11
	v_mul_u32_u24_e32 v54, 0x208, v10
	v_cmp_eq_u32_e64 s6, 2, v11
	v_lshl_add_u32 v17, v27, 6, v2
	v_add_nc_u32_e32 v47, 0x8000, v14
	v_dual_lshlrev_b32 v56, 3, v11 :: v_dual_bitop2_b32 v14, -8, v30 bitop3:0x40
	s_and_b32 s41, s4, s3
	s_and_b32 s42, s5, s3
	v_cmp_lt_u32_e64 s4, 3, v11
	v_cmp_eq_u32_e64 s5, 4, v11
	v_sub_nc_u32_e32 v16, v54, v14
	v_add_nc_u32_e32 v57, 0x8000, v14
	s_and_b32 s43, s6, s3
	v_cmp_lt_u32_e64 s6, 4, v11
	s_and_b32 s46, s4, s3
	s_and_b32 s47, s5, s3
	v_cmp_eq_u32_e64 s4, 6, v11
	v_cmp_eq_u32_e64 s5, 7, v11
	v_and_b32_e32 v14, 15, v0
	s_and_b32 s48, s6, s3
	v_cmp_gt_u32_e64 s6, 8, v2
	s_and_b32 s51, s4, s3
	s_and_b32 s52, s5, s3
	v_cmp_gt_u32_e64 s4, 0x100, v30
	v_cmp_eq_u32_e64 s5, 0, v14
	v_cmp_lt_u32_e64 s7, 2, v11
	s_and_b32 s53, s1, s6
	v_cmp_ne_u32_e64 s6, 0, v14
	v_cmp_eq_u32_e64 s8, 3, v11
	s_and_b32 s5, s5, s4
	s_and_b32 s44, s7, s3
	v_writelane_b32 v104, s5, 5
	v_cmp_eq_u32_e64 s7, 5, v11
	v_cmp_eq_u32_e64 s5, 1, v14
	s_and_b32 s6, s6, s4
	s_and_b32 s45, s8, s3
	v_writelane_b32 v104, s6, 6
	v_cmp_lt_u32_e64 s8, 5, v11
	s_and_b32 s49, s7, s3
	v_cmp_lt_u32_e64 s7, 1, v14
	s_and_b32 s5, s5, s4
	v_cmp_lt_u32_e64 s6, 2, v14
	v_writelane_b32 v104, s5, 7
	s_and_b32 s50, s8, s3
	v_cmp_eq_u32_e64 s8, 2, v14
	s_and_b32 s5, s7, s4
	s_and_b32 s6, s6, s4
	v_writelane_b32 v104, s5, 8
	v_lshl_or_b32 v58, v10, 9, v56
	s_and_b32 s5, s8, s4
	v_dual_add_nc_u32 v59, v16, v56 :: v_dual_lshrrev_b32 v10, 4, v30
	v_writelane_b32 v104, s5, 9
	v_cmp_eq_u32_e64 s5, 3, v14
	v_cmp_eq_u32_e64 s7, 4, v14
	v_cmp_lt_u32_e64 s8, 4, v14
	v_mul_u32_u24_e32 v60, 0x208, v10
	v_writelane_b32 v104, s6, 10
	s_and_b32 s5, s5, s4
	v_cmp_lt_u32_e64 s6, 3, v14
	v_lshlrev_b32_e32 v61, 3, v14
	v_lshlrev_b32_e32 v11, 3, v10
	v_writelane_b32 v104, s5, 11
	v_cmp_eq_u32_e64 s5, 5, v14
	s_and_b32 s61, s6, s4
	v_cmp_lt_u32_e64 s6, 5, v14
	v_sub_nc_u32_e32 v16, v60, v11
	s_and_b32 s62, s7, s4
	s_and_b32 s64, s5, s4
	v_cmp_eq_u32_e64 s5, 6, v14
	s_and_b32 s65, s6, s4
	v_cmp_lt_u32_e64 s6, 7, v14
	s_and_b32 s63, s8, s4
	v_cmp_lt_u32_e64 s7, 6, v14
	s_and_b32 s12, s5, s4
	v_cmp_eq_u32_e64 s5, 8, v14
	s_and_b32 s25, s6, s4
	v_cmp_lt_u32_e64 s6, 8, v14
	v_cmp_eq_u32_e64 s8, 7, v14
	v_add_nc_u32_e32 v64, v16, v61
	s_and_b32 s27, s5, s4
	v_cmp_eq_u32_e64 s5, 10, v14
	v_dual_add_nc_u32 v16, v27, v1 :: v_dual_add_nc_u32 v1, v32, v1
	v_lshl_add_u32 v23, v32, 6, v2
	s_and_b32 s29, s6, s4
	s_and_b32 s38, s5, s4
	v_cmp_eq_u32_e64 s5, 11, v14
	v_cmp_lt_u32_e64 s6, 10, v14
	s_and_b32 s13, s7, s4
	s_and_b32 s23, s8, s4
	v_cmp_eq_u32_e64 s7, 9, v14
	v_cmp_lt_u32_e64 s8, 9, v14
	s_xor_b32 s95, vcc_lo, -1
	v_dual_cndmask_b32 v23, v23, v1 :: v_dual_add_nc_u32 v62, 0x8000, v11
	s_and_b32 s26, s5, s4
	v_cmp_eq_u32_e64 s5, 13, v14
	v_cndmask_b32_e32 v24, v17, v16, vcc_lo
	v_cmp_gt_u32_e32 vcc_lo, 16, v2
	s_and_b32 s24, s6, s4
	v_cmp_lt_u32_e64 s6, 12, v14
	s_and_b32 s31, s7, s4
	s_and_b32 s34, s8, s4
	v_cmp_lt_u32_e64 s7, 11, v14
	v_cmp_eq_u32_e64 s8, 12, v14
	v_lshl_or_b32 v63, v10, 9, v61
	v_add_nc_u64_e32 v[10:11], s[10:11], v[4:5]
	s_and_b32 s10, s5, s4
	s_and_b32 s77, s1, vcc_lo
	v_cmp_le_i32_e32 vcc_lo, s9, v2
	v_cmp_gt_u32_e64 s5, 32, v2
	s_and_b32 s33, s6, s4
	v_cmp_lt_u32_e64 s6, 13, v14
	s_and_b32 s28, s7, s4
	s_and_b32 s30, s8, s4
	v_cmp_eq_u32_e64 s7, 14, v14
	v_cmp_eq_u32_e64 s8, 15, v14
	s_and_b32 s74, vcc_lo, s14
	s_and_b32 s5, s1, s5
	s_and_b32 s11, s6, s4
	s_xor_b32 s6, s74, -1
	v_writelane_b32 v104, s5, 12
	v_cmp_gt_i32_e64 s5, s9, v2
	s_and_b32 s94, s7, s4
	s_and_b32 s76, s8, s4
	;; [unrolled: 1-line block ×3, first 2 shown]
	s_cmp_gt_i32 s91, 0
	v_cmp_gt_i32_e64 s6, s86, v6
	s_cselect_b32 s54, -1, 0
	s_and_b32 s5, s1, s5
	v_add_nc_u32_e32 v25, 0x50, v20
	v_writelane_b32 v104, s5, 13
	v_cmp_gt_i32_e64 s5, s86, v12
	v_add_max_i32_e64 v33, 0x70, v20, v12
	v_add_nc_u32_e32 v20, 0x60, v20
	v_mad_u32_u24 v46, 0x1f8, v2, v43
	v_cmp_ne_u32_e64 s16, v2, v27
	s_and_b32 s6, s6, s5
	v_cmp_ne_u32_e64 s17, v2, v32
	v_writelane_b32 v104, s6, 14
	v_cmp_gt_i32_e64 s6, s86, v25
	v_mad_i32_i24 v51, 0xfffffe08, v2, v46
	v_cmp_gt_u32_e64 s35, 0xf0, v30
	v_mul_i32_i24_e32 v50, 0xfffffe08, v2
	v_mul_u32_u24_e32 v15, 0x1f8, v2
	s_and_b32 s6, s6, s5
	v_mad_u32_u24 v52, 0x1f8, v2, v51
	v_writelane_b32 v104, s6, 15
	v_cmp_gt_i32_e64 s6, s86, v20
	v_mul_lo_u32 v14, v50, 6
	v_dual_lshlrev_b32 v77, 3, v23 :: v_dual_lshlrev_b32 v20, 3, v40
	v_mad_i32_i24 v53, 0xfffffe08, v2, v52
	s_and_b32 s6, s6, s5
	v_lshlrev_b32_e32 v73, 3, v21
	v_writelane_b32 v104, s6, 16
	v_cmp_le_i32_e64 s6, s9, v40
	v_mad_u32_u24 v55, 0x1f8, v2, v53
	v_or_b32_e32 v80, 0xa000, v20
	v_cmp_le_i32_e64 s57, s86, v33
	v_mad_u32 v14, v15, 7, v14
	s_or_b32 s7, s6, vcc_lo
	v_cmp_le_u32_e64 s6, v2, v40
	v_mad_i32_i24 v68, 0xfffffe08, v2, v55
	v_mul_u32_u24_e32 v15, 0x1f0, v2
	v_dual_lshlrev_b32 v74, 3, v22 :: v_dual_lshlrev_b32 v76, 3, v24
	s_or_b32 s7, s7, s6
	s_delay_alu instid0(VALU_DEP_3)
	v_mad_u32_u24 v69, 0x1f8, v2, v68
	v_writelane_b32 v104, s7, 17
	v_cmp_le_i32_e64 s7, s9, v26
	v_sub_nc_u32_e32 v34, v14, v15
	v_or_b32_e32 v35, v26, v2
	v_mad_i32_i24 v70, 0xfffffe08, v2, v69
	v_or_b32_e32 v36, v27, v2
	s_or_b32 s8, s7, vcc_lo
	v_cmp_le_u32_e64 s7, v2, v26
	v_dual_lshrrev_b32 v1, 5, v30 :: v_dual_bitop2_b32 v65, 31, v0 bitop3:0x40
	v_mad_u32_u24 v71, 0x1f8, v2, v70
	v_or_b32_e32 v37, v32, v2
	s_or_b32 s8, s8, s7
	v_dual_ashrrev_i32 v13, 31, v12 :: v_dual_ashrrev_i32 v7, 31, v6
	v_writelane_b32 v104, s8, 18
	v_cmp_le_i32_e64 s8, s9, v27
	v_cmp_le_i32_e64 s9, s9, v32
	v_mad_i32_i24 v72, 0xfffffe08, v2, v71
	v_lshlrev_b32_e32 v83, 3, v65
	v_mul_u64_e32 v[8:9], s[68:69], v[12:13]
	s_or_b32 s14, s8, vcc_lo
	v_cmp_le_u32_e64 s8, v2, v27
	v_mad_u32_u24 v75, 0x1f8, v2, v72
	v_dual_lshlrev_b32 v66, 3, v1 :: v_dual_lshlrev_b32 v67, 9, v1
	v_mul_u64_e32 v[0:1], s[78:79], v[12:13]
	s_or_b32 s14, s14, s8
	s_delay_alu instid0(VALU_DEP_3)
	v_mad_i32_i24 v78, 0xfffffe08, v2, v75
	v_writelane_b32 v104, s14, 19
	s_or_b32 s14, s9, vcc_lo
	v_cmp_le_u32_e64 s9, v2, v32
	v_mul_u64_e32 v[10:11], s[78:79], v[10:11]
	v_mad_u32_u24 v79, 0x1f8, v2, v78
	v_mad_nc_u64_u32 v[14:15], s68, v26, v[18:19]
	v_mad_nc_u64_u32 v[16:17], s68, v27, v[18:19]
	s_or_b32 s14, s14, s9
	v_mad_nc_u64_u32 v[12:13], s68, v40, v[18:19]
	v_writelane_b32 v104, s14, 20
	v_cmp_ne_u32_e64 s14, v2, v40
	v_add_nc_u32_e32 v81, v79, v20
	v_mbcnt_lo_u32_b32 v20, -1, 0
	v_mad_nc_u64_u32 v[18:19], s68, v32, v[18:19]
	v_or_b32_e32 v86, v67, v83
	v_writelane_b32 v104, s14, 21
	s_or_b32 s14, vcc_lo, s14
	v_lshlrev_b32_e32 v29, 20, v20
	v_mad_u32 v15, s69, v26, v15
	v_mad_u32 v17, s69, v27, v17
	v_writelane_b32 v104, s14, 22
	s_or_b32 s14, vcc_lo, s15
	v_add_nc_u64_e32 v[20:21], src_flat_scratch_base_lo, v[28:29]
	v_mov_b32_e32 v28, 8
	v_mad_u32 v13, s69, v40, v13
	v_writelane_b32 v104, s15, 23
	v_mad_u32 v19, s69, v32, v19
	v_add_nc_u32_e32 v82, 0x7c00, v34
	v_add_nc_u64_e32 v[22:23], src_flat_scratch_base_lo, v[28:29]
	v_mov_b32_e32 v28, 16
	v_writelane_b32 v104, s14, 24
	s_or_b32 s14, vcc_lo, s16
	v_add_nc_u32_e32 v85, 0x8000, v66
	v_lshl_add_u32 v87, v4, 3, 0xa000
	v_add_nc_u64_e32 v[24:25], src_flat_scratch_base_lo, v[28:29]
	v_writelane_b32 v104, s16, 25
	v_mov_b32_e32 v28, 24
	v_lshl_add_u32 v88, v30, 3, 0x8000
	v_add_nc_u32_e32 v89, 0x8000, v43
	v_lshl_add_u32 v90, v40, 9, v72
	v_writelane_b32 v104, s14, 26
	s_or_b32 s14, vcc_lo, s17
	v_add_nc_u64_e32 v[26:27], src_flat_scratch_base_lo, v[28:29]
	v_lshlrev_b32_e32 v28, 9, v65
	v_cmp_lt_u32_e32 vcc_lo, 0x3ff, v30
	v_writelane_b32 v104, s17, 27
	v_add_nc_u32_e32 v91, v80, v43
	v_or_b32_e32 v92, 0x4100, v83
	v_add_nc_u32_e32 v84, v83, v28
	v_mov_b64_e32 v[28:29], 0
	v_writelane_b32 v104, s14, 28
	v_subrev_nc_u32_e32 v93, 63, v2
	v_cmp_eq_u32_e64 s14, 0, v31
	v_cmp_gt_u32_e64 s15, 2, v30
	v_cmp_gt_u32_e64 s16, 12, v30
	v_writelane_b32 v104, s35, 29
	v_cmp_gt_u32_e64 s35, 0xe0, v30
	v_cmp_gt_u32_e64 s17, 8, v30
	;; [unrolled: 1-line block ×5, first 2 shown]
	v_writelane_b32 v104, s35, 30
	v_cmp_gt_u32_e64 s35, 0xd0, v30
	v_cmp_gt_u32_e64 s21, 32, v30
	;; [unrolled: 1-line block ×3, first 2 shown]
	v_cmp_eq_u32_e64 s36, 0, v4
	v_cmp_gt_u32_e64 s37, 64, v4
	v_writelane_b32 v104, s35, 31
	v_cmp_gt_u32_e64 s35, 0xc0, v30
	s_add_co_i32 s55, s55, 1
	s_xor_b32 s56, vcc_lo, -1
	v_writelane_b32 v103, s35, 0
	v_cmp_gt_u32_e64 s35, 0xb0, v30
	s_delay_alu instid0(VALU_DEP_1) | instskip(SKIP_1) | instid1(VALU_DEP_1)
	v_writelane_b32 v103, s35, 1
	v_cmp_gt_u32_e64 s35, 0xa0, v30
	v_writelane_b32 v103, s35, 2
	v_cmp_gt_u32_e64 s35, 0x90, v30
	s_delay_alu instid0(VALU_DEP_1) | instskip(SKIP_1) | instid1(VALU_DEP_1)
	v_writelane_b32 v103, s35, 3
	v_cmp_gt_u32_e64 s35, 0x80, v30
	v_writelane_b32 v103, s35, 4
	v_cmp_gt_u32_e64 s35, 0x70, v30
	s_delay_alu instid0(VALU_DEP_1) | instskip(SKIP_1) | instid1(VALU_DEP_1)
	v_writelane_b32 v103, s35, 5
	v_cmp_gt_u32_e64 s35, 0x60, v30
	v_writelane_b32 v103, s35, 6
	v_cmp_gt_u32_e64 s35, 0x50, v30
	s_delay_alu instid0(VALU_DEP_1) | instskip(SKIP_3) | instid1(VALU_DEP_1)
	v_writelane_b32 v103, s35, 7
	v_cmp_gt_u32_e64 s35, 0x400, v30
	v_writelane_b32 v103, s57, 8
	v_cmp_gt_u32_e64 s57, 64, v31
	v_writelane_b32 v103, s57, 9
	v_cmp_gt_u32_e64 s57, 64, v35
	s_delay_alu instid0(VALU_DEP_1) | instskip(SKIP_1) | instid1(VALU_DEP_1)
	v_writelane_b32 v103, s57, 10
	v_cmp_gt_u32_e64 s57, 64, v36
	v_writelane_b32 v103, s57, 11
	v_cmp_gt_u32_e64 s57, 64, v37
	s_delay_alu instid0(VALU_DEP_1) | instskip(SKIP_1) | instid1(VALU_DEP_1)
	v_writelane_b32 v103, s57, 12
	v_cmp_gt_u32_e64 s57, 0x3e0, v30
	v_writelane_b32 v103, s57, 13
	v_cmp_gt_u32_e64 s57, 0x3c0, v30
	s_delay_alu instid0(VALU_DEP_1) | instskip(SKIP_1) | instid1(VALU_DEP_1)
	v_writelane_b32 v103, s57, 14
	v_cmp_gt_u32_e64 s57, 0x3a0, v30
	v_writelane_b32 v103, s57, 15
	v_cmp_gt_u32_e64 s57, 0x380, v30
	s_delay_alu instid0(VALU_DEP_1) | instskip(SKIP_1) | instid1(VALU_DEP_1)
	v_writelane_b32 v103, s57, 16
	v_cmp_gt_u32_e64 s57, 0x360, v30
	v_writelane_b32 v103, s57, 17
	v_cmp_gt_u32_e64 s57, 0x340, v30
	s_delay_alu instid0(VALU_DEP_1) | instskip(SKIP_1) | instid1(VALU_DEP_1)
	v_writelane_b32 v103, s57, 18
	v_cmp_gt_u32_e64 s57, 0x320, v30
	v_writelane_b32 v103, s57, 19
	v_cmp_gt_u32_e64 s57, 0x300, v30
	s_delay_alu instid0(VALU_DEP_1) | instskip(SKIP_1) | instid1(VALU_DEP_1)
	v_writelane_b32 v103, s57, 20
	v_cmp_gt_u32_e64 s57, 0x2e0, v30
	v_writelane_b32 v103, s57, 21
	v_cmp_gt_u32_e64 s57, 0x2c0, v30
	s_delay_alu instid0(VALU_DEP_1) | instskip(SKIP_1) | instid1(VALU_DEP_1)
	v_writelane_b32 v103, s57, 22
	v_cmp_gt_u32_e64 s57, 0x2a0, v30
	v_writelane_b32 v103, s57, 23
	v_cmp_gt_u32_e64 s57, 0x280, v30
	s_delay_alu instid0(VALU_DEP_1) | instskip(SKIP_1) | instid1(VALU_DEP_1)
	v_writelane_b32 v103, s57, 24
	v_cmp_gt_u32_e64 s57, 0x260, v30
	v_writelane_b32 v103, s57, 25
	v_cmp_gt_u32_e64 s57, 0x240, v30
	s_delay_alu instid0(VALU_DEP_1) | instskip(SKIP_1) | instid1(VALU_DEP_1)
	v_writelane_b32 v103, s57, 26
	v_cmp_gt_u32_e64 s57, 0x220, v30
	v_writelane_b32 v103, s57, 27
	v_cmp_gt_u32_e64 s57, 0x200, v30
	s_delay_alu instid0(VALU_DEP_1) | instskip(SKIP_1) | instid1(VALU_DEP_1)
	v_writelane_b32 v103, s57, 28
	v_cmp_gt_u32_e64 s57, 0x1e0, v30
	v_writelane_b32 v103, s57, 29
	v_cmp_gt_u32_e64 s57, 0x1c0, v30
	s_delay_alu instid0(VALU_DEP_1) | instskip(SKIP_1) | instid1(VALU_DEP_1)
	v_writelane_b32 v103, s57, 30
	v_cmp_gt_u32_e64 s57, 0x1a0, v30
	v_writelane_b32 v103, s57, 31
	v_cmp_gt_u32_e64 s57, 0x180, v30
	s_delay_alu instid0(VALU_DEP_1) | instskip(SKIP_1) | instid1(VALU_DEP_1)
	v_writelane_b32 v102, s57, 0
	v_cmp_gt_u32_e64 s57, 0x160, v30
	v_writelane_b32 v102, s57, 1
	v_cmp_gt_u32_e64 s57, 0x140, v30
	s_delay_alu instid0(VALU_DEP_1) | instskip(SKIP_1) | instid1(VALU_DEP_1)
	v_writelane_b32 v102, s57, 2
	v_cmp_gt_u32_e64 s57, 0x120, v30
	v_writelane_b32 v102, s57, 3
	s_branch .LBB59_3
.LBB59_2:                               ;   in Loop: Header=BB59_3 Depth=1
	s_wait_xcnt 0x0
	s_or_b32 exec_lo, exec_lo, s57
	s_add_co_i32 s84, s84, 0x10000
	global_wb scope:SCOPE_DEV
	s_wait_storecnt 0x0
	global_inv scope:SCOPE_DEV
	s_cmp_lt_u32 s84, s90
	s_cbranch_scc0 .LBB59_1160
.LBB59_3:                               ; =>This Loop Header: Depth=1
                                        ;     Child Loop BB59_571 Depth 2
                                        ;     Child Loop BB59_1011 Depth 2
                                        ;       Child Loop BB59_1013 Depth 3
                                        ;     Child Loop BB59_1042 Depth 2
	global_load_b64 v[32:33], v5, s[72:73]
	v_readlane_b32 s58, v104, 1
	v_readlane_b32 s59, v104, 2
	s_mul_u64 s[66:67], s[70:71], s[84:85]
	v_readlane_b32 s57, v104, 0
	s_lshl_b64 s[66:67], s[66:67], 3
	s_delay_alu instid0(SALU_CYCLE_1) | instskip(NEXT) | instid1(SALU_CYCLE_1)
	s_add_nc_u64 s[66:67], s[58:59], s[66:67]
	v_lshl_add_u64 v[30:31], v[8:9], 3, s[66:67]
	s_and_not1_b32 vcc_lo, exec_lo, s57
	s_cbranch_vccnz .LBB59_15
; %bb.4:                                ;   in Loop: Header=BB59_3 Depth=1
	s_delay_alu instid0(VALU_DEP_1)
	v_lshl_add_u64 v[34:35], v[6:7], 3, v[30:31]
	v_dual_mov_b32 v36, 0 :: v_dual_mov_b32 v38, 0
	v_mov_b32_e32 v39, 0
	s_wait_loadcnt 0x0
	s_barrier_signal -1
	s_barrier_wait -1
	s_wait_xcnt 0x0
	s_mov_b32 s57, exec_lo
	v_readlane_b32 s58, v104, 14
	s_and_b32 s58, s57, s58
	s_delay_alu instid0(SALU_CYCLE_1)
	s_mov_b32 exec_lo, s58
	s_cbranch_execz .LBB59_6
; %bb.5:                                ;   in Loop: Header=BB59_3 Depth=1
	global_load_b64 v[38:39], v[34:35], off
.LBB59_6:                               ;   in Loop: Header=BB59_3 Depth=1
	s_wait_xcnt 0x0
	s_or_b32 exec_lo, exec_lo, s57
	v_mov_b32_e32 v37, 0
	s_wait_loadcnt 0x0
	scratch_store_b64 off, v[38:39], off
	s_wait_storecnt 0x0
	s_barrier_signal -1
	s_barrier_wait -1
	s_wait_xcnt 0x0
	s_mov_b32 s57, exec_lo
	v_readlane_b32 s58, v104, 15
	s_and_b32 s58, s57, s58
	s_delay_alu instid0(SALU_CYCLE_1)
	s_mov_b32 exec_lo, s58
	s_cbranch_execz .LBB59_8
; %bb.7:                                ;   in Loop: Header=BB59_3 Depth=1
	global_load_b64 v[36:37], v[34:35], off offset:128
.LBB59_8:                               ;   in Loop: Header=BB59_3 Depth=1
	s_wait_xcnt 0x0
	s_or_b32 exec_lo, exec_lo, s57
	s_wait_loadcnt 0x0
	scratch_store_b64 off, v[36:37], off offset:8
	s_wait_xcnt 0x0
	v_dual_mov_b32 v36, 0 :: v_dual_mov_b32 v37, 0
	s_wait_storecnt 0x0
	s_barrier_signal -1
	s_barrier_wait -1
	s_mov_b32 s57, exec_lo
	v_readlane_b32 s58, v104, 16
	s_and_b32 s58, s57, s58
	s_delay_alu instid0(SALU_CYCLE_1)
	s_mov_b32 exec_lo, s58
	s_cbranch_execz .LBB59_10
; %bb.9:                                ;   in Loop: Header=BB59_3 Depth=1
	global_load_b64 v[36:37], v[34:35], off offset:256
.LBB59_10:                              ;   in Loop: Header=BB59_3 Depth=1
	s_wait_xcnt 0x0
	s_or_b32 exec_lo, exec_lo, s57
	s_wait_loadcnt 0x0
	scratch_store_b64 off, v[36:37], off offset:16
	s_wait_storecnt 0x0
	s_barrier_signal -1
	s_barrier_wait -1
	s_wait_xcnt 0x0
	s_mov_b32 s57, exec_lo
	v_readlane_b32 s58, v103, 8
	s_and_b32 s58, s57, s58
	s_delay_alu instid0(SALU_CYCLE_1)
	s_xor_b32 s57, s58, s57
	s_mov_b32 exec_lo, s58
	s_cbranch_execz .LBB59_12
; %bb.11:                               ;   in Loop: Header=BB59_3 Depth=1
	scratch_store_b64 off, v[28:29], off offset:24
                                        ; implicit-def: $vgpr34_vgpr35
.LBB59_12:                              ;   in Loop: Header=BB59_3 Depth=1
	s_wait_xcnt 0x0
	s_and_not1_saveexec_b32 s57, s57
	s_cbranch_execz .LBB59_14
; %bb.13:                               ;   in Loop: Header=BB59_3 Depth=1
	global_load_b64 v[34:35], v[34:35], off offset:384
	s_wait_loadcnt 0x0
	scratch_store_b64 off, v[34:35], off offset:24
.LBB59_14:                              ;   in Loop: Header=BB59_3 Depth=1
	s_wait_xcnt 0x0
	s_or_b32 exec_lo, exec_lo, s57
.LBB59_15:                              ;   in Loop: Header=BB59_3 Depth=1
	s_delay_alu instid0(SALU_CYCLE_1)
	s_and_not1_b32 vcc_lo, exec_lo, s93
	s_mov_b32 s57, -1
	s_cbranch_vccnz .LBB59_26
; %bb.16:                               ;   in Loop: Header=BB59_3 Depth=1
	s_wait_xcnt 0x0
	s_and_saveexec_b32 s57, s6
	s_delay_alu instid0(SALU_CYCLE_1)
	s_xor_b32 s68, exec_lo, s57
	s_cbranch_execnz .LBB59_1056
; %bb.17:                               ;   in Loop: Header=BB59_3 Depth=1
	s_and_not1_saveexec_b32 s57, s68
	s_cbranch_execnz .LBB59_1067
.LBB59_18:                              ;   in Loop: Header=BB59_3 Depth=1
	s_or_b32 exec_lo, exec_lo, s57
	s_and_saveexec_b32 s57, s7
	s_delay_alu instid0(SALU_CYCLE_1)
	s_xor_b32 s68, exec_lo, s57
	s_cbranch_execnz .LBB59_1068
.LBB59_19:                              ;   in Loop: Header=BB59_3 Depth=1
	s_and_not1_saveexec_b32 s57, s68
	s_cbranch_execnz .LBB59_1079
.LBB59_20:                              ;   in Loop: Header=BB59_3 Depth=1
	s_or_b32 exec_lo, exec_lo, s57
	s_and_saveexec_b32 s57, s8
	s_delay_alu instid0(SALU_CYCLE_1)
	s_xor_b32 s68, exec_lo, s57
	s_cbranch_execnz .LBB59_1080
.LBB59_21:                              ;   in Loop: Header=BB59_3 Depth=1
	s_and_not1_saveexec_b32 s57, s68
	s_cbranch_execnz .LBB59_1091
.LBB59_22:                              ;   in Loop: Header=BB59_3 Depth=1
	s_or_b32 exec_lo, exec_lo, s57
	s_and_saveexec_b32 s57, s9
	s_delay_alu instid0(SALU_CYCLE_1)
	s_xor_b32 s68, exec_lo, s57
	s_cbranch_execnz .LBB59_1092
.LBB59_23:                              ;   in Loop: Header=BB59_3 Depth=1
	s_and_not1_saveexec_b32 s57, s68
	s_cbranch_execz .LBB59_25
.LBB59_24:                              ;   in Loop: Header=BB59_3 Depth=1
	v_lshl_add_u64 v[34:35], v[18:19], 3, s[66:67]
	global_load_b64 v[34:35], v[34:35], off
	s_wait_loadcnt 0x0
	v_pk_add_f32 v[34:35], v[34:35], 0 neg_lo:[1,1] neg_hi:[1,1]
	ds_store_b64 v77, v[34:35]
.LBB59_25:                              ;   in Loop: Header=BB59_3 Depth=1
	s_or_b32 exec_lo, exec_lo, s57
	s_mov_b32 s57, 0
.LBB59_26:                              ;   in Loop: Header=BB59_3 Depth=1
	s_delay_alu instid0(SALU_CYCLE_1)
	s_and_b32 vcc_lo, exec_lo, s57
	s_cbranch_vccz .LBB59_84
; %bb.27:                               ;   in Loop: Header=BB59_3 Depth=1
	s_wait_xcnt 0x0
	s_mov_b32 s57, exec_lo
	v_readlane_b32 s58, v104, 17
	s_and_b32 s58, s57, s58
	s_delay_alu instid0(SALU_CYCLE_1)
	s_xor_b32 s68, s58, s57
	s_mov_b32 exec_lo, s58
	s_cbranch_execz .LBB59_39
; %bb.28:                               ;   in Loop: Header=BB59_3 Depth=1
	s_mov_b32 s57, exec_lo
	v_readlane_b32 s58, v104, 22
	s_and_b32 s58, s57, s58
	s_delay_alu instid0(SALU_CYCLE_1)
	s_xor_b32 s57, s58, s57
	s_mov_b32 exec_lo, s58
	s_cbranch_execz .LBB59_32
; %bb.29:                               ;   in Loop: Header=BB59_3 Depth=1
	v_readlane_b32 s59, v103, 9
	s_and_saveexec_b32 s58, s59
; %bb.30:                               ;   in Loop: Header=BB59_3 Depth=1
	ds_store_b64 v81, v[28:29]
; %bb.31:                               ;   in Loop: Header=BB59_3 Depth=1
	s_or_b32 exec_lo, exec_lo, s58
.LBB59_32:                              ;   in Loop: Header=BB59_3 Depth=1
	s_and_not1_saveexec_b32 s69, s57
	s_cbranch_execz .LBB59_38
; %bb.33:                               ;   in Loop: Header=BB59_3 Depth=1
	v_lshl_add_u64 v[34:35], v[12:13], 3, s[66:67]
                                        ; implicit-def: $vgpr36_vgpr37
	global_load_b64 v[34:35], v[34:35], off
	s_wait_loadcnt 0x0
	v_cmp_ngt_f32_e64 s57, |v34|, |v35|
	s_wait_xcnt 0x0
	s_and_saveexec_b32 s58, s57
	s_delay_alu instid0(SALU_CYCLE_1)
	s_xor_b32 s57, exec_lo, s58
	s_cbranch_execz .LBB59_35
; %bb.34:                               ;   in Loop: Header=BB59_3 Depth=1
	v_div_scale_f32 v36, null, v35, v35, v34
	v_div_scale_f32 v39, vcc_lo, v34, v35, v34
	s_delay_alu instid0(VALU_DEP_2) | instskip(SKIP_1) | instid1(TRANS32_DEP_1)
	v_rcp_f32_e32 v37, v36
	v_nop
	v_fma_f32 v38, -v36, v37, 1.0
	s_delay_alu instid0(VALU_DEP_1) | instskip(NEXT) | instid1(VALU_DEP_1)
	v_fmac_f32_e32 v37, v38, v37
	v_mul_f32_e32 v38, v39, v37
	s_delay_alu instid0(VALU_DEP_1) | instskip(NEXT) | instid1(VALU_DEP_1)
	v_fma_f32 v94, -v36, v38, v39
	v_fmac_f32_e32 v38, v94, v37
	s_delay_alu instid0(VALU_DEP_1) | instskip(NEXT) | instid1(VALU_DEP_1)
	v_fma_f32 v36, -v36, v38, v39
	v_div_fmas_f32 v36, v36, v37, v38
	s_delay_alu instid0(VALU_DEP_1) | instskip(NEXT) | instid1(VALU_DEP_1)
	v_div_fixup_f32 v36, v36, v35, v34
	v_fmac_f32_e32 v35, v34, v36
	s_delay_alu instid0(VALU_DEP_1) | instskip(SKIP_1) | instid1(VALU_DEP_2)
	v_div_scale_f32 v34, null, v35, v35, 1.0
	v_div_scale_f32 v39, vcc_lo, 1.0, v35, 1.0
	v_rcp_f32_e32 v37, v34
	v_nop
	s_delay_alu instid0(TRANS32_DEP_1) | instskip(NEXT) | instid1(VALU_DEP_1)
	v_fma_f32 v38, -v34, v37, 1.0
	v_fmac_f32_e32 v37, v38, v37
	s_delay_alu instid0(VALU_DEP_1) | instskip(NEXT) | instid1(VALU_DEP_1)
	v_mul_f32_e32 v38, v39, v37
	v_fma_f32 v94, -v34, v38, v39
	s_delay_alu instid0(VALU_DEP_1) | instskip(NEXT) | instid1(VALU_DEP_1)
	v_fmac_f32_e32 v38, v94, v37
	v_fma_f32 v34, -v34, v38, v39
	s_delay_alu instid0(VALU_DEP_1) | instskip(NEXT) | instid1(VALU_DEP_1)
	v_div_fmas_f32 v34, v34, v37, v38
	v_div_fixup_f32 v34, v34, v35, 1.0
	s_delay_alu instid0(VALU_DEP_1)
	v_mul_f32_e32 v36, v36, v34
	v_xor_b32_e32 v37, 0x80000000, v34
                                        ; implicit-def: $vgpr34_vgpr35
.LBB59_35:                              ;   in Loop: Header=BB59_3 Depth=1
	s_and_not1_saveexec_b32 s57, s57
	s_cbranch_execz .LBB59_37
; %bb.36:                               ;   in Loop: Header=BB59_3 Depth=1
	v_div_scale_f32 v36, null, v34, v34, v35
	v_div_scale_f32 v39, vcc_lo, v35, v34, v35
	s_delay_alu instid0(VALU_DEP_2) | instskip(SKIP_1) | instid1(TRANS32_DEP_1)
	v_rcp_f32_e32 v37, v36
	v_nop
	v_fma_f32 v38, -v36, v37, 1.0
	s_delay_alu instid0(VALU_DEP_1) | instskip(NEXT) | instid1(VALU_DEP_1)
	v_fmac_f32_e32 v37, v38, v37
	v_mul_f32_e32 v38, v39, v37
	s_delay_alu instid0(VALU_DEP_1) | instskip(NEXT) | instid1(VALU_DEP_1)
	v_fma_f32 v94, -v36, v38, v39
	v_fmac_f32_e32 v38, v94, v37
	s_delay_alu instid0(VALU_DEP_1) | instskip(NEXT) | instid1(VALU_DEP_1)
	v_fma_f32 v36, -v36, v38, v39
	v_div_fmas_f32 v36, v36, v37, v38
	s_delay_alu instid0(VALU_DEP_1) | instskip(NEXT) | instid1(VALU_DEP_1)
	v_div_fixup_f32 v37, v36, v34, v35
	v_fmac_f32_e32 v34, v35, v37
	s_delay_alu instid0(VALU_DEP_1) | instskip(NEXT) | instid1(VALU_DEP_1)
	v_div_scale_f32 v35, null, v34, v34, 1.0
	v_rcp_f32_e32 v36, v35
	v_nop
	s_delay_alu instid0(TRANS32_DEP_1) | instskip(NEXT) | instid1(VALU_DEP_1)
	v_fma_f32 v38, -v35, v36, 1.0
	v_fmac_f32_e32 v36, v38, v36
	v_div_scale_f32 v38, vcc_lo, 1.0, v34, 1.0
	s_delay_alu instid0(VALU_DEP_1) | instskip(NEXT) | instid1(VALU_DEP_1)
	v_mul_f32_e32 v39, v38, v36
	v_fma_f32 v94, -v35, v39, v38
	s_delay_alu instid0(VALU_DEP_1) | instskip(NEXT) | instid1(VALU_DEP_1)
	v_fmac_f32_e32 v39, v94, v36
	v_fma_f32 v35, -v35, v39, v38
	s_delay_alu instid0(VALU_DEP_1) | instskip(NEXT) | instid1(VALU_DEP_1)
	v_div_fmas_f32 v35, v35, v36, v39
	v_div_fixup_f32 v36, v35, v34, 1.0
	s_delay_alu instid0(VALU_DEP_1)
	v_mul_f32_e64 v37, v37, -v36
.LBB59_37:                              ;   in Loop: Header=BB59_3 Depth=1
	s_or_b32 exec_lo, exec_lo, s57
	ds_store_b64 v81, v[36:37]
.LBB59_38:                              ;   in Loop: Header=BB59_3 Depth=1
	s_or_b32 exec_lo, exec_lo, s69
.LBB59_39:                              ;   in Loop: Header=BB59_3 Depth=1
	s_and_not1_saveexec_b32 s57, s68
	s_cbranch_execz .LBB59_41
; %bb.40:                               ;   in Loop: Header=BB59_3 Depth=1
	v_lshl_add_u64 v[34:35], v[12:13], 3, s[66:67]
	global_load_b64 v[34:35], v[34:35], off
	s_wait_loadcnt 0x0
	v_pk_add_f32 v[34:35], v[34:35], 0 neg_lo:[1,1] neg_hi:[1,1]
	ds_store_b64 v81, v[34:35]
.LBB59_41:                              ;   in Loop: Header=BB59_3 Depth=1
	s_or_b32 exec_lo, exec_lo, s57
	s_delay_alu instid0(SALU_CYCLE_1) | instskip(SKIP_2) | instid1(SALU_CYCLE_1)
	s_mov_b32 s57, exec_lo
	v_readlane_b32 s58, v104, 18
	s_and_b32 s58, s57, s58
	s_xor_b32 s68, s58, s57
	s_mov_b32 exec_lo, s58
	s_cbranch_execz .LBB59_53
; %bb.42:                               ;   in Loop: Header=BB59_3 Depth=1
	s_mov_b32 s57, exec_lo
	v_readlane_b32 s58, v104, 24
	s_and_b32 s58, s57, s58
	s_delay_alu instid0(SALU_CYCLE_1)
	s_xor_b32 s57, s58, s57
	s_mov_b32 exec_lo, s58
	s_cbranch_execz .LBB59_46
; %bb.43:                               ;   in Loop: Header=BB59_3 Depth=1
	v_readlane_b32 s59, v103, 10
	s_and_saveexec_b32 s58, s59
; %bb.44:                               ;   in Loop: Header=BB59_3 Depth=1
	ds_store_b64 v74, v[28:29]
; %bb.45:                               ;   in Loop: Header=BB59_3 Depth=1
	s_or_b32 exec_lo, exec_lo, s58
.LBB59_46:                              ;   in Loop: Header=BB59_3 Depth=1
	s_and_not1_saveexec_b32 s69, s57
	s_cbranch_execz .LBB59_52
; %bb.47:                               ;   in Loop: Header=BB59_3 Depth=1
	v_lshl_add_u64 v[34:35], v[14:15], 3, s[66:67]
                                        ; implicit-def: $vgpr36_vgpr37
	global_load_b64 v[34:35], v[34:35], off
	s_wait_loadcnt 0x0
	v_cmp_ngt_f32_e64 s57, |v34|, |v35|
	s_wait_xcnt 0x0
	s_and_saveexec_b32 s58, s57
	s_delay_alu instid0(SALU_CYCLE_1)
	s_xor_b32 s57, exec_lo, s58
	s_cbranch_execz .LBB59_49
; %bb.48:                               ;   in Loop: Header=BB59_3 Depth=1
	v_div_scale_f32 v36, null, v35, v35, v34
	v_div_scale_f32 v39, vcc_lo, v34, v35, v34
	s_delay_alu instid0(VALU_DEP_2) | instskip(SKIP_1) | instid1(TRANS32_DEP_1)
	v_rcp_f32_e32 v37, v36
	v_nop
	v_fma_f32 v38, -v36, v37, 1.0
	s_delay_alu instid0(VALU_DEP_1) | instskip(NEXT) | instid1(VALU_DEP_1)
	v_fmac_f32_e32 v37, v38, v37
	v_mul_f32_e32 v38, v39, v37
	s_delay_alu instid0(VALU_DEP_1) | instskip(NEXT) | instid1(VALU_DEP_1)
	v_fma_f32 v94, -v36, v38, v39
	v_fmac_f32_e32 v38, v94, v37
	s_delay_alu instid0(VALU_DEP_1) | instskip(NEXT) | instid1(VALU_DEP_1)
	v_fma_f32 v36, -v36, v38, v39
	v_div_fmas_f32 v36, v36, v37, v38
	s_delay_alu instid0(VALU_DEP_1) | instskip(NEXT) | instid1(VALU_DEP_1)
	v_div_fixup_f32 v36, v36, v35, v34
	v_fmac_f32_e32 v35, v34, v36
	s_delay_alu instid0(VALU_DEP_1) | instskip(SKIP_1) | instid1(VALU_DEP_2)
	v_div_scale_f32 v34, null, v35, v35, 1.0
	v_div_scale_f32 v39, vcc_lo, 1.0, v35, 1.0
	v_rcp_f32_e32 v37, v34
	v_nop
	s_delay_alu instid0(TRANS32_DEP_1) | instskip(NEXT) | instid1(VALU_DEP_1)
	v_fma_f32 v38, -v34, v37, 1.0
	v_fmac_f32_e32 v37, v38, v37
	s_delay_alu instid0(VALU_DEP_1) | instskip(NEXT) | instid1(VALU_DEP_1)
	v_mul_f32_e32 v38, v39, v37
	v_fma_f32 v94, -v34, v38, v39
	s_delay_alu instid0(VALU_DEP_1) | instskip(NEXT) | instid1(VALU_DEP_1)
	v_fmac_f32_e32 v38, v94, v37
	v_fma_f32 v34, -v34, v38, v39
	s_delay_alu instid0(VALU_DEP_1) | instskip(NEXT) | instid1(VALU_DEP_1)
	v_div_fmas_f32 v34, v34, v37, v38
	v_div_fixup_f32 v34, v34, v35, 1.0
	s_delay_alu instid0(VALU_DEP_1)
	v_mul_f32_e32 v36, v36, v34
	v_xor_b32_e32 v37, 0x80000000, v34
                                        ; implicit-def: $vgpr34_vgpr35
.LBB59_49:                              ;   in Loop: Header=BB59_3 Depth=1
	s_and_not1_saveexec_b32 s57, s57
	s_cbranch_execz .LBB59_51
; %bb.50:                               ;   in Loop: Header=BB59_3 Depth=1
	v_div_scale_f32 v36, null, v34, v34, v35
	v_div_scale_f32 v39, vcc_lo, v35, v34, v35
	s_delay_alu instid0(VALU_DEP_2) | instskip(SKIP_1) | instid1(TRANS32_DEP_1)
	v_rcp_f32_e32 v37, v36
	v_nop
	v_fma_f32 v38, -v36, v37, 1.0
	s_delay_alu instid0(VALU_DEP_1) | instskip(NEXT) | instid1(VALU_DEP_1)
	v_fmac_f32_e32 v37, v38, v37
	v_mul_f32_e32 v38, v39, v37
	s_delay_alu instid0(VALU_DEP_1) | instskip(NEXT) | instid1(VALU_DEP_1)
	v_fma_f32 v94, -v36, v38, v39
	v_fmac_f32_e32 v38, v94, v37
	s_delay_alu instid0(VALU_DEP_1) | instskip(NEXT) | instid1(VALU_DEP_1)
	v_fma_f32 v36, -v36, v38, v39
	v_div_fmas_f32 v36, v36, v37, v38
	s_delay_alu instid0(VALU_DEP_1) | instskip(NEXT) | instid1(VALU_DEP_1)
	v_div_fixup_f32 v37, v36, v34, v35
	v_fmac_f32_e32 v34, v35, v37
	s_delay_alu instid0(VALU_DEP_1) | instskip(NEXT) | instid1(VALU_DEP_1)
	v_div_scale_f32 v35, null, v34, v34, 1.0
	v_rcp_f32_e32 v36, v35
	v_nop
	s_delay_alu instid0(TRANS32_DEP_1) | instskip(NEXT) | instid1(VALU_DEP_1)
	v_fma_f32 v38, -v35, v36, 1.0
	v_fmac_f32_e32 v36, v38, v36
	v_div_scale_f32 v38, vcc_lo, 1.0, v34, 1.0
	s_delay_alu instid0(VALU_DEP_1) | instskip(NEXT) | instid1(VALU_DEP_1)
	v_mul_f32_e32 v39, v38, v36
	v_fma_f32 v94, -v35, v39, v38
	s_delay_alu instid0(VALU_DEP_1) | instskip(NEXT) | instid1(VALU_DEP_1)
	v_fmac_f32_e32 v39, v94, v36
	v_fma_f32 v35, -v35, v39, v38
	s_delay_alu instid0(VALU_DEP_1) | instskip(NEXT) | instid1(VALU_DEP_1)
	v_div_fmas_f32 v35, v35, v36, v39
	v_div_fixup_f32 v36, v35, v34, 1.0
	s_delay_alu instid0(VALU_DEP_1)
	v_mul_f32_e64 v37, v37, -v36
.LBB59_51:                              ;   in Loop: Header=BB59_3 Depth=1
	s_or_b32 exec_lo, exec_lo, s57
	ds_store_b64 v74, v[36:37]
.LBB59_52:                              ;   in Loop: Header=BB59_3 Depth=1
	s_or_b32 exec_lo, exec_lo, s69
.LBB59_53:                              ;   in Loop: Header=BB59_3 Depth=1
	s_and_not1_saveexec_b32 s57, s68
	s_cbranch_execz .LBB59_55
; %bb.54:                               ;   in Loop: Header=BB59_3 Depth=1
	v_lshl_add_u64 v[34:35], v[14:15], 3, s[66:67]
	global_load_b64 v[34:35], v[34:35], off
	s_wait_loadcnt 0x0
	v_pk_add_f32 v[34:35], v[34:35], 0 neg_lo:[1,1] neg_hi:[1,1]
	ds_store_b64 v74, v[34:35]
.LBB59_55:                              ;   in Loop: Header=BB59_3 Depth=1
	s_or_b32 exec_lo, exec_lo, s57
	s_delay_alu instid0(SALU_CYCLE_1) | instskip(SKIP_2) | instid1(SALU_CYCLE_1)
	s_mov_b32 s57, exec_lo
	v_readlane_b32 s58, v104, 19
	s_and_b32 s58, s57, s58
	s_xor_b32 s68, s58, s57
	s_mov_b32 exec_lo, s58
	s_cbranch_execz .LBB59_67
; %bb.56:                               ;   in Loop: Header=BB59_3 Depth=1
	s_mov_b32 s57, exec_lo
	v_readlane_b32 s58, v104, 26
	s_and_b32 s58, s57, s58
	s_delay_alu instid0(SALU_CYCLE_1)
	s_xor_b32 s57, s58, s57
	s_mov_b32 exec_lo, s58
	s_cbranch_execz .LBB59_60
; %bb.57:                               ;   in Loop: Header=BB59_3 Depth=1
	v_readlane_b32 s59, v103, 11
	s_and_saveexec_b32 s58, s59
; %bb.58:                               ;   in Loop: Header=BB59_3 Depth=1
	ds_store_b64 v76, v[28:29]
; %bb.59:                               ;   in Loop: Header=BB59_3 Depth=1
	s_or_b32 exec_lo, exec_lo, s58
.LBB59_60:                              ;   in Loop: Header=BB59_3 Depth=1
	s_and_not1_saveexec_b32 s69, s57
	s_cbranch_execz .LBB59_66
; %bb.61:                               ;   in Loop: Header=BB59_3 Depth=1
	v_lshl_add_u64 v[34:35], v[16:17], 3, s[66:67]
                                        ; implicit-def: $vgpr36_vgpr37
	global_load_b64 v[34:35], v[34:35], off
	s_wait_loadcnt 0x0
	v_cmp_ngt_f32_e64 s57, |v34|, |v35|
	s_wait_xcnt 0x0
	s_and_saveexec_b32 s58, s57
	s_delay_alu instid0(SALU_CYCLE_1)
	s_xor_b32 s57, exec_lo, s58
	s_cbranch_execz .LBB59_63
; %bb.62:                               ;   in Loop: Header=BB59_3 Depth=1
	v_div_scale_f32 v36, null, v35, v35, v34
	v_div_scale_f32 v39, vcc_lo, v34, v35, v34
	s_delay_alu instid0(VALU_DEP_2) | instskip(SKIP_1) | instid1(TRANS32_DEP_1)
	v_rcp_f32_e32 v37, v36
	v_nop
	v_fma_f32 v38, -v36, v37, 1.0
	s_delay_alu instid0(VALU_DEP_1) | instskip(NEXT) | instid1(VALU_DEP_1)
	v_fmac_f32_e32 v37, v38, v37
	v_mul_f32_e32 v38, v39, v37
	s_delay_alu instid0(VALU_DEP_1) | instskip(NEXT) | instid1(VALU_DEP_1)
	v_fma_f32 v94, -v36, v38, v39
	v_fmac_f32_e32 v38, v94, v37
	s_delay_alu instid0(VALU_DEP_1) | instskip(NEXT) | instid1(VALU_DEP_1)
	v_fma_f32 v36, -v36, v38, v39
	v_div_fmas_f32 v36, v36, v37, v38
	s_delay_alu instid0(VALU_DEP_1) | instskip(NEXT) | instid1(VALU_DEP_1)
	v_div_fixup_f32 v36, v36, v35, v34
	v_fmac_f32_e32 v35, v34, v36
	s_delay_alu instid0(VALU_DEP_1) | instskip(SKIP_1) | instid1(VALU_DEP_2)
	v_div_scale_f32 v34, null, v35, v35, 1.0
	v_div_scale_f32 v39, vcc_lo, 1.0, v35, 1.0
	v_rcp_f32_e32 v37, v34
	v_nop
	s_delay_alu instid0(TRANS32_DEP_1) | instskip(NEXT) | instid1(VALU_DEP_1)
	v_fma_f32 v38, -v34, v37, 1.0
	v_fmac_f32_e32 v37, v38, v37
	s_delay_alu instid0(VALU_DEP_1) | instskip(NEXT) | instid1(VALU_DEP_1)
	v_mul_f32_e32 v38, v39, v37
	v_fma_f32 v94, -v34, v38, v39
	s_delay_alu instid0(VALU_DEP_1) | instskip(NEXT) | instid1(VALU_DEP_1)
	v_fmac_f32_e32 v38, v94, v37
	v_fma_f32 v34, -v34, v38, v39
	s_delay_alu instid0(VALU_DEP_1) | instskip(NEXT) | instid1(VALU_DEP_1)
	v_div_fmas_f32 v34, v34, v37, v38
	v_div_fixup_f32 v34, v34, v35, 1.0
	s_delay_alu instid0(VALU_DEP_1)
	v_mul_f32_e32 v36, v36, v34
	v_xor_b32_e32 v37, 0x80000000, v34
                                        ; implicit-def: $vgpr34_vgpr35
.LBB59_63:                              ;   in Loop: Header=BB59_3 Depth=1
	s_and_not1_saveexec_b32 s57, s57
	s_cbranch_execz .LBB59_65
; %bb.64:                               ;   in Loop: Header=BB59_3 Depth=1
	v_div_scale_f32 v36, null, v34, v34, v35
	v_div_scale_f32 v39, vcc_lo, v35, v34, v35
	s_delay_alu instid0(VALU_DEP_2) | instskip(SKIP_1) | instid1(TRANS32_DEP_1)
	v_rcp_f32_e32 v37, v36
	v_nop
	v_fma_f32 v38, -v36, v37, 1.0
	s_delay_alu instid0(VALU_DEP_1) | instskip(NEXT) | instid1(VALU_DEP_1)
	v_fmac_f32_e32 v37, v38, v37
	v_mul_f32_e32 v38, v39, v37
	s_delay_alu instid0(VALU_DEP_1) | instskip(NEXT) | instid1(VALU_DEP_1)
	v_fma_f32 v94, -v36, v38, v39
	v_fmac_f32_e32 v38, v94, v37
	s_delay_alu instid0(VALU_DEP_1) | instskip(NEXT) | instid1(VALU_DEP_1)
	v_fma_f32 v36, -v36, v38, v39
	v_div_fmas_f32 v36, v36, v37, v38
	s_delay_alu instid0(VALU_DEP_1) | instskip(NEXT) | instid1(VALU_DEP_1)
	v_div_fixup_f32 v37, v36, v34, v35
	v_fmac_f32_e32 v34, v35, v37
	s_delay_alu instid0(VALU_DEP_1) | instskip(NEXT) | instid1(VALU_DEP_1)
	v_div_scale_f32 v35, null, v34, v34, 1.0
	v_rcp_f32_e32 v36, v35
	v_nop
	s_delay_alu instid0(TRANS32_DEP_1) | instskip(NEXT) | instid1(VALU_DEP_1)
	v_fma_f32 v38, -v35, v36, 1.0
	v_fmac_f32_e32 v36, v38, v36
	v_div_scale_f32 v38, vcc_lo, 1.0, v34, 1.0
	s_delay_alu instid0(VALU_DEP_1) | instskip(NEXT) | instid1(VALU_DEP_1)
	v_mul_f32_e32 v39, v38, v36
	v_fma_f32 v94, -v35, v39, v38
	s_delay_alu instid0(VALU_DEP_1) | instskip(NEXT) | instid1(VALU_DEP_1)
	v_fmac_f32_e32 v39, v94, v36
	v_fma_f32 v35, -v35, v39, v38
	s_delay_alu instid0(VALU_DEP_1) | instskip(NEXT) | instid1(VALU_DEP_1)
	v_div_fmas_f32 v35, v35, v36, v39
	v_div_fixup_f32 v36, v35, v34, 1.0
	s_delay_alu instid0(VALU_DEP_1)
	v_mul_f32_e64 v37, v37, -v36
.LBB59_65:                              ;   in Loop: Header=BB59_3 Depth=1
	s_or_b32 exec_lo, exec_lo, s57
	ds_store_b64 v76, v[36:37]
.LBB59_66:                              ;   in Loop: Header=BB59_3 Depth=1
	s_or_b32 exec_lo, exec_lo, s69
.LBB59_67:                              ;   in Loop: Header=BB59_3 Depth=1
	s_and_not1_saveexec_b32 s57, s68
	s_cbranch_execz .LBB59_69
; %bb.68:                               ;   in Loop: Header=BB59_3 Depth=1
	v_lshl_add_u64 v[34:35], v[16:17], 3, s[66:67]
	global_load_b64 v[34:35], v[34:35], off
	s_wait_loadcnt 0x0
	v_pk_add_f32 v[34:35], v[34:35], 0 neg_lo:[1,1] neg_hi:[1,1]
	ds_store_b64 v76, v[34:35]
.LBB59_69:                              ;   in Loop: Header=BB59_3 Depth=1
	s_or_b32 exec_lo, exec_lo, s57
	s_delay_alu instid0(SALU_CYCLE_1) | instskip(SKIP_2) | instid1(SALU_CYCLE_1)
	s_mov_b32 s57, exec_lo
	v_readlane_b32 s58, v104, 20
	s_and_b32 s58, s57, s58
	s_xor_b32 s68, s58, s57
	s_mov_b32 exec_lo, s58
	s_cbranch_execz .LBB59_81
; %bb.70:                               ;   in Loop: Header=BB59_3 Depth=1
	s_mov_b32 s57, exec_lo
	v_readlane_b32 s58, v104, 28
	s_and_b32 s58, s57, s58
	s_delay_alu instid0(SALU_CYCLE_1)
	s_xor_b32 s57, s58, s57
	s_mov_b32 exec_lo, s58
	s_cbranch_execz .LBB59_74
; %bb.71:                               ;   in Loop: Header=BB59_3 Depth=1
	v_readlane_b32 s59, v103, 12
	s_and_saveexec_b32 s58, s59
; %bb.72:                               ;   in Loop: Header=BB59_3 Depth=1
	ds_store_b64 v77, v[28:29]
; %bb.73:                               ;   in Loop: Header=BB59_3 Depth=1
	s_or_b32 exec_lo, exec_lo, s58
.LBB59_74:                              ;   in Loop: Header=BB59_3 Depth=1
	s_and_not1_saveexec_b32 s69, s57
	s_cbranch_execz .LBB59_80
; %bb.75:                               ;   in Loop: Header=BB59_3 Depth=1
	v_lshl_add_u64 v[34:35], v[18:19], 3, s[66:67]
                                        ; implicit-def: $vgpr36_vgpr37
	global_load_b64 v[34:35], v[34:35], off
	s_wait_loadcnt 0x0
	v_cmp_ngt_f32_e64 s57, |v34|, |v35|
	s_wait_xcnt 0x0
	s_and_saveexec_b32 s58, s57
	s_delay_alu instid0(SALU_CYCLE_1)
	s_xor_b32 s57, exec_lo, s58
	s_cbranch_execz .LBB59_77
; %bb.76:                               ;   in Loop: Header=BB59_3 Depth=1
	v_div_scale_f32 v36, null, v35, v35, v34
	v_div_scale_f32 v39, vcc_lo, v34, v35, v34
	s_delay_alu instid0(VALU_DEP_2) | instskip(SKIP_1) | instid1(TRANS32_DEP_1)
	v_rcp_f32_e32 v37, v36
	v_nop
	v_fma_f32 v38, -v36, v37, 1.0
	s_delay_alu instid0(VALU_DEP_1) | instskip(NEXT) | instid1(VALU_DEP_1)
	v_fmac_f32_e32 v37, v38, v37
	v_mul_f32_e32 v38, v39, v37
	s_delay_alu instid0(VALU_DEP_1) | instskip(NEXT) | instid1(VALU_DEP_1)
	v_fma_f32 v94, -v36, v38, v39
	v_fmac_f32_e32 v38, v94, v37
	s_delay_alu instid0(VALU_DEP_1) | instskip(NEXT) | instid1(VALU_DEP_1)
	v_fma_f32 v36, -v36, v38, v39
	v_div_fmas_f32 v36, v36, v37, v38
	s_delay_alu instid0(VALU_DEP_1) | instskip(NEXT) | instid1(VALU_DEP_1)
	v_div_fixup_f32 v36, v36, v35, v34
	v_fmac_f32_e32 v35, v34, v36
	s_delay_alu instid0(VALU_DEP_1) | instskip(SKIP_1) | instid1(VALU_DEP_2)
	v_div_scale_f32 v34, null, v35, v35, 1.0
	v_div_scale_f32 v39, vcc_lo, 1.0, v35, 1.0
	v_rcp_f32_e32 v37, v34
	v_nop
	s_delay_alu instid0(TRANS32_DEP_1) | instskip(NEXT) | instid1(VALU_DEP_1)
	v_fma_f32 v38, -v34, v37, 1.0
	v_fmac_f32_e32 v37, v38, v37
	s_delay_alu instid0(VALU_DEP_1) | instskip(NEXT) | instid1(VALU_DEP_1)
	v_mul_f32_e32 v38, v39, v37
	v_fma_f32 v94, -v34, v38, v39
	s_delay_alu instid0(VALU_DEP_1) | instskip(NEXT) | instid1(VALU_DEP_1)
	v_fmac_f32_e32 v38, v94, v37
	v_fma_f32 v34, -v34, v38, v39
	s_delay_alu instid0(VALU_DEP_1) | instskip(NEXT) | instid1(VALU_DEP_1)
	v_div_fmas_f32 v34, v34, v37, v38
	v_div_fixup_f32 v34, v34, v35, 1.0
	s_delay_alu instid0(VALU_DEP_1)
	v_mul_f32_e32 v36, v36, v34
	v_xor_b32_e32 v37, 0x80000000, v34
                                        ; implicit-def: $vgpr34_vgpr35
.LBB59_77:                              ;   in Loop: Header=BB59_3 Depth=1
	s_and_not1_saveexec_b32 s57, s57
	s_cbranch_execz .LBB59_79
; %bb.78:                               ;   in Loop: Header=BB59_3 Depth=1
	v_div_scale_f32 v36, null, v34, v34, v35
	v_div_scale_f32 v39, vcc_lo, v35, v34, v35
	s_delay_alu instid0(VALU_DEP_2) | instskip(SKIP_1) | instid1(TRANS32_DEP_1)
	v_rcp_f32_e32 v37, v36
	v_nop
	v_fma_f32 v38, -v36, v37, 1.0
	s_delay_alu instid0(VALU_DEP_1) | instskip(NEXT) | instid1(VALU_DEP_1)
	v_fmac_f32_e32 v37, v38, v37
	v_mul_f32_e32 v38, v39, v37
	s_delay_alu instid0(VALU_DEP_1) | instskip(NEXT) | instid1(VALU_DEP_1)
	v_fma_f32 v94, -v36, v38, v39
	v_fmac_f32_e32 v38, v94, v37
	s_delay_alu instid0(VALU_DEP_1) | instskip(NEXT) | instid1(VALU_DEP_1)
	v_fma_f32 v36, -v36, v38, v39
	v_div_fmas_f32 v36, v36, v37, v38
	s_delay_alu instid0(VALU_DEP_1) | instskip(NEXT) | instid1(VALU_DEP_1)
	v_div_fixup_f32 v37, v36, v34, v35
	v_fmac_f32_e32 v34, v35, v37
	s_delay_alu instid0(VALU_DEP_1) | instskip(NEXT) | instid1(VALU_DEP_1)
	v_div_scale_f32 v35, null, v34, v34, 1.0
	v_rcp_f32_e32 v36, v35
	v_nop
	s_delay_alu instid0(TRANS32_DEP_1) | instskip(NEXT) | instid1(VALU_DEP_1)
	v_fma_f32 v38, -v35, v36, 1.0
	v_fmac_f32_e32 v36, v38, v36
	v_div_scale_f32 v38, vcc_lo, 1.0, v34, 1.0
	s_delay_alu instid0(VALU_DEP_1) | instskip(NEXT) | instid1(VALU_DEP_1)
	v_mul_f32_e32 v39, v38, v36
	v_fma_f32 v94, -v35, v39, v38
	s_delay_alu instid0(VALU_DEP_1) | instskip(NEXT) | instid1(VALU_DEP_1)
	v_fmac_f32_e32 v39, v94, v36
	v_fma_f32 v35, -v35, v39, v38
	s_delay_alu instid0(VALU_DEP_1) | instskip(NEXT) | instid1(VALU_DEP_1)
	v_div_fmas_f32 v35, v35, v36, v39
	v_div_fixup_f32 v36, v35, v34, 1.0
	s_delay_alu instid0(VALU_DEP_1)
	v_mul_f32_e64 v37, v37, -v36
.LBB59_79:                              ;   in Loop: Header=BB59_3 Depth=1
	s_or_b32 exec_lo, exec_lo, s57
	ds_store_b64 v77, v[36:37]
.LBB59_80:                              ;   in Loop: Header=BB59_3 Depth=1
	s_or_b32 exec_lo, exec_lo, s69
.LBB59_81:                              ;   in Loop: Header=BB59_3 Depth=1
	s_and_not1_saveexec_b32 s57, s68
	s_cbranch_execz .LBB59_83
; %bb.82:                               ;   in Loop: Header=BB59_3 Depth=1
	v_lshl_add_u64 v[34:35], v[18:19], 3, s[66:67]
	global_load_b64 v[34:35], v[34:35], off
	s_wait_loadcnt 0x0
	v_pk_add_f32 v[34:35], v[34:35], 0 neg_lo:[1,1] neg_hi:[1,1]
	ds_store_b64 v77, v[34:35]
.LBB59_83:                              ;   in Loop: Header=BB59_3 Depth=1
	s_or_b32 exec_lo, exec_lo, s57
.LBB59_84:                              ;   in Loop: Header=BB59_3 Depth=1
	s_delay_alu instid0(SALU_CYCLE_1)
	s_and_not1_b32 vcc_lo, exec_lo, s95
	s_wait_storecnt 0x0
	s_wait_loadcnt_dscnt 0x0
	s_barrier_signal -1
	s_barrier_wait -1
	s_cbranch_vccnz .LBB59_1006
; %bb.85:                               ;   in Loop: Header=BB59_3 Depth=1
	s_and_saveexec_b32 s57, s14
	s_cbranch_execz .LBB59_87
; %bb.86:                               ;   in Loop: Header=BB59_3 Depth=1
	ds_load_b128 v[34:37], v5
	ds_load_b64 v[38:39], v5 offset:520
	s_wait_dscnt 0x1
	v_dual_mov_b32 v96, v37 :: v_dual_mov_b32 v97, v36
	s_wait_dscnt 0x0
	v_dual_mul_f32 v95, v39, v35 :: v_dual_mul_f32 v94, v38, v35
	s_delay_alu instid0(VALU_DEP_1) | instskip(NEXT) | instid1(VALU_DEP_2)
	v_xor_b32_e32 v98, 0x80000000, v95
	v_fmac_f32_e32 v94, v39, v34
	s_delay_alu instid0(VALU_DEP_2) | instskip(NEXT) | instid1(VALU_DEP_2)
	v_fmac_f32_e32 v98, v38, v34
	v_pk_mul_f32 v[34:35], v[94:95], v[96:97] op_sel_hi:[0,1]
	s_delay_alu instid0(VALU_DEP_1) | instskip(SKIP_1) | instid1(VALU_DEP_2)
	v_pk_fma_f32 v[38:39], v[98:99], v[36:37], v[34:35] op_sel_hi:[0,1,1]
	v_pk_fma_f32 v[34:35], v[98:99], v[36:37], v[34:35] neg_lo:[0,0,1] neg_hi:[0,0,1]
	v_mov_b32_e32 v35, v39
	ds_store_2addr_b64 v5, v[34:35], v[34:35] offset0:1 offset1:64
.LBB59_87:                              ;   in Loop: Header=BB59_3 Depth=1
	s_or_b32 exec_lo, exec_lo, s57
	v_mov_b32_e32 v35, 0
	s_wait_dscnt 0x0
	s_barrier_signal -1
	s_barrier_wait -1
	s_delay_alu instid0(VALU_DEP_1)
	v_mov_b32_e32 v34, v35
	s_and_saveexec_b32 s57, s0
	s_cbranch_execz .LBB59_91
; %bb.88:                               ;   in Loop: Header=BB59_3 Depth=1
	ds_load_b64 v[34:35], v41 offset:16
	ds_load_b64 v[36:37], v42
	s_wait_dscnt 0x0
	v_dual_mul_f32 v38, v37, v35 :: v_dual_mul_f32 v39, v36, v35
	s_delay_alu instid0(VALU_DEP_1) | instskip(NEXT) | instid1(VALU_DEP_1)
	v_dual_fma_f32 v38, v36, v34, -v38 :: v_dual_fmac_f32 v39, v37, v34
	v_pk_add_f32 v[34:35], v[38:39], 0 op_sel_hi:[1,0]
	s_and_saveexec_b32 s58, s15
	s_cbranch_execz .LBB59_90
; %bb.89:                               ;   in Loop: Header=BB59_3 Depth=1
	ds_load_b64 v[36:37], v43 offset:528
	ds_load_b64 v[38:39], v5 offset:8
	s_wait_dscnt 0x0
	v_pk_mul_f32 v[94:95], v[38:39], v[36:37] op_sel:[1,1] op_sel_hi:[0,1]
	s_delay_alu instid0(VALU_DEP_1) | instskip(SKIP_1) | instid1(VALU_DEP_2)
	v_pk_fma_f32 v[96:97], v[38:39], v[36:37], v[94:95] op_sel_hi:[1,0,1]
	v_pk_fma_f32 v[36:37], v[38:39], v[36:37], v[94:95] neg_lo:[0,0,1] neg_hi:[0,0,1]
	v_mov_b32_e32 v37, v97
	s_delay_alu instid0(VALU_DEP_1)
	v_pk_add_f32 v[34:35], v[34:35], v[36:37]
.LBB59_90:                              ;   in Loop: Header=BB59_3 Depth=1
	s_or_b32 exec_lo, exec_lo, s58
	s_delay_alu instid0(VALU_DEP_1)
	v_pk_add_f32 v[34:35], v[34:35], 0 neg_lo:[1,1] neg_hi:[1,1]
.LBB59_91:                              ;   in Loop: Header=BB59_3 Depth=1
	s_or_b32 exec_lo, exec_lo, s57
	s_and_saveexec_b32 s57, s96
	s_cbranch_execz .LBB59_93
; %bb.92:                               ;   in Loop: Header=BB59_3 Depth=1
	ds_load_b64 v[36:37], v5 offset:1040
	s_wait_dscnt 0x0
	v_pk_mul_f32 v[38:39], v[34:35], v[36:37] op_sel:[1,1] op_sel_hi:[1,0]
	s_delay_alu instid0(VALU_DEP_1) | instskip(SKIP_1) | instid1(VALU_DEP_2)
	v_pk_fma_f32 v[94:95], v[34:35], v[36:37], v[38:39] op_sel_hi:[0,1,1]
	v_pk_fma_f32 v[36:37], v[34:35], v[36:37], v[38:39] neg_lo:[0,0,1] neg_hi:[0,0,1]
	v_mov_b32_e32 v37, v95
	s_delay_alu instid0(VALU_DEP_1)
	v_mov_b64_e32 v[34:35], v[36:37]
	ds_store_b64 v3, v[36:37]
.LBB59_93:                              ;   in Loop: Header=BB59_3 Depth=1
	s_or_b32 exec_lo, exec_lo, s57
	s_wait_dscnt 0x0
	s_barrier_signal -1
	s_barrier_wait -1
	s_and_saveexec_b32 s57, s97
	s_cbranch_execz .LBB59_95
; %bb.94:                               ;   in Loop: Header=BB59_3 Depth=1
	ds_load_b64 v[36:37], v5 offset:1048
	ds_load_b64 v[38:39], v3
	s_wait_dscnt 0x0
	v_pk_mul_f32 v[94:95], v[38:39], v[36:37] op_sel:[1,1] op_sel_hi:[0,1]
	s_delay_alu instid0(VALU_DEP_1) | instskip(SKIP_1) | instid1(VALU_DEP_2)
	v_pk_fma_f32 v[96:97], v[38:39], v[36:37], v[94:95] op_sel_hi:[1,0,1]
	v_pk_fma_f32 v[36:37], v[38:39], v[36:37], v[94:95] neg_lo:[0,0,1] neg_hi:[0,0,1]
	v_mov_b32_e32 v37, v97
	s_delay_alu instid0(VALU_DEP_1)
	v_pk_add_f32 v[34:35], v[34:35], v[36:37]
.LBB59_95:                              ;   in Loop: Header=BB59_3 Depth=1
	s_or_b32 exec_lo, exec_lo, s57
	s_barrier_signal -1
	s_barrier_wait -1
	s_and_saveexec_b32 s57, s97
	s_cbranch_execz .LBB59_97
; %bb.96:                               ;   in Loop: Header=BB59_3 Depth=1
	ds_load_b64 v[36:37], v5 offset:1560
	s_wait_dscnt 0x0
	v_pk_mul_f32 v[38:39], v[34:35], v[36:37] op_sel:[1,1] op_sel_hi:[1,0]
	s_delay_alu instid0(VALU_DEP_1) | instskip(SKIP_1) | instid1(VALU_DEP_2)
	v_pk_fma_f32 v[94:95], v[34:35], v[36:37], v[38:39] op_sel_hi:[0,1,1]
	v_pk_fma_f32 v[36:37], v[34:35], v[36:37], v[38:39] neg_lo:[0,0,1] neg_hi:[0,0,1]
	v_mov_b32_e32 v37, v95
	s_delay_alu instid0(VALU_DEP_1)
	v_mov_b64_e32 v[34:35], v[36:37]
	ds_store_b64 v3, v[36:37]
.LBB59_97:                              ;   in Loop: Header=BB59_3 Depth=1
	s_or_b32 exec_lo, exec_lo, s57
	s_wait_dscnt 0x0
	s_barrier_signal -1
	s_barrier_wait -1
	s_barrier_signal -1
	s_barrier_wait -1
	s_and_saveexec_b32 s57, s0
; %bb.98:                               ;   in Loop: Header=BB59_3 Depth=1
	v_pk_add_f32 v[34:35], v[34:35], 0 neg_lo:[1,1] neg_hi:[1,1]
	ds_store_b64 v41, v[34:35] offset:16
; %bb.99:                               ;   in Loop: Header=BB59_3 Depth=1
	s_or_b32 exec_lo, exec_lo, s57
	s_wait_dscnt 0x0
	s_barrier_signal -1
	s_barrier_wait -1
	s_barrier_signal -1
	s_barrier_wait -1
	s_and_saveexec_b32 s57, s98
	s_cbranch_execz .LBB59_101
; %bb.100:                              ;   in Loop: Header=BB59_3 Depth=1
	ds_load_b64 v[34:35], v46 offset:16
	s_wait_dscnt 0x0
	ds_store_b64 v43, v[34:35] offset:1024
	ds_load_b64 v[34:35], v46 offset:24
	s_wait_dscnt 0x0
	ds_store_b64 v43, v[34:35] offset:1536
.LBB59_101:                             ;   in Loop: Header=BB59_3 Depth=1
	s_or_b32 exec_lo, exec_lo, s57
	s_wait_dscnt 0x0
	s_barrier_signal -1
	s_barrier_wait -1
	s_and_saveexec_b32 s57, s14
	s_cbranch_execz .LBB59_103
; %bb.102:                              ;   in Loop: Header=BB59_3 Depth=1
	ds_load_b128 v[34:37], v5 offset:1040
	ds_load_b64 v[38:39], v5 offset:1560
	s_wait_dscnt 0x1
	v_dual_mov_b32 v96, v37 :: v_dual_mov_b32 v97, v36
	s_wait_dscnt 0x0
	v_dual_mul_f32 v95, v39, v35 :: v_dual_mul_f32 v94, v38, v35
	s_delay_alu instid0(VALU_DEP_1) | instskip(NEXT) | instid1(VALU_DEP_2)
	v_xor_b32_e32 v98, 0x80000000, v95
	v_fmac_f32_e32 v94, v39, v34
	s_delay_alu instid0(VALU_DEP_2) | instskip(NEXT) | instid1(VALU_DEP_2)
	v_fmac_f32_e32 v98, v38, v34
	v_pk_mul_f32 v[34:35], v[94:95], v[96:97] op_sel_hi:[0,1]
	s_delay_alu instid0(VALU_DEP_1) | instskip(SKIP_1) | instid1(VALU_DEP_2)
	v_pk_fma_f32 v[38:39], v[98:99], v[36:37], v[34:35] op_sel_hi:[0,1,1]
	v_pk_fma_f32 v[34:35], v[98:99], v[36:37], v[34:35] neg_lo:[0,0,1] neg_hi:[0,0,1]
	v_mov_b32_e32 v35, v39
	ds_store_2addr_b64 v5, v[34:35], v[34:35] offset0:131 offset1:194
.LBB59_103:                             ;   in Loop: Header=BB59_3 Depth=1
	s_or_b32 exec_lo, exec_lo, s57
	v_mov_b32_e32 v34, 0
	s_wait_dscnt 0x0
	s_barrier_signal -1
	s_barrier_wait -1
	s_delay_alu instid0(VALU_DEP_1)
	v_mov_b32_e32 v35, v34
	s_and_saveexec_b32 s66, s2
	s_cbranch_execz .LBB59_109
; %bb.104:                              ;   in Loop: Header=BB59_3 Depth=1
	ds_load_b64 v[34:35], v48 offset:32
	ds_load_b64 v[36:37], v44
	s_wait_dscnt 0x0
	v_pk_mul_f32 v[38:39], v[36:37], v[34:35] op_sel:[0,1]
	s_delay_alu instid0(VALU_DEP_1) | instskip(SKIP_1) | instid1(VALU_DEP_2)
	v_pk_fma_f32 v[94:95], v[36:37], v[34:35], v[38:39] op_sel:[1,0,0] op_sel_hi:[0,0,1] neg_lo:[0,0,1] neg_hi:[0,0,1]
	v_pk_fma_f32 v[34:35], v[36:37], v[34:35], v[38:39] op_sel:[1,0,0] op_sel_hi:[0,1,1]
	v_mov_b32_e32 v35, v95
	s_delay_alu instid0(VALU_DEP_1)
	v_pk_add_f32 v[34:35], v[34:35], 0 op_sel_hi:[1,0]
	s_and_saveexec_b32 s57, s16
	s_cbranch_execnz .LBB59_1110
; %bb.105:                              ;   in Loop: Header=BB59_3 Depth=1
	s_or_b32 exec_lo, exec_lo, s57
	s_and_saveexec_b32 s57, s17
	s_cbranch_execnz .LBB59_1111
.LBB59_106:                             ;   in Loop: Header=BB59_3 Depth=1
	s_or_b32 exec_lo, exec_lo, s57
	s_and_saveexec_b32 s57, s0
	s_cbranch_execz .LBB59_108
.LBB59_107:                             ;   in Loop: Header=BB59_3 Depth=1
	ds_load_b64 v[36:37], v51 offset:1568
	ds_load_b64 v[38:39], v5 offset:24
	s_wait_dscnt 0x0
	v_pk_mul_f32 v[94:95], v[38:39], v[36:37] op_sel:[0,1]
	s_delay_alu instid0(VALU_DEP_1) | instskip(SKIP_1) | instid1(VALU_DEP_2)
	v_pk_fma_f32 v[96:97], v[38:39], v[36:37], v[94:95] op_sel:[1,0,0] op_sel_hi:[0,0,1] neg_lo:[0,0,1] neg_hi:[0,0,1]
	v_pk_fma_f32 v[36:37], v[38:39], v[36:37], v[94:95] op_sel:[1,0,0] op_sel_hi:[0,1,1]
	v_mov_b32_e32 v37, v97
	s_delay_alu instid0(VALU_DEP_1)
	v_pk_add_f32 v[34:35], v[34:35], v[36:37]
.LBB59_108:                             ;   in Loop: Header=BB59_3 Depth=1
	s_or_b32 exec_lo, exec_lo, s57
	s_delay_alu instid0(VALU_DEP_1) | instskip(NEXT) | instid1(VALU_DEP_1)
	v_pk_add_f32 v[36:37], v[34:35], 0 neg_lo:[1,1] neg_hi:[1,1]
	v_dual_mov_b32 v34, v37 :: v_dual_mov_b32 v35, v36
.LBB59_109:                             ;   in Loop: Header=BB59_3 Depth=1
	s_or_b32 exec_lo, exec_lo, s66
	s_and_saveexec_b32 s57, s99
	s_cbranch_execz .LBB59_111
; %bb.110:                              ;   in Loop: Header=BB59_3 Depth=1
	ds_load_b64 v[36:37], v5 offset:2080
	v_dual_mov_b32 v38, v35 :: v_dual_mov_b32 v39, v34
	s_wait_dscnt 0x0
	s_delay_alu instid0(VALU_DEP_1) | instskip(NEXT) | instid1(VALU_DEP_1)
	v_dual_mul_f32 v94, v38, v36 :: v_dual_mul_f32 v96, v35, v37
	v_pk_fma_f32 v[38:39], v[38:39], v[36:37], v[94:95] op_sel_hi:[1,1,0]
	s_delay_alu instid0(VALU_DEP_2) | instskip(NEXT) | instid1(VALU_DEP_2)
	v_pk_fma_f32 v[34:35], v[34:35], v[36:37], v[96:97] op_sel_hi:[1,1,0] neg_lo:[0,0,1] neg_hi:[0,0,1]
	v_mov_b32_e32 v35, v39
	ds_store_b64 v47, v[34:35]
.LBB59_111:                             ;   in Loop: Header=BB59_3 Depth=1
	s_or_b32 exec_lo, exec_lo, s57
	s_wait_dscnt 0x0
	s_barrier_signal -1
	s_barrier_wait -1
	s_and_saveexec_b32 s57, s100
	s_cbranch_execz .LBB59_113
; %bb.112:                              ;   in Loop: Header=BB59_3 Depth=1
	ds_load_b64 v[36:37], v45 offset:2080
	ds_load_b64 v[38:39], v47
	s_wait_dscnt 0x0
	v_dual_mul_f32 v94, v39, v37 :: v_dual_mul_f32 v95, v38, v37
	s_delay_alu instid0(VALU_DEP_1) | instskip(NEXT) | instid1(VALU_DEP_1)
	v_dual_fma_f32 v94, v38, v36, -v94 :: v_dual_fmac_f32 v95, v39, v36
	v_pk_add_f32 v[34:35], v[34:35], v[94:95]
.LBB59_113:                             ;   in Loop: Header=BB59_3 Depth=1
	s_or_b32 exec_lo, exec_lo, s57
	s_barrier_signal -1
	s_barrier_wait -1
	s_and_saveexec_b32 s57, s101
	s_cbranch_execz .LBB59_115
; %bb.114:                              ;   in Loop: Header=BB59_3 Depth=1
	ds_load_b64 v[36:37], v5 offset:2600
	s_wait_dscnt 0x0
	v_pk_mul_f32 v[38:39], v[34:35], v[36:37] op_sel:[1,1] op_sel_hi:[1,0]
	s_delay_alu instid0(VALU_DEP_1) | instskip(SKIP_1) | instid1(VALU_DEP_2)
	v_pk_fma_f32 v[94:95], v[34:35], v[36:37], v[38:39] op_sel_hi:[0,1,1]
	v_pk_fma_f32 v[36:37], v[34:35], v[36:37], v[38:39] neg_lo:[0,0,1] neg_hi:[0,0,1]
	v_mov_b32_e32 v37, v95
	s_delay_alu instid0(VALU_DEP_1)
	v_mov_b64_e32 v[34:35], v[36:37]
	ds_store_b64 v47, v[36:37]
.LBB59_115:                             ;   in Loop: Header=BB59_3 Depth=1
	s_or_b32 exec_lo, exec_lo, s57
	s_wait_dscnt 0x0
	s_barrier_signal -1
	s_barrier_wait -1
	s_and_saveexec_b32 s57, s102
	s_cbranch_execz .LBB59_117
; %bb.116:                              ;   in Loop: Header=BB59_3 Depth=1
	ds_load_b64 v[36:37], v45 offset:2592
	ds_load_b64 v[38:39], v47
	s_wait_dscnt 0x0
	v_pk_mul_f32 v[94:95], v[38:39], v[36:37] op_sel:[1,1] op_sel_hi:[0,1]
	s_delay_alu instid0(VALU_DEP_1) | instskip(SKIP_1) | instid1(VALU_DEP_2)
	v_pk_fma_f32 v[96:97], v[38:39], v[36:37], v[94:95] op_sel_hi:[1,0,1]
	v_pk_fma_f32 v[36:37], v[38:39], v[36:37], v[94:95] neg_lo:[0,0,1] neg_hi:[0,0,1]
	v_mov_b32_e32 v37, v97
	s_delay_alu instid0(VALU_DEP_1)
	v_pk_add_f32 v[34:35], v[34:35], v[36:37]
.LBB59_117:                             ;   in Loop: Header=BB59_3 Depth=1
	s_or_b32 exec_lo, exec_lo, s57
	s_barrier_signal -1
	s_barrier_wait -1
	s_and_saveexec_b32 s57, s103
	s_cbranch_execz .LBB59_119
; %bb.118:                              ;   in Loop: Header=BB59_3 Depth=1
	ds_load_b64 v[36:37], v5 offset:3120
	s_wait_dscnt 0x0
	v_pk_mul_f32 v[38:39], v[34:35], v[36:37] op_sel:[1,1] op_sel_hi:[1,0]
	s_delay_alu instid0(VALU_DEP_1) | instskip(SKIP_1) | instid1(VALU_DEP_2)
	v_pk_fma_f32 v[94:95], v[34:35], v[36:37], v[38:39] op_sel_hi:[0,1,1]
	v_pk_fma_f32 v[36:37], v[34:35], v[36:37], v[38:39] neg_lo:[0,0,1] neg_hi:[0,0,1]
	v_mov_b32_e32 v37, v95
	s_delay_alu instid0(VALU_DEP_1)
	v_mov_b64_e32 v[34:35], v[36:37]
	ds_store_b64 v47, v[36:37]
.LBB59_119:                             ;   in Loop: Header=BB59_3 Depth=1
	s_or_b32 exec_lo, exec_lo, s57
	s_wait_dscnt 0x0
	s_barrier_signal -1
	s_barrier_wait -1
	s_and_saveexec_b32 s57, s104
	s_cbranch_execz .LBB59_121
; %bb.120:                              ;   in Loop: Header=BB59_3 Depth=1
	ds_load_b64 v[36:37], v5 offset:3128
	ds_load_b64 v[38:39], v47
	s_wait_dscnt 0x0
	v_pk_mul_f32 v[94:95], v[38:39], v[36:37] op_sel:[1,1] op_sel_hi:[0,1]
	s_delay_alu instid0(VALU_DEP_1) | instskip(SKIP_1) | instid1(VALU_DEP_2)
	v_pk_fma_f32 v[96:97], v[38:39], v[36:37], v[94:95] op_sel_hi:[1,0,1]
	v_pk_fma_f32 v[36:37], v[38:39], v[36:37], v[94:95] neg_lo:[0,0,1] neg_hi:[0,0,1]
	v_mov_b32_e32 v37, v97
	s_delay_alu instid0(VALU_DEP_1)
	v_pk_add_f32 v[34:35], v[34:35], v[36:37]
.LBB59_121:                             ;   in Loop: Header=BB59_3 Depth=1
	s_or_b32 exec_lo, exec_lo, s57
	s_barrier_signal -1
	s_barrier_wait -1
	s_and_saveexec_b32 s57, s104
	s_cbranch_execz .LBB59_123
; %bb.122:                              ;   in Loop: Header=BB59_3 Depth=1
	ds_load_b64 v[36:37], v5 offset:3640
	s_wait_dscnt 0x0
	v_pk_mul_f32 v[38:39], v[34:35], v[36:37] op_sel:[1,1] op_sel_hi:[1,0]
	s_delay_alu instid0(VALU_DEP_1) | instskip(SKIP_1) | instid1(VALU_DEP_2)
	v_pk_fma_f32 v[94:95], v[34:35], v[36:37], v[38:39] op_sel_hi:[0,1,1]
	v_pk_fma_f32 v[36:37], v[34:35], v[36:37], v[38:39] neg_lo:[0,0,1] neg_hi:[0,0,1]
	v_mov_b32_e32 v37, v95
	s_delay_alu instid0(VALU_DEP_1)
	v_mov_b64_e32 v[34:35], v[36:37]
	ds_store_b64 v47, v[36:37]
.LBB59_123:                             ;   in Loop: Header=BB59_3 Depth=1
	s_or_b32 exec_lo, exec_lo, s57
	s_wait_dscnt 0x0
	s_barrier_signal -1
	s_barrier_wait -1
	s_barrier_signal -1
	s_barrier_wait -1
	s_and_saveexec_b32 s57, s2
; %bb.124:                              ;   in Loop: Header=BB59_3 Depth=1
	v_pk_add_f32 v[34:35], v[34:35], 0 neg_lo:[1,1] neg_hi:[1,1]
	ds_store_b64 v48, v[34:35] offset:32
; %bb.125:                              ;   in Loop: Header=BB59_3 Depth=1
	s_or_b32 exec_lo, exec_lo, s57
	s_wait_dscnt 0x0
	s_barrier_signal -1
	s_barrier_wait -1
	s_barrier_signal -1
	s_barrier_wait -1
	s_and_saveexec_b32 s57, vcc_hi
	s_cbranch_execz .LBB59_127
; %bb.126:                              ;   in Loop: Header=BB59_3 Depth=1
	ds_load_b64 v[34:35], v52 offset:32
	s_wait_dscnt 0x0
	ds_store_b64 v53, v[34:35] offset:2048
	ds_load_b64 v[34:35], v52 offset:40
	s_wait_dscnt 0x0
	ds_store_b64 v53, v[34:35] offset:2560
	;; [unrolled: 3-line block ×4, first 2 shown]
.LBB59_127:                             ;   in Loop: Header=BB59_3 Depth=1
	s_or_b32 exec_lo, exec_lo, s57
	s_wait_dscnt 0x0
	s_barrier_signal -1
	s_barrier_wait -1
	s_and_saveexec_b32 s57, s14
	s_cbranch_execz .LBB59_129
; %bb.128:                              ;   in Loop: Header=BB59_3 Depth=1
	ds_load_b128 v[34:37], v5 offset:2080
	ds_load_b64 v[38:39], v5 offset:2600
	s_wait_dscnt 0x1
	v_dual_mov_b32 v96, v37 :: v_dual_mov_b32 v97, v36
	s_wait_dscnt 0x0
	v_dual_mul_f32 v95, v39, v35 :: v_dual_mul_f32 v94, v38, v35
	s_delay_alu instid0(VALU_DEP_1) | instskip(NEXT) | instid1(VALU_DEP_2)
	v_xor_b32_e32 v98, 0x80000000, v95
	v_fmac_f32_e32 v94, v39, v34
	s_delay_alu instid0(VALU_DEP_2) | instskip(NEXT) | instid1(VALU_DEP_2)
	v_fmac_f32_e32 v98, v38, v34
	v_pk_mul_f32 v[34:35], v[94:95], v[96:97] op_sel_hi:[0,1]
	s_delay_alu instid0(VALU_DEP_1) | instskip(SKIP_2) | instid1(VALU_DEP_3)
	v_pk_fma_f32 v[38:39], v[98:99], v[36:37], v[34:35] op_sel_hi:[0,1,1]
	v_pk_fma_f32 v[34:35], v[98:99], v[36:37], v[34:35] neg_lo:[0,0,1] neg_hi:[0,0,1]
	v_add_nc_u32_e64 v36, 0x800, 0
	v_mov_b32_e32 v35, v39
	ds_store_2addr_b64 v36, v[34:35], v[34:35] offset0:5 offset1:68
.LBB59_129:                             ;   in Loop: Header=BB59_3 Depth=1
	s_or_b32 exec_lo, exec_lo, s57
	v_mov_b32_e32 v35, 0
	s_wait_dscnt 0x0
	s_barrier_signal -1
	s_barrier_wait -1
	s_delay_alu instid0(VALU_DEP_1)
	v_mov_b32_e32 v34, v35
	s_and_saveexec_b32 s57, s0
	s_cbranch_execz .LBB59_133
; %bb.130:                              ;   in Loop: Header=BB59_3 Depth=1
	ds_load_b64 v[34:35], v41 offset:2096
	ds_load_b64 v[36:37], v42 offset:2080
	s_wait_dscnt 0x0
	v_dual_mul_f32 v38, v37, v35 :: v_dual_mul_f32 v39, v36, v35
	s_delay_alu instid0(VALU_DEP_1) | instskip(NEXT) | instid1(VALU_DEP_1)
	v_dual_fma_f32 v38, v36, v34, -v38 :: v_dual_fmac_f32 v39, v37, v34
	v_pk_add_f32 v[34:35], v[38:39], 0 op_sel_hi:[1,0]
	s_and_saveexec_b32 s58, s15
	s_cbranch_execz .LBB59_132
; %bb.131:                              ;   in Loop: Header=BB59_3 Depth=1
	ds_load_b64 v[36:37], v53 offset:2608
	ds_load_b64 v[38:39], v5 offset:2088
	s_wait_dscnt 0x0
	v_pk_mul_f32 v[94:95], v[38:39], v[36:37] op_sel:[1,1] op_sel_hi:[0,1]
	s_delay_alu instid0(VALU_DEP_1) | instskip(SKIP_1) | instid1(VALU_DEP_2)
	v_pk_fma_f32 v[96:97], v[38:39], v[36:37], v[94:95] op_sel_hi:[1,0,1]
	v_pk_fma_f32 v[36:37], v[38:39], v[36:37], v[94:95] neg_lo:[0,0,1] neg_hi:[0,0,1]
	v_mov_b32_e32 v37, v97
	s_delay_alu instid0(VALU_DEP_1)
	v_pk_add_f32 v[34:35], v[34:35], v[36:37]
.LBB59_132:                             ;   in Loop: Header=BB59_3 Depth=1
	s_or_b32 exec_lo, exec_lo, s58
	s_delay_alu instid0(VALU_DEP_1)
	v_pk_add_f32 v[34:35], v[34:35], 0 neg_lo:[1,1] neg_hi:[1,1]
.LBB59_133:                             ;   in Loop: Header=BB59_3 Depth=1
	s_or_b32 exec_lo, exec_lo, s57
	s_and_saveexec_b32 s57, s96
	s_cbranch_execz .LBB59_135
; %bb.134:                              ;   in Loop: Header=BB59_3 Depth=1
	ds_load_b64 v[36:37], v5 offset:3120
	s_wait_dscnt 0x0
	v_pk_mul_f32 v[38:39], v[34:35], v[36:37] op_sel:[1,1] op_sel_hi:[1,0]
	s_delay_alu instid0(VALU_DEP_1) | instskip(SKIP_1) | instid1(VALU_DEP_2)
	v_pk_fma_f32 v[94:95], v[34:35], v[36:37], v[38:39] op_sel_hi:[0,1,1]
	v_pk_fma_f32 v[36:37], v[34:35], v[36:37], v[38:39] neg_lo:[0,0,1] neg_hi:[0,0,1]
	v_mov_b32_e32 v37, v95
	s_delay_alu instid0(VALU_DEP_1)
	v_mov_b64_e32 v[34:35], v[36:37]
	ds_store_b64 v3, v[36:37]
.LBB59_135:                             ;   in Loop: Header=BB59_3 Depth=1
	s_or_b32 exec_lo, exec_lo, s57
	s_wait_dscnt 0x0
	s_barrier_signal -1
	s_barrier_wait -1
	s_and_saveexec_b32 s57, s97
	s_cbranch_execz .LBB59_137
; %bb.136:                              ;   in Loop: Header=BB59_3 Depth=1
	ds_load_b64 v[36:37], v5 offset:3128
	ds_load_b64 v[38:39], v3
	s_wait_dscnt 0x0
	v_pk_mul_f32 v[94:95], v[38:39], v[36:37] op_sel:[1,1] op_sel_hi:[0,1]
	s_delay_alu instid0(VALU_DEP_1) | instskip(SKIP_1) | instid1(VALU_DEP_2)
	v_pk_fma_f32 v[96:97], v[38:39], v[36:37], v[94:95] op_sel_hi:[1,0,1]
	v_pk_fma_f32 v[36:37], v[38:39], v[36:37], v[94:95] neg_lo:[0,0,1] neg_hi:[0,0,1]
	v_mov_b32_e32 v37, v97
	s_delay_alu instid0(VALU_DEP_1)
	v_pk_add_f32 v[34:35], v[34:35], v[36:37]
.LBB59_137:                             ;   in Loop: Header=BB59_3 Depth=1
	s_or_b32 exec_lo, exec_lo, s57
	s_barrier_signal -1
	s_barrier_wait -1
	s_and_saveexec_b32 s57, s97
	s_cbranch_execz .LBB59_139
; %bb.138:                              ;   in Loop: Header=BB59_3 Depth=1
	ds_load_b64 v[36:37], v5 offset:3640
	s_wait_dscnt 0x0
	v_pk_mul_f32 v[38:39], v[34:35], v[36:37] op_sel:[1,1] op_sel_hi:[1,0]
	s_delay_alu instid0(VALU_DEP_1) | instskip(SKIP_1) | instid1(VALU_DEP_2)
	v_pk_fma_f32 v[94:95], v[34:35], v[36:37], v[38:39] op_sel_hi:[0,1,1]
	v_pk_fma_f32 v[36:37], v[34:35], v[36:37], v[38:39] neg_lo:[0,0,1] neg_hi:[0,0,1]
	v_mov_b32_e32 v37, v95
	s_delay_alu instid0(VALU_DEP_1)
	v_mov_b64_e32 v[34:35], v[36:37]
	ds_store_b64 v3, v[36:37]
.LBB59_139:                             ;   in Loop: Header=BB59_3 Depth=1
	s_or_b32 exec_lo, exec_lo, s57
	s_wait_dscnt 0x0
	s_barrier_signal -1
	s_barrier_wait -1
	s_barrier_signal -1
	s_barrier_wait -1
	s_and_saveexec_b32 s57, s0
; %bb.140:                              ;   in Loop: Header=BB59_3 Depth=1
	v_pk_add_f32 v[34:35], v[34:35], 0 neg_lo:[1,1] neg_hi:[1,1]
	ds_store_b64 v41, v[34:35] offset:2096
; %bb.141:                              ;   in Loop: Header=BB59_3 Depth=1
	s_or_b32 exec_lo, exec_lo, s57
	s_wait_dscnt 0x0
	s_barrier_signal -1
	s_barrier_wait -1
	s_barrier_signal -1
	s_barrier_wait -1
	s_and_saveexec_b32 s57, s98
	s_cbranch_execz .LBB59_143
; %bb.142:                              ;   in Loop: Header=BB59_3 Depth=1
	ds_load_b64 v[34:35], v55 offset:2096
	s_wait_dscnt 0x0
	ds_store_b64 v53, v[34:35] offset:3104
	ds_load_b64 v[34:35], v55 offset:2104
	s_wait_dscnt 0x0
	ds_store_b64 v53, v[34:35] offset:3616
.LBB59_143:                             ;   in Loop: Header=BB59_3 Depth=1
	s_or_b32 exec_lo, exec_lo, s57
	s_wait_dscnt 0x0
	s_barrier_signal -1
	s_barrier_wait -1
	s_and_saveexec_b32 s57, s14
	s_cbranch_execz .LBB59_145
; %bb.144:                              ;   in Loop: Header=BB59_3 Depth=1
	ds_load_b128 v[34:37], v5 offset:3120
	ds_load_b64 v[38:39], v5 offset:3640
	s_wait_dscnt 0x1
	v_dual_mov_b32 v96, v37 :: v_dual_mov_b32 v97, v36
	s_wait_dscnt 0x0
	v_dual_mul_f32 v95, v39, v35 :: v_dual_mul_f32 v94, v38, v35
	s_delay_alu instid0(VALU_DEP_1) | instskip(NEXT) | instid1(VALU_DEP_2)
	v_xor_b32_e32 v98, 0x80000000, v95
	v_fmac_f32_e32 v94, v39, v34
	s_delay_alu instid0(VALU_DEP_2) | instskip(NEXT) | instid1(VALU_DEP_2)
	v_fmac_f32_e32 v98, v38, v34
	v_pk_mul_f32 v[34:35], v[94:95], v[96:97] op_sel_hi:[0,1]
	s_delay_alu instid0(VALU_DEP_1) | instskip(SKIP_2) | instid1(VALU_DEP_3)
	v_pk_fma_f32 v[38:39], v[98:99], v[36:37], v[34:35] op_sel_hi:[0,1,1]
	v_pk_fma_f32 v[34:35], v[98:99], v[36:37], v[34:35] neg_lo:[0,0,1] neg_hi:[0,0,1]
	v_add_nc_u32_e64 v36, 0x800, 0
	v_mov_b32_e32 v35, v39
	ds_store_2addr_b64 v36, v[34:35], v[34:35] offset0:135 offset1:198
.LBB59_145:                             ;   in Loop: Header=BB59_3 Depth=1
	s_or_b32 exec_lo, exec_lo, s57
	v_mov_b32_e32 v34, 0
	s_wait_dscnt 0x0
	s_barrier_signal -1
	s_barrier_wait -1
	s_delay_alu instid0(VALU_DEP_1)
	v_mov_b32_e32 v35, v34
	s_and_saveexec_b32 s66, s3
	s_cbranch_execz .LBB59_155
; %bb.146:                              ;   in Loop: Header=BB59_3 Depth=1
	ds_load_b64 v[34:35], v58 offset:64
	ds_load_b64 v[36:37], v54
	s_wait_dscnt 0x0
	v_dual_mul_f32 v38, v37, v35 :: v_dual_mul_f32 v39, v36, v35
	s_delay_alu instid0(VALU_DEP_1) | instskip(NEXT) | instid1(VALU_DEP_1)
	v_dual_fma_f32 v35, v36, v34, -v38 :: v_dual_fmac_f32 v39, v37, v34
	v_add_f32_e32 v35, 0, v35
	s_delay_alu instid0(VALU_DEP_2)
	v_add_f32_e32 v34, 0, v39
	s_and_saveexec_b32 s57, s18
	s_cbranch_execnz .LBB59_1112
; %bb.147:                              ;   in Loop: Header=BB59_3 Depth=1
	s_or_b32 exec_lo, exec_lo, s57
	s_and_saveexec_b32 s57, s19
	s_cbranch_execnz .LBB59_1113
.LBB59_148:                             ;   in Loop: Header=BB59_3 Depth=1
	s_or_b32 exec_lo, exec_lo, s57
	s_and_saveexec_b32 s57, s20
	s_cbranch_execnz .LBB59_1114
.LBB59_149:                             ;   in Loop: Header=BB59_3 Depth=1
	s_or_b32 exec_lo, exec_lo, s57
	s_and_saveexec_b32 s57, s21
	s_cbranch_execnz .LBB59_1115
.LBB59_150:                             ;   in Loop: Header=BB59_3 Depth=1
	s_or_b32 exec_lo, exec_lo, s57
	s_and_saveexec_b32 s57, s22
	s_cbranch_execnz .LBB59_1116
.LBB59_151:                             ;   in Loop: Header=BB59_3 Depth=1
	s_or_b32 exec_lo, exec_lo, s57
	s_and_saveexec_b32 s57, s2
	s_cbranch_execnz .LBB59_1117
.LBB59_152:                             ;   in Loop: Header=BB59_3 Depth=1
	s_or_b32 exec_lo, exec_lo, s57
	s_and_saveexec_b32 s57, s17
	s_cbranch_execz .LBB59_154
.LBB59_153:                             ;   in Loop: Header=BB59_3 Depth=1
	ds_load_b64 v[36:37], v68 offset:3648
	ds_load_b64 v[38:39], v5 offset:56
	s_wait_dscnt 0x0
	v_pk_mul_f32 v[94:95], v[38:39], v[36:37] op_sel:[0,1]
	s_delay_alu instid0(VALU_DEP_1) | instskip(SKIP_1) | instid1(VALU_DEP_2)
	v_pk_fma_f32 v[96:97], v[38:39], v[36:37], v[94:95] op_sel:[1,0,0] op_sel_hi:[0,0,1] neg_lo:[0,0,1] neg_hi:[0,0,1]
	v_pk_fma_f32 v[36:37], v[38:39], v[36:37], v[94:95] op_sel:[1,0,0] op_sel_hi:[0,1,1]
	v_mov_b32_e32 v37, v97
	s_delay_alu instid0(VALU_DEP_1)
	v_pk_add_f32 v[34:35], v[34:35], v[36:37]
.LBB59_154:                             ;   in Loop: Header=BB59_3 Depth=1
	s_or_b32 exec_lo, exec_lo, s57
	s_delay_alu instid0(VALU_DEP_1) | instskip(NEXT) | instid1(VALU_DEP_1)
	v_pk_add_f32 v[36:37], v[34:35], 0 neg_lo:[1,1] neg_hi:[1,1]
	v_dual_mov_b32 v34, v37 :: v_dual_mov_b32 v35, v36
.LBB59_155:                             ;   in Loop: Header=BB59_3 Depth=1
	s_or_b32 exec_lo, exec_lo, s66
	s_and_saveexec_b32 s57, s39
	s_cbranch_execz .LBB59_157
; %bb.156:                              ;   in Loop: Header=BB59_3 Depth=1
	ds_load_b64 v[36:37], v5 offset:4160
	v_dual_mov_b32 v38, v35 :: v_dual_mov_b32 v39, v34
	s_wait_dscnt 0x0
	s_delay_alu instid0(VALU_DEP_1) | instskip(NEXT) | instid1(VALU_DEP_1)
	v_dual_mul_f32 v94, v38, v36 :: v_dual_mul_f32 v96, v35, v37
	v_pk_fma_f32 v[38:39], v[38:39], v[36:37], v[94:95] op_sel_hi:[1,1,0]
	s_delay_alu instid0(VALU_DEP_2) | instskip(NEXT) | instid1(VALU_DEP_2)
	v_pk_fma_f32 v[34:35], v[34:35], v[36:37], v[96:97] op_sel_hi:[1,1,0] neg_lo:[0,0,1] neg_hi:[0,0,1]
	v_mov_b32_e32 v35, v39
	ds_store_b64 v57, v[34:35]
.LBB59_157:                             ;   in Loop: Header=BB59_3 Depth=1
	s_or_b32 exec_lo, exec_lo, s57
	s_wait_dscnt 0x0
	s_barrier_signal -1
	s_barrier_wait -1
	s_and_saveexec_b32 s57, s40
	s_cbranch_execz .LBB59_159
; %bb.158:                              ;   in Loop: Header=BB59_3 Depth=1
	ds_load_b64 v[36:37], v56 offset:4160
	ds_load_b64 v[38:39], v57
	s_wait_dscnt 0x0
	v_dual_mul_f32 v94, v39, v37 :: v_dual_mul_f32 v95, v38, v37
	s_delay_alu instid0(VALU_DEP_1) | instskip(NEXT) | instid1(VALU_DEP_1)
	v_dual_fma_f32 v94, v38, v36, -v94 :: v_dual_fmac_f32 v95, v39, v36
	v_pk_add_f32 v[34:35], v[34:35], v[94:95]
.LBB59_159:                             ;   in Loop: Header=BB59_3 Depth=1
	s_or_b32 exec_lo, exec_lo, s57
	s_barrier_signal -1
	s_barrier_wait -1
	s_and_saveexec_b32 s57, s41
	s_cbranch_execz .LBB59_161
; %bb.160:                              ;   in Loop: Header=BB59_3 Depth=1
	ds_load_b64 v[36:37], v5 offset:4680
	s_wait_dscnt 0x0
	v_pk_mul_f32 v[38:39], v[34:35], v[36:37] op_sel:[1,1] op_sel_hi:[1,0]
	s_delay_alu instid0(VALU_DEP_1) | instskip(SKIP_1) | instid1(VALU_DEP_2)
	v_pk_fma_f32 v[94:95], v[34:35], v[36:37], v[38:39] op_sel_hi:[0,1,1]
	v_pk_fma_f32 v[34:35], v[34:35], v[36:37], v[38:39] op_sel_hi:[0,1,1] neg_lo:[0,0,1] neg_hi:[0,0,1]
	v_mov_b32_e32 v35, v95
	ds_store_b64 v57, v[34:35]
.LBB59_161:                             ;   in Loop: Header=BB59_3 Depth=1
	s_or_b32 exec_lo, exec_lo, s57
	s_wait_dscnt 0x0
	s_barrier_signal -1
	s_barrier_wait -1
	s_and_saveexec_b32 s57, s42
	s_cbranch_execz .LBB59_163
; %bb.162:                              ;   in Loop: Header=BB59_3 Depth=1
	ds_load_b64 v[36:37], v56 offset:4672
	ds_load_b64 v[38:39], v57
	s_wait_dscnt 0x0
	v_pk_mul_f32 v[94:95], v[38:39], v[36:37] op_sel:[1,1] op_sel_hi:[0,1]
	s_delay_alu instid0(VALU_DEP_1) | instskip(SKIP_1) | instid1(VALU_DEP_2)
	v_pk_fma_f32 v[96:97], v[38:39], v[36:37], v[94:95] op_sel_hi:[1,0,1]
	v_pk_fma_f32 v[36:37], v[38:39], v[36:37], v[94:95] op_sel_hi:[1,0,1] neg_lo:[0,0,1] neg_hi:[0,0,1]
	v_mov_b32_e32 v37, v97
	s_delay_alu instid0(VALU_DEP_1)
	v_pk_add_f32 v[34:35], v[34:35], v[36:37]
.LBB59_163:                             ;   in Loop: Header=BB59_3 Depth=1
	s_or_b32 exec_lo, exec_lo, s57
	s_barrier_signal -1
	s_barrier_wait -1
	s_and_saveexec_b32 s57, s43
	s_cbranch_execz .LBB59_165
; %bb.164:                              ;   in Loop: Header=BB59_3 Depth=1
	ds_load_b64 v[36:37], v5 offset:5200
	s_wait_dscnt 0x0
	v_pk_mul_f32 v[38:39], v[34:35], v[36:37] op_sel:[1,1] op_sel_hi:[1,0]
	s_delay_alu instid0(VALU_DEP_1) | instskip(SKIP_1) | instid1(VALU_DEP_2)
	v_pk_fma_f32 v[94:95], v[34:35], v[36:37], v[38:39] op_sel_hi:[0,1,1]
	v_pk_fma_f32 v[34:35], v[34:35], v[36:37], v[38:39] op_sel_hi:[0,1,1] neg_lo:[0,0,1] neg_hi:[0,0,1]
	v_mov_b32_e32 v35, v95
	ds_store_b64 v57, v[34:35]
.LBB59_165:                             ;   in Loop: Header=BB59_3 Depth=1
	s_or_b32 exec_lo, exec_lo, s57
	s_wait_dscnt 0x0
	s_barrier_signal -1
	s_barrier_wait -1
	s_and_saveexec_b32 s57, s44
	s_cbranch_execz .LBB59_167
; %bb.166:                              ;   in Loop: Header=BB59_3 Depth=1
	ds_load_b64 v[36:37], v56 offset:5184
	ds_load_b64 v[38:39], v57
	s_wait_dscnt 0x0
	v_pk_mul_f32 v[94:95], v[38:39], v[36:37] op_sel:[1,1] op_sel_hi:[0,1]
	s_delay_alu instid0(VALU_DEP_1) | instskip(SKIP_1) | instid1(VALU_DEP_2)
	v_pk_fma_f32 v[96:97], v[38:39], v[36:37], v[94:95] op_sel_hi:[1,0,1]
	v_pk_fma_f32 v[36:37], v[38:39], v[36:37], v[94:95] op_sel_hi:[1,0,1] neg_lo:[0,0,1] neg_hi:[0,0,1]
	v_mov_b32_e32 v37, v97
	s_delay_alu instid0(VALU_DEP_1)
	v_pk_add_f32 v[34:35], v[34:35], v[36:37]
.LBB59_167:                             ;   in Loop: Header=BB59_3 Depth=1
	;; [unrolled: 33-line block ×3, first 2 shown]
	s_or_b32 exec_lo, exec_lo, s57
	s_barrier_signal -1
	s_barrier_wait -1
	s_and_saveexec_b32 s57, s47
	s_cbranch_execz .LBB59_173
; %bb.172:                              ;   in Loop: Header=BB59_3 Depth=1
	ds_load_b64 v[36:37], v5 offset:6240
	s_wait_dscnt 0x0
	v_dual_mul_f32 v38, v34, v37 :: v_dual_mul_f32 v94, v35, v37
	s_delay_alu instid0(VALU_DEP_1) | instskip(NEXT) | instid1(VALU_DEP_2)
	v_pk_fma_f32 v[38:39], v[34:35], v[36:37], v[38:39] op_sel:[0,1,0] op_sel_hi:[1,0,0]
	v_pk_fma_f32 v[36:37], v[34:35], v[36:37], v[94:95] op_sel_hi:[1,1,0] neg_lo:[0,0,1] neg_hi:[0,0,1]
	s_delay_alu instid0(VALU_DEP_2) | instskip(NEXT) | instid1(VALU_DEP_1)
	v_mov_b32_e32 v37, v39
	v_mov_b64_e32 v[34:35], v[36:37]
	ds_store_b64 v57, v[36:37]
.LBB59_173:                             ;   in Loop: Header=BB59_3 Depth=1
	s_or_b32 exec_lo, exec_lo, s57
	s_wait_dscnt 0x0
	s_barrier_signal -1
	s_barrier_wait -1
	s_and_saveexec_b32 s57, s48
	s_cbranch_execz .LBB59_175
; %bb.174:                              ;   in Loop: Header=BB59_3 Depth=1
	ds_load_b64 v[36:37], v56 offset:6208
	ds_load_b64 v[38:39], v57
	s_wait_dscnt 0x0
	v_dual_mul_f32 v94, v39, v37 :: v_dual_mul_f32 v95, v38, v37
	s_delay_alu instid0(VALU_DEP_1) | instskip(NEXT) | instid1(VALU_DEP_1)
	v_dual_fma_f32 v94, v38, v36, -v94 :: v_dual_fmac_f32 v95, v39, v36
	v_pk_add_f32 v[34:35], v[34:35], v[94:95]
.LBB59_175:                             ;   in Loop: Header=BB59_3 Depth=1
	s_or_b32 exec_lo, exec_lo, s57
	s_barrier_signal -1
	s_barrier_wait -1
	s_and_saveexec_b32 s57, s49
	s_cbranch_execz .LBB59_177
; %bb.176:                              ;   in Loop: Header=BB59_3 Depth=1
	ds_load_b64 v[36:37], v5 offset:6760
	s_wait_dscnt 0x0
	v_pk_mul_f32 v[38:39], v[34:35], v[36:37] op_sel:[1,1] op_sel_hi:[1,0]
	s_delay_alu instid0(VALU_DEP_1) | instskip(SKIP_1) | instid1(VALU_DEP_2)
	v_pk_fma_f32 v[94:95], v[34:35], v[36:37], v[38:39] op_sel_hi:[0,1,1]
	v_pk_fma_f32 v[36:37], v[34:35], v[36:37], v[38:39] neg_lo:[0,0,1] neg_hi:[0,0,1]
	v_mov_b32_e32 v37, v95
	s_delay_alu instid0(VALU_DEP_1)
	v_mov_b64_e32 v[34:35], v[36:37]
	ds_store_b64 v57, v[36:37]
.LBB59_177:                             ;   in Loop: Header=BB59_3 Depth=1
	s_or_b32 exec_lo, exec_lo, s57
	s_wait_dscnt 0x0
	s_barrier_signal -1
	s_barrier_wait -1
	s_and_saveexec_b32 s57, s50
	s_cbranch_execz .LBB59_179
; %bb.178:                              ;   in Loop: Header=BB59_3 Depth=1
	ds_load_b64 v[36:37], v56 offset:6720
	ds_load_b64 v[38:39], v57
	s_wait_dscnt 0x0
	v_pk_mul_f32 v[94:95], v[38:39], v[36:37] op_sel:[1,1] op_sel_hi:[0,1]
	s_delay_alu instid0(VALU_DEP_1) | instskip(SKIP_1) | instid1(VALU_DEP_2)
	v_pk_fma_f32 v[96:97], v[38:39], v[36:37], v[94:95] op_sel_hi:[1,0,1]
	v_pk_fma_f32 v[36:37], v[38:39], v[36:37], v[94:95] neg_lo:[0,0,1] neg_hi:[0,0,1]
	v_mov_b32_e32 v37, v97
	s_delay_alu instid0(VALU_DEP_1)
	v_pk_add_f32 v[34:35], v[34:35], v[36:37]
.LBB59_179:                             ;   in Loop: Header=BB59_3 Depth=1
	s_or_b32 exec_lo, exec_lo, s57
	s_barrier_signal -1
	s_barrier_wait -1
	s_and_saveexec_b32 s57, s51
	s_cbranch_execz .LBB59_181
; %bb.180:                              ;   in Loop: Header=BB59_3 Depth=1
	ds_load_b64 v[36:37], v5 offset:7280
	s_wait_dscnt 0x0
	v_pk_mul_f32 v[38:39], v[34:35], v[36:37] op_sel:[1,1] op_sel_hi:[1,0]
	s_delay_alu instid0(VALU_DEP_1) | instskip(SKIP_1) | instid1(VALU_DEP_2)
	v_pk_fma_f32 v[94:95], v[34:35], v[36:37], v[38:39] op_sel_hi:[0,1,1]
	v_pk_fma_f32 v[36:37], v[34:35], v[36:37], v[38:39] neg_lo:[0,0,1] neg_hi:[0,0,1]
	v_mov_b32_e32 v37, v95
	s_delay_alu instid0(VALU_DEP_1)
	v_mov_b64_e32 v[34:35], v[36:37]
	ds_store_b64 v57, v[36:37]
.LBB59_181:                             ;   in Loop: Header=BB59_3 Depth=1
	s_or_b32 exec_lo, exec_lo, s57
	s_wait_dscnt 0x0
	s_barrier_signal -1
	s_barrier_wait -1
	s_and_saveexec_b32 s57, s52
	s_cbranch_execz .LBB59_183
; %bb.182:                              ;   in Loop: Header=BB59_3 Depth=1
	ds_load_b64 v[36:37], v5 offset:7288
	ds_load_b64 v[38:39], v57
	s_wait_dscnt 0x0
	v_pk_mul_f32 v[94:95], v[38:39], v[36:37] op_sel:[1,1] op_sel_hi:[0,1]
	s_delay_alu instid0(VALU_DEP_1) | instskip(SKIP_1) | instid1(VALU_DEP_2)
	v_pk_fma_f32 v[96:97], v[38:39], v[36:37], v[94:95] op_sel_hi:[1,0,1]
	v_pk_fma_f32 v[36:37], v[38:39], v[36:37], v[94:95] neg_lo:[0,0,1] neg_hi:[0,0,1]
	v_mov_b32_e32 v37, v97
	s_delay_alu instid0(VALU_DEP_1)
	v_pk_add_f32 v[34:35], v[34:35], v[36:37]
.LBB59_183:                             ;   in Loop: Header=BB59_3 Depth=1
	s_or_b32 exec_lo, exec_lo, s57
	s_barrier_signal -1
	s_barrier_wait -1
	s_and_saveexec_b32 s57, s52
	s_cbranch_execz .LBB59_185
; %bb.184:                              ;   in Loop: Header=BB59_3 Depth=1
	ds_load_b64 v[36:37], v5 offset:7800
	s_wait_dscnt 0x0
	v_pk_mul_f32 v[38:39], v[34:35], v[36:37] op_sel:[1,1] op_sel_hi:[1,0]
	s_delay_alu instid0(VALU_DEP_1) | instskip(SKIP_1) | instid1(VALU_DEP_2)
	v_pk_fma_f32 v[94:95], v[34:35], v[36:37], v[38:39] op_sel_hi:[0,1,1]
	v_pk_fma_f32 v[36:37], v[34:35], v[36:37], v[38:39] neg_lo:[0,0,1] neg_hi:[0,0,1]
	v_mov_b32_e32 v37, v95
	s_delay_alu instid0(VALU_DEP_1)
	v_mov_b64_e32 v[34:35], v[36:37]
	ds_store_b64 v57, v[36:37]
.LBB59_185:                             ;   in Loop: Header=BB59_3 Depth=1
	s_or_b32 exec_lo, exec_lo, s57
	s_wait_dscnt 0x0
	s_barrier_signal -1
	s_barrier_wait -1
	s_barrier_signal -1
	s_barrier_wait -1
	s_and_saveexec_b32 s57, s3
; %bb.186:                              ;   in Loop: Header=BB59_3 Depth=1
	v_pk_add_f32 v[34:35], v[34:35], 0 neg_lo:[1,1] neg_hi:[1,1]
	ds_store_b64 v58, v[34:35] offset:64
; %bb.187:                              ;   in Loop: Header=BB59_3 Depth=1
	s_or_b32 exec_lo, exec_lo, s57
	s_wait_dscnt 0x0
	s_barrier_signal -1
	s_barrier_wait -1
	s_barrier_signal -1
	s_barrier_wait -1
	s_and_saveexec_b32 s57, s53
	s_cbranch_execz .LBB59_189
; %bb.188:                              ;   in Loop: Header=BB59_3 Depth=1
	ds_load_b64 v[34:35], v69 offset:64
	s_wait_dscnt 0x0
	ds_store_b64 v70, v[34:35] offset:4096
	ds_load_b64 v[34:35], v69 offset:72
	s_wait_dscnt 0x0
	ds_store_b64 v70, v[34:35] offset:4608
	;; [unrolled: 3-line block ×8, first 2 shown]
.LBB59_189:                             ;   in Loop: Header=BB59_3 Depth=1
	s_or_b32 exec_lo, exec_lo, s57
	s_wait_dscnt 0x0
	s_barrier_signal -1
	s_barrier_wait -1
	s_and_saveexec_b32 s57, s14
	s_cbranch_execz .LBB59_191
; %bb.190:                              ;   in Loop: Header=BB59_3 Depth=1
	ds_load_b128 v[34:37], v5 offset:4160
	ds_load_b64 v[38:39], v5 offset:4680
	s_wait_dscnt 0x1
	v_dual_mov_b32 v96, v37 :: v_dual_mov_b32 v97, v36
	s_wait_dscnt 0x0
	v_dual_mul_f32 v95, v39, v35 :: v_dual_mul_f32 v94, v38, v35
	s_delay_alu instid0(VALU_DEP_1) | instskip(NEXT) | instid1(VALU_DEP_2)
	v_xor_b32_e32 v98, 0x80000000, v95
	v_fmac_f32_e32 v94, v39, v34
	s_delay_alu instid0(VALU_DEP_2) | instskip(NEXT) | instid1(VALU_DEP_2)
	v_fmac_f32_e32 v98, v38, v34
	v_pk_mul_f32 v[34:35], v[94:95], v[96:97] op_sel_hi:[0,1]
	s_delay_alu instid0(VALU_DEP_1) | instskip(SKIP_2) | instid1(VALU_DEP_3)
	v_pk_fma_f32 v[38:39], v[98:99], v[36:37], v[34:35] op_sel_hi:[0,1,1]
	v_pk_fma_f32 v[34:35], v[98:99], v[36:37], v[34:35] neg_lo:[0,0,1] neg_hi:[0,0,1]
	v_add_nc_u32_e64 v36, 0x1000, 0
	v_mov_b32_e32 v35, v39
	ds_store_2addr_b64 v36, v[34:35], v[34:35] offset0:9 offset1:72
.LBB59_191:                             ;   in Loop: Header=BB59_3 Depth=1
	s_or_b32 exec_lo, exec_lo, s57
	v_mov_b32_e32 v35, 0
	s_wait_dscnt 0x0
	s_barrier_signal -1
	s_barrier_wait -1
	s_delay_alu instid0(VALU_DEP_1)
	v_mov_b32_e32 v34, v35
	s_and_saveexec_b32 s57, s0
	s_cbranch_execz .LBB59_195
; %bb.192:                              ;   in Loop: Header=BB59_3 Depth=1
	ds_load_b64 v[34:35], v41 offset:4176
	ds_load_b64 v[36:37], v42 offset:4160
	s_wait_dscnt 0x0
	v_dual_mul_f32 v38, v37, v35 :: v_dual_mul_f32 v39, v36, v35
	s_delay_alu instid0(VALU_DEP_1) | instskip(NEXT) | instid1(VALU_DEP_1)
	v_dual_fma_f32 v38, v36, v34, -v38 :: v_dual_fmac_f32 v39, v37, v34
	v_pk_add_f32 v[34:35], v[38:39], 0 op_sel_hi:[1,0]
	s_and_saveexec_b32 s58, s15
	s_cbranch_execz .LBB59_194
; %bb.193:                              ;   in Loop: Header=BB59_3 Depth=1
	ds_load_b64 v[36:37], v70 offset:4688
	ds_load_b64 v[38:39], v5 offset:4168
	s_wait_dscnt 0x0
	v_pk_mul_f32 v[94:95], v[38:39], v[36:37] op_sel:[1,1] op_sel_hi:[0,1]
	s_delay_alu instid0(VALU_DEP_1) | instskip(SKIP_1) | instid1(VALU_DEP_2)
	v_pk_fma_f32 v[96:97], v[38:39], v[36:37], v[94:95] op_sel_hi:[1,0,1]
	v_pk_fma_f32 v[36:37], v[38:39], v[36:37], v[94:95] neg_lo:[0,0,1] neg_hi:[0,0,1]
	v_mov_b32_e32 v37, v97
	s_delay_alu instid0(VALU_DEP_1)
	v_pk_add_f32 v[34:35], v[34:35], v[36:37]
.LBB59_194:                             ;   in Loop: Header=BB59_3 Depth=1
	s_or_b32 exec_lo, exec_lo, s58
	s_delay_alu instid0(VALU_DEP_1)
	v_pk_add_f32 v[34:35], v[34:35], 0 neg_lo:[1,1] neg_hi:[1,1]
.LBB59_195:                             ;   in Loop: Header=BB59_3 Depth=1
	s_or_b32 exec_lo, exec_lo, s57
	s_and_saveexec_b32 s57, s96
	s_cbranch_execz .LBB59_197
; %bb.196:                              ;   in Loop: Header=BB59_3 Depth=1
	ds_load_b64 v[36:37], v5 offset:5200
	s_wait_dscnt 0x0
	v_pk_mul_f32 v[38:39], v[34:35], v[36:37] op_sel:[1,1] op_sel_hi:[1,0]
	s_delay_alu instid0(VALU_DEP_1) | instskip(SKIP_1) | instid1(VALU_DEP_2)
	v_pk_fma_f32 v[94:95], v[34:35], v[36:37], v[38:39] op_sel_hi:[0,1,1]
	v_pk_fma_f32 v[36:37], v[34:35], v[36:37], v[38:39] neg_lo:[0,0,1] neg_hi:[0,0,1]
	v_mov_b32_e32 v37, v95
	s_delay_alu instid0(VALU_DEP_1)
	v_mov_b64_e32 v[34:35], v[36:37]
	ds_store_b64 v3, v[36:37]
.LBB59_197:                             ;   in Loop: Header=BB59_3 Depth=1
	s_or_b32 exec_lo, exec_lo, s57
	s_wait_dscnt 0x0
	s_barrier_signal -1
	s_barrier_wait -1
	s_and_saveexec_b32 s57, s97
	s_cbranch_execz .LBB59_199
; %bb.198:                              ;   in Loop: Header=BB59_3 Depth=1
	ds_load_b64 v[36:37], v5 offset:5208
	ds_load_b64 v[38:39], v3
	s_wait_dscnt 0x0
	v_pk_mul_f32 v[94:95], v[38:39], v[36:37] op_sel:[1,1] op_sel_hi:[0,1]
	s_delay_alu instid0(VALU_DEP_1) | instskip(SKIP_1) | instid1(VALU_DEP_2)
	v_pk_fma_f32 v[96:97], v[38:39], v[36:37], v[94:95] op_sel_hi:[1,0,1]
	v_pk_fma_f32 v[36:37], v[38:39], v[36:37], v[94:95] neg_lo:[0,0,1] neg_hi:[0,0,1]
	v_mov_b32_e32 v37, v97
	s_delay_alu instid0(VALU_DEP_1)
	v_pk_add_f32 v[34:35], v[34:35], v[36:37]
.LBB59_199:                             ;   in Loop: Header=BB59_3 Depth=1
	s_or_b32 exec_lo, exec_lo, s57
	s_barrier_signal -1
	s_barrier_wait -1
	s_and_saveexec_b32 s57, s97
	s_cbranch_execz .LBB59_201
; %bb.200:                              ;   in Loop: Header=BB59_3 Depth=1
	ds_load_b64 v[36:37], v5 offset:5720
	s_wait_dscnt 0x0
	v_pk_mul_f32 v[38:39], v[34:35], v[36:37] op_sel:[1,1] op_sel_hi:[1,0]
	s_delay_alu instid0(VALU_DEP_1) | instskip(SKIP_1) | instid1(VALU_DEP_2)
	v_pk_fma_f32 v[94:95], v[34:35], v[36:37], v[38:39] op_sel_hi:[0,1,1]
	v_pk_fma_f32 v[36:37], v[34:35], v[36:37], v[38:39] neg_lo:[0,0,1] neg_hi:[0,0,1]
	v_mov_b32_e32 v37, v95
	s_delay_alu instid0(VALU_DEP_1)
	v_mov_b64_e32 v[34:35], v[36:37]
	ds_store_b64 v3, v[36:37]
.LBB59_201:                             ;   in Loop: Header=BB59_3 Depth=1
	s_or_b32 exec_lo, exec_lo, s57
	s_wait_dscnt 0x0
	s_barrier_signal -1
	s_barrier_wait -1
	s_barrier_signal -1
	s_barrier_wait -1
	s_and_saveexec_b32 s57, s0
; %bb.202:                              ;   in Loop: Header=BB59_3 Depth=1
	v_pk_add_f32 v[34:35], v[34:35], 0 neg_lo:[1,1] neg_hi:[1,1]
	ds_store_b64 v41, v[34:35] offset:4176
; %bb.203:                              ;   in Loop: Header=BB59_3 Depth=1
	s_or_b32 exec_lo, exec_lo, s57
	s_wait_dscnt 0x0
	s_barrier_signal -1
	s_barrier_wait -1
	s_barrier_signal -1
	s_barrier_wait -1
	s_and_saveexec_b32 s57, s98
	s_cbranch_execz .LBB59_205
; %bb.204:                              ;   in Loop: Header=BB59_3 Depth=1
	ds_load_b64 v[34:35], v71 offset:4176
	s_wait_dscnt 0x0
	ds_store_b64 v70, v[34:35] offset:5184
	ds_load_b64 v[34:35], v71 offset:4184
	s_wait_dscnt 0x0
	ds_store_b64 v70, v[34:35] offset:5696
.LBB59_205:                             ;   in Loop: Header=BB59_3 Depth=1
	s_or_b32 exec_lo, exec_lo, s57
	s_wait_dscnt 0x0
	s_barrier_signal -1
	s_barrier_wait -1
	s_and_saveexec_b32 s57, s14
	s_cbranch_execz .LBB59_207
; %bb.206:                              ;   in Loop: Header=BB59_3 Depth=1
	ds_load_b128 v[34:37], v5 offset:5200
	ds_load_b64 v[38:39], v5 offset:5720
	s_wait_dscnt 0x1
	v_dual_mov_b32 v96, v37 :: v_dual_mov_b32 v97, v36
	s_wait_dscnt 0x0
	v_dual_mul_f32 v95, v39, v35 :: v_dual_mul_f32 v94, v38, v35
	s_delay_alu instid0(VALU_DEP_1) | instskip(NEXT) | instid1(VALU_DEP_2)
	v_xor_b32_e32 v98, 0x80000000, v95
	v_fmac_f32_e32 v94, v39, v34
	s_delay_alu instid0(VALU_DEP_2) | instskip(NEXT) | instid1(VALU_DEP_2)
	v_fmac_f32_e32 v98, v38, v34
	v_pk_mul_f32 v[34:35], v[94:95], v[96:97] op_sel_hi:[0,1]
	s_delay_alu instid0(VALU_DEP_1) | instskip(SKIP_2) | instid1(VALU_DEP_3)
	v_pk_fma_f32 v[38:39], v[98:99], v[36:37], v[34:35] op_sel_hi:[0,1,1]
	v_pk_fma_f32 v[34:35], v[98:99], v[36:37], v[34:35] neg_lo:[0,0,1] neg_hi:[0,0,1]
	v_add_nc_u32_e64 v36, 0x1000, 0
	v_mov_b32_e32 v35, v39
	ds_store_2addr_b64 v36, v[34:35], v[34:35] offset0:139 offset1:202
.LBB59_207:                             ;   in Loop: Header=BB59_3 Depth=1
	s_or_b32 exec_lo, exec_lo, s57
	v_mov_b32_e32 v34, 0
	s_wait_dscnt 0x0
	s_barrier_signal -1
	s_barrier_wait -1
	s_delay_alu instid0(VALU_DEP_1)
	v_mov_b32_e32 v35, v34
	s_and_saveexec_b32 s66, s2
	s_cbranch_execz .LBB59_213
; %bb.208:                              ;   in Loop: Header=BB59_3 Depth=1
	ds_load_b64 v[34:35], v48 offset:4192
	ds_load_b64 v[36:37], v44 offset:4160
	s_wait_dscnt 0x0
	v_pk_mul_f32 v[38:39], v[36:37], v[34:35] op_sel:[0,1]
	s_delay_alu instid0(VALU_DEP_1) | instskip(SKIP_1) | instid1(VALU_DEP_2)
	v_pk_fma_f32 v[94:95], v[36:37], v[34:35], v[38:39] op_sel:[1,0,0] op_sel_hi:[0,0,1] neg_lo:[0,0,1] neg_hi:[0,0,1]
	v_pk_fma_f32 v[34:35], v[36:37], v[34:35], v[38:39] op_sel:[1,0,0] op_sel_hi:[0,1,1]
	v_mov_b32_e32 v35, v95
	s_delay_alu instid0(VALU_DEP_1)
	v_pk_add_f32 v[34:35], v[34:35], 0 op_sel_hi:[1,0]
	s_and_saveexec_b32 s57, s16
	s_cbranch_execnz .LBB59_1118
; %bb.209:                              ;   in Loop: Header=BB59_3 Depth=1
	s_or_b32 exec_lo, exec_lo, s57
	s_and_saveexec_b32 s57, s17
	s_cbranch_execnz .LBB59_1119
.LBB59_210:                             ;   in Loop: Header=BB59_3 Depth=1
	s_or_b32 exec_lo, exec_lo, s57
	s_and_saveexec_b32 s57, s0
	s_cbranch_execz .LBB59_212
.LBB59_211:                             ;   in Loop: Header=BB59_3 Depth=1
	ds_load_b64 v[36:37], v72 offset:5728
	ds_load_b64 v[38:39], v5 offset:4184
	s_wait_dscnt 0x0
	v_pk_mul_f32 v[94:95], v[38:39], v[36:37] op_sel:[0,1]
	s_delay_alu instid0(VALU_DEP_1) | instskip(SKIP_1) | instid1(VALU_DEP_2)
	v_pk_fma_f32 v[96:97], v[38:39], v[36:37], v[94:95] op_sel:[1,0,0] op_sel_hi:[0,0,1] neg_lo:[0,0,1] neg_hi:[0,0,1]
	v_pk_fma_f32 v[36:37], v[38:39], v[36:37], v[94:95] op_sel:[1,0,0] op_sel_hi:[0,1,1]
	v_mov_b32_e32 v37, v97
	s_delay_alu instid0(VALU_DEP_1)
	v_pk_add_f32 v[34:35], v[34:35], v[36:37]
.LBB59_212:                             ;   in Loop: Header=BB59_3 Depth=1
	s_or_b32 exec_lo, exec_lo, s57
	s_delay_alu instid0(VALU_DEP_1) | instskip(NEXT) | instid1(VALU_DEP_1)
	v_pk_add_f32 v[36:37], v[34:35], 0 neg_lo:[1,1] neg_hi:[1,1]
	v_dual_mov_b32 v34, v37 :: v_dual_mov_b32 v35, v36
.LBB59_213:                             ;   in Loop: Header=BB59_3 Depth=1
	s_or_b32 exec_lo, exec_lo, s66
	s_and_saveexec_b32 s57, s99
	s_cbranch_execz .LBB59_215
; %bb.214:                              ;   in Loop: Header=BB59_3 Depth=1
	ds_load_b64 v[36:37], v5 offset:6240
	v_dual_mov_b32 v38, v35 :: v_dual_mov_b32 v39, v34
	s_wait_dscnt 0x0
	s_delay_alu instid0(VALU_DEP_1) | instskip(NEXT) | instid1(VALU_DEP_1)
	v_dual_mul_f32 v94, v38, v36 :: v_dual_mul_f32 v96, v35, v37
	v_pk_fma_f32 v[38:39], v[38:39], v[36:37], v[94:95] op_sel_hi:[1,1,0]
	s_delay_alu instid0(VALU_DEP_2) | instskip(NEXT) | instid1(VALU_DEP_2)
	v_pk_fma_f32 v[34:35], v[34:35], v[36:37], v[96:97] op_sel_hi:[1,1,0] neg_lo:[0,0,1] neg_hi:[0,0,1]
	v_mov_b32_e32 v35, v39
	ds_store_b64 v47, v[34:35]
.LBB59_215:                             ;   in Loop: Header=BB59_3 Depth=1
	s_or_b32 exec_lo, exec_lo, s57
	s_wait_dscnt 0x0
	s_barrier_signal -1
	s_barrier_wait -1
	s_and_saveexec_b32 s57, s100
	s_cbranch_execz .LBB59_217
; %bb.216:                              ;   in Loop: Header=BB59_3 Depth=1
	ds_load_b64 v[36:37], v45 offset:6240
	ds_load_b64 v[38:39], v47
	s_wait_dscnt 0x0
	v_dual_mul_f32 v94, v39, v37 :: v_dual_mul_f32 v95, v38, v37
	s_delay_alu instid0(VALU_DEP_1) | instskip(NEXT) | instid1(VALU_DEP_1)
	v_dual_fma_f32 v94, v38, v36, -v94 :: v_dual_fmac_f32 v95, v39, v36
	v_pk_add_f32 v[34:35], v[34:35], v[94:95]
.LBB59_217:                             ;   in Loop: Header=BB59_3 Depth=1
	s_or_b32 exec_lo, exec_lo, s57
	s_barrier_signal -1
	s_barrier_wait -1
	s_and_saveexec_b32 s57, s101
	s_cbranch_execz .LBB59_219
; %bb.218:                              ;   in Loop: Header=BB59_3 Depth=1
	ds_load_b64 v[36:37], v5 offset:6760
	s_wait_dscnt 0x0
	v_pk_mul_f32 v[38:39], v[34:35], v[36:37] op_sel:[1,1] op_sel_hi:[1,0]
	s_delay_alu instid0(VALU_DEP_1) | instskip(SKIP_1) | instid1(VALU_DEP_2)
	v_pk_fma_f32 v[94:95], v[34:35], v[36:37], v[38:39] op_sel_hi:[0,1,1]
	v_pk_fma_f32 v[36:37], v[34:35], v[36:37], v[38:39] neg_lo:[0,0,1] neg_hi:[0,0,1]
	v_mov_b32_e32 v37, v95
	s_delay_alu instid0(VALU_DEP_1)
	v_mov_b64_e32 v[34:35], v[36:37]
	ds_store_b64 v47, v[36:37]
.LBB59_219:                             ;   in Loop: Header=BB59_3 Depth=1
	s_or_b32 exec_lo, exec_lo, s57
	s_wait_dscnt 0x0
	s_barrier_signal -1
	s_barrier_wait -1
	s_and_saveexec_b32 s57, s102
	s_cbranch_execz .LBB59_221
; %bb.220:                              ;   in Loop: Header=BB59_3 Depth=1
	ds_load_b64 v[36:37], v45 offset:6752
	ds_load_b64 v[38:39], v47
	s_wait_dscnt 0x0
	v_pk_mul_f32 v[94:95], v[38:39], v[36:37] op_sel:[1,1] op_sel_hi:[0,1]
	s_delay_alu instid0(VALU_DEP_1) | instskip(SKIP_1) | instid1(VALU_DEP_2)
	v_pk_fma_f32 v[96:97], v[38:39], v[36:37], v[94:95] op_sel_hi:[1,0,1]
	v_pk_fma_f32 v[36:37], v[38:39], v[36:37], v[94:95] neg_lo:[0,0,1] neg_hi:[0,0,1]
	v_mov_b32_e32 v37, v97
	s_delay_alu instid0(VALU_DEP_1)
	v_pk_add_f32 v[34:35], v[34:35], v[36:37]
.LBB59_221:                             ;   in Loop: Header=BB59_3 Depth=1
	s_or_b32 exec_lo, exec_lo, s57
	s_barrier_signal -1
	s_barrier_wait -1
	s_and_saveexec_b32 s57, s103
	s_cbranch_execz .LBB59_223
; %bb.222:                              ;   in Loop: Header=BB59_3 Depth=1
	ds_load_b64 v[36:37], v5 offset:7280
	s_wait_dscnt 0x0
	v_pk_mul_f32 v[38:39], v[34:35], v[36:37] op_sel:[1,1] op_sel_hi:[1,0]
	s_delay_alu instid0(VALU_DEP_1) | instskip(SKIP_1) | instid1(VALU_DEP_2)
	v_pk_fma_f32 v[94:95], v[34:35], v[36:37], v[38:39] op_sel_hi:[0,1,1]
	v_pk_fma_f32 v[36:37], v[34:35], v[36:37], v[38:39] neg_lo:[0,0,1] neg_hi:[0,0,1]
	v_mov_b32_e32 v37, v95
	s_delay_alu instid0(VALU_DEP_1)
	v_mov_b64_e32 v[34:35], v[36:37]
	ds_store_b64 v47, v[36:37]
.LBB59_223:                             ;   in Loop: Header=BB59_3 Depth=1
	s_or_b32 exec_lo, exec_lo, s57
	s_wait_dscnt 0x0
	s_barrier_signal -1
	s_barrier_wait -1
	s_and_saveexec_b32 s57, s104
	s_cbranch_execz .LBB59_225
; %bb.224:                              ;   in Loop: Header=BB59_3 Depth=1
	ds_load_b64 v[36:37], v5 offset:7288
	ds_load_b64 v[38:39], v47
	s_wait_dscnt 0x0
	v_pk_mul_f32 v[94:95], v[38:39], v[36:37] op_sel:[1,1] op_sel_hi:[0,1]
	s_delay_alu instid0(VALU_DEP_1) | instskip(SKIP_1) | instid1(VALU_DEP_2)
	v_pk_fma_f32 v[96:97], v[38:39], v[36:37], v[94:95] op_sel_hi:[1,0,1]
	v_pk_fma_f32 v[36:37], v[38:39], v[36:37], v[94:95] neg_lo:[0,0,1] neg_hi:[0,0,1]
	v_mov_b32_e32 v37, v97
	s_delay_alu instid0(VALU_DEP_1)
	v_pk_add_f32 v[34:35], v[34:35], v[36:37]
.LBB59_225:                             ;   in Loop: Header=BB59_3 Depth=1
	s_or_b32 exec_lo, exec_lo, s57
	s_barrier_signal -1
	s_barrier_wait -1
	s_and_saveexec_b32 s57, s104
	s_cbranch_execz .LBB59_227
; %bb.226:                              ;   in Loop: Header=BB59_3 Depth=1
	ds_load_b64 v[36:37], v5 offset:7800
	s_wait_dscnt 0x0
	v_pk_mul_f32 v[38:39], v[34:35], v[36:37] op_sel:[1,1] op_sel_hi:[1,0]
	s_delay_alu instid0(VALU_DEP_1) | instskip(SKIP_1) | instid1(VALU_DEP_2)
	v_pk_fma_f32 v[94:95], v[34:35], v[36:37], v[38:39] op_sel_hi:[0,1,1]
	v_pk_fma_f32 v[36:37], v[34:35], v[36:37], v[38:39] neg_lo:[0,0,1] neg_hi:[0,0,1]
	v_mov_b32_e32 v37, v95
	s_delay_alu instid0(VALU_DEP_1)
	v_mov_b64_e32 v[34:35], v[36:37]
	ds_store_b64 v47, v[36:37]
.LBB59_227:                             ;   in Loop: Header=BB59_3 Depth=1
	s_or_b32 exec_lo, exec_lo, s57
	s_wait_dscnt 0x0
	s_barrier_signal -1
	s_barrier_wait -1
	s_barrier_signal -1
	s_barrier_wait -1
	s_and_saveexec_b32 s57, s2
; %bb.228:                              ;   in Loop: Header=BB59_3 Depth=1
	v_pk_add_f32 v[34:35], v[34:35], 0 neg_lo:[1,1] neg_hi:[1,1]
	ds_store_b64 v48, v[34:35] offset:4192
; %bb.229:                              ;   in Loop: Header=BB59_3 Depth=1
	s_or_b32 exec_lo, exec_lo, s57
	s_wait_dscnt 0x0
	s_barrier_signal -1
	s_barrier_wait -1
	s_barrier_signal -1
	s_barrier_wait -1
	s_and_saveexec_b32 s57, vcc_hi
	s_cbranch_execz .LBB59_231
; %bb.230:                              ;   in Loop: Header=BB59_3 Depth=1
	ds_load_b64 v[34:35], v75 offset:4192
	s_wait_dscnt 0x0
	ds_store_b64 v78, v[34:35] offset:6208
	ds_load_b64 v[34:35], v75 offset:4200
	s_wait_dscnt 0x0
	ds_store_b64 v78, v[34:35] offset:6720
	;; [unrolled: 3-line block ×4, first 2 shown]
.LBB59_231:                             ;   in Loop: Header=BB59_3 Depth=1
	s_or_b32 exec_lo, exec_lo, s57
	s_wait_dscnt 0x0
	s_barrier_signal -1
	s_barrier_wait -1
	s_and_saveexec_b32 s57, s14
	s_cbranch_execz .LBB59_233
; %bb.232:                              ;   in Loop: Header=BB59_3 Depth=1
	ds_load_b128 v[34:37], v5 offset:6240
	ds_load_b64 v[38:39], v5 offset:6760
	s_wait_dscnt 0x1
	v_dual_mov_b32 v96, v37 :: v_dual_mov_b32 v97, v36
	s_wait_dscnt 0x0
	v_dual_mul_f32 v95, v39, v35 :: v_dual_mul_f32 v94, v38, v35
	s_delay_alu instid0(VALU_DEP_1) | instskip(NEXT) | instid1(VALU_DEP_2)
	v_xor_b32_e32 v98, 0x80000000, v95
	v_fmac_f32_e32 v94, v39, v34
	s_delay_alu instid0(VALU_DEP_2) | instskip(NEXT) | instid1(VALU_DEP_2)
	v_fmac_f32_e32 v98, v38, v34
	v_pk_mul_f32 v[34:35], v[94:95], v[96:97] op_sel_hi:[0,1]
	s_delay_alu instid0(VALU_DEP_1) | instskip(SKIP_2) | instid1(VALU_DEP_3)
	v_pk_fma_f32 v[38:39], v[98:99], v[36:37], v[34:35] op_sel_hi:[0,1,1]
	v_pk_fma_f32 v[34:35], v[98:99], v[36:37], v[34:35] neg_lo:[0,0,1] neg_hi:[0,0,1]
	v_add_nc_u32_e64 v36, 0x1800, 0
	v_mov_b32_e32 v35, v39
	ds_store_2addr_b64 v36, v[34:35], v[34:35] offset0:13 offset1:76
.LBB59_233:                             ;   in Loop: Header=BB59_3 Depth=1
	s_or_b32 exec_lo, exec_lo, s57
	v_mov_b32_e32 v35, 0
	s_wait_dscnt 0x0
	s_barrier_signal -1
	s_barrier_wait -1
	s_delay_alu instid0(VALU_DEP_1)
	v_mov_b32_e32 v34, v35
	s_and_saveexec_b32 s57, s0
	s_cbranch_execz .LBB59_237
; %bb.234:                              ;   in Loop: Header=BB59_3 Depth=1
	ds_load_b64 v[34:35], v41 offset:6256
	ds_load_b64 v[36:37], v42 offset:6240
	s_wait_dscnt 0x0
	v_dual_mul_f32 v38, v37, v35 :: v_dual_mul_f32 v39, v36, v35
	s_delay_alu instid0(VALU_DEP_1) | instskip(NEXT) | instid1(VALU_DEP_1)
	v_dual_fma_f32 v38, v36, v34, -v38 :: v_dual_fmac_f32 v39, v37, v34
	v_pk_add_f32 v[34:35], v[38:39], 0 op_sel_hi:[1,0]
	s_and_saveexec_b32 s58, s15
	s_cbranch_execz .LBB59_236
; %bb.235:                              ;   in Loop: Header=BB59_3 Depth=1
	ds_load_b64 v[36:37], v78 offset:6768
	ds_load_b64 v[38:39], v5 offset:6248
	s_wait_dscnt 0x0
	v_pk_mul_f32 v[94:95], v[38:39], v[36:37] op_sel:[1,1] op_sel_hi:[0,1]
	s_delay_alu instid0(VALU_DEP_1) | instskip(SKIP_1) | instid1(VALU_DEP_2)
	v_pk_fma_f32 v[96:97], v[38:39], v[36:37], v[94:95] op_sel_hi:[1,0,1]
	v_pk_fma_f32 v[36:37], v[38:39], v[36:37], v[94:95] neg_lo:[0,0,1] neg_hi:[0,0,1]
	v_mov_b32_e32 v37, v97
	s_delay_alu instid0(VALU_DEP_1)
	v_pk_add_f32 v[34:35], v[34:35], v[36:37]
.LBB59_236:                             ;   in Loop: Header=BB59_3 Depth=1
	s_or_b32 exec_lo, exec_lo, s58
	s_delay_alu instid0(VALU_DEP_1)
	v_pk_add_f32 v[34:35], v[34:35], 0 neg_lo:[1,1] neg_hi:[1,1]
.LBB59_237:                             ;   in Loop: Header=BB59_3 Depth=1
	s_or_b32 exec_lo, exec_lo, s57
	s_and_saveexec_b32 s57, s96
	s_cbranch_execz .LBB59_239
; %bb.238:                              ;   in Loop: Header=BB59_3 Depth=1
	ds_load_b64 v[36:37], v5 offset:7280
	s_wait_dscnt 0x0
	v_pk_mul_f32 v[38:39], v[34:35], v[36:37] op_sel:[1,1] op_sel_hi:[1,0]
	s_delay_alu instid0(VALU_DEP_1) | instskip(SKIP_1) | instid1(VALU_DEP_2)
	v_pk_fma_f32 v[94:95], v[34:35], v[36:37], v[38:39] op_sel_hi:[0,1,1]
	v_pk_fma_f32 v[36:37], v[34:35], v[36:37], v[38:39] neg_lo:[0,0,1] neg_hi:[0,0,1]
	v_mov_b32_e32 v37, v95
	s_delay_alu instid0(VALU_DEP_1)
	v_mov_b64_e32 v[34:35], v[36:37]
	ds_store_b64 v3, v[36:37]
.LBB59_239:                             ;   in Loop: Header=BB59_3 Depth=1
	s_or_b32 exec_lo, exec_lo, s57
	s_wait_dscnt 0x0
	s_barrier_signal -1
	s_barrier_wait -1
	s_and_saveexec_b32 s57, s97
	s_cbranch_execz .LBB59_241
; %bb.240:                              ;   in Loop: Header=BB59_3 Depth=1
	ds_load_b64 v[36:37], v5 offset:7288
	ds_load_b64 v[38:39], v3
	s_wait_dscnt 0x0
	v_pk_mul_f32 v[94:95], v[38:39], v[36:37] op_sel:[1,1] op_sel_hi:[0,1]
	s_delay_alu instid0(VALU_DEP_1) | instskip(SKIP_1) | instid1(VALU_DEP_2)
	v_pk_fma_f32 v[96:97], v[38:39], v[36:37], v[94:95] op_sel_hi:[1,0,1]
	v_pk_fma_f32 v[36:37], v[38:39], v[36:37], v[94:95] neg_lo:[0,0,1] neg_hi:[0,0,1]
	v_mov_b32_e32 v37, v97
	s_delay_alu instid0(VALU_DEP_1)
	v_pk_add_f32 v[34:35], v[34:35], v[36:37]
.LBB59_241:                             ;   in Loop: Header=BB59_3 Depth=1
	s_or_b32 exec_lo, exec_lo, s57
	s_barrier_signal -1
	s_barrier_wait -1
	s_and_saveexec_b32 s57, s97
	s_cbranch_execz .LBB59_243
; %bb.242:                              ;   in Loop: Header=BB59_3 Depth=1
	ds_load_b64 v[36:37], v5 offset:7800
	s_wait_dscnt 0x0
	v_pk_mul_f32 v[38:39], v[34:35], v[36:37] op_sel:[1,1] op_sel_hi:[1,0]
	s_delay_alu instid0(VALU_DEP_1) | instskip(SKIP_1) | instid1(VALU_DEP_2)
	v_pk_fma_f32 v[94:95], v[34:35], v[36:37], v[38:39] op_sel_hi:[0,1,1]
	v_pk_fma_f32 v[36:37], v[34:35], v[36:37], v[38:39] neg_lo:[0,0,1] neg_hi:[0,0,1]
	v_mov_b32_e32 v37, v95
	s_delay_alu instid0(VALU_DEP_1)
	v_mov_b64_e32 v[34:35], v[36:37]
	ds_store_b64 v3, v[36:37]
.LBB59_243:                             ;   in Loop: Header=BB59_3 Depth=1
	s_or_b32 exec_lo, exec_lo, s57
	s_wait_dscnt 0x0
	s_barrier_signal -1
	s_barrier_wait -1
	s_barrier_signal -1
	s_barrier_wait -1
	s_and_saveexec_b32 s57, s0
; %bb.244:                              ;   in Loop: Header=BB59_3 Depth=1
	v_pk_add_f32 v[34:35], v[34:35], 0 neg_lo:[1,1] neg_hi:[1,1]
	ds_store_b64 v41, v[34:35] offset:6256
; %bb.245:                              ;   in Loop: Header=BB59_3 Depth=1
	s_or_b32 exec_lo, exec_lo, s57
	s_wait_dscnt 0x0
	s_barrier_signal -1
	s_barrier_wait -1
	s_barrier_signal -1
	s_barrier_wait -1
	s_and_saveexec_b32 s57, s98
	s_cbranch_execz .LBB59_247
; %bb.246:                              ;   in Loop: Header=BB59_3 Depth=1
	ds_load_b64 v[34:35], v79 offset:6256
	s_wait_dscnt 0x0
	ds_store_b64 v78, v[34:35] offset:7264
	ds_load_b64 v[34:35], v79 offset:6264
	s_wait_dscnt 0x0
	ds_store_b64 v78, v[34:35] offset:7776
.LBB59_247:                             ;   in Loop: Header=BB59_3 Depth=1
	s_or_b32 exec_lo, exec_lo, s57
	s_wait_dscnt 0x0
	s_barrier_signal -1
	s_barrier_wait -1
	s_and_saveexec_b32 s57, s14
	s_cbranch_execz .LBB59_249
; %bb.248:                              ;   in Loop: Header=BB59_3 Depth=1
	ds_load_b128 v[34:37], v5 offset:7280
	ds_load_b64 v[38:39], v5 offset:7800
	s_wait_dscnt 0x1
	v_dual_mov_b32 v96, v37 :: v_dual_mov_b32 v97, v36
	s_wait_dscnt 0x0
	v_dual_mul_f32 v95, v39, v35 :: v_dual_mul_f32 v94, v38, v35
	s_delay_alu instid0(VALU_DEP_1) | instskip(NEXT) | instid1(VALU_DEP_2)
	v_xor_b32_e32 v98, 0x80000000, v95
	v_fmac_f32_e32 v94, v39, v34
	s_delay_alu instid0(VALU_DEP_2) | instskip(NEXT) | instid1(VALU_DEP_2)
	v_fmac_f32_e32 v98, v38, v34
	v_pk_mul_f32 v[34:35], v[94:95], v[96:97] op_sel_hi:[0,1]
	s_delay_alu instid0(VALU_DEP_1) | instskip(SKIP_2) | instid1(VALU_DEP_3)
	v_pk_fma_f32 v[38:39], v[98:99], v[36:37], v[34:35] op_sel_hi:[0,1,1]
	v_pk_fma_f32 v[34:35], v[98:99], v[36:37], v[34:35] neg_lo:[0,0,1] neg_hi:[0,0,1]
	v_add_nc_u32_e64 v36, 0x1800, 0
	v_mov_b32_e32 v35, v39
	ds_store_2addr_b64 v36, v[34:35], v[34:35] offset0:143 offset1:206
.LBB59_249:                             ;   in Loop: Header=BB59_3 Depth=1
	s_or_b32 exec_lo, exec_lo, s57
	v_mov_b32_e32 v34, 0
	s_wait_dscnt 0x0
	s_barrier_signal -1
	s_barrier_wait -1
	s_delay_alu instid0(VALU_DEP_1)
	v_mov_b32_e32 v35, v34
	s_and_saveexec_b32 s66, s4
	s_cbranch_execz .LBB59_277
; %bb.250:                              ;   in Loop: Header=BB59_3 Depth=1
	ds_load_b64 v[34:35], v63 offset:128
	ds_load_b64 v[36:37], v60
	s_wait_dscnt 0x0
	v_dual_mul_f32 v38, v37, v35 :: v_dual_mul_f32 v39, v36, v35
	s_delay_alu instid0(VALU_DEP_1) | instskip(NEXT) | instid1(VALU_DEP_1)
	v_dual_fma_f32 v35, v36, v34, -v38 :: v_dual_fmac_f32 v39, v37, v34
	v_add_f32_e32 v35, 0, v35
	s_delay_alu instid0(VALU_DEP_2) | instskip(SKIP_3) | instid1(SALU_CYCLE_1)
	v_add_f32_e32 v34, 0, v39
	s_mov_b32 s57, exec_lo
	v_readlane_b32 s58, v104, 29
	s_and_b32 s58, s57, s58
	s_mov_b32 exec_lo, s58
	s_cbranch_execz .LBB59_252
; %bb.251:                              ;   in Loop: Header=BB59_3 Depth=1
	ds_load_b64 v[36:37], v64 offset:640
	ds_load_b64 v[38:39], v60 offset:8
	s_wait_dscnt 0x0
	v_dual_mul_f32 v94, v39, v37 :: v_dual_mul_f32 v37, v38, v37
	s_delay_alu instid0(VALU_DEP_1) | instskip(NEXT) | instid1(VALU_DEP_1)
	v_dual_fma_f32 v38, v38, v36, -v94 :: v_dual_fmac_f32 v37, v39, v36
	v_dual_add_f32 v35, v35, v38 :: v_dual_add_f32 v34, v34, v37
.LBB59_252:                             ;   in Loop: Header=BB59_3 Depth=1
	s_or_b32 exec_lo, exec_lo, s57
	s_delay_alu instid0(SALU_CYCLE_1) | instskip(SKIP_2) | instid1(SALU_CYCLE_1)
	s_mov_b32 s57, exec_lo
	v_readlane_b32 s58, v104, 30
	s_and_b32 s58, s57, s58
	s_mov_b32 exec_lo, s58
	s_cbranch_execz .LBB59_254
; %bb.253:                              ;   in Loop: Header=BB59_3 Depth=1
	ds_load_b64 v[36:37], v64 offset:1152
	ds_load_b64 v[38:39], v60 offset:16
	s_wait_dscnt 0x0
	v_dual_mul_f32 v94, v39, v37 :: v_dual_mul_f32 v37, v38, v37
	s_delay_alu instid0(VALU_DEP_1) | instskip(NEXT) | instid1(VALU_DEP_1)
	v_dual_fma_f32 v38, v38, v36, -v94 :: v_dual_fmac_f32 v37, v39, v36
	v_dual_add_f32 v35, v35, v38 :: v_dual_add_f32 v34, v34, v37
.LBB59_254:                             ;   in Loop: Header=BB59_3 Depth=1
	s_or_b32 exec_lo, exec_lo, s57
	s_delay_alu instid0(SALU_CYCLE_1) | instskip(SKIP_2) | instid1(SALU_CYCLE_1)
	;; [unrolled: 16-line block ×10, first 2 shown]
	s_mov_b32 s57, exec_lo
	v_readlane_b32 s58, v103, 7
	s_and_b32 s58, s57, s58
	s_mov_b32 exec_lo, s58
	s_cbranch_execnz .LBB59_1120
; %bb.271:                              ;   in Loop: Header=BB59_3 Depth=1
	s_or_b32 exec_lo, exec_lo, s57
	s_and_saveexec_b32 s57, s3
	s_cbranch_execnz .LBB59_1121
.LBB59_272:                             ;   in Loop: Header=BB59_3 Depth=1
	s_or_b32 exec_lo, exec_lo, s57
	s_and_saveexec_b32 s57, s19
	s_cbranch_execnz .LBB59_1122
.LBB59_273:                             ;   in Loop: Header=BB59_3 Depth=1
	s_or_b32 exec_lo, exec_lo, s57
	s_and_saveexec_b32 s57, s21
	s_cbranch_execnz .LBB59_1123
.LBB59_274:                             ;   in Loop: Header=BB59_3 Depth=1
	s_or_b32 exec_lo, exec_lo, s57
	s_and_saveexec_b32 s57, s2
	s_cbranch_execz .LBB59_276
.LBB59_275:                             ;   in Loop: Header=BB59_3 Depth=1
	ds_load_b64 v[36:37], v43 offset:7808
	ds_load_b64 v[38:39], v5 offset:120
	s_wait_dscnt 0x0
	v_pk_mul_f32 v[94:95], v[38:39], v[36:37] op_sel:[0,1]
	s_delay_alu instid0(VALU_DEP_1) | instskip(SKIP_1) | instid1(VALU_DEP_2)
	v_pk_fma_f32 v[96:97], v[38:39], v[36:37], v[94:95] op_sel:[1,0,0] op_sel_hi:[0,0,1] neg_lo:[0,0,1] neg_hi:[0,0,1]
	v_pk_fma_f32 v[36:37], v[38:39], v[36:37], v[94:95] op_sel:[1,0,0] op_sel_hi:[0,1,1]
	v_mov_b32_e32 v37, v97
	s_delay_alu instid0(VALU_DEP_1)
	v_pk_add_f32 v[34:35], v[34:35], v[36:37]
.LBB59_276:                             ;   in Loop: Header=BB59_3 Depth=1
	s_or_b32 exec_lo, exec_lo, s57
	s_delay_alu instid0(VALU_DEP_1) | instskip(NEXT) | instid1(VALU_DEP_1)
	v_pk_add_f32 v[36:37], v[34:35], 0 neg_lo:[1,1] neg_hi:[1,1]
	v_dual_mov_b32 v34, v37 :: v_dual_mov_b32 v35, v36
.LBB59_277:                             ;   in Loop: Header=BB59_3 Depth=1
	s_or_b32 exec_lo, exec_lo, s66
	s_delay_alu instid0(SALU_CYCLE_1) | instskip(SKIP_2) | instid1(SALU_CYCLE_1)
	s_mov_b32 s57, exec_lo
	v_readlane_b32 s58, v104, 5
	s_and_b32 s58, s57, s58
	s_mov_b32 exec_lo, s58
	s_cbranch_execz .LBB59_279
; %bb.278:                              ;   in Loop: Header=BB59_3 Depth=1
	ds_load_b64 v[36:37], v5 offset:8320
	v_dual_mov_b32 v38, v35 :: v_dual_mov_b32 v39, v34
	s_wait_dscnt 0x0
	s_delay_alu instid0(VALU_DEP_1) | instskip(NEXT) | instid1(VALU_DEP_1)
	v_dual_mul_f32 v94, v38, v36 :: v_dual_mul_f32 v96, v35, v37
	v_pk_fma_f32 v[38:39], v[38:39], v[36:37], v[94:95] op_sel_hi:[1,1,0]
	s_delay_alu instid0(VALU_DEP_2) | instskip(NEXT) | instid1(VALU_DEP_2)
	v_pk_fma_f32 v[34:35], v[34:35], v[36:37], v[96:97] op_sel_hi:[1,1,0] neg_lo:[0,0,1] neg_hi:[0,0,1]
	v_mov_b32_e32 v35, v39
	ds_store_b64 v62, v[34:35]
.LBB59_279:                             ;   in Loop: Header=BB59_3 Depth=1
	s_or_b32 exec_lo, exec_lo, s57
	s_wait_dscnt 0x0
	s_barrier_signal -1
	s_barrier_wait -1
	s_mov_b32 s57, exec_lo
	v_readlane_b32 s58, v104, 6
	s_and_b32 s58, s57, s58
	s_delay_alu instid0(SALU_CYCLE_1)
	s_mov_b32 exec_lo, s58
	s_cbranch_execz .LBB59_281
; %bb.280:                              ;   in Loop: Header=BB59_3 Depth=1
	ds_load_b64 v[36:37], v61 offset:8320
	ds_load_b64 v[38:39], v62
	s_wait_dscnt 0x0
	v_dual_mul_f32 v94, v39, v37 :: v_dual_mul_f32 v95, v38, v37
	s_delay_alu instid0(VALU_DEP_1) | instskip(NEXT) | instid1(VALU_DEP_1)
	v_dual_fma_f32 v94, v38, v36, -v94 :: v_dual_fmac_f32 v95, v39, v36
	v_pk_add_f32 v[34:35], v[34:35], v[94:95]
.LBB59_281:                             ;   in Loop: Header=BB59_3 Depth=1
	s_or_b32 exec_lo, exec_lo, s57
	s_barrier_signal -1
	s_barrier_wait -1
	s_mov_b32 s57, exec_lo
	v_readlane_b32 s58, v104, 7
	s_and_b32 s58, s57, s58
	s_delay_alu instid0(SALU_CYCLE_1)
	s_mov_b32 exec_lo, s58
	s_cbranch_execz .LBB59_283
; %bb.282:                              ;   in Loop: Header=BB59_3 Depth=1
	ds_load_b64 v[36:37], v5 offset:8840
	s_wait_dscnt 0x0
	v_pk_mul_f32 v[38:39], v[34:35], v[36:37] op_sel:[1,1] op_sel_hi:[1,0]
	s_delay_alu instid0(VALU_DEP_1) | instskip(SKIP_1) | instid1(VALU_DEP_2)
	v_pk_fma_f32 v[94:95], v[34:35], v[36:37], v[38:39] op_sel_hi:[0,1,1]
	v_pk_fma_f32 v[34:35], v[34:35], v[36:37], v[38:39] op_sel_hi:[0,1,1] neg_lo:[0,0,1] neg_hi:[0,0,1]
	v_mov_b32_e32 v35, v95
	ds_store_b64 v62, v[34:35]
.LBB59_283:                             ;   in Loop: Header=BB59_3 Depth=1
	s_or_b32 exec_lo, exec_lo, s57
	s_wait_dscnt 0x0
	s_barrier_signal -1
	s_barrier_wait -1
	s_mov_b32 s57, exec_lo
	v_readlane_b32 s58, v104, 8
	s_and_b32 s58, s57, s58
	s_delay_alu instid0(SALU_CYCLE_1)
	s_mov_b32 exec_lo, s58
	s_cbranch_execz .LBB59_285
; %bb.284:                              ;   in Loop: Header=BB59_3 Depth=1
	ds_load_b64 v[36:37], v61 offset:8832
	ds_load_b64 v[38:39], v62
	s_wait_dscnt 0x0
	v_pk_mul_f32 v[94:95], v[38:39], v[36:37] op_sel:[1,1] op_sel_hi:[0,1]
	s_delay_alu instid0(VALU_DEP_1) | instskip(SKIP_1) | instid1(VALU_DEP_2)
	v_pk_fma_f32 v[96:97], v[38:39], v[36:37], v[94:95] op_sel_hi:[1,0,1]
	v_pk_fma_f32 v[36:37], v[38:39], v[36:37], v[94:95] op_sel_hi:[1,0,1] neg_lo:[0,0,1] neg_hi:[0,0,1]
	v_mov_b32_e32 v37, v97
	s_delay_alu instid0(VALU_DEP_1)
	v_pk_add_f32 v[34:35], v[34:35], v[36:37]
.LBB59_285:                             ;   in Loop: Header=BB59_3 Depth=1
	s_or_b32 exec_lo, exec_lo, s57
	s_barrier_signal -1
	s_barrier_wait -1
	s_mov_b32 s57, exec_lo
	v_readlane_b32 s58, v104, 9
	s_and_b32 s58, s57, s58
	s_delay_alu instid0(SALU_CYCLE_1)
	s_mov_b32 exec_lo, s58
	s_cbranch_execz .LBB59_287
; %bb.286:                              ;   in Loop: Header=BB59_3 Depth=1
	ds_load_b64 v[36:37], v5 offset:9360
	s_wait_dscnt 0x0
	v_pk_mul_f32 v[38:39], v[34:35], v[36:37] op_sel:[1,1] op_sel_hi:[1,0]
	s_delay_alu instid0(VALU_DEP_1) | instskip(SKIP_1) | instid1(VALU_DEP_2)
	v_pk_fma_f32 v[94:95], v[34:35], v[36:37], v[38:39] op_sel_hi:[0,1,1]
	v_pk_fma_f32 v[34:35], v[34:35], v[36:37], v[38:39] op_sel_hi:[0,1,1] neg_lo:[0,0,1] neg_hi:[0,0,1]
	v_mov_b32_e32 v35, v95
	ds_store_b64 v62, v[34:35]
.LBB59_287:                             ;   in Loop: Header=BB59_3 Depth=1
	s_or_b32 exec_lo, exec_lo, s57
	s_wait_dscnt 0x0
	s_barrier_signal -1
	s_barrier_wait -1
	s_mov_b32 s57, exec_lo
	v_readlane_b32 s58, v104, 10
	s_and_b32 s58, s57, s58
	s_delay_alu instid0(SALU_CYCLE_1)
	s_mov_b32 exec_lo, s58
	s_cbranch_execz .LBB59_289
; %bb.288:                              ;   in Loop: Header=BB59_3 Depth=1
	ds_load_b64 v[36:37], v61 offset:9344
	ds_load_b64 v[38:39], v62
	s_wait_dscnt 0x0
	v_pk_mul_f32 v[94:95], v[38:39], v[36:37] op_sel:[1,1] op_sel_hi:[0,1]
	s_delay_alu instid0(VALU_DEP_1) | instskip(SKIP_1) | instid1(VALU_DEP_2)
	v_pk_fma_f32 v[96:97], v[38:39], v[36:37], v[94:95] op_sel_hi:[1,0,1]
	v_pk_fma_f32 v[36:37], v[38:39], v[36:37], v[94:95] op_sel_hi:[1,0,1] neg_lo:[0,0,1] neg_hi:[0,0,1]
	v_mov_b32_e32 v37, v97
	s_delay_alu instid0(VALU_DEP_1)
	v_pk_add_f32 v[34:35], v[34:35], v[36:37]
.LBB59_289:                             ;   in Loop: Header=BB59_3 Depth=1
	s_or_b32 exec_lo, exec_lo, s57
	s_barrier_signal -1
	s_barrier_wait -1
	s_mov_b32 s57, exec_lo
	v_readlane_b32 s58, v104, 11
	s_and_b32 s58, s57, s58
	s_delay_alu instid0(SALU_CYCLE_1)
	s_mov_b32 exec_lo, s58
	s_cbranch_execz .LBB59_291
; %bb.290:                              ;   in Loop: Header=BB59_3 Depth=1
	ds_load_b64 v[36:37], v5 offset:9880
	s_wait_dscnt 0x0
	v_pk_mul_f32 v[38:39], v[34:35], v[36:37] op_sel:[1,1] op_sel_hi:[1,0]
	s_delay_alu instid0(VALU_DEP_1) | instskip(SKIP_1) | instid1(VALU_DEP_2)
	v_pk_fma_f32 v[94:95], v[34:35], v[36:37], v[38:39] op_sel_hi:[0,1,1]
	v_pk_fma_f32 v[34:35], v[34:35], v[36:37], v[38:39] op_sel_hi:[0,1,1] neg_lo:[0,0,1] neg_hi:[0,0,1]
	v_mov_b32_e32 v35, v95
	ds_store_b64 v62, v[34:35]
.LBB59_291:                             ;   in Loop: Header=BB59_3 Depth=1
	s_or_b32 exec_lo, exec_lo, s57
	s_wait_dscnt 0x0
	s_barrier_signal -1
	s_barrier_wait -1
	s_and_saveexec_b32 s57, s61
	s_cbranch_execz .LBB59_293
; %bb.292:                              ;   in Loop: Header=BB59_3 Depth=1
	ds_load_b64 v[36:37], v61 offset:9856
	ds_load_b64 v[38:39], v62
	s_wait_dscnt 0x0
	v_pk_mul_f32 v[94:95], v[38:39], v[36:37] op_sel:[1,1] op_sel_hi:[0,1]
	s_delay_alu instid0(VALU_DEP_1) | instskip(SKIP_1) | instid1(VALU_DEP_2)
	v_pk_fma_f32 v[96:97], v[38:39], v[36:37], v[94:95] op_sel_hi:[1,0,1]
	v_pk_fma_f32 v[36:37], v[38:39], v[36:37], v[94:95] op_sel_hi:[1,0,1] neg_lo:[0,0,1] neg_hi:[0,0,1]
	v_mov_b32_e32 v37, v97
	s_delay_alu instid0(VALU_DEP_1)
	v_pk_add_f32 v[34:35], v[34:35], v[36:37]
.LBB59_293:                             ;   in Loop: Header=BB59_3 Depth=1
	s_or_b32 exec_lo, exec_lo, s57
	s_barrier_signal -1
	s_barrier_wait -1
	s_and_saveexec_b32 s57, s62
	s_cbranch_execz .LBB59_295
; %bb.294:                              ;   in Loop: Header=BB59_3 Depth=1
	ds_load_b64 v[36:37], v5 offset:10400
	s_wait_dscnt 0x0
	v_dual_mul_f32 v38, v34, v37 :: v_dual_mul_f32 v94, v35, v37
	s_delay_alu instid0(VALU_DEP_1) | instskip(NEXT) | instid1(VALU_DEP_2)
	v_pk_fma_f32 v[38:39], v[34:35], v[36:37], v[38:39] op_sel:[0,1,0] op_sel_hi:[1,0,0]
	v_pk_fma_f32 v[36:37], v[34:35], v[36:37], v[94:95] op_sel_hi:[1,1,0] neg_lo:[0,0,1] neg_hi:[0,0,1]
	s_delay_alu instid0(VALU_DEP_2) | instskip(NEXT) | instid1(VALU_DEP_1)
	v_mov_b32_e32 v37, v39
	v_mov_b64_e32 v[34:35], v[36:37]
	ds_store_b64 v62, v[36:37]
.LBB59_295:                             ;   in Loop: Header=BB59_3 Depth=1
	s_or_b32 exec_lo, exec_lo, s57
	s_wait_dscnt 0x0
	s_barrier_signal -1
	s_barrier_wait -1
	s_and_saveexec_b32 s57, s63
	s_cbranch_execz .LBB59_297
; %bb.296:                              ;   in Loop: Header=BB59_3 Depth=1
	ds_load_b64 v[36:37], v61 offset:10368
	ds_load_b64 v[38:39], v62
	s_wait_dscnt 0x0
	v_dual_mul_f32 v94, v39, v37 :: v_dual_mul_f32 v95, v38, v37
	s_delay_alu instid0(VALU_DEP_1) | instskip(NEXT) | instid1(VALU_DEP_1)
	v_dual_fma_f32 v94, v38, v36, -v94 :: v_dual_fmac_f32 v95, v39, v36
	v_pk_add_f32 v[34:35], v[34:35], v[94:95]
.LBB59_297:                             ;   in Loop: Header=BB59_3 Depth=1
	s_or_b32 exec_lo, exec_lo, s57
	s_barrier_signal -1
	s_barrier_wait -1
	s_and_saveexec_b32 s57, s64
	s_cbranch_execz .LBB59_299
; %bb.298:                              ;   in Loop: Header=BB59_3 Depth=1
	ds_load_b64 v[36:37], v5 offset:10920
	s_wait_dscnt 0x0
	v_pk_mul_f32 v[38:39], v[34:35], v[36:37] op_sel:[1,1] op_sel_hi:[1,0]
	s_delay_alu instid0(VALU_DEP_1) | instskip(SKIP_1) | instid1(VALU_DEP_2)
	v_pk_fma_f32 v[94:95], v[34:35], v[36:37], v[38:39] op_sel_hi:[0,1,1]
	v_pk_fma_f32 v[34:35], v[34:35], v[36:37], v[38:39] op_sel_hi:[0,1,1] neg_lo:[0,0,1] neg_hi:[0,0,1]
	v_mov_b32_e32 v35, v95
	ds_store_b64 v62, v[34:35]
.LBB59_299:                             ;   in Loop: Header=BB59_3 Depth=1
	s_or_b32 exec_lo, exec_lo, s57
	s_wait_dscnt 0x0
	s_barrier_signal -1
	s_barrier_wait -1
	s_and_saveexec_b32 s57, s65
	s_cbranch_execz .LBB59_301
; %bb.300:                              ;   in Loop: Header=BB59_3 Depth=1
	ds_load_b64 v[36:37], v61 offset:10880
	ds_load_b64 v[38:39], v62
	s_wait_dscnt 0x0
	v_pk_mul_f32 v[94:95], v[38:39], v[36:37] op_sel:[1,1] op_sel_hi:[0,1]
	s_delay_alu instid0(VALU_DEP_1) | instskip(SKIP_1) | instid1(VALU_DEP_2)
	v_pk_fma_f32 v[96:97], v[38:39], v[36:37], v[94:95] op_sel_hi:[1,0,1]
	v_pk_fma_f32 v[36:37], v[38:39], v[36:37], v[94:95] op_sel_hi:[1,0,1] neg_lo:[0,0,1] neg_hi:[0,0,1]
	v_mov_b32_e32 v37, v97
	s_delay_alu instid0(VALU_DEP_1)
	v_pk_add_f32 v[34:35], v[34:35], v[36:37]
.LBB59_301:                             ;   in Loop: Header=BB59_3 Depth=1
	s_or_b32 exec_lo, exec_lo, s57
	s_barrier_signal -1
	s_barrier_wait -1
	s_and_saveexec_b32 s57, s12
	s_cbranch_execz .LBB59_303
; %bb.302:                              ;   in Loop: Header=BB59_3 Depth=1
	ds_load_b64 v[36:37], v5 offset:11440
	s_wait_dscnt 0x0
	v_pk_mul_f32 v[38:39], v[34:35], v[36:37] op_sel:[1,1] op_sel_hi:[1,0]
	s_delay_alu instid0(VALU_DEP_1) | instskip(SKIP_1) | instid1(VALU_DEP_2)
	v_pk_fma_f32 v[94:95], v[34:35], v[36:37], v[38:39] op_sel_hi:[0,1,1]
	v_pk_fma_f32 v[34:35], v[34:35], v[36:37], v[38:39] op_sel_hi:[0,1,1] neg_lo:[0,0,1] neg_hi:[0,0,1]
	v_mov_b32_e32 v35, v95
	ds_store_b64 v62, v[34:35]
.LBB59_303:                             ;   in Loop: Header=BB59_3 Depth=1
	s_or_b32 exec_lo, exec_lo, s57
	s_wait_dscnt 0x0
	s_barrier_signal -1
	s_barrier_wait -1
	s_and_saveexec_b32 s57, s13
	s_cbranch_execz .LBB59_305
; %bb.304:                              ;   in Loop: Header=BB59_3 Depth=1
	ds_load_b64 v[36:37], v61 offset:11392
	ds_load_b64 v[38:39], v62
	s_wait_dscnt 0x0
	v_pk_mul_f32 v[94:95], v[38:39], v[36:37] op_sel:[1,1] op_sel_hi:[0,1]
	s_delay_alu instid0(VALU_DEP_1) | instskip(SKIP_1) | instid1(VALU_DEP_2)
	v_pk_fma_f32 v[96:97], v[38:39], v[36:37], v[94:95] op_sel_hi:[1,0,1]
	v_pk_fma_f32 v[36:37], v[38:39], v[36:37], v[94:95] op_sel_hi:[1,0,1] neg_lo:[0,0,1] neg_hi:[0,0,1]
	v_mov_b32_e32 v37, v97
	s_delay_alu instid0(VALU_DEP_1)
	v_pk_add_f32 v[34:35], v[34:35], v[36:37]
.LBB59_305:                             ;   in Loop: Header=BB59_3 Depth=1
	;; [unrolled: 33-line block ×3, first 2 shown]
	s_or_b32 exec_lo, exec_lo, s57
	s_barrier_signal -1
	s_barrier_wait -1
	s_and_saveexec_b32 s57, s27
	s_cbranch_execz .LBB59_311
; %bb.310:                              ;   in Loop: Header=BB59_3 Depth=1
	ds_load_b64 v[36:37], v5 offset:12480
	s_wait_dscnt 0x0
	v_dual_mul_f32 v38, v34, v37 :: v_dual_mul_f32 v94, v35, v37
	s_delay_alu instid0(VALU_DEP_1) | instskip(NEXT) | instid1(VALU_DEP_2)
	v_pk_fma_f32 v[38:39], v[34:35], v[36:37], v[38:39] op_sel:[0,1,0] op_sel_hi:[1,0,0]
	v_pk_fma_f32 v[36:37], v[34:35], v[36:37], v[94:95] op_sel_hi:[1,1,0] neg_lo:[0,0,1] neg_hi:[0,0,1]
	s_delay_alu instid0(VALU_DEP_2) | instskip(NEXT) | instid1(VALU_DEP_1)
	v_mov_b32_e32 v37, v39
	v_mov_b64_e32 v[34:35], v[36:37]
	ds_store_b64 v62, v[36:37]
.LBB59_311:                             ;   in Loop: Header=BB59_3 Depth=1
	s_or_b32 exec_lo, exec_lo, s57
	s_wait_dscnt 0x0
	s_barrier_signal -1
	s_barrier_wait -1
	s_and_saveexec_b32 s57, s29
	s_cbranch_execz .LBB59_313
; %bb.312:                              ;   in Loop: Header=BB59_3 Depth=1
	ds_load_b64 v[36:37], v61 offset:12416
	ds_load_b64 v[38:39], v62
	s_wait_dscnt 0x0
	v_dual_mul_f32 v94, v39, v37 :: v_dual_mul_f32 v95, v38, v37
	s_delay_alu instid0(VALU_DEP_1) | instskip(NEXT) | instid1(VALU_DEP_1)
	v_dual_fma_f32 v94, v38, v36, -v94 :: v_dual_fmac_f32 v95, v39, v36
	v_pk_add_f32 v[34:35], v[34:35], v[94:95]
.LBB59_313:                             ;   in Loop: Header=BB59_3 Depth=1
	s_or_b32 exec_lo, exec_lo, s57
	s_barrier_signal -1
	s_barrier_wait -1
	s_and_saveexec_b32 s57, s31
	s_cbranch_execz .LBB59_315
; %bb.314:                              ;   in Loop: Header=BB59_3 Depth=1
	ds_load_b64 v[36:37], v5 offset:13000
	s_wait_dscnt 0x0
	v_pk_mul_f32 v[38:39], v[34:35], v[36:37] op_sel:[1,1] op_sel_hi:[1,0]
	s_delay_alu instid0(VALU_DEP_1) | instskip(SKIP_1) | instid1(VALU_DEP_2)
	v_pk_fma_f32 v[94:95], v[34:35], v[36:37], v[38:39] op_sel_hi:[0,1,1]
	v_pk_fma_f32 v[34:35], v[34:35], v[36:37], v[38:39] op_sel_hi:[0,1,1] neg_lo:[0,0,1] neg_hi:[0,0,1]
	v_mov_b32_e32 v35, v95
	ds_store_b64 v62, v[34:35]
.LBB59_315:                             ;   in Loop: Header=BB59_3 Depth=1
	s_or_b32 exec_lo, exec_lo, s57
	s_wait_dscnt 0x0
	s_barrier_signal -1
	s_barrier_wait -1
	s_and_saveexec_b32 s57, s34
	s_cbranch_execz .LBB59_317
; %bb.316:                              ;   in Loop: Header=BB59_3 Depth=1
	ds_load_b64 v[36:37], v61 offset:12928
	ds_load_b64 v[38:39], v62
	s_wait_dscnt 0x0
	v_pk_mul_f32 v[94:95], v[38:39], v[36:37] op_sel:[1,1] op_sel_hi:[0,1]
	s_delay_alu instid0(VALU_DEP_1) | instskip(SKIP_1) | instid1(VALU_DEP_2)
	v_pk_fma_f32 v[96:97], v[38:39], v[36:37], v[94:95] op_sel_hi:[1,0,1]
	v_pk_fma_f32 v[36:37], v[38:39], v[36:37], v[94:95] op_sel_hi:[1,0,1] neg_lo:[0,0,1] neg_hi:[0,0,1]
	v_mov_b32_e32 v37, v97
	s_delay_alu instid0(VALU_DEP_1)
	v_pk_add_f32 v[34:35], v[34:35], v[36:37]
.LBB59_317:                             ;   in Loop: Header=BB59_3 Depth=1
	s_or_b32 exec_lo, exec_lo, s57
	s_barrier_signal -1
	s_barrier_wait -1
	s_and_saveexec_b32 s57, s38
	s_cbranch_execz .LBB59_319
; %bb.318:                              ;   in Loop: Header=BB59_3 Depth=1
	ds_load_b64 v[36:37], v5 offset:13520
	s_wait_dscnt 0x0
	v_pk_mul_f32 v[38:39], v[34:35], v[36:37] op_sel:[1,1] op_sel_hi:[1,0]
	s_delay_alu instid0(VALU_DEP_1) | instskip(SKIP_1) | instid1(VALU_DEP_2)
	v_pk_fma_f32 v[94:95], v[34:35], v[36:37], v[38:39] op_sel_hi:[0,1,1]
	v_pk_fma_f32 v[34:35], v[34:35], v[36:37], v[38:39] op_sel_hi:[0,1,1] neg_lo:[0,0,1] neg_hi:[0,0,1]
	v_mov_b32_e32 v35, v95
	ds_store_b64 v62, v[34:35]
.LBB59_319:                             ;   in Loop: Header=BB59_3 Depth=1
	s_or_b32 exec_lo, exec_lo, s57
	s_wait_dscnt 0x0
	s_barrier_signal -1
	s_barrier_wait -1
	s_and_saveexec_b32 s57, s24
	s_cbranch_execz .LBB59_321
; %bb.320:                              ;   in Loop: Header=BB59_3 Depth=1
	ds_load_b64 v[36:37], v61 offset:13440
	ds_load_b64 v[38:39], v62
	s_wait_dscnt 0x0
	v_pk_mul_f32 v[94:95], v[38:39], v[36:37] op_sel:[1,1] op_sel_hi:[0,1]
	s_delay_alu instid0(VALU_DEP_1) | instskip(SKIP_1) | instid1(VALU_DEP_2)
	v_pk_fma_f32 v[96:97], v[38:39], v[36:37], v[94:95] op_sel_hi:[1,0,1]
	v_pk_fma_f32 v[36:37], v[38:39], v[36:37], v[94:95] op_sel_hi:[1,0,1] neg_lo:[0,0,1] neg_hi:[0,0,1]
	v_mov_b32_e32 v37, v97
	s_delay_alu instid0(VALU_DEP_1)
	v_pk_add_f32 v[34:35], v[34:35], v[36:37]
.LBB59_321:                             ;   in Loop: Header=BB59_3 Depth=1
	;; [unrolled: 33-line block ×3, first 2 shown]
	s_or_b32 exec_lo, exec_lo, s57
	s_barrier_signal -1
	s_barrier_wait -1
	s_and_saveexec_b32 s57, s30
	s_cbranch_execz .LBB59_327
; %bb.326:                              ;   in Loop: Header=BB59_3 Depth=1
	ds_load_b64 v[36:37], v5 offset:14560
	s_wait_dscnt 0x0
	v_dual_mul_f32 v38, v34, v37 :: v_dual_mul_f32 v94, v35, v37
	s_delay_alu instid0(VALU_DEP_1) | instskip(NEXT) | instid1(VALU_DEP_2)
	v_pk_fma_f32 v[38:39], v[34:35], v[36:37], v[38:39] op_sel:[0,1,0] op_sel_hi:[1,0,0]
	v_pk_fma_f32 v[36:37], v[34:35], v[36:37], v[94:95] op_sel_hi:[1,1,0] neg_lo:[0,0,1] neg_hi:[0,0,1]
	s_delay_alu instid0(VALU_DEP_2) | instskip(NEXT) | instid1(VALU_DEP_1)
	v_mov_b32_e32 v37, v39
	v_mov_b64_e32 v[34:35], v[36:37]
	ds_store_b64 v62, v[36:37]
.LBB59_327:                             ;   in Loop: Header=BB59_3 Depth=1
	s_or_b32 exec_lo, exec_lo, s57
	s_wait_dscnt 0x0
	s_barrier_signal -1
	s_barrier_wait -1
	s_and_saveexec_b32 s57, s33
	s_cbranch_execz .LBB59_329
; %bb.328:                              ;   in Loop: Header=BB59_3 Depth=1
	ds_load_b64 v[36:37], v61 offset:14464
	ds_load_b64 v[38:39], v62
	s_wait_dscnt 0x0
	v_dual_mul_f32 v94, v39, v37 :: v_dual_mul_f32 v95, v38, v37
	s_delay_alu instid0(VALU_DEP_1) | instskip(NEXT) | instid1(VALU_DEP_1)
	v_dual_fma_f32 v94, v38, v36, -v94 :: v_dual_fmac_f32 v95, v39, v36
	v_pk_add_f32 v[34:35], v[34:35], v[94:95]
.LBB59_329:                             ;   in Loop: Header=BB59_3 Depth=1
	s_or_b32 exec_lo, exec_lo, s57
	s_barrier_signal -1
	s_barrier_wait -1
	s_and_saveexec_b32 s57, s10
	s_cbranch_execz .LBB59_331
; %bb.330:                              ;   in Loop: Header=BB59_3 Depth=1
	ds_load_b64 v[36:37], v5 offset:15080
	s_wait_dscnt 0x0
	v_pk_mul_f32 v[38:39], v[34:35], v[36:37] op_sel:[1,1] op_sel_hi:[1,0]
	s_delay_alu instid0(VALU_DEP_1) | instskip(SKIP_1) | instid1(VALU_DEP_2)
	v_pk_fma_f32 v[94:95], v[34:35], v[36:37], v[38:39] op_sel_hi:[0,1,1]
	v_pk_fma_f32 v[36:37], v[34:35], v[36:37], v[38:39] neg_lo:[0,0,1] neg_hi:[0,0,1]
	v_mov_b32_e32 v37, v95
	s_delay_alu instid0(VALU_DEP_1)
	v_mov_b64_e32 v[34:35], v[36:37]
	ds_store_b64 v62, v[36:37]
.LBB59_331:                             ;   in Loop: Header=BB59_3 Depth=1
	s_or_b32 exec_lo, exec_lo, s57
	s_wait_dscnt 0x0
	s_barrier_signal -1
	s_barrier_wait -1
	s_and_saveexec_b32 s57, s11
	s_cbranch_execz .LBB59_333
; %bb.332:                              ;   in Loop: Header=BB59_3 Depth=1
	ds_load_b64 v[36:37], v61 offset:14976
	ds_load_b64 v[38:39], v62
	s_wait_dscnt 0x0
	v_pk_mul_f32 v[94:95], v[38:39], v[36:37] op_sel:[1,1] op_sel_hi:[0,1]
	s_delay_alu instid0(VALU_DEP_1) | instskip(SKIP_1) | instid1(VALU_DEP_2)
	v_pk_fma_f32 v[96:97], v[38:39], v[36:37], v[94:95] op_sel_hi:[1,0,1]
	v_pk_fma_f32 v[36:37], v[38:39], v[36:37], v[94:95] neg_lo:[0,0,1] neg_hi:[0,0,1]
	v_mov_b32_e32 v37, v97
	s_delay_alu instid0(VALU_DEP_1)
	v_pk_add_f32 v[34:35], v[34:35], v[36:37]
.LBB59_333:                             ;   in Loop: Header=BB59_3 Depth=1
	s_or_b32 exec_lo, exec_lo, s57
	s_barrier_signal -1
	s_barrier_wait -1
	s_and_saveexec_b32 s57, s94
	s_cbranch_execz .LBB59_335
; %bb.334:                              ;   in Loop: Header=BB59_3 Depth=1
	ds_load_b64 v[36:37], v5 offset:15600
	s_wait_dscnt 0x0
	v_pk_mul_f32 v[38:39], v[34:35], v[36:37] op_sel:[1,1] op_sel_hi:[1,0]
	s_delay_alu instid0(VALU_DEP_1) | instskip(SKIP_1) | instid1(VALU_DEP_2)
	v_pk_fma_f32 v[94:95], v[34:35], v[36:37], v[38:39] op_sel_hi:[0,1,1]
	v_pk_fma_f32 v[36:37], v[34:35], v[36:37], v[38:39] neg_lo:[0,0,1] neg_hi:[0,0,1]
	v_mov_b32_e32 v37, v95
	s_delay_alu instid0(VALU_DEP_1)
	v_mov_b64_e32 v[34:35], v[36:37]
	ds_store_b64 v62, v[36:37]
.LBB59_335:                             ;   in Loop: Header=BB59_3 Depth=1
	s_or_b32 exec_lo, exec_lo, s57
	s_wait_dscnt 0x0
	s_barrier_signal -1
	s_barrier_wait -1
	s_and_saveexec_b32 s57, s76
	s_cbranch_execz .LBB59_337
; %bb.336:                              ;   in Loop: Header=BB59_3 Depth=1
	ds_load_b64 v[36:37], v5 offset:15608
	ds_load_b64 v[38:39], v62
	s_wait_dscnt 0x0
	v_pk_mul_f32 v[94:95], v[38:39], v[36:37] op_sel:[1,1] op_sel_hi:[0,1]
	s_delay_alu instid0(VALU_DEP_1) | instskip(SKIP_1) | instid1(VALU_DEP_2)
	v_pk_fma_f32 v[96:97], v[38:39], v[36:37], v[94:95] op_sel_hi:[1,0,1]
	v_pk_fma_f32 v[36:37], v[38:39], v[36:37], v[94:95] neg_lo:[0,0,1] neg_hi:[0,0,1]
	v_mov_b32_e32 v37, v97
	s_delay_alu instid0(VALU_DEP_1)
	v_pk_add_f32 v[34:35], v[34:35], v[36:37]
.LBB59_337:                             ;   in Loop: Header=BB59_3 Depth=1
	s_or_b32 exec_lo, exec_lo, s57
	s_barrier_signal -1
	s_barrier_wait -1
	s_and_saveexec_b32 s57, s76
	s_cbranch_execz .LBB59_339
; %bb.338:                              ;   in Loop: Header=BB59_3 Depth=1
	ds_load_b64 v[36:37], v5 offset:16120
	s_wait_dscnt 0x0
	v_pk_mul_f32 v[38:39], v[34:35], v[36:37] op_sel:[1,1] op_sel_hi:[1,0]
	s_delay_alu instid0(VALU_DEP_1) | instskip(SKIP_1) | instid1(VALU_DEP_2)
	v_pk_fma_f32 v[94:95], v[34:35], v[36:37], v[38:39] op_sel_hi:[0,1,1]
	v_pk_fma_f32 v[36:37], v[34:35], v[36:37], v[38:39] neg_lo:[0,0,1] neg_hi:[0,0,1]
	v_mov_b32_e32 v37, v95
	s_delay_alu instid0(VALU_DEP_1)
	v_mov_b64_e32 v[34:35], v[36:37]
	ds_store_b64 v62, v[36:37]
.LBB59_339:                             ;   in Loop: Header=BB59_3 Depth=1
	s_or_b32 exec_lo, exec_lo, s57
	s_wait_dscnt 0x0
	s_barrier_signal -1
	s_barrier_wait -1
	s_barrier_signal -1
	s_barrier_wait -1
	s_and_saveexec_b32 s57, s4
; %bb.340:                              ;   in Loop: Header=BB59_3 Depth=1
	v_pk_add_f32 v[34:35], v[34:35], 0 neg_lo:[1,1] neg_hi:[1,1]
	ds_store_b64 v63, v[34:35] offset:128
; %bb.341:                              ;   in Loop: Header=BB59_3 Depth=1
	s_or_b32 exec_lo, exec_lo, s57
	s_wait_dscnt 0x0
	s_barrier_signal -1
	s_barrier_wait -1
	s_barrier_signal -1
	s_barrier_wait -1
	s_and_saveexec_b32 s57, s77
	s_cbranch_execz .LBB59_343
; %bb.342:                              ;   in Loop: Header=BB59_3 Depth=1
	ds_load_b64 v[34:35], v46 offset:128
	s_wait_dscnt 0x0
	ds_store_b64 v51, v[34:35] offset:8192
	ds_load_b64 v[34:35], v46 offset:136
	s_wait_dscnt 0x0
	ds_store_b64 v51, v[34:35] offset:8704
	;; [unrolled: 3-line block ×16, first 2 shown]
.LBB59_343:                             ;   in Loop: Header=BB59_3 Depth=1
	s_or_b32 exec_lo, exec_lo, s57
	s_wait_dscnt 0x0
	s_barrier_signal -1
	s_barrier_wait -1
	s_and_saveexec_b32 s57, s14
	s_cbranch_execz .LBB59_345
; %bb.344:                              ;   in Loop: Header=BB59_3 Depth=1
	ds_load_b128 v[34:37], v5 offset:8320
	ds_load_b64 v[38:39], v5 offset:8840
	s_wait_dscnt 0x1
	v_dual_mov_b32 v96, v37 :: v_dual_mov_b32 v97, v36
	s_wait_dscnt 0x0
	v_dual_mul_f32 v95, v39, v35 :: v_dual_mul_f32 v94, v38, v35
	s_delay_alu instid0(VALU_DEP_1) | instskip(NEXT) | instid1(VALU_DEP_2)
	v_xor_b32_e32 v98, 0x80000000, v95
	v_fmac_f32_e32 v94, v39, v34
	s_delay_alu instid0(VALU_DEP_2) | instskip(NEXT) | instid1(VALU_DEP_2)
	v_fmac_f32_e32 v98, v38, v34
	v_pk_mul_f32 v[34:35], v[94:95], v[96:97] op_sel_hi:[0,1]
	s_delay_alu instid0(VALU_DEP_1) | instskip(SKIP_2) | instid1(VALU_DEP_3)
	v_pk_fma_f32 v[38:39], v[98:99], v[36:37], v[34:35] op_sel_hi:[0,1,1]
	v_pk_fma_f32 v[34:35], v[98:99], v[36:37], v[34:35] neg_lo:[0,0,1] neg_hi:[0,0,1]
	v_add_nc_u32_e64 v36, 0x2000, 0
	v_mov_b32_e32 v35, v39
	ds_store_2addr_b64 v36, v[34:35], v[34:35] offset0:17 offset1:80
.LBB59_345:                             ;   in Loop: Header=BB59_3 Depth=1
	s_or_b32 exec_lo, exec_lo, s57
	v_mov_b32_e32 v35, 0
	s_wait_dscnt 0x0
	s_barrier_signal -1
	s_barrier_wait -1
	s_delay_alu instid0(VALU_DEP_1)
	v_mov_b32_e32 v34, v35
	s_and_saveexec_b32 s57, s0
	s_cbranch_execz .LBB59_349
; %bb.346:                              ;   in Loop: Header=BB59_3 Depth=1
	ds_load_b64 v[34:35], v41 offset:8336
	ds_load_b64 v[36:37], v42 offset:8320
	s_wait_dscnt 0x0
	v_dual_mul_f32 v38, v37, v35 :: v_dual_mul_f32 v39, v36, v35
	s_delay_alu instid0(VALU_DEP_1) | instskip(NEXT) | instid1(VALU_DEP_1)
	v_dual_fma_f32 v38, v36, v34, -v38 :: v_dual_fmac_f32 v39, v37, v34
	v_pk_add_f32 v[34:35], v[38:39], 0 op_sel_hi:[1,0]
	s_and_saveexec_b32 s58, s15
	s_cbranch_execz .LBB59_348
; %bb.347:                              ;   in Loop: Header=BB59_3 Depth=1
	ds_load_b64 v[36:37], v43 offset:8848
	ds_load_b64 v[38:39], v5 offset:8328
	s_wait_dscnt 0x0
	v_pk_mul_f32 v[94:95], v[38:39], v[36:37] op_sel:[1,1] op_sel_hi:[0,1]
	s_delay_alu instid0(VALU_DEP_1) | instskip(SKIP_1) | instid1(VALU_DEP_2)
	v_pk_fma_f32 v[96:97], v[38:39], v[36:37], v[94:95] op_sel_hi:[1,0,1]
	v_pk_fma_f32 v[36:37], v[38:39], v[36:37], v[94:95] neg_lo:[0,0,1] neg_hi:[0,0,1]
	v_mov_b32_e32 v37, v97
	s_delay_alu instid0(VALU_DEP_1)
	v_pk_add_f32 v[34:35], v[34:35], v[36:37]
.LBB59_348:                             ;   in Loop: Header=BB59_3 Depth=1
	s_or_b32 exec_lo, exec_lo, s58
	s_delay_alu instid0(VALU_DEP_1)
	v_pk_add_f32 v[34:35], v[34:35], 0 neg_lo:[1,1] neg_hi:[1,1]
.LBB59_349:                             ;   in Loop: Header=BB59_3 Depth=1
	s_or_b32 exec_lo, exec_lo, s57
	s_and_saveexec_b32 s57, s96
	s_cbranch_execz .LBB59_351
; %bb.350:                              ;   in Loop: Header=BB59_3 Depth=1
	ds_load_b64 v[36:37], v5 offset:9360
	s_wait_dscnt 0x0
	v_pk_mul_f32 v[38:39], v[34:35], v[36:37] op_sel:[1,1] op_sel_hi:[1,0]
	s_delay_alu instid0(VALU_DEP_1) | instskip(SKIP_1) | instid1(VALU_DEP_2)
	v_pk_fma_f32 v[94:95], v[34:35], v[36:37], v[38:39] op_sel_hi:[0,1,1]
	v_pk_fma_f32 v[36:37], v[34:35], v[36:37], v[38:39] neg_lo:[0,0,1] neg_hi:[0,0,1]
	v_mov_b32_e32 v37, v95
	s_delay_alu instid0(VALU_DEP_1)
	v_mov_b64_e32 v[34:35], v[36:37]
	ds_store_b64 v3, v[36:37]
.LBB59_351:                             ;   in Loop: Header=BB59_3 Depth=1
	s_or_b32 exec_lo, exec_lo, s57
	s_wait_dscnt 0x0
	s_barrier_signal -1
	s_barrier_wait -1
	s_and_saveexec_b32 s57, s97
	s_cbranch_execz .LBB59_353
; %bb.352:                              ;   in Loop: Header=BB59_3 Depth=1
	ds_load_b64 v[36:37], v5 offset:9368
	ds_load_b64 v[38:39], v3
	s_wait_dscnt 0x0
	v_pk_mul_f32 v[94:95], v[38:39], v[36:37] op_sel:[1,1] op_sel_hi:[0,1]
	s_delay_alu instid0(VALU_DEP_1) | instskip(SKIP_1) | instid1(VALU_DEP_2)
	v_pk_fma_f32 v[96:97], v[38:39], v[36:37], v[94:95] op_sel_hi:[1,0,1]
	v_pk_fma_f32 v[36:37], v[38:39], v[36:37], v[94:95] neg_lo:[0,0,1] neg_hi:[0,0,1]
	v_mov_b32_e32 v37, v97
	s_delay_alu instid0(VALU_DEP_1)
	v_pk_add_f32 v[34:35], v[34:35], v[36:37]
.LBB59_353:                             ;   in Loop: Header=BB59_3 Depth=1
	s_or_b32 exec_lo, exec_lo, s57
	s_barrier_signal -1
	s_barrier_wait -1
	s_and_saveexec_b32 s57, s97
	s_cbranch_execz .LBB59_355
; %bb.354:                              ;   in Loop: Header=BB59_3 Depth=1
	ds_load_b64 v[36:37], v5 offset:9880
	s_wait_dscnt 0x0
	v_pk_mul_f32 v[38:39], v[34:35], v[36:37] op_sel:[1,1] op_sel_hi:[1,0]
	s_delay_alu instid0(VALU_DEP_1) | instskip(SKIP_1) | instid1(VALU_DEP_2)
	v_pk_fma_f32 v[94:95], v[34:35], v[36:37], v[38:39] op_sel_hi:[0,1,1]
	v_pk_fma_f32 v[36:37], v[34:35], v[36:37], v[38:39] neg_lo:[0,0,1] neg_hi:[0,0,1]
	v_mov_b32_e32 v37, v95
	s_delay_alu instid0(VALU_DEP_1)
	v_mov_b64_e32 v[34:35], v[36:37]
	ds_store_b64 v3, v[36:37]
.LBB59_355:                             ;   in Loop: Header=BB59_3 Depth=1
	s_or_b32 exec_lo, exec_lo, s57
	s_wait_dscnt 0x0
	s_barrier_signal -1
	s_barrier_wait -1
	s_barrier_signal -1
	s_barrier_wait -1
	s_and_saveexec_b32 s57, s0
; %bb.356:                              ;   in Loop: Header=BB59_3 Depth=1
	v_pk_add_f32 v[34:35], v[34:35], 0 neg_lo:[1,1] neg_hi:[1,1]
	ds_store_b64 v41, v[34:35] offset:8336
; %bb.357:                              ;   in Loop: Header=BB59_3 Depth=1
	s_or_b32 exec_lo, exec_lo, s57
	s_wait_dscnt 0x0
	s_barrier_signal -1
	s_barrier_wait -1
	s_barrier_signal -1
	s_barrier_wait -1
	s_and_saveexec_b32 s57, s98
	s_cbranch_execz .LBB59_359
; %bb.358:                              ;   in Loop: Header=BB59_3 Depth=1
	ds_load_b64 v[34:35], v46 offset:8336
	s_wait_dscnt 0x0
	ds_store_b64 v43, v[34:35] offset:9344
	ds_load_b64 v[34:35], v46 offset:8344
	s_wait_dscnt 0x0
	ds_store_b64 v43, v[34:35] offset:9856
.LBB59_359:                             ;   in Loop: Header=BB59_3 Depth=1
	s_or_b32 exec_lo, exec_lo, s57
	s_wait_dscnt 0x0
	s_barrier_signal -1
	s_barrier_wait -1
	s_and_saveexec_b32 s57, s14
	s_cbranch_execz .LBB59_361
; %bb.360:                              ;   in Loop: Header=BB59_3 Depth=1
	ds_load_b128 v[34:37], v5 offset:9360
	ds_load_b64 v[38:39], v5 offset:9880
	s_wait_dscnt 0x1
	v_dual_mov_b32 v96, v37 :: v_dual_mov_b32 v97, v36
	s_wait_dscnt 0x0
	v_dual_mul_f32 v95, v39, v35 :: v_dual_mul_f32 v94, v38, v35
	s_delay_alu instid0(VALU_DEP_1) | instskip(NEXT) | instid1(VALU_DEP_2)
	v_xor_b32_e32 v98, 0x80000000, v95
	v_fmac_f32_e32 v94, v39, v34
	s_delay_alu instid0(VALU_DEP_2) | instskip(NEXT) | instid1(VALU_DEP_2)
	v_fmac_f32_e32 v98, v38, v34
	v_pk_mul_f32 v[34:35], v[94:95], v[96:97] op_sel_hi:[0,1]
	s_delay_alu instid0(VALU_DEP_1) | instskip(SKIP_2) | instid1(VALU_DEP_3)
	v_pk_fma_f32 v[38:39], v[98:99], v[36:37], v[34:35] op_sel_hi:[0,1,1]
	v_pk_fma_f32 v[34:35], v[98:99], v[36:37], v[34:35] neg_lo:[0,0,1] neg_hi:[0,0,1]
	v_add_nc_u32_e64 v36, 0x2000, 0
	v_mov_b32_e32 v35, v39
	ds_store_2addr_b64 v36, v[34:35], v[34:35] offset0:147 offset1:210
.LBB59_361:                             ;   in Loop: Header=BB59_3 Depth=1
	s_or_b32 exec_lo, exec_lo, s57
	v_mov_b32_e32 v34, 0
	s_wait_dscnt 0x0
	s_barrier_signal -1
	s_barrier_wait -1
	s_delay_alu instid0(VALU_DEP_1)
	v_mov_b32_e32 v35, v34
	s_and_saveexec_b32 s66, s2
	s_cbranch_execz .LBB59_367
; %bb.362:                              ;   in Loop: Header=BB59_3 Depth=1
	ds_load_b64 v[34:35], v48 offset:8352
	ds_load_b64 v[36:37], v44 offset:8320
	s_wait_dscnt 0x0
	v_pk_mul_f32 v[38:39], v[36:37], v[34:35] op_sel:[0,1]
	s_delay_alu instid0(VALU_DEP_1) | instskip(SKIP_1) | instid1(VALU_DEP_2)
	v_pk_fma_f32 v[94:95], v[36:37], v[34:35], v[38:39] op_sel:[1,0,0] op_sel_hi:[0,0,1] neg_lo:[0,0,1] neg_hi:[0,0,1]
	v_pk_fma_f32 v[34:35], v[36:37], v[34:35], v[38:39] op_sel:[1,0,0] op_sel_hi:[0,1,1]
	v_mov_b32_e32 v35, v95
	s_delay_alu instid0(VALU_DEP_1)
	v_pk_add_f32 v[34:35], v[34:35], 0 op_sel_hi:[1,0]
	s_and_saveexec_b32 s57, s16
	s_cbranch_execnz .LBB59_1124
; %bb.363:                              ;   in Loop: Header=BB59_3 Depth=1
	s_or_b32 exec_lo, exec_lo, s57
	s_and_saveexec_b32 s57, s17
	s_cbranch_execnz .LBB59_1125
.LBB59_364:                             ;   in Loop: Header=BB59_3 Depth=1
	s_or_b32 exec_lo, exec_lo, s57
	s_and_saveexec_b32 s57, s0
	s_cbranch_execz .LBB59_366
.LBB59_365:                             ;   in Loop: Header=BB59_3 Depth=1
	ds_load_b64 v[36:37], v51 offset:9888
	ds_load_b64 v[38:39], v5 offset:8344
	s_wait_dscnt 0x0
	v_pk_mul_f32 v[94:95], v[38:39], v[36:37] op_sel:[0,1]
	s_delay_alu instid0(VALU_DEP_1) | instskip(SKIP_1) | instid1(VALU_DEP_2)
	v_pk_fma_f32 v[96:97], v[38:39], v[36:37], v[94:95] op_sel:[1,0,0] op_sel_hi:[0,0,1] neg_lo:[0,0,1] neg_hi:[0,0,1]
	v_pk_fma_f32 v[36:37], v[38:39], v[36:37], v[94:95] op_sel:[1,0,0] op_sel_hi:[0,1,1]
	v_mov_b32_e32 v37, v97
	s_delay_alu instid0(VALU_DEP_1)
	v_pk_add_f32 v[34:35], v[34:35], v[36:37]
.LBB59_366:                             ;   in Loop: Header=BB59_3 Depth=1
	s_or_b32 exec_lo, exec_lo, s57
	s_delay_alu instid0(VALU_DEP_1) | instskip(NEXT) | instid1(VALU_DEP_1)
	v_pk_add_f32 v[36:37], v[34:35], 0 neg_lo:[1,1] neg_hi:[1,1]
	v_dual_mov_b32 v34, v37 :: v_dual_mov_b32 v35, v36
.LBB59_367:                             ;   in Loop: Header=BB59_3 Depth=1
	s_or_b32 exec_lo, exec_lo, s66
	s_and_saveexec_b32 s57, s99
	s_cbranch_execz .LBB59_369
; %bb.368:                              ;   in Loop: Header=BB59_3 Depth=1
	ds_load_b64 v[36:37], v5 offset:10400
	v_dual_mov_b32 v38, v35 :: v_dual_mov_b32 v39, v34
	s_wait_dscnt 0x0
	s_delay_alu instid0(VALU_DEP_1) | instskip(NEXT) | instid1(VALU_DEP_1)
	v_dual_mul_f32 v94, v38, v36 :: v_dual_mul_f32 v96, v35, v37
	v_pk_fma_f32 v[38:39], v[38:39], v[36:37], v[94:95] op_sel_hi:[1,1,0]
	s_delay_alu instid0(VALU_DEP_2) | instskip(NEXT) | instid1(VALU_DEP_2)
	v_pk_fma_f32 v[34:35], v[34:35], v[36:37], v[96:97] op_sel_hi:[1,1,0] neg_lo:[0,0,1] neg_hi:[0,0,1]
	v_mov_b32_e32 v35, v39
	ds_store_b64 v47, v[34:35]
.LBB59_369:                             ;   in Loop: Header=BB59_3 Depth=1
	s_or_b32 exec_lo, exec_lo, s57
	s_wait_dscnt 0x0
	s_barrier_signal -1
	s_barrier_wait -1
	s_and_saveexec_b32 s57, s100
	s_cbranch_execz .LBB59_371
; %bb.370:                              ;   in Loop: Header=BB59_3 Depth=1
	ds_load_b64 v[36:37], v45 offset:10400
	ds_load_b64 v[38:39], v47
	s_wait_dscnt 0x0
	v_dual_mul_f32 v94, v39, v37 :: v_dual_mul_f32 v95, v38, v37
	s_delay_alu instid0(VALU_DEP_1) | instskip(NEXT) | instid1(VALU_DEP_1)
	v_dual_fma_f32 v94, v38, v36, -v94 :: v_dual_fmac_f32 v95, v39, v36
	v_pk_add_f32 v[34:35], v[34:35], v[94:95]
.LBB59_371:                             ;   in Loop: Header=BB59_3 Depth=1
	s_or_b32 exec_lo, exec_lo, s57
	s_barrier_signal -1
	s_barrier_wait -1
	s_and_saveexec_b32 s57, s101
	s_cbranch_execz .LBB59_373
; %bb.372:                              ;   in Loop: Header=BB59_3 Depth=1
	ds_load_b64 v[36:37], v5 offset:10920
	s_wait_dscnt 0x0
	v_pk_mul_f32 v[38:39], v[34:35], v[36:37] op_sel:[1,1] op_sel_hi:[1,0]
	s_delay_alu instid0(VALU_DEP_1) | instskip(SKIP_1) | instid1(VALU_DEP_2)
	v_pk_fma_f32 v[94:95], v[34:35], v[36:37], v[38:39] op_sel_hi:[0,1,1]
	v_pk_fma_f32 v[36:37], v[34:35], v[36:37], v[38:39] neg_lo:[0,0,1] neg_hi:[0,0,1]
	v_mov_b32_e32 v37, v95
	s_delay_alu instid0(VALU_DEP_1)
	v_mov_b64_e32 v[34:35], v[36:37]
	ds_store_b64 v47, v[36:37]
.LBB59_373:                             ;   in Loop: Header=BB59_3 Depth=1
	s_or_b32 exec_lo, exec_lo, s57
	s_wait_dscnt 0x0
	s_barrier_signal -1
	s_barrier_wait -1
	s_and_saveexec_b32 s57, s102
	s_cbranch_execz .LBB59_375
; %bb.374:                              ;   in Loop: Header=BB59_3 Depth=1
	ds_load_b64 v[36:37], v45 offset:10912
	ds_load_b64 v[38:39], v47
	s_wait_dscnt 0x0
	v_pk_mul_f32 v[94:95], v[38:39], v[36:37] op_sel:[1,1] op_sel_hi:[0,1]
	s_delay_alu instid0(VALU_DEP_1) | instskip(SKIP_1) | instid1(VALU_DEP_2)
	v_pk_fma_f32 v[96:97], v[38:39], v[36:37], v[94:95] op_sel_hi:[1,0,1]
	v_pk_fma_f32 v[36:37], v[38:39], v[36:37], v[94:95] neg_lo:[0,0,1] neg_hi:[0,0,1]
	v_mov_b32_e32 v37, v97
	s_delay_alu instid0(VALU_DEP_1)
	v_pk_add_f32 v[34:35], v[34:35], v[36:37]
.LBB59_375:                             ;   in Loop: Header=BB59_3 Depth=1
	s_or_b32 exec_lo, exec_lo, s57
	s_barrier_signal -1
	s_barrier_wait -1
	s_and_saveexec_b32 s57, s103
	s_cbranch_execz .LBB59_377
; %bb.376:                              ;   in Loop: Header=BB59_3 Depth=1
	ds_load_b64 v[36:37], v5 offset:11440
	s_wait_dscnt 0x0
	v_pk_mul_f32 v[38:39], v[34:35], v[36:37] op_sel:[1,1] op_sel_hi:[1,0]
	s_delay_alu instid0(VALU_DEP_1) | instskip(SKIP_1) | instid1(VALU_DEP_2)
	v_pk_fma_f32 v[94:95], v[34:35], v[36:37], v[38:39] op_sel_hi:[0,1,1]
	v_pk_fma_f32 v[36:37], v[34:35], v[36:37], v[38:39] neg_lo:[0,0,1] neg_hi:[0,0,1]
	v_mov_b32_e32 v37, v95
	s_delay_alu instid0(VALU_DEP_1)
	v_mov_b64_e32 v[34:35], v[36:37]
	ds_store_b64 v47, v[36:37]
.LBB59_377:                             ;   in Loop: Header=BB59_3 Depth=1
	s_or_b32 exec_lo, exec_lo, s57
	s_wait_dscnt 0x0
	s_barrier_signal -1
	s_barrier_wait -1
	s_and_saveexec_b32 s57, s104
	s_cbranch_execz .LBB59_379
; %bb.378:                              ;   in Loop: Header=BB59_3 Depth=1
	ds_load_b64 v[36:37], v5 offset:11448
	ds_load_b64 v[38:39], v47
	s_wait_dscnt 0x0
	v_pk_mul_f32 v[94:95], v[38:39], v[36:37] op_sel:[1,1] op_sel_hi:[0,1]
	s_delay_alu instid0(VALU_DEP_1) | instskip(SKIP_1) | instid1(VALU_DEP_2)
	v_pk_fma_f32 v[96:97], v[38:39], v[36:37], v[94:95] op_sel_hi:[1,0,1]
	v_pk_fma_f32 v[36:37], v[38:39], v[36:37], v[94:95] neg_lo:[0,0,1] neg_hi:[0,0,1]
	v_mov_b32_e32 v37, v97
	s_delay_alu instid0(VALU_DEP_1)
	v_pk_add_f32 v[34:35], v[34:35], v[36:37]
.LBB59_379:                             ;   in Loop: Header=BB59_3 Depth=1
	s_or_b32 exec_lo, exec_lo, s57
	s_barrier_signal -1
	s_barrier_wait -1
	s_and_saveexec_b32 s57, s104
	s_cbranch_execz .LBB59_381
; %bb.380:                              ;   in Loop: Header=BB59_3 Depth=1
	ds_load_b64 v[36:37], v5 offset:11960
	s_wait_dscnt 0x0
	v_pk_mul_f32 v[38:39], v[34:35], v[36:37] op_sel:[1,1] op_sel_hi:[1,0]
	s_delay_alu instid0(VALU_DEP_1) | instskip(SKIP_1) | instid1(VALU_DEP_2)
	v_pk_fma_f32 v[94:95], v[34:35], v[36:37], v[38:39] op_sel_hi:[0,1,1]
	v_pk_fma_f32 v[36:37], v[34:35], v[36:37], v[38:39] neg_lo:[0,0,1] neg_hi:[0,0,1]
	v_mov_b32_e32 v37, v95
	s_delay_alu instid0(VALU_DEP_1)
	v_mov_b64_e32 v[34:35], v[36:37]
	ds_store_b64 v47, v[36:37]
.LBB59_381:                             ;   in Loop: Header=BB59_3 Depth=1
	s_or_b32 exec_lo, exec_lo, s57
	s_wait_dscnt 0x0
	s_barrier_signal -1
	s_barrier_wait -1
	s_barrier_signal -1
	s_barrier_wait -1
	s_and_saveexec_b32 s57, s2
; %bb.382:                              ;   in Loop: Header=BB59_3 Depth=1
	v_pk_add_f32 v[34:35], v[34:35], 0 neg_lo:[1,1] neg_hi:[1,1]
	ds_store_b64 v48, v[34:35] offset:8352
; %bb.383:                              ;   in Loop: Header=BB59_3 Depth=1
	s_or_b32 exec_lo, exec_lo, s57
	s_wait_dscnt 0x0
	s_barrier_signal -1
	s_barrier_wait -1
	s_barrier_signal -1
	s_barrier_wait -1
	s_and_saveexec_b32 s57, vcc_hi
	s_cbranch_execz .LBB59_385
; %bb.384:                              ;   in Loop: Header=BB59_3 Depth=1
	ds_load_b64 v[34:35], v52 offset:8352
	s_wait_dscnt 0x0
	ds_store_b64 v53, v[34:35] offset:10368
	ds_load_b64 v[34:35], v52 offset:8360
	s_wait_dscnt 0x0
	ds_store_b64 v53, v[34:35] offset:10880
	;; [unrolled: 3-line block ×4, first 2 shown]
.LBB59_385:                             ;   in Loop: Header=BB59_3 Depth=1
	s_or_b32 exec_lo, exec_lo, s57
	s_wait_dscnt 0x0
	s_barrier_signal -1
	s_barrier_wait -1
	s_and_saveexec_b32 s57, s14
	s_cbranch_execz .LBB59_387
; %bb.386:                              ;   in Loop: Header=BB59_3 Depth=1
	ds_load_b128 v[34:37], v5 offset:10400
	ds_load_b64 v[38:39], v5 offset:10920
	s_wait_dscnt 0x1
	v_dual_mov_b32 v96, v37 :: v_dual_mov_b32 v97, v36
	s_wait_dscnt 0x0
	v_dual_mul_f32 v95, v39, v35 :: v_dual_mul_f32 v94, v38, v35
	s_delay_alu instid0(VALU_DEP_1) | instskip(NEXT) | instid1(VALU_DEP_2)
	v_xor_b32_e32 v98, 0x80000000, v95
	v_fmac_f32_e32 v94, v39, v34
	s_delay_alu instid0(VALU_DEP_2) | instskip(NEXT) | instid1(VALU_DEP_2)
	v_fmac_f32_e32 v98, v38, v34
	v_pk_mul_f32 v[34:35], v[94:95], v[96:97] op_sel_hi:[0,1]
	s_delay_alu instid0(VALU_DEP_1) | instskip(SKIP_2) | instid1(VALU_DEP_3)
	v_pk_fma_f32 v[38:39], v[98:99], v[36:37], v[34:35] op_sel_hi:[0,1,1]
	v_pk_fma_f32 v[34:35], v[98:99], v[36:37], v[34:35] neg_lo:[0,0,1] neg_hi:[0,0,1]
	v_add_nc_u32_e64 v36, 0x2800, 0
	v_mov_b32_e32 v35, v39
	ds_store_2addr_b64 v36, v[34:35], v[34:35] offset0:21 offset1:84
.LBB59_387:                             ;   in Loop: Header=BB59_3 Depth=1
	s_or_b32 exec_lo, exec_lo, s57
	v_mov_b32_e32 v35, 0
	s_wait_dscnt 0x0
	s_barrier_signal -1
	s_barrier_wait -1
	s_delay_alu instid0(VALU_DEP_1)
	v_mov_b32_e32 v34, v35
	s_and_saveexec_b32 s57, s0
	s_cbranch_execz .LBB59_391
; %bb.388:                              ;   in Loop: Header=BB59_3 Depth=1
	ds_load_b64 v[34:35], v41 offset:10416
	ds_load_b64 v[36:37], v42 offset:10400
	s_wait_dscnt 0x0
	v_dual_mul_f32 v38, v37, v35 :: v_dual_mul_f32 v39, v36, v35
	s_delay_alu instid0(VALU_DEP_1) | instskip(NEXT) | instid1(VALU_DEP_1)
	v_dual_fma_f32 v38, v36, v34, -v38 :: v_dual_fmac_f32 v39, v37, v34
	v_pk_add_f32 v[34:35], v[38:39], 0 op_sel_hi:[1,0]
	s_and_saveexec_b32 s58, s15
	s_cbranch_execz .LBB59_390
; %bb.389:                              ;   in Loop: Header=BB59_3 Depth=1
	ds_load_b64 v[36:37], v53 offset:10928
	ds_load_b64 v[38:39], v5 offset:10408
	s_wait_dscnt 0x0
	v_pk_mul_f32 v[94:95], v[38:39], v[36:37] op_sel:[1,1] op_sel_hi:[0,1]
	s_delay_alu instid0(VALU_DEP_1) | instskip(SKIP_1) | instid1(VALU_DEP_2)
	v_pk_fma_f32 v[96:97], v[38:39], v[36:37], v[94:95] op_sel_hi:[1,0,1]
	v_pk_fma_f32 v[36:37], v[38:39], v[36:37], v[94:95] neg_lo:[0,0,1] neg_hi:[0,0,1]
	v_mov_b32_e32 v37, v97
	s_delay_alu instid0(VALU_DEP_1)
	v_pk_add_f32 v[34:35], v[34:35], v[36:37]
.LBB59_390:                             ;   in Loop: Header=BB59_3 Depth=1
	s_or_b32 exec_lo, exec_lo, s58
	s_delay_alu instid0(VALU_DEP_1)
	v_pk_add_f32 v[34:35], v[34:35], 0 neg_lo:[1,1] neg_hi:[1,1]
.LBB59_391:                             ;   in Loop: Header=BB59_3 Depth=1
	s_or_b32 exec_lo, exec_lo, s57
	s_and_saveexec_b32 s57, s96
	s_cbranch_execz .LBB59_393
; %bb.392:                              ;   in Loop: Header=BB59_3 Depth=1
	ds_load_b64 v[36:37], v5 offset:11440
	s_wait_dscnt 0x0
	v_pk_mul_f32 v[38:39], v[34:35], v[36:37] op_sel:[1,1] op_sel_hi:[1,0]
	s_delay_alu instid0(VALU_DEP_1) | instskip(SKIP_1) | instid1(VALU_DEP_2)
	v_pk_fma_f32 v[94:95], v[34:35], v[36:37], v[38:39] op_sel_hi:[0,1,1]
	v_pk_fma_f32 v[36:37], v[34:35], v[36:37], v[38:39] neg_lo:[0,0,1] neg_hi:[0,0,1]
	v_mov_b32_e32 v37, v95
	s_delay_alu instid0(VALU_DEP_1)
	v_mov_b64_e32 v[34:35], v[36:37]
	ds_store_b64 v3, v[36:37]
.LBB59_393:                             ;   in Loop: Header=BB59_3 Depth=1
	s_or_b32 exec_lo, exec_lo, s57
	s_wait_dscnt 0x0
	s_barrier_signal -1
	s_barrier_wait -1
	s_and_saveexec_b32 s57, s97
	s_cbranch_execz .LBB59_395
; %bb.394:                              ;   in Loop: Header=BB59_3 Depth=1
	ds_load_b64 v[36:37], v5 offset:11448
	ds_load_b64 v[38:39], v3
	s_wait_dscnt 0x0
	v_pk_mul_f32 v[94:95], v[38:39], v[36:37] op_sel:[1,1] op_sel_hi:[0,1]
	s_delay_alu instid0(VALU_DEP_1) | instskip(SKIP_1) | instid1(VALU_DEP_2)
	v_pk_fma_f32 v[96:97], v[38:39], v[36:37], v[94:95] op_sel_hi:[1,0,1]
	v_pk_fma_f32 v[36:37], v[38:39], v[36:37], v[94:95] neg_lo:[0,0,1] neg_hi:[0,0,1]
	v_mov_b32_e32 v37, v97
	s_delay_alu instid0(VALU_DEP_1)
	v_pk_add_f32 v[34:35], v[34:35], v[36:37]
.LBB59_395:                             ;   in Loop: Header=BB59_3 Depth=1
	s_or_b32 exec_lo, exec_lo, s57
	s_barrier_signal -1
	s_barrier_wait -1
	s_and_saveexec_b32 s57, s97
	s_cbranch_execz .LBB59_397
; %bb.396:                              ;   in Loop: Header=BB59_3 Depth=1
	ds_load_b64 v[36:37], v5 offset:11960
	s_wait_dscnt 0x0
	v_pk_mul_f32 v[38:39], v[34:35], v[36:37] op_sel:[1,1] op_sel_hi:[1,0]
	s_delay_alu instid0(VALU_DEP_1) | instskip(SKIP_1) | instid1(VALU_DEP_2)
	v_pk_fma_f32 v[94:95], v[34:35], v[36:37], v[38:39] op_sel_hi:[0,1,1]
	v_pk_fma_f32 v[36:37], v[34:35], v[36:37], v[38:39] neg_lo:[0,0,1] neg_hi:[0,0,1]
	v_mov_b32_e32 v37, v95
	s_delay_alu instid0(VALU_DEP_1)
	v_mov_b64_e32 v[34:35], v[36:37]
	ds_store_b64 v3, v[36:37]
.LBB59_397:                             ;   in Loop: Header=BB59_3 Depth=1
	s_or_b32 exec_lo, exec_lo, s57
	s_wait_dscnt 0x0
	s_barrier_signal -1
	s_barrier_wait -1
	s_barrier_signal -1
	s_barrier_wait -1
	s_and_saveexec_b32 s57, s0
; %bb.398:                              ;   in Loop: Header=BB59_3 Depth=1
	v_pk_add_f32 v[34:35], v[34:35], 0 neg_lo:[1,1] neg_hi:[1,1]
	ds_store_b64 v41, v[34:35] offset:10416
; %bb.399:                              ;   in Loop: Header=BB59_3 Depth=1
	s_or_b32 exec_lo, exec_lo, s57
	s_wait_dscnt 0x0
	s_barrier_signal -1
	s_barrier_wait -1
	s_barrier_signal -1
	s_barrier_wait -1
	s_and_saveexec_b32 s57, s98
	s_cbranch_execz .LBB59_401
; %bb.400:                              ;   in Loop: Header=BB59_3 Depth=1
	ds_load_b64 v[34:35], v55 offset:10416
	s_wait_dscnt 0x0
	ds_store_b64 v53, v[34:35] offset:11424
	ds_load_b64 v[34:35], v55 offset:10424
	s_wait_dscnt 0x0
	ds_store_b64 v53, v[34:35] offset:11936
.LBB59_401:                             ;   in Loop: Header=BB59_3 Depth=1
	s_or_b32 exec_lo, exec_lo, s57
	s_wait_dscnt 0x0
	s_barrier_signal -1
	s_barrier_wait -1
	s_and_saveexec_b32 s57, s14
	s_cbranch_execz .LBB59_403
; %bb.402:                              ;   in Loop: Header=BB59_3 Depth=1
	ds_load_b128 v[34:37], v5 offset:11440
	ds_load_b64 v[38:39], v5 offset:11960
	s_wait_dscnt 0x1
	v_dual_mov_b32 v96, v37 :: v_dual_mov_b32 v97, v36
	s_wait_dscnt 0x0
	v_dual_mul_f32 v95, v39, v35 :: v_dual_mul_f32 v94, v38, v35
	s_delay_alu instid0(VALU_DEP_1) | instskip(NEXT) | instid1(VALU_DEP_2)
	v_xor_b32_e32 v98, 0x80000000, v95
	v_fmac_f32_e32 v94, v39, v34
	s_delay_alu instid0(VALU_DEP_2) | instskip(NEXT) | instid1(VALU_DEP_2)
	v_fmac_f32_e32 v98, v38, v34
	v_pk_mul_f32 v[34:35], v[94:95], v[96:97] op_sel_hi:[0,1]
	s_delay_alu instid0(VALU_DEP_1) | instskip(SKIP_2) | instid1(VALU_DEP_3)
	v_pk_fma_f32 v[38:39], v[98:99], v[36:37], v[34:35] op_sel_hi:[0,1,1]
	v_pk_fma_f32 v[34:35], v[98:99], v[36:37], v[34:35] neg_lo:[0,0,1] neg_hi:[0,0,1]
	v_add_nc_u32_e64 v36, 0x2800, 0
	v_mov_b32_e32 v35, v39
	ds_store_2addr_b64 v36, v[34:35], v[34:35] offset0:151 offset1:214
.LBB59_403:                             ;   in Loop: Header=BB59_3 Depth=1
	s_or_b32 exec_lo, exec_lo, s57
	v_mov_b32_e32 v34, 0
	s_wait_dscnt 0x0
	s_barrier_signal -1
	s_barrier_wait -1
	s_delay_alu instid0(VALU_DEP_1)
	v_mov_b32_e32 v35, v34
	s_and_saveexec_b32 s66, s3
	s_cbranch_execz .LBB59_413
; %bb.404:                              ;   in Loop: Header=BB59_3 Depth=1
	ds_load_b64 v[34:35], v58 offset:8384
	ds_load_b64 v[36:37], v54 offset:8320
	s_wait_dscnt 0x0
	v_dual_mul_f32 v38, v37, v35 :: v_dual_mul_f32 v39, v36, v35
	s_delay_alu instid0(VALU_DEP_1) | instskip(NEXT) | instid1(VALU_DEP_1)
	v_dual_fma_f32 v35, v36, v34, -v38 :: v_dual_fmac_f32 v39, v37, v34
	v_add_f32_e32 v35, 0, v35
	s_delay_alu instid0(VALU_DEP_2)
	v_add_f32_e32 v34, 0, v39
	s_and_saveexec_b32 s57, s18
	s_cbranch_execnz .LBB59_1126
; %bb.405:                              ;   in Loop: Header=BB59_3 Depth=1
	s_or_b32 exec_lo, exec_lo, s57
	s_and_saveexec_b32 s57, s19
	s_cbranch_execnz .LBB59_1127
.LBB59_406:                             ;   in Loop: Header=BB59_3 Depth=1
	s_or_b32 exec_lo, exec_lo, s57
	s_and_saveexec_b32 s57, s20
	s_cbranch_execnz .LBB59_1128
.LBB59_407:                             ;   in Loop: Header=BB59_3 Depth=1
	s_or_b32 exec_lo, exec_lo, s57
	s_and_saveexec_b32 s57, s21
	s_cbranch_execnz .LBB59_1129
.LBB59_408:                             ;   in Loop: Header=BB59_3 Depth=1
	s_or_b32 exec_lo, exec_lo, s57
	s_and_saveexec_b32 s57, s22
	s_cbranch_execnz .LBB59_1130
.LBB59_409:                             ;   in Loop: Header=BB59_3 Depth=1
	s_or_b32 exec_lo, exec_lo, s57
	s_and_saveexec_b32 s57, s2
	s_cbranch_execnz .LBB59_1131
.LBB59_410:                             ;   in Loop: Header=BB59_3 Depth=1
	s_or_b32 exec_lo, exec_lo, s57
	s_and_saveexec_b32 s57, s17
	s_cbranch_execz .LBB59_412
.LBB59_411:                             ;   in Loop: Header=BB59_3 Depth=1
	ds_load_b64 v[36:37], v68 offset:11968
	ds_load_b64 v[38:39], v5 offset:8376
	s_wait_dscnt 0x0
	v_pk_mul_f32 v[94:95], v[38:39], v[36:37] op_sel:[0,1]
	s_delay_alu instid0(VALU_DEP_1) | instskip(SKIP_1) | instid1(VALU_DEP_2)
	v_pk_fma_f32 v[96:97], v[38:39], v[36:37], v[94:95] op_sel:[1,0,0] op_sel_hi:[0,0,1] neg_lo:[0,0,1] neg_hi:[0,0,1]
	v_pk_fma_f32 v[36:37], v[38:39], v[36:37], v[94:95] op_sel:[1,0,0] op_sel_hi:[0,1,1]
	v_mov_b32_e32 v37, v97
	s_delay_alu instid0(VALU_DEP_1)
	v_pk_add_f32 v[34:35], v[34:35], v[36:37]
.LBB59_412:                             ;   in Loop: Header=BB59_3 Depth=1
	s_or_b32 exec_lo, exec_lo, s57
	s_delay_alu instid0(VALU_DEP_1) | instskip(NEXT) | instid1(VALU_DEP_1)
	v_pk_add_f32 v[36:37], v[34:35], 0 neg_lo:[1,1] neg_hi:[1,1]
	v_dual_mov_b32 v34, v37 :: v_dual_mov_b32 v35, v36
.LBB59_413:                             ;   in Loop: Header=BB59_3 Depth=1
	s_or_b32 exec_lo, exec_lo, s66
	s_and_saveexec_b32 s57, s39
	s_cbranch_execz .LBB59_415
; %bb.414:                              ;   in Loop: Header=BB59_3 Depth=1
	ds_load_b64 v[36:37], v5 offset:12480
	v_dual_mov_b32 v38, v35 :: v_dual_mov_b32 v39, v34
	s_wait_dscnt 0x0
	s_delay_alu instid0(VALU_DEP_1) | instskip(NEXT) | instid1(VALU_DEP_1)
	v_dual_mul_f32 v94, v38, v36 :: v_dual_mul_f32 v96, v35, v37
	v_pk_fma_f32 v[38:39], v[38:39], v[36:37], v[94:95] op_sel_hi:[1,1,0]
	s_delay_alu instid0(VALU_DEP_2) | instskip(NEXT) | instid1(VALU_DEP_2)
	v_pk_fma_f32 v[34:35], v[34:35], v[36:37], v[96:97] op_sel_hi:[1,1,0] neg_lo:[0,0,1] neg_hi:[0,0,1]
	v_mov_b32_e32 v35, v39
	ds_store_b64 v57, v[34:35]
.LBB59_415:                             ;   in Loop: Header=BB59_3 Depth=1
	s_or_b32 exec_lo, exec_lo, s57
	s_wait_dscnt 0x0
	s_barrier_signal -1
	s_barrier_wait -1
	s_and_saveexec_b32 s57, s40
	s_cbranch_execz .LBB59_417
; %bb.416:                              ;   in Loop: Header=BB59_3 Depth=1
	ds_load_b64 v[36:37], v56 offset:12480
	ds_load_b64 v[38:39], v57
	s_wait_dscnt 0x0
	v_dual_mul_f32 v94, v39, v37 :: v_dual_mul_f32 v95, v38, v37
	s_delay_alu instid0(VALU_DEP_1) | instskip(NEXT) | instid1(VALU_DEP_1)
	v_dual_fma_f32 v94, v38, v36, -v94 :: v_dual_fmac_f32 v95, v39, v36
	v_pk_add_f32 v[34:35], v[34:35], v[94:95]
.LBB59_417:                             ;   in Loop: Header=BB59_3 Depth=1
	s_or_b32 exec_lo, exec_lo, s57
	s_barrier_signal -1
	s_barrier_wait -1
	s_and_saveexec_b32 s57, s41
	s_cbranch_execz .LBB59_419
; %bb.418:                              ;   in Loop: Header=BB59_3 Depth=1
	ds_load_b64 v[36:37], v5 offset:13000
	s_wait_dscnt 0x0
	v_pk_mul_f32 v[38:39], v[34:35], v[36:37] op_sel:[1,1] op_sel_hi:[1,0]
	s_delay_alu instid0(VALU_DEP_1) | instskip(SKIP_1) | instid1(VALU_DEP_2)
	v_pk_fma_f32 v[94:95], v[34:35], v[36:37], v[38:39] op_sel_hi:[0,1,1]
	v_pk_fma_f32 v[34:35], v[34:35], v[36:37], v[38:39] op_sel_hi:[0,1,1] neg_lo:[0,0,1] neg_hi:[0,0,1]
	v_mov_b32_e32 v35, v95
	ds_store_b64 v57, v[34:35]
.LBB59_419:                             ;   in Loop: Header=BB59_3 Depth=1
	s_or_b32 exec_lo, exec_lo, s57
	s_wait_dscnt 0x0
	s_barrier_signal -1
	s_barrier_wait -1
	s_and_saveexec_b32 s57, s42
	s_cbranch_execz .LBB59_421
; %bb.420:                              ;   in Loop: Header=BB59_3 Depth=1
	ds_load_b64 v[36:37], v56 offset:12992
	ds_load_b64 v[38:39], v57
	s_wait_dscnt 0x0
	v_pk_mul_f32 v[94:95], v[38:39], v[36:37] op_sel:[1,1] op_sel_hi:[0,1]
	s_delay_alu instid0(VALU_DEP_1) | instskip(SKIP_1) | instid1(VALU_DEP_2)
	v_pk_fma_f32 v[96:97], v[38:39], v[36:37], v[94:95] op_sel_hi:[1,0,1]
	v_pk_fma_f32 v[36:37], v[38:39], v[36:37], v[94:95] op_sel_hi:[1,0,1] neg_lo:[0,0,1] neg_hi:[0,0,1]
	v_mov_b32_e32 v37, v97
	s_delay_alu instid0(VALU_DEP_1)
	v_pk_add_f32 v[34:35], v[34:35], v[36:37]
.LBB59_421:                             ;   in Loop: Header=BB59_3 Depth=1
	s_or_b32 exec_lo, exec_lo, s57
	s_barrier_signal -1
	s_barrier_wait -1
	s_and_saveexec_b32 s57, s43
	s_cbranch_execz .LBB59_423
; %bb.422:                              ;   in Loop: Header=BB59_3 Depth=1
	ds_load_b64 v[36:37], v5 offset:13520
	s_wait_dscnt 0x0
	v_pk_mul_f32 v[38:39], v[34:35], v[36:37] op_sel:[1,1] op_sel_hi:[1,0]
	s_delay_alu instid0(VALU_DEP_1) | instskip(SKIP_1) | instid1(VALU_DEP_2)
	v_pk_fma_f32 v[94:95], v[34:35], v[36:37], v[38:39] op_sel_hi:[0,1,1]
	v_pk_fma_f32 v[34:35], v[34:35], v[36:37], v[38:39] op_sel_hi:[0,1,1] neg_lo:[0,0,1] neg_hi:[0,0,1]
	v_mov_b32_e32 v35, v95
	ds_store_b64 v57, v[34:35]
.LBB59_423:                             ;   in Loop: Header=BB59_3 Depth=1
	s_or_b32 exec_lo, exec_lo, s57
	s_wait_dscnt 0x0
	s_barrier_signal -1
	s_barrier_wait -1
	s_and_saveexec_b32 s57, s44
	s_cbranch_execz .LBB59_425
; %bb.424:                              ;   in Loop: Header=BB59_3 Depth=1
	ds_load_b64 v[36:37], v56 offset:13504
	ds_load_b64 v[38:39], v57
	s_wait_dscnt 0x0
	v_pk_mul_f32 v[94:95], v[38:39], v[36:37] op_sel:[1,1] op_sel_hi:[0,1]
	s_delay_alu instid0(VALU_DEP_1) | instskip(SKIP_1) | instid1(VALU_DEP_2)
	v_pk_fma_f32 v[96:97], v[38:39], v[36:37], v[94:95] op_sel_hi:[1,0,1]
	v_pk_fma_f32 v[36:37], v[38:39], v[36:37], v[94:95] op_sel_hi:[1,0,1] neg_lo:[0,0,1] neg_hi:[0,0,1]
	v_mov_b32_e32 v37, v97
	s_delay_alu instid0(VALU_DEP_1)
	v_pk_add_f32 v[34:35], v[34:35], v[36:37]
.LBB59_425:                             ;   in Loop: Header=BB59_3 Depth=1
	;; [unrolled: 33-line block ×3, first 2 shown]
	s_or_b32 exec_lo, exec_lo, s57
	s_barrier_signal -1
	s_barrier_wait -1
	s_and_saveexec_b32 s57, s47
	s_cbranch_execz .LBB59_431
; %bb.430:                              ;   in Loop: Header=BB59_3 Depth=1
	ds_load_b64 v[36:37], v5 offset:14560
	s_wait_dscnt 0x0
	v_dual_mul_f32 v38, v34, v37 :: v_dual_mul_f32 v94, v35, v37
	s_delay_alu instid0(VALU_DEP_1) | instskip(NEXT) | instid1(VALU_DEP_2)
	v_pk_fma_f32 v[38:39], v[34:35], v[36:37], v[38:39] op_sel:[0,1,0] op_sel_hi:[1,0,0]
	v_pk_fma_f32 v[36:37], v[34:35], v[36:37], v[94:95] op_sel_hi:[1,1,0] neg_lo:[0,0,1] neg_hi:[0,0,1]
	s_delay_alu instid0(VALU_DEP_2) | instskip(NEXT) | instid1(VALU_DEP_1)
	v_mov_b32_e32 v37, v39
	v_mov_b64_e32 v[34:35], v[36:37]
	ds_store_b64 v57, v[36:37]
.LBB59_431:                             ;   in Loop: Header=BB59_3 Depth=1
	s_or_b32 exec_lo, exec_lo, s57
	s_wait_dscnt 0x0
	s_barrier_signal -1
	s_barrier_wait -1
	s_and_saveexec_b32 s57, s48
	s_cbranch_execz .LBB59_433
; %bb.432:                              ;   in Loop: Header=BB59_3 Depth=1
	ds_load_b64 v[36:37], v56 offset:14528
	ds_load_b64 v[38:39], v57
	s_wait_dscnt 0x0
	v_dual_mul_f32 v94, v39, v37 :: v_dual_mul_f32 v95, v38, v37
	s_delay_alu instid0(VALU_DEP_1) | instskip(NEXT) | instid1(VALU_DEP_1)
	v_dual_fma_f32 v94, v38, v36, -v94 :: v_dual_fmac_f32 v95, v39, v36
	v_pk_add_f32 v[34:35], v[34:35], v[94:95]
.LBB59_433:                             ;   in Loop: Header=BB59_3 Depth=1
	s_or_b32 exec_lo, exec_lo, s57
	s_barrier_signal -1
	s_barrier_wait -1
	s_and_saveexec_b32 s57, s49
	s_cbranch_execz .LBB59_435
; %bb.434:                              ;   in Loop: Header=BB59_3 Depth=1
	ds_load_b64 v[36:37], v5 offset:15080
	s_wait_dscnt 0x0
	v_pk_mul_f32 v[38:39], v[34:35], v[36:37] op_sel:[1,1] op_sel_hi:[1,0]
	s_delay_alu instid0(VALU_DEP_1) | instskip(SKIP_1) | instid1(VALU_DEP_2)
	v_pk_fma_f32 v[94:95], v[34:35], v[36:37], v[38:39] op_sel_hi:[0,1,1]
	v_pk_fma_f32 v[36:37], v[34:35], v[36:37], v[38:39] neg_lo:[0,0,1] neg_hi:[0,0,1]
	v_mov_b32_e32 v37, v95
	s_delay_alu instid0(VALU_DEP_1)
	v_mov_b64_e32 v[34:35], v[36:37]
	ds_store_b64 v57, v[36:37]
.LBB59_435:                             ;   in Loop: Header=BB59_3 Depth=1
	s_or_b32 exec_lo, exec_lo, s57
	s_wait_dscnt 0x0
	s_barrier_signal -1
	s_barrier_wait -1
	s_and_saveexec_b32 s57, s50
	s_cbranch_execz .LBB59_437
; %bb.436:                              ;   in Loop: Header=BB59_3 Depth=1
	ds_load_b64 v[36:37], v56 offset:15040
	ds_load_b64 v[38:39], v57
	s_wait_dscnt 0x0
	v_pk_mul_f32 v[94:95], v[38:39], v[36:37] op_sel:[1,1] op_sel_hi:[0,1]
	s_delay_alu instid0(VALU_DEP_1) | instskip(SKIP_1) | instid1(VALU_DEP_2)
	v_pk_fma_f32 v[96:97], v[38:39], v[36:37], v[94:95] op_sel_hi:[1,0,1]
	v_pk_fma_f32 v[36:37], v[38:39], v[36:37], v[94:95] neg_lo:[0,0,1] neg_hi:[0,0,1]
	v_mov_b32_e32 v37, v97
	s_delay_alu instid0(VALU_DEP_1)
	v_pk_add_f32 v[34:35], v[34:35], v[36:37]
.LBB59_437:                             ;   in Loop: Header=BB59_3 Depth=1
	s_or_b32 exec_lo, exec_lo, s57
	s_barrier_signal -1
	s_barrier_wait -1
	s_and_saveexec_b32 s57, s51
	s_cbranch_execz .LBB59_439
; %bb.438:                              ;   in Loop: Header=BB59_3 Depth=1
	ds_load_b64 v[36:37], v5 offset:15600
	s_wait_dscnt 0x0
	v_pk_mul_f32 v[38:39], v[34:35], v[36:37] op_sel:[1,1] op_sel_hi:[1,0]
	s_delay_alu instid0(VALU_DEP_1) | instskip(SKIP_1) | instid1(VALU_DEP_2)
	v_pk_fma_f32 v[94:95], v[34:35], v[36:37], v[38:39] op_sel_hi:[0,1,1]
	v_pk_fma_f32 v[36:37], v[34:35], v[36:37], v[38:39] neg_lo:[0,0,1] neg_hi:[0,0,1]
	v_mov_b32_e32 v37, v95
	s_delay_alu instid0(VALU_DEP_1)
	v_mov_b64_e32 v[34:35], v[36:37]
	ds_store_b64 v57, v[36:37]
.LBB59_439:                             ;   in Loop: Header=BB59_3 Depth=1
	s_or_b32 exec_lo, exec_lo, s57
	s_wait_dscnt 0x0
	s_barrier_signal -1
	s_barrier_wait -1
	s_and_saveexec_b32 s57, s52
	s_cbranch_execz .LBB59_441
; %bb.440:                              ;   in Loop: Header=BB59_3 Depth=1
	ds_load_b64 v[36:37], v5 offset:15608
	ds_load_b64 v[38:39], v57
	s_wait_dscnt 0x0
	v_pk_mul_f32 v[94:95], v[38:39], v[36:37] op_sel:[1,1] op_sel_hi:[0,1]
	s_delay_alu instid0(VALU_DEP_1) | instskip(SKIP_1) | instid1(VALU_DEP_2)
	v_pk_fma_f32 v[96:97], v[38:39], v[36:37], v[94:95] op_sel_hi:[1,0,1]
	v_pk_fma_f32 v[36:37], v[38:39], v[36:37], v[94:95] neg_lo:[0,0,1] neg_hi:[0,0,1]
	v_mov_b32_e32 v37, v97
	s_delay_alu instid0(VALU_DEP_1)
	v_pk_add_f32 v[34:35], v[34:35], v[36:37]
.LBB59_441:                             ;   in Loop: Header=BB59_3 Depth=1
	s_or_b32 exec_lo, exec_lo, s57
	s_barrier_signal -1
	s_barrier_wait -1
	s_and_saveexec_b32 s57, s52
	s_cbranch_execz .LBB59_443
; %bb.442:                              ;   in Loop: Header=BB59_3 Depth=1
	ds_load_b64 v[36:37], v5 offset:16120
	s_wait_dscnt 0x0
	v_pk_mul_f32 v[38:39], v[34:35], v[36:37] op_sel:[1,1] op_sel_hi:[1,0]
	s_delay_alu instid0(VALU_DEP_1) | instskip(SKIP_1) | instid1(VALU_DEP_2)
	v_pk_fma_f32 v[94:95], v[34:35], v[36:37], v[38:39] op_sel_hi:[0,1,1]
	v_pk_fma_f32 v[36:37], v[34:35], v[36:37], v[38:39] neg_lo:[0,0,1] neg_hi:[0,0,1]
	v_mov_b32_e32 v37, v95
	s_delay_alu instid0(VALU_DEP_1)
	v_mov_b64_e32 v[34:35], v[36:37]
	ds_store_b64 v57, v[36:37]
.LBB59_443:                             ;   in Loop: Header=BB59_3 Depth=1
	s_or_b32 exec_lo, exec_lo, s57
	s_wait_dscnt 0x0
	s_barrier_signal -1
	s_barrier_wait -1
	s_barrier_signal -1
	s_barrier_wait -1
	s_and_saveexec_b32 s57, s3
; %bb.444:                              ;   in Loop: Header=BB59_3 Depth=1
	v_pk_add_f32 v[34:35], v[34:35], 0 neg_lo:[1,1] neg_hi:[1,1]
	ds_store_b64 v58, v[34:35] offset:8384
; %bb.445:                              ;   in Loop: Header=BB59_3 Depth=1
	s_or_b32 exec_lo, exec_lo, s57
	s_wait_dscnt 0x0
	s_barrier_signal -1
	s_barrier_wait -1
	s_barrier_signal -1
	s_barrier_wait -1
	s_and_saveexec_b32 s57, s53
	s_cbranch_execz .LBB59_447
; %bb.446:                              ;   in Loop: Header=BB59_3 Depth=1
	ds_load_b64 v[34:35], v69 offset:8384
	s_wait_dscnt 0x0
	ds_store_b64 v70, v[34:35] offset:12416
	ds_load_b64 v[34:35], v69 offset:8392
	s_wait_dscnt 0x0
	ds_store_b64 v70, v[34:35] offset:12928
	;; [unrolled: 3-line block ×8, first 2 shown]
.LBB59_447:                             ;   in Loop: Header=BB59_3 Depth=1
	s_or_b32 exec_lo, exec_lo, s57
	s_wait_dscnt 0x0
	s_barrier_signal -1
	s_barrier_wait -1
	s_and_saveexec_b32 s57, s14
	s_cbranch_execz .LBB59_449
; %bb.448:                              ;   in Loop: Header=BB59_3 Depth=1
	ds_load_b128 v[34:37], v5 offset:12480
	ds_load_b64 v[38:39], v5 offset:13000
	s_wait_dscnt 0x1
	v_dual_mov_b32 v96, v37 :: v_dual_mov_b32 v97, v36
	s_wait_dscnt 0x0
	v_dual_mul_f32 v95, v39, v35 :: v_dual_mul_f32 v94, v38, v35
	s_delay_alu instid0(VALU_DEP_1) | instskip(NEXT) | instid1(VALU_DEP_2)
	v_xor_b32_e32 v98, 0x80000000, v95
	v_fmac_f32_e32 v94, v39, v34
	s_delay_alu instid0(VALU_DEP_2) | instskip(NEXT) | instid1(VALU_DEP_2)
	v_fmac_f32_e32 v98, v38, v34
	v_pk_mul_f32 v[34:35], v[94:95], v[96:97] op_sel_hi:[0,1]
	s_delay_alu instid0(VALU_DEP_1) | instskip(SKIP_2) | instid1(VALU_DEP_3)
	v_pk_fma_f32 v[38:39], v[98:99], v[36:37], v[34:35] op_sel_hi:[0,1,1]
	v_pk_fma_f32 v[34:35], v[98:99], v[36:37], v[34:35] neg_lo:[0,0,1] neg_hi:[0,0,1]
	v_add_nc_u32_e64 v36, 0x3000, 0
	v_mov_b32_e32 v35, v39
	ds_store_2addr_b64 v36, v[34:35], v[34:35] offset0:25 offset1:88
.LBB59_449:                             ;   in Loop: Header=BB59_3 Depth=1
	s_or_b32 exec_lo, exec_lo, s57
	v_mov_b32_e32 v35, 0
	s_wait_dscnt 0x0
	s_barrier_signal -1
	s_barrier_wait -1
	s_delay_alu instid0(VALU_DEP_1)
	v_mov_b32_e32 v34, v35
	s_and_saveexec_b32 s57, s0
	s_cbranch_execz .LBB59_453
; %bb.450:                              ;   in Loop: Header=BB59_3 Depth=1
	ds_load_b64 v[34:35], v41 offset:12496
	ds_load_b64 v[36:37], v42 offset:12480
	s_wait_dscnt 0x0
	v_dual_mul_f32 v38, v37, v35 :: v_dual_mul_f32 v39, v36, v35
	s_delay_alu instid0(VALU_DEP_1) | instskip(NEXT) | instid1(VALU_DEP_1)
	v_dual_fma_f32 v38, v36, v34, -v38 :: v_dual_fmac_f32 v39, v37, v34
	v_pk_add_f32 v[34:35], v[38:39], 0 op_sel_hi:[1,0]
	s_and_saveexec_b32 s58, s15
	s_cbranch_execz .LBB59_452
; %bb.451:                              ;   in Loop: Header=BB59_3 Depth=1
	ds_load_b64 v[36:37], v70 offset:13008
	ds_load_b64 v[38:39], v5 offset:12488
	s_wait_dscnt 0x0
	v_pk_mul_f32 v[94:95], v[38:39], v[36:37] op_sel:[1,1] op_sel_hi:[0,1]
	s_delay_alu instid0(VALU_DEP_1) | instskip(SKIP_1) | instid1(VALU_DEP_2)
	v_pk_fma_f32 v[96:97], v[38:39], v[36:37], v[94:95] op_sel_hi:[1,0,1]
	v_pk_fma_f32 v[36:37], v[38:39], v[36:37], v[94:95] neg_lo:[0,0,1] neg_hi:[0,0,1]
	v_mov_b32_e32 v37, v97
	s_delay_alu instid0(VALU_DEP_1)
	v_pk_add_f32 v[34:35], v[34:35], v[36:37]
.LBB59_452:                             ;   in Loop: Header=BB59_3 Depth=1
	s_or_b32 exec_lo, exec_lo, s58
	s_delay_alu instid0(VALU_DEP_1)
	v_pk_add_f32 v[34:35], v[34:35], 0 neg_lo:[1,1] neg_hi:[1,1]
.LBB59_453:                             ;   in Loop: Header=BB59_3 Depth=1
	s_or_b32 exec_lo, exec_lo, s57
	s_and_saveexec_b32 s57, s96
	s_cbranch_execz .LBB59_455
; %bb.454:                              ;   in Loop: Header=BB59_3 Depth=1
	ds_load_b64 v[36:37], v5 offset:13520
	s_wait_dscnt 0x0
	v_pk_mul_f32 v[38:39], v[34:35], v[36:37] op_sel:[1,1] op_sel_hi:[1,0]
	s_delay_alu instid0(VALU_DEP_1) | instskip(SKIP_1) | instid1(VALU_DEP_2)
	v_pk_fma_f32 v[94:95], v[34:35], v[36:37], v[38:39] op_sel_hi:[0,1,1]
	v_pk_fma_f32 v[36:37], v[34:35], v[36:37], v[38:39] neg_lo:[0,0,1] neg_hi:[0,0,1]
	v_mov_b32_e32 v37, v95
	s_delay_alu instid0(VALU_DEP_1)
	v_mov_b64_e32 v[34:35], v[36:37]
	ds_store_b64 v3, v[36:37]
.LBB59_455:                             ;   in Loop: Header=BB59_3 Depth=1
	s_or_b32 exec_lo, exec_lo, s57
	s_wait_dscnt 0x0
	s_barrier_signal -1
	s_barrier_wait -1
	s_and_saveexec_b32 s57, s97
	s_cbranch_execz .LBB59_457
; %bb.456:                              ;   in Loop: Header=BB59_3 Depth=1
	ds_load_b64 v[36:37], v5 offset:13528
	ds_load_b64 v[38:39], v3
	s_wait_dscnt 0x0
	v_pk_mul_f32 v[94:95], v[38:39], v[36:37] op_sel:[1,1] op_sel_hi:[0,1]
	s_delay_alu instid0(VALU_DEP_1) | instskip(SKIP_1) | instid1(VALU_DEP_2)
	v_pk_fma_f32 v[96:97], v[38:39], v[36:37], v[94:95] op_sel_hi:[1,0,1]
	v_pk_fma_f32 v[36:37], v[38:39], v[36:37], v[94:95] neg_lo:[0,0,1] neg_hi:[0,0,1]
	v_mov_b32_e32 v37, v97
	s_delay_alu instid0(VALU_DEP_1)
	v_pk_add_f32 v[34:35], v[34:35], v[36:37]
.LBB59_457:                             ;   in Loop: Header=BB59_3 Depth=1
	s_or_b32 exec_lo, exec_lo, s57
	s_barrier_signal -1
	s_barrier_wait -1
	s_and_saveexec_b32 s57, s97
	s_cbranch_execz .LBB59_459
; %bb.458:                              ;   in Loop: Header=BB59_3 Depth=1
	ds_load_b64 v[36:37], v5 offset:14040
	s_wait_dscnt 0x0
	v_pk_mul_f32 v[38:39], v[34:35], v[36:37] op_sel:[1,1] op_sel_hi:[1,0]
	s_delay_alu instid0(VALU_DEP_1) | instskip(SKIP_1) | instid1(VALU_DEP_2)
	v_pk_fma_f32 v[94:95], v[34:35], v[36:37], v[38:39] op_sel_hi:[0,1,1]
	v_pk_fma_f32 v[36:37], v[34:35], v[36:37], v[38:39] neg_lo:[0,0,1] neg_hi:[0,0,1]
	v_mov_b32_e32 v37, v95
	s_delay_alu instid0(VALU_DEP_1)
	v_mov_b64_e32 v[34:35], v[36:37]
	ds_store_b64 v3, v[36:37]
.LBB59_459:                             ;   in Loop: Header=BB59_3 Depth=1
	s_or_b32 exec_lo, exec_lo, s57
	s_wait_dscnt 0x0
	s_barrier_signal -1
	s_barrier_wait -1
	s_barrier_signal -1
	s_barrier_wait -1
	s_and_saveexec_b32 s57, s0
; %bb.460:                              ;   in Loop: Header=BB59_3 Depth=1
	v_pk_add_f32 v[34:35], v[34:35], 0 neg_lo:[1,1] neg_hi:[1,1]
	ds_store_b64 v41, v[34:35] offset:12496
; %bb.461:                              ;   in Loop: Header=BB59_3 Depth=1
	s_or_b32 exec_lo, exec_lo, s57
	s_wait_dscnt 0x0
	s_barrier_signal -1
	s_barrier_wait -1
	s_barrier_signal -1
	s_barrier_wait -1
	s_and_saveexec_b32 s57, s98
	s_cbranch_execz .LBB59_463
; %bb.462:                              ;   in Loop: Header=BB59_3 Depth=1
	ds_load_b64 v[34:35], v71 offset:12496
	s_wait_dscnt 0x0
	ds_store_b64 v70, v[34:35] offset:13504
	ds_load_b64 v[34:35], v71 offset:12504
	s_wait_dscnt 0x0
	ds_store_b64 v70, v[34:35] offset:14016
.LBB59_463:                             ;   in Loop: Header=BB59_3 Depth=1
	s_or_b32 exec_lo, exec_lo, s57
	s_wait_dscnt 0x0
	s_barrier_signal -1
	s_barrier_wait -1
	s_and_saveexec_b32 s57, s14
	s_cbranch_execz .LBB59_465
; %bb.464:                              ;   in Loop: Header=BB59_3 Depth=1
	ds_load_b128 v[34:37], v5 offset:13520
	ds_load_b64 v[38:39], v5 offset:14040
	s_wait_dscnt 0x1
	v_dual_mov_b32 v96, v37 :: v_dual_mov_b32 v97, v36
	s_wait_dscnt 0x0
	v_dual_mul_f32 v95, v39, v35 :: v_dual_mul_f32 v94, v38, v35
	s_delay_alu instid0(VALU_DEP_1) | instskip(NEXT) | instid1(VALU_DEP_2)
	v_xor_b32_e32 v98, 0x80000000, v95
	v_fmac_f32_e32 v94, v39, v34
	s_delay_alu instid0(VALU_DEP_2) | instskip(NEXT) | instid1(VALU_DEP_2)
	v_fmac_f32_e32 v98, v38, v34
	v_pk_mul_f32 v[34:35], v[94:95], v[96:97] op_sel_hi:[0,1]
	s_delay_alu instid0(VALU_DEP_1) | instskip(SKIP_2) | instid1(VALU_DEP_3)
	v_pk_fma_f32 v[38:39], v[98:99], v[36:37], v[34:35] op_sel_hi:[0,1,1]
	v_pk_fma_f32 v[34:35], v[98:99], v[36:37], v[34:35] neg_lo:[0,0,1] neg_hi:[0,0,1]
	v_add_nc_u32_e64 v36, 0x3000, 0
	v_mov_b32_e32 v35, v39
	ds_store_2addr_b64 v36, v[34:35], v[34:35] offset0:155 offset1:218
.LBB59_465:                             ;   in Loop: Header=BB59_3 Depth=1
	s_or_b32 exec_lo, exec_lo, s57
	v_mov_b32_e32 v34, 0
	s_wait_dscnt 0x0
	s_barrier_signal -1
	s_barrier_wait -1
	s_delay_alu instid0(VALU_DEP_1)
	v_mov_b32_e32 v35, v34
	s_and_saveexec_b32 s66, s2
	s_cbranch_execz .LBB59_471
; %bb.466:                              ;   in Loop: Header=BB59_3 Depth=1
	ds_load_b64 v[34:35], v48 offset:12512
	ds_load_b64 v[36:37], v44 offset:12480
	s_wait_dscnt 0x0
	v_pk_mul_f32 v[38:39], v[36:37], v[34:35] op_sel:[0,1]
	s_delay_alu instid0(VALU_DEP_1) | instskip(SKIP_1) | instid1(VALU_DEP_2)
	v_pk_fma_f32 v[94:95], v[36:37], v[34:35], v[38:39] op_sel:[1,0,0] op_sel_hi:[0,0,1] neg_lo:[0,0,1] neg_hi:[0,0,1]
	v_pk_fma_f32 v[34:35], v[36:37], v[34:35], v[38:39] op_sel:[1,0,0] op_sel_hi:[0,1,1]
	v_mov_b32_e32 v35, v95
	s_delay_alu instid0(VALU_DEP_1)
	v_pk_add_f32 v[34:35], v[34:35], 0 op_sel_hi:[1,0]
	s_and_saveexec_b32 s57, s16
	s_cbranch_execnz .LBB59_1132
; %bb.467:                              ;   in Loop: Header=BB59_3 Depth=1
	s_or_b32 exec_lo, exec_lo, s57
	s_and_saveexec_b32 s57, s17
	s_cbranch_execnz .LBB59_1133
.LBB59_468:                             ;   in Loop: Header=BB59_3 Depth=1
	s_or_b32 exec_lo, exec_lo, s57
	s_and_saveexec_b32 s57, s0
	s_cbranch_execz .LBB59_470
.LBB59_469:                             ;   in Loop: Header=BB59_3 Depth=1
	ds_load_b64 v[36:37], v72 offset:14048
	ds_load_b64 v[38:39], v5 offset:12504
	s_wait_dscnt 0x0
	v_pk_mul_f32 v[94:95], v[38:39], v[36:37] op_sel:[0,1]
	s_delay_alu instid0(VALU_DEP_1) | instskip(SKIP_1) | instid1(VALU_DEP_2)
	v_pk_fma_f32 v[96:97], v[38:39], v[36:37], v[94:95] op_sel:[1,0,0] op_sel_hi:[0,0,1] neg_lo:[0,0,1] neg_hi:[0,0,1]
	v_pk_fma_f32 v[36:37], v[38:39], v[36:37], v[94:95] op_sel:[1,0,0] op_sel_hi:[0,1,1]
	v_mov_b32_e32 v37, v97
	s_delay_alu instid0(VALU_DEP_1)
	v_pk_add_f32 v[34:35], v[34:35], v[36:37]
.LBB59_470:                             ;   in Loop: Header=BB59_3 Depth=1
	s_or_b32 exec_lo, exec_lo, s57
	s_delay_alu instid0(VALU_DEP_1) | instskip(NEXT) | instid1(VALU_DEP_1)
	v_pk_add_f32 v[36:37], v[34:35], 0 neg_lo:[1,1] neg_hi:[1,1]
	v_dual_mov_b32 v34, v37 :: v_dual_mov_b32 v35, v36
.LBB59_471:                             ;   in Loop: Header=BB59_3 Depth=1
	s_or_b32 exec_lo, exec_lo, s66
	s_and_saveexec_b32 s57, s99
	s_cbranch_execz .LBB59_473
; %bb.472:                              ;   in Loop: Header=BB59_3 Depth=1
	ds_load_b64 v[36:37], v5 offset:14560
	v_dual_mov_b32 v38, v35 :: v_dual_mov_b32 v39, v34
	s_wait_dscnt 0x0
	s_delay_alu instid0(VALU_DEP_1) | instskip(NEXT) | instid1(VALU_DEP_1)
	v_dual_mul_f32 v94, v38, v36 :: v_dual_mul_f32 v96, v35, v37
	v_pk_fma_f32 v[38:39], v[38:39], v[36:37], v[94:95] op_sel_hi:[1,1,0]
	s_delay_alu instid0(VALU_DEP_2) | instskip(NEXT) | instid1(VALU_DEP_2)
	v_pk_fma_f32 v[34:35], v[34:35], v[36:37], v[96:97] op_sel_hi:[1,1,0] neg_lo:[0,0,1] neg_hi:[0,0,1]
	v_mov_b32_e32 v35, v39
	ds_store_b64 v47, v[34:35]
.LBB59_473:                             ;   in Loop: Header=BB59_3 Depth=1
	s_or_b32 exec_lo, exec_lo, s57
	s_wait_dscnt 0x0
	s_barrier_signal -1
	s_barrier_wait -1
	s_and_saveexec_b32 s57, s100
	s_cbranch_execz .LBB59_475
; %bb.474:                              ;   in Loop: Header=BB59_3 Depth=1
	ds_load_b64 v[36:37], v45 offset:14560
	ds_load_b64 v[38:39], v47
	s_wait_dscnt 0x0
	v_dual_mul_f32 v94, v39, v37 :: v_dual_mul_f32 v95, v38, v37
	s_delay_alu instid0(VALU_DEP_1) | instskip(NEXT) | instid1(VALU_DEP_1)
	v_dual_fma_f32 v94, v38, v36, -v94 :: v_dual_fmac_f32 v95, v39, v36
	v_pk_add_f32 v[34:35], v[34:35], v[94:95]
.LBB59_475:                             ;   in Loop: Header=BB59_3 Depth=1
	s_or_b32 exec_lo, exec_lo, s57
	s_barrier_signal -1
	s_barrier_wait -1
	s_and_saveexec_b32 s57, s101
	s_cbranch_execz .LBB59_477
; %bb.476:                              ;   in Loop: Header=BB59_3 Depth=1
	ds_load_b64 v[36:37], v5 offset:15080
	s_wait_dscnt 0x0
	v_pk_mul_f32 v[38:39], v[34:35], v[36:37] op_sel:[1,1] op_sel_hi:[1,0]
	s_delay_alu instid0(VALU_DEP_1) | instskip(SKIP_1) | instid1(VALU_DEP_2)
	v_pk_fma_f32 v[94:95], v[34:35], v[36:37], v[38:39] op_sel_hi:[0,1,1]
	v_pk_fma_f32 v[36:37], v[34:35], v[36:37], v[38:39] neg_lo:[0,0,1] neg_hi:[0,0,1]
	v_mov_b32_e32 v37, v95
	s_delay_alu instid0(VALU_DEP_1)
	v_mov_b64_e32 v[34:35], v[36:37]
	ds_store_b64 v47, v[36:37]
.LBB59_477:                             ;   in Loop: Header=BB59_3 Depth=1
	s_or_b32 exec_lo, exec_lo, s57
	s_wait_dscnt 0x0
	s_barrier_signal -1
	s_barrier_wait -1
	s_and_saveexec_b32 s57, s102
	s_cbranch_execz .LBB59_479
; %bb.478:                              ;   in Loop: Header=BB59_3 Depth=1
	ds_load_b64 v[36:37], v45 offset:15072
	ds_load_b64 v[38:39], v47
	s_wait_dscnt 0x0
	v_pk_mul_f32 v[94:95], v[38:39], v[36:37] op_sel:[1,1] op_sel_hi:[0,1]
	s_delay_alu instid0(VALU_DEP_1) | instskip(SKIP_1) | instid1(VALU_DEP_2)
	v_pk_fma_f32 v[96:97], v[38:39], v[36:37], v[94:95] op_sel_hi:[1,0,1]
	v_pk_fma_f32 v[36:37], v[38:39], v[36:37], v[94:95] neg_lo:[0,0,1] neg_hi:[0,0,1]
	v_mov_b32_e32 v37, v97
	s_delay_alu instid0(VALU_DEP_1)
	v_pk_add_f32 v[34:35], v[34:35], v[36:37]
.LBB59_479:                             ;   in Loop: Header=BB59_3 Depth=1
	s_or_b32 exec_lo, exec_lo, s57
	s_barrier_signal -1
	s_barrier_wait -1
	s_and_saveexec_b32 s57, s103
	s_cbranch_execz .LBB59_481
; %bb.480:                              ;   in Loop: Header=BB59_3 Depth=1
	ds_load_b64 v[36:37], v5 offset:15600
	s_wait_dscnt 0x0
	v_pk_mul_f32 v[38:39], v[34:35], v[36:37] op_sel:[1,1] op_sel_hi:[1,0]
	s_delay_alu instid0(VALU_DEP_1) | instskip(SKIP_1) | instid1(VALU_DEP_2)
	v_pk_fma_f32 v[94:95], v[34:35], v[36:37], v[38:39] op_sel_hi:[0,1,1]
	v_pk_fma_f32 v[36:37], v[34:35], v[36:37], v[38:39] neg_lo:[0,0,1] neg_hi:[0,0,1]
	v_mov_b32_e32 v37, v95
	s_delay_alu instid0(VALU_DEP_1)
	v_mov_b64_e32 v[34:35], v[36:37]
	ds_store_b64 v47, v[36:37]
.LBB59_481:                             ;   in Loop: Header=BB59_3 Depth=1
	s_or_b32 exec_lo, exec_lo, s57
	s_wait_dscnt 0x0
	s_barrier_signal -1
	s_barrier_wait -1
	s_and_saveexec_b32 s57, s104
	s_cbranch_execz .LBB59_483
; %bb.482:                              ;   in Loop: Header=BB59_3 Depth=1
	ds_load_b64 v[36:37], v5 offset:15608
	ds_load_b64 v[38:39], v47
	s_wait_dscnt 0x0
	v_pk_mul_f32 v[94:95], v[38:39], v[36:37] op_sel:[1,1] op_sel_hi:[0,1]
	s_delay_alu instid0(VALU_DEP_1) | instskip(SKIP_1) | instid1(VALU_DEP_2)
	v_pk_fma_f32 v[96:97], v[38:39], v[36:37], v[94:95] op_sel_hi:[1,0,1]
	v_pk_fma_f32 v[36:37], v[38:39], v[36:37], v[94:95] neg_lo:[0,0,1] neg_hi:[0,0,1]
	v_mov_b32_e32 v37, v97
	s_delay_alu instid0(VALU_DEP_1)
	v_pk_add_f32 v[34:35], v[34:35], v[36:37]
.LBB59_483:                             ;   in Loop: Header=BB59_3 Depth=1
	s_or_b32 exec_lo, exec_lo, s57
	s_barrier_signal -1
	s_barrier_wait -1
	s_and_saveexec_b32 s57, s104
	s_cbranch_execz .LBB59_485
; %bb.484:                              ;   in Loop: Header=BB59_3 Depth=1
	ds_load_b64 v[36:37], v5 offset:16120
	s_wait_dscnt 0x0
	v_pk_mul_f32 v[38:39], v[34:35], v[36:37] op_sel:[1,1] op_sel_hi:[1,0]
	s_delay_alu instid0(VALU_DEP_1) | instskip(SKIP_1) | instid1(VALU_DEP_2)
	v_pk_fma_f32 v[94:95], v[34:35], v[36:37], v[38:39] op_sel_hi:[0,1,1]
	v_pk_fma_f32 v[36:37], v[34:35], v[36:37], v[38:39] neg_lo:[0,0,1] neg_hi:[0,0,1]
	v_mov_b32_e32 v37, v95
	s_delay_alu instid0(VALU_DEP_1)
	v_mov_b64_e32 v[34:35], v[36:37]
	ds_store_b64 v47, v[36:37]
.LBB59_485:                             ;   in Loop: Header=BB59_3 Depth=1
	s_or_b32 exec_lo, exec_lo, s57
	s_wait_dscnt 0x0
	s_barrier_signal -1
	s_barrier_wait -1
	s_barrier_signal -1
	s_barrier_wait -1
	s_and_saveexec_b32 s57, s2
; %bb.486:                              ;   in Loop: Header=BB59_3 Depth=1
	v_pk_add_f32 v[34:35], v[34:35], 0 neg_lo:[1,1] neg_hi:[1,1]
	ds_store_b64 v48, v[34:35] offset:12512
; %bb.487:                              ;   in Loop: Header=BB59_3 Depth=1
	s_or_b32 exec_lo, exec_lo, s57
	s_wait_dscnt 0x0
	s_barrier_signal -1
	s_barrier_wait -1
	s_barrier_signal -1
	s_barrier_wait -1
	s_and_saveexec_b32 s57, vcc_hi
	s_cbranch_execz .LBB59_489
; %bb.488:                              ;   in Loop: Header=BB59_3 Depth=1
	ds_load_b64 v[34:35], v75 offset:12512
	s_wait_dscnt 0x0
	ds_store_b64 v78, v[34:35] offset:14528
	ds_load_b64 v[34:35], v75 offset:12520
	s_wait_dscnt 0x0
	ds_store_b64 v78, v[34:35] offset:15040
	;; [unrolled: 3-line block ×4, first 2 shown]
.LBB59_489:                             ;   in Loop: Header=BB59_3 Depth=1
	s_or_b32 exec_lo, exec_lo, s57
	s_wait_dscnt 0x0
	s_barrier_signal -1
	s_barrier_wait -1
	s_and_saveexec_b32 s57, s14
	s_cbranch_execz .LBB59_491
; %bb.490:                              ;   in Loop: Header=BB59_3 Depth=1
	ds_load_b128 v[34:37], v5 offset:14560
	ds_load_b64 v[38:39], v5 offset:15080
	s_wait_dscnt 0x1
	v_dual_mov_b32 v96, v37 :: v_dual_mov_b32 v97, v36
	s_wait_dscnt 0x0
	v_dual_mul_f32 v95, v39, v35 :: v_dual_mul_f32 v94, v38, v35
	s_delay_alu instid0(VALU_DEP_1) | instskip(NEXT) | instid1(VALU_DEP_2)
	v_xor_b32_e32 v98, 0x80000000, v95
	v_fmac_f32_e32 v94, v39, v34
	s_delay_alu instid0(VALU_DEP_2) | instskip(NEXT) | instid1(VALU_DEP_2)
	v_fmac_f32_e32 v98, v38, v34
	v_pk_mul_f32 v[34:35], v[94:95], v[96:97] op_sel_hi:[0,1]
	s_delay_alu instid0(VALU_DEP_1) | instskip(SKIP_2) | instid1(VALU_DEP_3)
	v_pk_fma_f32 v[38:39], v[98:99], v[36:37], v[34:35] op_sel_hi:[0,1,1]
	v_pk_fma_f32 v[34:35], v[98:99], v[36:37], v[34:35] neg_lo:[0,0,1] neg_hi:[0,0,1]
	v_add_nc_u32_e64 v36, 0x3800, 0
	v_mov_b32_e32 v35, v39
	ds_store_2addr_b64 v36, v[34:35], v[34:35] offset0:29 offset1:92
.LBB59_491:                             ;   in Loop: Header=BB59_3 Depth=1
	s_or_b32 exec_lo, exec_lo, s57
	v_mov_b32_e32 v35, 0
	s_wait_dscnt 0x0
	s_barrier_signal -1
	s_barrier_wait -1
	s_delay_alu instid0(VALU_DEP_1)
	v_mov_b32_e32 v34, v35
	s_and_saveexec_b32 s57, s0
	s_cbranch_execz .LBB59_495
; %bb.492:                              ;   in Loop: Header=BB59_3 Depth=1
	ds_load_b64 v[34:35], v41 offset:14576
	ds_load_b64 v[36:37], v42 offset:14560
	s_wait_dscnt 0x0
	v_dual_mul_f32 v38, v37, v35 :: v_dual_mul_f32 v39, v36, v35
	s_delay_alu instid0(VALU_DEP_1) | instskip(NEXT) | instid1(VALU_DEP_1)
	v_dual_fma_f32 v38, v36, v34, -v38 :: v_dual_fmac_f32 v39, v37, v34
	v_pk_add_f32 v[34:35], v[38:39], 0 op_sel_hi:[1,0]
	s_and_saveexec_b32 s58, s15
	s_cbranch_execz .LBB59_494
; %bb.493:                              ;   in Loop: Header=BB59_3 Depth=1
	ds_load_b64 v[36:37], v78 offset:15088
	ds_load_b64 v[38:39], v5 offset:14568
	s_wait_dscnt 0x0
	v_pk_mul_f32 v[94:95], v[38:39], v[36:37] op_sel:[1,1] op_sel_hi:[0,1]
	s_delay_alu instid0(VALU_DEP_1) | instskip(SKIP_1) | instid1(VALU_DEP_2)
	v_pk_fma_f32 v[96:97], v[38:39], v[36:37], v[94:95] op_sel_hi:[1,0,1]
	v_pk_fma_f32 v[36:37], v[38:39], v[36:37], v[94:95] neg_lo:[0,0,1] neg_hi:[0,0,1]
	v_mov_b32_e32 v37, v97
	s_delay_alu instid0(VALU_DEP_1)
	v_pk_add_f32 v[34:35], v[34:35], v[36:37]
.LBB59_494:                             ;   in Loop: Header=BB59_3 Depth=1
	s_or_b32 exec_lo, exec_lo, s58
	s_delay_alu instid0(VALU_DEP_1)
	v_pk_add_f32 v[34:35], v[34:35], 0 neg_lo:[1,1] neg_hi:[1,1]
.LBB59_495:                             ;   in Loop: Header=BB59_3 Depth=1
	s_or_b32 exec_lo, exec_lo, s57
	s_and_saveexec_b32 s57, s96
	s_cbranch_execz .LBB59_497
; %bb.496:                              ;   in Loop: Header=BB59_3 Depth=1
	ds_load_b64 v[36:37], v5 offset:15600
	s_wait_dscnt 0x0
	v_pk_mul_f32 v[38:39], v[34:35], v[36:37] op_sel:[1,1] op_sel_hi:[1,0]
	s_delay_alu instid0(VALU_DEP_1) | instskip(SKIP_1) | instid1(VALU_DEP_2)
	v_pk_fma_f32 v[94:95], v[34:35], v[36:37], v[38:39] op_sel_hi:[0,1,1]
	v_pk_fma_f32 v[36:37], v[34:35], v[36:37], v[38:39] neg_lo:[0,0,1] neg_hi:[0,0,1]
	v_mov_b32_e32 v37, v95
	s_delay_alu instid0(VALU_DEP_1)
	v_mov_b64_e32 v[34:35], v[36:37]
	ds_store_b64 v3, v[36:37]
.LBB59_497:                             ;   in Loop: Header=BB59_3 Depth=1
	s_or_b32 exec_lo, exec_lo, s57
	s_wait_dscnt 0x0
	s_barrier_signal -1
	s_barrier_wait -1
	s_and_saveexec_b32 s57, s97
	s_cbranch_execz .LBB59_499
; %bb.498:                              ;   in Loop: Header=BB59_3 Depth=1
	ds_load_b64 v[36:37], v5 offset:15608
	ds_load_b64 v[38:39], v3
	s_wait_dscnt 0x0
	v_pk_mul_f32 v[94:95], v[38:39], v[36:37] op_sel:[1,1] op_sel_hi:[0,1]
	s_delay_alu instid0(VALU_DEP_1) | instskip(SKIP_1) | instid1(VALU_DEP_2)
	v_pk_fma_f32 v[96:97], v[38:39], v[36:37], v[94:95] op_sel_hi:[1,0,1]
	v_pk_fma_f32 v[36:37], v[38:39], v[36:37], v[94:95] neg_lo:[0,0,1] neg_hi:[0,0,1]
	v_mov_b32_e32 v37, v97
	s_delay_alu instid0(VALU_DEP_1)
	v_pk_add_f32 v[34:35], v[34:35], v[36:37]
.LBB59_499:                             ;   in Loop: Header=BB59_3 Depth=1
	s_or_b32 exec_lo, exec_lo, s57
	s_barrier_signal -1
	s_barrier_wait -1
	s_and_saveexec_b32 s57, s97
	s_cbranch_execz .LBB59_501
; %bb.500:                              ;   in Loop: Header=BB59_3 Depth=1
	ds_load_b64 v[36:37], v5 offset:16120
	s_wait_dscnt 0x0
	v_pk_mul_f32 v[38:39], v[34:35], v[36:37] op_sel:[1,1] op_sel_hi:[1,0]
	s_delay_alu instid0(VALU_DEP_1) | instskip(SKIP_1) | instid1(VALU_DEP_2)
	v_pk_fma_f32 v[94:95], v[34:35], v[36:37], v[38:39] op_sel_hi:[0,1,1]
	v_pk_fma_f32 v[36:37], v[34:35], v[36:37], v[38:39] neg_lo:[0,0,1] neg_hi:[0,0,1]
	v_mov_b32_e32 v37, v95
	s_delay_alu instid0(VALU_DEP_1)
	v_mov_b64_e32 v[34:35], v[36:37]
	ds_store_b64 v3, v[36:37]
.LBB59_501:                             ;   in Loop: Header=BB59_3 Depth=1
	s_or_b32 exec_lo, exec_lo, s57
	s_wait_dscnt 0x0
	s_barrier_signal -1
	s_barrier_wait -1
	s_barrier_signal -1
	s_barrier_wait -1
	s_and_saveexec_b32 s57, s0
; %bb.502:                              ;   in Loop: Header=BB59_3 Depth=1
	v_pk_add_f32 v[34:35], v[34:35], 0 neg_lo:[1,1] neg_hi:[1,1]
	ds_store_b64 v41, v[34:35] offset:14576
; %bb.503:                              ;   in Loop: Header=BB59_3 Depth=1
	s_or_b32 exec_lo, exec_lo, s57
	s_wait_dscnt 0x0
	s_barrier_signal -1
	s_barrier_wait -1
	s_barrier_signal -1
	s_barrier_wait -1
	s_and_saveexec_b32 s57, s98
	s_cbranch_execz .LBB59_505
; %bb.504:                              ;   in Loop: Header=BB59_3 Depth=1
	ds_load_b64 v[34:35], v79 offset:14576
	s_wait_dscnt 0x0
	ds_store_b64 v78, v[34:35] offset:15584
	ds_load_b64 v[34:35], v79 offset:14584
	s_wait_dscnt 0x0
	ds_store_b64 v78, v[34:35] offset:16096
.LBB59_505:                             ;   in Loop: Header=BB59_3 Depth=1
	s_or_b32 exec_lo, exec_lo, s57
	s_wait_dscnt 0x0
	s_barrier_signal -1
	s_barrier_wait -1
	s_and_saveexec_b32 s57, s14
	s_cbranch_execz .LBB59_507
; %bb.506:                              ;   in Loop: Header=BB59_3 Depth=1
	ds_load_b128 v[34:37], v5 offset:15600
	ds_load_b64 v[38:39], v5 offset:16120
	s_wait_dscnt 0x1
	v_dual_mov_b32 v96, v37 :: v_dual_mov_b32 v97, v36
	s_wait_dscnt 0x0
	v_dual_mul_f32 v95, v39, v35 :: v_dual_mul_f32 v94, v38, v35
	s_delay_alu instid0(VALU_DEP_1) | instskip(NEXT) | instid1(VALU_DEP_2)
	v_xor_b32_e32 v98, 0x80000000, v95
	v_fmac_f32_e32 v94, v39, v34
	s_delay_alu instid0(VALU_DEP_2) | instskip(NEXT) | instid1(VALU_DEP_2)
	v_fmac_f32_e32 v98, v38, v34
	v_pk_mul_f32 v[34:35], v[94:95], v[96:97] op_sel_hi:[0,1]
	s_delay_alu instid0(VALU_DEP_1) | instskip(SKIP_2) | instid1(VALU_DEP_3)
	v_pk_fma_f32 v[38:39], v[98:99], v[36:37], v[34:35] op_sel_hi:[0,1,1]
	v_pk_fma_f32 v[34:35], v[98:99], v[36:37], v[34:35] neg_lo:[0,0,1] neg_hi:[0,0,1]
	v_add_nc_u32_e64 v36, 0x3800, 0
	v_mov_b32_e32 v35, v39
	ds_store_2addr_b64 v36, v[34:35], v[34:35] offset0:159 offset1:222
.LBB59_507:                             ;   in Loop: Header=BB59_3 Depth=1
	s_or_b32 exec_lo, exec_lo, s57
	v_mov_b64_e32 v[34:35], 0
	s_wait_dscnt 0x0
	s_barrier_signal -1
	s_barrier_wait -1
	s_and_saveexec_b32 s66, s35
	s_cbranch_execz .LBB59_569
; %bb.508:                              ;   in Loop: Header=BB59_3 Depth=1
	v_add_nc_u32_e32 v37, v83, v67
	v_add_nc_u32_e32 v36, v67, v66
	ds_load_b64 v[34:35], v37 offset:256
	ds_load_b64 v[38:39], v36
	s_wait_dscnt 0x0
	v_pk_mul_f32 v[94:95], v[38:39], v[34:35] op_sel:[1,1] op_sel_hi:[0,1]
	s_delay_alu instid0(VALU_DEP_1) | instskip(SKIP_1) | instid1(VALU_DEP_2)
	v_pk_fma_f32 v[96:97], v[38:39], v[34:35], v[94:95] op_sel_hi:[1,0,1]
	v_pk_fma_f32 v[34:35], v[38:39], v[34:35], v[94:95] neg_lo:[0,0,1] neg_hi:[0,0,1]
	v_mov_b32_e32 v35, v97
	s_delay_alu instid0(VALU_DEP_1) | instskip(SKIP_3) | instid1(SALU_CYCLE_1)
	v_pk_add_f32 v[34:35], v[34:35], 0 op_sel_hi:[1,0]
	s_mov_b32 s57, exec_lo
	v_readlane_b32 s58, v103, 13
	s_and_b32 s58, s57, s58
	s_mov_b32 exec_lo, s58
	s_cbranch_execz .LBB59_510
; %bb.509:                              ;   in Loop: Header=BB59_3 Depth=1
	ds_load_b64 v[38:39], v37 offset:768
	ds_load_b64 v[94:95], v36 offset:8
	s_wait_dscnt 0x0
	v_pk_mul_f32 v[96:97], v[94:95], v[38:39] op_sel:[1,1] op_sel_hi:[0,1]
	s_delay_alu instid0(VALU_DEP_1) | instskip(SKIP_1) | instid1(VALU_DEP_2)
	v_pk_fma_f32 v[98:99], v[94:95], v[38:39], v[96:97] op_sel_hi:[1,0,1]
	v_pk_fma_f32 v[38:39], v[94:95], v[38:39], v[96:97] neg_lo:[0,0,1] neg_hi:[0,0,1]
	v_mov_b32_e32 v39, v99
	s_delay_alu instid0(VALU_DEP_1)
	v_pk_add_f32 v[34:35], v[34:35], v[38:39]
.LBB59_510:                             ;   in Loop: Header=BB59_3 Depth=1
	s_or_b32 exec_lo, exec_lo, s57
	s_delay_alu instid0(SALU_CYCLE_1) | instskip(SKIP_2) | instid1(SALU_CYCLE_1)
	s_mov_b32 s57, exec_lo
	v_readlane_b32 s58, v103, 14
	s_and_b32 s58, s57, s58
	s_mov_b32 exec_lo, s58
	s_cbranch_execz .LBB59_512
; %bb.511:                              ;   in Loop: Header=BB59_3 Depth=1
	ds_load_b64 v[38:39], v37 offset:1280
	ds_load_b64 v[94:95], v36 offset:16
	s_wait_dscnt 0x0
	v_pk_mul_f32 v[96:97], v[94:95], v[38:39] op_sel:[1,1] op_sel_hi:[0,1]
	s_delay_alu instid0(VALU_DEP_1) | instskip(SKIP_1) | instid1(VALU_DEP_2)
	v_pk_fma_f32 v[98:99], v[94:95], v[38:39], v[96:97] op_sel_hi:[1,0,1]
	v_pk_fma_f32 v[38:39], v[94:95], v[38:39], v[96:97] neg_lo:[0,0,1] neg_hi:[0,0,1]
	v_mov_b32_e32 v39, v99
	s_delay_alu instid0(VALU_DEP_1)
	v_pk_add_f32 v[34:35], v[34:35], v[38:39]
.LBB59_512:                             ;   in Loop: Header=BB59_3 Depth=1
	s_or_b32 exec_lo, exec_lo, s57
	s_delay_alu instid0(SALU_CYCLE_1) | instskip(SKIP_2) | instid1(SALU_CYCLE_1)
	;; [unrolled: 19-line block ×22, first 2 shown]
	s_mov_b32 s57, exec_lo
	v_readlane_b32 s58, v102, 3
	s_and_b32 s58, s57, s58
	s_mov_b32 exec_lo, s58
	s_cbranch_execz .LBB59_554
; %bb.553:                              ;   in Loop: Header=BB59_3 Depth=1
	ds_load_b64 v[38:39], v37 offset:12032
	ds_load_b64 v[94:95], v36 offset:184
	s_wait_dscnt 0x0
	v_pk_mul_f32 v[96:97], v[94:95], v[38:39] op_sel:[1,1] op_sel_hi:[0,1]
	s_delay_alu instid0(VALU_DEP_1) | instskip(SKIP_1) | instid1(VALU_DEP_2)
	v_pk_fma_f32 v[98:99], v[94:95], v[38:39], v[96:97] op_sel_hi:[1,0,1]
	v_pk_fma_f32 v[38:39], v[94:95], v[38:39], v[96:97] neg_lo:[0,0,1] neg_hi:[0,0,1]
	v_mov_b32_e32 v39, v99
	s_delay_alu instid0(VALU_DEP_1)
	v_pk_add_f32 v[34:35], v[34:35], v[38:39]
.LBB59_554:                             ;   in Loop: Header=BB59_3 Depth=1
	s_or_b32 exec_lo, exec_lo, s57
	s_and_saveexec_b32 s57, s4
	s_cbranch_execz .LBB59_556
; %bb.555:                              ;   in Loop: Header=BB59_3 Depth=1
	ds_load_b64 v[38:39], v37 offset:12544
	ds_load_b64 v[94:95], v36 offset:192
	s_wait_dscnt 0x0
	v_pk_mul_f32 v[96:97], v[94:95], v[38:39] op_sel:[1,1] op_sel_hi:[0,1]
	s_delay_alu instid0(VALU_DEP_1) | instskip(SKIP_1) | instid1(VALU_DEP_2)
	v_pk_fma_f32 v[98:99], v[94:95], v[38:39], v[96:97] op_sel_hi:[1,0,1]
	v_pk_fma_f32 v[38:39], v[94:95], v[38:39], v[96:97] neg_lo:[0,0,1] neg_hi:[0,0,1]
	v_mov_b32_e32 v39, v99
	s_delay_alu instid0(VALU_DEP_1)
	v_pk_add_f32 v[34:35], v[34:35], v[38:39]
.LBB59_556:                             ;   in Loop: Header=BB59_3 Depth=1
	s_or_b32 exec_lo, exec_lo, s57
	s_delay_alu instid0(SALU_CYCLE_1) | instskip(SKIP_2) | instid1(SALU_CYCLE_1)
	s_mov_b32 s57, exec_lo
	v_readlane_b32 s58, v104, 30
	s_and_b32 s58, s57, s58
	s_mov_b32 exec_lo, s58
	s_cbranch_execz .LBB59_558
; %bb.557:                              ;   in Loop: Header=BB59_3 Depth=1
	ds_load_b64 v[38:39], v37 offset:13056
	ds_load_b64 v[94:95], v36 offset:200
	s_wait_dscnt 0x0
	v_pk_mul_f32 v[96:97], v[94:95], v[38:39] op_sel:[1,1] op_sel_hi:[0,1]
	s_delay_alu instid0(VALU_DEP_1) | instskip(SKIP_1) | instid1(VALU_DEP_2)
	v_pk_fma_f32 v[98:99], v[94:95], v[38:39], v[96:97] op_sel_hi:[1,0,1]
	v_pk_fma_f32 v[38:39], v[94:95], v[38:39], v[96:97] neg_lo:[0,0,1] neg_hi:[0,0,1]
	v_mov_b32_e32 v39, v99
	s_delay_alu instid0(VALU_DEP_1)
	v_pk_add_f32 v[34:35], v[34:35], v[38:39]
.LBB59_558:                             ;   in Loop: Header=BB59_3 Depth=1
	s_or_b32 exec_lo, exec_lo, s57
	s_delay_alu instid0(SALU_CYCLE_1) | instskip(SKIP_2) | instid1(SALU_CYCLE_1)
	s_mov_b32 s57, exec_lo
	v_readlane_b32 s58, v103, 0
	s_and_b32 s58, s57, s58
	s_mov_b32 exec_lo, s58
	;; [unrolled: 19-line block ×5, first 2 shown]
	s_cbranch_execnz .LBB59_1134
; %bb.565:                              ;   in Loop: Header=BB59_3 Depth=1
	s_or_b32 exec_lo, exec_lo, s57
	s_and_saveexec_b32 s57, s3
	s_cbranch_execnz .LBB59_1135
.LBB59_566:                             ;   in Loop: Header=BB59_3 Depth=1
	s_or_b32 exec_lo, exec_lo, s57
	s_and_saveexec_b32 s57, s21
	s_cbranch_execz .LBB59_568
.LBB59_567:                             ;   in Loop: Header=BB59_3 Depth=1
	ds_load_b64 v[38:39], v83 offset:16128
	ds_load_b64 v[36:37], v36 offset:248
	s_wait_dscnt 0x0
	v_pk_mul_f32 v[94:95], v[36:37], v[38:39] op_sel:[1,1] op_sel_hi:[0,1]
	s_delay_alu instid0(VALU_DEP_1) | instskip(SKIP_1) | instid1(VALU_DEP_2)
	v_pk_fma_f32 v[96:97], v[36:37], v[38:39], v[94:95] op_sel_hi:[1,0,1]
	v_pk_fma_f32 v[36:37], v[36:37], v[38:39], v[94:95] neg_lo:[0,0,1] neg_hi:[0,0,1]
	v_mov_b32_e32 v37, v97
	s_delay_alu instid0(VALU_DEP_1)
	v_pk_add_f32 v[34:35], v[34:35], v[36:37]
.LBB59_568:                             ;   in Loop: Header=BB59_3 Depth=1
	s_or_b32 exec_lo, exec_lo, s57
	s_delay_alu instid0(VALU_DEP_1)
	v_pk_add_f32 v[34:35], v[34:35], 0 neg_lo:[1,1] neg_hi:[1,1]
.LBB59_569:                             ;   in Loop: Header=BB59_3 Depth=1
	s_or_b32 exec_lo, exec_lo, s66
	v_dual_mov_b32 v36, v65 :: v_dual_mov_b32 v37, v92
	s_mov_b32 s66, 0
	s_branch .LBB59_571
.LBB59_570:                             ;   in Loop: Header=BB59_571 Depth=2
	s_or_b32 exec_lo, exec_lo, s57
	v_add_nc_u32_e32 v37, 0x400, v37
	v_add_nc_u32_e32 v36, -2, v36
	s_add_co_i32 s66, s66, 2
	s_delay_alu instid0(SALU_CYCLE_1)
	s_cmp_eq_u32 s66, 32
	s_barrier_signal -1
	s_barrier_wait -1
	s_cbranch_scc1 .LBB59_579
.LBB59_571:                             ;   Parent Loop BB59_3 Depth=1
                                        ; =>  This Inner Loop Header: Depth=2
	s_delay_alu instid0(VALU_DEP_1) | instskip(SKIP_1) | instid1(SALU_CYCLE_1)
	v_cmp_eq_u32_e32 vcc_lo, 0, v36
	s_and_b32 s58, s56, vcc_lo
	s_and_saveexec_b32 s57, s58
	s_cbranch_execz .LBB59_573
; %bb.572:                              ;   in Loop: Header=BB59_571 Depth=2
	ds_load_b64 v[38:39], v84 offset:16640
	s_wait_dscnt 0x0
	v_pk_mul_f32 v[94:95], v[34:35], v[38:39] op_sel:[1,1] op_sel_hi:[1,0]
	s_delay_alu instid0(VALU_DEP_1) | instskip(SKIP_1) | instid1(VALU_DEP_2)
	v_pk_fma_f32 v[96:97], v[34:35], v[38:39], v[94:95] op_sel_hi:[0,1,1]
	v_pk_fma_f32 v[38:39], v[34:35], v[38:39], v[94:95] neg_lo:[0,0,1] neg_hi:[0,0,1]
	v_mov_b32_e32 v39, v97
	s_delay_alu instid0(VALU_DEP_1)
	v_mov_b64_e32 v[34:35], v[38:39]
	ds_store_b64 v85, v[38:39]
.LBB59_573:                             ;   in Loop: Header=BB59_571 Depth=2
	s_or_b32 exec_lo, exec_lo, s57
	v_cmp_lt_u32_e32 vcc_lo, s66, v65
	s_wait_dscnt 0x0
	s_barrier_signal -1
	s_barrier_wait -1
	s_and_b32 s58, s56, vcc_lo
	s_delay_alu instid0(SALU_CYCLE_1)
	s_and_saveexec_b32 s57, s58
	s_cbranch_execz .LBB59_575
; %bb.574:                              ;   in Loop: Header=BB59_571 Depth=2
	ds_load_b64 v[38:39], v37
	ds_load_b64 v[94:95], v85
	s_wait_dscnt 0x0
	v_pk_mul_f32 v[96:97], v[94:95], v[38:39] op_sel:[1,1] op_sel_hi:[0,1]
	s_delay_alu instid0(VALU_DEP_1) | instskip(SKIP_1) | instid1(VALU_DEP_2)
	v_pk_fma_f32 v[98:99], v[94:95], v[38:39], v[96:97] op_sel_hi:[1,0,1]
	v_pk_fma_f32 v[38:39], v[94:95], v[38:39], v[96:97] neg_lo:[0,0,1] neg_hi:[0,0,1]
	v_mov_b32_e32 v39, v99
	s_delay_alu instid0(VALU_DEP_1)
	v_pk_add_f32 v[34:35], v[34:35], v[38:39]
.LBB59_575:                             ;   in Loop: Header=BB59_571 Depth=2
	s_or_b32 exec_lo, exec_lo, s57
	s_or_b32 s57, s66, 1
	s_delay_alu instid0(SALU_CYCLE_1) | instskip(SKIP_3) | instid1(SALU_CYCLE_1)
	v_cmp_eq_u32_e32 vcc_lo, s57, v65
	s_barrier_signal -1
	s_barrier_wait -1
	s_and_b32 s67, s56, vcc_lo
	s_and_saveexec_b32 s58, s67
	s_cbranch_execz .LBB59_577
; %bb.576:                              ;   in Loop: Header=BB59_571 Depth=2
	ds_load_b64 v[38:39], v84 offset:16640
	s_wait_dscnt 0x0
	v_pk_mul_f32 v[94:95], v[34:35], v[38:39] op_sel:[1,1] op_sel_hi:[1,0]
	s_delay_alu instid0(VALU_DEP_1) | instskip(SKIP_1) | instid1(VALU_DEP_2)
	v_pk_fma_f32 v[96:97], v[34:35], v[38:39], v[94:95] op_sel_hi:[0,1,1]
	v_pk_fma_f32 v[38:39], v[34:35], v[38:39], v[94:95] neg_lo:[0,0,1] neg_hi:[0,0,1]
	v_mov_b32_e32 v39, v97
	s_delay_alu instid0(VALU_DEP_1)
	v_mov_b64_e32 v[34:35], v[38:39]
	ds_store_b64 v85, v[38:39]
.LBB59_577:                             ;   in Loop: Header=BB59_571 Depth=2
	s_or_b32 exec_lo, exec_lo, s58
	v_cmp_lt_u32_e32 vcc_lo, s57, v65
	s_wait_dscnt 0x0
	s_barrier_signal -1
	s_barrier_wait -1
	s_and_b32 s58, s56, vcc_lo
	s_delay_alu instid0(SALU_CYCLE_1)
	s_and_saveexec_b32 s57, s58
	s_cbranch_execz .LBB59_570
; %bb.578:                              ;   in Loop: Header=BB59_571 Depth=2
	ds_load_b64 v[38:39], v37 offset:512
	ds_load_b64 v[94:95], v85
	s_wait_dscnt 0x0
	v_pk_mul_f32 v[96:97], v[94:95], v[38:39] op_sel:[1,1] op_sel_hi:[0,1]
	s_delay_alu instid0(VALU_DEP_1) | instskip(SKIP_1) | instid1(VALU_DEP_2)
	v_pk_fma_f32 v[98:99], v[94:95], v[38:39], v[96:97] op_sel_hi:[1,0,1]
	v_pk_fma_f32 v[38:39], v[94:95], v[38:39], v[96:97] neg_lo:[0,0,1] neg_hi:[0,0,1]
	v_mov_b32_e32 v39, v99
	s_delay_alu instid0(VALU_DEP_1)
	v_pk_add_f32 v[34:35], v[34:35], v[38:39]
	s_branch .LBB59_570
.LBB59_579:                             ;   in Loop: Header=BB59_3 Depth=1
	s_and_saveexec_b32 s57, s35
; %bb.580:                              ;   in Loop: Header=BB59_3 Depth=1
	v_pk_add_f32 v[34:35], v[34:35], 0 neg_lo:[1,1] neg_hi:[1,1]
	ds_store_b64 v86, v[34:35] offset:256
; %bb.581:                              ;   in Loop: Header=BB59_3 Depth=1
	s_or_b32 exec_lo, exec_lo, s57
	s_wait_dscnt 0x0
	s_barrier_signal -1
	s_barrier_wait -1
	s_barrier_signal -1
	s_barrier_wait -1
	s_mov_b32 s66, exec_lo
	v_readlane_b32 s57, v104, 12
	s_and_b32 s57, s66, s57
	s_delay_alu instid0(SALU_CYCLE_1)
	s_mov_b32 exec_lo, s57
	s_cbranch_execz .LBB59_583
; %bb.582:                              ;   in Loop: Header=BB59_3 Depth=1
	ds_load_b64 v[34:35], v79 offset:256
	v_add_nc_u32_e32 v36, v79, v50
	s_wait_dscnt 0x0
	ds_store_b64 v36, v[34:35] offset:16384
	ds_load_b64 v[34:35], v79 offset:264
	s_wait_dscnt 0x0
	ds_store_b64 v36, v[34:35] offset:16896
	ds_load_b64 v[34:35], v79 offset:272
	;; [unrolled: 3-line block ×31, first 2 shown]
	s_wait_dscnt 0x0
	ds_store_b64 v36, v[34:35] offset:32256
.LBB59_583:                             ;   in Loop: Header=BB59_3 Depth=1
	s_or_b32 exec_lo, exec_lo, s66
	s_wait_dscnt 0x0
	s_barrier_signal -1
	s_barrier_wait -1
	s_and_saveexec_b32 s57, s14
	s_cbranch_execz .LBB59_585
; %bb.584:                              ;   in Loop: Header=BB59_3 Depth=1
	ds_load_b128 v[34:37], v5 offset:16640
	ds_load_b64 v[38:39], v5 offset:17160
	s_wait_dscnt 0x1
	v_dual_mov_b32 v96, v37 :: v_dual_mov_b32 v97, v36
	s_wait_dscnt 0x0
	v_dual_mul_f32 v95, v39, v35 :: v_dual_mul_f32 v94, v38, v35
	s_delay_alu instid0(VALU_DEP_1) | instskip(NEXT) | instid1(VALU_DEP_2)
	v_xor_b32_e32 v98, 0x80000000, v95
	v_fmac_f32_e32 v94, v39, v34
	s_delay_alu instid0(VALU_DEP_2) | instskip(NEXT) | instid1(VALU_DEP_2)
	v_fmac_f32_e32 v98, v38, v34
	v_pk_mul_f32 v[34:35], v[94:95], v[96:97] op_sel_hi:[0,1]
	s_delay_alu instid0(VALU_DEP_1) | instskip(SKIP_2) | instid1(VALU_DEP_3)
	v_pk_fma_f32 v[38:39], v[98:99], v[36:37], v[34:35] op_sel_hi:[0,1,1]
	v_pk_fma_f32 v[34:35], v[98:99], v[36:37], v[34:35] neg_lo:[0,0,1] neg_hi:[0,0,1]
	v_add_nc_u32_e64 v36, 0x4000, 0
	v_mov_b32_e32 v35, v39
	ds_store_2addr_b64 v36, v[34:35], v[34:35] offset0:33 offset1:96
.LBB59_585:                             ;   in Loop: Header=BB59_3 Depth=1
	s_or_b32 exec_lo, exec_lo, s57
	v_mov_b32_e32 v35, 0
	s_wait_dscnt 0x0
	s_barrier_signal -1
	s_barrier_wait -1
	s_delay_alu instid0(VALU_DEP_1)
	v_mov_b32_e32 v34, v35
	s_and_saveexec_b32 s57, s0
	s_cbranch_execz .LBB59_589
; %bb.586:                              ;   in Loop: Header=BB59_3 Depth=1
	ds_load_b64 v[34:35], v41 offset:16656
	ds_load_b64 v[36:37], v42 offset:16640
	s_wait_dscnt 0x0
	v_dual_mul_f32 v38, v37, v35 :: v_dual_mul_f32 v39, v36, v35
	s_delay_alu instid0(VALU_DEP_1) | instskip(NEXT) | instid1(VALU_DEP_1)
	v_dual_fma_f32 v38, v36, v34, -v38 :: v_dual_fmac_f32 v39, v37, v34
	v_pk_add_f32 v[34:35], v[38:39], 0 op_sel_hi:[1,0]
	s_and_saveexec_b32 s58, s15
	s_cbranch_execz .LBB59_588
; %bb.587:                              ;   in Loop: Header=BB59_3 Depth=1
	ds_load_b64 v[36:37], v43 offset:17168
	ds_load_b64 v[38:39], v5 offset:16648
	s_wait_dscnt 0x0
	v_pk_mul_f32 v[94:95], v[38:39], v[36:37] op_sel:[1,1] op_sel_hi:[0,1]
	s_delay_alu instid0(VALU_DEP_1) | instskip(SKIP_1) | instid1(VALU_DEP_2)
	v_pk_fma_f32 v[96:97], v[38:39], v[36:37], v[94:95] op_sel_hi:[1,0,1]
	v_pk_fma_f32 v[36:37], v[38:39], v[36:37], v[94:95] neg_lo:[0,0,1] neg_hi:[0,0,1]
	v_mov_b32_e32 v37, v97
	s_delay_alu instid0(VALU_DEP_1)
	v_pk_add_f32 v[34:35], v[34:35], v[36:37]
.LBB59_588:                             ;   in Loop: Header=BB59_3 Depth=1
	s_or_b32 exec_lo, exec_lo, s58
	s_delay_alu instid0(VALU_DEP_1)
	v_pk_add_f32 v[34:35], v[34:35], 0 neg_lo:[1,1] neg_hi:[1,1]
.LBB59_589:                             ;   in Loop: Header=BB59_3 Depth=1
	s_or_b32 exec_lo, exec_lo, s57
	s_and_saveexec_b32 s57, s96
	s_cbranch_execz .LBB59_591
; %bb.590:                              ;   in Loop: Header=BB59_3 Depth=1
	ds_load_b64 v[36:37], v5 offset:17680
	s_wait_dscnt 0x0
	v_pk_mul_f32 v[38:39], v[34:35], v[36:37] op_sel:[1,1] op_sel_hi:[1,0]
	s_delay_alu instid0(VALU_DEP_1) | instskip(SKIP_1) | instid1(VALU_DEP_2)
	v_pk_fma_f32 v[94:95], v[34:35], v[36:37], v[38:39] op_sel_hi:[0,1,1]
	v_pk_fma_f32 v[36:37], v[34:35], v[36:37], v[38:39] neg_lo:[0,0,1] neg_hi:[0,0,1]
	v_mov_b32_e32 v37, v95
	s_delay_alu instid0(VALU_DEP_1)
	v_mov_b64_e32 v[34:35], v[36:37]
	ds_store_b64 v3, v[36:37]
.LBB59_591:                             ;   in Loop: Header=BB59_3 Depth=1
	s_or_b32 exec_lo, exec_lo, s57
	s_wait_dscnt 0x0
	s_barrier_signal -1
	s_barrier_wait -1
	s_and_saveexec_b32 s57, s97
	s_cbranch_execz .LBB59_593
; %bb.592:                              ;   in Loop: Header=BB59_3 Depth=1
	ds_load_b64 v[36:37], v5 offset:17688
	ds_load_b64 v[38:39], v3
	s_wait_dscnt 0x0
	v_pk_mul_f32 v[94:95], v[38:39], v[36:37] op_sel:[1,1] op_sel_hi:[0,1]
	s_delay_alu instid0(VALU_DEP_1) | instskip(SKIP_1) | instid1(VALU_DEP_2)
	v_pk_fma_f32 v[96:97], v[38:39], v[36:37], v[94:95] op_sel_hi:[1,0,1]
	v_pk_fma_f32 v[36:37], v[38:39], v[36:37], v[94:95] neg_lo:[0,0,1] neg_hi:[0,0,1]
	v_mov_b32_e32 v37, v97
	s_delay_alu instid0(VALU_DEP_1)
	v_pk_add_f32 v[34:35], v[34:35], v[36:37]
.LBB59_593:                             ;   in Loop: Header=BB59_3 Depth=1
	s_or_b32 exec_lo, exec_lo, s57
	s_barrier_signal -1
	s_barrier_wait -1
	s_and_saveexec_b32 s57, s97
	s_cbranch_execz .LBB59_595
; %bb.594:                              ;   in Loop: Header=BB59_3 Depth=1
	ds_load_b64 v[36:37], v5 offset:18200
	s_wait_dscnt 0x0
	v_pk_mul_f32 v[38:39], v[34:35], v[36:37] op_sel:[1,1] op_sel_hi:[1,0]
	s_delay_alu instid0(VALU_DEP_1) | instskip(SKIP_1) | instid1(VALU_DEP_2)
	v_pk_fma_f32 v[94:95], v[34:35], v[36:37], v[38:39] op_sel_hi:[0,1,1]
	v_pk_fma_f32 v[36:37], v[34:35], v[36:37], v[38:39] neg_lo:[0,0,1] neg_hi:[0,0,1]
	v_mov_b32_e32 v37, v95
	s_delay_alu instid0(VALU_DEP_1)
	v_mov_b64_e32 v[34:35], v[36:37]
	ds_store_b64 v3, v[36:37]
.LBB59_595:                             ;   in Loop: Header=BB59_3 Depth=1
	s_or_b32 exec_lo, exec_lo, s57
	s_wait_dscnt 0x0
	s_barrier_signal -1
	s_barrier_wait -1
	s_barrier_signal -1
	s_barrier_wait -1
	s_and_saveexec_b32 s57, s0
; %bb.596:                              ;   in Loop: Header=BB59_3 Depth=1
	v_pk_add_f32 v[34:35], v[34:35], 0 neg_lo:[1,1] neg_hi:[1,1]
	ds_store_b64 v41, v[34:35] offset:16656
; %bb.597:                              ;   in Loop: Header=BB59_3 Depth=1
	s_or_b32 exec_lo, exec_lo, s57
	s_wait_dscnt 0x0
	s_barrier_signal -1
	s_barrier_wait -1
	s_barrier_signal -1
	s_barrier_wait -1
	s_and_saveexec_b32 s57, s98
	s_cbranch_execz .LBB59_599
; %bb.598:                              ;   in Loop: Header=BB59_3 Depth=1
	ds_load_b64 v[34:35], v46 offset:16656
	s_wait_dscnt 0x0
	ds_store_b64 v43, v[34:35] offset:17664
	ds_load_b64 v[34:35], v46 offset:16664
	s_wait_dscnt 0x0
	ds_store_b64 v43, v[34:35] offset:18176
.LBB59_599:                             ;   in Loop: Header=BB59_3 Depth=1
	s_or_b32 exec_lo, exec_lo, s57
	s_wait_dscnt 0x0
	s_barrier_signal -1
	s_barrier_wait -1
	s_and_saveexec_b32 s57, s14
	s_cbranch_execz .LBB59_601
; %bb.600:                              ;   in Loop: Header=BB59_3 Depth=1
	ds_load_b128 v[34:37], v5 offset:17680
	ds_load_b64 v[38:39], v5 offset:18200
	s_wait_dscnt 0x1
	v_dual_mov_b32 v96, v37 :: v_dual_mov_b32 v97, v36
	s_wait_dscnt 0x0
	v_dual_mul_f32 v95, v39, v35 :: v_dual_mul_f32 v94, v38, v35
	s_delay_alu instid0(VALU_DEP_1) | instskip(NEXT) | instid1(VALU_DEP_2)
	v_xor_b32_e32 v98, 0x80000000, v95
	v_fmac_f32_e32 v94, v39, v34
	s_delay_alu instid0(VALU_DEP_2) | instskip(NEXT) | instid1(VALU_DEP_2)
	v_fmac_f32_e32 v98, v38, v34
	v_pk_mul_f32 v[34:35], v[94:95], v[96:97] op_sel_hi:[0,1]
	s_delay_alu instid0(VALU_DEP_1) | instskip(SKIP_2) | instid1(VALU_DEP_3)
	v_pk_fma_f32 v[38:39], v[98:99], v[36:37], v[34:35] op_sel_hi:[0,1,1]
	v_pk_fma_f32 v[34:35], v[98:99], v[36:37], v[34:35] neg_lo:[0,0,1] neg_hi:[0,0,1]
	v_add_nc_u32_e64 v36, 0x4000, 0
	v_mov_b32_e32 v35, v39
	ds_store_2addr_b64 v36, v[34:35], v[34:35] offset0:163 offset1:226
.LBB59_601:                             ;   in Loop: Header=BB59_3 Depth=1
	s_or_b32 exec_lo, exec_lo, s57
	v_mov_b32_e32 v34, 0
	s_wait_dscnt 0x0
	s_barrier_signal -1
	s_barrier_wait -1
	s_delay_alu instid0(VALU_DEP_1)
	v_mov_b32_e32 v35, v34
	s_and_saveexec_b32 s66, s2
	s_cbranch_execz .LBB59_607
; %bb.602:                              ;   in Loop: Header=BB59_3 Depth=1
	ds_load_b64 v[34:35], v48 offset:16672
	ds_load_b64 v[36:37], v44 offset:16640
	s_wait_dscnt 0x0
	v_pk_mul_f32 v[38:39], v[36:37], v[34:35] op_sel:[0,1]
	s_delay_alu instid0(VALU_DEP_1) | instskip(SKIP_1) | instid1(VALU_DEP_2)
	v_pk_fma_f32 v[94:95], v[36:37], v[34:35], v[38:39] op_sel:[1,0,0] op_sel_hi:[0,0,1] neg_lo:[0,0,1] neg_hi:[0,0,1]
	v_pk_fma_f32 v[34:35], v[36:37], v[34:35], v[38:39] op_sel:[1,0,0] op_sel_hi:[0,1,1]
	v_mov_b32_e32 v35, v95
	s_delay_alu instid0(VALU_DEP_1)
	v_pk_add_f32 v[34:35], v[34:35], 0 op_sel_hi:[1,0]
	s_and_saveexec_b32 s57, s16
	s_cbranch_execnz .LBB59_1136
; %bb.603:                              ;   in Loop: Header=BB59_3 Depth=1
	s_or_b32 exec_lo, exec_lo, s57
	s_and_saveexec_b32 s57, s17
	s_cbranch_execnz .LBB59_1137
.LBB59_604:                             ;   in Loop: Header=BB59_3 Depth=1
	s_or_b32 exec_lo, exec_lo, s57
	s_and_saveexec_b32 s57, s0
	s_cbranch_execz .LBB59_606
.LBB59_605:                             ;   in Loop: Header=BB59_3 Depth=1
	ds_load_b64 v[36:37], v51 offset:18208
	ds_load_b64 v[38:39], v5 offset:16664
	s_wait_dscnt 0x0
	v_pk_mul_f32 v[94:95], v[38:39], v[36:37] op_sel:[0,1]
	s_delay_alu instid0(VALU_DEP_1) | instskip(SKIP_1) | instid1(VALU_DEP_2)
	v_pk_fma_f32 v[96:97], v[38:39], v[36:37], v[94:95] op_sel:[1,0,0] op_sel_hi:[0,0,1] neg_lo:[0,0,1] neg_hi:[0,0,1]
	v_pk_fma_f32 v[36:37], v[38:39], v[36:37], v[94:95] op_sel:[1,0,0] op_sel_hi:[0,1,1]
	v_mov_b32_e32 v37, v97
	s_delay_alu instid0(VALU_DEP_1)
	v_pk_add_f32 v[34:35], v[34:35], v[36:37]
.LBB59_606:                             ;   in Loop: Header=BB59_3 Depth=1
	s_or_b32 exec_lo, exec_lo, s57
	s_delay_alu instid0(VALU_DEP_1) | instskip(NEXT) | instid1(VALU_DEP_1)
	v_pk_add_f32 v[36:37], v[34:35], 0 neg_lo:[1,1] neg_hi:[1,1]
	v_dual_mov_b32 v34, v37 :: v_dual_mov_b32 v35, v36
.LBB59_607:                             ;   in Loop: Header=BB59_3 Depth=1
	s_or_b32 exec_lo, exec_lo, s66
	s_and_saveexec_b32 s57, s99
	s_cbranch_execz .LBB59_609
; %bb.608:                              ;   in Loop: Header=BB59_3 Depth=1
	ds_load_b64 v[36:37], v5 offset:18720
	v_dual_mov_b32 v38, v35 :: v_dual_mov_b32 v39, v34
	s_wait_dscnt 0x0
	s_delay_alu instid0(VALU_DEP_1) | instskip(NEXT) | instid1(VALU_DEP_1)
	v_dual_mul_f32 v94, v38, v36 :: v_dual_mul_f32 v96, v35, v37
	v_pk_fma_f32 v[38:39], v[38:39], v[36:37], v[94:95] op_sel_hi:[1,1,0]
	s_delay_alu instid0(VALU_DEP_2) | instskip(NEXT) | instid1(VALU_DEP_2)
	v_pk_fma_f32 v[34:35], v[34:35], v[36:37], v[96:97] op_sel_hi:[1,1,0] neg_lo:[0,0,1] neg_hi:[0,0,1]
	v_mov_b32_e32 v35, v39
	ds_store_b64 v47, v[34:35]
.LBB59_609:                             ;   in Loop: Header=BB59_3 Depth=1
	s_or_b32 exec_lo, exec_lo, s57
	s_wait_dscnt 0x0
	s_barrier_signal -1
	s_barrier_wait -1
	s_and_saveexec_b32 s57, s100
	s_cbranch_execz .LBB59_611
; %bb.610:                              ;   in Loop: Header=BB59_3 Depth=1
	ds_load_b64 v[36:37], v45 offset:18720
	ds_load_b64 v[38:39], v47
	s_wait_dscnt 0x0
	v_dual_mul_f32 v94, v39, v37 :: v_dual_mul_f32 v95, v38, v37
	s_delay_alu instid0(VALU_DEP_1) | instskip(NEXT) | instid1(VALU_DEP_1)
	v_dual_fma_f32 v94, v38, v36, -v94 :: v_dual_fmac_f32 v95, v39, v36
	v_pk_add_f32 v[34:35], v[34:35], v[94:95]
.LBB59_611:                             ;   in Loop: Header=BB59_3 Depth=1
	s_or_b32 exec_lo, exec_lo, s57
	s_barrier_signal -1
	s_barrier_wait -1
	s_and_saveexec_b32 s57, s101
	s_cbranch_execz .LBB59_613
; %bb.612:                              ;   in Loop: Header=BB59_3 Depth=1
	ds_load_b64 v[36:37], v5 offset:19240
	s_wait_dscnt 0x0
	v_pk_mul_f32 v[38:39], v[34:35], v[36:37] op_sel:[1,1] op_sel_hi:[1,0]
	s_delay_alu instid0(VALU_DEP_1) | instskip(SKIP_1) | instid1(VALU_DEP_2)
	v_pk_fma_f32 v[94:95], v[34:35], v[36:37], v[38:39] op_sel_hi:[0,1,1]
	v_pk_fma_f32 v[36:37], v[34:35], v[36:37], v[38:39] neg_lo:[0,0,1] neg_hi:[0,0,1]
	v_mov_b32_e32 v37, v95
	s_delay_alu instid0(VALU_DEP_1)
	v_mov_b64_e32 v[34:35], v[36:37]
	ds_store_b64 v47, v[36:37]
.LBB59_613:                             ;   in Loop: Header=BB59_3 Depth=1
	s_or_b32 exec_lo, exec_lo, s57
	s_wait_dscnt 0x0
	s_barrier_signal -1
	s_barrier_wait -1
	s_and_saveexec_b32 s57, s102
	s_cbranch_execz .LBB59_615
; %bb.614:                              ;   in Loop: Header=BB59_3 Depth=1
	ds_load_b64 v[36:37], v45 offset:19232
	ds_load_b64 v[38:39], v47
	s_wait_dscnt 0x0
	v_pk_mul_f32 v[94:95], v[38:39], v[36:37] op_sel:[1,1] op_sel_hi:[0,1]
	s_delay_alu instid0(VALU_DEP_1) | instskip(SKIP_1) | instid1(VALU_DEP_2)
	v_pk_fma_f32 v[96:97], v[38:39], v[36:37], v[94:95] op_sel_hi:[1,0,1]
	v_pk_fma_f32 v[36:37], v[38:39], v[36:37], v[94:95] neg_lo:[0,0,1] neg_hi:[0,0,1]
	v_mov_b32_e32 v37, v97
	s_delay_alu instid0(VALU_DEP_1)
	v_pk_add_f32 v[34:35], v[34:35], v[36:37]
.LBB59_615:                             ;   in Loop: Header=BB59_3 Depth=1
	s_or_b32 exec_lo, exec_lo, s57
	s_barrier_signal -1
	s_barrier_wait -1
	s_and_saveexec_b32 s57, s103
	s_cbranch_execz .LBB59_617
; %bb.616:                              ;   in Loop: Header=BB59_3 Depth=1
	ds_load_b64 v[36:37], v5 offset:19760
	s_wait_dscnt 0x0
	v_pk_mul_f32 v[38:39], v[34:35], v[36:37] op_sel:[1,1] op_sel_hi:[1,0]
	s_delay_alu instid0(VALU_DEP_1) | instskip(SKIP_1) | instid1(VALU_DEP_2)
	v_pk_fma_f32 v[94:95], v[34:35], v[36:37], v[38:39] op_sel_hi:[0,1,1]
	v_pk_fma_f32 v[36:37], v[34:35], v[36:37], v[38:39] neg_lo:[0,0,1] neg_hi:[0,0,1]
	v_mov_b32_e32 v37, v95
	s_delay_alu instid0(VALU_DEP_1)
	v_mov_b64_e32 v[34:35], v[36:37]
	ds_store_b64 v47, v[36:37]
.LBB59_617:                             ;   in Loop: Header=BB59_3 Depth=1
	s_or_b32 exec_lo, exec_lo, s57
	s_wait_dscnt 0x0
	s_barrier_signal -1
	s_barrier_wait -1
	s_and_saveexec_b32 s57, s104
	s_cbranch_execz .LBB59_619
; %bb.618:                              ;   in Loop: Header=BB59_3 Depth=1
	ds_load_b64 v[36:37], v5 offset:19768
	ds_load_b64 v[38:39], v47
	s_wait_dscnt 0x0
	v_pk_mul_f32 v[94:95], v[38:39], v[36:37] op_sel:[1,1] op_sel_hi:[0,1]
	s_delay_alu instid0(VALU_DEP_1) | instskip(SKIP_1) | instid1(VALU_DEP_2)
	v_pk_fma_f32 v[96:97], v[38:39], v[36:37], v[94:95] op_sel_hi:[1,0,1]
	v_pk_fma_f32 v[36:37], v[38:39], v[36:37], v[94:95] neg_lo:[0,0,1] neg_hi:[0,0,1]
	v_mov_b32_e32 v37, v97
	s_delay_alu instid0(VALU_DEP_1)
	v_pk_add_f32 v[34:35], v[34:35], v[36:37]
.LBB59_619:                             ;   in Loop: Header=BB59_3 Depth=1
	s_or_b32 exec_lo, exec_lo, s57
	s_barrier_signal -1
	s_barrier_wait -1
	s_and_saveexec_b32 s57, s104
	s_cbranch_execz .LBB59_621
; %bb.620:                              ;   in Loop: Header=BB59_3 Depth=1
	ds_load_b64 v[36:37], v5 offset:20280
	s_wait_dscnt 0x0
	v_pk_mul_f32 v[38:39], v[34:35], v[36:37] op_sel:[1,1] op_sel_hi:[1,0]
	s_delay_alu instid0(VALU_DEP_1) | instskip(SKIP_1) | instid1(VALU_DEP_2)
	v_pk_fma_f32 v[94:95], v[34:35], v[36:37], v[38:39] op_sel_hi:[0,1,1]
	v_pk_fma_f32 v[36:37], v[34:35], v[36:37], v[38:39] neg_lo:[0,0,1] neg_hi:[0,0,1]
	v_mov_b32_e32 v37, v95
	s_delay_alu instid0(VALU_DEP_1)
	v_mov_b64_e32 v[34:35], v[36:37]
	ds_store_b64 v47, v[36:37]
.LBB59_621:                             ;   in Loop: Header=BB59_3 Depth=1
	s_or_b32 exec_lo, exec_lo, s57
	s_wait_dscnt 0x0
	s_barrier_signal -1
	s_barrier_wait -1
	s_barrier_signal -1
	s_barrier_wait -1
	s_and_saveexec_b32 s57, s2
; %bb.622:                              ;   in Loop: Header=BB59_3 Depth=1
	v_pk_add_f32 v[34:35], v[34:35], 0 neg_lo:[1,1] neg_hi:[1,1]
	ds_store_b64 v48, v[34:35] offset:16672
; %bb.623:                              ;   in Loop: Header=BB59_3 Depth=1
	s_or_b32 exec_lo, exec_lo, s57
	s_wait_dscnt 0x0
	s_barrier_signal -1
	s_barrier_wait -1
	s_barrier_signal -1
	s_barrier_wait -1
	s_and_saveexec_b32 s57, vcc_hi
	s_cbranch_execz .LBB59_625
; %bb.624:                              ;   in Loop: Header=BB59_3 Depth=1
	ds_load_b64 v[34:35], v52 offset:16672
	s_wait_dscnt 0x0
	ds_store_b64 v53, v[34:35] offset:18688
	ds_load_b64 v[34:35], v52 offset:16680
	s_wait_dscnt 0x0
	ds_store_b64 v53, v[34:35] offset:19200
	;; [unrolled: 3-line block ×4, first 2 shown]
.LBB59_625:                             ;   in Loop: Header=BB59_3 Depth=1
	s_or_b32 exec_lo, exec_lo, s57
	s_wait_dscnt 0x0
	s_barrier_signal -1
	s_barrier_wait -1
	s_and_saveexec_b32 s57, s14
	s_cbranch_execz .LBB59_627
; %bb.626:                              ;   in Loop: Header=BB59_3 Depth=1
	ds_load_b128 v[34:37], v5 offset:18720
	ds_load_b64 v[38:39], v5 offset:19240
	s_wait_dscnt 0x1
	v_dual_mov_b32 v96, v37 :: v_dual_mov_b32 v97, v36
	s_wait_dscnt 0x0
	v_dual_mul_f32 v95, v39, v35 :: v_dual_mul_f32 v94, v38, v35
	s_delay_alu instid0(VALU_DEP_1) | instskip(NEXT) | instid1(VALU_DEP_2)
	v_xor_b32_e32 v98, 0x80000000, v95
	v_fmac_f32_e32 v94, v39, v34
	s_delay_alu instid0(VALU_DEP_2) | instskip(NEXT) | instid1(VALU_DEP_2)
	v_fmac_f32_e32 v98, v38, v34
	v_pk_mul_f32 v[34:35], v[94:95], v[96:97] op_sel_hi:[0,1]
	s_delay_alu instid0(VALU_DEP_1) | instskip(SKIP_2) | instid1(VALU_DEP_3)
	v_pk_fma_f32 v[38:39], v[98:99], v[36:37], v[34:35] op_sel_hi:[0,1,1]
	v_pk_fma_f32 v[34:35], v[98:99], v[36:37], v[34:35] neg_lo:[0,0,1] neg_hi:[0,0,1]
	v_add_nc_u32_e64 v36, 0x4800, 0
	v_mov_b32_e32 v35, v39
	ds_store_2addr_b64 v36, v[34:35], v[34:35] offset0:37 offset1:100
.LBB59_627:                             ;   in Loop: Header=BB59_3 Depth=1
	s_or_b32 exec_lo, exec_lo, s57
	v_mov_b32_e32 v35, 0
	s_wait_dscnt 0x0
	s_barrier_signal -1
	s_barrier_wait -1
	s_delay_alu instid0(VALU_DEP_1)
	v_mov_b32_e32 v34, v35
	s_and_saveexec_b32 s57, s0
	s_cbranch_execz .LBB59_631
; %bb.628:                              ;   in Loop: Header=BB59_3 Depth=1
	ds_load_b64 v[34:35], v41 offset:18736
	ds_load_b64 v[36:37], v42 offset:18720
	s_wait_dscnt 0x0
	v_dual_mul_f32 v38, v37, v35 :: v_dual_mul_f32 v39, v36, v35
	s_delay_alu instid0(VALU_DEP_1) | instskip(NEXT) | instid1(VALU_DEP_1)
	v_dual_fma_f32 v38, v36, v34, -v38 :: v_dual_fmac_f32 v39, v37, v34
	v_pk_add_f32 v[34:35], v[38:39], 0 op_sel_hi:[1,0]
	s_and_saveexec_b32 s58, s15
	s_cbranch_execz .LBB59_630
; %bb.629:                              ;   in Loop: Header=BB59_3 Depth=1
	ds_load_b64 v[36:37], v53 offset:19248
	ds_load_b64 v[38:39], v5 offset:18728
	s_wait_dscnt 0x0
	v_pk_mul_f32 v[94:95], v[38:39], v[36:37] op_sel:[1,1] op_sel_hi:[0,1]
	s_delay_alu instid0(VALU_DEP_1) | instskip(SKIP_1) | instid1(VALU_DEP_2)
	v_pk_fma_f32 v[96:97], v[38:39], v[36:37], v[94:95] op_sel_hi:[1,0,1]
	v_pk_fma_f32 v[36:37], v[38:39], v[36:37], v[94:95] neg_lo:[0,0,1] neg_hi:[0,0,1]
	v_mov_b32_e32 v37, v97
	s_delay_alu instid0(VALU_DEP_1)
	v_pk_add_f32 v[34:35], v[34:35], v[36:37]
.LBB59_630:                             ;   in Loop: Header=BB59_3 Depth=1
	s_or_b32 exec_lo, exec_lo, s58
	s_delay_alu instid0(VALU_DEP_1)
	v_pk_add_f32 v[34:35], v[34:35], 0 neg_lo:[1,1] neg_hi:[1,1]
.LBB59_631:                             ;   in Loop: Header=BB59_3 Depth=1
	s_or_b32 exec_lo, exec_lo, s57
	s_and_saveexec_b32 s57, s96
	s_cbranch_execz .LBB59_633
; %bb.632:                              ;   in Loop: Header=BB59_3 Depth=1
	ds_load_b64 v[36:37], v5 offset:19760
	s_wait_dscnt 0x0
	v_pk_mul_f32 v[38:39], v[34:35], v[36:37] op_sel:[1,1] op_sel_hi:[1,0]
	s_delay_alu instid0(VALU_DEP_1) | instskip(SKIP_1) | instid1(VALU_DEP_2)
	v_pk_fma_f32 v[94:95], v[34:35], v[36:37], v[38:39] op_sel_hi:[0,1,1]
	v_pk_fma_f32 v[36:37], v[34:35], v[36:37], v[38:39] neg_lo:[0,0,1] neg_hi:[0,0,1]
	v_mov_b32_e32 v37, v95
	s_delay_alu instid0(VALU_DEP_1)
	v_mov_b64_e32 v[34:35], v[36:37]
	ds_store_b64 v3, v[36:37]
.LBB59_633:                             ;   in Loop: Header=BB59_3 Depth=1
	s_or_b32 exec_lo, exec_lo, s57
	s_wait_dscnt 0x0
	s_barrier_signal -1
	s_barrier_wait -1
	s_and_saveexec_b32 s57, s97
	s_cbranch_execz .LBB59_635
; %bb.634:                              ;   in Loop: Header=BB59_3 Depth=1
	ds_load_b64 v[36:37], v5 offset:19768
	ds_load_b64 v[38:39], v3
	s_wait_dscnt 0x0
	v_pk_mul_f32 v[94:95], v[38:39], v[36:37] op_sel:[1,1] op_sel_hi:[0,1]
	s_delay_alu instid0(VALU_DEP_1) | instskip(SKIP_1) | instid1(VALU_DEP_2)
	v_pk_fma_f32 v[96:97], v[38:39], v[36:37], v[94:95] op_sel_hi:[1,0,1]
	v_pk_fma_f32 v[36:37], v[38:39], v[36:37], v[94:95] neg_lo:[0,0,1] neg_hi:[0,0,1]
	v_mov_b32_e32 v37, v97
	s_delay_alu instid0(VALU_DEP_1)
	v_pk_add_f32 v[34:35], v[34:35], v[36:37]
.LBB59_635:                             ;   in Loop: Header=BB59_3 Depth=1
	s_or_b32 exec_lo, exec_lo, s57
	s_barrier_signal -1
	s_barrier_wait -1
	s_and_saveexec_b32 s57, s97
	s_cbranch_execz .LBB59_637
; %bb.636:                              ;   in Loop: Header=BB59_3 Depth=1
	ds_load_b64 v[36:37], v5 offset:20280
	s_wait_dscnt 0x0
	v_pk_mul_f32 v[38:39], v[34:35], v[36:37] op_sel:[1,1] op_sel_hi:[1,0]
	s_delay_alu instid0(VALU_DEP_1) | instskip(SKIP_1) | instid1(VALU_DEP_2)
	v_pk_fma_f32 v[94:95], v[34:35], v[36:37], v[38:39] op_sel_hi:[0,1,1]
	v_pk_fma_f32 v[36:37], v[34:35], v[36:37], v[38:39] neg_lo:[0,0,1] neg_hi:[0,0,1]
	v_mov_b32_e32 v37, v95
	s_delay_alu instid0(VALU_DEP_1)
	v_mov_b64_e32 v[34:35], v[36:37]
	ds_store_b64 v3, v[36:37]
.LBB59_637:                             ;   in Loop: Header=BB59_3 Depth=1
	s_or_b32 exec_lo, exec_lo, s57
	s_wait_dscnt 0x0
	s_barrier_signal -1
	s_barrier_wait -1
	s_barrier_signal -1
	s_barrier_wait -1
	s_and_saveexec_b32 s57, s0
; %bb.638:                              ;   in Loop: Header=BB59_3 Depth=1
	v_pk_add_f32 v[34:35], v[34:35], 0 neg_lo:[1,1] neg_hi:[1,1]
	ds_store_b64 v41, v[34:35] offset:18736
; %bb.639:                              ;   in Loop: Header=BB59_3 Depth=1
	s_or_b32 exec_lo, exec_lo, s57
	s_wait_dscnt 0x0
	s_barrier_signal -1
	s_barrier_wait -1
	s_barrier_signal -1
	s_barrier_wait -1
	s_and_saveexec_b32 s57, s98
	s_cbranch_execz .LBB59_641
; %bb.640:                              ;   in Loop: Header=BB59_3 Depth=1
	ds_load_b64 v[34:35], v55 offset:18736
	s_wait_dscnt 0x0
	ds_store_b64 v53, v[34:35] offset:19744
	ds_load_b64 v[34:35], v55 offset:18744
	s_wait_dscnt 0x0
	ds_store_b64 v53, v[34:35] offset:20256
.LBB59_641:                             ;   in Loop: Header=BB59_3 Depth=1
	s_or_b32 exec_lo, exec_lo, s57
	s_wait_dscnt 0x0
	s_barrier_signal -1
	s_barrier_wait -1
	s_and_saveexec_b32 s57, s14
	s_cbranch_execz .LBB59_643
; %bb.642:                              ;   in Loop: Header=BB59_3 Depth=1
	ds_load_b128 v[34:37], v5 offset:19760
	ds_load_b64 v[38:39], v5 offset:20280
	s_wait_dscnt 0x1
	v_dual_mov_b32 v96, v37 :: v_dual_mov_b32 v97, v36
	s_wait_dscnt 0x0
	v_dual_mul_f32 v95, v39, v35 :: v_dual_mul_f32 v94, v38, v35
	s_delay_alu instid0(VALU_DEP_1) | instskip(NEXT) | instid1(VALU_DEP_2)
	v_xor_b32_e32 v98, 0x80000000, v95
	v_fmac_f32_e32 v94, v39, v34
	s_delay_alu instid0(VALU_DEP_2) | instskip(NEXT) | instid1(VALU_DEP_2)
	v_fmac_f32_e32 v98, v38, v34
	v_pk_mul_f32 v[34:35], v[94:95], v[96:97] op_sel_hi:[0,1]
	s_delay_alu instid0(VALU_DEP_1) | instskip(SKIP_2) | instid1(VALU_DEP_3)
	v_pk_fma_f32 v[38:39], v[98:99], v[36:37], v[34:35] op_sel_hi:[0,1,1]
	v_pk_fma_f32 v[34:35], v[98:99], v[36:37], v[34:35] neg_lo:[0,0,1] neg_hi:[0,0,1]
	v_add_nc_u32_e64 v36, 0x4800, 0
	v_mov_b32_e32 v35, v39
	ds_store_2addr_b64 v36, v[34:35], v[34:35] offset0:167 offset1:230
.LBB59_643:                             ;   in Loop: Header=BB59_3 Depth=1
	s_or_b32 exec_lo, exec_lo, s57
	v_mov_b32_e32 v34, 0
	s_wait_dscnt 0x0
	s_barrier_signal -1
	s_barrier_wait -1
	s_delay_alu instid0(VALU_DEP_1)
	v_mov_b32_e32 v35, v34
	s_and_saveexec_b32 s66, s3
	s_cbranch_execz .LBB59_653
; %bb.644:                              ;   in Loop: Header=BB59_3 Depth=1
	ds_load_b64 v[34:35], v58 offset:16704
	ds_load_b64 v[36:37], v54 offset:16640
	s_wait_dscnt 0x0
	v_dual_mul_f32 v38, v37, v35 :: v_dual_mul_f32 v39, v36, v35
	s_delay_alu instid0(VALU_DEP_1) | instskip(NEXT) | instid1(VALU_DEP_1)
	v_dual_fma_f32 v35, v36, v34, -v38 :: v_dual_fmac_f32 v39, v37, v34
	v_add_f32_e32 v35, 0, v35
	s_delay_alu instid0(VALU_DEP_2)
	v_add_f32_e32 v34, 0, v39
	s_and_saveexec_b32 s57, s18
	s_cbranch_execnz .LBB59_1138
; %bb.645:                              ;   in Loop: Header=BB59_3 Depth=1
	s_or_b32 exec_lo, exec_lo, s57
	s_and_saveexec_b32 s57, s19
	s_cbranch_execnz .LBB59_1139
.LBB59_646:                             ;   in Loop: Header=BB59_3 Depth=1
	s_or_b32 exec_lo, exec_lo, s57
	s_and_saveexec_b32 s57, s20
	s_cbranch_execnz .LBB59_1140
.LBB59_647:                             ;   in Loop: Header=BB59_3 Depth=1
	s_or_b32 exec_lo, exec_lo, s57
	s_and_saveexec_b32 s57, s21
	s_cbranch_execnz .LBB59_1141
.LBB59_648:                             ;   in Loop: Header=BB59_3 Depth=1
	s_or_b32 exec_lo, exec_lo, s57
	s_and_saveexec_b32 s57, s22
	s_cbranch_execnz .LBB59_1142
.LBB59_649:                             ;   in Loop: Header=BB59_3 Depth=1
	s_or_b32 exec_lo, exec_lo, s57
	s_and_saveexec_b32 s57, s2
	s_cbranch_execnz .LBB59_1143
.LBB59_650:                             ;   in Loop: Header=BB59_3 Depth=1
	s_or_b32 exec_lo, exec_lo, s57
	s_and_saveexec_b32 s57, s17
	s_cbranch_execz .LBB59_652
.LBB59_651:                             ;   in Loop: Header=BB59_3 Depth=1
	ds_load_b64 v[36:37], v68 offset:20288
	ds_load_b64 v[38:39], v5 offset:16696
	s_wait_dscnt 0x0
	v_pk_mul_f32 v[94:95], v[38:39], v[36:37] op_sel:[0,1]
	s_delay_alu instid0(VALU_DEP_1) | instskip(SKIP_1) | instid1(VALU_DEP_2)
	v_pk_fma_f32 v[96:97], v[38:39], v[36:37], v[94:95] op_sel:[1,0,0] op_sel_hi:[0,0,1] neg_lo:[0,0,1] neg_hi:[0,0,1]
	v_pk_fma_f32 v[36:37], v[38:39], v[36:37], v[94:95] op_sel:[1,0,0] op_sel_hi:[0,1,1]
	v_mov_b32_e32 v37, v97
	s_delay_alu instid0(VALU_DEP_1)
	v_pk_add_f32 v[34:35], v[34:35], v[36:37]
.LBB59_652:                             ;   in Loop: Header=BB59_3 Depth=1
	s_or_b32 exec_lo, exec_lo, s57
	s_delay_alu instid0(VALU_DEP_1) | instskip(NEXT) | instid1(VALU_DEP_1)
	v_pk_add_f32 v[36:37], v[34:35], 0 neg_lo:[1,1] neg_hi:[1,1]
	v_dual_mov_b32 v34, v37 :: v_dual_mov_b32 v35, v36
.LBB59_653:                             ;   in Loop: Header=BB59_3 Depth=1
	s_or_b32 exec_lo, exec_lo, s66
	s_and_saveexec_b32 s57, s39
	s_cbranch_execz .LBB59_655
; %bb.654:                              ;   in Loop: Header=BB59_3 Depth=1
	ds_load_b64 v[36:37], v5 offset:20800
	v_dual_mov_b32 v38, v35 :: v_dual_mov_b32 v39, v34
	s_wait_dscnt 0x0
	s_delay_alu instid0(VALU_DEP_1) | instskip(NEXT) | instid1(VALU_DEP_1)
	v_dual_mul_f32 v94, v38, v36 :: v_dual_mul_f32 v96, v35, v37
	v_pk_fma_f32 v[38:39], v[38:39], v[36:37], v[94:95] op_sel_hi:[1,1,0]
	s_delay_alu instid0(VALU_DEP_2) | instskip(NEXT) | instid1(VALU_DEP_2)
	v_pk_fma_f32 v[34:35], v[34:35], v[36:37], v[96:97] op_sel_hi:[1,1,0] neg_lo:[0,0,1] neg_hi:[0,0,1]
	v_mov_b32_e32 v35, v39
	ds_store_b64 v57, v[34:35]
.LBB59_655:                             ;   in Loop: Header=BB59_3 Depth=1
	s_or_b32 exec_lo, exec_lo, s57
	s_wait_dscnt 0x0
	s_barrier_signal -1
	s_barrier_wait -1
	s_and_saveexec_b32 s57, s40
	s_cbranch_execz .LBB59_657
; %bb.656:                              ;   in Loop: Header=BB59_3 Depth=1
	ds_load_b64 v[36:37], v56 offset:20800
	ds_load_b64 v[38:39], v57
	s_wait_dscnt 0x0
	v_dual_mul_f32 v94, v39, v37 :: v_dual_mul_f32 v95, v38, v37
	s_delay_alu instid0(VALU_DEP_1) | instskip(NEXT) | instid1(VALU_DEP_1)
	v_dual_fma_f32 v94, v38, v36, -v94 :: v_dual_fmac_f32 v95, v39, v36
	v_pk_add_f32 v[34:35], v[34:35], v[94:95]
.LBB59_657:                             ;   in Loop: Header=BB59_3 Depth=1
	s_or_b32 exec_lo, exec_lo, s57
	s_barrier_signal -1
	s_barrier_wait -1
	s_and_saveexec_b32 s57, s41
	s_cbranch_execz .LBB59_659
; %bb.658:                              ;   in Loop: Header=BB59_3 Depth=1
	ds_load_b64 v[36:37], v5 offset:21320
	s_wait_dscnt 0x0
	v_pk_mul_f32 v[38:39], v[34:35], v[36:37] op_sel:[1,1] op_sel_hi:[1,0]
	s_delay_alu instid0(VALU_DEP_1) | instskip(SKIP_1) | instid1(VALU_DEP_2)
	v_pk_fma_f32 v[94:95], v[34:35], v[36:37], v[38:39] op_sel_hi:[0,1,1]
	v_pk_fma_f32 v[34:35], v[34:35], v[36:37], v[38:39] op_sel_hi:[0,1,1] neg_lo:[0,0,1] neg_hi:[0,0,1]
	v_mov_b32_e32 v35, v95
	ds_store_b64 v57, v[34:35]
.LBB59_659:                             ;   in Loop: Header=BB59_3 Depth=1
	s_or_b32 exec_lo, exec_lo, s57
	s_wait_dscnt 0x0
	s_barrier_signal -1
	s_barrier_wait -1
	s_and_saveexec_b32 s57, s42
	s_cbranch_execz .LBB59_661
; %bb.660:                              ;   in Loop: Header=BB59_3 Depth=1
	ds_load_b64 v[36:37], v56 offset:21312
	ds_load_b64 v[38:39], v57
	s_wait_dscnt 0x0
	v_pk_mul_f32 v[94:95], v[38:39], v[36:37] op_sel:[1,1] op_sel_hi:[0,1]
	s_delay_alu instid0(VALU_DEP_1) | instskip(SKIP_1) | instid1(VALU_DEP_2)
	v_pk_fma_f32 v[96:97], v[38:39], v[36:37], v[94:95] op_sel_hi:[1,0,1]
	v_pk_fma_f32 v[36:37], v[38:39], v[36:37], v[94:95] op_sel_hi:[1,0,1] neg_lo:[0,0,1] neg_hi:[0,0,1]
	v_mov_b32_e32 v37, v97
	s_delay_alu instid0(VALU_DEP_1)
	v_pk_add_f32 v[34:35], v[34:35], v[36:37]
.LBB59_661:                             ;   in Loop: Header=BB59_3 Depth=1
	s_or_b32 exec_lo, exec_lo, s57
	s_barrier_signal -1
	s_barrier_wait -1
	s_and_saveexec_b32 s57, s43
	s_cbranch_execz .LBB59_663
; %bb.662:                              ;   in Loop: Header=BB59_3 Depth=1
	ds_load_b64 v[36:37], v5 offset:21840
	s_wait_dscnt 0x0
	v_pk_mul_f32 v[38:39], v[34:35], v[36:37] op_sel:[1,1] op_sel_hi:[1,0]
	s_delay_alu instid0(VALU_DEP_1) | instskip(SKIP_1) | instid1(VALU_DEP_2)
	v_pk_fma_f32 v[94:95], v[34:35], v[36:37], v[38:39] op_sel_hi:[0,1,1]
	v_pk_fma_f32 v[34:35], v[34:35], v[36:37], v[38:39] op_sel_hi:[0,1,1] neg_lo:[0,0,1] neg_hi:[0,0,1]
	v_mov_b32_e32 v35, v95
	ds_store_b64 v57, v[34:35]
.LBB59_663:                             ;   in Loop: Header=BB59_3 Depth=1
	s_or_b32 exec_lo, exec_lo, s57
	s_wait_dscnt 0x0
	s_barrier_signal -1
	s_barrier_wait -1
	s_and_saveexec_b32 s57, s44
	s_cbranch_execz .LBB59_665
; %bb.664:                              ;   in Loop: Header=BB59_3 Depth=1
	ds_load_b64 v[36:37], v56 offset:21824
	ds_load_b64 v[38:39], v57
	s_wait_dscnt 0x0
	v_pk_mul_f32 v[94:95], v[38:39], v[36:37] op_sel:[1,1] op_sel_hi:[0,1]
	s_delay_alu instid0(VALU_DEP_1) | instskip(SKIP_1) | instid1(VALU_DEP_2)
	v_pk_fma_f32 v[96:97], v[38:39], v[36:37], v[94:95] op_sel_hi:[1,0,1]
	v_pk_fma_f32 v[36:37], v[38:39], v[36:37], v[94:95] op_sel_hi:[1,0,1] neg_lo:[0,0,1] neg_hi:[0,0,1]
	v_mov_b32_e32 v37, v97
	s_delay_alu instid0(VALU_DEP_1)
	v_pk_add_f32 v[34:35], v[34:35], v[36:37]
.LBB59_665:                             ;   in Loop: Header=BB59_3 Depth=1
	;; [unrolled: 33-line block ×3, first 2 shown]
	s_or_b32 exec_lo, exec_lo, s57
	s_barrier_signal -1
	s_barrier_wait -1
	s_and_saveexec_b32 s57, s47
	s_cbranch_execz .LBB59_671
; %bb.670:                              ;   in Loop: Header=BB59_3 Depth=1
	ds_load_b64 v[36:37], v5 offset:22880
	s_wait_dscnt 0x0
	v_dual_mul_f32 v38, v34, v37 :: v_dual_mul_f32 v94, v35, v37
	s_delay_alu instid0(VALU_DEP_1) | instskip(NEXT) | instid1(VALU_DEP_2)
	v_pk_fma_f32 v[38:39], v[34:35], v[36:37], v[38:39] op_sel:[0,1,0] op_sel_hi:[1,0,0]
	v_pk_fma_f32 v[36:37], v[34:35], v[36:37], v[94:95] op_sel_hi:[1,1,0] neg_lo:[0,0,1] neg_hi:[0,0,1]
	s_delay_alu instid0(VALU_DEP_2) | instskip(NEXT) | instid1(VALU_DEP_1)
	v_mov_b32_e32 v37, v39
	v_mov_b64_e32 v[34:35], v[36:37]
	ds_store_b64 v57, v[36:37]
.LBB59_671:                             ;   in Loop: Header=BB59_3 Depth=1
	s_or_b32 exec_lo, exec_lo, s57
	s_wait_dscnt 0x0
	s_barrier_signal -1
	s_barrier_wait -1
	s_and_saveexec_b32 s57, s48
	s_cbranch_execz .LBB59_673
; %bb.672:                              ;   in Loop: Header=BB59_3 Depth=1
	ds_load_b64 v[36:37], v56 offset:22848
	ds_load_b64 v[38:39], v57
	s_wait_dscnt 0x0
	v_dual_mul_f32 v94, v39, v37 :: v_dual_mul_f32 v95, v38, v37
	s_delay_alu instid0(VALU_DEP_1) | instskip(NEXT) | instid1(VALU_DEP_1)
	v_dual_fma_f32 v94, v38, v36, -v94 :: v_dual_fmac_f32 v95, v39, v36
	v_pk_add_f32 v[34:35], v[34:35], v[94:95]
.LBB59_673:                             ;   in Loop: Header=BB59_3 Depth=1
	s_or_b32 exec_lo, exec_lo, s57
	s_barrier_signal -1
	s_barrier_wait -1
	s_and_saveexec_b32 s57, s49
	s_cbranch_execz .LBB59_675
; %bb.674:                              ;   in Loop: Header=BB59_3 Depth=1
	ds_load_b64 v[36:37], v5 offset:23400
	s_wait_dscnt 0x0
	v_pk_mul_f32 v[38:39], v[34:35], v[36:37] op_sel:[1,1] op_sel_hi:[1,0]
	s_delay_alu instid0(VALU_DEP_1) | instskip(SKIP_1) | instid1(VALU_DEP_2)
	v_pk_fma_f32 v[94:95], v[34:35], v[36:37], v[38:39] op_sel_hi:[0,1,1]
	v_pk_fma_f32 v[36:37], v[34:35], v[36:37], v[38:39] neg_lo:[0,0,1] neg_hi:[0,0,1]
	v_mov_b32_e32 v37, v95
	s_delay_alu instid0(VALU_DEP_1)
	v_mov_b64_e32 v[34:35], v[36:37]
	ds_store_b64 v57, v[36:37]
.LBB59_675:                             ;   in Loop: Header=BB59_3 Depth=1
	s_or_b32 exec_lo, exec_lo, s57
	s_wait_dscnt 0x0
	s_barrier_signal -1
	s_barrier_wait -1
	s_and_saveexec_b32 s57, s50
	s_cbranch_execz .LBB59_677
; %bb.676:                              ;   in Loop: Header=BB59_3 Depth=1
	ds_load_b64 v[36:37], v56 offset:23360
	ds_load_b64 v[38:39], v57
	s_wait_dscnt 0x0
	v_pk_mul_f32 v[94:95], v[38:39], v[36:37] op_sel:[1,1] op_sel_hi:[0,1]
	s_delay_alu instid0(VALU_DEP_1) | instskip(SKIP_1) | instid1(VALU_DEP_2)
	v_pk_fma_f32 v[96:97], v[38:39], v[36:37], v[94:95] op_sel_hi:[1,0,1]
	v_pk_fma_f32 v[36:37], v[38:39], v[36:37], v[94:95] neg_lo:[0,0,1] neg_hi:[0,0,1]
	v_mov_b32_e32 v37, v97
	s_delay_alu instid0(VALU_DEP_1)
	v_pk_add_f32 v[34:35], v[34:35], v[36:37]
.LBB59_677:                             ;   in Loop: Header=BB59_3 Depth=1
	s_or_b32 exec_lo, exec_lo, s57
	s_barrier_signal -1
	s_barrier_wait -1
	s_and_saveexec_b32 s57, s51
	s_cbranch_execz .LBB59_679
; %bb.678:                              ;   in Loop: Header=BB59_3 Depth=1
	ds_load_b64 v[36:37], v5 offset:23920
	s_wait_dscnt 0x0
	v_pk_mul_f32 v[38:39], v[34:35], v[36:37] op_sel:[1,1] op_sel_hi:[1,0]
	s_delay_alu instid0(VALU_DEP_1) | instskip(SKIP_1) | instid1(VALU_DEP_2)
	v_pk_fma_f32 v[94:95], v[34:35], v[36:37], v[38:39] op_sel_hi:[0,1,1]
	v_pk_fma_f32 v[36:37], v[34:35], v[36:37], v[38:39] neg_lo:[0,0,1] neg_hi:[0,0,1]
	v_mov_b32_e32 v37, v95
	s_delay_alu instid0(VALU_DEP_1)
	v_mov_b64_e32 v[34:35], v[36:37]
	ds_store_b64 v57, v[36:37]
.LBB59_679:                             ;   in Loop: Header=BB59_3 Depth=1
	s_or_b32 exec_lo, exec_lo, s57
	s_wait_dscnt 0x0
	s_barrier_signal -1
	s_barrier_wait -1
	s_and_saveexec_b32 s57, s52
	s_cbranch_execz .LBB59_681
; %bb.680:                              ;   in Loop: Header=BB59_3 Depth=1
	ds_load_b64 v[36:37], v5 offset:23928
	ds_load_b64 v[38:39], v57
	s_wait_dscnt 0x0
	v_pk_mul_f32 v[94:95], v[38:39], v[36:37] op_sel:[1,1] op_sel_hi:[0,1]
	s_delay_alu instid0(VALU_DEP_1) | instskip(SKIP_1) | instid1(VALU_DEP_2)
	v_pk_fma_f32 v[96:97], v[38:39], v[36:37], v[94:95] op_sel_hi:[1,0,1]
	v_pk_fma_f32 v[36:37], v[38:39], v[36:37], v[94:95] neg_lo:[0,0,1] neg_hi:[0,0,1]
	v_mov_b32_e32 v37, v97
	s_delay_alu instid0(VALU_DEP_1)
	v_pk_add_f32 v[34:35], v[34:35], v[36:37]
.LBB59_681:                             ;   in Loop: Header=BB59_3 Depth=1
	s_or_b32 exec_lo, exec_lo, s57
	s_barrier_signal -1
	s_barrier_wait -1
	s_and_saveexec_b32 s57, s52
	s_cbranch_execz .LBB59_683
; %bb.682:                              ;   in Loop: Header=BB59_3 Depth=1
	ds_load_b64 v[36:37], v5 offset:24440
	s_wait_dscnt 0x0
	v_pk_mul_f32 v[38:39], v[34:35], v[36:37] op_sel:[1,1] op_sel_hi:[1,0]
	s_delay_alu instid0(VALU_DEP_1) | instskip(SKIP_1) | instid1(VALU_DEP_2)
	v_pk_fma_f32 v[94:95], v[34:35], v[36:37], v[38:39] op_sel_hi:[0,1,1]
	v_pk_fma_f32 v[36:37], v[34:35], v[36:37], v[38:39] neg_lo:[0,0,1] neg_hi:[0,0,1]
	v_mov_b32_e32 v37, v95
	s_delay_alu instid0(VALU_DEP_1)
	v_mov_b64_e32 v[34:35], v[36:37]
	ds_store_b64 v57, v[36:37]
.LBB59_683:                             ;   in Loop: Header=BB59_3 Depth=1
	s_or_b32 exec_lo, exec_lo, s57
	s_wait_dscnt 0x0
	s_barrier_signal -1
	s_barrier_wait -1
	s_barrier_signal -1
	s_barrier_wait -1
	s_and_saveexec_b32 s57, s3
; %bb.684:                              ;   in Loop: Header=BB59_3 Depth=1
	v_pk_add_f32 v[34:35], v[34:35], 0 neg_lo:[1,1] neg_hi:[1,1]
	ds_store_b64 v58, v[34:35] offset:16704
; %bb.685:                              ;   in Loop: Header=BB59_3 Depth=1
	s_or_b32 exec_lo, exec_lo, s57
	s_wait_dscnt 0x0
	s_barrier_signal -1
	s_barrier_wait -1
	s_barrier_signal -1
	s_barrier_wait -1
	s_and_saveexec_b32 s57, s53
	s_cbranch_execz .LBB59_687
; %bb.686:                              ;   in Loop: Header=BB59_3 Depth=1
	ds_load_b64 v[34:35], v69 offset:16704
	s_wait_dscnt 0x0
	ds_store_b64 v70, v[34:35] offset:20736
	ds_load_b64 v[34:35], v69 offset:16712
	s_wait_dscnt 0x0
	ds_store_b64 v70, v[34:35] offset:21248
	;; [unrolled: 3-line block ×8, first 2 shown]
.LBB59_687:                             ;   in Loop: Header=BB59_3 Depth=1
	s_or_b32 exec_lo, exec_lo, s57
	s_wait_dscnt 0x0
	s_barrier_signal -1
	s_barrier_wait -1
	s_and_saveexec_b32 s57, s14
	s_cbranch_execz .LBB59_689
; %bb.688:                              ;   in Loop: Header=BB59_3 Depth=1
	ds_load_b128 v[34:37], v5 offset:20800
	ds_load_b64 v[38:39], v5 offset:21320
	s_wait_dscnt 0x1
	v_dual_mov_b32 v96, v37 :: v_dual_mov_b32 v97, v36
	s_wait_dscnt 0x0
	v_dual_mul_f32 v95, v39, v35 :: v_dual_mul_f32 v94, v38, v35
	s_delay_alu instid0(VALU_DEP_1) | instskip(NEXT) | instid1(VALU_DEP_2)
	v_xor_b32_e32 v98, 0x80000000, v95
	v_fmac_f32_e32 v94, v39, v34
	s_delay_alu instid0(VALU_DEP_2) | instskip(NEXT) | instid1(VALU_DEP_2)
	v_fmac_f32_e32 v98, v38, v34
	v_pk_mul_f32 v[34:35], v[94:95], v[96:97] op_sel_hi:[0,1]
	s_delay_alu instid0(VALU_DEP_1) | instskip(SKIP_2) | instid1(VALU_DEP_3)
	v_pk_fma_f32 v[38:39], v[98:99], v[36:37], v[34:35] op_sel_hi:[0,1,1]
	v_pk_fma_f32 v[34:35], v[98:99], v[36:37], v[34:35] neg_lo:[0,0,1] neg_hi:[0,0,1]
	v_add_nc_u32_e64 v36, 0x5000, 0
	v_mov_b32_e32 v35, v39
	ds_store_2addr_b64 v36, v[34:35], v[34:35] offset0:41 offset1:104
.LBB59_689:                             ;   in Loop: Header=BB59_3 Depth=1
	s_or_b32 exec_lo, exec_lo, s57
	v_mov_b32_e32 v35, 0
	s_wait_dscnt 0x0
	s_barrier_signal -1
	s_barrier_wait -1
	s_delay_alu instid0(VALU_DEP_1)
	v_mov_b32_e32 v34, v35
	s_and_saveexec_b32 s57, s0
	s_cbranch_execz .LBB59_693
; %bb.690:                              ;   in Loop: Header=BB59_3 Depth=1
	ds_load_b64 v[34:35], v41 offset:20816
	ds_load_b64 v[36:37], v42 offset:20800
	s_wait_dscnt 0x0
	v_dual_mul_f32 v38, v37, v35 :: v_dual_mul_f32 v39, v36, v35
	s_delay_alu instid0(VALU_DEP_1) | instskip(NEXT) | instid1(VALU_DEP_1)
	v_dual_fma_f32 v38, v36, v34, -v38 :: v_dual_fmac_f32 v39, v37, v34
	v_pk_add_f32 v[34:35], v[38:39], 0 op_sel_hi:[1,0]
	s_and_saveexec_b32 s58, s15
	s_cbranch_execz .LBB59_692
; %bb.691:                              ;   in Loop: Header=BB59_3 Depth=1
	ds_load_b64 v[36:37], v70 offset:21328
	ds_load_b64 v[38:39], v5 offset:20808
	s_wait_dscnt 0x0
	v_pk_mul_f32 v[94:95], v[38:39], v[36:37] op_sel:[1,1] op_sel_hi:[0,1]
	s_delay_alu instid0(VALU_DEP_1) | instskip(SKIP_1) | instid1(VALU_DEP_2)
	v_pk_fma_f32 v[96:97], v[38:39], v[36:37], v[94:95] op_sel_hi:[1,0,1]
	v_pk_fma_f32 v[36:37], v[38:39], v[36:37], v[94:95] neg_lo:[0,0,1] neg_hi:[0,0,1]
	v_mov_b32_e32 v37, v97
	s_delay_alu instid0(VALU_DEP_1)
	v_pk_add_f32 v[34:35], v[34:35], v[36:37]
.LBB59_692:                             ;   in Loop: Header=BB59_3 Depth=1
	s_or_b32 exec_lo, exec_lo, s58
	s_delay_alu instid0(VALU_DEP_1)
	v_pk_add_f32 v[34:35], v[34:35], 0 neg_lo:[1,1] neg_hi:[1,1]
.LBB59_693:                             ;   in Loop: Header=BB59_3 Depth=1
	s_or_b32 exec_lo, exec_lo, s57
	s_and_saveexec_b32 s57, s96
	s_cbranch_execz .LBB59_695
; %bb.694:                              ;   in Loop: Header=BB59_3 Depth=1
	ds_load_b64 v[36:37], v5 offset:21840
	s_wait_dscnt 0x0
	v_pk_mul_f32 v[38:39], v[34:35], v[36:37] op_sel:[1,1] op_sel_hi:[1,0]
	s_delay_alu instid0(VALU_DEP_1) | instskip(SKIP_1) | instid1(VALU_DEP_2)
	v_pk_fma_f32 v[94:95], v[34:35], v[36:37], v[38:39] op_sel_hi:[0,1,1]
	v_pk_fma_f32 v[36:37], v[34:35], v[36:37], v[38:39] neg_lo:[0,0,1] neg_hi:[0,0,1]
	v_mov_b32_e32 v37, v95
	s_delay_alu instid0(VALU_DEP_1)
	v_mov_b64_e32 v[34:35], v[36:37]
	ds_store_b64 v3, v[36:37]
.LBB59_695:                             ;   in Loop: Header=BB59_3 Depth=1
	s_or_b32 exec_lo, exec_lo, s57
	s_wait_dscnt 0x0
	s_barrier_signal -1
	s_barrier_wait -1
	s_and_saveexec_b32 s57, s97
	s_cbranch_execz .LBB59_697
; %bb.696:                              ;   in Loop: Header=BB59_3 Depth=1
	ds_load_b64 v[36:37], v5 offset:21848
	ds_load_b64 v[38:39], v3
	s_wait_dscnt 0x0
	v_pk_mul_f32 v[94:95], v[38:39], v[36:37] op_sel:[1,1] op_sel_hi:[0,1]
	s_delay_alu instid0(VALU_DEP_1) | instskip(SKIP_1) | instid1(VALU_DEP_2)
	v_pk_fma_f32 v[96:97], v[38:39], v[36:37], v[94:95] op_sel_hi:[1,0,1]
	v_pk_fma_f32 v[36:37], v[38:39], v[36:37], v[94:95] neg_lo:[0,0,1] neg_hi:[0,0,1]
	v_mov_b32_e32 v37, v97
	s_delay_alu instid0(VALU_DEP_1)
	v_pk_add_f32 v[34:35], v[34:35], v[36:37]
.LBB59_697:                             ;   in Loop: Header=BB59_3 Depth=1
	s_or_b32 exec_lo, exec_lo, s57
	s_barrier_signal -1
	s_barrier_wait -1
	s_and_saveexec_b32 s57, s97
	s_cbranch_execz .LBB59_699
; %bb.698:                              ;   in Loop: Header=BB59_3 Depth=1
	ds_load_b64 v[36:37], v5 offset:22360
	s_wait_dscnt 0x0
	v_pk_mul_f32 v[38:39], v[34:35], v[36:37] op_sel:[1,1] op_sel_hi:[1,0]
	s_delay_alu instid0(VALU_DEP_1) | instskip(SKIP_1) | instid1(VALU_DEP_2)
	v_pk_fma_f32 v[94:95], v[34:35], v[36:37], v[38:39] op_sel_hi:[0,1,1]
	v_pk_fma_f32 v[36:37], v[34:35], v[36:37], v[38:39] neg_lo:[0,0,1] neg_hi:[0,0,1]
	v_mov_b32_e32 v37, v95
	s_delay_alu instid0(VALU_DEP_1)
	v_mov_b64_e32 v[34:35], v[36:37]
	ds_store_b64 v3, v[36:37]
.LBB59_699:                             ;   in Loop: Header=BB59_3 Depth=1
	s_or_b32 exec_lo, exec_lo, s57
	s_wait_dscnt 0x0
	s_barrier_signal -1
	s_barrier_wait -1
	s_barrier_signal -1
	s_barrier_wait -1
	s_and_saveexec_b32 s57, s0
; %bb.700:                              ;   in Loop: Header=BB59_3 Depth=1
	v_pk_add_f32 v[34:35], v[34:35], 0 neg_lo:[1,1] neg_hi:[1,1]
	ds_store_b64 v41, v[34:35] offset:20816
; %bb.701:                              ;   in Loop: Header=BB59_3 Depth=1
	s_or_b32 exec_lo, exec_lo, s57
	s_wait_dscnt 0x0
	s_barrier_signal -1
	s_barrier_wait -1
	s_barrier_signal -1
	s_barrier_wait -1
	s_and_saveexec_b32 s57, s98
	s_cbranch_execz .LBB59_703
; %bb.702:                              ;   in Loop: Header=BB59_3 Depth=1
	ds_load_b64 v[34:35], v71 offset:20816
	s_wait_dscnt 0x0
	ds_store_b64 v70, v[34:35] offset:21824
	ds_load_b64 v[34:35], v71 offset:20824
	s_wait_dscnt 0x0
	ds_store_b64 v70, v[34:35] offset:22336
.LBB59_703:                             ;   in Loop: Header=BB59_3 Depth=1
	s_or_b32 exec_lo, exec_lo, s57
	s_wait_dscnt 0x0
	s_barrier_signal -1
	s_barrier_wait -1
	s_and_saveexec_b32 s57, s14
	s_cbranch_execz .LBB59_705
; %bb.704:                              ;   in Loop: Header=BB59_3 Depth=1
	ds_load_b128 v[34:37], v5 offset:21840
	ds_load_b64 v[38:39], v5 offset:22360
	s_wait_dscnt 0x1
	v_dual_mov_b32 v96, v37 :: v_dual_mov_b32 v97, v36
	s_wait_dscnt 0x0
	v_dual_mul_f32 v95, v39, v35 :: v_dual_mul_f32 v94, v38, v35
	s_delay_alu instid0(VALU_DEP_1) | instskip(NEXT) | instid1(VALU_DEP_2)
	v_xor_b32_e32 v98, 0x80000000, v95
	v_fmac_f32_e32 v94, v39, v34
	s_delay_alu instid0(VALU_DEP_2) | instskip(NEXT) | instid1(VALU_DEP_2)
	v_fmac_f32_e32 v98, v38, v34
	v_pk_mul_f32 v[34:35], v[94:95], v[96:97] op_sel_hi:[0,1]
	s_delay_alu instid0(VALU_DEP_1) | instskip(SKIP_2) | instid1(VALU_DEP_3)
	v_pk_fma_f32 v[38:39], v[98:99], v[36:37], v[34:35] op_sel_hi:[0,1,1]
	v_pk_fma_f32 v[34:35], v[98:99], v[36:37], v[34:35] neg_lo:[0,0,1] neg_hi:[0,0,1]
	v_add_nc_u32_e64 v36, 0x5000, 0
	v_mov_b32_e32 v35, v39
	ds_store_2addr_b64 v36, v[34:35], v[34:35] offset0:171 offset1:234
.LBB59_705:                             ;   in Loop: Header=BB59_3 Depth=1
	s_or_b32 exec_lo, exec_lo, s57
	v_mov_b32_e32 v34, 0
	s_wait_dscnt 0x0
	s_barrier_signal -1
	s_barrier_wait -1
	s_delay_alu instid0(VALU_DEP_1)
	v_mov_b32_e32 v35, v34
	s_and_saveexec_b32 s66, s2
	s_cbranch_execz .LBB59_711
; %bb.706:                              ;   in Loop: Header=BB59_3 Depth=1
	ds_load_b64 v[34:35], v48 offset:20832
	ds_load_b64 v[36:37], v44 offset:20800
	s_wait_dscnt 0x0
	v_pk_mul_f32 v[38:39], v[36:37], v[34:35] op_sel:[0,1]
	s_delay_alu instid0(VALU_DEP_1) | instskip(SKIP_1) | instid1(VALU_DEP_2)
	v_pk_fma_f32 v[94:95], v[36:37], v[34:35], v[38:39] op_sel:[1,0,0] op_sel_hi:[0,0,1] neg_lo:[0,0,1] neg_hi:[0,0,1]
	v_pk_fma_f32 v[34:35], v[36:37], v[34:35], v[38:39] op_sel:[1,0,0] op_sel_hi:[0,1,1]
	v_mov_b32_e32 v35, v95
	s_delay_alu instid0(VALU_DEP_1)
	v_pk_add_f32 v[34:35], v[34:35], 0 op_sel_hi:[1,0]
	s_and_saveexec_b32 s57, s16
	s_cbranch_execnz .LBB59_1144
; %bb.707:                              ;   in Loop: Header=BB59_3 Depth=1
	s_or_b32 exec_lo, exec_lo, s57
	s_and_saveexec_b32 s57, s17
	s_cbranch_execnz .LBB59_1145
.LBB59_708:                             ;   in Loop: Header=BB59_3 Depth=1
	s_or_b32 exec_lo, exec_lo, s57
	s_and_saveexec_b32 s57, s0
	s_cbranch_execz .LBB59_710
.LBB59_709:                             ;   in Loop: Header=BB59_3 Depth=1
	ds_load_b64 v[36:37], v72 offset:22368
	ds_load_b64 v[38:39], v5 offset:20824
	s_wait_dscnt 0x0
	v_pk_mul_f32 v[94:95], v[38:39], v[36:37] op_sel:[0,1]
	s_delay_alu instid0(VALU_DEP_1) | instskip(SKIP_1) | instid1(VALU_DEP_2)
	v_pk_fma_f32 v[96:97], v[38:39], v[36:37], v[94:95] op_sel:[1,0,0] op_sel_hi:[0,0,1] neg_lo:[0,0,1] neg_hi:[0,0,1]
	v_pk_fma_f32 v[36:37], v[38:39], v[36:37], v[94:95] op_sel:[1,0,0] op_sel_hi:[0,1,1]
	v_mov_b32_e32 v37, v97
	s_delay_alu instid0(VALU_DEP_1)
	v_pk_add_f32 v[34:35], v[34:35], v[36:37]
.LBB59_710:                             ;   in Loop: Header=BB59_3 Depth=1
	s_or_b32 exec_lo, exec_lo, s57
	s_delay_alu instid0(VALU_DEP_1) | instskip(NEXT) | instid1(VALU_DEP_1)
	v_pk_add_f32 v[36:37], v[34:35], 0 neg_lo:[1,1] neg_hi:[1,1]
	v_dual_mov_b32 v34, v37 :: v_dual_mov_b32 v35, v36
.LBB59_711:                             ;   in Loop: Header=BB59_3 Depth=1
	s_or_b32 exec_lo, exec_lo, s66
	s_and_saveexec_b32 s57, s99
	s_cbranch_execz .LBB59_713
; %bb.712:                              ;   in Loop: Header=BB59_3 Depth=1
	ds_load_b64 v[36:37], v5 offset:22880
	v_dual_mov_b32 v38, v35 :: v_dual_mov_b32 v39, v34
	s_wait_dscnt 0x0
	s_delay_alu instid0(VALU_DEP_1) | instskip(NEXT) | instid1(VALU_DEP_1)
	v_dual_mul_f32 v94, v38, v36 :: v_dual_mul_f32 v96, v35, v37
	v_pk_fma_f32 v[38:39], v[38:39], v[36:37], v[94:95] op_sel_hi:[1,1,0]
	s_delay_alu instid0(VALU_DEP_2) | instskip(NEXT) | instid1(VALU_DEP_2)
	v_pk_fma_f32 v[34:35], v[34:35], v[36:37], v[96:97] op_sel_hi:[1,1,0] neg_lo:[0,0,1] neg_hi:[0,0,1]
	v_mov_b32_e32 v35, v39
	ds_store_b64 v47, v[34:35]
.LBB59_713:                             ;   in Loop: Header=BB59_3 Depth=1
	s_or_b32 exec_lo, exec_lo, s57
	s_wait_dscnt 0x0
	s_barrier_signal -1
	s_barrier_wait -1
	s_and_saveexec_b32 s57, s100
	s_cbranch_execz .LBB59_715
; %bb.714:                              ;   in Loop: Header=BB59_3 Depth=1
	ds_load_b64 v[36:37], v45 offset:22880
	ds_load_b64 v[38:39], v47
	s_wait_dscnt 0x0
	v_dual_mul_f32 v94, v39, v37 :: v_dual_mul_f32 v95, v38, v37
	s_delay_alu instid0(VALU_DEP_1) | instskip(NEXT) | instid1(VALU_DEP_1)
	v_dual_fma_f32 v94, v38, v36, -v94 :: v_dual_fmac_f32 v95, v39, v36
	v_pk_add_f32 v[34:35], v[34:35], v[94:95]
.LBB59_715:                             ;   in Loop: Header=BB59_3 Depth=1
	s_or_b32 exec_lo, exec_lo, s57
	s_barrier_signal -1
	s_barrier_wait -1
	s_and_saveexec_b32 s57, s101
	s_cbranch_execz .LBB59_717
; %bb.716:                              ;   in Loop: Header=BB59_3 Depth=1
	ds_load_b64 v[36:37], v5 offset:23400
	s_wait_dscnt 0x0
	v_pk_mul_f32 v[38:39], v[34:35], v[36:37] op_sel:[1,1] op_sel_hi:[1,0]
	s_delay_alu instid0(VALU_DEP_1) | instskip(SKIP_1) | instid1(VALU_DEP_2)
	v_pk_fma_f32 v[94:95], v[34:35], v[36:37], v[38:39] op_sel_hi:[0,1,1]
	v_pk_fma_f32 v[36:37], v[34:35], v[36:37], v[38:39] neg_lo:[0,0,1] neg_hi:[0,0,1]
	v_mov_b32_e32 v37, v95
	s_delay_alu instid0(VALU_DEP_1)
	v_mov_b64_e32 v[34:35], v[36:37]
	ds_store_b64 v47, v[36:37]
.LBB59_717:                             ;   in Loop: Header=BB59_3 Depth=1
	s_or_b32 exec_lo, exec_lo, s57
	s_wait_dscnt 0x0
	s_barrier_signal -1
	s_barrier_wait -1
	s_and_saveexec_b32 s57, s102
	s_cbranch_execz .LBB59_719
; %bb.718:                              ;   in Loop: Header=BB59_3 Depth=1
	ds_load_b64 v[36:37], v45 offset:23392
	ds_load_b64 v[38:39], v47
	s_wait_dscnt 0x0
	v_pk_mul_f32 v[94:95], v[38:39], v[36:37] op_sel:[1,1] op_sel_hi:[0,1]
	s_delay_alu instid0(VALU_DEP_1) | instskip(SKIP_1) | instid1(VALU_DEP_2)
	v_pk_fma_f32 v[96:97], v[38:39], v[36:37], v[94:95] op_sel_hi:[1,0,1]
	v_pk_fma_f32 v[36:37], v[38:39], v[36:37], v[94:95] neg_lo:[0,0,1] neg_hi:[0,0,1]
	v_mov_b32_e32 v37, v97
	s_delay_alu instid0(VALU_DEP_1)
	v_pk_add_f32 v[34:35], v[34:35], v[36:37]
.LBB59_719:                             ;   in Loop: Header=BB59_3 Depth=1
	s_or_b32 exec_lo, exec_lo, s57
	s_barrier_signal -1
	s_barrier_wait -1
	s_and_saveexec_b32 s57, s103
	s_cbranch_execz .LBB59_721
; %bb.720:                              ;   in Loop: Header=BB59_3 Depth=1
	ds_load_b64 v[36:37], v5 offset:23920
	s_wait_dscnt 0x0
	v_pk_mul_f32 v[38:39], v[34:35], v[36:37] op_sel:[1,1] op_sel_hi:[1,0]
	s_delay_alu instid0(VALU_DEP_1) | instskip(SKIP_1) | instid1(VALU_DEP_2)
	v_pk_fma_f32 v[94:95], v[34:35], v[36:37], v[38:39] op_sel_hi:[0,1,1]
	v_pk_fma_f32 v[36:37], v[34:35], v[36:37], v[38:39] neg_lo:[0,0,1] neg_hi:[0,0,1]
	v_mov_b32_e32 v37, v95
	s_delay_alu instid0(VALU_DEP_1)
	v_mov_b64_e32 v[34:35], v[36:37]
	ds_store_b64 v47, v[36:37]
.LBB59_721:                             ;   in Loop: Header=BB59_3 Depth=1
	s_or_b32 exec_lo, exec_lo, s57
	s_wait_dscnt 0x0
	s_barrier_signal -1
	s_barrier_wait -1
	s_and_saveexec_b32 s57, s104
	s_cbranch_execz .LBB59_723
; %bb.722:                              ;   in Loop: Header=BB59_3 Depth=1
	ds_load_b64 v[36:37], v5 offset:23928
	ds_load_b64 v[38:39], v47
	s_wait_dscnt 0x0
	v_pk_mul_f32 v[94:95], v[38:39], v[36:37] op_sel:[1,1] op_sel_hi:[0,1]
	s_delay_alu instid0(VALU_DEP_1) | instskip(SKIP_1) | instid1(VALU_DEP_2)
	v_pk_fma_f32 v[96:97], v[38:39], v[36:37], v[94:95] op_sel_hi:[1,0,1]
	v_pk_fma_f32 v[36:37], v[38:39], v[36:37], v[94:95] neg_lo:[0,0,1] neg_hi:[0,0,1]
	v_mov_b32_e32 v37, v97
	s_delay_alu instid0(VALU_DEP_1)
	v_pk_add_f32 v[34:35], v[34:35], v[36:37]
.LBB59_723:                             ;   in Loop: Header=BB59_3 Depth=1
	s_or_b32 exec_lo, exec_lo, s57
	s_barrier_signal -1
	s_barrier_wait -1
	s_and_saveexec_b32 s57, s104
	s_cbranch_execz .LBB59_725
; %bb.724:                              ;   in Loop: Header=BB59_3 Depth=1
	ds_load_b64 v[36:37], v5 offset:24440
	s_wait_dscnt 0x0
	v_pk_mul_f32 v[38:39], v[34:35], v[36:37] op_sel:[1,1] op_sel_hi:[1,0]
	s_delay_alu instid0(VALU_DEP_1) | instskip(SKIP_1) | instid1(VALU_DEP_2)
	v_pk_fma_f32 v[94:95], v[34:35], v[36:37], v[38:39] op_sel_hi:[0,1,1]
	v_pk_fma_f32 v[36:37], v[34:35], v[36:37], v[38:39] neg_lo:[0,0,1] neg_hi:[0,0,1]
	v_mov_b32_e32 v37, v95
	s_delay_alu instid0(VALU_DEP_1)
	v_mov_b64_e32 v[34:35], v[36:37]
	ds_store_b64 v47, v[36:37]
.LBB59_725:                             ;   in Loop: Header=BB59_3 Depth=1
	s_or_b32 exec_lo, exec_lo, s57
	s_wait_dscnt 0x0
	s_barrier_signal -1
	s_barrier_wait -1
	s_barrier_signal -1
	s_barrier_wait -1
	s_and_saveexec_b32 s57, s2
; %bb.726:                              ;   in Loop: Header=BB59_3 Depth=1
	v_pk_add_f32 v[34:35], v[34:35], 0 neg_lo:[1,1] neg_hi:[1,1]
	ds_store_b64 v48, v[34:35] offset:20832
; %bb.727:                              ;   in Loop: Header=BB59_3 Depth=1
	s_or_b32 exec_lo, exec_lo, s57
	s_wait_dscnt 0x0
	s_barrier_signal -1
	s_barrier_wait -1
	s_barrier_signal -1
	s_barrier_wait -1
	s_and_saveexec_b32 s57, vcc_hi
	s_cbranch_execz .LBB59_729
; %bb.728:                              ;   in Loop: Header=BB59_3 Depth=1
	ds_load_b64 v[34:35], v75 offset:20832
	s_wait_dscnt 0x0
	ds_store_b64 v78, v[34:35] offset:22848
	ds_load_b64 v[34:35], v75 offset:20840
	s_wait_dscnt 0x0
	ds_store_b64 v78, v[34:35] offset:23360
	;; [unrolled: 3-line block ×4, first 2 shown]
.LBB59_729:                             ;   in Loop: Header=BB59_3 Depth=1
	s_or_b32 exec_lo, exec_lo, s57
	s_wait_dscnt 0x0
	s_barrier_signal -1
	s_barrier_wait -1
	s_and_saveexec_b32 s57, s14
	s_cbranch_execz .LBB59_731
; %bb.730:                              ;   in Loop: Header=BB59_3 Depth=1
	ds_load_b128 v[34:37], v5 offset:22880
	ds_load_b64 v[38:39], v5 offset:23400
	s_wait_dscnt 0x1
	v_dual_mov_b32 v96, v37 :: v_dual_mov_b32 v97, v36
	s_wait_dscnt 0x0
	v_dual_mul_f32 v95, v39, v35 :: v_dual_mul_f32 v94, v38, v35
	s_delay_alu instid0(VALU_DEP_1) | instskip(NEXT) | instid1(VALU_DEP_2)
	v_xor_b32_e32 v98, 0x80000000, v95
	v_fmac_f32_e32 v94, v39, v34
	s_delay_alu instid0(VALU_DEP_2) | instskip(NEXT) | instid1(VALU_DEP_2)
	v_fmac_f32_e32 v98, v38, v34
	v_pk_mul_f32 v[34:35], v[94:95], v[96:97] op_sel_hi:[0,1]
	s_delay_alu instid0(VALU_DEP_1) | instskip(SKIP_2) | instid1(VALU_DEP_3)
	v_pk_fma_f32 v[38:39], v[98:99], v[36:37], v[34:35] op_sel_hi:[0,1,1]
	v_pk_fma_f32 v[34:35], v[98:99], v[36:37], v[34:35] neg_lo:[0,0,1] neg_hi:[0,0,1]
	v_add_nc_u32_e64 v36, 0x5800, 0
	v_mov_b32_e32 v35, v39
	ds_store_2addr_b64 v36, v[34:35], v[34:35] offset0:45 offset1:108
.LBB59_731:                             ;   in Loop: Header=BB59_3 Depth=1
	s_or_b32 exec_lo, exec_lo, s57
	v_mov_b32_e32 v35, 0
	s_wait_dscnt 0x0
	s_barrier_signal -1
	s_barrier_wait -1
	s_delay_alu instid0(VALU_DEP_1)
	v_mov_b32_e32 v34, v35
	s_and_saveexec_b32 s57, s0
	s_cbranch_execz .LBB59_735
; %bb.732:                              ;   in Loop: Header=BB59_3 Depth=1
	ds_load_b64 v[34:35], v41 offset:22896
	ds_load_b64 v[36:37], v42 offset:22880
	s_wait_dscnt 0x0
	v_dual_mul_f32 v38, v37, v35 :: v_dual_mul_f32 v39, v36, v35
	s_delay_alu instid0(VALU_DEP_1) | instskip(NEXT) | instid1(VALU_DEP_1)
	v_dual_fma_f32 v38, v36, v34, -v38 :: v_dual_fmac_f32 v39, v37, v34
	v_pk_add_f32 v[34:35], v[38:39], 0 op_sel_hi:[1,0]
	s_and_saveexec_b32 s58, s15
	s_cbranch_execz .LBB59_734
; %bb.733:                              ;   in Loop: Header=BB59_3 Depth=1
	ds_load_b64 v[36:37], v78 offset:23408
	ds_load_b64 v[38:39], v5 offset:22888
	s_wait_dscnt 0x0
	v_pk_mul_f32 v[94:95], v[38:39], v[36:37] op_sel:[1,1] op_sel_hi:[0,1]
	s_delay_alu instid0(VALU_DEP_1) | instskip(SKIP_1) | instid1(VALU_DEP_2)
	v_pk_fma_f32 v[96:97], v[38:39], v[36:37], v[94:95] op_sel_hi:[1,0,1]
	v_pk_fma_f32 v[36:37], v[38:39], v[36:37], v[94:95] neg_lo:[0,0,1] neg_hi:[0,0,1]
	v_mov_b32_e32 v37, v97
	s_delay_alu instid0(VALU_DEP_1)
	v_pk_add_f32 v[34:35], v[34:35], v[36:37]
.LBB59_734:                             ;   in Loop: Header=BB59_3 Depth=1
	s_or_b32 exec_lo, exec_lo, s58
	s_delay_alu instid0(VALU_DEP_1)
	v_pk_add_f32 v[34:35], v[34:35], 0 neg_lo:[1,1] neg_hi:[1,1]
.LBB59_735:                             ;   in Loop: Header=BB59_3 Depth=1
	s_or_b32 exec_lo, exec_lo, s57
	s_and_saveexec_b32 s57, s96
	s_cbranch_execz .LBB59_737
; %bb.736:                              ;   in Loop: Header=BB59_3 Depth=1
	ds_load_b64 v[36:37], v5 offset:23920
	s_wait_dscnt 0x0
	v_pk_mul_f32 v[38:39], v[34:35], v[36:37] op_sel:[1,1] op_sel_hi:[1,0]
	s_delay_alu instid0(VALU_DEP_1) | instskip(SKIP_1) | instid1(VALU_DEP_2)
	v_pk_fma_f32 v[94:95], v[34:35], v[36:37], v[38:39] op_sel_hi:[0,1,1]
	v_pk_fma_f32 v[36:37], v[34:35], v[36:37], v[38:39] neg_lo:[0,0,1] neg_hi:[0,0,1]
	v_mov_b32_e32 v37, v95
	s_delay_alu instid0(VALU_DEP_1)
	v_mov_b64_e32 v[34:35], v[36:37]
	ds_store_b64 v3, v[36:37]
.LBB59_737:                             ;   in Loop: Header=BB59_3 Depth=1
	s_or_b32 exec_lo, exec_lo, s57
	s_wait_dscnt 0x0
	s_barrier_signal -1
	s_barrier_wait -1
	s_and_saveexec_b32 s57, s97
	s_cbranch_execz .LBB59_739
; %bb.738:                              ;   in Loop: Header=BB59_3 Depth=1
	ds_load_b64 v[36:37], v5 offset:23928
	ds_load_b64 v[38:39], v3
	s_wait_dscnt 0x0
	v_pk_mul_f32 v[94:95], v[38:39], v[36:37] op_sel:[1,1] op_sel_hi:[0,1]
	s_delay_alu instid0(VALU_DEP_1) | instskip(SKIP_1) | instid1(VALU_DEP_2)
	v_pk_fma_f32 v[96:97], v[38:39], v[36:37], v[94:95] op_sel_hi:[1,0,1]
	v_pk_fma_f32 v[36:37], v[38:39], v[36:37], v[94:95] neg_lo:[0,0,1] neg_hi:[0,0,1]
	v_mov_b32_e32 v37, v97
	s_delay_alu instid0(VALU_DEP_1)
	v_pk_add_f32 v[34:35], v[34:35], v[36:37]
.LBB59_739:                             ;   in Loop: Header=BB59_3 Depth=1
	s_or_b32 exec_lo, exec_lo, s57
	s_barrier_signal -1
	s_barrier_wait -1
	s_and_saveexec_b32 s57, s97
	s_cbranch_execz .LBB59_741
; %bb.740:                              ;   in Loop: Header=BB59_3 Depth=1
	ds_load_b64 v[36:37], v5 offset:24440
	s_wait_dscnt 0x0
	v_pk_mul_f32 v[38:39], v[34:35], v[36:37] op_sel:[1,1] op_sel_hi:[1,0]
	s_delay_alu instid0(VALU_DEP_1) | instskip(SKIP_1) | instid1(VALU_DEP_2)
	v_pk_fma_f32 v[94:95], v[34:35], v[36:37], v[38:39] op_sel_hi:[0,1,1]
	v_pk_fma_f32 v[36:37], v[34:35], v[36:37], v[38:39] neg_lo:[0,0,1] neg_hi:[0,0,1]
	v_mov_b32_e32 v37, v95
	s_delay_alu instid0(VALU_DEP_1)
	v_mov_b64_e32 v[34:35], v[36:37]
	ds_store_b64 v3, v[36:37]
.LBB59_741:                             ;   in Loop: Header=BB59_3 Depth=1
	s_or_b32 exec_lo, exec_lo, s57
	s_wait_dscnt 0x0
	s_barrier_signal -1
	s_barrier_wait -1
	s_barrier_signal -1
	s_barrier_wait -1
	s_and_saveexec_b32 s57, s0
; %bb.742:                              ;   in Loop: Header=BB59_3 Depth=1
	v_pk_add_f32 v[34:35], v[34:35], 0 neg_lo:[1,1] neg_hi:[1,1]
	ds_store_b64 v41, v[34:35] offset:22896
; %bb.743:                              ;   in Loop: Header=BB59_3 Depth=1
	s_or_b32 exec_lo, exec_lo, s57
	s_wait_dscnt 0x0
	s_barrier_signal -1
	s_barrier_wait -1
	s_barrier_signal -1
	s_barrier_wait -1
	s_and_saveexec_b32 s57, s98
	s_cbranch_execz .LBB59_745
; %bb.744:                              ;   in Loop: Header=BB59_3 Depth=1
	ds_load_b64 v[34:35], v79 offset:22896
	s_wait_dscnt 0x0
	ds_store_b64 v78, v[34:35] offset:23904
	ds_load_b64 v[34:35], v79 offset:22904
	s_wait_dscnt 0x0
	ds_store_b64 v78, v[34:35] offset:24416
.LBB59_745:                             ;   in Loop: Header=BB59_3 Depth=1
	s_or_b32 exec_lo, exec_lo, s57
	s_wait_dscnt 0x0
	s_barrier_signal -1
	s_barrier_wait -1
	s_and_saveexec_b32 s57, s14
	s_cbranch_execz .LBB59_747
; %bb.746:                              ;   in Loop: Header=BB59_3 Depth=1
	ds_load_b128 v[34:37], v5 offset:23920
	ds_load_b64 v[38:39], v5 offset:24440
	s_wait_dscnt 0x1
	v_dual_mov_b32 v96, v37 :: v_dual_mov_b32 v97, v36
	s_wait_dscnt 0x0
	v_dual_mul_f32 v95, v39, v35 :: v_dual_mul_f32 v94, v38, v35
	s_delay_alu instid0(VALU_DEP_1) | instskip(NEXT) | instid1(VALU_DEP_2)
	v_xor_b32_e32 v98, 0x80000000, v95
	v_fmac_f32_e32 v94, v39, v34
	s_delay_alu instid0(VALU_DEP_2) | instskip(NEXT) | instid1(VALU_DEP_2)
	v_fmac_f32_e32 v98, v38, v34
	v_pk_mul_f32 v[34:35], v[94:95], v[96:97] op_sel_hi:[0,1]
	s_delay_alu instid0(VALU_DEP_1) | instskip(SKIP_2) | instid1(VALU_DEP_3)
	v_pk_fma_f32 v[38:39], v[98:99], v[36:37], v[34:35] op_sel_hi:[0,1,1]
	v_pk_fma_f32 v[34:35], v[98:99], v[36:37], v[34:35] neg_lo:[0,0,1] neg_hi:[0,0,1]
	v_add_nc_u32_e64 v36, 0x5800, 0
	v_mov_b32_e32 v35, v39
	ds_store_2addr_b64 v36, v[34:35], v[34:35] offset0:175 offset1:238
.LBB59_747:                             ;   in Loop: Header=BB59_3 Depth=1
	s_or_b32 exec_lo, exec_lo, s57
	v_mov_b32_e32 v34, 0
	s_wait_dscnt 0x0
	s_barrier_signal -1
	s_barrier_wait -1
	s_delay_alu instid0(VALU_DEP_1)
	v_mov_b32_e32 v35, v34
	s_and_saveexec_b32 s66, s4
	s_cbranch_execz .LBB59_775
; %bb.748:                              ;   in Loop: Header=BB59_3 Depth=1
	ds_load_b64 v[34:35], v63 offset:16768
	ds_load_b64 v[36:37], v60 offset:16640
	s_wait_dscnt 0x0
	v_dual_mul_f32 v38, v37, v35 :: v_dual_mul_f32 v39, v36, v35
	s_delay_alu instid0(VALU_DEP_1) | instskip(NEXT) | instid1(VALU_DEP_1)
	v_dual_fma_f32 v35, v36, v34, -v38 :: v_dual_fmac_f32 v39, v37, v34
	v_add_f32_e32 v35, 0, v35
	s_delay_alu instid0(VALU_DEP_2) | instskip(SKIP_3) | instid1(SALU_CYCLE_1)
	v_add_f32_e32 v34, 0, v39
	s_mov_b32 s57, exec_lo
	v_readlane_b32 s58, v104, 29
	s_and_b32 s58, s57, s58
	s_mov_b32 exec_lo, s58
	s_cbranch_execz .LBB59_750
; %bb.749:                              ;   in Loop: Header=BB59_3 Depth=1
	ds_load_b64 v[36:37], v64 offset:17280
	ds_load_b64 v[38:39], v60 offset:16648
	s_wait_dscnt 0x0
	v_dual_mul_f32 v94, v39, v37 :: v_dual_mul_f32 v37, v38, v37
	s_delay_alu instid0(VALU_DEP_1) | instskip(NEXT) | instid1(VALU_DEP_1)
	v_dual_fma_f32 v38, v38, v36, -v94 :: v_dual_fmac_f32 v37, v39, v36
	v_dual_add_f32 v35, v35, v38 :: v_dual_add_f32 v34, v34, v37
.LBB59_750:                             ;   in Loop: Header=BB59_3 Depth=1
	s_or_b32 exec_lo, exec_lo, s57
	s_delay_alu instid0(SALU_CYCLE_1) | instskip(SKIP_2) | instid1(SALU_CYCLE_1)
	s_mov_b32 s57, exec_lo
	v_readlane_b32 s58, v104, 30
	s_and_b32 s58, s57, s58
	s_mov_b32 exec_lo, s58
	s_cbranch_execz .LBB59_752
; %bb.751:                              ;   in Loop: Header=BB59_3 Depth=1
	ds_load_b64 v[36:37], v64 offset:17792
	ds_load_b64 v[38:39], v60 offset:16656
	s_wait_dscnt 0x0
	v_dual_mul_f32 v94, v39, v37 :: v_dual_mul_f32 v37, v38, v37
	s_delay_alu instid0(VALU_DEP_1) | instskip(NEXT) | instid1(VALU_DEP_1)
	v_dual_fma_f32 v38, v38, v36, -v94 :: v_dual_fmac_f32 v37, v39, v36
	v_dual_add_f32 v35, v35, v38 :: v_dual_add_f32 v34, v34, v37
.LBB59_752:                             ;   in Loop: Header=BB59_3 Depth=1
	s_or_b32 exec_lo, exec_lo, s57
	s_delay_alu instid0(SALU_CYCLE_1) | instskip(SKIP_2) | instid1(SALU_CYCLE_1)
	;; [unrolled: 16-line block ×10, first 2 shown]
	s_mov_b32 s57, exec_lo
	v_readlane_b32 s58, v103, 7
	s_and_b32 s58, s57, s58
	s_mov_b32 exec_lo, s58
	s_cbranch_execnz .LBB59_1146
; %bb.769:                              ;   in Loop: Header=BB59_3 Depth=1
	s_or_b32 exec_lo, exec_lo, s57
	s_and_saveexec_b32 s57, s3
	s_cbranch_execnz .LBB59_1147
.LBB59_770:                             ;   in Loop: Header=BB59_3 Depth=1
	s_or_b32 exec_lo, exec_lo, s57
	s_and_saveexec_b32 s57, s19
	s_cbranch_execnz .LBB59_1148
.LBB59_771:                             ;   in Loop: Header=BB59_3 Depth=1
	s_or_b32 exec_lo, exec_lo, s57
	s_and_saveexec_b32 s57, s21
	s_cbranch_execnz .LBB59_1149
.LBB59_772:                             ;   in Loop: Header=BB59_3 Depth=1
	s_or_b32 exec_lo, exec_lo, s57
	s_and_saveexec_b32 s57, s2
	s_cbranch_execz .LBB59_774
.LBB59_773:                             ;   in Loop: Header=BB59_3 Depth=1
	ds_load_b64 v[36:37], v43 offset:24448
	ds_load_b64 v[38:39], v5 offset:16760
	s_wait_dscnt 0x0
	v_pk_mul_f32 v[94:95], v[38:39], v[36:37] op_sel:[0,1]
	s_delay_alu instid0(VALU_DEP_1) | instskip(SKIP_1) | instid1(VALU_DEP_2)
	v_pk_fma_f32 v[96:97], v[38:39], v[36:37], v[94:95] op_sel:[1,0,0] op_sel_hi:[0,0,1] neg_lo:[0,0,1] neg_hi:[0,0,1]
	v_pk_fma_f32 v[36:37], v[38:39], v[36:37], v[94:95] op_sel:[1,0,0] op_sel_hi:[0,1,1]
	v_mov_b32_e32 v37, v97
	s_delay_alu instid0(VALU_DEP_1)
	v_pk_add_f32 v[34:35], v[34:35], v[36:37]
.LBB59_774:                             ;   in Loop: Header=BB59_3 Depth=1
	s_or_b32 exec_lo, exec_lo, s57
	s_delay_alu instid0(VALU_DEP_1) | instskip(NEXT) | instid1(VALU_DEP_1)
	v_pk_add_f32 v[36:37], v[34:35], 0 neg_lo:[1,1] neg_hi:[1,1]
	v_dual_mov_b32 v34, v37 :: v_dual_mov_b32 v35, v36
.LBB59_775:                             ;   in Loop: Header=BB59_3 Depth=1
	s_or_b32 exec_lo, exec_lo, s66
	s_delay_alu instid0(SALU_CYCLE_1) | instskip(SKIP_2) | instid1(SALU_CYCLE_1)
	s_mov_b32 s57, exec_lo
	v_readlane_b32 s58, v104, 5
	s_and_b32 s58, s57, s58
	s_mov_b32 exec_lo, s58
	s_cbranch_execz .LBB59_777
; %bb.776:                              ;   in Loop: Header=BB59_3 Depth=1
	ds_load_b64 v[36:37], v5 offset:24960
	v_dual_mov_b32 v38, v35 :: v_dual_mov_b32 v39, v34
	s_wait_dscnt 0x0
	s_delay_alu instid0(VALU_DEP_1) | instskip(NEXT) | instid1(VALU_DEP_1)
	v_dual_mul_f32 v94, v38, v36 :: v_dual_mul_f32 v96, v35, v37
	v_pk_fma_f32 v[38:39], v[38:39], v[36:37], v[94:95] op_sel_hi:[1,1,0]
	s_delay_alu instid0(VALU_DEP_2) | instskip(NEXT) | instid1(VALU_DEP_2)
	v_pk_fma_f32 v[34:35], v[34:35], v[36:37], v[96:97] op_sel_hi:[1,1,0] neg_lo:[0,0,1] neg_hi:[0,0,1]
	v_mov_b32_e32 v35, v39
	ds_store_b64 v62, v[34:35]
.LBB59_777:                             ;   in Loop: Header=BB59_3 Depth=1
	s_or_b32 exec_lo, exec_lo, s57
	s_wait_dscnt 0x0
	s_barrier_signal -1
	s_barrier_wait -1
	s_mov_b32 s57, exec_lo
	v_readlane_b32 s58, v104, 6
	s_and_b32 s58, s57, s58
	s_delay_alu instid0(SALU_CYCLE_1)
	s_mov_b32 exec_lo, s58
	s_cbranch_execz .LBB59_779
; %bb.778:                              ;   in Loop: Header=BB59_3 Depth=1
	ds_load_b64 v[36:37], v61 offset:24960
	ds_load_b64 v[38:39], v62
	s_wait_dscnt 0x0
	v_dual_mul_f32 v94, v39, v37 :: v_dual_mul_f32 v95, v38, v37
	s_delay_alu instid0(VALU_DEP_1) | instskip(NEXT) | instid1(VALU_DEP_1)
	v_dual_fma_f32 v94, v38, v36, -v94 :: v_dual_fmac_f32 v95, v39, v36
	v_pk_add_f32 v[34:35], v[34:35], v[94:95]
.LBB59_779:                             ;   in Loop: Header=BB59_3 Depth=1
	s_or_b32 exec_lo, exec_lo, s57
	s_barrier_signal -1
	s_barrier_wait -1
	s_mov_b32 s57, exec_lo
	v_readlane_b32 s58, v104, 7
	s_and_b32 s58, s57, s58
	s_delay_alu instid0(SALU_CYCLE_1)
	s_mov_b32 exec_lo, s58
	s_cbranch_execz .LBB59_781
; %bb.780:                              ;   in Loop: Header=BB59_3 Depth=1
	ds_load_b64 v[36:37], v5 offset:25480
	s_wait_dscnt 0x0
	v_pk_mul_f32 v[38:39], v[34:35], v[36:37] op_sel:[1,1] op_sel_hi:[1,0]
	s_delay_alu instid0(VALU_DEP_1) | instskip(SKIP_1) | instid1(VALU_DEP_2)
	v_pk_fma_f32 v[94:95], v[34:35], v[36:37], v[38:39] op_sel_hi:[0,1,1]
	v_pk_fma_f32 v[34:35], v[34:35], v[36:37], v[38:39] op_sel_hi:[0,1,1] neg_lo:[0,0,1] neg_hi:[0,0,1]
	v_mov_b32_e32 v35, v95
	ds_store_b64 v62, v[34:35]
.LBB59_781:                             ;   in Loop: Header=BB59_3 Depth=1
	s_or_b32 exec_lo, exec_lo, s57
	s_wait_dscnt 0x0
	s_barrier_signal -1
	s_barrier_wait -1
	s_mov_b32 s57, exec_lo
	v_readlane_b32 s58, v104, 8
	s_and_b32 s58, s57, s58
	s_delay_alu instid0(SALU_CYCLE_1)
	s_mov_b32 exec_lo, s58
	s_cbranch_execz .LBB59_783
; %bb.782:                              ;   in Loop: Header=BB59_3 Depth=1
	ds_load_b64 v[36:37], v61 offset:25472
	ds_load_b64 v[38:39], v62
	s_wait_dscnt 0x0
	v_pk_mul_f32 v[94:95], v[38:39], v[36:37] op_sel:[1,1] op_sel_hi:[0,1]
	s_delay_alu instid0(VALU_DEP_1) | instskip(SKIP_1) | instid1(VALU_DEP_2)
	v_pk_fma_f32 v[96:97], v[38:39], v[36:37], v[94:95] op_sel_hi:[1,0,1]
	v_pk_fma_f32 v[36:37], v[38:39], v[36:37], v[94:95] op_sel_hi:[1,0,1] neg_lo:[0,0,1] neg_hi:[0,0,1]
	v_mov_b32_e32 v37, v97
	s_delay_alu instid0(VALU_DEP_1)
	v_pk_add_f32 v[34:35], v[34:35], v[36:37]
.LBB59_783:                             ;   in Loop: Header=BB59_3 Depth=1
	s_or_b32 exec_lo, exec_lo, s57
	s_barrier_signal -1
	s_barrier_wait -1
	s_mov_b32 s57, exec_lo
	v_readlane_b32 s58, v104, 9
	s_and_b32 s58, s57, s58
	s_delay_alu instid0(SALU_CYCLE_1)
	s_mov_b32 exec_lo, s58
	s_cbranch_execz .LBB59_785
; %bb.784:                              ;   in Loop: Header=BB59_3 Depth=1
	ds_load_b64 v[36:37], v5 offset:26000
	s_wait_dscnt 0x0
	v_pk_mul_f32 v[38:39], v[34:35], v[36:37] op_sel:[1,1] op_sel_hi:[1,0]
	s_delay_alu instid0(VALU_DEP_1) | instskip(SKIP_1) | instid1(VALU_DEP_2)
	v_pk_fma_f32 v[94:95], v[34:35], v[36:37], v[38:39] op_sel_hi:[0,1,1]
	v_pk_fma_f32 v[34:35], v[34:35], v[36:37], v[38:39] op_sel_hi:[0,1,1] neg_lo:[0,0,1] neg_hi:[0,0,1]
	v_mov_b32_e32 v35, v95
	ds_store_b64 v62, v[34:35]
.LBB59_785:                             ;   in Loop: Header=BB59_3 Depth=1
	s_or_b32 exec_lo, exec_lo, s57
	s_wait_dscnt 0x0
	s_barrier_signal -1
	s_barrier_wait -1
	s_mov_b32 s57, exec_lo
	v_readlane_b32 s58, v104, 10
	s_and_b32 s58, s57, s58
	s_delay_alu instid0(SALU_CYCLE_1)
	s_mov_b32 exec_lo, s58
	s_cbranch_execz .LBB59_787
; %bb.786:                              ;   in Loop: Header=BB59_3 Depth=1
	ds_load_b64 v[36:37], v61 offset:25984
	ds_load_b64 v[38:39], v62
	s_wait_dscnt 0x0
	v_pk_mul_f32 v[94:95], v[38:39], v[36:37] op_sel:[1,1] op_sel_hi:[0,1]
	s_delay_alu instid0(VALU_DEP_1) | instskip(SKIP_1) | instid1(VALU_DEP_2)
	v_pk_fma_f32 v[96:97], v[38:39], v[36:37], v[94:95] op_sel_hi:[1,0,1]
	v_pk_fma_f32 v[36:37], v[38:39], v[36:37], v[94:95] op_sel_hi:[1,0,1] neg_lo:[0,0,1] neg_hi:[0,0,1]
	v_mov_b32_e32 v37, v97
	s_delay_alu instid0(VALU_DEP_1)
	v_pk_add_f32 v[34:35], v[34:35], v[36:37]
.LBB59_787:                             ;   in Loop: Header=BB59_3 Depth=1
	s_or_b32 exec_lo, exec_lo, s57
	s_barrier_signal -1
	s_barrier_wait -1
	s_mov_b32 s57, exec_lo
	v_readlane_b32 s58, v104, 11
	s_and_b32 s58, s57, s58
	s_delay_alu instid0(SALU_CYCLE_1)
	s_mov_b32 exec_lo, s58
	s_cbranch_execz .LBB59_789
; %bb.788:                              ;   in Loop: Header=BB59_3 Depth=1
	ds_load_b64 v[36:37], v5 offset:26520
	s_wait_dscnt 0x0
	v_pk_mul_f32 v[38:39], v[34:35], v[36:37] op_sel:[1,1] op_sel_hi:[1,0]
	s_delay_alu instid0(VALU_DEP_1) | instskip(SKIP_1) | instid1(VALU_DEP_2)
	v_pk_fma_f32 v[94:95], v[34:35], v[36:37], v[38:39] op_sel_hi:[0,1,1]
	v_pk_fma_f32 v[34:35], v[34:35], v[36:37], v[38:39] op_sel_hi:[0,1,1] neg_lo:[0,0,1] neg_hi:[0,0,1]
	v_mov_b32_e32 v35, v95
	ds_store_b64 v62, v[34:35]
.LBB59_789:                             ;   in Loop: Header=BB59_3 Depth=1
	s_or_b32 exec_lo, exec_lo, s57
	s_wait_dscnt 0x0
	s_barrier_signal -1
	s_barrier_wait -1
	s_and_saveexec_b32 s57, s61
	s_cbranch_execz .LBB59_791
; %bb.790:                              ;   in Loop: Header=BB59_3 Depth=1
	ds_load_b64 v[36:37], v61 offset:26496
	ds_load_b64 v[38:39], v62
	s_wait_dscnt 0x0
	v_pk_mul_f32 v[94:95], v[38:39], v[36:37] op_sel:[1,1] op_sel_hi:[0,1]
	s_delay_alu instid0(VALU_DEP_1) | instskip(SKIP_1) | instid1(VALU_DEP_2)
	v_pk_fma_f32 v[96:97], v[38:39], v[36:37], v[94:95] op_sel_hi:[1,0,1]
	v_pk_fma_f32 v[36:37], v[38:39], v[36:37], v[94:95] op_sel_hi:[1,0,1] neg_lo:[0,0,1] neg_hi:[0,0,1]
	v_mov_b32_e32 v37, v97
	s_delay_alu instid0(VALU_DEP_1)
	v_pk_add_f32 v[34:35], v[34:35], v[36:37]
.LBB59_791:                             ;   in Loop: Header=BB59_3 Depth=1
	s_or_b32 exec_lo, exec_lo, s57
	s_barrier_signal -1
	s_barrier_wait -1
	s_and_saveexec_b32 s57, s62
	s_cbranch_execz .LBB59_793
; %bb.792:                              ;   in Loop: Header=BB59_3 Depth=1
	ds_load_b64 v[36:37], v5 offset:27040
	s_wait_dscnt 0x0
	v_dual_mul_f32 v38, v34, v37 :: v_dual_mul_f32 v94, v35, v37
	s_delay_alu instid0(VALU_DEP_1) | instskip(NEXT) | instid1(VALU_DEP_2)
	v_pk_fma_f32 v[38:39], v[34:35], v[36:37], v[38:39] op_sel:[0,1,0] op_sel_hi:[1,0,0]
	v_pk_fma_f32 v[36:37], v[34:35], v[36:37], v[94:95] op_sel_hi:[1,1,0] neg_lo:[0,0,1] neg_hi:[0,0,1]
	s_delay_alu instid0(VALU_DEP_2) | instskip(NEXT) | instid1(VALU_DEP_1)
	v_mov_b32_e32 v37, v39
	v_mov_b64_e32 v[34:35], v[36:37]
	ds_store_b64 v62, v[36:37]
.LBB59_793:                             ;   in Loop: Header=BB59_3 Depth=1
	s_or_b32 exec_lo, exec_lo, s57
	s_wait_dscnt 0x0
	s_barrier_signal -1
	s_barrier_wait -1
	s_and_saveexec_b32 s57, s63
	s_cbranch_execz .LBB59_795
; %bb.794:                              ;   in Loop: Header=BB59_3 Depth=1
	ds_load_b64 v[36:37], v61 offset:27008
	ds_load_b64 v[38:39], v62
	s_wait_dscnt 0x0
	v_dual_mul_f32 v94, v39, v37 :: v_dual_mul_f32 v95, v38, v37
	s_delay_alu instid0(VALU_DEP_1) | instskip(NEXT) | instid1(VALU_DEP_1)
	v_dual_fma_f32 v94, v38, v36, -v94 :: v_dual_fmac_f32 v95, v39, v36
	v_pk_add_f32 v[34:35], v[34:35], v[94:95]
.LBB59_795:                             ;   in Loop: Header=BB59_3 Depth=1
	s_or_b32 exec_lo, exec_lo, s57
	s_barrier_signal -1
	s_barrier_wait -1
	s_and_saveexec_b32 s57, s64
	s_cbranch_execz .LBB59_797
; %bb.796:                              ;   in Loop: Header=BB59_3 Depth=1
	ds_load_b64 v[36:37], v5 offset:27560
	s_wait_dscnt 0x0
	v_pk_mul_f32 v[38:39], v[34:35], v[36:37] op_sel:[1,1] op_sel_hi:[1,0]
	s_delay_alu instid0(VALU_DEP_1) | instskip(SKIP_1) | instid1(VALU_DEP_2)
	v_pk_fma_f32 v[94:95], v[34:35], v[36:37], v[38:39] op_sel_hi:[0,1,1]
	v_pk_fma_f32 v[34:35], v[34:35], v[36:37], v[38:39] op_sel_hi:[0,1,1] neg_lo:[0,0,1] neg_hi:[0,0,1]
	v_mov_b32_e32 v35, v95
	ds_store_b64 v62, v[34:35]
.LBB59_797:                             ;   in Loop: Header=BB59_3 Depth=1
	s_or_b32 exec_lo, exec_lo, s57
	s_wait_dscnt 0x0
	s_barrier_signal -1
	s_barrier_wait -1
	s_and_saveexec_b32 s57, s65
	s_cbranch_execz .LBB59_799
; %bb.798:                              ;   in Loop: Header=BB59_3 Depth=1
	ds_load_b64 v[36:37], v61 offset:27520
	ds_load_b64 v[38:39], v62
	s_wait_dscnt 0x0
	v_pk_mul_f32 v[94:95], v[38:39], v[36:37] op_sel:[1,1] op_sel_hi:[0,1]
	s_delay_alu instid0(VALU_DEP_1) | instskip(SKIP_1) | instid1(VALU_DEP_2)
	v_pk_fma_f32 v[96:97], v[38:39], v[36:37], v[94:95] op_sel_hi:[1,0,1]
	v_pk_fma_f32 v[36:37], v[38:39], v[36:37], v[94:95] op_sel_hi:[1,0,1] neg_lo:[0,0,1] neg_hi:[0,0,1]
	v_mov_b32_e32 v37, v97
	s_delay_alu instid0(VALU_DEP_1)
	v_pk_add_f32 v[34:35], v[34:35], v[36:37]
.LBB59_799:                             ;   in Loop: Header=BB59_3 Depth=1
	s_or_b32 exec_lo, exec_lo, s57
	s_barrier_signal -1
	s_barrier_wait -1
	s_and_saveexec_b32 s57, s12
	s_cbranch_execz .LBB59_801
; %bb.800:                              ;   in Loop: Header=BB59_3 Depth=1
	ds_load_b64 v[36:37], v5 offset:28080
	s_wait_dscnt 0x0
	v_pk_mul_f32 v[38:39], v[34:35], v[36:37] op_sel:[1,1] op_sel_hi:[1,0]
	s_delay_alu instid0(VALU_DEP_1) | instskip(SKIP_1) | instid1(VALU_DEP_2)
	v_pk_fma_f32 v[94:95], v[34:35], v[36:37], v[38:39] op_sel_hi:[0,1,1]
	v_pk_fma_f32 v[34:35], v[34:35], v[36:37], v[38:39] op_sel_hi:[0,1,1] neg_lo:[0,0,1] neg_hi:[0,0,1]
	v_mov_b32_e32 v35, v95
	ds_store_b64 v62, v[34:35]
.LBB59_801:                             ;   in Loop: Header=BB59_3 Depth=1
	s_or_b32 exec_lo, exec_lo, s57
	s_wait_dscnt 0x0
	s_barrier_signal -1
	s_barrier_wait -1
	s_and_saveexec_b32 s57, s13
	s_cbranch_execz .LBB59_803
; %bb.802:                              ;   in Loop: Header=BB59_3 Depth=1
	ds_load_b64 v[36:37], v61 offset:28032
	ds_load_b64 v[38:39], v62
	s_wait_dscnt 0x0
	v_pk_mul_f32 v[94:95], v[38:39], v[36:37] op_sel:[1,1] op_sel_hi:[0,1]
	s_delay_alu instid0(VALU_DEP_1) | instskip(SKIP_1) | instid1(VALU_DEP_2)
	v_pk_fma_f32 v[96:97], v[38:39], v[36:37], v[94:95] op_sel_hi:[1,0,1]
	v_pk_fma_f32 v[36:37], v[38:39], v[36:37], v[94:95] op_sel_hi:[1,0,1] neg_lo:[0,0,1] neg_hi:[0,0,1]
	v_mov_b32_e32 v37, v97
	s_delay_alu instid0(VALU_DEP_1)
	v_pk_add_f32 v[34:35], v[34:35], v[36:37]
.LBB59_803:                             ;   in Loop: Header=BB59_3 Depth=1
	s_or_b32 exec_lo, exec_lo, s57
	s_barrier_signal -1
	s_barrier_wait -1
	s_and_saveexec_b32 s57, s23
	s_cbranch_execz .LBB59_805
; %bb.804:                              ;   in Loop: Header=BB59_3 Depth=1
	ds_load_b64 v[36:37], v5 offset:28600
	s_wait_dscnt 0x0
	v_pk_mul_f32 v[38:39], v[34:35], v[36:37] op_sel:[1,1] op_sel_hi:[1,0]
	s_delay_alu instid0(VALU_DEP_1) | instskip(SKIP_1) | instid1(VALU_DEP_2)
	v_pk_fma_f32 v[94:95], v[34:35], v[36:37], v[38:39] op_sel_hi:[0,1,1]
	v_pk_fma_f32 v[34:35], v[34:35], v[36:37], v[38:39] op_sel_hi:[0,1,1] neg_lo:[0,0,1] neg_hi:[0,0,1]
	v_mov_b32_e32 v35, v95
	ds_store_b64 v62, v[34:35]
.LBB59_805:                             ;   in Loop: Header=BB59_3 Depth=1
	s_or_b32 exec_lo, exec_lo, s57
	s_wait_dscnt 0x0
	s_barrier_signal -1
	s_barrier_wait -1
	s_and_saveexec_b32 s57, s25
	s_cbranch_execz .LBB59_807
; %bb.806:                              ;   in Loop: Header=BB59_3 Depth=1
	ds_load_b64 v[36:37], v61 offset:28544
	ds_load_b64 v[38:39], v62
	s_wait_dscnt 0x0
	v_pk_mul_f32 v[94:95], v[38:39], v[36:37] op_sel:[1,1] op_sel_hi:[0,1]
	s_delay_alu instid0(VALU_DEP_1) | instskip(SKIP_1) | instid1(VALU_DEP_2)
	v_pk_fma_f32 v[96:97], v[38:39], v[36:37], v[94:95] op_sel_hi:[1,0,1]
	v_pk_fma_f32 v[36:37], v[38:39], v[36:37], v[94:95] op_sel_hi:[1,0,1] neg_lo:[0,0,1] neg_hi:[0,0,1]
	v_mov_b32_e32 v37, v97
	s_delay_alu instid0(VALU_DEP_1)
	v_pk_add_f32 v[34:35], v[34:35], v[36:37]
.LBB59_807:                             ;   in Loop: Header=BB59_3 Depth=1
	s_or_b32 exec_lo, exec_lo, s57
	s_barrier_signal -1
	s_barrier_wait -1
	s_and_saveexec_b32 s57, s27
	s_cbranch_execz .LBB59_809
; %bb.808:                              ;   in Loop: Header=BB59_3 Depth=1
	ds_load_b64 v[36:37], v5 offset:29120
	s_wait_dscnt 0x0
	v_dual_mul_f32 v38, v34, v37 :: v_dual_mul_f32 v94, v35, v37
	s_delay_alu instid0(VALU_DEP_1) | instskip(NEXT) | instid1(VALU_DEP_2)
	v_pk_fma_f32 v[38:39], v[34:35], v[36:37], v[38:39] op_sel:[0,1,0] op_sel_hi:[1,0,0]
	v_pk_fma_f32 v[36:37], v[34:35], v[36:37], v[94:95] op_sel_hi:[1,1,0] neg_lo:[0,0,1] neg_hi:[0,0,1]
	s_delay_alu instid0(VALU_DEP_2) | instskip(NEXT) | instid1(VALU_DEP_1)
	v_mov_b32_e32 v37, v39
	v_mov_b64_e32 v[34:35], v[36:37]
	ds_store_b64 v62, v[36:37]
.LBB59_809:                             ;   in Loop: Header=BB59_3 Depth=1
	s_or_b32 exec_lo, exec_lo, s57
	s_wait_dscnt 0x0
	s_barrier_signal -1
	s_barrier_wait -1
	s_and_saveexec_b32 s57, s29
	s_cbranch_execz .LBB59_811
; %bb.810:                              ;   in Loop: Header=BB59_3 Depth=1
	ds_load_b64 v[36:37], v61 offset:29056
	ds_load_b64 v[38:39], v62
	s_wait_dscnt 0x0
	v_dual_mul_f32 v94, v39, v37 :: v_dual_mul_f32 v95, v38, v37
	s_delay_alu instid0(VALU_DEP_1) | instskip(NEXT) | instid1(VALU_DEP_1)
	v_dual_fma_f32 v94, v38, v36, -v94 :: v_dual_fmac_f32 v95, v39, v36
	v_pk_add_f32 v[34:35], v[34:35], v[94:95]
.LBB59_811:                             ;   in Loop: Header=BB59_3 Depth=1
	s_or_b32 exec_lo, exec_lo, s57
	s_barrier_signal -1
	s_barrier_wait -1
	s_and_saveexec_b32 s57, s31
	s_cbranch_execz .LBB59_813
; %bb.812:                              ;   in Loop: Header=BB59_3 Depth=1
	ds_load_b64 v[36:37], v5 offset:29640
	s_wait_dscnt 0x0
	v_pk_mul_f32 v[38:39], v[34:35], v[36:37] op_sel:[1,1] op_sel_hi:[1,0]
	s_delay_alu instid0(VALU_DEP_1) | instskip(SKIP_1) | instid1(VALU_DEP_2)
	v_pk_fma_f32 v[94:95], v[34:35], v[36:37], v[38:39] op_sel_hi:[0,1,1]
	v_pk_fma_f32 v[34:35], v[34:35], v[36:37], v[38:39] op_sel_hi:[0,1,1] neg_lo:[0,0,1] neg_hi:[0,0,1]
	v_mov_b32_e32 v35, v95
	ds_store_b64 v62, v[34:35]
.LBB59_813:                             ;   in Loop: Header=BB59_3 Depth=1
	s_or_b32 exec_lo, exec_lo, s57
	s_wait_dscnt 0x0
	s_barrier_signal -1
	s_barrier_wait -1
	s_and_saveexec_b32 s57, s34
	s_cbranch_execz .LBB59_815
; %bb.814:                              ;   in Loop: Header=BB59_3 Depth=1
	ds_load_b64 v[36:37], v61 offset:29568
	ds_load_b64 v[38:39], v62
	s_wait_dscnt 0x0
	v_pk_mul_f32 v[94:95], v[38:39], v[36:37] op_sel:[1,1] op_sel_hi:[0,1]
	s_delay_alu instid0(VALU_DEP_1) | instskip(SKIP_1) | instid1(VALU_DEP_2)
	v_pk_fma_f32 v[96:97], v[38:39], v[36:37], v[94:95] op_sel_hi:[1,0,1]
	v_pk_fma_f32 v[36:37], v[38:39], v[36:37], v[94:95] op_sel_hi:[1,0,1] neg_lo:[0,0,1] neg_hi:[0,0,1]
	v_mov_b32_e32 v37, v97
	s_delay_alu instid0(VALU_DEP_1)
	v_pk_add_f32 v[34:35], v[34:35], v[36:37]
.LBB59_815:                             ;   in Loop: Header=BB59_3 Depth=1
	s_or_b32 exec_lo, exec_lo, s57
	s_barrier_signal -1
	s_barrier_wait -1
	s_and_saveexec_b32 s57, s38
	s_cbranch_execz .LBB59_817
; %bb.816:                              ;   in Loop: Header=BB59_3 Depth=1
	ds_load_b64 v[36:37], v5 offset:30160
	s_wait_dscnt 0x0
	v_pk_mul_f32 v[38:39], v[34:35], v[36:37] op_sel:[1,1] op_sel_hi:[1,0]
	s_delay_alu instid0(VALU_DEP_1) | instskip(SKIP_1) | instid1(VALU_DEP_2)
	v_pk_fma_f32 v[94:95], v[34:35], v[36:37], v[38:39] op_sel_hi:[0,1,1]
	v_pk_fma_f32 v[34:35], v[34:35], v[36:37], v[38:39] op_sel_hi:[0,1,1] neg_lo:[0,0,1] neg_hi:[0,0,1]
	v_mov_b32_e32 v35, v95
	ds_store_b64 v62, v[34:35]
.LBB59_817:                             ;   in Loop: Header=BB59_3 Depth=1
	s_or_b32 exec_lo, exec_lo, s57
	s_wait_dscnt 0x0
	s_barrier_signal -1
	s_barrier_wait -1
	s_and_saveexec_b32 s57, s24
	s_cbranch_execz .LBB59_819
; %bb.818:                              ;   in Loop: Header=BB59_3 Depth=1
	ds_load_b64 v[36:37], v61 offset:30080
	ds_load_b64 v[38:39], v62
	s_wait_dscnt 0x0
	v_pk_mul_f32 v[94:95], v[38:39], v[36:37] op_sel:[1,1] op_sel_hi:[0,1]
	s_delay_alu instid0(VALU_DEP_1) | instskip(SKIP_1) | instid1(VALU_DEP_2)
	v_pk_fma_f32 v[96:97], v[38:39], v[36:37], v[94:95] op_sel_hi:[1,0,1]
	v_pk_fma_f32 v[36:37], v[38:39], v[36:37], v[94:95] op_sel_hi:[1,0,1] neg_lo:[0,0,1] neg_hi:[0,0,1]
	v_mov_b32_e32 v37, v97
	s_delay_alu instid0(VALU_DEP_1)
	v_pk_add_f32 v[34:35], v[34:35], v[36:37]
.LBB59_819:                             ;   in Loop: Header=BB59_3 Depth=1
	;; [unrolled: 33-line block ×3, first 2 shown]
	s_or_b32 exec_lo, exec_lo, s57
	s_barrier_signal -1
	s_barrier_wait -1
	s_and_saveexec_b32 s57, s30
	s_cbranch_execz .LBB59_825
; %bb.824:                              ;   in Loop: Header=BB59_3 Depth=1
	ds_load_b64 v[36:37], v5 offset:31200
	s_wait_dscnt 0x0
	v_dual_mul_f32 v38, v34, v37 :: v_dual_mul_f32 v94, v35, v37
	s_delay_alu instid0(VALU_DEP_1) | instskip(NEXT) | instid1(VALU_DEP_2)
	v_pk_fma_f32 v[38:39], v[34:35], v[36:37], v[38:39] op_sel:[0,1,0] op_sel_hi:[1,0,0]
	v_pk_fma_f32 v[36:37], v[34:35], v[36:37], v[94:95] op_sel_hi:[1,1,0] neg_lo:[0,0,1] neg_hi:[0,0,1]
	s_delay_alu instid0(VALU_DEP_2) | instskip(NEXT) | instid1(VALU_DEP_1)
	v_mov_b32_e32 v37, v39
	v_mov_b64_e32 v[34:35], v[36:37]
	ds_store_b64 v62, v[36:37]
.LBB59_825:                             ;   in Loop: Header=BB59_3 Depth=1
	s_or_b32 exec_lo, exec_lo, s57
	s_wait_dscnt 0x0
	s_barrier_signal -1
	s_barrier_wait -1
	s_and_saveexec_b32 s57, s33
	s_cbranch_execz .LBB59_827
; %bb.826:                              ;   in Loop: Header=BB59_3 Depth=1
	ds_load_b64 v[36:37], v61 offset:31104
	ds_load_b64 v[38:39], v62
	s_wait_dscnt 0x0
	v_dual_mul_f32 v94, v39, v37 :: v_dual_mul_f32 v95, v38, v37
	s_delay_alu instid0(VALU_DEP_1) | instskip(NEXT) | instid1(VALU_DEP_1)
	v_dual_fma_f32 v94, v38, v36, -v94 :: v_dual_fmac_f32 v95, v39, v36
	v_pk_add_f32 v[34:35], v[34:35], v[94:95]
.LBB59_827:                             ;   in Loop: Header=BB59_3 Depth=1
	s_or_b32 exec_lo, exec_lo, s57
	s_barrier_signal -1
	s_barrier_wait -1
	s_and_saveexec_b32 s57, s10
	s_cbranch_execz .LBB59_829
; %bb.828:                              ;   in Loop: Header=BB59_3 Depth=1
	ds_load_b64 v[36:37], v5 offset:31720
	s_wait_dscnt 0x0
	v_pk_mul_f32 v[38:39], v[34:35], v[36:37] op_sel:[1,1] op_sel_hi:[1,0]
	s_delay_alu instid0(VALU_DEP_1) | instskip(SKIP_1) | instid1(VALU_DEP_2)
	v_pk_fma_f32 v[94:95], v[34:35], v[36:37], v[38:39] op_sel_hi:[0,1,1]
	v_pk_fma_f32 v[36:37], v[34:35], v[36:37], v[38:39] neg_lo:[0,0,1] neg_hi:[0,0,1]
	v_mov_b32_e32 v37, v95
	s_delay_alu instid0(VALU_DEP_1)
	v_mov_b64_e32 v[34:35], v[36:37]
	ds_store_b64 v62, v[36:37]
.LBB59_829:                             ;   in Loop: Header=BB59_3 Depth=1
	s_or_b32 exec_lo, exec_lo, s57
	s_wait_dscnt 0x0
	s_barrier_signal -1
	s_barrier_wait -1
	s_and_saveexec_b32 s57, s11
	s_cbranch_execz .LBB59_831
; %bb.830:                              ;   in Loop: Header=BB59_3 Depth=1
	ds_load_b64 v[36:37], v61 offset:31616
	ds_load_b64 v[38:39], v62
	s_wait_dscnt 0x0
	v_pk_mul_f32 v[94:95], v[38:39], v[36:37] op_sel:[1,1] op_sel_hi:[0,1]
	s_delay_alu instid0(VALU_DEP_1) | instskip(SKIP_1) | instid1(VALU_DEP_2)
	v_pk_fma_f32 v[96:97], v[38:39], v[36:37], v[94:95] op_sel_hi:[1,0,1]
	v_pk_fma_f32 v[36:37], v[38:39], v[36:37], v[94:95] neg_lo:[0,0,1] neg_hi:[0,0,1]
	v_mov_b32_e32 v37, v97
	s_delay_alu instid0(VALU_DEP_1)
	v_pk_add_f32 v[34:35], v[34:35], v[36:37]
.LBB59_831:                             ;   in Loop: Header=BB59_3 Depth=1
	s_or_b32 exec_lo, exec_lo, s57
	s_barrier_signal -1
	s_barrier_wait -1
	s_and_saveexec_b32 s57, s94
	s_cbranch_execz .LBB59_833
; %bb.832:                              ;   in Loop: Header=BB59_3 Depth=1
	ds_load_b64 v[36:37], v5 offset:32240
	s_wait_dscnt 0x0
	v_pk_mul_f32 v[38:39], v[34:35], v[36:37] op_sel:[1,1] op_sel_hi:[1,0]
	s_delay_alu instid0(VALU_DEP_1) | instskip(SKIP_1) | instid1(VALU_DEP_2)
	v_pk_fma_f32 v[94:95], v[34:35], v[36:37], v[38:39] op_sel_hi:[0,1,1]
	v_pk_fma_f32 v[36:37], v[34:35], v[36:37], v[38:39] neg_lo:[0,0,1] neg_hi:[0,0,1]
	v_mov_b32_e32 v37, v95
	s_delay_alu instid0(VALU_DEP_1)
	v_mov_b64_e32 v[34:35], v[36:37]
	ds_store_b64 v62, v[36:37]
.LBB59_833:                             ;   in Loop: Header=BB59_3 Depth=1
	s_or_b32 exec_lo, exec_lo, s57
	s_wait_dscnt 0x0
	s_barrier_signal -1
	s_barrier_wait -1
	s_and_saveexec_b32 s57, s76
	s_cbranch_execz .LBB59_835
; %bb.834:                              ;   in Loop: Header=BB59_3 Depth=1
	ds_load_b64 v[36:37], v5 offset:32248
	ds_load_b64 v[38:39], v62
	s_wait_dscnt 0x0
	v_pk_mul_f32 v[94:95], v[38:39], v[36:37] op_sel:[1,1] op_sel_hi:[0,1]
	s_delay_alu instid0(VALU_DEP_1) | instskip(SKIP_1) | instid1(VALU_DEP_2)
	v_pk_fma_f32 v[96:97], v[38:39], v[36:37], v[94:95] op_sel_hi:[1,0,1]
	v_pk_fma_f32 v[36:37], v[38:39], v[36:37], v[94:95] neg_lo:[0,0,1] neg_hi:[0,0,1]
	v_mov_b32_e32 v37, v97
	s_delay_alu instid0(VALU_DEP_1)
	v_pk_add_f32 v[34:35], v[34:35], v[36:37]
.LBB59_835:                             ;   in Loop: Header=BB59_3 Depth=1
	s_or_b32 exec_lo, exec_lo, s57
	s_barrier_signal -1
	s_barrier_wait -1
	s_and_saveexec_b32 s57, s76
	s_cbranch_execz .LBB59_837
; %bb.836:                              ;   in Loop: Header=BB59_3 Depth=1
	ds_load_b64 v[36:37], v5 offset:32760
	s_wait_dscnt 0x0
	v_pk_mul_f32 v[38:39], v[34:35], v[36:37] op_sel:[1,1] op_sel_hi:[1,0]
	s_delay_alu instid0(VALU_DEP_1) | instskip(SKIP_1) | instid1(VALU_DEP_2)
	v_pk_fma_f32 v[94:95], v[34:35], v[36:37], v[38:39] op_sel_hi:[0,1,1]
	v_pk_fma_f32 v[36:37], v[34:35], v[36:37], v[38:39] neg_lo:[0,0,1] neg_hi:[0,0,1]
	v_mov_b32_e32 v37, v95
	s_delay_alu instid0(VALU_DEP_1)
	v_mov_b64_e32 v[34:35], v[36:37]
	ds_store_b64 v62, v[36:37]
.LBB59_837:                             ;   in Loop: Header=BB59_3 Depth=1
	s_or_b32 exec_lo, exec_lo, s57
	s_wait_dscnt 0x0
	s_barrier_signal -1
	s_barrier_wait -1
	s_barrier_signal -1
	s_barrier_wait -1
	s_and_saveexec_b32 s57, s4
; %bb.838:                              ;   in Loop: Header=BB59_3 Depth=1
	v_pk_add_f32 v[34:35], v[34:35], 0 neg_lo:[1,1] neg_hi:[1,1]
	ds_store_b64 v63, v[34:35] offset:16768
; %bb.839:                              ;   in Loop: Header=BB59_3 Depth=1
	s_or_b32 exec_lo, exec_lo, s57
	s_wait_dscnt 0x0
	s_barrier_signal -1
	s_barrier_wait -1
	s_barrier_signal -1
	s_barrier_wait -1
	s_and_saveexec_b32 s57, s77
	s_cbranch_execz .LBB59_841
; %bb.840:                              ;   in Loop: Header=BB59_3 Depth=1
	ds_load_b64 v[34:35], v46 offset:16768
	s_wait_dscnt 0x0
	ds_store_b64 v51, v[34:35] offset:24832
	ds_load_b64 v[34:35], v46 offset:16776
	s_wait_dscnt 0x0
	ds_store_b64 v51, v[34:35] offset:25344
	;; [unrolled: 3-line block ×16, first 2 shown]
.LBB59_841:                             ;   in Loop: Header=BB59_3 Depth=1
	s_or_b32 exec_lo, exec_lo, s57
	s_wait_dscnt 0x0
	s_barrier_signal -1
	s_barrier_wait -1
	s_and_saveexec_b32 s57, s14
	s_cbranch_execz .LBB59_843
; %bb.842:                              ;   in Loop: Header=BB59_3 Depth=1
	ds_load_b128 v[34:37], v5 offset:24960
	ds_load_b64 v[38:39], v5 offset:25480
	s_wait_dscnt 0x1
	v_dual_mov_b32 v96, v37 :: v_dual_mov_b32 v97, v36
	s_wait_dscnt 0x0
	v_dual_mul_f32 v95, v39, v35 :: v_dual_mul_f32 v94, v38, v35
	s_delay_alu instid0(VALU_DEP_1) | instskip(NEXT) | instid1(VALU_DEP_2)
	v_xor_b32_e32 v98, 0x80000000, v95
	v_fmac_f32_e32 v94, v39, v34
	s_delay_alu instid0(VALU_DEP_2) | instskip(NEXT) | instid1(VALU_DEP_2)
	v_fmac_f32_e32 v98, v38, v34
	v_pk_mul_f32 v[34:35], v[94:95], v[96:97] op_sel_hi:[0,1]
	s_delay_alu instid0(VALU_DEP_1) | instskip(SKIP_2) | instid1(VALU_DEP_3)
	v_pk_fma_f32 v[38:39], v[98:99], v[36:37], v[34:35] op_sel_hi:[0,1,1]
	v_pk_fma_f32 v[34:35], v[98:99], v[36:37], v[34:35] neg_lo:[0,0,1] neg_hi:[0,0,1]
	v_add_nc_u32_e64 v36, 0x6000, 0
	v_mov_b32_e32 v35, v39
	ds_store_2addr_b64 v36, v[34:35], v[34:35] offset0:49 offset1:112
.LBB59_843:                             ;   in Loop: Header=BB59_3 Depth=1
	s_or_b32 exec_lo, exec_lo, s57
	v_mov_b32_e32 v35, 0
	s_wait_dscnt 0x0
	s_barrier_signal -1
	s_barrier_wait -1
	s_delay_alu instid0(VALU_DEP_1)
	v_mov_b32_e32 v34, v35
	s_and_saveexec_b32 s57, s0
	s_cbranch_execz .LBB59_847
; %bb.844:                              ;   in Loop: Header=BB59_3 Depth=1
	ds_load_b64 v[34:35], v41 offset:24976
	ds_load_b64 v[36:37], v42 offset:24960
	s_wait_dscnt 0x0
	v_dual_mul_f32 v38, v37, v35 :: v_dual_mul_f32 v39, v36, v35
	s_delay_alu instid0(VALU_DEP_1) | instskip(NEXT) | instid1(VALU_DEP_1)
	v_dual_fma_f32 v38, v36, v34, -v38 :: v_dual_fmac_f32 v39, v37, v34
	v_pk_add_f32 v[34:35], v[38:39], 0 op_sel_hi:[1,0]
	s_and_saveexec_b32 s58, s15
	s_cbranch_execz .LBB59_846
; %bb.845:                              ;   in Loop: Header=BB59_3 Depth=1
	ds_load_b64 v[36:37], v43 offset:25488
	ds_load_b64 v[38:39], v5 offset:24968
	s_wait_dscnt 0x0
	v_pk_mul_f32 v[94:95], v[38:39], v[36:37] op_sel:[1,1] op_sel_hi:[0,1]
	s_delay_alu instid0(VALU_DEP_1) | instskip(SKIP_1) | instid1(VALU_DEP_2)
	v_pk_fma_f32 v[96:97], v[38:39], v[36:37], v[94:95] op_sel_hi:[1,0,1]
	v_pk_fma_f32 v[36:37], v[38:39], v[36:37], v[94:95] neg_lo:[0,0,1] neg_hi:[0,0,1]
	v_mov_b32_e32 v37, v97
	s_delay_alu instid0(VALU_DEP_1)
	v_pk_add_f32 v[34:35], v[34:35], v[36:37]
.LBB59_846:                             ;   in Loop: Header=BB59_3 Depth=1
	s_or_b32 exec_lo, exec_lo, s58
	s_delay_alu instid0(VALU_DEP_1)
	v_pk_add_f32 v[34:35], v[34:35], 0 neg_lo:[1,1] neg_hi:[1,1]
.LBB59_847:                             ;   in Loop: Header=BB59_3 Depth=1
	s_or_b32 exec_lo, exec_lo, s57
	s_and_saveexec_b32 s57, s96
	s_cbranch_execz .LBB59_849
; %bb.848:                              ;   in Loop: Header=BB59_3 Depth=1
	ds_load_b64 v[36:37], v5 offset:26000
	s_wait_dscnt 0x0
	v_pk_mul_f32 v[38:39], v[34:35], v[36:37] op_sel:[1,1] op_sel_hi:[1,0]
	s_delay_alu instid0(VALU_DEP_1) | instskip(SKIP_1) | instid1(VALU_DEP_2)
	v_pk_fma_f32 v[94:95], v[34:35], v[36:37], v[38:39] op_sel_hi:[0,1,1]
	v_pk_fma_f32 v[36:37], v[34:35], v[36:37], v[38:39] neg_lo:[0,0,1] neg_hi:[0,0,1]
	v_mov_b32_e32 v37, v95
	s_delay_alu instid0(VALU_DEP_1)
	v_mov_b64_e32 v[34:35], v[36:37]
	ds_store_b64 v3, v[36:37]
.LBB59_849:                             ;   in Loop: Header=BB59_3 Depth=1
	s_or_b32 exec_lo, exec_lo, s57
	s_wait_dscnt 0x0
	s_barrier_signal -1
	s_barrier_wait -1
	s_and_saveexec_b32 s57, s97
	s_cbranch_execz .LBB59_851
; %bb.850:                              ;   in Loop: Header=BB59_3 Depth=1
	ds_load_b64 v[36:37], v5 offset:26008
	ds_load_b64 v[38:39], v3
	s_wait_dscnt 0x0
	v_pk_mul_f32 v[94:95], v[38:39], v[36:37] op_sel:[1,1] op_sel_hi:[0,1]
	s_delay_alu instid0(VALU_DEP_1) | instskip(SKIP_1) | instid1(VALU_DEP_2)
	v_pk_fma_f32 v[96:97], v[38:39], v[36:37], v[94:95] op_sel_hi:[1,0,1]
	v_pk_fma_f32 v[36:37], v[38:39], v[36:37], v[94:95] neg_lo:[0,0,1] neg_hi:[0,0,1]
	v_mov_b32_e32 v37, v97
	s_delay_alu instid0(VALU_DEP_1)
	v_pk_add_f32 v[34:35], v[34:35], v[36:37]
.LBB59_851:                             ;   in Loop: Header=BB59_3 Depth=1
	s_or_b32 exec_lo, exec_lo, s57
	s_barrier_signal -1
	s_barrier_wait -1
	s_and_saveexec_b32 s57, s97
	s_cbranch_execz .LBB59_853
; %bb.852:                              ;   in Loop: Header=BB59_3 Depth=1
	ds_load_b64 v[36:37], v5 offset:26520
	s_wait_dscnt 0x0
	v_pk_mul_f32 v[38:39], v[34:35], v[36:37] op_sel:[1,1] op_sel_hi:[1,0]
	s_delay_alu instid0(VALU_DEP_1) | instskip(SKIP_1) | instid1(VALU_DEP_2)
	v_pk_fma_f32 v[94:95], v[34:35], v[36:37], v[38:39] op_sel_hi:[0,1,1]
	v_pk_fma_f32 v[36:37], v[34:35], v[36:37], v[38:39] neg_lo:[0,0,1] neg_hi:[0,0,1]
	v_mov_b32_e32 v37, v95
	s_delay_alu instid0(VALU_DEP_1)
	v_mov_b64_e32 v[34:35], v[36:37]
	ds_store_b64 v3, v[36:37]
.LBB59_853:                             ;   in Loop: Header=BB59_3 Depth=1
	s_or_b32 exec_lo, exec_lo, s57
	s_wait_dscnt 0x0
	s_barrier_signal -1
	s_barrier_wait -1
	s_barrier_signal -1
	s_barrier_wait -1
	s_and_saveexec_b32 s57, s0
; %bb.854:                              ;   in Loop: Header=BB59_3 Depth=1
	v_pk_add_f32 v[34:35], v[34:35], 0 neg_lo:[1,1] neg_hi:[1,1]
	ds_store_b64 v41, v[34:35] offset:24976
; %bb.855:                              ;   in Loop: Header=BB59_3 Depth=1
	s_or_b32 exec_lo, exec_lo, s57
	s_wait_dscnt 0x0
	s_barrier_signal -1
	s_barrier_wait -1
	s_barrier_signal -1
	s_barrier_wait -1
	s_and_saveexec_b32 s57, s98
	s_cbranch_execz .LBB59_857
; %bb.856:                              ;   in Loop: Header=BB59_3 Depth=1
	ds_load_b64 v[34:35], v46 offset:24976
	s_wait_dscnt 0x0
	ds_store_b64 v43, v[34:35] offset:25984
	ds_load_b64 v[34:35], v46 offset:24984
	s_wait_dscnt 0x0
	ds_store_b64 v43, v[34:35] offset:26496
.LBB59_857:                             ;   in Loop: Header=BB59_3 Depth=1
	s_or_b32 exec_lo, exec_lo, s57
	s_wait_dscnt 0x0
	s_barrier_signal -1
	s_barrier_wait -1
	s_and_saveexec_b32 s57, s14
	s_cbranch_execz .LBB59_859
; %bb.858:                              ;   in Loop: Header=BB59_3 Depth=1
	ds_load_b128 v[34:37], v5 offset:26000
	ds_load_b64 v[38:39], v5 offset:26520
	s_wait_dscnt 0x1
	v_dual_mov_b32 v96, v37 :: v_dual_mov_b32 v97, v36
	s_wait_dscnt 0x0
	v_dual_mul_f32 v95, v39, v35 :: v_dual_mul_f32 v94, v38, v35
	s_delay_alu instid0(VALU_DEP_1) | instskip(NEXT) | instid1(VALU_DEP_2)
	v_xor_b32_e32 v98, 0x80000000, v95
	v_fmac_f32_e32 v94, v39, v34
	s_delay_alu instid0(VALU_DEP_2) | instskip(NEXT) | instid1(VALU_DEP_2)
	v_fmac_f32_e32 v98, v38, v34
	v_pk_mul_f32 v[34:35], v[94:95], v[96:97] op_sel_hi:[0,1]
	s_delay_alu instid0(VALU_DEP_1) | instskip(SKIP_2) | instid1(VALU_DEP_3)
	v_pk_fma_f32 v[38:39], v[98:99], v[36:37], v[34:35] op_sel_hi:[0,1,1]
	v_pk_fma_f32 v[34:35], v[98:99], v[36:37], v[34:35] neg_lo:[0,0,1] neg_hi:[0,0,1]
	v_add_nc_u32_e64 v36, 0x6000, 0
	v_mov_b32_e32 v35, v39
	ds_store_2addr_b64 v36, v[34:35], v[34:35] offset0:179 offset1:242
.LBB59_859:                             ;   in Loop: Header=BB59_3 Depth=1
	s_or_b32 exec_lo, exec_lo, s57
	v_mov_b32_e32 v34, 0
	s_wait_dscnt 0x0
	s_barrier_signal -1
	s_barrier_wait -1
	s_delay_alu instid0(VALU_DEP_1)
	v_mov_b32_e32 v35, v34
	s_and_saveexec_b32 s66, s2
	s_cbranch_execz .LBB59_865
; %bb.860:                              ;   in Loop: Header=BB59_3 Depth=1
	ds_load_b64 v[34:35], v48 offset:24992
	ds_load_b64 v[36:37], v44 offset:24960
	s_wait_dscnt 0x0
	v_pk_mul_f32 v[38:39], v[36:37], v[34:35] op_sel:[0,1]
	s_delay_alu instid0(VALU_DEP_1) | instskip(SKIP_1) | instid1(VALU_DEP_2)
	v_pk_fma_f32 v[94:95], v[36:37], v[34:35], v[38:39] op_sel:[1,0,0] op_sel_hi:[0,0,1] neg_lo:[0,0,1] neg_hi:[0,0,1]
	v_pk_fma_f32 v[34:35], v[36:37], v[34:35], v[38:39] op_sel:[1,0,0] op_sel_hi:[0,1,1]
	v_mov_b32_e32 v35, v95
	s_delay_alu instid0(VALU_DEP_1)
	v_pk_add_f32 v[34:35], v[34:35], 0 op_sel_hi:[1,0]
	s_and_saveexec_b32 s57, s16
	s_cbranch_execnz .LBB59_1150
; %bb.861:                              ;   in Loop: Header=BB59_3 Depth=1
	s_or_b32 exec_lo, exec_lo, s57
	s_and_saveexec_b32 s57, s17
	s_cbranch_execnz .LBB59_1151
.LBB59_862:                             ;   in Loop: Header=BB59_3 Depth=1
	s_or_b32 exec_lo, exec_lo, s57
	s_and_saveexec_b32 s57, s0
	s_cbranch_execz .LBB59_864
.LBB59_863:                             ;   in Loop: Header=BB59_3 Depth=1
	ds_load_b64 v[36:37], v51 offset:26528
	ds_load_b64 v[38:39], v5 offset:24984
	s_wait_dscnt 0x0
	v_pk_mul_f32 v[94:95], v[38:39], v[36:37] op_sel:[0,1]
	s_delay_alu instid0(VALU_DEP_1) | instskip(SKIP_1) | instid1(VALU_DEP_2)
	v_pk_fma_f32 v[96:97], v[38:39], v[36:37], v[94:95] op_sel:[1,0,0] op_sel_hi:[0,0,1] neg_lo:[0,0,1] neg_hi:[0,0,1]
	v_pk_fma_f32 v[36:37], v[38:39], v[36:37], v[94:95] op_sel:[1,0,0] op_sel_hi:[0,1,1]
	v_mov_b32_e32 v37, v97
	s_delay_alu instid0(VALU_DEP_1)
	v_pk_add_f32 v[34:35], v[34:35], v[36:37]
.LBB59_864:                             ;   in Loop: Header=BB59_3 Depth=1
	s_or_b32 exec_lo, exec_lo, s57
	s_delay_alu instid0(VALU_DEP_1) | instskip(NEXT) | instid1(VALU_DEP_1)
	v_pk_add_f32 v[36:37], v[34:35], 0 neg_lo:[1,1] neg_hi:[1,1]
	v_dual_mov_b32 v34, v37 :: v_dual_mov_b32 v35, v36
.LBB59_865:                             ;   in Loop: Header=BB59_3 Depth=1
	s_or_b32 exec_lo, exec_lo, s66
	s_and_saveexec_b32 s57, s99
	s_cbranch_execz .LBB59_867
; %bb.866:                              ;   in Loop: Header=BB59_3 Depth=1
	ds_load_b64 v[36:37], v5 offset:27040
	v_dual_mov_b32 v38, v35 :: v_dual_mov_b32 v39, v34
	s_wait_dscnt 0x0
	s_delay_alu instid0(VALU_DEP_1) | instskip(NEXT) | instid1(VALU_DEP_1)
	v_dual_mul_f32 v94, v38, v36 :: v_dual_mul_f32 v96, v35, v37
	v_pk_fma_f32 v[38:39], v[38:39], v[36:37], v[94:95] op_sel_hi:[1,1,0]
	s_delay_alu instid0(VALU_DEP_2) | instskip(NEXT) | instid1(VALU_DEP_2)
	v_pk_fma_f32 v[34:35], v[34:35], v[36:37], v[96:97] op_sel_hi:[1,1,0] neg_lo:[0,0,1] neg_hi:[0,0,1]
	v_mov_b32_e32 v35, v39
	ds_store_b64 v47, v[34:35]
.LBB59_867:                             ;   in Loop: Header=BB59_3 Depth=1
	s_or_b32 exec_lo, exec_lo, s57
	s_wait_dscnt 0x0
	s_barrier_signal -1
	s_barrier_wait -1
	s_and_saveexec_b32 s57, s100
	s_cbranch_execz .LBB59_869
; %bb.868:                              ;   in Loop: Header=BB59_3 Depth=1
	ds_load_b64 v[36:37], v45 offset:27040
	ds_load_b64 v[38:39], v47
	s_wait_dscnt 0x0
	v_dual_mul_f32 v94, v39, v37 :: v_dual_mul_f32 v95, v38, v37
	s_delay_alu instid0(VALU_DEP_1) | instskip(NEXT) | instid1(VALU_DEP_1)
	v_dual_fma_f32 v94, v38, v36, -v94 :: v_dual_fmac_f32 v95, v39, v36
	v_pk_add_f32 v[34:35], v[34:35], v[94:95]
.LBB59_869:                             ;   in Loop: Header=BB59_3 Depth=1
	s_or_b32 exec_lo, exec_lo, s57
	s_barrier_signal -1
	s_barrier_wait -1
	s_and_saveexec_b32 s57, s101
	s_cbranch_execz .LBB59_871
; %bb.870:                              ;   in Loop: Header=BB59_3 Depth=1
	ds_load_b64 v[36:37], v5 offset:27560
	s_wait_dscnt 0x0
	v_pk_mul_f32 v[38:39], v[34:35], v[36:37] op_sel:[1,1] op_sel_hi:[1,0]
	s_delay_alu instid0(VALU_DEP_1) | instskip(SKIP_1) | instid1(VALU_DEP_2)
	v_pk_fma_f32 v[94:95], v[34:35], v[36:37], v[38:39] op_sel_hi:[0,1,1]
	v_pk_fma_f32 v[36:37], v[34:35], v[36:37], v[38:39] neg_lo:[0,0,1] neg_hi:[0,0,1]
	v_mov_b32_e32 v37, v95
	s_delay_alu instid0(VALU_DEP_1)
	v_mov_b64_e32 v[34:35], v[36:37]
	ds_store_b64 v47, v[36:37]
.LBB59_871:                             ;   in Loop: Header=BB59_3 Depth=1
	s_or_b32 exec_lo, exec_lo, s57
	s_wait_dscnt 0x0
	s_barrier_signal -1
	s_barrier_wait -1
	s_and_saveexec_b32 s57, s102
	s_cbranch_execz .LBB59_873
; %bb.872:                              ;   in Loop: Header=BB59_3 Depth=1
	ds_load_b64 v[36:37], v45 offset:27552
	ds_load_b64 v[38:39], v47
	s_wait_dscnt 0x0
	v_pk_mul_f32 v[94:95], v[38:39], v[36:37] op_sel:[1,1] op_sel_hi:[0,1]
	s_delay_alu instid0(VALU_DEP_1) | instskip(SKIP_1) | instid1(VALU_DEP_2)
	v_pk_fma_f32 v[96:97], v[38:39], v[36:37], v[94:95] op_sel_hi:[1,0,1]
	v_pk_fma_f32 v[36:37], v[38:39], v[36:37], v[94:95] neg_lo:[0,0,1] neg_hi:[0,0,1]
	v_mov_b32_e32 v37, v97
	s_delay_alu instid0(VALU_DEP_1)
	v_pk_add_f32 v[34:35], v[34:35], v[36:37]
.LBB59_873:                             ;   in Loop: Header=BB59_3 Depth=1
	s_or_b32 exec_lo, exec_lo, s57
	s_barrier_signal -1
	s_barrier_wait -1
	s_and_saveexec_b32 s57, s103
	s_cbranch_execz .LBB59_875
; %bb.874:                              ;   in Loop: Header=BB59_3 Depth=1
	ds_load_b64 v[36:37], v5 offset:28080
	s_wait_dscnt 0x0
	v_pk_mul_f32 v[38:39], v[34:35], v[36:37] op_sel:[1,1] op_sel_hi:[1,0]
	s_delay_alu instid0(VALU_DEP_1) | instskip(SKIP_1) | instid1(VALU_DEP_2)
	v_pk_fma_f32 v[94:95], v[34:35], v[36:37], v[38:39] op_sel_hi:[0,1,1]
	v_pk_fma_f32 v[36:37], v[34:35], v[36:37], v[38:39] neg_lo:[0,0,1] neg_hi:[0,0,1]
	v_mov_b32_e32 v37, v95
	s_delay_alu instid0(VALU_DEP_1)
	v_mov_b64_e32 v[34:35], v[36:37]
	ds_store_b64 v47, v[36:37]
.LBB59_875:                             ;   in Loop: Header=BB59_3 Depth=1
	s_or_b32 exec_lo, exec_lo, s57
	s_wait_dscnt 0x0
	s_barrier_signal -1
	s_barrier_wait -1
	s_and_saveexec_b32 s57, s104
	s_cbranch_execz .LBB59_877
; %bb.876:                              ;   in Loop: Header=BB59_3 Depth=1
	ds_load_b64 v[36:37], v5 offset:28088
	ds_load_b64 v[38:39], v47
	s_wait_dscnt 0x0
	v_pk_mul_f32 v[94:95], v[38:39], v[36:37] op_sel:[1,1] op_sel_hi:[0,1]
	s_delay_alu instid0(VALU_DEP_1) | instskip(SKIP_1) | instid1(VALU_DEP_2)
	v_pk_fma_f32 v[96:97], v[38:39], v[36:37], v[94:95] op_sel_hi:[1,0,1]
	v_pk_fma_f32 v[36:37], v[38:39], v[36:37], v[94:95] neg_lo:[0,0,1] neg_hi:[0,0,1]
	v_mov_b32_e32 v37, v97
	s_delay_alu instid0(VALU_DEP_1)
	v_pk_add_f32 v[34:35], v[34:35], v[36:37]
.LBB59_877:                             ;   in Loop: Header=BB59_3 Depth=1
	s_or_b32 exec_lo, exec_lo, s57
	s_barrier_signal -1
	s_barrier_wait -1
	s_and_saveexec_b32 s57, s104
	s_cbranch_execz .LBB59_879
; %bb.878:                              ;   in Loop: Header=BB59_3 Depth=1
	ds_load_b64 v[36:37], v5 offset:28600
	s_wait_dscnt 0x0
	v_pk_mul_f32 v[38:39], v[34:35], v[36:37] op_sel:[1,1] op_sel_hi:[1,0]
	s_delay_alu instid0(VALU_DEP_1) | instskip(SKIP_1) | instid1(VALU_DEP_2)
	v_pk_fma_f32 v[94:95], v[34:35], v[36:37], v[38:39] op_sel_hi:[0,1,1]
	v_pk_fma_f32 v[36:37], v[34:35], v[36:37], v[38:39] neg_lo:[0,0,1] neg_hi:[0,0,1]
	v_mov_b32_e32 v37, v95
	s_delay_alu instid0(VALU_DEP_1)
	v_mov_b64_e32 v[34:35], v[36:37]
	ds_store_b64 v47, v[36:37]
.LBB59_879:                             ;   in Loop: Header=BB59_3 Depth=1
	s_or_b32 exec_lo, exec_lo, s57
	s_wait_dscnt 0x0
	s_barrier_signal -1
	s_barrier_wait -1
	s_barrier_signal -1
	s_barrier_wait -1
	s_and_saveexec_b32 s57, s2
; %bb.880:                              ;   in Loop: Header=BB59_3 Depth=1
	v_pk_add_f32 v[34:35], v[34:35], 0 neg_lo:[1,1] neg_hi:[1,1]
	ds_store_b64 v48, v[34:35] offset:24992
; %bb.881:                              ;   in Loop: Header=BB59_3 Depth=1
	s_or_b32 exec_lo, exec_lo, s57
	s_wait_dscnt 0x0
	s_barrier_signal -1
	s_barrier_wait -1
	s_barrier_signal -1
	s_barrier_wait -1
	s_and_saveexec_b32 s57, vcc_hi
	s_cbranch_execz .LBB59_883
; %bb.882:                              ;   in Loop: Header=BB59_3 Depth=1
	ds_load_b64 v[34:35], v52 offset:24992
	s_wait_dscnt 0x0
	ds_store_b64 v53, v[34:35] offset:27008
	ds_load_b64 v[34:35], v52 offset:25000
	s_wait_dscnt 0x0
	ds_store_b64 v53, v[34:35] offset:27520
	;; [unrolled: 3-line block ×4, first 2 shown]
.LBB59_883:                             ;   in Loop: Header=BB59_3 Depth=1
	s_or_b32 exec_lo, exec_lo, s57
	s_wait_dscnt 0x0
	s_barrier_signal -1
	s_barrier_wait -1
	s_and_saveexec_b32 s57, s14
	s_cbranch_execz .LBB59_885
; %bb.884:                              ;   in Loop: Header=BB59_3 Depth=1
	ds_load_b128 v[34:37], v5 offset:27040
	ds_load_b64 v[38:39], v5 offset:27560
	s_wait_dscnt 0x1
	v_dual_mov_b32 v96, v37 :: v_dual_mov_b32 v97, v36
	s_wait_dscnt 0x0
	v_dual_mul_f32 v95, v39, v35 :: v_dual_mul_f32 v94, v38, v35
	s_delay_alu instid0(VALU_DEP_1) | instskip(NEXT) | instid1(VALU_DEP_2)
	v_xor_b32_e32 v98, 0x80000000, v95
	v_fmac_f32_e32 v94, v39, v34
	s_delay_alu instid0(VALU_DEP_2) | instskip(NEXT) | instid1(VALU_DEP_2)
	v_fmac_f32_e32 v98, v38, v34
	v_pk_mul_f32 v[34:35], v[94:95], v[96:97] op_sel_hi:[0,1]
	s_delay_alu instid0(VALU_DEP_1) | instskip(SKIP_2) | instid1(VALU_DEP_3)
	v_pk_fma_f32 v[38:39], v[98:99], v[36:37], v[34:35] op_sel_hi:[0,1,1]
	v_pk_fma_f32 v[34:35], v[98:99], v[36:37], v[34:35] neg_lo:[0,0,1] neg_hi:[0,0,1]
	v_add_nc_u32_e64 v36, 0x6800, 0
	v_mov_b32_e32 v35, v39
	ds_store_2addr_b64 v36, v[34:35], v[34:35] offset0:53 offset1:116
.LBB59_885:                             ;   in Loop: Header=BB59_3 Depth=1
	s_or_b32 exec_lo, exec_lo, s57
	v_mov_b32_e32 v35, 0
	s_wait_dscnt 0x0
	s_barrier_signal -1
	s_barrier_wait -1
	s_delay_alu instid0(VALU_DEP_1)
	v_mov_b32_e32 v34, v35
	s_and_saveexec_b32 s57, s0
	s_cbranch_execz .LBB59_889
; %bb.886:                              ;   in Loop: Header=BB59_3 Depth=1
	ds_load_b64 v[34:35], v41 offset:27056
	ds_load_b64 v[36:37], v42 offset:27040
	s_wait_dscnt 0x0
	v_dual_mul_f32 v38, v37, v35 :: v_dual_mul_f32 v39, v36, v35
	s_delay_alu instid0(VALU_DEP_1) | instskip(NEXT) | instid1(VALU_DEP_1)
	v_dual_fma_f32 v38, v36, v34, -v38 :: v_dual_fmac_f32 v39, v37, v34
	v_pk_add_f32 v[34:35], v[38:39], 0 op_sel_hi:[1,0]
	s_and_saveexec_b32 s58, s15
	s_cbranch_execz .LBB59_888
; %bb.887:                              ;   in Loop: Header=BB59_3 Depth=1
	ds_load_b64 v[36:37], v53 offset:27568
	ds_load_b64 v[38:39], v5 offset:27048
	s_wait_dscnt 0x0
	v_pk_mul_f32 v[94:95], v[38:39], v[36:37] op_sel:[1,1] op_sel_hi:[0,1]
	s_delay_alu instid0(VALU_DEP_1) | instskip(SKIP_1) | instid1(VALU_DEP_2)
	v_pk_fma_f32 v[96:97], v[38:39], v[36:37], v[94:95] op_sel_hi:[1,0,1]
	v_pk_fma_f32 v[36:37], v[38:39], v[36:37], v[94:95] neg_lo:[0,0,1] neg_hi:[0,0,1]
	v_mov_b32_e32 v37, v97
	s_delay_alu instid0(VALU_DEP_1)
	v_pk_add_f32 v[34:35], v[34:35], v[36:37]
.LBB59_888:                             ;   in Loop: Header=BB59_3 Depth=1
	s_or_b32 exec_lo, exec_lo, s58
	s_delay_alu instid0(VALU_DEP_1)
	v_pk_add_f32 v[34:35], v[34:35], 0 neg_lo:[1,1] neg_hi:[1,1]
.LBB59_889:                             ;   in Loop: Header=BB59_3 Depth=1
	s_or_b32 exec_lo, exec_lo, s57
	s_and_saveexec_b32 s57, s96
	s_cbranch_execz .LBB59_891
; %bb.890:                              ;   in Loop: Header=BB59_3 Depth=1
	ds_load_b64 v[36:37], v5 offset:28080
	s_wait_dscnt 0x0
	v_pk_mul_f32 v[38:39], v[34:35], v[36:37] op_sel:[1,1] op_sel_hi:[1,0]
	s_delay_alu instid0(VALU_DEP_1) | instskip(SKIP_1) | instid1(VALU_DEP_2)
	v_pk_fma_f32 v[94:95], v[34:35], v[36:37], v[38:39] op_sel_hi:[0,1,1]
	v_pk_fma_f32 v[36:37], v[34:35], v[36:37], v[38:39] neg_lo:[0,0,1] neg_hi:[0,0,1]
	v_mov_b32_e32 v37, v95
	s_delay_alu instid0(VALU_DEP_1)
	v_mov_b64_e32 v[34:35], v[36:37]
	ds_store_b64 v3, v[36:37]
.LBB59_891:                             ;   in Loop: Header=BB59_3 Depth=1
	s_or_b32 exec_lo, exec_lo, s57
	s_wait_dscnt 0x0
	s_barrier_signal -1
	s_barrier_wait -1
	s_and_saveexec_b32 s57, s97
	s_cbranch_execz .LBB59_893
; %bb.892:                              ;   in Loop: Header=BB59_3 Depth=1
	ds_load_b64 v[36:37], v5 offset:28088
	ds_load_b64 v[38:39], v3
	s_wait_dscnt 0x0
	v_pk_mul_f32 v[94:95], v[38:39], v[36:37] op_sel:[1,1] op_sel_hi:[0,1]
	s_delay_alu instid0(VALU_DEP_1) | instskip(SKIP_1) | instid1(VALU_DEP_2)
	v_pk_fma_f32 v[96:97], v[38:39], v[36:37], v[94:95] op_sel_hi:[1,0,1]
	v_pk_fma_f32 v[36:37], v[38:39], v[36:37], v[94:95] neg_lo:[0,0,1] neg_hi:[0,0,1]
	v_mov_b32_e32 v37, v97
	s_delay_alu instid0(VALU_DEP_1)
	v_pk_add_f32 v[34:35], v[34:35], v[36:37]
.LBB59_893:                             ;   in Loop: Header=BB59_3 Depth=1
	s_or_b32 exec_lo, exec_lo, s57
	s_barrier_signal -1
	s_barrier_wait -1
	s_and_saveexec_b32 s57, s97
	s_cbranch_execz .LBB59_895
; %bb.894:                              ;   in Loop: Header=BB59_3 Depth=1
	ds_load_b64 v[36:37], v5 offset:28600
	s_wait_dscnt 0x0
	v_pk_mul_f32 v[38:39], v[34:35], v[36:37] op_sel:[1,1] op_sel_hi:[1,0]
	s_delay_alu instid0(VALU_DEP_1) | instskip(SKIP_1) | instid1(VALU_DEP_2)
	v_pk_fma_f32 v[94:95], v[34:35], v[36:37], v[38:39] op_sel_hi:[0,1,1]
	v_pk_fma_f32 v[36:37], v[34:35], v[36:37], v[38:39] neg_lo:[0,0,1] neg_hi:[0,0,1]
	v_mov_b32_e32 v37, v95
	s_delay_alu instid0(VALU_DEP_1)
	v_mov_b64_e32 v[34:35], v[36:37]
	ds_store_b64 v3, v[36:37]
.LBB59_895:                             ;   in Loop: Header=BB59_3 Depth=1
	s_or_b32 exec_lo, exec_lo, s57
	s_wait_dscnt 0x0
	s_barrier_signal -1
	s_barrier_wait -1
	s_barrier_signal -1
	s_barrier_wait -1
	s_and_saveexec_b32 s57, s0
; %bb.896:                              ;   in Loop: Header=BB59_3 Depth=1
	v_pk_add_f32 v[34:35], v[34:35], 0 neg_lo:[1,1] neg_hi:[1,1]
	ds_store_b64 v41, v[34:35] offset:27056
; %bb.897:                              ;   in Loop: Header=BB59_3 Depth=1
	s_or_b32 exec_lo, exec_lo, s57
	s_wait_dscnt 0x0
	s_barrier_signal -1
	s_barrier_wait -1
	s_barrier_signal -1
	s_barrier_wait -1
	s_and_saveexec_b32 s57, s98
	s_cbranch_execz .LBB59_899
; %bb.898:                              ;   in Loop: Header=BB59_3 Depth=1
	ds_load_b64 v[34:35], v55 offset:27056
	s_wait_dscnt 0x0
	ds_store_b64 v53, v[34:35] offset:28064
	ds_load_b64 v[34:35], v55 offset:27064
	s_wait_dscnt 0x0
	ds_store_b64 v53, v[34:35] offset:28576
.LBB59_899:                             ;   in Loop: Header=BB59_3 Depth=1
	s_or_b32 exec_lo, exec_lo, s57
	s_wait_dscnt 0x0
	s_barrier_signal -1
	s_barrier_wait -1
	s_and_saveexec_b32 s57, s14
	s_cbranch_execz .LBB59_901
; %bb.900:                              ;   in Loop: Header=BB59_3 Depth=1
	ds_load_b128 v[34:37], v5 offset:28080
	ds_load_b64 v[38:39], v5 offset:28600
	s_wait_dscnt 0x1
	v_dual_mov_b32 v96, v37 :: v_dual_mov_b32 v97, v36
	s_wait_dscnt 0x0
	v_dual_mul_f32 v95, v39, v35 :: v_dual_mul_f32 v94, v38, v35
	s_delay_alu instid0(VALU_DEP_1) | instskip(NEXT) | instid1(VALU_DEP_2)
	v_xor_b32_e32 v98, 0x80000000, v95
	v_fmac_f32_e32 v94, v39, v34
	s_delay_alu instid0(VALU_DEP_2) | instskip(NEXT) | instid1(VALU_DEP_2)
	v_fmac_f32_e32 v98, v38, v34
	v_pk_mul_f32 v[34:35], v[94:95], v[96:97] op_sel_hi:[0,1]
	s_delay_alu instid0(VALU_DEP_1) | instskip(SKIP_2) | instid1(VALU_DEP_3)
	v_pk_fma_f32 v[38:39], v[98:99], v[36:37], v[34:35] op_sel_hi:[0,1,1]
	v_pk_fma_f32 v[34:35], v[98:99], v[36:37], v[34:35] neg_lo:[0,0,1] neg_hi:[0,0,1]
	v_add_nc_u32_e64 v36, 0x6800, 0
	v_mov_b32_e32 v35, v39
	ds_store_2addr_b64 v36, v[34:35], v[34:35] offset0:183 offset1:246
.LBB59_901:                             ;   in Loop: Header=BB59_3 Depth=1
	s_or_b32 exec_lo, exec_lo, s57
	v_mov_b32_e32 v34, 0
	s_wait_dscnt 0x0
	s_barrier_signal -1
	s_barrier_wait -1
	s_delay_alu instid0(VALU_DEP_1)
	v_mov_b32_e32 v35, v34
	s_and_saveexec_b32 s66, s3
	s_cbranch_execz .LBB59_911
; %bb.902:                              ;   in Loop: Header=BB59_3 Depth=1
	ds_load_b64 v[34:35], v58 offset:25024
	ds_load_b64 v[36:37], v54 offset:24960
	s_wait_dscnt 0x0
	v_dual_mul_f32 v38, v37, v35 :: v_dual_mul_f32 v39, v36, v35
	s_delay_alu instid0(VALU_DEP_1) | instskip(NEXT) | instid1(VALU_DEP_1)
	v_dual_fma_f32 v35, v36, v34, -v38 :: v_dual_fmac_f32 v39, v37, v34
	v_add_f32_e32 v35, 0, v35
	s_delay_alu instid0(VALU_DEP_2)
	v_add_f32_e32 v34, 0, v39
	s_and_saveexec_b32 s57, s18
	s_cbranch_execnz .LBB59_1152
; %bb.903:                              ;   in Loop: Header=BB59_3 Depth=1
	s_or_b32 exec_lo, exec_lo, s57
	s_and_saveexec_b32 s57, s19
	s_cbranch_execnz .LBB59_1153
.LBB59_904:                             ;   in Loop: Header=BB59_3 Depth=1
	s_or_b32 exec_lo, exec_lo, s57
	s_and_saveexec_b32 s57, s20
	s_cbranch_execnz .LBB59_1154
.LBB59_905:                             ;   in Loop: Header=BB59_3 Depth=1
	s_or_b32 exec_lo, exec_lo, s57
	s_and_saveexec_b32 s57, s21
	s_cbranch_execnz .LBB59_1155
.LBB59_906:                             ;   in Loop: Header=BB59_3 Depth=1
	s_or_b32 exec_lo, exec_lo, s57
	s_and_saveexec_b32 s57, s22
	s_cbranch_execnz .LBB59_1156
.LBB59_907:                             ;   in Loop: Header=BB59_3 Depth=1
	s_or_b32 exec_lo, exec_lo, s57
	s_and_saveexec_b32 s57, s2
	s_cbranch_execnz .LBB59_1157
.LBB59_908:                             ;   in Loop: Header=BB59_3 Depth=1
	s_or_b32 exec_lo, exec_lo, s57
	s_and_saveexec_b32 s57, s17
	s_cbranch_execz .LBB59_910
.LBB59_909:                             ;   in Loop: Header=BB59_3 Depth=1
	ds_load_b64 v[36:37], v68 offset:28608
	ds_load_b64 v[38:39], v5 offset:25016
	s_wait_dscnt 0x0
	v_pk_mul_f32 v[94:95], v[38:39], v[36:37] op_sel:[0,1]
	s_delay_alu instid0(VALU_DEP_1) | instskip(SKIP_1) | instid1(VALU_DEP_2)
	v_pk_fma_f32 v[96:97], v[38:39], v[36:37], v[94:95] op_sel:[1,0,0] op_sel_hi:[0,0,1] neg_lo:[0,0,1] neg_hi:[0,0,1]
	v_pk_fma_f32 v[36:37], v[38:39], v[36:37], v[94:95] op_sel:[1,0,0] op_sel_hi:[0,1,1]
	v_mov_b32_e32 v37, v97
	s_delay_alu instid0(VALU_DEP_1)
	v_pk_add_f32 v[34:35], v[34:35], v[36:37]
.LBB59_910:                             ;   in Loop: Header=BB59_3 Depth=1
	s_or_b32 exec_lo, exec_lo, s57
	s_delay_alu instid0(VALU_DEP_1) | instskip(NEXT) | instid1(VALU_DEP_1)
	v_pk_add_f32 v[36:37], v[34:35], 0 neg_lo:[1,1] neg_hi:[1,1]
	v_dual_mov_b32 v34, v37 :: v_dual_mov_b32 v35, v36
.LBB59_911:                             ;   in Loop: Header=BB59_3 Depth=1
	s_or_b32 exec_lo, exec_lo, s66
	s_and_saveexec_b32 s57, s39
	s_cbranch_execz .LBB59_913
; %bb.912:                              ;   in Loop: Header=BB59_3 Depth=1
	ds_load_b64 v[36:37], v5 offset:29120
	v_dual_mov_b32 v38, v35 :: v_dual_mov_b32 v39, v34
	s_wait_dscnt 0x0
	s_delay_alu instid0(VALU_DEP_1) | instskip(NEXT) | instid1(VALU_DEP_1)
	v_dual_mul_f32 v94, v38, v36 :: v_dual_mul_f32 v96, v35, v37
	v_pk_fma_f32 v[38:39], v[38:39], v[36:37], v[94:95] op_sel_hi:[1,1,0]
	s_delay_alu instid0(VALU_DEP_2) | instskip(NEXT) | instid1(VALU_DEP_2)
	v_pk_fma_f32 v[34:35], v[34:35], v[36:37], v[96:97] op_sel_hi:[1,1,0] neg_lo:[0,0,1] neg_hi:[0,0,1]
	v_mov_b32_e32 v35, v39
	ds_store_b64 v57, v[34:35]
.LBB59_913:                             ;   in Loop: Header=BB59_3 Depth=1
	s_or_b32 exec_lo, exec_lo, s57
	s_wait_dscnt 0x0
	s_barrier_signal -1
	s_barrier_wait -1
	s_and_saveexec_b32 s57, s40
	s_cbranch_execz .LBB59_915
; %bb.914:                              ;   in Loop: Header=BB59_3 Depth=1
	ds_load_b64 v[36:37], v56 offset:29120
	ds_load_b64 v[38:39], v57
	s_wait_dscnt 0x0
	v_dual_mul_f32 v94, v39, v37 :: v_dual_mul_f32 v95, v38, v37
	s_delay_alu instid0(VALU_DEP_1) | instskip(NEXT) | instid1(VALU_DEP_1)
	v_dual_fma_f32 v94, v38, v36, -v94 :: v_dual_fmac_f32 v95, v39, v36
	v_pk_add_f32 v[34:35], v[34:35], v[94:95]
.LBB59_915:                             ;   in Loop: Header=BB59_3 Depth=1
	s_or_b32 exec_lo, exec_lo, s57
	s_barrier_signal -1
	s_barrier_wait -1
	s_and_saveexec_b32 s57, s41
	s_cbranch_execz .LBB59_917
; %bb.916:                              ;   in Loop: Header=BB59_3 Depth=1
	ds_load_b64 v[36:37], v5 offset:29640
	s_wait_dscnt 0x0
	v_pk_mul_f32 v[38:39], v[34:35], v[36:37] op_sel:[1,1] op_sel_hi:[1,0]
	s_delay_alu instid0(VALU_DEP_1) | instskip(SKIP_1) | instid1(VALU_DEP_2)
	v_pk_fma_f32 v[94:95], v[34:35], v[36:37], v[38:39] op_sel_hi:[0,1,1]
	v_pk_fma_f32 v[34:35], v[34:35], v[36:37], v[38:39] op_sel_hi:[0,1,1] neg_lo:[0,0,1] neg_hi:[0,0,1]
	v_mov_b32_e32 v35, v95
	ds_store_b64 v57, v[34:35]
.LBB59_917:                             ;   in Loop: Header=BB59_3 Depth=1
	s_or_b32 exec_lo, exec_lo, s57
	s_wait_dscnt 0x0
	s_barrier_signal -1
	s_barrier_wait -1
	s_and_saveexec_b32 s57, s42
	s_cbranch_execz .LBB59_919
; %bb.918:                              ;   in Loop: Header=BB59_3 Depth=1
	ds_load_b64 v[36:37], v56 offset:29632
	ds_load_b64 v[38:39], v57
	s_wait_dscnt 0x0
	v_pk_mul_f32 v[94:95], v[38:39], v[36:37] op_sel:[1,1] op_sel_hi:[0,1]
	s_delay_alu instid0(VALU_DEP_1) | instskip(SKIP_1) | instid1(VALU_DEP_2)
	v_pk_fma_f32 v[96:97], v[38:39], v[36:37], v[94:95] op_sel_hi:[1,0,1]
	v_pk_fma_f32 v[36:37], v[38:39], v[36:37], v[94:95] op_sel_hi:[1,0,1] neg_lo:[0,0,1] neg_hi:[0,0,1]
	v_mov_b32_e32 v37, v97
	s_delay_alu instid0(VALU_DEP_1)
	v_pk_add_f32 v[34:35], v[34:35], v[36:37]
.LBB59_919:                             ;   in Loop: Header=BB59_3 Depth=1
	s_or_b32 exec_lo, exec_lo, s57
	s_barrier_signal -1
	s_barrier_wait -1
	s_and_saveexec_b32 s57, s43
	s_cbranch_execz .LBB59_921
; %bb.920:                              ;   in Loop: Header=BB59_3 Depth=1
	ds_load_b64 v[36:37], v5 offset:30160
	s_wait_dscnt 0x0
	v_pk_mul_f32 v[38:39], v[34:35], v[36:37] op_sel:[1,1] op_sel_hi:[1,0]
	s_delay_alu instid0(VALU_DEP_1) | instskip(SKIP_1) | instid1(VALU_DEP_2)
	v_pk_fma_f32 v[94:95], v[34:35], v[36:37], v[38:39] op_sel_hi:[0,1,1]
	v_pk_fma_f32 v[34:35], v[34:35], v[36:37], v[38:39] op_sel_hi:[0,1,1] neg_lo:[0,0,1] neg_hi:[0,0,1]
	v_mov_b32_e32 v35, v95
	ds_store_b64 v57, v[34:35]
.LBB59_921:                             ;   in Loop: Header=BB59_3 Depth=1
	s_or_b32 exec_lo, exec_lo, s57
	s_wait_dscnt 0x0
	s_barrier_signal -1
	s_barrier_wait -1
	s_and_saveexec_b32 s57, s44
	s_cbranch_execz .LBB59_923
; %bb.922:                              ;   in Loop: Header=BB59_3 Depth=1
	ds_load_b64 v[36:37], v56 offset:30144
	ds_load_b64 v[38:39], v57
	s_wait_dscnt 0x0
	v_pk_mul_f32 v[94:95], v[38:39], v[36:37] op_sel:[1,1] op_sel_hi:[0,1]
	s_delay_alu instid0(VALU_DEP_1) | instskip(SKIP_1) | instid1(VALU_DEP_2)
	v_pk_fma_f32 v[96:97], v[38:39], v[36:37], v[94:95] op_sel_hi:[1,0,1]
	v_pk_fma_f32 v[36:37], v[38:39], v[36:37], v[94:95] op_sel_hi:[1,0,1] neg_lo:[0,0,1] neg_hi:[0,0,1]
	v_mov_b32_e32 v37, v97
	s_delay_alu instid0(VALU_DEP_1)
	v_pk_add_f32 v[34:35], v[34:35], v[36:37]
.LBB59_923:                             ;   in Loop: Header=BB59_3 Depth=1
	s_or_b32 exec_lo, exec_lo, s57
	s_barrier_signal -1
	s_barrier_wait -1
	s_and_saveexec_b32 s57, s45
	s_cbranch_execz .LBB59_925
; %bb.924:                              ;   in Loop: Header=BB59_3 Depth=1
	ds_load_b64 v[36:37], v5 offset:30680
	s_wait_dscnt 0x0
	v_pk_mul_f32 v[38:39], v[34:35], v[36:37] op_sel:[1,1] op_sel_hi:[1,0]
	s_delay_alu instid0(VALU_DEP_1) | instskip(SKIP_1) | instid1(VALU_DEP_2)
	v_pk_fma_f32 v[94:95], v[34:35], v[36:37], v[38:39] op_sel_hi:[0,1,1]
	v_pk_fma_f32 v[34:35], v[34:35], v[36:37], v[38:39] op_sel_hi:[0,1,1] neg_lo:[0,0,1] neg_hi:[0,0,1]
	v_mov_b32_e32 v35, v95
	ds_store_b64 v57, v[34:35]
.LBB59_925:                             ;   in Loop: Header=BB59_3 Depth=1
	s_or_b32 exec_lo, exec_lo, s57
	s_wait_dscnt 0x0
	s_barrier_signal -1
	s_barrier_wait -1
	s_and_saveexec_b32 s57, s46
	s_cbranch_execz .LBB59_927
; %bb.926:                              ;   in Loop: Header=BB59_3 Depth=1
	ds_load_b64 v[36:37], v56 offset:30656
	ds_load_b64 v[38:39], v57
	s_wait_dscnt 0x0
	v_pk_mul_f32 v[94:95], v[38:39], v[36:37] op_sel:[1,1] op_sel_hi:[0,1]
	s_delay_alu instid0(VALU_DEP_1) | instskip(SKIP_1) | instid1(VALU_DEP_2)
	v_pk_fma_f32 v[96:97], v[38:39], v[36:37], v[94:95] op_sel_hi:[1,0,1]
	v_pk_fma_f32 v[36:37], v[38:39], v[36:37], v[94:95] op_sel_hi:[1,0,1] neg_lo:[0,0,1] neg_hi:[0,0,1]
	v_mov_b32_e32 v37, v97
	s_delay_alu instid0(VALU_DEP_1)
	v_pk_add_f32 v[34:35], v[34:35], v[36:37]
.LBB59_927:                             ;   in Loop: Header=BB59_3 Depth=1
	s_or_b32 exec_lo, exec_lo, s57
	s_barrier_signal -1
	s_barrier_wait -1
	s_and_saveexec_b32 s57, s47
	s_cbranch_execz .LBB59_929
; %bb.928:                              ;   in Loop: Header=BB59_3 Depth=1
	ds_load_b64 v[36:37], v5 offset:31200
	s_wait_dscnt 0x0
	v_dual_mul_f32 v38, v34, v37 :: v_dual_mul_f32 v94, v35, v37
	s_delay_alu instid0(VALU_DEP_1) | instskip(NEXT) | instid1(VALU_DEP_2)
	v_pk_fma_f32 v[38:39], v[34:35], v[36:37], v[38:39] op_sel:[0,1,0] op_sel_hi:[1,0,0]
	v_pk_fma_f32 v[36:37], v[34:35], v[36:37], v[94:95] op_sel_hi:[1,1,0] neg_lo:[0,0,1] neg_hi:[0,0,1]
	s_delay_alu instid0(VALU_DEP_2) | instskip(NEXT) | instid1(VALU_DEP_1)
	v_mov_b32_e32 v37, v39
	v_mov_b64_e32 v[34:35], v[36:37]
	ds_store_b64 v57, v[36:37]
.LBB59_929:                             ;   in Loop: Header=BB59_3 Depth=1
	s_or_b32 exec_lo, exec_lo, s57
	s_wait_dscnt 0x0
	s_barrier_signal -1
	s_barrier_wait -1
	s_and_saveexec_b32 s57, s48
	s_cbranch_execz .LBB59_931
; %bb.930:                              ;   in Loop: Header=BB59_3 Depth=1
	ds_load_b64 v[36:37], v56 offset:31168
	ds_load_b64 v[38:39], v57
	s_wait_dscnt 0x0
	v_dual_mul_f32 v94, v39, v37 :: v_dual_mul_f32 v95, v38, v37
	s_delay_alu instid0(VALU_DEP_1) | instskip(NEXT) | instid1(VALU_DEP_1)
	v_dual_fma_f32 v94, v38, v36, -v94 :: v_dual_fmac_f32 v95, v39, v36
	v_pk_add_f32 v[34:35], v[34:35], v[94:95]
.LBB59_931:                             ;   in Loop: Header=BB59_3 Depth=1
	s_or_b32 exec_lo, exec_lo, s57
	s_barrier_signal -1
	s_barrier_wait -1
	s_and_saveexec_b32 s57, s49
	s_cbranch_execz .LBB59_933
; %bb.932:                              ;   in Loop: Header=BB59_3 Depth=1
	ds_load_b64 v[36:37], v5 offset:31720
	s_wait_dscnt 0x0
	v_pk_mul_f32 v[38:39], v[34:35], v[36:37] op_sel:[1,1] op_sel_hi:[1,0]
	s_delay_alu instid0(VALU_DEP_1) | instskip(SKIP_1) | instid1(VALU_DEP_2)
	v_pk_fma_f32 v[94:95], v[34:35], v[36:37], v[38:39] op_sel_hi:[0,1,1]
	v_pk_fma_f32 v[36:37], v[34:35], v[36:37], v[38:39] neg_lo:[0,0,1] neg_hi:[0,0,1]
	v_mov_b32_e32 v37, v95
	s_delay_alu instid0(VALU_DEP_1)
	v_mov_b64_e32 v[34:35], v[36:37]
	ds_store_b64 v57, v[36:37]
.LBB59_933:                             ;   in Loop: Header=BB59_3 Depth=1
	s_or_b32 exec_lo, exec_lo, s57
	s_wait_dscnt 0x0
	s_barrier_signal -1
	s_barrier_wait -1
	s_and_saveexec_b32 s57, s50
	s_cbranch_execz .LBB59_935
; %bb.934:                              ;   in Loop: Header=BB59_3 Depth=1
	ds_load_b64 v[36:37], v56 offset:31680
	ds_load_b64 v[38:39], v57
	s_wait_dscnt 0x0
	v_pk_mul_f32 v[94:95], v[38:39], v[36:37] op_sel:[1,1] op_sel_hi:[0,1]
	s_delay_alu instid0(VALU_DEP_1) | instskip(SKIP_1) | instid1(VALU_DEP_2)
	v_pk_fma_f32 v[96:97], v[38:39], v[36:37], v[94:95] op_sel_hi:[1,0,1]
	v_pk_fma_f32 v[36:37], v[38:39], v[36:37], v[94:95] neg_lo:[0,0,1] neg_hi:[0,0,1]
	v_mov_b32_e32 v37, v97
	s_delay_alu instid0(VALU_DEP_1)
	v_pk_add_f32 v[34:35], v[34:35], v[36:37]
.LBB59_935:                             ;   in Loop: Header=BB59_3 Depth=1
	s_or_b32 exec_lo, exec_lo, s57
	s_barrier_signal -1
	s_barrier_wait -1
	s_and_saveexec_b32 s57, s51
	s_cbranch_execz .LBB59_937
; %bb.936:                              ;   in Loop: Header=BB59_3 Depth=1
	ds_load_b64 v[36:37], v5 offset:32240
	s_wait_dscnt 0x0
	v_pk_mul_f32 v[38:39], v[34:35], v[36:37] op_sel:[1,1] op_sel_hi:[1,0]
	s_delay_alu instid0(VALU_DEP_1) | instskip(SKIP_1) | instid1(VALU_DEP_2)
	v_pk_fma_f32 v[94:95], v[34:35], v[36:37], v[38:39] op_sel_hi:[0,1,1]
	v_pk_fma_f32 v[36:37], v[34:35], v[36:37], v[38:39] neg_lo:[0,0,1] neg_hi:[0,0,1]
	v_mov_b32_e32 v37, v95
	s_delay_alu instid0(VALU_DEP_1)
	v_mov_b64_e32 v[34:35], v[36:37]
	ds_store_b64 v57, v[36:37]
.LBB59_937:                             ;   in Loop: Header=BB59_3 Depth=1
	s_or_b32 exec_lo, exec_lo, s57
	s_wait_dscnt 0x0
	s_barrier_signal -1
	s_barrier_wait -1
	s_and_saveexec_b32 s57, s52
	s_cbranch_execz .LBB59_939
; %bb.938:                              ;   in Loop: Header=BB59_3 Depth=1
	ds_load_b64 v[36:37], v5 offset:32248
	ds_load_b64 v[38:39], v57
	s_wait_dscnt 0x0
	v_pk_mul_f32 v[94:95], v[38:39], v[36:37] op_sel:[1,1] op_sel_hi:[0,1]
	s_delay_alu instid0(VALU_DEP_1) | instskip(SKIP_1) | instid1(VALU_DEP_2)
	v_pk_fma_f32 v[96:97], v[38:39], v[36:37], v[94:95] op_sel_hi:[1,0,1]
	v_pk_fma_f32 v[36:37], v[38:39], v[36:37], v[94:95] neg_lo:[0,0,1] neg_hi:[0,0,1]
	v_mov_b32_e32 v37, v97
	s_delay_alu instid0(VALU_DEP_1)
	v_pk_add_f32 v[34:35], v[34:35], v[36:37]
.LBB59_939:                             ;   in Loop: Header=BB59_3 Depth=1
	s_or_b32 exec_lo, exec_lo, s57
	s_barrier_signal -1
	s_barrier_wait -1
	s_and_saveexec_b32 s57, s52
	s_cbranch_execz .LBB59_941
; %bb.940:                              ;   in Loop: Header=BB59_3 Depth=1
	ds_load_b64 v[36:37], v5 offset:32760
	s_wait_dscnt 0x0
	v_pk_mul_f32 v[38:39], v[34:35], v[36:37] op_sel:[1,1] op_sel_hi:[1,0]
	s_delay_alu instid0(VALU_DEP_1) | instskip(SKIP_1) | instid1(VALU_DEP_2)
	v_pk_fma_f32 v[94:95], v[34:35], v[36:37], v[38:39] op_sel_hi:[0,1,1]
	v_pk_fma_f32 v[36:37], v[34:35], v[36:37], v[38:39] neg_lo:[0,0,1] neg_hi:[0,0,1]
	v_mov_b32_e32 v37, v95
	s_delay_alu instid0(VALU_DEP_1)
	v_mov_b64_e32 v[34:35], v[36:37]
	ds_store_b64 v57, v[36:37]
.LBB59_941:                             ;   in Loop: Header=BB59_3 Depth=1
	s_or_b32 exec_lo, exec_lo, s57
	s_wait_dscnt 0x0
	s_barrier_signal -1
	s_barrier_wait -1
	s_barrier_signal -1
	s_barrier_wait -1
	s_and_saveexec_b32 s57, s3
; %bb.942:                              ;   in Loop: Header=BB59_3 Depth=1
	v_pk_add_f32 v[34:35], v[34:35], 0 neg_lo:[1,1] neg_hi:[1,1]
	ds_store_b64 v58, v[34:35] offset:25024
; %bb.943:                              ;   in Loop: Header=BB59_3 Depth=1
	s_or_b32 exec_lo, exec_lo, s57
	s_wait_dscnt 0x0
	s_barrier_signal -1
	s_barrier_wait -1
	s_barrier_signal -1
	s_barrier_wait -1
	s_and_saveexec_b32 s57, s53
	s_cbranch_execz .LBB59_945
; %bb.944:                              ;   in Loop: Header=BB59_3 Depth=1
	ds_load_b64 v[34:35], v69 offset:25024
	s_wait_dscnt 0x0
	ds_store_b64 v70, v[34:35] offset:29056
	ds_load_b64 v[34:35], v69 offset:25032
	s_wait_dscnt 0x0
	ds_store_b64 v70, v[34:35] offset:29568
	;; [unrolled: 3-line block ×8, first 2 shown]
.LBB59_945:                             ;   in Loop: Header=BB59_3 Depth=1
	s_or_b32 exec_lo, exec_lo, s57
	s_wait_dscnt 0x0
	s_barrier_signal -1
	s_barrier_wait -1
	s_and_saveexec_b32 s57, s14
	s_cbranch_execz .LBB59_947
; %bb.946:                              ;   in Loop: Header=BB59_3 Depth=1
	ds_load_b128 v[34:37], v5 offset:29120
	ds_load_b64 v[38:39], v5 offset:29640
	s_wait_dscnt 0x1
	v_dual_mov_b32 v96, v37 :: v_dual_mov_b32 v97, v36
	s_wait_dscnt 0x0
	v_dual_mul_f32 v95, v39, v35 :: v_dual_mul_f32 v94, v38, v35
	s_delay_alu instid0(VALU_DEP_1) | instskip(NEXT) | instid1(VALU_DEP_2)
	v_xor_b32_e32 v98, 0x80000000, v95
	v_fmac_f32_e32 v94, v39, v34
	s_delay_alu instid0(VALU_DEP_2) | instskip(NEXT) | instid1(VALU_DEP_2)
	v_fmac_f32_e32 v98, v38, v34
	v_pk_mul_f32 v[34:35], v[94:95], v[96:97] op_sel_hi:[0,1]
	s_delay_alu instid0(VALU_DEP_1) | instskip(SKIP_2) | instid1(VALU_DEP_3)
	v_pk_fma_f32 v[38:39], v[98:99], v[36:37], v[34:35] op_sel_hi:[0,1,1]
	v_pk_fma_f32 v[34:35], v[98:99], v[36:37], v[34:35] neg_lo:[0,0,1] neg_hi:[0,0,1]
	v_add_nc_u32_e64 v36, 0x7000, 0
	v_mov_b32_e32 v35, v39
	ds_store_2addr_b64 v36, v[34:35], v[34:35] offset0:57 offset1:120
.LBB59_947:                             ;   in Loop: Header=BB59_3 Depth=1
	s_or_b32 exec_lo, exec_lo, s57
	v_mov_b32_e32 v35, 0
	s_wait_dscnt 0x0
	s_barrier_signal -1
	s_barrier_wait -1
	s_delay_alu instid0(VALU_DEP_1)
	v_mov_b32_e32 v34, v35
	s_and_saveexec_b32 s57, s0
	s_cbranch_execz .LBB59_951
; %bb.948:                              ;   in Loop: Header=BB59_3 Depth=1
	ds_load_b64 v[34:35], v41 offset:29136
	ds_load_b64 v[36:37], v42 offset:29120
	s_wait_dscnt 0x0
	v_dual_mul_f32 v38, v37, v35 :: v_dual_mul_f32 v39, v36, v35
	s_delay_alu instid0(VALU_DEP_1) | instskip(NEXT) | instid1(VALU_DEP_1)
	v_dual_fma_f32 v38, v36, v34, -v38 :: v_dual_fmac_f32 v39, v37, v34
	v_pk_add_f32 v[34:35], v[38:39], 0 op_sel_hi:[1,0]
	s_and_saveexec_b32 s58, s15
	s_cbranch_execz .LBB59_950
; %bb.949:                              ;   in Loop: Header=BB59_3 Depth=1
	ds_load_b64 v[36:37], v70 offset:29648
	ds_load_b64 v[38:39], v5 offset:29128
	s_wait_dscnt 0x0
	v_pk_mul_f32 v[94:95], v[38:39], v[36:37] op_sel:[1,1] op_sel_hi:[0,1]
	s_delay_alu instid0(VALU_DEP_1) | instskip(SKIP_1) | instid1(VALU_DEP_2)
	v_pk_fma_f32 v[96:97], v[38:39], v[36:37], v[94:95] op_sel_hi:[1,0,1]
	v_pk_fma_f32 v[36:37], v[38:39], v[36:37], v[94:95] neg_lo:[0,0,1] neg_hi:[0,0,1]
	v_mov_b32_e32 v37, v97
	s_delay_alu instid0(VALU_DEP_1)
	v_pk_add_f32 v[34:35], v[34:35], v[36:37]
.LBB59_950:                             ;   in Loop: Header=BB59_3 Depth=1
	s_or_b32 exec_lo, exec_lo, s58
	s_delay_alu instid0(VALU_DEP_1)
	v_pk_add_f32 v[34:35], v[34:35], 0 neg_lo:[1,1] neg_hi:[1,1]
.LBB59_951:                             ;   in Loop: Header=BB59_3 Depth=1
	s_or_b32 exec_lo, exec_lo, s57
	s_and_saveexec_b32 s57, s96
	s_cbranch_execz .LBB59_953
; %bb.952:                              ;   in Loop: Header=BB59_3 Depth=1
	ds_load_b64 v[36:37], v5 offset:30160
	s_wait_dscnt 0x0
	v_pk_mul_f32 v[38:39], v[34:35], v[36:37] op_sel:[1,1] op_sel_hi:[1,0]
	s_delay_alu instid0(VALU_DEP_1) | instskip(SKIP_1) | instid1(VALU_DEP_2)
	v_pk_fma_f32 v[94:95], v[34:35], v[36:37], v[38:39] op_sel_hi:[0,1,1]
	v_pk_fma_f32 v[36:37], v[34:35], v[36:37], v[38:39] neg_lo:[0,0,1] neg_hi:[0,0,1]
	v_mov_b32_e32 v37, v95
	s_delay_alu instid0(VALU_DEP_1)
	v_mov_b64_e32 v[34:35], v[36:37]
	ds_store_b64 v3, v[36:37]
.LBB59_953:                             ;   in Loop: Header=BB59_3 Depth=1
	s_or_b32 exec_lo, exec_lo, s57
	s_wait_dscnt 0x0
	s_barrier_signal -1
	s_barrier_wait -1
	s_and_saveexec_b32 s57, s97
	s_cbranch_execz .LBB59_955
; %bb.954:                              ;   in Loop: Header=BB59_3 Depth=1
	ds_load_b64 v[36:37], v5 offset:30168
	ds_load_b64 v[38:39], v3
	s_wait_dscnt 0x0
	v_pk_mul_f32 v[94:95], v[38:39], v[36:37] op_sel:[1,1] op_sel_hi:[0,1]
	s_delay_alu instid0(VALU_DEP_1) | instskip(SKIP_1) | instid1(VALU_DEP_2)
	v_pk_fma_f32 v[96:97], v[38:39], v[36:37], v[94:95] op_sel_hi:[1,0,1]
	v_pk_fma_f32 v[36:37], v[38:39], v[36:37], v[94:95] neg_lo:[0,0,1] neg_hi:[0,0,1]
	v_mov_b32_e32 v37, v97
	s_delay_alu instid0(VALU_DEP_1)
	v_pk_add_f32 v[34:35], v[34:35], v[36:37]
.LBB59_955:                             ;   in Loop: Header=BB59_3 Depth=1
	s_or_b32 exec_lo, exec_lo, s57
	s_barrier_signal -1
	s_barrier_wait -1
	s_and_saveexec_b32 s57, s97
	s_cbranch_execz .LBB59_957
; %bb.956:                              ;   in Loop: Header=BB59_3 Depth=1
	ds_load_b64 v[36:37], v5 offset:30680
	s_wait_dscnt 0x0
	v_pk_mul_f32 v[38:39], v[34:35], v[36:37] op_sel:[1,1] op_sel_hi:[1,0]
	s_delay_alu instid0(VALU_DEP_1) | instskip(SKIP_1) | instid1(VALU_DEP_2)
	v_pk_fma_f32 v[94:95], v[34:35], v[36:37], v[38:39] op_sel_hi:[0,1,1]
	v_pk_fma_f32 v[36:37], v[34:35], v[36:37], v[38:39] neg_lo:[0,0,1] neg_hi:[0,0,1]
	v_mov_b32_e32 v37, v95
	s_delay_alu instid0(VALU_DEP_1)
	v_mov_b64_e32 v[34:35], v[36:37]
	ds_store_b64 v3, v[36:37]
.LBB59_957:                             ;   in Loop: Header=BB59_3 Depth=1
	s_or_b32 exec_lo, exec_lo, s57
	s_wait_dscnt 0x0
	s_barrier_signal -1
	s_barrier_wait -1
	s_barrier_signal -1
	s_barrier_wait -1
	s_and_saveexec_b32 s57, s0
; %bb.958:                              ;   in Loop: Header=BB59_3 Depth=1
	v_pk_add_f32 v[34:35], v[34:35], 0 neg_lo:[1,1] neg_hi:[1,1]
	ds_store_b64 v41, v[34:35] offset:29136
; %bb.959:                              ;   in Loop: Header=BB59_3 Depth=1
	s_or_b32 exec_lo, exec_lo, s57
	s_wait_dscnt 0x0
	s_barrier_signal -1
	s_barrier_wait -1
	s_barrier_signal -1
	s_barrier_wait -1
	s_and_saveexec_b32 s57, s98
	s_cbranch_execz .LBB59_961
; %bb.960:                              ;   in Loop: Header=BB59_3 Depth=1
	ds_load_b64 v[34:35], v71 offset:29136
	s_wait_dscnt 0x0
	ds_store_b64 v70, v[34:35] offset:30144
	ds_load_b64 v[34:35], v71 offset:29144
	s_wait_dscnt 0x0
	ds_store_b64 v70, v[34:35] offset:30656
.LBB59_961:                             ;   in Loop: Header=BB59_3 Depth=1
	s_or_b32 exec_lo, exec_lo, s57
	s_wait_dscnt 0x0
	s_barrier_signal -1
	s_barrier_wait -1
	s_and_saveexec_b32 s57, s14
	s_cbranch_execz .LBB59_963
; %bb.962:                              ;   in Loop: Header=BB59_3 Depth=1
	ds_load_b128 v[34:37], v5 offset:30160
	ds_load_b64 v[38:39], v5 offset:30680
	s_wait_dscnt 0x1
	v_dual_mov_b32 v96, v37 :: v_dual_mov_b32 v97, v36
	s_wait_dscnt 0x0
	v_dual_mul_f32 v95, v39, v35 :: v_dual_mul_f32 v94, v38, v35
	s_delay_alu instid0(VALU_DEP_1) | instskip(NEXT) | instid1(VALU_DEP_2)
	v_xor_b32_e32 v98, 0x80000000, v95
	v_fmac_f32_e32 v94, v39, v34
	s_delay_alu instid0(VALU_DEP_2) | instskip(NEXT) | instid1(VALU_DEP_2)
	v_fmac_f32_e32 v98, v38, v34
	v_pk_mul_f32 v[34:35], v[94:95], v[96:97] op_sel_hi:[0,1]
	s_delay_alu instid0(VALU_DEP_1) | instskip(SKIP_2) | instid1(VALU_DEP_3)
	v_pk_fma_f32 v[38:39], v[98:99], v[36:37], v[34:35] op_sel_hi:[0,1,1]
	v_pk_fma_f32 v[34:35], v[98:99], v[36:37], v[34:35] neg_lo:[0,0,1] neg_hi:[0,0,1]
	v_add_nc_u32_e64 v36, 0x7000, 0
	v_mov_b32_e32 v35, v39
	ds_store_2addr_b64 v36, v[34:35], v[34:35] offset0:187 offset1:250
.LBB59_963:                             ;   in Loop: Header=BB59_3 Depth=1
	s_or_b32 exec_lo, exec_lo, s57
	v_mov_b32_e32 v34, 0
	s_wait_dscnt 0x0
	s_barrier_signal -1
	s_barrier_wait -1
	s_delay_alu instid0(VALU_DEP_1)
	v_mov_b32_e32 v35, v34
	s_and_saveexec_b32 s66, s2
	s_cbranch_execz .LBB59_969
; %bb.964:                              ;   in Loop: Header=BB59_3 Depth=1
	ds_load_b64 v[34:35], v48 offset:29152
	ds_load_b64 v[36:37], v44 offset:29120
	s_wait_dscnt 0x0
	v_pk_mul_f32 v[38:39], v[36:37], v[34:35] op_sel:[0,1]
	s_delay_alu instid0(VALU_DEP_1) | instskip(SKIP_1) | instid1(VALU_DEP_2)
	v_pk_fma_f32 v[94:95], v[36:37], v[34:35], v[38:39] op_sel:[1,0,0] op_sel_hi:[0,0,1] neg_lo:[0,0,1] neg_hi:[0,0,1]
	v_pk_fma_f32 v[34:35], v[36:37], v[34:35], v[38:39] op_sel:[1,0,0] op_sel_hi:[0,1,1]
	v_mov_b32_e32 v35, v95
	s_delay_alu instid0(VALU_DEP_1)
	v_pk_add_f32 v[34:35], v[34:35], 0 op_sel_hi:[1,0]
	s_and_saveexec_b32 s57, s16
	s_cbranch_execnz .LBB59_1158
; %bb.965:                              ;   in Loop: Header=BB59_3 Depth=1
	s_or_b32 exec_lo, exec_lo, s57
	s_and_saveexec_b32 s57, s17
	s_cbranch_execnz .LBB59_1159
.LBB59_966:                             ;   in Loop: Header=BB59_3 Depth=1
	s_or_b32 exec_lo, exec_lo, s57
	s_and_saveexec_b32 s57, s0
	s_cbranch_execz .LBB59_968
.LBB59_967:                             ;   in Loop: Header=BB59_3 Depth=1
	ds_load_b64 v[36:37], v72 offset:30688
	ds_load_b64 v[38:39], v5 offset:29144
	s_wait_dscnt 0x0
	v_pk_mul_f32 v[94:95], v[38:39], v[36:37] op_sel:[0,1]
	s_delay_alu instid0(VALU_DEP_1) | instskip(SKIP_1) | instid1(VALU_DEP_2)
	v_pk_fma_f32 v[96:97], v[38:39], v[36:37], v[94:95] op_sel:[1,0,0] op_sel_hi:[0,0,1] neg_lo:[0,0,1] neg_hi:[0,0,1]
	v_pk_fma_f32 v[36:37], v[38:39], v[36:37], v[94:95] op_sel:[1,0,0] op_sel_hi:[0,1,1]
	v_mov_b32_e32 v37, v97
	s_delay_alu instid0(VALU_DEP_1)
	v_pk_add_f32 v[34:35], v[34:35], v[36:37]
.LBB59_968:                             ;   in Loop: Header=BB59_3 Depth=1
	s_or_b32 exec_lo, exec_lo, s57
	s_delay_alu instid0(VALU_DEP_1) | instskip(NEXT) | instid1(VALU_DEP_1)
	v_pk_add_f32 v[36:37], v[34:35], 0 neg_lo:[1,1] neg_hi:[1,1]
	v_dual_mov_b32 v34, v37 :: v_dual_mov_b32 v35, v36
.LBB59_969:                             ;   in Loop: Header=BB59_3 Depth=1
	s_or_b32 exec_lo, exec_lo, s66
	s_and_saveexec_b32 s57, s99
	s_cbranch_execz .LBB59_971
; %bb.970:                              ;   in Loop: Header=BB59_3 Depth=1
	ds_load_b64 v[36:37], v5 offset:31200
	v_dual_mov_b32 v38, v35 :: v_dual_mov_b32 v39, v34
	s_wait_dscnt 0x0
	s_delay_alu instid0(VALU_DEP_1) | instskip(NEXT) | instid1(VALU_DEP_1)
	v_dual_mul_f32 v94, v38, v36 :: v_dual_mul_f32 v96, v35, v37
	v_pk_fma_f32 v[38:39], v[38:39], v[36:37], v[94:95] op_sel_hi:[1,1,0]
	s_delay_alu instid0(VALU_DEP_2) | instskip(NEXT) | instid1(VALU_DEP_2)
	v_pk_fma_f32 v[34:35], v[34:35], v[36:37], v[96:97] op_sel_hi:[1,1,0] neg_lo:[0,0,1] neg_hi:[0,0,1]
	v_mov_b32_e32 v35, v39
	ds_store_b64 v47, v[34:35]
.LBB59_971:                             ;   in Loop: Header=BB59_3 Depth=1
	s_or_b32 exec_lo, exec_lo, s57
	s_wait_dscnt 0x0
	s_barrier_signal -1
	s_barrier_wait -1
	s_and_saveexec_b32 s57, s100
	s_cbranch_execz .LBB59_973
; %bb.972:                              ;   in Loop: Header=BB59_3 Depth=1
	ds_load_b64 v[36:37], v45 offset:31200
	ds_load_b64 v[38:39], v47
	s_wait_dscnt 0x0
	v_dual_mul_f32 v94, v39, v37 :: v_dual_mul_f32 v95, v38, v37
	s_delay_alu instid0(VALU_DEP_1) | instskip(NEXT) | instid1(VALU_DEP_1)
	v_dual_fma_f32 v94, v38, v36, -v94 :: v_dual_fmac_f32 v95, v39, v36
	v_pk_add_f32 v[34:35], v[34:35], v[94:95]
.LBB59_973:                             ;   in Loop: Header=BB59_3 Depth=1
	s_or_b32 exec_lo, exec_lo, s57
	s_barrier_signal -1
	s_barrier_wait -1
	s_and_saveexec_b32 s57, s101
	s_cbranch_execz .LBB59_975
; %bb.974:                              ;   in Loop: Header=BB59_3 Depth=1
	ds_load_b64 v[36:37], v5 offset:31720
	s_wait_dscnt 0x0
	v_pk_mul_f32 v[38:39], v[34:35], v[36:37] op_sel:[1,1] op_sel_hi:[1,0]
	s_delay_alu instid0(VALU_DEP_1) | instskip(SKIP_1) | instid1(VALU_DEP_2)
	v_pk_fma_f32 v[94:95], v[34:35], v[36:37], v[38:39] op_sel_hi:[0,1,1]
	v_pk_fma_f32 v[36:37], v[34:35], v[36:37], v[38:39] neg_lo:[0,0,1] neg_hi:[0,0,1]
	v_mov_b32_e32 v37, v95
	s_delay_alu instid0(VALU_DEP_1)
	v_mov_b64_e32 v[34:35], v[36:37]
	ds_store_b64 v47, v[36:37]
.LBB59_975:                             ;   in Loop: Header=BB59_3 Depth=1
	s_or_b32 exec_lo, exec_lo, s57
	s_wait_dscnt 0x0
	s_barrier_signal -1
	s_barrier_wait -1
	s_and_saveexec_b32 s57, s102
	s_cbranch_execz .LBB59_977
; %bb.976:                              ;   in Loop: Header=BB59_3 Depth=1
	ds_load_b64 v[36:37], v45 offset:31712
	ds_load_b64 v[38:39], v47
	s_wait_dscnt 0x0
	v_pk_mul_f32 v[94:95], v[38:39], v[36:37] op_sel:[1,1] op_sel_hi:[0,1]
	s_delay_alu instid0(VALU_DEP_1) | instskip(SKIP_1) | instid1(VALU_DEP_2)
	v_pk_fma_f32 v[96:97], v[38:39], v[36:37], v[94:95] op_sel_hi:[1,0,1]
	v_pk_fma_f32 v[36:37], v[38:39], v[36:37], v[94:95] neg_lo:[0,0,1] neg_hi:[0,0,1]
	v_mov_b32_e32 v37, v97
	s_delay_alu instid0(VALU_DEP_1)
	v_pk_add_f32 v[34:35], v[34:35], v[36:37]
.LBB59_977:                             ;   in Loop: Header=BB59_3 Depth=1
	s_or_b32 exec_lo, exec_lo, s57
	s_barrier_signal -1
	s_barrier_wait -1
	s_and_saveexec_b32 s57, s103
	s_cbranch_execz .LBB59_979
; %bb.978:                              ;   in Loop: Header=BB59_3 Depth=1
	ds_load_b64 v[36:37], v5 offset:32240
	s_wait_dscnt 0x0
	v_pk_mul_f32 v[38:39], v[34:35], v[36:37] op_sel:[1,1] op_sel_hi:[1,0]
	s_delay_alu instid0(VALU_DEP_1) | instskip(SKIP_1) | instid1(VALU_DEP_2)
	v_pk_fma_f32 v[94:95], v[34:35], v[36:37], v[38:39] op_sel_hi:[0,1,1]
	v_pk_fma_f32 v[36:37], v[34:35], v[36:37], v[38:39] neg_lo:[0,0,1] neg_hi:[0,0,1]
	v_mov_b32_e32 v37, v95
	s_delay_alu instid0(VALU_DEP_1)
	v_mov_b64_e32 v[34:35], v[36:37]
	ds_store_b64 v47, v[36:37]
.LBB59_979:                             ;   in Loop: Header=BB59_3 Depth=1
	s_or_b32 exec_lo, exec_lo, s57
	s_wait_dscnt 0x0
	s_barrier_signal -1
	s_barrier_wait -1
	s_and_saveexec_b32 s57, s104
	s_cbranch_execz .LBB59_981
; %bb.980:                              ;   in Loop: Header=BB59_3 Depth=1
	ds_load_b64 v[36:37], v5 offset:32248
	ds_load_b64 v[38:39], v47
	s_wait_dscnt 0x0
	v_pk_mul_f32 v[94:95], v[38:39], v[36:37] op_sel:[1,1] op_sel_hi:[0,1]
	s_delay_alu instid0(VALU_DEP_1) | instskip(SKIP_1) | instid1(VALU_DEP_2)
	v_pk_fma_f32 v[96:97], v[38:39], v[36:37], v[94:95] op_sel_hi:[1,0,1]
	v_pk_fma_f32 v[36:37], v[38:39], v[36:37], v[94:95] neg_lo:[0,0,1] neg_hi:[0,0,1]
	v_mov_b32_e32 v37, v97
	s_delay_alu instid0(VALU_DEP_1)
	v_pk_add_f32 v[34:35], v[34:35], v[36:37]
.LBB59_981:                             ;   in Loop: Header=BB59_3 Depth=1
	s_or_b32 exec_lo, exec_lo, s57
	s_barrier_signal -1
	s_barrier_wait -1
	s_and_saveexec_b32 s57, s104
	s_cbranch_execz .LBB59_983
; %bb.982:                              ;   in Loop: Header=BB59_3 Depth=1
	ds_load_b64 v[36:37], v5 offset:32760
	s_wait_dscnt 0x0
	v_pk_mul_f32 v[38:39], v[34:35], v[36:37] op_sel:[1,1] op_sel_hi:[1,0]
	s_delay_alu instid0(VALU_DEP_1) | instskip(SKIP_1) | instid1(VALU_DEP_2)
	v_pk_fma_f32 v[94:95], v[34:35], v[36:37], v[38:39] op_sel_hi:[0,1,1]
	v_pk_fma_f32 v[36:37], v[34:35], v[36:37], v[38:39] neg_lo:[0,0,1] neg_hi:[0,0,1]
	v_mov_b32_e32 v37, v95
	s_delay_alu instid0(VALU_DEP_1)
	v_mov_b64_e32 v[34:35], v[36:37]
	ds_store_b64 v47, v[36:37]
.LBB59_983:                             ;   in Loop: Header=BB59_3 Depth=1
	s_or_b32 exec_lo, exec_lo, s57
	s_wait_dscnt 0x0
	s_barrier_signal -1
	s_barrier_wait -1
	s_barrier_signal -1
	s_barrier_wait -1
	s_and_saveexec_b32 s57, s2
; %bb.984:                              ;   in Loop: Header=BB59_3 Depth=1
	v_pk_add_f32 v[34:35], v[34:35], 0 neg_lo:[1,1] neg_hi:[1,1]
	ds_store_b64 v48, v[34:35] offset:29152
; %bb.985:                              ;   in Loop: Header=BB59_3 Depth=1
	s_or_b32 exec_lo, exec_lo, s57
	s_wait_dscnt 0x0
	s_barrier_signal -1
	s_barrier_wait -1
	s_barrier_signal -1
	s_barrier_wait -1
	s_and_saveexec_b32 s57, vcc_hi
	s_cbranch_execz .LBB59_987
; %bb.986:                              ;   in Loop: Header=BB59_3 Depth=1
	ds_load_b64 v[34:35], v75 offset:29152
	s_wait_dscnt 0x0
	ds_store_b64 v78, v[34:35] offset:31168
	ds_load_b64 v[34:35], v75 offset:29160
	s_wait_dscnt 0x0
	ds_store_b64 v78, v[34:35] offset:31680
	;; [unrolled: 3-line block ×4, first 2 shown]
.LBB59_987:                             ;   in Loop: Header=BB59_3 Depth=1
	s_or_b32 exec_lo, exec_lo, s57
	s_wait_dscnt 0x0
	s_barrier_signal -1
	s_barrier_wait -1
	s_and_saveexec_b32 s57, s14
	s_cbranch_execz .LBB59_989
; %bb.988:                              ;   in Loop: Header=BB59_3 Depth=1
	ds_load_b128 v[34:37], v5 offset:31200
	ds_load_b64 v[38:39], v5 offset:31720
	s_wait_dscnt 0x1
	v_dual_mov_b32 v96, v37 :: v_dual_mov_b32 v97, v36
	s_wait_dscnt 0x0
	v_dual_mul_f32 v95, v39, v35 :: v_dual_mul_f32 v94, v38, v35
	s_delay_alu instid0(VALU_DEP_1) | instskip(NEXT) | instid1(VALU_DEP_2)
	v_xor_b32_e32 v98, 0x80000000, v95
	v_fmac_f32_e32 v94, v39, v34
	s_delay_alu instid0(VALU_DEP_2) | instskip(NEXT) | instid1(VALU_DEP_2)
	v_fmac_f32_e32 v98, v38, v34
	v_pk_mul_f32 v[34:35], v[94:95], v[96:97] op_sel_hi:[0,1]
	s_delay_alu instid0(VALU_DEP_1) | instskip(SKIP_2) | instid1(VALU_DEP_3)
	v_pk_fma_f32 v[38:39], v[98:99], v[36:37], v[34:35] op_sel_hi:[0,1,1]
	v_pk_fma_f32 v[34:35], v[98:99], v[36:37], v[34:35] neg_lo:[0,0,1] neg_hi:[0,0,1]
	v_add_nc_u32_e64 v36, 0x7800, 0
	v_mov_b32_e32 v35, v39
	ds_store_2addr_b64 v36, v[34:35], v[34:35] offset0:61 offset1:124
.LBB59_989:                             ;   in Loop: Header=BB59_3 Depth=1
	s_or_b32 exec_lo, exec_lo, s57
	v_mov_b32_e32 v35, 0
	s_wait_dscnt 0x0
	s_barrier_signal -1
	s_barrier_wait -1
	s_delay_alu instid0(VALU_DEP_1)
	v_mov_b32_e32 v34, v35
	s_and_saveexec_b32 s57, s0
	s_cbranch_execz .LBB59_993
; %bb.990:                              ;   in Loop: Header=BB59_3 Depth=1
	ds_load_b64 v[34:35], v41 offset:31216
	ds_load_b64 v[36:37], v42 offset:31200
	s_wait_dscnt 0x0
	v_dual_mul_f32 v38, v37, v35 :: v_dual_mul_f32 v39, v36, v35
	s_delay_alu instid0(VALU_DEP_1) | instskip(NEXT) | instid1(VALU_DEP_1)
	v_dual_fma_f32 v38, v36, v34, -v38 :: v_dual_fmac_f32 v39, v37, v34
	v_pk_add_f32 v[34:35], v[38:39], 0 op_sel_hi:[1,0]
	s_and_saveexec_b32 s58, s15
	s_cbranch_execz .LBB59_992
; %bb.991:                              ;   in Loop: Header=BB59_3 Depth=1
	ds_load_b64 v[36:37], v78 offset:31728
	ds_load_b64 v[38:39], v5 offset:31208
	s_wait_dscnt 0x0
	v_pk_mul_f32 v[94:95], v[38:39], v[36:37] op_sel:[1,1] op_sel_hi:[0,1]
	s_delay_alu instid0(VALU_DEP_1) | instskip(SKIP_1) | instid1(VALU_DEP_2)
	v_pk_fma_f32 v[96:97], v[38:39], v[36:37], v[94:95] op_sel_hi:[1,0,1]
	v_pk_fma_f32 v[36:37], v[38:39], v[36:37], v[94:95] neg_lo:[0,0,1] neg_hi:[0,0,1]
	v_mov_b32_e32 v37, v97
	s_delay_alu instid0(VALU_DEP_1)
	v_pk_add_f32 v[34:35], v[34:35], v[36:37]
.LBB59_992:                             ;   in Loop: Header=BB59_3 Depth=1
	s_or_b32 exec_lo, exec_lo, s58
	s_delay_alu instid0(VALU_DEP_1)
	v_pk_add_f32 v[34:35], v[34:35], 0 neg_lo:[1,1] neg_hi:[1,1]
.LBB59_993:                             ;   in Loop: Header=BB59_3 Depth=1
	s_or_b32 exec_lo, exec_lo, s57
	s_and_saveexec_b32 s57, s96
	s_cbranch_execz .LBB59_995
; %bb.994:                              ;   in Loop: Header=BB59_3 Depth=1
	ds_load_b64 v[36:37], v5 offset:32240
	s_wait_dscnt 0x0
	v_pk_mul_f32 v[38:39], v[34:35], v[36:37] op_sel:[1,1] op_sel_hi:[1,0]
	s_delay_alu instid0(VALU_DEP_1) | instskip(SKIP_1) | instid1(VALU_DEP_2)
	v_pk_fma_f32 v[94:95], v[34:35], v[36:37], v[38:39] op_sel_hi:[0,1,1]
	v_pk_fma_f32 v[36:37], v[34:35], v[36:37], v[38:39] neg_lo:[0,0,1] neg_hi:[0,0,1]
	v_mov_b32_e32 v37, v95
	s_delay_alu instid0(VALU_DEP_1)
	v_mov_b64_e32 v[34:35], v[36:37]
	ds_store_b64 v3, v[36:37]
.LBB59_995:                             ;   in Loop: Header=BB59_3 Depth=1
	s_or_b32 exec_lo, exec_lo, s57
	s_wait_dscnt 0x0
	s_barrier_signal -1
	s_barrier_wait -1
	s_and_saveexec_b32 s57, s97
	s_cbranch_execz .LBB59_997
; %bb.996:                              ;   in Loop: Header=BB59_3 Depth=1
	ds_load_b64 v[36:37], v5 offset:32248
	ds_load_b64 v[38:39], v3
	s_wait_dscnt 0x0
	v_pk_mul_f32 v[94:95], v[38:39], v[36:37] op_sel:[1,1] op_sel_hi:[0,1]
	s_delay_alu instid0(VALU_DEP_1) | instskip(SKIP_1) | instid1(VALU_DEP_2)
	v_pk_fma_f32 v[96:97], v[38:39], v[36:37], v[94:95] op_sel_hi:[1,0,1]
	v_pk_fma_f32 v[36:37], v[38:39], v[36:37], v[94:95] neg_lo:[0,0,1] neg_hi:[0,0,1]
	v_mov_b32_e32 v37, v97
	s_delay_alu instid0(VALU_DEP_1)
	v_pk_add_f32 v[34:35], v[34:35], v[36:37]
.LBB59_997:                             ;   in Loop: Header=BB59_3 Depth=1
	s_or_b32 exec_lo, exec_lo, s57
	s_barrier_signal -1
	s_barrier_wait -1
	s_and_saveexec_b32 s57, s97
	s_cbranch_execz .LBB59_999
; %bb.998:                              ;   in Loop: Header=BB59_3 Depth=1
	ds_load_b64 v[36:37], v5 offset:32760
	s_wait_dscnt 0x0
	v_pk_mul_f32 v[38:39], v[34:35], v[36:37] op_sel:[1,1] op_sel_hi:[1,0]
	s_delay_alu instid0(VALU_DEP_1) | instskip(SKIP_1) | instid1(VALU_DEP_2)
	v_pk_fma_f32 v[94:95], v[34:35], v[36:37], v[38:39] op_sel_hi:[0,1,1]
	v_pk_fma_f32 v[36:37], v[34:35], v[36:37], v[38:39] neg_lo:[0,0,1] neg_hi:[0,0,1]
	v_mov_b32_e32 v37, v95
	s_delay_alu instid0(VALU_DEP_1)
	v_mov_b64_e32 v[34:35], v[36:37]
	ds_store_b64 v3, v[36:37]
.LBB59_999:                             ;   in Loop: Header=BB59_3 Depth=1
	s_or_b32 exec_lo, exec_lo, s57
	s_wait_dscnt 0x0
	s_barrier_signal -1
	s_barrier_wait -1
	s_barrier_signal -1
	s_barrier_wait -1
	s_and_saveexec_b32 s57, s0
; %bb.1000:                             ;   in Loop: Header=BB59_3 Depth=1
	v_pk_add_f32 v[34:35], v[34:35], 0 neg_lo:[1,1] neg_hi:[1,1]
	ds_store_b64 v41, v[34:35] offset:31216
; %bb.1001:                             ;   in Loop: Header=BB59_3 Depth=1
	s_or_b32 exec_lo, exec_lo, s57
	s_wait_dscnt 0x0
	s_barrier_signal -1
	s_barrier_wait -1
	s_barrier_signal -1
	s_barrier_wait -1
	s_and_saveexec_b32 s57, s98
	s_cbranch_execz .LBB59_1003
; %bb.1002:                             ;   in Loop: Header=BB59_3 Depth=1
	ds_load_b64 v[34:35], v79 offset:31216
	s_wait_dscnt 0x0
	ds_store_b64 v78, v[34:35] offset:32224
	ds_load_b64 v[34:35], v79 offset:31224
	s_wait_dscnt 0x0
	ds_store_b64 v78, v[34:35] offset:32736
.LBB59_1003:                            ;   in Loop: Header=BB59_3 Depth=1
	s_or_b32 exec_lo, exec_lo, s57
	s_wait_dscnt 0x0
	s_barrier_signal -1
	s_barrier_wait -1
	s_and_saveexec_b32 s57, s14
	s_cbranch_execz .LBB59_1005
; %bb.1004:                             ;   in Loop: Header=BB59_3 Depth=1
	ds_load_b128 v[34:37], v5 offset:32240
	ds_load_b64 v[38:39], v5 offset:32760
	s_wait_dscnt 0x1
	v_dual_mov_b32 v96, v37 :: v_dual_mov_b32 v97, v36
	s_wait_dscnt 0x0
	v_dual_mul_f32 v95, v39, v35 :: v_dual_mul_f32 v94, v38, v35
	s_delay_alu instid0(VALU_DEP_1) | instskip(NEXT) | instid1(VALU_DEP_2)
	v_xor_b32_e32 v98, 0x80000000, v95
	v_fmac_f32_e32 v94, v39, v34
	s_delay_alu instid0(VALU_DEP_2) | instskip(NEXT) | instid1(VALU_DEP_2)
	v_fmac_f32_e32 v98, v38, v34
	v_pk_mul_f32 v[34:35], v[94:95], v[96:97] op_sel_hi:[0,1]
	s_delay_alu instid0(VALU_DEP_1) | instskip(SKIP_2) | instid1(VALU_DEP_3)
	v_pk_fma_f32 v[38:39], v[98:99], v[36:37], v[34:35] op_sel_hi:[0,1,1]
	v_pk_fma_f32 v[34:35], v[98:99], v[36:37], v[34:35] neg_lo:[0,0,1] neg_hi:[0,0,1]
	v_add_nc_u32_e64 v36, 0x7800, 0
	v_mov_b32_e32 v35, v39
	ds_store_2addr_b64 v36, v[34:35], v[34:35] offset0:191 offset1:254
.LBB59_1005:                            ;   in Loop: Header=BB59_3 Depth=1
	s_or_b32 exec_lo, exec_lo, s57
.LBB59_1006:                            ;   in Loop: Header=BB59_3 Depth=1
	v_readlane_b32 s58, v104, 3
	v_mov_b64_e32 v[34:35], 0
	v_readlane_b32 s59, v104, 4
	s_mul_u64 s[66:67], s[80:81], s[84:85]
	s_wait_dscnt 0x0
	s_lshl_b64 s[66:67], s[66:67], 3
	s_barrier_signal -1
	s_add_nc_u64 s[68:69], s[58:59], s[66:67]
	s_barrier_wait -1
	s_and_saveexec_b32 s57, s75
	s_cbranch_execz .LBB59_1008
; %bb.1007:                             ;   in Loop: Header=BB59_3 Depth=1
	v_lshl_add_u64 v[34:35], v[0:1], 3, s[68:69]
	global_load_b64 v[34:35], v[34:35], off
	s_wait_loadcnt 0x0
	v_pk_mul_f32 v[36:37], v[32:33], v[34:35] op_sel:[1,0] neg_lo:[1,0]
	s_delay_alu instid0(VALU_DEP_1)
	v_pk_fma_f32 v[34:35], v[32:33], v[34:35], v[36:37] op_sel:[0,0,1] op_sel_hi:[0,1,0] neg_lo:[1,0,0] neg_hi:[1,0,0]
.LBB59_1008:                            ;   in Loop: Header=BB59_3 Depth=1
	s_or_b32 exec_lo, exec_lo, s57
	s_delay_alu instid0(SALU_CYCLE_1)
	s_and_not1_b32 vcc_lo, exec_lo, s54
	s_cbranch_vccnz .LBB59_1027
; %bb.1009:                             ;   in Loop: Header=BB59_3 Depth=1
	v_mov_b32_e32 v38, -1
	s_lshl_b64 s[66:67], s[84:85], 2
	s_delay_alu instid0(SALU_CYCLE_1)
	s_add_nc_u64 s[88:89], s[82:83], s[66:67]
	s_mov_b32 s67, 0
	s_branch .LBB59_1011
.LBB59_1010:                            ;   in Loop: Header=BB59_1011 Depth=2
	s_or_b32 exec_lo, exec_lo, s57
	s_add_co_i32 s67, s67, 1
	s_delay_alu instid0(SALU_CYCLE_1)
	s_cmp_eq_u32 s67, s91
	s_cbranch_scc1 .LBB59_1027
.LBB59_1011:                            ;   Parent Loop BB59_3 Depth=1
                                        ; =>  This Loop Header: Depth=2
                                        ;       Child Loop BB59_1013 Depth 3
	v_cmp_gt_i32_e32 vcc_lo, s67, v38
	s_and_b32 s58, s36, vcc_lo
	s_delay_alu instid0(SALU_CYCLE_1)
	s_and_saveexec_b32 s57, s58
	s_cbranch_execz .LBB59_1014
; %bb.1012:                             ;   in Loop: Header=BB59_1011 Depth=2
	global_load_b32 v38, v5, s[88:89]
	s_wait_loadcnt 0x0
	v_cmp_le_i32_e32 vcc_lo, s67, v38
	s_cbranch_vccnz .LBB59_1014
.LBB59_1013:                            ;   Parent Loop BB59_3 Depth=1
                                        ;     Parent Loop BB59_1011 Depth=2
                                        ; =>    This Inner Loop Header: Depth=3
	global_wb scope:SCOPE_DEV
	s_wait_storecnt 0x0
	global_inv scope:SCOPE_DEV
	global_load_b32 v38, v5, s[88:89]
	s_wait_loadcnt 0x0
	v_cmp_gt_i32_e32 vcc_lo, s67, v38
	s_cbranch_vccnz .LBB59_1013
.LBB59_1014:                            ;   in Loop: Header=BB59_1011 Depth=2
	s_or_b32 exec_lo, exec_lo, s57
	s_sub_co_i32 s57, s92, s67
	global_wb scope:SCOPE_DEV
	s_wait_storecnt 0x0
	global_inv scope:SCOPE_DEV
	s_lshl_b32 s66, s57, 6
	s_wait_loadcnt 0x0
	s_barrier_signal -1
	s_barrier_wait -1
	s_and_saveexec_b32 s58, s37
	s_cbranch_execz .LBB59_1019
; %bb.1015:                             ;   in Loop: Header=BB59_1011 Depth=2
	s_ashr_i32 vcc_lo, s66, 31
	s_delay_alu instid0(SALU_CYCLE_1) | instskip(NEXT) | instid1(VALU_DEP_1)
	v_dual_mov_b32 v33, vcc_lo :: v_dual_bitop2_b32 v32, s66, v4 bitop3:0x54
	v_cmp_le_i64_e32 vcc_lo, s[86:87], v[32:33]
	s_and_saveexec_b32 s59, vcc_lo
	s_delay_alu instid0(SALU_CYCLE_1)
	s_xor_b32 vcc_lo, exec_lo, s59
; %bb.1016:                             ;   in Loop: Header=BB59_1011 Depth=2
	ds_store_b64 v87, v[28:29]
                                        ; implicit-def: $vgpr32_vgpr33
; %bb.1017:                             ;   in Loop: Header=BB59_1011 Depth=2
	s_and_not1_saveexec_b32 s59, vcc_lo
	s_cbranch_execz .LBB59_1019
; %bb.1018:                             ;   in Loop: Header=BB59_1011 Depth=2
	v_mul_u64_e32 v[32:33], s[78:79], v[32:33]
	s_delay_alu instid0(VALU_DEP_1)
	v_lshl_add_u64 v[32:33], v[32:33], 3, s[68:69]
	global_load_b64 v[32:33], v[32:33], off
	s_wait_loadcnt 0x0
	ds_store_b64 v87, v[32:33]
.LBB59_1019:                            ;   in Loop: Header=BB59_1011 Depth=2
	s_or_b32 exec_lo, exec_lo, s58
	v_add_nc_u32_e32 v32, s66, v40
	s_cmp_eq_u32 s57, s55
	s_wait_dscnt 0x0
	s_cselect_b32 vcc_lo, -1, 0
	s_barrier_signal -1
	v_ashrrev_i32_e32 v33, 31, v32
	v_cmp_gt_i32_e64 s66, s86, v32
	s_barrier_wait -1
	s_delay_alu instid0(VALU_DEP_2) | instskip(SKIP_1) | instid1(SALU_CYCLE_1)
	v_lshl_add_u64 v[36:37], v[32:33], 3, v[30:31]
	s_and_b32 s58, s66, s5
	s_and_saveexec_b32 s57, s58
	s_cbranch_execz .LBB59_1021
; %bb.1020:                             ;   in Loop: Header=BB59_1011 Depth=2
	s_delay_alu instid0(VALU_DEP_1) | instskip(SKIP_4) | instid1(VALU_DEP_1)
	v_dual_cndmask_b32 v95, v37, v21 :: v_dual_cndmask_b32 v94, v36, v20
	ds_load_b64 v[96:97], v80
	flat_load_b64 v[94:95], v[94:95]
	s_wait_loadcnt_dscnt 0x0
	v_dual_mul_f32 v33, v97, v95 :: v_dual_mul_f32 v39, v96, v95
	v_dual_fma_f32 v33, v96, v94, -v33 :: v_dual_fmac_f32 v39, v97, v94
	s_delay_alu instid0(VALU_DEP_1)
	v_dual_add_f32 v34, v34, v33 :: v_dual_add_f32 v35, v35, v39
.LBB59_1021:                            ;   in Loop: Header=BB59_1011 Depth=2
	s_or_b32 exec_lo, exec_lo, s57
	v_add_nc_u32_e32 v33, 16, v32
	s_delay_alu instid0(VALU_DEP_1) | instskip(SKIP_1) | instid1(SALU_CYCLE_1)
	v_cmp_gt_i32_e64 s66, s86, v33
	s_and_b32 s58, s66, s5
	s_and_saveexec_b32 s57, s58
	s_cbranch_execz .LBB59_1023
; %bb.1022:                             ;   in Loop: Header=BB59_1011 Depth=2
	v_add_nc_u64_e32 v[94:95], 0x80, v[36:37]
	ds_load_b64 v[96:97], v80 offset:128
	v_dual_cndmask_b32 v95, v95, v23 :: v_dual_cndmask_b32 v94, v94, v22
	flat_load_b64 v[94:95], v[94:95]
	s_wait_loadcnt_dscnt 0x0
	v_dual_mul_f32 v33, v97, v95 :: v_dual_mul_f32 v39, v96, v95
	s_delay_alu instid0(VALU_DEP_1) | instskip(NEXT) | instid1(VALU_DEP_1)
	v_dual_fma_f32 v33, v96, v94, -v33 :: v_dual_fmac_f32 v39, v97, v94
	v_dual_add_f32 v34, v34, v33 :: v_dual_add_f32 v35, v35, v39
.LBB59_1023:                            ;   in Loop: Header=BB59_1011 Depth=2
	s_or_b32 exec_lo, exec_lo, s57
	v_add_nc_u32_e32 v33, 32, v32
	s_delay_alu instid0(VALU_DEP_1) | instskip(SKIP_1) | instid1(SALU_CYCLE_1)
	v_cmp_gt_i32_e64 s66, s86, v33
	s_and_b32 s58, s66, s5
	s_and_saveexec_b32 s57, s58
	s_cbranch_execz .LBB59_1025
; %bb.1024:                             ;   in Loop: Header=BB59_1011 Depth=2
	v_add_nc_u64_e32 v[94:95], 0x100, v[36:37]
	ds_load_b64 v[96:97], v80 offset:256
	v_dual_cndmask_b32 v95, v95, v25 :: v_dual_cndmask_b32 v94, v94, v24
	flat_load_b64 v[94:95], v[94:95]
	s_wait_loadcnt_dscnt 0x0
	v_dual_mul_f32 v33, v97, v95 :: v_dual_mul_f32 v99, v96, v95
	s_delay_alu instid0(VALU_DEP_1) | instskip(NEXT) | instid1(VALU_DEP_1)
	v_dual_fma_f32 v98, v96, v94, -v33 :: v_dual_fmac_f32 v99, v97, v94
	v_pk_add_f32 v[34:35], v[34:35], v[98:99]
.LBB59_1025:                            ;   in Loop: Header=BB59_1011 Depth=2
	s_or_b32 exec_lo, exec_lo, s57
	v_add_nc_u32_e32 v32, 48, v32
	s_delay_alu instid0(VALU_DEP_1) | instskip(SKIP_1) | instid1(SALU_CYCLE_1)
	v_cmp_gt_i32_e64 s66, s86, v32
	s_and_b32 s58, s66, s5
	s_and_saveexec_b32 s57, s58
	s_cbranch_execz .LBB59_1010
; %bb.1026:                             ;   in Loop: Header=BB59_1011 Depth=2
	v_add_nc_u64_e32 v[32:33], 0x180, v[36:37]
	ds_load_b64 v[36:37], v80 offset:384
	v_dual_cndmask_b32 v33, v33, v27 :: v_dual_cndmask_b32 v32, v32, v26
	flat_load_b64 v[32:33], v[32:33]
	s_wait_loadcnt_dscnt 0x0
	v_pk_mul_f32 v[94:95], v[36:37], v[32:33] op_sel:[1,1] op_sel_hi:[0,1]
	s_delay_alu instid0(VALU_DEP_1) | instskip(SKIP_1) | instid1(VALU_DEP_2)
	v_pk_fma_f32 v[96:97], v[36:37], v[32:33], v[94:95] op_sel_hi:[1,0,1]
	v_pk_fma_f32 v[32:33], v[36:37], v[32:33], v[94:95] neg_lo:[0,0,1] neg_hi:[0,0,1]
	v_mov_b32_e32 v33, v97
	s_delay_alu instid0(VALU_DEP_1)
	v_pk_add_f32 v[34:35], v[34:35], v[32:33]
	s_branch .LBB59_1010
.LBB59_1027:                            ;   in Loop: Header=BB59_3 Depth=1
	ds_store_b64 v88, v[34:35]
	s_wait_dscnt 0x0
	s_barrier_signal -1
	s_barrier_wait -1
	s_and_saveexec_b32 s57, s1
	s_cbranch_execz .LBB59_1029
; %bb.1028:                             ;   in Loop: Header=BB59_3 Depth=1
	ds_load_2addr_stride64_b64 v[30:33], v89 offset0:1 offset1:2
	ds_load_2addr_stride64_b64 v[36:39], v89 offset0:3 offset1:4
	;; [unrolled: 1-line block ×3, first 2 shown]
	s_wait_dscnt 0x2
	v_pk_add_f32 v[30:31], v[34:35], v[30:31]
	s_delay_alu instid0(VALU_DEP_1) | instskip(SKIP_3) | instid1(VALU_DEP_1)
	v_pk_add_f32 v[34:35], v[30:31], v[32:33]
	ds_load_2addr_stride64_b64 v[30:33], v89 offset0:7 offset1:8
	s_wait_dscnt 0x2
	v_pk_add_f32 v[34:35], v[34:35], v[36:37]
	v_pk_add_f32 v[38:39], v[34:35], v[38:39]
	ds_load_2addr_stride64_b64 v[34:37], v89 offset0:9 offset1:10
	s_wait_dscnt 0x2
	v_pk_add_f32 v[38:39], v[38:39], v[94:95]
	s_delay_alu instid0(VALU_DEP_1) | instskip(SKIP_3) | instid1(VALU_DEP_1)
	v_pk_add_f32 v[38:39], v[38:39], v[96:97]
	ds_load_2addr_stride64_b64 v[94:97], v89 offset0:11 offset1:12
	s_wait_dscnt 0x2
	v_pk_add_f32 v[30:31], v[38:39], v[30:31]
	v_pk_add_f32 v[38:39], v[30:31], v[32:33]
	ds_load_2addr_stride64_b64 v[30:33], v89 offset0:13 offset1:14
	s_wait_dscnt 0x2
	v_pk_add_f32 v[34:35], v[38:39], v[34:35]
	s_delay_alu instid0(VALU_DEP_1) | instskip(SKIP_3) | instid1(VALU_DEP_1)
	v_pk_add_f32 v[34:35], v[34:35], v[36:37]
	ds_load_b64 v[36:37], v89 offset:7680
	s_wait_dscnt 0x2
	v_pk_add_f32 v[34:35], v[34:35], v[94:95]
	v_pk_add_f32 v[34:35], v[34:35], v[96:97]
	s_wait_dscnt 0x1
	s_delay_alu instid0(VALU_DEP_1) | instskip(NEXT) | instid1(VALU_DEP_1)
	v_pk_add_f32 v[30:31], v[34:35], v[30:31]
	v_pk_add_f32 v[30:31], v[30:31], v[32:33]
	s_wait_dscnt 0x0
	s_delay_alu instid0(VALU_DEP_1) | instskip(NEXT) | instid1(VALU_DEP_1)
	v_pk_add_f32 v[30:31], v[30:31], v[36:37]
	v_cndmask_b32_e64 v35, -v31, 0, s74
	s_delay_alu instid0(VALU_DEP_2)
	v_cndmask_b32_e64 v34, -v30, 0, s74
.LBB59_1029:                            ;   in Loop: Header=BB59_3 Depth=1
	s_or_b32 exec_lo, exec_lo, s57
	s_delay_alu instid0(SALU_CYCLE_1)
	s_and_not1_b32 vcc_lo, exec_lo, s95
	s_cbranch_vccnz .LBB59_1039
; %bb.1030:                             ;   in Loop: Header=BB59_3 Depth=1
	s_and_saveexec_b32 s57, s1
; %bb.1031:                             ;   in Loop: Header=BB59_3 Depth=1
	ds_store_b64 v91, v[34:35]
; %bb.1032:                             ;   in Loop: Header=BB59_3 Depth=1
	s_or_b32 exec_lo, exec_lo, s57
	v_mov_b64_e32 v[30:31], 0
	s_wait_dscnt 0x0
	s_barrier_signal -1
	s_barrier_wait -1
	s_and_saveexec_b32 s57, s6
	s_cbranch_execnz .LBB59_1103
; %bb.1033:                             ;   in Loop: Header=BB59_3 Depth=1
	s_or_b32 exec_lo, exec_lo, s57
	s_and_saveexec_b32 s57, s7
	s_cbranch_execnz .LBB59_1104
.LBB59_1034:                            ;   in Loop: Header=BB59_3 Depth=1
	s_or_b32 exec_lo, exec_lo, s57
	s_and_saveexec_b32 s57, s8
	s_cbranch_execnz .LBB59_1105
.LBB59_1035:                            ;   in Loop: Header=BB59_3 Depth=1
	s_or_b32 exec_lo, exec_lo, s57
	s_and_saveexec_b32 s57, s9
	s_cbranch_execz .LBB59_1037
.LBB59_1036:                            ;   in Loop: Header=BB59_3 Depth=1
	ds_load_b64 v[32:33], v90 offset:24576
	ds_load_b64 v[36:37], v80 offset:384
	s_wait_dscnt 0x0
	v_pk_mul_f32 v[38:39], v[36:37], v[32:33] op_sel:[1,1] op_sel_hi:[0,1]
	s_delay_alu instid0(VALU_DEP_1) | instskip(SKIP_1) | instid1(VALU_DEP_2)
	v_pk_fma_f32 v[94:95], v[36:37], v[32:33], v[38:39] op_sel_hi:[1,0,1]
	v_pk_fma_f32 v[32:33], v[36:37], v[32:33], v[38:39] neg_lo:[0,0,1] neg_hi:[0,0,1]
	v_mov_b32_e32 v33, v95
	s_delay_alu instid0(VALU_DEP_1)
	v_pk_add_f32 v[30:31], v[30:31], v[32:33]
.LBB59_1037:                            ;   in Loop: Header=BB59_3 Depth=1
	s_or_b32 exec_lo, exec_lo, s57
	s_mov_b32 s67, 0
	s_mov_b32 s66, 0
	ds_store_b64 v88, v[30:31]
	s_wait_dscnt 0x0
	s_barrier_signal -1
	s_barrier_wait -1
                                        ; implicit-def: $vgpr32_vgpr33
	s_and_saveexec_b32 s57, s1
	s_cbranch_execz .LBB59_1106
; %bb.1038:                             ;   in Loop: Header=BB59_3 Depth=1
	ds_load_2addr_stride64_b64 v[36:39], v89 offset0:1 offset1:2
	ds_load_2addr_stride64_b64 v[94:97], v89 offset0:3 offset1:4
	;; [unrolled: 1-line block ×3, first 2 shown]
	s_mov_b32 s66, exec_lo
	s_wait_dscnt 0x2
	v_pk_add_f32 v[30:31], v[30:31], v[36:37]
	s_delay_alu instid0(VALU_DEP_1) | instskip(SKIP_3) | instid1(VALU_DEP_1)
	v_pk_add_f32 v[36:37], v[30:31], v[38:39]
	ds_load_2addr_stride64_b64 v[30:33], v89 offset0:7 offset1:8
	s_wait_dscnt 0x2
	v_pk_add_f32 v[36:37], v[36:37], v[94:95]
	v_pk_add_f32 v[94:95], v[36:37], v[96:97]
	ds_load_2addr_stride64_b64 v[36:39], v89 offset0:9 offset1:10
	s_wait_dscnt 0x2
	v_pk_add_f32 v[94:95], v[94:95], v[98:99]
	s_delay_alu instid0(VALU_DEP_1) | instskip(SKIP_3) | instid1(VALU_DEP_1)
	v_pk_add_f32 v[98:99], v[94:95], v[100:101]
	ds_load_2addr_stride64_b64 v[94:97], v89 offset0:11 offset1:12
	s_wait_dscnt 0x2
	v_pk_add_f32 v[30:31], v[98:99], v[30:31]
	v_pk_add_f32 v[30:31], v[30:31], v[32:33]
	s_wait_dscnt 0x1
	s_delay_alu instid0(VALU_DEP_1)
	v_pk_add_f32 v[36:37], v[30:31], v[36:37]
	ds_load_2addr_stride64_b64 v[30:33], v89 offset0:13 offset1:14
	v_pk_add_f32 v[36:37], v[36:37], v[38:39]
	ds_load_b64 v[38:39], v89 offset:7680
	s_wait_dscnt 0x2
	v_pk_add_f32 v[36:37], v[36:37], v[94:95]
	s_delay_alu instid0(VALU_DEP_1) | instskip(SKIP_1) | instid1(VALU_DEP_1)
	v_pk_add_f32 v[36:37], v[36:37], v[96:97]
	s_wait_dscnt 0x1
	v_pk_add_f32 v[30:31], v[36:37], v[30:31]
	s_delay_alu instid0(VALU_DEP_1) | instskip(SKIP_1) | instid1(VALU_DEP_1)
	v_pk_add_f32 v[30:31], v[30:31], v[32:33]
	s_wait_dscnt 0x0
	v_pk_add_f32 v[32:33], v[30:31], v[38:39]
	s_or_b32 exec_lo, exec_lo, s57
	s_delay_alu instid0(SALU_CYCLE_1)
	s_and_b32 vcc_lo, exec_lo, s67
	s_cbranch_vccnz .LBB59_1040
	s_branch .LBB59_1107
.LBB59_1039:                            ;   in Loop: Header=BB59_3 Depth=1
	s_mov_b32 s66, 0
                                        ; implicit-def: $vgpr32_vgpr33
	s_cbranch_execz .LBB59_1107
.LBB59_1040:                            ;   in Loop: Header=BB59_3 Depth=1
	v_dual_mov_b32 v30, v93 :: v_dual_mov_b32 v31, v82
	s_mov_b32 s67, 63
	s_branch .LBB59_1042
.LBB59_1041:                            ;   in Loop: Header=BB59_1042 Depth=2
	s_or_b32 exec_lo, exec_lo, s57
	v_add_nc_u32_e32 v31, 0xfffffc00, v31
	v_add_nc_u32_e32 v30, 2, v30
	s_add_co_i32 s67, s67, -2
	s_cmp_lg_u32 s88, 0
	s_barrier_signal -1
	s_barrier_wait -1
	s_cbranch_scc0 .LBB59_1050
.LBB59_1042:                            ;   Parent Loop BB59_3 Depth=1
                                        ; =>  This Inner Loop Header: Depth=2
	s_delay_alu instid0(VALU_DEP_1) | instskip(SKIP_2) | instid1(SALU_CYCLE_1)
	v_cmp_eq_u32_e32 vcc_lo, 0, v30
	v_add_nc_u32_e32 v32, v79, v43
	s_and_b32 s58, s1, vcc_lo
	s_and_saveexec_b32 s57, s58
	s_cbranch_execz .LBB59_1044
; %bb.1043:                             ;   in Loop: Header=BB59_1042 Depth=2
	ds_load_b64 v[36:37], v32
	s_wait_dscnt 0x0
	v_pk_mul_f32 v[38:39], v[34:35], v[36:37] op_sel:[1,1] op_sel_hi:[1,0]
	s_delay_alu instid0(VALU_DEP_1) | instskip(SKIP_1) | instid1(VALU_DEP_2)
	v_pk_fma_f32 v[94:95], v[34:35], v[36:37], v[38:39] op_sel_hi:[0,1,1]
	v_pk_fma_f32 v[36:37], v[34:35], v[36:37], v[38:39] neg_lo:[0,0,1] neg_hi:[0,0,1]
	v_mov_b32_e32 v37, v95
	s_delay_alu instid0(VALU_DEP_1)
	v_mov_b64_e32 v[34:35], v[36:37]
	ds_store_b64 v5, v[36:37] offset:41472
.LBB59_1044:                            ;   in Loop: Header=BB59_1042 Depth=2
	s_or_b32 exec_lo, exec_lo, s57
	v_cmp_gt_u32_e32 vcc_lo, s67, v2
	s_wait_dscnt 0x0
	s_barrier_signal -1
	s_barrier_wait -1
	s_and_b32 s58, s1, vcc_lo
	s_delay_alu instid0(SALU_CYCLE_1)
	s_and_saveexec_b32 s57, s58
	s_cbranch_execz .LBB59_1046
; %bb.1045:                             ;   in Loop: Header=BB59_1042 Depth=2
	ds_load_b64 v[36:37], v31 offset:512
	ds_load_b64 v[38:39], v5 offset:41472
	s_wait_dscnt 0x0
	v_pk_mul_f32 v[94:95], v[38:39], v[36:37] op_sel:[1,1] op_sel_hi:[0,1]
	s_delay_alu instid0(VALU_DEP_1) | instskip(SKIP_1) | instid1(VALU_DEP_2)
	v_pk_fma_f32 v[96:97], v[38:39], v[36:37], v[94:95] op_sel_hi:[1,0,1]
	v_pk_fma_f32 v[36:37], v[38:39], v[36:37], v[94:95] neg_lo:[0,0,1] neg_hi:[0,0,1]
	v_mov_b32_e32 v37, v97
	s_delay_alu instid0(VALU_DEP_1)
	v_pk_add_f32 v[34:35], v[34:35], v[36:37]
.LBB59_1046:                            ;   in Loop: Header=BB59_1042 Depth=2
	s_or_b32 exec_lo, exec_lo, s57
	s_add_co_i32 s88, s67, -1
	s_delay_alu instid0(SALU_CYCLE_1) | instskip(SKIP_3) | instid1(SALU_CYCLE_1)
	v_cmp_eq_u32_e32 vcc_lo, s88, v2
	s_barrier_signal -1
	s_barrier_wait -1
	s_and_b32 s58, s1, vcc_lo
	s_and_saveexec_b32 s57, s58
	s_cbranch_execz .LBB59_1048
; %bb.1047:                             ;   in Loop: Header=BB59_1042 Depth=2
	ds_load_b64 v[32:33], v32
	s_wait_dscnt 0x0
	v_pk_mul_f32 v[36:37], v[34:35], v[32:33] op_sel:[1,1] op_sel_hi:[1,0]
	s_delay_alu instid0(VALU_DEP_1) | instskip(SKIP_1) | instid1(VALU_DEP_2)
	v_pk_fma_f32 v[38:39], v[34:35], v[32:33], v[36:37] op_sel_hi:[0,1,1]
	v_pk_fma_f32 v[32:33], v[34:35], v[32:33], v[36:37] neg_lo:[0,0,1] neg_hi:[0,0,1]
	v_mov_b32_e32 v33, v39
	s_delay_alu instid0(VALU_DEP_1)
	v_mov_b64_e32 v[34:35], v[32:33]
	ds_store_b64 v5, v[32:33] offset:41472
.LBB59_1048:                            ;   in Loop: Header=BB59_1042 Depth=2
	s_or_b32 exec_lo, exec_lo, s57
	v_cmp_gt_u32_e32 vcc_lo, s88, v2
	s_wait_dscnt 0x0
	s_barrier_signal -1
	s_barrier_wait -1
	s_and_b32 s58, s1, vcc_lo
	s_delay_alu instid0(SALU_CYCLE_1)
	s_and_saveexec_b32 s57, s58
	s_cbranch_execz .LBB59_1041
; %bb.1049:                             ;   in Loop: Header=BB59_1042 Depth=2
	ds_load_b64 v[32:33], v31
	ds_load_b64 v[36:37], v5 offset:41472
	s_wait_dscnt 0x0
	v_pk_mul_f32 v[38:39], v[36:37], v[32:33] op_sel:[1,1] op_sel_hi:[0,1]
	s_delay_alu instid0(VALU_DEP_1) | instskip(SKIP_1) | instid1(VALU_DEP_2)
	v_pk_fma_f32 v[94:95], v[36:37], v[32:33], v[38:39] op_sel_hi:[1,0,1]
	v_pk_fma_f32 v[32:33], v[36:37], v[32:33], v[38:39] neg_lo:[0,0,1] neg_hi:[0,0,1]
	v_mov_b32_e32 v33, v95
	s_delay_alu instid0(VALU_DEP_1)
	v_pk_add_f32 v[34:35], v[34:35], v[32:33]
	s_branch .LBB59_1041
.LBB59_1050:                            ;   in Loop: Header=BB59_3 Depth=1
	s_and_b32 vcc_lo, exec_lo, s93
	s_mov_b32 s57, -1
	s_cbranch_vccnz .LBB59_1108
; %bb.1051:                             ;   in Loop: Header=BB59_3 Depth=1
	s_and_not1_b32 vcc_lo, exec_lo, s57
	s_cbranch_vccz .LBB59_1109
.LBB59_1052:                            ;   in Loop: Header=BB59_3 Depth=1
	s_and_saveexec_b32 s57, s66
	s_cbranch_execz .LBB59_1054
.LBB59_1053:                            ;   in Loop: Header=BB59_3 Depth=1
	v_lshl_add_u64 v[30:31], v[10:11], 3, s[68:69]
	global_store_b64 v[30:31], v[34:35], off
.LBB59_1054:                            ;   in Loop: Header=BB59_3 Depth=1
	s_wait_xcnt 0x0
	s_or_b32 exec_lo, exec_lo, s57
	global_wb scope:SCOPE_DEV
	s_wait_storecnt 0x0
	global_inv scope:SCOPE_DEV
	s_wait_loadcnt 0x0
	s_barrier_signal -1
	s_barrier_wait -1
	s_and_saveexec_b32 s57, s36
	s_cbranch_execz .LBB59_2
; %bb.1055:                             ;   in Loop: Header=BB59_3 Depth=1
	s_lshl_b64 s[66:67], s[84:85], 2
	s_delay_alu instid0(SALU_CYCLE_1)
	s_add_nc_u64 s[66:67], s[82:83], s[66:67]
	global_load_b32 v30, v5, s[66:67]
	s_wait_loadcnt 0x0
	v_add_nc_u32_e32 v30, 1, v30
	global_store_b32 v5, v30, s[66:67]
	s_branch .LBB59_2
.LBB59_1056:                            ;   in Loop: Header=BB59_3 Depth=1
	s_mov_b32 s57, exec_lo
	v_readlane_b32 s58, v104, 21
	s_and_b32 s58, s57, s58
	s_delay_alu instid0(SALU_CYCLE_1)
	s_xor_b32 s57, s58, s57
	s_mov_b32 exec_lo, s58
	s_cbranch_execz .LBB59_1060
; %bb.1057:                             ;   in Loop: Header=BB59_3 Depth=1
	v_readlane_b32 s59, v103, 9
	s_and_saveexec_b32 s58, s59
; %bb.1058:                             ;   in Loop: Header=BB59_3 Depth=1
	ds_store_b64 v73, v[28:29]
; %bb.1059:                             ;   in Loop: Header=BB59_3 Depth=1
	s_or_b32 exec_lo, exec_lo, s58
.LBB59_1060:                            ;   in Loop: Header=BB59_3 Depth=1
	s_and_not1_saveexec_b32 s69, s57
	s_cbranch_execz .LBB59_1066
; %bb.1061:                             ;   in Loop: Header=BB59_3 Depth=1
	v_lshl_add_u64 v[34:35], v[12:13], 3, s[66:67]
                                        ; implicit-def: $vgpr36_vgpr37
	global_load_b64 v[34:35], v[34:35], off
	s_wait_loadcnt 0x0
	v_cmp_ngt_f32_e64 s57, |v34|, |v35|
	s_wait_xcnt 0x0
	s_and_saveexec_b32 s58, s57
	s_delay_alu instid0(SALU_CYCLE_1)
	s_xor_b32 s57, exec_lo, s58
	s_cbranch_execz .LBB59_1063
; %bb.1062:                             ;   in Loop: Header=BB59_3 Depth=1
	v_div_scale_f32 v36, null, v35, v35, v34
	v_div_scale_f32 v39, vcc_lo, v34, v35, v34
	s_delay_alu instid0(VALU_DEP_2) | instskip(SKIP_1) | instid1(TRANS32_DEP_1)
	v_rcp_f32_e32 v37, v36
	v_nop
	v_fma_f32 v38, -v36, v37, 1.0
	s_delay_alu instid0(VALU_DEP_1) | instskip(NEXT) | instid1(VALU_DEP_1)
	v_fmac_f32_e32 v37, v38, v37
	v_mul_f32_e32 v38, v39, v37
	s_delay_alu instid0(VALU_DEP_1) | instskip(NEXT) | instid1(VALU_DEP_1)
	v_fma_f32 v94, -v36, v38, v39
	v_fmac_f32_e32 v38, v94, v37
	s_delay_alu instid0(VALU_DEP_1) | instskip(NEXT) | instid1(VALU_DEP_1)
	v_fma_f32 v36, -v36, v38, v39
	v_div_fmas_f32 v36, v36, v37, v38
	s_delay_alu instid0(VALU_DEP_1) | instskip(NEXT) | instid1(VALU_DEP_1)
	v_div_fixup_f32 v36, v36, v35, v34
	v_fmac_f32_e32 v35, v34, v36
	s_delay_alu instid0(VALU_DEP_1) | instskip(SKIP_1) | instid1(VALU_DEP_2)
	v_div_scale_f32 v34, null, v35, v35, 1.0
	v_div_scale_f32 v39, vcc_lo, 1.0, v35, 1.0
	v_rcp_f32_e32 v37, v34
	v_nop
	s_delay_alu instid0(TRANS32_DEP_1) | instskip(NEXT) | instid1(VALU_DEP_1)
	v_fma_f32 v38, -v34, v37, 1.0
	v_fmac_f32_e32 v37, v38, v37
	s_delay_alu instid0(VALU_DEP_1) | instskip(NEXT) | instid1(VALU_DEP_1)
	v_mul_f32_e32 v38, v39, v37
	v_fma_f32 v94, -v34, v38, v39
	s_delay_alu instid0(VALU_DEP_1) | instskip(NEXT) | instid1(VALU_DEP_1)
	v_fmac_f32_e32 v38, v94, v37
	v_fma_f32 v34, -v34, v38, v39
	s_delay_alu instid0(VALU_DEP_1) | instskip(NEXT) | instid1(VALU_DEP_1)
	v_div_fmas_f32 v34, v34, v37, v38
	v_div_fixup_f32 v34, v34, v35, 1.0
	s_delay_alu instid0(VALU_DEP_1)
	v_mul_f32_e32 v36, v36, v34
	v_xor_b32_e32 v37, 0x80000000, v34
                                        ; implicit-def: $vgpr34_vgpr35
.LBB59_1063:                            ;   in Loop: Header=BB59_3 Depth=1
	s_and_not1_saveexec_b32 s57, s57
	s_cbranch_execz .LBB59_1065
; %bb.1064:                             ;   in Loop: Header=BB59_3 Depth=1
	v_div_scale_f32 v36, null, v34, v34, v35
	v_div_scale_f32 v39, vcc_lo, v35, v34, v35
	s_delay_alu instid0(VALU_DEP_2) | instskip(SKIP_1) | instid1(TRANS32_DEP_1)
	v_rcp_f32_e32 v37, v36
	v_nop
	v_fma_f32 v38, -v36, v37, 1.0
	s_delay_alu instid0(VALU_DEP_1) | instskip(NEXT) | instid1(VALU_DEP_1)
	v_fmac_f32_e32 v37, v38, v37
	v_mul_f32_e32 v38, v39, v37
	s_delay_alu instid0(VALU_DEP_1) | instskip(NEXT) | instid1(VALU_DEP_1)
	v_fma_f32 v94, -v36, v38, v39
	v_fmac_f32_e32 v38, v94, v37
	s_delay_alu instid0(VALU_DEP_1) | instskip(NEXT) | instid1(VALU_DEP_1)
	v_fma_f32 v36, -v36, v38, v39
	v_div_fmas_f32 v36, v36, v37, v38
	s_delay_alu instid0(VALU_DEP_1) | instskip(NEXT) | instid1(VALU_DEP_1)
	v_div_fixup_f32 v37, v36, v34, v35
	v_fmac_f32_e32 v34, v35, v37
	s_delay_alu instid0(VALU_DEP_1) | instskip(NEXT) | instid1(VALU_DEP_1)
	v_div_scale_f32 v35, null, v34, v34, 1.0
	v_rcp_f32_e32 v36, v35
	v_nop
	s_delay_alu instid0(TRANS32_DEP_1) | instskip(NEXT) | instid1(VALU_DEP_1)
	v_fma_f32 v38, -v35, v36, 1.0
	v_fmac_f32_e32 v36, v38, v36
	v_div_scale_f32 v38, vcc_lo, 1.0, v34, 1.0
	s_delay_alu instid0(VALU_DEP_1) | instskip(NEXT) | instid1(VALU_DEP_1)
	v_mul_f32_e32 v39, v38, v36
	v_fma_f32 v94, -v35, v39, v38
	s_delay_alu instid0(VALU_DEP_1) | instskip(NEXT) | instid1(VALU_DEP_1)
	v_fmac_f32_e32 v39, v94, v36
	v_fma_f32 v35, -v35, v39, v38
	s_delay_alu instid0(VALU_DEP_1) | instskip(NEXT) | instid1(VALU_DEP_1)
	v_div_fmas_f32 v35, v35, v36, v39
	v_div_fixup_f32 v36, v35, v34, 1.0
	s_delay_alu instid0(VALU_DEP_1)
	v_mul_f32_e64 v37, v37, -v36
.LBB59_1065:                            ;   in Loop: Header=BB59_3 Depth=1
	s_or_b32 exec_lo, exec_lo, s57
	ds_store_b64 v73, v[36:37]
.LBB59_1066:                            ;   in Loop: Header=BB59_3 Depth=1
	s_or_b32 exec_lo, exec_lo, s69
	s_and_not1_saveexec_b32 s57, s68
	s_cbranch_execz .LBB59_18
.LBB59_1067:                            ;   in Loop: Header=BB59_3 Depth=1
	v_lshl_add_u64 v[34:35], v[12:13], 3, s[66:67]
	global_load_b64 v[34:35], v[34:35], off
	s_wait_loadcnt 0x0
	v_pk_add_f32 v[34:35], v[34:35], 0 neg_lo:[1,1] neg_hi:[1,1]
	ds_store_b64 v73, v[34:35]
	s_or_b32 exec_lo, exec_lo, s57
	s_and_saveexec_b32 s57, s7
	s_delay_alu instid0(SALU_CYCLE_1)
	s_xor_b32 s68, exec_lo, s57
	s_cbranch_execz .LBB59_19
.LBB59_1068:                            ;   in Loop: Header=BB59_3 Depth=1
	s_mov_b32 s57, exec_lo
	v_readlane_b32 s58, v104, 23
	s_and_b32 s58, s57, s58
	s_delay_alu instid0(SALU_CYCLE_1)
	s_xor_b32 s57, s58, s57
	s_mov_b32 exec_lo, s58
	s_cbranch_execz .LBB59_1072
; %bb.1069:                             ;   in Loop: Header=BB59_3 Depth=1
	v_readlane_b32 s59, v103, 10
	s_and_saveexec_b32 s58, s59
; %bb.1070:                             ;   in Loop: Header=BB59_3 Depth=1
	ds_store_b64 v74, v[28:29]
; %bb.1071:                             ;   in Loop: Header=BB59_3 Depth=1
	s_or_b32 exec_lo, exec_lo, s58
.LBB59_1072:                            ;   in Loop: Header=BB59_3 Depth=1
	s_and_not1_saveexec_b32 s69, s57
	s_cbranch_execz .LBB59_1078
; %bb.1073:                             ;   in Loop: Header=BB59_3 Depth=1
	v_lshl_add_u64 v[34:35], v[14:15], 3, s[66:67]
                                        ; implicit-def: $vgpr36_vgpr37
	global_load_b64 v[34:35], v[34:35], off
	s_wait_loadcnt 0x0
	v_cmp_ngt_f32_e64 s57, |v34|, |v35|
	s_wait_xcnt 0x0
	s_and_saveexec_b32 s58, s57
	s_delay_alu instid0(SALU_CYCLE_1)
	s_xor_b32 s57, exec_lo, s58
	s_cbranch_execz .LBB59_1075
; %bb.1074:                             ;   in Loop: Header=BB59_3 Depth=1
	v_div_scale_f32 v36, null, v35, v35, v34
	v_div_scale_f32 v39, vcc_lo, v34, v35, v34
	s_delay_alu instid0(VALU_DEP_2) | instskip(SKIP_1) | instid1(TRANS32_DEP_1)
	v_rcp_f32_e32 v37, v36
	v_nop
	v_fma_f32 v38, -v36, v37, 1.0
	s_delay_alu instid0(VALU_DEP_1) | instskip(NEXT) | instid1(VALU_DEP_1)
	v_fmac_f32_e32 v37, v38, v37
	v_mul_f32_e32 v38, v39, v37
	s_delay_alu instid0(VALU_DEP_1) | instskip(NEXT) | instid1(VALU_DEP_1)
	v_fma_f32 v94, -v36, v38, v39
	v_fmac_f32_e32 v38, v94, v37
	s_delay_alu instid0(VALU_DEP_1) | instskip(NEXT) | instid1(VALU_DEP_1)
	v_fma_f32 v36, -v36, v38, v39
	v_div_fmas_f32 v36, v36, v37, v38
	s_delay_alu instid0(VALU_DEP_1) | instskip(NEXT) | instid1(VALU_DEP_1)
	v_div_fixup_f32 v36, v36, v35, v34
	v_fmac_f32_e32 v35, v34, v36
	s_delay_alu instid0(VALU_DEP_1) | instskip(SKIP_1) | instid1(VALU_DEP_2)
	v_div_scale_f32 v34, null, v35, v35, 1.0
	v_div_scale_f32 v39, vcc_lo, 1.0, v35, 1.0
	v_rcp_f32_e32 v37, v34
	v_nop
	s_delay_alu instid0(TRANS32_DEP_1) | instskip(NEXT) | instid1(VALU_DEP_1)
	v_fma_f32 v38, -v34, v37, 1.0
	v_fmac_f32_e32 v37, v38, v37
	s_delay_alu instid0(VALU_DEP_1) | instskip(NEXT) | instid1(VALU_DEP_1)
	v_mul_f32_e32 v38, v39, v37
	v_fma_f32 v94, -v34, v38, v39
	s_delay_alu instid0(VALU_DEP_1) | instskip(NEXT) | instid1(VALU_DEP_1)
	v_fmac_f32_e32 v38, v94, v37
	v_fma_f32 v34, -v34, v38, v39
	s_delay_alu instid0(VALU_DEP_1) | instskip(NEXT) | instid1(VALU_DEP_1)
	v_div_fmas_f32 v34, v34, v37, v38
	v_div_fixup_f32 v34, v34, v35, 1.0
	s_delay_alu instid0(VALU_DEP_1)
	v_mul_f32_e32 v36, v36, v34
	v_xor_b32_e32 v37, 0x80000000, v34
                                        ; implicit-def: $vgpr34_vgpr35
.LBB59_1075:                            ;   in Loop: Header=BB59_3 Depth=1
	s_and_not1_saveexec_b32 s57, s57
	s_cbranch_execz .LBB59_1077
; %bb.1076:                             ;   in Loop: Header=BB59_3 Depth=1
	v_div_scale_f32 v36, null, v34, v34, v35
	v_div_scale_f32 v39, vcc_lo, v35, v34, v35
	s_delay_alu instid0(VALU_DEP_2) | instskip(SKIP_1) | instid1(TRANS32_DEP_1)
	v_rcp_f32_e32 v37, v36
	v_nop
	v_fma_f32 v38, -v36, v37, 1.0
	s_delay_alu instid0(VALU_DEP_1) | instskip(NEXT) | instid1(VALU_DEP_1)
	v_fmac_f32_e32 v37, v38, v37
	v_mul_f32_e32 v38, v39, v37
	s_delay_alu instid0(VALU_DEP_1) | instskip(NEXT) | instid1(VALU_DEP_1)
	v_fma_f32 v94, -v36, v38, v39
	v_fmac_f32_e32 v38, v94, v37
	s_delay_alu instid0(VALU_DEP_1) | instskip(NEXT) | instid1(VALU_DEP_1)
	v_fma_f32 v36, -v36, v38, v39
	v_div_fmas_f32 v36, v36, v37, v38
	s_delay_alu instid0(VALU_DEP_1) | instskip(NEXT) | instid1(VALU_DEP_1)
	v_div_fixup_f32 v37, v36, v34, v35
	v_fmac_f32_e32 v34, v35, v37
	s_delay_alu instid0(VALU_DEP_1) | instskip(NEXT) | instid1(VALU_DEP_1)
	v_div_scale_f32 v35, null, v34, v34, 1.0
	v_rcp_f32_e32 v36, v35
	v_nop
	s_delay_alu instid0(TRANS32_DEP_1) | instskip(NEXT) | instid1(VALU_DEP_1)
	v_fma_f32 v38, -v35, v36, 1.0
	v_fmac_f32_e32 v36, v38, v36
	v_div_scale_f32 v38, vcc_lo, 1.0, v34, 1.0
	s_delay_alu instid0(VALU_DEP_1) | instskip(NEXT) | instid1(VALU_DEP_1)
	v_mul_f32_e32 v39, v38, v36
	v_fma_f32 v94, -v35, v39, v38
	s_delay_alu instid0(VALU_DEP_1) | instskip(NEXT) | instid1(VALU_DEP_1)
	v_fmac_f32_e32 v39, v94, v36
	v_fma_f32 v35, -v35, v39, v38
	s_delay_alu instid0(VALU_DEP_1) | instskip(NEXT) | instid1(VALU_DEP_1)
	v_div_fmas_f32 v35, v35, v36, v39
	v_div_fixup_f32 v36, v35, v34, 1.0
	s_delay_alu instid0(VALU_DEP_1)
	v_mul_f32_e64 v37, v37, -v36
.LBB59_1077:                            ;   in Loop: Header=BB59_3 Depth=1
	s_or_b32 exec_lo, exec_lo, s57
	ds_store_b64 v74, v[36:37]
.LBB59_1078:                            ;   in Loop: Header=BB59_3 Depth=1
	s_or_b32 exec_lo, exec_lo, s69
	s_and_not1_saveexec_b32 s57, s68
	s_cbranch_execz .LBB59_20
.LBB59_1079:                            ;   in Loop: Header=BB59_3 Depth=1
	v_lshl_add_u64 v[34:35], v[14:15], 3, s[66:67]
	global_load_b64 v[34:35], v[34:35], off
	s_wait_loadcnt 0x0
	v_pk_add_f32 v[34:35], v[34:35], 0 neg_lo:[1,1] neg_hi:[1,1]
	ds_store_b64 v74, v[34:35]
	s_or_b32 exec_lo, exec_lo, s57
	s_and_saveexec_b32 s57, s8
	s_delay_alu instid0(SALU_CYCLE_1)
	s_xor_b32 s68, exec_lo, s57
	s_cbranch_execz .LBB59_21
.LBB59_1080:                            ;   in Loop: Header=BB59_3 Depth=1
	s_mov_b32 s57, exec_lo
	v_readlane_b32 s58, v104, 25
	s_and_b32 s58, s57, s58
	s_delay_alu instid0(SALU_CYCLE_1)
	s_xor_b32 s57, s58, s57
	s_mov_b32 exec_lo, s58
	s_cbranch_execz .LBB59_1084
; %bb.1081:                             ;   in Loop: Header=BB59_3 Depth=1
	v_readlane_b32 s59, v103, 11
	s_and_saveexec_b32 s58, s59
; %bb.1082:                             ;   in Loop: Header=BB59_3 Depth=1
	ds_store_b64 v76, v[28:29]
; %bb.1083:                             ;   in Loop: Header=BB59_3 Depth=1
	s_or_b32 exec_lo, exec_lo, s58
.LBB59_1084:                            ;   in Loop: Header=BB59_3 Depth=1
	s_and_not1_saveexec_b32 s69, s57
	s_cbranch_execz .LBB59_1090
; %bb.1085:                             ;   in Loop: Header=BB59_3 Depth=1
	v_lshl_add_u64 v[34:35], v[16:17], 3, s[66:67]
                                        ; implicit-def: $vgpr36_vgpr37
	global_load_b64 v[34:35], v[34:35], off
	s_wait_loadcnt 0x0
	v_cmp_ngt_f32_e64 s57, |v34|, |v35|
	s_wait_xcnt 0x0
	s_and_saveexec_b32 s58, s57
	s_delay_alu instid0(SALU_CYCLE_1)
	s_xor_b32 s57, exec_lo, s58
	s_cbranch_execz .LBB59_1087
; %bb.1086:                             ;   in Loop: Header=BB59_3 Depth=1
	v_div_scale_f32 v36, null, v35, v35, v34
	v_div_scale_f32 v39, vcc_lo, v34, v35, v34
	s_delay_alu instid0(VALU_DEP_2) | instskip(SKIP_1) | instid1(TRANS32_DEP_1)
	v_rcp_f32_e32 v37, v36
	v_nop
	v_fma_f32 v38, -v36, v37, 1.0
	s_delay_alu instid0(VALU_DEP_1) | instskip(NEXT) | instid1(VALU_DEP_1)
	v_fmac_f32_e32 v37, v38, v37
	v_mul_f32_e32 v38, v39, v37
	s_delay_alu instid0(VALU_DEP_1) | instskip(NEXT) | instid1(VALU_DEP_1)
	v_fma_f32 v94, -v36, v38, v39
	v_fmac_f32_e32 v38, v94, v37
	s_delay_alu instid0(VALU_DEP_1) | instskip(NEXT) | instid1(VALU_DEP_1)
	v_fma_f32 v36, -v36, v38, v39
	v_div_fmas_f32 v36, v36, v37, v38
	s_delay_alu instid0(VALU_DEP_1) | instskip(NEXT) | instid1(VALU_DEP_1)
	v_div_fixup_f32 v36, v36, v35, v34
	v_fmac_f32_e32 v35, v34, v36
	s_delay_alu instid0(VALU_DEP_1) | instskip(SKIP_1) | instid1(VALU_DEP_2)
	v_div_scale_f32 v34, null, v35, v35, 1.0
	v_div_scale_f32 v39, vcc_lo, 1.0, v35, 1.0
	v_rcp_f32_e32 v37, v34
	v_nop
	s_delay_alu instid0(TRANS32_DEP_1) | instskip(NEXT) | instid1(VALU_DEP_1)
	v_fma_f32 v38, -v34, v37, 1.0
	v_fmac_f32_e32 v37, v38, v37
	s_delay_alu instid0(VALU_DEP_1) | instskip(NEXT) | instid1(VALU_DEP_1)
	v_mul_f32_e32 v38, v39, v37
	v_fma_f32 v94, -v34, v38, v39
	s_delay_alu instid0(VALU_DEP_1) | instskip(NEXT) | instid1(VALU_DEP_1)
	v_fmac_f32_e32 v38, v94, v37
	v_fma_f32 v34, -v34, v38, v39
	s_delay_alu instid0(VALU_DEP_1) | instskip(NEXT) | instid1(VALU_DEP_1)
	v_div_fmas_f32 v34, v34, v37, v38
	v_div_fixup_f32 v34, v34, v35, 1.0
	s_delay_alu instid0(VALU_DEP_1)
	v_mul_f32_e32 v36, v36, v34
	v_xor_b32_e32 v37, 0x80000000, v34
                                        ; implicit-def: $vgpr34_vgpr35
.LBB59_1087:                            ;   in Loop: Header=BB59_3 Depth=1
	s_and_not1_saveexec_b32 s57, s57
	s_cbranch_execz .LBB59_1089
; %bb.1088:                             ;   in Loop: Header=BB59_3 Depth=1
	v_div_scale_f32 v36, null, v34, v34, v35
	v_div_scale_f32 v39, vcc_lo, v35, v34, v35
	s_delay_alu instid0(VALU_DEP_2) | instskip(SKIP_1) | instid1(TRANS32_DEP_1)
	v_rcp_f32_e32 v37, v36
	v_nop
	v_fma_f32 v38, -v36, v37, 1.0
	s_delay_alu instid0(VALU_DEP_1) | instskip(NEXT) | instid1(VALU_DEP_1)
	v_fmac_f32_e32 v37, v38, v37
	v_mul_f32_e32 v38, v39, v37
	s_delay_alu instid0(VALU_DEP_1) | instskip(NEXT) | instid1(VALU_DEP_1)
	v_fma_f32 v94, -v36, v38, v39
	v_fmac_f32_e32 v38, v94, v37
	s_delay_alu instid0(VALU_DEP_1) | instskip(NEXT) | instid1(VALU_DEP_1)
	v_fma_f32 v36, -v36, v38, v39
	v_div_fmas_f32 v36, v36, v37, v38
	s_delay_alu instid0(VALU_DEP_1) | instskip(NEXT) | instid1(VALU_DEP_1)
	v_div_fixup_f32 v37, v36, v34, v35
	v_fmac_f32_e32 v34, v35, v37
	s_delay_alu instid0(VALU_DEP_1) | instskip(NEXT) | instid1(VALU_DEP_1)
	v_div_scale_f32 v35, null, v34, v34, 1.0
	v_rcp_f32_e32 v36, v35
	v_nop
	s_delay_alu instid0(TRANS32_DEP_1) | instskip(NEXT) | instid1(VALU_DEP_1)
	v_fma_f32 v38, -v35, v36, 1.0
	v_fmac_f32_e32 v36, v38, v36
	v_div_scale_f32 v38, vcc_lo, 1.0, v34, 1.0
	s_delay_alu instid0(VALU_DEP_1) | instskip(NEXT) | instid1(VALU_DEP_1)
	v_mul_f32_e32 v39, v38, v36
	v_fma_f32 v94, -v35, v39, v38
	s_delay_alu instid0(VALU_DEP_1) | instskip(NEXT) | instid1(VALU_DEP_1)
	v_fmac_f32_e32 v39, v94, v36
	v_fma_f32 v35, -v35, v39, v38
	s_delay_alu instid0(VALU_DEP_1) | instskip(NEXT) | instid1(VALU_DEP_1)
	v_div_fmas_f32 v35, v35, v36, v39
	v_div_fixup_f32 v36, v35, v34, 1.0
	s_delay_alu instid0(VALU_DEP_1)
	v_mul_f32_e64 v37, v37, -v36
.LBB59_1089:                            ;   in Loop: Header=BB59_3 Depth=1
	s_or_b32 exec_lo, exec_lo, s57
	ds_store_b64 v76, v[36:37]
.LBB59_1090:                            ;   in Loop: Header=BB59_3 Depth=1
	s_or_b32 exec_lo, exec_lo, s69
	s_and_not1_saveexec_b32 s57, s68
	s_cbranch_execz .LBB59_22
.LBB59_1091:                            ;   in Loop: Header=BB59_3 Depth=1
	v_lshl_add_u64 v[34:35], v[16:17], 3, s[66:67]
	global_load_b64 v[34:35], v[34:35], off
	s_wait_loadcnt 0x0
	v_pk_add_f32 v[34:35], v[34:35], 0 neg_lo:[1,1] neg_hi:[1,1]
	ds_store_b64 v76, v[34:35]
	s_or_b32 exec_lo, exec_lo, s57
	s_and_saveexec_b32 s57, s9
	s_delay_alu instid0(SALU_CYCLE_1)
	s_xor_b32 s68, exec_lo, s57
	s_cbranch_execz .LBB59_23
.LBB59_1092:                            ;   in Loop: Header=BB59_3 Depth=1
	s_mov_b32 s57, exec_lo
	v_readlane_b32 s58, v104, 27
	s_and_b32 s58, s57, s58
	s_delay_alu instid0(SALU_CYCLE_1)
	s_xor_b32 s57, s58, s57
	s_mov_b32 exec_lo, s58
	s_cbranch_execz .LBB59_1096
; %bb.1093:                             ;   in Loop: Header=BB59_3 Depth=1
	v_readlane_b32 s59, v103, 12
	s_and_saveexec_b32 s58, s59
; %bb.1094:                             ;   in Loop: Header=BB59_3 Depth=1
	ds_store_b64 v77, v[28:29]
; %bb.1095:                             ;   in Loop: Header=BB59_3 Depth=1
	s_or_b32 exec_lo, exec_lo, s58
.LBB59_1096:                            ;   in Loop: Header=BB59_3 Depth=1
	s_and_not1_saveexec_b32 s69, s57
	s_cbranch_execz .LBB59_1102
; %bb.1097:                             ;   in Loop: Header=BB59_3 Depth=1
	v_lshl_add_u64 v[34:35], v[18:19], 3, s[66:67]
                                        ; implicit-def: $vgpr36_vgpr37
	global_load_b64 v[34:35], v[34:35], off
	s_wait_loadcnt 0x0
	v_cmp_ngt_f32_e64 s57, |v34|, |v35|
	s_wait_xcnt 0x0
	s_and_saveexec_b32 s58, s57
	s_delay_alu instid0(SALU_CYCLE_1)
	s_xor_b32 s57, exec_lo, s58
	s_cbranch_execz .LBB59_1099
; %bb.1098:                             ;   in Loop: Header=BB59_3 Depth=1
	v_div_scale_f32 v36, null, v35, v35, v34
	v_div_scale_f32 v39, vcc_lo, v34, v35, v34
	s_delay_alu instid0(VALU_DEP_2) | instskip(SKIP_1) | instid1(TRANS32_DEP_1)
	v_rcp_f32_e32 v37, v36
	v_nop
	v_fma_f32 v38, -v36, v37, 1.0
	s_delay_alu instid0(VALU_DEP_1) | instskip(NEXT) | instid1(VALU_DEP_1)
	v_fmac_f32_e32 v37, v38, v37
	v_mul_f32_e32 v38, v39, v37
	s_delay_alu instid0(VALU_DEP_1) | instskip(NEXT) | instid1(VALU_DEP_1)
	v_fma_f32 v94, -v36, v38, v39
	v_fmac_f32_e32 v38, v94, v37
	s_delay_alu instid0(VALU_DEP_1) | instskip(NEXT) | instid1(VALU_DEP_1)
	v_fma_f32 v36, -v36, v38, v39
	v_div_fmas_f32 v36, v36, v37, v38
	s_delay_alu instid0(VALU_DEP_1) | instskip(NEXT) | instid1(VALU_DEP_1)
	v_div_fixup_f32 v36, v36, v35, v34
	v_fmac_f32_e32 v35, v34, v36
	s_delay_alu instid0(VALU_DEP_1) | instskip(SKIP_1) | instid1(VALU_DEP_2)
	v_div_scale_f32 v34, null, v35, v35, 1.0
	v_div_scale_f32 v39, vcc_lo, 1.0, v35, 1.0
	v_rcp_f32_e32 v37, v34
	v_nop
	s_delay_alu instid0(TRANS32_DEP_1) | instskip(NEXT) | instid1(VALU_DEP_1)
	v_fma_f32 v38, -v34, v37, 1.0
	v_fmac_f32_e32 v37, v38, v37
	s_delay_alu instid0(VALU_DEP_1) | instskip(NEXT) | instid1(VALU_DEP_1)
	v_mul_f32_e32 v38, v39, v37
	v_fma_f32 v94, -v34, v38, v39
	s_delay_alu instid0(VALU_DEP_1) | instskip(NEXT) | instid1(VALU_DEP_1)
	v_fmac_f32_e32 v38, v94, v37
	v_fma_f32 v34, -v34, v38, v39
	s_delay_alu instid0(VALU_DEP_1) | instskip(NEXT) | instid1(VALU_DEP_1)
	v_div_fmas_f32 v34, v34, v37, v38
	v_div_fixup_f32 v34, v34, v35, 1.0
	s_delay_alu instid0(VALU_DEP_1)
	v_mul_f32_e32 v36, v36, v34
	v_xor_b32_e32 v37, 0x80000000, v34
                                        ; implicit-def: $vgpr34_vgpr35
.LBB59_1099:                            ;   in Loop: Header=BB59_3 Depth=1
	s_and_not1_saveexec_b32 s57, s57
	s_cbranch_execz .LBB59_1101
; %bb.1100:                             ;   in Loop: Header=BB59_3 Depth=1
	v_div_scale_f32 v36, null, v34, v34, v35
	v_div_scale_f32 v39, vcc_lo, v35, v34, v35
	s_delay_alu instid0(VALU_DEP_2) | instskip(SKIP_1) | instid1(TRANS32_DEP_1)
	v_rcp_f32_e32 v37, v36
	v_nop
	v_fma_f32 v38, -v36, v37, 1.0
	s_delay_alu instid0(VALU_DEP_1) | instskip(NEXT) | instid1(VALU_DEP_1)
	v_fmac_f32_e32 v37, v38, v37
	v_mul_f32_e32 v38, v39, v37
	s_delay_alu instid0(VALU_DEP_1) | instskip(NEXT) | instid1(VALU_DEP_1)
	v_fma_f32 v94, -v36, v38, v39
	v_fmac_f32_e32 v38, v94, v37
	s_delay_alu instid0(VALU_DEP_1) | instskip(NEXT) | instid1(VALU_DEP_1)
	v_fma_f32 v36, -v36, v38, v39
	v_div_fmas_f32 v36, v36, v37, v38
	s_delay_alu instid0(VALU_DEP_1) | instskip(NEXT) | instid1(VALU_DEP_1)
	v_div_fixup_f32 v37, v36, v34, v35
	v_fmac_f32_e32 v34, v35, v37
	s_delay_alu instid0(VALU_DEP_1) | instskip(NEXT) | instid1(VALU_DEP_1)
	v_div_scale_f32 v35, null, v34, v34, 1.0
	v_rcp_f32_e32 v36, v35
	v_nop
	s_delay_alu instid0(TRANS32_DEP_1) | instskip(NEXT) | instid1(VALU_DEP_1)
	v_fma_f32 v38, -v35, v36, 1.0
	v_fmac_f32_e32 v36, v38, v36
	v_div_scale_f32 v38, vcc_lo, 1.0, v34, 1.0
	s_delay_alu instid0(VALU_DEP_1) | instskip(NEXT) | instid1(VALU_DEP_1)
	v_mul_f32_e32 v39, v38, v36
	v_fma_f32 v94, -v35, v39, v38
	s_delay_alu instid0(VALU_DEP_1) | instskip(NEXT) | instid1(VALU_DEP_1)
	v_fmac_f32_e32 v39, v94, v36
	v_fma_f32 v35, -v35, v39, v38
	s_delay_alu instid0(VALU_DEP_1) | instskip(NEXT) | instid1(VALU_DEP_1)
	v_div_fmas_f32 v35, v35, v36, v39
	v_div_fixup_f32 v36, v35, v34, 1.0
	s_delay_alu instid0(VALU_DEP_1)
	v_mul_f32_e64 v37, v37, -v36
.LBB59_1101:                            ;   in Loop: Header=BB59_3 Depth=1
	s_or_b32 exec_lo, exec_lo, s57
	ds_store_b64 v77, v[36:37]
.LBB59_1102:                            ;   in Loop: Header=BB59_3 Depth=1
	s_or_b32 exec_lo, exec_lo, s69
	s_and_not1_saveexec_b32 s57, s68
	s_cbranch_execnz .LBB59_24
	s_branch .LBB59_25
.LBB59_1103:                            ;   in Loop: Header=BB59_3 Depth=1
	ds_load_b64 v[30:31], v90
	ds_load_b64 v[32:33], v80
	s_wait_dscnt 0x0
	v_dual_mul_f32 v36, v33, v31 :: v_dual_mul_f32 v31, v32, v31
	s_delay_alu instid0(VALU_DEP_1) | instskip(NEXT) | instid1(VALU_DEP_1)
	v_dual_fma_f32 v32, v32, v30, -v36 :: v_dual_fmac_f32 v31, v33, v30
	v_dual_add_f32 v30, 0, v32 :: v_dual_add_f32 v31, 0, v31
	s_or_b32 exec_lo, exec_lo, s57
	s_and_saveexec_b32 s57, s7
	s_cbranch_execz .LBB59_1034
.LBB59_1104:                            ;   in Loop: Header=BB59_3 Depth=1
	ds_load_b64 v[32:33], v90 offset:8192
	ds_load_b64 v[36:37], v80 offset:128
	s_wait_dscnt 0x0
	v_dual_mul_f32 v38, v37, v33 :: v_dual_mul_f32 v39, v36, v33
	s_delay_alu instid0(VALU_DEP_1) | instskip(NEXT) | instid1(VALU_DEP_1)
	v_dual_fma_f32 v38, v36, v32, -v38 :: v_dual_fmac_f32 v39, v37, v32
	v_pk_add_f32 v[30:31], v[30:31], v[38:39]
	s_or_b32 exec_lo, exec_lo, s57
	s_and_saveexec_b32 s57, s8
	s_cbranch_execz .LBB59_1035
.LBB59_1105:                            ;   in Loop: Header=BB59_3 Depth=1
	ds_load_b64 v[32:33], v90 offset:16384
	ds_load_b64 v[36:37], v80 offset:256
	s_wait_dscnt 0x0
	v_pk_mul_f32 v[38:39], v[36:37], v[32:33] op_sel:[1,1] op_sel_hi:[0,1]
	s_delay_alu instid0(VALU_DEP_1) | instskip(SKIP_1) | instid1(VALU_DEP_2)
	v_pk_fma_f32 v[94:95], v[36:37], v[32:33], v[38:39] op_sel_hi:[1,0,1]
	v_pk_fma_f32 v[32:33], v[36:37], v[32:33], v[38:39] neg_lo:[0,0,1] neg_hi:[0,0,1]
	v_mov_b32_e32 v33, v95
	s_delay_alu instid0(VALU_DEP_1)
	v_pk_add_f32 v[30:31], v[30:31], v[32:33]
	s_or_b32 exec_lo, exec_lo, s57
	s_and_saveexec_b32 s57, s9
	s_cbranch_execnz .LBB59_1036
	s_branch .LBB59_1037
.LBB59_1106:                            ;   in Loop: Header=BB59_3 Depth=1
	s_or_b32 exec_lo, exec_lo, s57
	s_delay_alu instid0(SALU_CYCLE_1)
	s_and_b32 vcc_lo, exec_lo, s67
	s_cbranch_vccnz .LBB59_1040
.LBB59_1107:                            ;   in Loop: Header=BB59_3 Depth=1
	v_mov_b64_e32 v[34:35], v[32:33]
	s_and_saveexec_b32 s57, s66
	s_cbranch_execnz .LBB59_1053
	s_branch .LBB59_1054
.LBB59_1108:                            ;   in Loop: Header=BB59_3 Depth=1
	s_and_not1_b32 s58, s66, exec_lo
	s_and_b32 s59, s1, exec_lo
	s_delay_alu instid0(SALU_CYCLE_1)
	s_or_b32 s66, s58, s59
	s_cbranch_execnz .LBB59_1052
.LBB59_1109:                            ;   in Loop: Header=BB59_3 Depth=1
	v_readlane_b32 s58, v104, 13
	s_and_not1_b32 s57, s66, exec_lo
	s_and_b32 s58, s58, exec_lo
	s_delay_alu instid0(SALU_CYCLE_1) | instskip(NEXT) | instid1(SALU_CYCLE_1)
	s_or_b32 s66, s57, s58
	s_and_saveexec_b32 s57, s66
	s_cbranch_execnz .LBB59_1053
	s_branch .LBB59_1054
.LBB59_1110:                            ;   in Loop: Header=BB59_3 Depth=1
	ds_load_b64 v[36:37], v49 offset:544
	ds_load_b64 v[38:39], v44 offset:8
	s_wait_dscnt 0x0
	v_pk_mul_f32 v[94:95], v[38:39], v[36:37] op_sel:[0,1]
	s_delay_alu instid0(VALU_DEP_1) | instskip(SKIP_1) | instid1(VALU_DEP_2)
	v_pk_fma_f32 v[96:97], v[38:39], v[36:37], v[94:95] op_sel:[1,0,0] op_sel_hi:[0,0,1] neg_lo:[0,0,1] neg_hi:[0,0,1]
	v_pk_fma_f32 v[36:37], v[38:39], v[36:37], v[94:95] op_sel:[1,0,0] op_sel_hi:[0,1,1]
	v_mov_b32_e32 v37, v97
	s_delay_alu instid0(VALU_DEP_1)
	v_pk_add_f32 v[34:35], v[34:35], v[36:37]
	s_or_b32 exec_lo, exec_lo, s57
	s_and_saveexec_b32 s57, s17
	s_cbranch_execz .LBB59_106
.LBB59_1111:                            ;   in Loop: Header=BB59_3 Depth=1
	ds_load_b64 v[36:37], v48 offset:1056
	ds_load_b64 v[38:39], v44 offset:16
	s_wait_dscnt 0x0
	v_pk_mul_f32 v[94:95], v[38:39], v[36:37] op_sel:[0,1]
	s_delay_alu instid0(VALU_DEP_1) | instskip(SKIP_1) | instid1(VALU_DEP_2)
	v_pk_fma_f32 v[96:97], v[38:39], v[36:37], v[94:95] op_sel:[1,0,0] op_sel_hi:[0,0,1] neg_lo:[0,0,1] neg_hi:[0,0,1]
	v_pk_fma_f32 v[36:37], v[38:39], v[36:37], v[94:95] op_sel:[1,0,0] op_sel_hi:[0,1,1]
	v_mov_b32_e32 v37, v97
	s_delay_alu instid0(VALU_DEP_1)
	v_pk_add_f32 v[34:35], v[34:35], v[36:37]
	s_or_b32 exec_lo, exec_lo, s57
	s_and_saveexec_b32 s57, s0
	s_cbranch_execnz .LBB59_107
	s_branch .LBB59_108
.LBB59_1112:                            ;   in Loop: Header=BB59_3 Depth=1
	ds_load_b64 v[36:37], v59 offset:576
	ds_load_b64 v[38:39], v54 offset:8
	s_wait_dscnt 0x0
	v_dual_mul_f32 v94, v39, v37 :: v_dual_mul_f32 v37, v38, v37
	s_delay_alu instid0(VALU_DEP_1) | instskip(NEXT) | instid1(VALU_DEP_1)
	v_dual_fma_f32 v38, v38, v36, -v94 :: v_dual_fmac_f32 v37, v39, v36
	v_dual_add_f32 v35, v35, v38 :: v_dual_add_f32 v34, v34, v37
	s_or_b32 exec_lo, exec_lo, s57
	s_and_saveexec_b32 s57, s19
	s_cbranch_execz .LBB59_148
.LBB59_1113:                            ;   in Loop: Header=BB59_3 Depth=1
	ds_load_b64 v[36:37], v59 offset:1088
	ds_load_b64 v[38:39], v54 offset:16
	s_wait_dscnt 0x0
	v_dual_mul_f32 v94, v39, v37 :: v_dual_mul_f32 v37, v38, v37
	s_delay_alu instid0(VALU_DEP_1) | instskip(NEXT) | instid1(VALU_DEP_1)
	v_dual_fma_f32 v38, v38, v36, -v94 :: v_dual_fmac_f32 v37, v39, v36
	v_dual_add_f32 v35, v35, v38 :: v_dual_add_f32 v34, v34, v37
	s_or_b32 exec_lo, exec_lo, s57
	s_and_saveexec_b32 s57, s20
	s_cbranch_execz .LBB59_149
.LBB59_1114:                            ;   in Loop: Header=BB59_3 Depth=1
	ds_load_b64 v[36:37], v59 offset:1600
	ds_load_b64 v[38:39], v54 offset:24
	s_wait_dscnt 0x0
	v_dual_mul_f32 v94, v39, v37 :: v_dual_mul_f32 v37, v38, v37
	s_delay_alu instid0(VALU_DEP_1) | instskip(NEXT) | instid1(VALU_DEP_1)
	v_dual_fma_f32 v38, v38, v36, -v94 :: v_dual_fmac_f32 v37, v39, v36
	v_dual_add_f32 v35, v35, v38 :: v_dual_add_f32 v34, v34, v37
	s_or_b32 exec_lo, exec_lo, s57
	s_and_saveexec_b32 s57, s21
	s_cbranch_execz .LBB59_150
.LBB59_1115:                            ;   in Loop: Header=BB59_3 Depth=1
	ds_load_b64 v[36:37], v58 offset:2112
	ds_load_b64 v[38:39], v54 offset:32
	s_wait_dscnt 0x0
	v_dual_mul_f32 v95, v39, v37 :: v_dual_mul_f32 v94, v38, v37
	s_delay_alu instid0(VALU_DEP_1) | instskip(NEXT) | instid1(VALU_DEP_1)
	v_dual_fma_f32 v95, v38, v36, -v95 :: v_dual_fmac_f32 v94, v39, v36
	v_pk_add_f32 v[34:35], v[34:35], v[94:95]
	s_or_b32 exec_lo, exec_lo, s57
	s_and_saveexec_b32 s57, s22
	s_cbranch_execz .LBB59_151
.LBB59_1116:                            ;   in Loop: Header=BB59_3 Depth=1
	ds_load_b64 v[36:37], v59 offset:2624
	ds_load_b64 v[38:39], v54 offset:40
	s_wait_dscnt 0x0
	v_pk_mul_f32 v[94:95], v[38:39], v[36:37] op_sel:[0,1]
	s_delay_alu instid0(VALU_DEP_1) | instskip(SKIP_1) | instid1(VALU_DEP_2)
	v_pk_fma_f32 v[96:97], v[38:39], v[36:37], v[94:95] op_sel:[1,0,0] op_sel_hi:[0,0,1] neg_lo:[0,0,1] neg_hi:[0,0,1]
	v_pk_fma_f32 v[36:37], v[38:39], v[36:37], v[94:95] op_sel:[1,0,0] op_sel_hi:[0,1,1]
	v_mov_b32_e32 v37, v97
	s_delay_alu instid0(VALU_DEP_1)
	v_pk_add_f32 v[34:35], v[34:35], v[36:37]
	s_or_b32 exec_lo, exec_lo, s57
	s_and_saveexec_b32 s57, s2
	s_cbranch_execz .LBB59_152
.LBB59_1117:                            ;   in Loop: Header=BB59_3 Depth=1
	ds_load_b64 v[36:37], v58 offset:3136
	ds_load_b64 v[38:39], v54 offset:48
	s_wait_dscnt 0x0
	v_pk_mul_f32 v[94:95], v[38:39], v[36:37] op_sel:[0,1]
	s_delay_alu instid0(VALU_DEP_1) | instskip(SKIP_1) | instid1(VALU_DEP_2)
	v_pk_fma_f32 v[96:97], v[38:39], v[36:37], v[94:95] op_sel:[1,0,0] op_sel_hi:[0,0,1] neg_lo:[0,0,1] neg_hi:[0,0,1]
	v_pk_fma_f32 v[36:37], v[38:39], v[36:37], v[94:95] op_sel:[1,0,0] op_sel_hi:[0,1,1]
	v_mov_b32_e32 v37, v97
	s_delay_alu instid0(VALU_DEP_1)
	v_pk_add_f32 v[34:35], v[34:35], v[36:37]
	s_or_b32 exec_lo, exec_lo, s57
	s_and_saveexec_b32 s57, s17
	s_cbranch_execnz .LBB59_153
	s_branch .LBB59_154
.LBB59_1118:                            ;   in Loop: Header=BB59_3 Depth=1
	ds_load_b64 v[36:37], v49 offset:4704
	ds_load_b64 v[38:39], v44 offset:4168
	s_wait_dscnt 0x0
	v_pk_mul_f32 v[94:95], v[38:39], v[36:37] op_sel:[0,1]
	s_delay_alu instid0(VALU_DEP_1) | instskip(SKIP_1) | instid1(VALU_DEP_2)
	v_pk_fma_f32 v[96:97], v[38:39], v[36:37], v[94:95] op_sel:[1,0,0] op_sel_hi:[0,0,1] neg_lo:[0,0,1] neg_hi:[0,0,1]
	v_pk_fma_f32 v[36:37], v[38:39], v[36:37], v[94:95] op_sel:[1,0,0] op_sel_hi:[0,1,1]
	v_mov_b32_e32 v37, v97
	s_delay_alu instid0(VALU_DEP_1)
	v_pk_add_f32 v[34:35], v[34:35], v[36:37]
	s_or_b32 exec_lo, exec_lo, s57
	s_and_saveexec_b32 s57, s17
	s_cbranch_execz .LBB59_210
.LBB59_1119:                            ;   in Loop: Header=BB59_3 Depth=1
	ds_load_b64 v[36:37], v48 offset:5216
	ds_load_b64 v[38:39], v44 offset:4176
	s_wait_dscnt 0x0
	v_pk_mul_f32 v[94:95], v[38:39], v[36:37] op_sel:[0,1]
	s_delay_alu instid0(VALU_DEP_1) | instskip(SKIP_1) | instid1(VALU_DEP_2)
	v_pk_fma_f32 v[96:97], v[38:39], v[36:37], v[94:95] op_sel:[1,0,0] op_sel_hi:[0,0,1] neg_lo:[0,0,1] neg_hi:[0,0,1]
	v_pk_fma_f32 v[36:37], v[38:39], v[36:37], v[94:95] op_sel:[1,0,0] op_sel_hi:[0,1,1]
	v_mov_b32_e32 v37, v97
	s_delay_alu instid0(VALU_DEP_1)
	v_pk_add_f32 v[34:35], v[34:35], v[36:37]
	s_or_b32 exec_lo, exec_lo, s57
	s_and_saveexec_b32 s57, s0
	s_cbranch_execnz .LBB59_211
	s_branch .LBB59_212
.LBB59_1120:                            ;   in Loop: Header=BB59_3 Depth=1
	ds_load_b64 v[36:37], v64 offset:5760
	ds_load_b64 v[38:39], v60 offset:88
	s_wait_dscnt 0x0
	v_dual_mul_f32 v94, v39, v37 :: v_dual_mul_f32 v37, v38, v37
	s_delay_alu instid0(VALU_DEP_1) | instskip(NEXT) | instid1(VALU_DEP_1)
	v_dual_fma_f32 v38, v38, v36, -v94 :: v_dual_fmac_f32 v37, v39, v36
	v_dual_add_f32 v35, v35, v38 :: v_dual_add_f32 v34, v34, v37
	s_or_b32 exec_lo, exec_lo, s57
	s_and_saveexec_b32 s57, s3
	s_cbranch_execz .LBB59_272
.LBB59_1121:                            ;   in Loop: Header=BB59_3 Depth=1
	ds_load_b64 v[36:37], v63 offset:6272
	ds_load_b64 v[38:39], v60 offset:96
	s_wait_dscnt 0x0
	v_dual_mul_f32 v95, v39, v37 :: v_dual_mul_f32 v94, v38, v37
	s_delay_alu instid0(VALU_DEP_1) | instskip(NEXT) | instid1(VALU_DEP_1)
	v_dual_fma_f32 v95, v38, v36, -v95 :: v_dual_fmac_f32 v94, v39, v36
	v_pk_add_f32 v[34:35], v[34:35], v[94:95]
	s_or_b32 exec_lo, exec_lo, s57
	s_and_saveexec_b32 s57, s19
	s_cbranch_execz .LBB59_273
.LBB59_1122:                            ;   in Loop: Header=BB59_3 Depth=1
	ds_load_b64 v[36:37], v64 offset:6784
	ds_load_b64 v[38:39], v60 offset:104
	s_wait_dscnt 0x0
	v_pk_mul_f32 v[94:95], v[38:39], v[36:37] op_sel:[0,1]
	s_delay_alu instid0(VALU_DEP_1) | instskip(SKIP_1) | instid1(VALU_DEP_2)
	v_pk_fma_f32 v[96:97], v[38:39], v[36:37], v[94:95] op_sel:[1,0,0] op_sel_hi:[0,0,1] neg_lo:[0,0,1] neg_hi:[0,0,1]
	v_pk_fma_f32 v[36:37], v[38:39], v[36:37], v[94:95] op_sel:[1,0,0] op_sel_hi:[0,1,1]
	v_mov_b32_e32 v37, v97
	s_delay_alu instid0(VALU_DEP_1)
	v_pk_add_f32 v[34:35], v[34:35], v[36:37]
	s_or_b32 exec_lo, exec_lo, s57
	s_and_saveexec_b32 s57, s21
	s_cbranch_execz .LBB59_274
.LBB59_1123:                            ;   in Loop: Header=BB59_3 Depth=1
	ds_load_b64 v[36:37], v63 offset:7296
	ds_load_b64 v[38:39], v60 offset:112
	s_wait_dscnt 0x0
	v_pk_mul_f32 v[94:95], v[38:39], v[36:37] op_sel:[0,1]
	s_delay_alu instid0(VALU_DEP_1) | instskip(SKIP_1) | instid1(VALU_DEP_2)
	v_pk_fma_f32 v[96:97], v[38:39], v[36:37], v[94:95] op_sel:[1,0,0] op_sel_hi:[0,0,1] neg_lo:[0,0,1] neg_hi:[0,0,1]
	v_pk_fma_f32 v[36:37], v[38:39], v[36:37], v[94:95] op_sel:[1,0,0] op_sel_hi:[0,1,1]
	v_mov_b32_e32 v37, v97
	s_delay_alu instid0(VALU_DEP_1)
	v_pk_add_f32 v[34:35], v[34:35], v[36:37]
	s_or_b32 exec_lo, exec_lo, s57
	s_and_saveexec_b32 s57, s2
	s_cbranch_execnz .LBB59_275
	s_branch .LBB59_276
.LBB59_1124:                            ;   in Loop: Header=BB59_3 Depth=1
	ds_load_b64 v[36:37], v49 offset:8864
	ds_load_b64 v[38:39], v44 offset:8328
	s_wait_dscnt 0x0
	v_pk_mul_f32 v[94:95], v[38:39], v[36:37] op_sel:[0,1]
	s_delay_alu instid0(VALU_DEP_1) | instskip(SKIP_1) | instid1(VALU_DEP_2)
	v_pk_fma_f32 v[96:97], v[38:39], v[36:37], v[94:95] op_sel:[1,0,0] op_sel_hi:[0,0,1] neg_lo:[0,0,1] neg_hi:[0,0,1]
	v_pk_fma_f32 v[36:37], v[38:39], v[36:37], v[94:95] op_sel:[1,0,0] op_sel_hi:[0,1,1]
	v_mov_b32_e32 v37, v97
	s_delay_alu instid0(VALU_DEP_1)
	v_pk_add_f32 v[34:35], v[34:35], v[36:37]
	s_or_b32 exec_lo, exec_lo, s57
	s_and_saveexec_b32 s57, s17
	s_cbranch_execz .LBB59_364
.LBB59_1125:                            ;   in Loop: Header=BB59_3 Depth=1
	ds_load_b64 v[36:37], v48 offset:9376
	ds_load_b64 v[38:39], v44 offset:8336
	s_wait_dscnt 0x0
	v_pk_mul_f32 v[94:95], v[38:39], v[36:37] op_sel:[0,1]
	s_delay_alu instid0(VALU_DEP_1) | instskip(SKIP_1) | instid1(VALU_DEP_2)
	v_pk_fma_f32 v[96:97], v[38:39], v[36:37], v[94:95] op_sel:[1,0,0] op_sel_hi:[0,0,1] neg_lo:[0,0,1] neg_hi:[0,0,1]
	v_pk_fma_f32 v[36:37], v[38:39], v[36:37], v[94:95] op_sel:[1,0,0] op_sel_hi:[0,1,1]
	v_mov_b32_e32 v37, v97
	s_delay_alu instid0(VALU_DEP_1)
	v_pk_add_f32 v[34:35], v[34:35], v[36:37]
	s_or_b32 exec_lo, exec_lo, s57
	s_and_saveexec_b32 s57, s0
	s_cbranch_execnz .LBB59_365
	s_branch .LBB59_366
.LBB59_1126:                            ;   in Loop: Header=BB59_3 Depth=1
	ds_load_b64 v[36:37], v59 offset:8896
	ds_load_b64 v[38:39], v54 offset:8328
	s_wait_dscnt 0x0
	v_dual_mul_f32 v94, v39, v37 :: v_dual_mul_f32 v37, v38, v37
	s_delay_alu instid0(VALU_DEP_1) | instskip(NEXT) | instid1(VALU_DEP_1)
	v_dual_fma_f32 v38, v38, v36, -v94 :: v_dual_fmac_f32 v37, v39, v36
	v_dual_add_f32 v35, v35, v38 :: v_dual_add_f32 v34, v34, v37
	s_or_b32 exec_lo, exec_lo, s57
	s_and_saveexec_b32 s57, s19
	s_cbranch_execz .LBB59_406
.LBB59_1127:                            ;   in Loop: Header=BB59_3 Depth=1
	ds_load_b64 v[36:37], v59 offset:9408
	ds_load_b64 v[38:39], v54 offset:8336
	s_wait_dscnt 0x0
	v_dual_mul_f32 v94, v39, v37 :: v_dual_mul_f32 v37, v38, v37
	s_delay_alu instid0(VALU_DEP_1) | instskip(NEXT) | instid1(VALU_DEP_1)
	v_dual_fma_f32 v38, v38, v36, -v94 :: v_dual_fmac_f32 v37, v39, v36
	v_dual_add_f32 v35, v35, v38 :: v_dual_add_f32 v34, v34, v37
	s_or_b32 exec_lo, exec_lo, s57
	s_and_saveexec_b32 s57, s20
	s_cbranch_execz .LBB59_407
.LBB59_1128:                            ;   in Loop: Header=BB59_3 Depth=1
	ds_load_b64 v[36:37], v59 offset:9920
	ds_load_b64 v[38:39], v54 offset:8344
	s_wait_dscnt 0x0
	v_dual_mul_f32 v94, v39, v37 :: v_dual_mul_f32 v37, v38, v37
	s_delay_alu instid0(VALU_DEP_1) | instskip(NEXT) | instid1(VALU_DEP_1)
	v_dual_fma_f32 v38, v38, v36, -v94 :: v_dual_fmac_f32 v37, v39, v36
	v_dual_add_f32 v35, v35, v38 :: v_dual_add_f32 v34, v34, v37
	s_or_b32 exec_lo, exec_lo, s57
	s_and_saveexec_b32 s57, s21
	s_cbranch_execz .LBB59_408
.LBB59_1129:                            ;   in Loop: Header=BB59_3 Depth=1
	ds_load_b64 v[36:37], v58 offset:10432
	ds_load_b64 v[38:39], v54 offset:8352
	s_wait_dscnt 0x0
	v_dual_mul_f32 v95, v39, v37 :: v_dual_mul_f32 v94, v38, v37
	s_delay_alu instid0(VALU_DEP_1) | instskip(NEXT) | instid1(VALU_DEP_1)
	v_dual_fma_f32 v95, v38, v36, -v95 :: v_dual_fmac_f32 v94, v39, v36
	v_pk_add_f32 v[34:35], v[34:35], v[94:95]
	s_or_b32 exec_lo, exec_lo, s57
	s_and_saveexec_b32 s57, s22
	s_cbranch_execz .LBB59_409
.LBB59_1130:                            ;   in Loop: Header=BB59_3 Depth=1
	ds_load_b64 v[36:37], v59 offset:10944
	ds_load_b64 v[38:39], v54 offset:8360
	s_wait_dscnt 0x0
	v_pk_mul_f32 v[94:95], v[38:39], v[36:37] op_sel:[0,1]
	s_delay_alu instid0(VALU_DEP_1) | instskip(SKIP_1) | instid1(VALU_DEP_2)
	v_pk_fma_f32 v[96:97], v[38:39], v[36:37], v[94:95] op_sel:[1,0,0] op_sel_hi:[0,0,1] neg_lo:[0,0,1] neg_hi:[0,0,1]
	v_pk_fma_f32 v[36:37], v[38:39], v[36:37], v[94:95] op_sel:[1,0,0] op_sel_hi:[0,1,1]
	v_mov_b32_e32 v37, v97
	s_delay_alu instid0(VALU_DEP_1)
	v_pk_add_f32 v[34:35], v[34:35], v[36:37]
	s_or_b32 exec_lo, exec_lo, s57
	s_and_saveexec_b32 s57, s2
	s_cbranch_execz .LBB59_410
.LBB59_1131:                            ;   in Loop: Header=BB59_3 Depth=1
	ds_load_b64 v[36:37], v58 offset:11456
	ds_load_b64 v[38:39], v54 offset:8368
	s_wait_dscnt 0x0
	v_pk_mul_f32 v[94:95], v[38:39], v[36:37] op_sel:[0,1]
	s_delay_alu instid0(VALU_DEP_1) | instskip(SKIP_1) | instid1(VALU_DEP_2)
	v_pk_fma_f32 v[96:97], v[38:39], v[36:37], v[94:95] op_sel:[1,0,0] op_sel_hi:[0,0,1] neg_lo:[0,0,1] neg_hi:[0,0,1]
	v_pk_fma_f32 v[36:37], v[38:39], v[36:37], v[94:95] op_sel:[1,0,0] op_sel_hi:[0,1,1]
	v_mov_b32_e32 v37, v97
	s_delay_alu instid0(VALU_DEP_1)
	v_pk_add_f32 v[34:35], v[34:35], v[36:37]
	s_or_b32 exec_lo, exec_lo, s57
	s_and_saveexec_b32 s57, s17
	s_cbranch_execnz .LBB59_411
	s_branch .LBB59_412
.LBB59_1132:                            ;   in Loop: Header=BB59_3 Depth=1
	ds_load_b64 v[36:37], v49 offset:13024
	ds_load_b64 v[38:39], v44 offset:12488
	s_wait_dscnt 0x0
	v_pk_mul_f32 v[94:95], v[38:39], v[36:37] op_sel:[0,1]
	s_delay_alu instid0(VALU_DEP_1) | instskip(SKIP_1) | instid1(VALU_DEP_2)
	v_pk_fma_f32 v[96:97], v[38:39], v[36:37], v[94:95] op_sel:[1,0,0] op_sel_hi:[0,0,1] neg_lo:[0,0,1] neg_hi:[0,0,1]
	v_pk_fma_f32 v[36:37], v[38:39], v[36:37], v[94:95] op_sel:[1,0,0] op_sel_hi:[0,1,1]
	v_mov_b32_e32 v37, v97
	s_delay_alu instid0(VALU_DEP_1)
	v_pk_add_f32 v[34:35], v[34:35], v[36:37]
	s_or_b32 exec_lo, exec_lo, s57
	s_and_saveexec_b32 s57, s17
	s_cbranch_execz .LBB59_468
.LBB59_1133:                            ;   in Loop: Header=BB59_3 Depth=1
	ds_load_b64 v[36:37], v48 offset:13536
	ds_load_b64 v[38:39], v44 offset:12496
	s_wait_dscnt 0x0
	v_pk_mul_f32 v[94:95], v[38:39], v[36:37] op_sel:[0,1]
	s_delay_alu instid0(VALU_DEP_1) | instskip(SKIP_1) | instid1(VALU_DEP_2)
	v_pk_fma_f32 v[96:97], v[38:39], v[36:37], v[94:95] op_sel:[1,0,0] op_sel_hi:[0,0,1] neg_lo:[0,0,1] neg_hi:[0,0,1]
	v_pk_fma_f32 v[36:37], v[38:39], v[36:37], v[94:95] op_sel:[1,0,0] op_sel_hi:[0,1,1]
	v_mov_b32_e32 v37, v97
	s_delay_alu instid0(VALU_DEP_1)
	v_pk_add_f32 v[34:35], v[34:35], v[36:37]
	s_or_b32 exec_lo, exec_lo, s57
	s_and_saveexec_b32 s57, s0
	s_cbranch_execnz .LBB59_469
	s_branch .LBB59_470
.LBB59_1134:                            ;   in Loop: Header=BB59_3 Depth=1
	ds_load_b64 v[38:39], v37 offset:15104
	ds_load_b64 v[94:95], v36 offset:232
	s_wait_dscnt 0x0
	v_pk_mul_f32 v[96:97], v[94:95], v[38:39] op_sel:[1,1] op_sel_hi:[0,1]
	s_delay_alu instid0(VALU_DEP_1) | instskip(SKIP_1) | instid1(VALU_DEP_2)
	v_pk_fma_f32 v[98:99], v[94:95], v[38:39], v[96:97] op_sel_hi:[1,0,1]
	v_pk_fma_f32 v[38:39], v[94:95], v[38:39], v[96:97] neg_lo:[0,0,1] neg_hi:[0,0,1]
	v_mov_b32_e32 v39, v99
	s_delay_alu instid0(VALU_DEP_1)
	v_pk_add_f32 v[34:35], v[34:35], v[38:39]
	s_or_b32 exec_lo, exec_lo, s57
	s_and_saveexec_b32 s57, s3
	s_cbranch_execz .LBB59_566
.LBB59_1135:                            ;   in Loop: Header=BB59_3 Depth=1
	ds_load_b64 v[38:39], v37 offset:15616
	ds_load_b64 v[94:95], v36 offset:240
	s_wait_dscnt 0x0
	v_pk_mul_f32 v[96:97], v[94:95], v[38:39] op_sel:[1,1] op_sel_hi:[0,1]
	s_delay_alu instid0(VALU_DEP_1) | instskip(SKIP_1) | instid1(VALU_DEP_2)
	v_pk_fma_f32 v[98:99], v[94:95], v[38:39], v[96:97] op_sel_hi:[1,0,1]
	v_pk_fma_f32 v[38:39], v[94:95], v[38:39], v[96:97] neg_lo:[0,0,1] neg_hi:[0,0,1]
	v_mov_b32_e32 v39, v99
	s_delay_alu instid0(VALU_DEP_1)
	v_pk_add_f32 v[34:35], v[34:35], v[38:39]
	s_or_b32 exec_lo, exec_lo, s57
	s_and_saveexec_b32 s57, s21
	s_cbranch_execnz .LBB59_567
	s_branch .LBB59_568
.LBB59_1136:                            ;   in Loop: Header=BB59_3 Depth=1
	ds_load_b64 v[36:37], v49 offset:17184
	ds_load_b64 v[38:39], v44 offset:16648
	s_wait_dscnt 0x0
	v_pk_mul_f32 v[94:95], v[38:39], v[36:37] op_sel:[0,1]
	s_delay_alu instid0(VALU_DEP_1) | instskip(SKIP_1) | instid1(VALU_DEP_2)
	v_pk_fma_f32 v[96:97], v[38:39], v[36:37], v[94:95] op_sel:[1,0,0] op_sel_hi:[0,0,1] neg_lo:[0,0,1] neg_hi:[0,0,1]
	v_pk_fma_f32 v[36:37], v[38:39], v[36:37], v[94:95] op_sel:[1,0,0] op_sel_hi:[0,1,1]
	v_mov_b32_e32 v37, v97
	s_delay_alu instid0(VALU_DEP_1)
	v_pk_add_f32 v[34:35], v[34:35], v[36:37]
	s_or_b32 exec_lo, exec_lo, s57
	s_and_saveexec_b32 s57, s17
	s_cbranch_execz .LBB59_604
.LBB59_1137:                            ;   in Loop: Header=BB59_3 Depth=1
	ds_load_b64 v[36:37], v48 offset:17696
	ds_load_b64 v[38:39], v44 offset:16656
	s_wait_dscnt 0x0
	v_pk_mul_f32 v[94:95], v[38:39], v[36:37] op_sel:[0,1]
	s_delay_alu instid0(VALU_DEP_1) | instskip(SKIP_1) | instid1(VALU_DEP_2)
	v_pk_fma_f32 v[96:97], v[38:39], v[36:37], v[94:95] op_sel:[1,0,0] op_sel_hi:[0,0,1] neg_lo:[0,0,1] neg_hi:[0,0,1]
	v_pk_fma_f32 v[36:37], v[38:39], v[36:37], v[94:95] op_sel:[1,0,0] op_sel_hi:[0,1,1]
	v_mov_b32_e32 v37, v97
	s_delay_alu instid0(VALU_DEP_1)
	v_pk_add_f32 v[34:35], v[34:35], v[36:37]
	s_or_b32 exec_lo, exec_lo, s57
	s_and_saveexec_b32 s57, s0
	s_cbranch_execnz .LBB59_605
	s_branch .LBB59_606
.LBB59_1138:                            ;   in Loop: Header=BB59_3 Depth=1
	ds_load_b64 v[36:37], v59 offset:17216
	ds_load_b64 v[38:39], v54 offset:16648
	s_wait_dscnt 0x0
	v_dual_mul_f32 v94, v39, v37 :: v_dual_mul_f32 v37, v38, v37
	s_delay_alu instid0(VALU_DEP_1) | instskip(NEXT) | instid1(VALU_DEP_1)
	v_dual_fma_f32 v38, v38, v36, -v94 :: v_dual_fmac_f32 v37, v39, v36
	v_dual_add_f32 v35, v35, v38 :: v_dual_add_f32 v34, v34, v37
	s_or_b32 exec_lo, exec_lo, s57
	s_and_saveexec_b32 s57, s19
	s_cbranch_execz .LBB59_646
.LBB59_1139:                            ;   in Loop: Header=BB59_3 Depth=1
	ds_load_b64 v[36:37], v59 offset:17728
	ds_load_b64 v[38:39], v54 offset:16656
	s_wait_dscnt 0x0
	v_dual_mul_f32 v94, v39, v37 :: v_dual_mul_f32 v37, v38, v37
	s_delay_alu instid0(VALU_DEP_1) | instskip(NEXT) | instid1(VALU_DEP_1)
	v_dual_fma_f32 v38, v38, v36, -v94 :: v_dual_fmac_f32 v37, v39, v36
	v_dual_add_f32 v35, v35, v38 :: v_dual_add_f32 v34, v34, v37
	s_or_b32 exec_lo, exec_lo, s57
	s_and_saveexec_b32 s57, s20
	s_cbranch_execz .LBB59_647
.LBB59_1140:                            ;   in Loop: Header=BB59_3 Depth=1
	ds_load_b64 v[36:37], v59 offset:18240
	ds_load_b64 v[38:39], v54 offset:16664
	s_wait_dscnt 0x0
	v_dual_mul_f32 v94, v39, v37 :: v_dual_mul_f32 v37, v38, v37
	s_delay_alu instid0(VALU_DEP_1) | instskip(NEXT) | instid1(VALU_DEP_1)
	v_dual_fma_f32 v38, v38, v36, -v94 :: v_dual_fmac_f32 v37, v39, v36
	v_dual_add_f32 v35, v35, v38 :: v_dual_add_f32 v34, v34, v37
	s_or_b32 exec_lo, exec_lo, s57
	s_and_saveexec_b32 s57, s21
	s_cbranch_execz .LBB59_648
.LBB59_1141:                            ;   in Loop: Header=BB59_3 Depth=1
	ds_load_b64 v[36:37], v58 offset:18752
	ds_load_b64 v[38:39], v54 offset:16672
	s_wait_dscnt 0x0
	v_dual_mul_f32 v95, v39, v37 :: v_dual_mul_f32 v94, v38, v37
	s_delay_alu instid0(VALU_DEP_1) | instskip(NEXT) | instid1(VALU_DEP_1)
	v_dual_fma_f32 v95, v38, v36, -v95 :: v_dual_fmac_f32 v94, v39, v36
	v_pk_add_f32 v[34:35], v[34:35], v[94:95]
	s_or_b32 exec_lo, exec_lo, s57
	s_and_saveexec_b32 s57, s22
	s_cbranch_execz .LBB59_649
.LBB59_1142:                            ;   in Loop: Header=BB59_3 Depth=1
	ds_load_b64 v[36:37], v59 offset:19264
	ds_load_b64 v[38:39], v54 offset:16680
	s_wait_dscnt 0x0
	v_pk_mul_f32 v[94:95], v[38:39], v[36:37] op_sel:[0,1]
	s_delay_alu instid0(VALU_DEP_1) | instskip(SKIP_1) | instid1(VALU_DEP_2)
	v_pk_fma_f32 v[96:97], v[38:39], v[36:37], v[94:95] op_sel:[1,0,0] op_sel_hi:[0,0,1] neg_lo:[0,0,1] neg_hi:[0,0,1]
	v_pk_fma_f32 v[36:37], v[38:39], v[36:37], v[94:95] op_sel:[1,0,0] op_sel_hi:[0,1,1]
	v_mov_b32_e32 v37, v97
	s_delay_alu instid0(VALU_DEP_1)
	v_pk_add_f32 v[34:35], v[34:35], v[36:37]
	s_or_b32 exec_lo, exec_lo, s57
	s_and_saveexec_b32 s57, s2
	s_cbranch_execz .LBB59_650
.LBB59_1143:                            ;   in Loop: Header=BB59_3 Depth=1
	ds_load_b64 v[36:37], v58 offset:19776
	ds_load_b64 v[38:39], v54 offset:16688
	s_wait_dscnt 0x0
	v_pk_mul_f32 v[94:95], v[38:39], v[36:37] op_sel:[0,1]
	s_delay_alu instid0(VALU_DEP_1) | instskip(SKIP_1) | instid1(VALU_DEP_2)
	v_pk_fma_f32 v[96:97], v[38:39], v[36:37], v[94:95] op_sel:[1,0,0] op_sel_hi:[0,0,1] neg_lo:[0,0,1] neg_hi:[0,0,1]
	v_pk_fma_f32 v[36:37], v[38:39], v[36:37], v[94:95] op_sel:[1,0,0] op_sel_hi:[0,1,1]
	v_mov_b32_e32 v37, v97
	s_delay_alu instid0(VALU_DEP_1)
	v_pk_add_f32 v[34:35], v[34:35], v[36:37]
	s_or_b32 exec_lo, exec_lo, s57
	s_and_saveexec_b32 s57, s17
	s_cbranch_execnz .LBB59_651
	s_branch .LBB59_652
.LBB59_1144:                            ;   in Loop: Header=BB59_3 Depth=1
	ds_load_b64 v[36:37], v49 offset:21344
	ds_load_b64 v[38:39], v44 offset:20808
	s_wait_dscnt 0x0
	v_pk_mul_f32 v[94:95], v[38:39], v[36:37] op_sel:[0,1]
	s_delay_alu instid0(VALU_DEP_1) | instskip(SKIP_1) | instid1(VALU_DEP_2)
	v_pk_fma_f32 v[96:97], v[38:39], v[36:37], v[94:95] op_sel:[1,0,0] op_sel_hi:[0,0,1] neg_lo:[0,0,1] neg_hi:[0,0,1]
	v_pk_fma_f32 v[36:37], v[38:39], v[36:37], v[94:95] op_sel:[1,0,0] op_sel_hi:[0,1,1]
	v_mov_b32_e32 v37, v97
	s_delay_alu instid0(VALU_DEP_1)
	v_pk_add_f32 v[34:35], v[34:35], v[36:37]
	s_or_b32 exec_lo, exec_lo, s57
	s_and_saveexec_b32 s57, s17
	s_cbranch_execz .LBB59_708
.LBB59_1145:                            ;   in Loop: Header=BB59_3 Depth=1
	ds_load_b64 v[36:37], v48 offset:21856
	ds_load_b64 v[38:39], v44 offset:20816
	s_wait_dscnt 0x0
	v_pk_mul_f32 v[94:95], v[38:39], v[36:37] op_sel:[0,1]
	s_delay_alu instid0(VALU_DEP_1) | instskip(SKIP_1) | instid1(VALU_DEP_2)
	v_pk_fma_f32 v[96:97], v[38:39], v[36:37], v[94:95] op_sel:[1,0,0] op_sel_hi:[0,0,1] neg_lo:[0,0,1] neg_hi:[0,0,1]
	v_pk_fma_f32 v[36:37], v[38:39], v[36:37], v[94:95] op_sel:[1,0,0] op_sel_hi:[0,1,1]
	v_mov_b32_e32 v37, v97
	s_delay_alu instid0(VALU_DEP_1)
	v_pk_add_f32 v[34:35], v[34:35], v[36:37]
	s_or_b32 exec_lo, exec_lo, s57
	s_and_saveexec_b32 s57, s0
	s_cbranch_execnz .LBB59_709
	s_branch .LBB59_710
.LBB59_1146:                            ;   in Loop: Header=BB59_3 Depth=1
	ds_load_b64 v[36:37], v64 offset:22400
	ds_load_b64 v[38:39], v60 offset:16728
	s_wait_dscnt 0x0
	v_dual_mul_f32 v94, v39, v37 :: v_dual_mul_f32 v37, v38, v37
	s_delay_alu instid0(VALU_DEP_1) | instskip(NEXT) | instid1(VALU_DEP_1)
	v_dual_fma_f32 v38, v38, v36, -v94 :: v_dual_fmac_f32 v37, v39, v36
	v_dual_add_f32 v35, v35, v38 :: v_dual_add_f32 v34, v34, v37
	s_or_b32 exec_lo, exec_lo, s57
	s_and_saveexec_b32 s57, s3
	s_cbranch_execz .LBB59_770
.LBB59_1147:                            ;   in Loop: Header=BB59_3 Depth=1
	ds_load_b64 v[36:37], v63 offset:22912
	ds_load_b64 v[38:39], v60 offset:16736
	s_wait_dscnt 0x0
	v_dual_mul_f32 v95, v39, v37 :: v_dual_mul_f32 v94, v38, v37
	s_delay_alu instid0(VALU_DEP_1) | instskip(NEXT) | instid1(VALU_DEP_1)
	v_dual_fma_f32 v95, v38, v36, -v95 :: v_dual_fmac_f32 v94, v39, v36
	v_pk_add_f32 v[34:35], v[34:35], v[94:95]
	s_or_b32 exec_lo, exec_lo, s57
	s_and_saveexec_b32 s57, s19
	s_cbranch_execz .LBB59_771
.LBB59_1148:                            ;   in Loop: Header=BB59_3 Depth=1
	ds_load_b64 v[36:37], v64 offset:23424
	ds_load_b64 v[38:39], v60 offset:16744
	s_wait_dscnt 0x0
	v_pk_mul_f32 v[94:95], v[38:39], v[36:37] op_sel:[0,1]
	s_delay_alu instid0(VALU_DEP_1) | instskip(SKIP_1) | instid1(VALU_DEP_2)
	v_pk_fma_f32 v[96:97], v[38:39], v[36:37], v[94:95] op_sel:[1,0,0] op_sel_hi:[0,0,1] neg_lo:[0,0,1] neg_hi:[0,0,1]
	v_pk_fma_f32 v[36:37], v[38:39], v[36:37], v[94:95] op_sel:[1,0,0] op_sel_hi:[0,1,1]
	v_mov_b32_e32 v37, v97
	s_delay_alu instid0(VALU_DEP_1)
	v_pk_add_f32 v[34:35], v[34:35], v[36:37]
	s_or_b32 exec_lo, exec_lo, s57
	s_and_saveexec_b32 s57, s21
	s_cbranch_execz .LBB59_772
.LBB59_1149:                            ;   in Loop: Header=BB59_3 Depth=1
	ds_load_b64 v[36:37], v63 offset:23936
	ds_load_b64 v[38:39], v60 offset:16752
	s_wait_dscnt 0x0
	v_pk_mul_f32 v[94:95], v[38:39], v[36:37] op_sel:[0,1]
	s_delay_alu instid0(VALU_DEP_1) | instskip(SKIP_1) | instid1(VALU_DEP_2)
	v_pk_fma_f32 v[96:97], v[38:39], v[36:37], v[94:95] op_sel:[1,0,0] op_sel_hi:[0,0,1] neg_lo:[0,0,1] neg_hi:[0,0,1]
	v_pk_fma_f32 v[36:37], v[38:39], v[36:37], v[94:95] op_sel:[1,0,0] op_sel_hi:[0,1,1]
	v_mov_b32_e32 v37, v97
	s_delay_alu instid0(VALU_DEP_1)
	v_pk_add_f32 v[34:35], v[34:35], v[36:37]
	s_or_b32 exec_lo, exec_lo, s57
	s_and_saveexec_b32 s57, s2
	s_cbranch_execnz .LBB59_773
	s_branch .LBB59_774
.LBB59_1150:                            ;   in Loop: Header=BB59_3 Depth=1
	ds_load_b64 v[36:37], v49 offset:25504
	ds_load_b64 v[38:39], v44 offset:24968
	s_wait_dscnt 0x0
	v_pk_mul_f32 v[94:95], v[38:39], v[36:37] op_sel:[0,1]
	s_delay_alu instid0(VALU_DEP_1) | instskip(SKIP_1) | instid1(VALU_DEP_2)
	v_pk_fma_f32 v[96:97], v[38:39], v[36:37], v[94:95] op_sel:[1,0,0] op_sel_hi:[0,0,1] neg_lo:[0,0,1] neg_hi:[0,0,1]
	v_pk_fma_f32 v[36:37], v[38:39], v[36:37], v[94:95] op_sel:[1,0,0] op_sel_hi:[0,1,1]
	v_mov_b32_e32 v37, v97
	s_delay_alu instid0(VALU_DEP_1)
	v_pk_add_f32 v[34:35], v[34:35], v[36:37]
	s_or_b32 exec_lo, exec_lo, s57
	s_and_saveexec_b32 s57, s17
	s_cbranch_execz .LBB59_862
.LBB59_1151:                            ;   in Loop: Header=BB59_3 Depth=1
	ds_load_b64 v[36:37], v48 offset:26016
	ds_load_b64 v[38:39], v44 offset:24976
	s_wait_dscnt 0x0
	v_pk_mul_f32 v[94:95], v[38:39], v[36:37] op_sel:[0,1]
	s_delay_alu instid0(VALU_DEP_1) | instskip(SKIP_1) | instid1(VALU_DEP_2)
	v_pk_fma_f32 v[96:97], v[38:39], v[36:37], v[94:95] op_sel:[1,0,0] op_sel_hi:[0,0,1] neg_lo:[0,0,1] neg_hi:[0,0,1]
	v_pk_fma_f32 v[36:37], v[38:39], v[36:37], v[94:95] op_sel:[1,0,0] op_sel_hi:[0,1,1]
	v_mov_b32_e32 v37, v97
	s_delay_alu instid0(VALU_DEP_1)
	v_pk_add_f32 v[34:35], v[34:35], v[36:37]
	s_or_b32 exec_lo, exec_lo, s57
	s_and_saveexec_b32 s57, s0
	s_cbranch_execnz .LBB59_863
	s_branch .LBB59_864
.LBB59_1152:                            ;   in Loop: Header=BB59_3 Depth=1
	ds_load_b64 v[36:37], v59 offset:25536
	ds_load_b64 v[38:39], v54 offset:24968
	s_wait_dscnt 0x0
	v_dual_mul_f32 v94, v39, v37 :: v_dual_mul_f32 v37, v38, v37
	s_delay_alu instid0(VALU_DEP_1) | instskip(NEXT) | instid1(VALU_DEP_1)
	v_dual_fma_f32 v38, v38, v36, -v94 :: v_dual_fmac_f32 v37, v39, v36
	v_dual_add_f32 v35, v35, v38 :: v_dual_add_f32 v34, v34, v37
	s_or_b32 exec_lo, exec_lo, s57
	s_and_saveexec_b32 s57, s19
	s_cbranch_execz .LBB59_904
.LBB59_1153:                            ;   in Loop: Header=BB59_3 Depth=1
	ds_load_b64 v[36:37], v59 offset:26048
	ds_load_b64 v[38:39], v54 offset:24976
	s_wait_dscnt 0x0
	v_dual_mul_f32 v94, v39, v37 :: v_dual_mul_f32 v37, v38, v37
	s_delay_alu instid0(VALU_DEP_1) | instskip(NEXT) | instid1(VALU_DEP_1)
	v_dual_fma_f32 v38, v38, v36, -v94 :: v_dual_fmac_f32 v37, v39, v36
	v_dual_add_f32 v35, v35, v38 :: v_dual_add_f32 v34, v34, v37
	s_or_b32 exec_lo, exec_lo, s57
	s_and_saveexec_b32 s57, s20
	s_cbranch_execz .LBB59_905
.LBB59_1154:                            ;   in Loop: Header=BB59_3 Depth=1
	ds_load_b64 v[36:37], v59 offset:26560
	ds_load_b64 v[38:39], v54 offset:24984
	s_wait_dscnt 0x0
	v_dual_mul_f32 v94, v39, v37 :: v_dual_mul_f32 v37, v38, v37
	s_delay_alu instid0(VALU_DEP_1) | instskip(NEXT) | instid1(VALU_DEP_1)
	v_dual_fma_f32 v38, v38, v36, -v94 :: v_dual_fmac_f32 v37, v39, v36
	v_dual_add_f32 v35, v35, v38 :: v_dual_add_f32 v34, v34, v37
	s_or_b32 exec_lo, exec_lo, s57
	s_and_saveexec_b32 s57, s21
	s_cbranch_execz .LBB59_906
.LBB59_1155:                            ;   in Loop: Header=BB59_3 Depth=1
	ds_load_b64 v[36:37], v58 offset:27072
	ds_load_b64 v[38:39], v54 offset:24992
	s_wait_dscnt 0x0
	v_dual_mul_f32 v95, v39, v37 :: v_dual_mul_f32 v94, v38, v37
	s_delay_alu instid0(VALU_DEP_1) | instskip(NEXT) | instid1(VALU_DEP_1)
	v_dual_fma_f32 v95, v38, v36, -v95 :: v_dual_fmac_f32 v94, v39, v36
	v_pk_add_f32 v[34:35], v[34:35], v[94:95]
	s_or_b32 exec_lo, exec_lo, s57
	s_and_saveexec_b32 s57, s22
	s_cbranch_execz .LBB59_907
.LBB59_1156:                            ;   in Loop: Header=BB59_3 Depth=1
	ds_load_b64 v[36:37], v59 offset:27584
	ds_load_b64 v[38:39], v54 offset:25000
	s_wait_dscnt 0x0
	v_pk_mul_f32 v[94:95], v[38:39], v[36:37] op_sel:[0,1]
	s_delay_alu instid0(VALU_DEP_1) | instskip(SKIP_1) | instid1(VALU_DEP_2)
	v_pk_fma_f32 v[96:97], v[38:39], v[36:37], v[94:95] op_sel:[1,0,0] op_sel_hi:[0,0,1] neg_lo:[0,0,1] neg_hi:[0,0,1]
	v_pk_fma_f32 v[36:37], v[38:39], v[36:37], v[94:95] op_sel:[1,0,0] op_sel_hi:[0,1,1]
	v_mov_b32_e32 v37, v97
	s_delay_alu instid0(VALU_DEP_1)
	v_pk_add_f32 v[34:35], v[34:35], v[36:37]
	s_or_b32 exec_lo, exec_lo, s57
	s_and_saveexec_b32 s57, s2
	s_cbranch_execz .LBB59_908
.LBB59_1157:                            ;   in Loop: Header=BB59_3 Depth=1
	ds_load_b64 v[36:37], v58 offset:28096
	ds_load_b64 v[38:39], v54 offset:25008
	s_wait_dscnt 0x0
	v_pk_mul_f32 v[94:95], v[38:39], v[36:37] op_sel:[0,1]
	s_delay_alu instid0(VALU_DEP_1) | instskip(SKIP_1) | instid1(VALU_DEP_2)
	v_pk_fma_f32 v[96:97], v[38:39], v[36:37], v[94:95] op_sel:[1,0,0] op_sel_hi:[0,0,1] neg_lo:[0,0,1] neg_hi:[0,0,1]
	v_pk_fma_f32 v[36:37], v[38:39], v[36:37], v[94:95] op_sel:[1,0,0] op_sel_hi:[0,1,1]
	v_mov_b32_e32 v37, v97
	s_delay_alu instid0(VALU_DEP_1)
	v_pk_add_f32 v[34:35], v[34:35], v[36:37]
	s_or_b32 exec_lo, exec_lo, s57
	s_and_saveexec_b32 s57, s17
	s_cbranch_execnz .LBB59_909
	s_branch .LBB59_910
.LBB59_1158:                            ;   in Loop: Header=BB59_3 Depth=1
	ds_load_b64 v[36:37], v49 offset:29664
	ds_load_b64 v[38:39], v44 offset:29128
	s_wait_dscnt 0x0
	v_pk_mul_f32 v[94:95], v[38:39], v[36:37] op_sel:[0,1]
	s_delay_alu instid0(VALU_DEP_1) | instskip(SKIP_1) | instid1(VALU_DEP_2)
	v_pk_fma_f32 v[96:97], v[38:39], v[36:37], v[94:95] op_sel:[1,0,0] op_sel_hi:[0,0,1] neg_lo:[0,0,1] neg_hi:[0,0,1]
	v_pk_fma_f32 v[36:37], v[38:39], v[36:37], v[94:95] op_sel:[1,0,0] op_sel_hi:[0,1,1]
	v_mov_b32_e32 v37, v97
	s_delay_alu instid0(VALU_DEP_1)
	v_pk_add_f32 v[34:35], v[34:35], v[36:37]
	s_or_b32 exec_lo, exec_lo, s57
	s_and_saveexec_b32 s57, s17
	s_cbranch_execz .LBB59_966
.LBB59_1159:                            ;   in Loop: Header=BB59_3 Depth=1
	ds_load_b64 v[36:37], v48 offset:30176
	ds_load_b64 v[38:39], v44 offset:29136
	s_wait_dscnt 0x0
	v_pk_mul_f32 v[94:95], v[38:39], v[36:37] op_sel:[0,1]
	s_delay_alu instid0(VALU_DEP_1) | instskip(SKIP_1) | instid1(VALU_DEP_2)
	v_pk_fma_f32 v[96:97], v[38:39], v[36:37], v[94:95] op_sel:[1,0,0] op_sel_hi:[0,0,1] neg_lo:[0,0,1] neg_hi:[0,0,1]
	v_pk_fma_f32 v[36:37], v[38:39], v[36:37], v[94:95] op_sel:[1,0,0] op_sel_hi:[0,1,1]
	v_mov_b32_e32 v37, v97
	s_delay_alu instid0(VALU_DEP_1)
	v_pk_add_f32 v[34:35], v[34:35], v[36:37]
	s_or_b32 exec_lo, exec_lo, s57
	s_and_saveexec_b32 s57, s0
	s_cbranch_execnz .LBB59_967
	s_branch .LBB59_968
.LBB59_1160:
	s_endpgm
	.section	.rodata,"a",@progbits
	.p2align	6, 0x0
	.amdhsa_kernel _ZL19rocblas_trsv_deviceILi64ELi16ELb1ELb1ELb0ELb0E19rocblas_complex_numIfEPKS1_S3_PS1_EviT7_lllT6_T8_lllPii
		.amdhsa_group_segment_fixed_size 41480
		.amdhsa_private_segment_fixed_size 48
		.amdhsa_kernarg_size 352
		.amdhsa_user_sgpr_count 2
		.amdhsa_user_sgpr_dispatch_ptr 0
		.amdhsa_user_sgpr_queue_ptr 0
		.amdhsa_user_sgpr_kernarg_segment_ptr 1
		.amdhsa_user_sgpr_dispatch_id 0
		.amdhsa_user_sgpr_kernarg_preload_length 0
		.amdhsa_user_sgpr_kernarg_preload_offset 0
		.amdhsa_user_sgpr_private_segment_size 0
		.amdhsa_wavefront_size32 1
		.amdhsa_uses_dynamic_stack 0
		.amdhsa_enable_private_segment 1
		.amdhsa_system_sgpr_workgroup_id_x 1
		.amdhsa_system_sgpr_workgroup_id_y 0
		.amdhsa_system_sgpr_workgroup_id_z 1
		.amdhsa_system_sgpr_workgroup_info 0
		.amdhsa_system_vgpr_workitem_id 1
		.amdhsa_next_free_vgpr 105
		.amdhsa_next_free_sgpr 105
		.amdhsa_named_barrier_count 0
		.amdhsa_reserve_vcc 1
		.amdhsa_float_round_mode_32 0
		.amdhsa_float_round_mode_16_64 0
		.amdhsa_float_denorm_mode_32 3
		.amdhsa_float_denorm_mode_16_64 3
		.amdhsa_fp16_overflow 0
		.amdhsa_memory_ordered 1
		.amdhsa_forward_progress 1
		.amdhsa_inst_pref_size 255
		.amdhsa_round_robin_scheduling 0
		.amdhsa_exception_fp_ieee_invalid_op 0
		.amdhsa_exception_fp_denorm_src 0
		.amdhsa_exception_fp_ieee_div_zero 0
		.amdhsa_exception_fp_ieee_overflow 0
		.amdhsa_exception_fp_ieee_underflow 0
		.amdhsa_exception_fp_ieee_inexact 0
		.amdhsa_exception_int_div_zero 0
	.end_amdhsa_kernel
	.section	.text._ZL19rocblas_trsv_deviceILi64ELi16ELb1ELb1ELb0ELb0E19rocblas_complex_numIfEPKS1_S3_PS1_EviT7_lllT6_T8_lllPii,"axG",@progbits,_ZL19rocblas_trsv_deviceILi64ELi16ELb1ELb1ELb0ELb0E19rocblas_complex_numIfEPKS1_S3_PS1_EviT7_lllT6_T8_lllPii,comdat
.Lfunc_end59:
	.size	_ZL19rocblas_trsv_deviceILi64ELi16ELb1ELb1ELb0ELb0E19rocblas_complex_numIfEPKS1_S3_PS1_EviT7_lllT6_T8_lllPii, .Lfunc_end59-_ZL19rocblas_trsv_deviceILi64ELi16ELb1ELb1ELb0ELb0E19rocblas_complex_numIfEPKS1_S3_PS1_EviT7_lllT6_T8_lllPii
                                        ; -- End function
	.set _ZL19rocblas_trsv_deviceILi64ELi16ELb1ELb1ELb0ELb0E19rocblas_complex_numIfEPKS1_S3_PS1_EviT7_lllT6_T8_lllPii.num_vgpr, 105
	.set _ZL19rocblas_trsv_deviceILi64ELi16ELb1ELb1ELb0ELb0E19rocblas_complex_numIfEPKS1_S3_PS1_EviT7_lllT6_T8_lllPii.num_agpr, 0
	.set _ZL19rocblas_trsv_deviceILi64ELi16ELb1ELb1ELb0ELb0E19rocblas_complex_numIfEPKS1_S3_PS1_EviT7_lllT6_T8_lllPii.numbered_sgpr, 105
	.set _ZL19rocblas_trsv_deviceILi64ELi16ELb1ELb1ELb0ELb0E19rocblas_complex_numIfEPKS1_S3_PS1_EviT7_lllT6_T8_lllPii.num_named_barrier, 0
	.set _ZL19rocblas_trsv_deviceILi64ELi16ELb1ELb1ELb0ELb0E19rocblas_complex_numIfEPKS1_S3_PS1_EviT7_lllT6_T8_lllPii.private_seg_size, 48
	.set _ZL19rocblas_trsv_deviceILi64ELi16ELb1ELb1ELb0ELb0E19rocblas_complex_numIfEPKS1_S3_PS1_EviT7_lllT6_T8_lllPii.uses_vcc, 1
	.set _ZL19rocblas_trsv_deviceILi64ELi16ELb1ELb1ELb0ELb0E19rocblas_complex_numIfEPKS1_S3_PS1_EviT7_lllT6_T8_lllPii.uses_flat_scratch, 0
	.set _ZL19rocblas_trsv_deviceILi64ELi16ELb1ELb1ELb0ELb0E19rocblas_complex_numIfEPKS1_S3_PS1_EviT7_lllT6_T8_lllPii.has_dyn_sized_stack, 0
	.set _ZL19rocblas_trsv_deviceILi64ELi16ELb1ELb1ELb0ELb0E19rocblas_complex_numIfEPKS1_S3_PS1_EviT7_lllT6_T8_lllPii.has_recursion, 0
	.set _ZL19rocblas_trsv_deviceILi64ELi16ELb1ELb1ELb0ELb0E19rocblas_complex_numIfEPKS1_S3_PS1_EviT7_lllT6_T8_lllPii.has_indirect_call, 0
	.section	.AMDGPU.csdata,"",@progbits
; Kernel info:
; codeLenInByte = 54908
; TotalNumSgprs: 107
; NumVgprs: 105
; ScratchSize: 48
; MemoryBound: 0
; FloatMode: 240
; IeeeMode: 1
; LDSByteSize: 41480 bytes/workgroup (compile time only)
; SGPRBlocks: 0
; VGPRBlocks: 6
; NumSGPRsForWavesPerEU: 107
; NumVGPRsForWavesPerEU: 105
; NamedBarCnt: 0
; Occupancy: 9
; WaveLimiterHint : 0
; COMPUTE_PGM_RSRC2:SCRATCH_EN: 1
; COMPUTE_PGM_RSRC2:USER_SGPR: 2
; COMPUTE_PGM_RSRC2:TRAP_HANDLER: 0
; COMPUTE_PGM_RSRC2:TGID_X_EN: 1
; COMPUTE_PGM_RSRC2:TGID_Y_EN: 0
; COMPUTE_PGM_RSRC2:TGID_Z_EN: 1
; COMPUTE_PGM_RSRC2:TIDIG_COMP_CNT: 1
	.section	.text._ZL19rocblas_trsv_deviceILi64ELi16ELb1ELb1ELb1ELb0E19rocblas_complex_numIfEPKS1_S3_PS1_EviT7_lllT6_T8_lllPii,"axG",@progbits,_ZL19rocblas_trsv_deviceILi64ELi16ELb1ELb1ELb1ELb0E19rocblas_complex_numIfEPKS1_S3_PS1_EviT7_lllT6_T8_lllPii,comdat
	.globl	_ZL19rocblas_trsv_deviceILi64ELi16ELb1ELb1ELb1ELb0E19rocblas_complex_numIfEPKS1_S3_PS1_EviT7_lllT6_T8_lllPii ; -- Begin function _ZL19rocblas_trsv_deviceILi64ELi16ELb1ELb1ELb1ELb0E19rocblas_complex_numIfEPKS1_S3_PS1_EviT7_lllT6_T8_lllPii
	.p2align	8
	.type	_ZL19rocblas_trsv_deviceILi64ELi16ELb1ELb1ELb1ELb0E19rocblas_complex_numIfEPKS1_S3_PS1_EviT7_lllT6_T8_lllPii,@function
_ZL19rocblas_trsv_deviceILi64ELi16ELb1ELb1ELb1ELb0E19rocblas_complex_numIfEPKS1_S3_PS1_EviT7_lllT6_T8_lllPii: ; @_ZL19rocblas_trsv_deviceILi64ELi16ELb1ELb1ELb1ELb0E19rocblas_complex_numIfEPKS1_S3_PS1_EviT7_lllT6_T8_lllPii
; %bb.0:
	s_load_b32 s88, s[0:1], 0x58
	s_bfe_u32 s2, ttmp6, 0x40014
	s_lshr_b32 s3, ttmp7, 16
	s_add_co_i32 s2, s2, 1
	s_bfe_u32 s5, ttmp6, 0x40008
	s_mul_i32 s4, s3, s2
	s_getreg_b32 s2, hwreg(HW_REG_IB_STS2, 6, 4)
	s_add_co_i32 s5, s5, s4
	s_cmp_eq_u32 s2, 0
	s_mov_b32 s81, 0
	s_cselect_b32 s80, s3, s5
	s_wait_kmcnt 0x0
	s_cmp_ge_u32 s80, s88
	s_cbranch_scc1 .LBB60_1174
; %bb.1:
	s_clause 0x3
	s_load_b512 s[60:75], s[0:1], 0x8
	s_load_b32 s3, s[0:1], 0x6c
	s_load_b32 s90, s[0:1], 0x60
	;; [unrolled: 1-line block ×3, first 2 shown]
	s_bfe_u32 s5, ttmp6, 0x4000c
	s_and_b32 s4, ttmp6, 15
	s_add_co_i32 s5, s5, 1
	s_load_b128 s[76:79], s[0:1], 0x48
	s_mul_i32 s5, ttmp9, s5
                                        ; implicit-def: $vgpr106 : SGPR spill to VGPR lane
	v_and_b32_e32 v2, 0x3ff, v0
	s_add_co_i32 s6, s4, s5
	v_mov_b32_e32 v5, 0
	v_bfe_u32 v41, v0, 10, 10
                                        ; implicit-def: $vgpr105 : SGPR spill to VGPR lane
                                        ; implicit-def: $vgpr104 : SGPR spill to VGPR lane
	s_delay_alu instid0(VALU_DEP_3) | instskip(NEXT) | instid1(VALU_DEP_3)
	v_dual_lshlrev_b32 v1, 6, v2 :: v_dual_bitop2_b32 v66, 31, v0 bitop3:0x40
	v_dual_mov_b32 v3, v5 :: v_dual_lshlrev_b32 v44, 3, v2
	s_delay_alu instid0(VALU_DEP_3) | instskip(SKIP_1) | instid1(VALU_DEP_4)
	v_add_nc_u32_e32 v20, 16, v41
	v_lshl_add_u32 v23, v41, 6, v2
	v_add_nc_u32_e32 v10, v41, v1
	s_wait_kmcnt 0x0
	s_lshl_b64 s[0:1], s[62:63], 3
	s_lshl_b64 s[4:5], s[72:73], 3
	s_cmp_eq_u32 s2, 0
	s_add_nc_u64 s[0:1], s[60:61], s[0:1]
	s_cselect_b32 s89, ttmp9, s6
	s_add_co_i32 s2, s82, -1
	s_ashr_i32 s83, s82, 31
	s_and_b32 s6, s3, 0xffff
	s_ashr_i32 s3, s2, 31
	s_lshr_b32 s7, s83, 26
	s_lshr_b32 s3, s3, 26
	s_add_co_i32 s7, s82, s7
	s_add_co_i32 s90, s90, -1
	s_add_co_i32 s2, s2, s3
	s_and_not1_b32 s7, s7, 63
	s_sub_co_i32 s52, s90, s89
	s_ashr_i32 s2, s2, 6
	s_sub_co_i32 s9, s82, s7
	s_cmp_eq_u32 s2, s52
	v_add_nc_u32_e32 v11, v20, v1
	s_cselect_b32 s2, -1, 0
	s_cmp_lg_u32 s9, 0
	v_lshl_add_u32 v14, v20, 6, v2
	s_cselect_b32 s3, -1, 0
	v_add_nc_u32_e32 v26, 32, v41
	s_and_b32 s15, s3, s2
	v_mad_u32_u24 v4, v41, s6, v2
	s_xor_b32 s91, s15, -1
	s_cmp_lg_u32 s89, 0
	v_lshl_add_u32 v17, v26, 6, v2
	s_cselect_b32 s2, -1, 0
	s_lshl_b32 s10, s52, 6
	v_writelane_b32 v106, s2, 0
	s_add_nc_u64 s[2:3], s[64:65], 1
	s_cmp_lt_i32 s89, 5
	v_mad_nc_u64_u32 v[18:19], s2, s10, v[2:3]
	v_dual_add_nc_u32 v21, s10, v41 :: v_dual_add_nc_u32 v12, s10, v2
	v_writelane_b32 v106, s0, 1
	s_cselect_b32 vcc_lo, -1, 0
	s_delay_alu instid0(SALU_CYCLE_1) | instskip(NEXT) | instid1(VALU_DEP_3)
	v_dual_cndmask_b32 v22, v23, v10, vcc_lo :: v_dual_bitop2_b32 v3, 1, v0 bitop3:0x40
	v_dual_add_nc_u32 v6, 64, v21 :: v_dual_ashrrev_i32 v13, 31, v12
	v_writelane_b32 v106, s1, 2
	s_add_nc_u64 s[0:1], s[70:71], s[4:5]
	s_ashr_i32 s11, s10, 31
	s_or_b32 vcc_lo, vcc_lo, s15
	v_dual_cndmask_b32 v24, v14, v11 :: v_dual_ashrrev_i32 v7, 31, v6
	v_writelane_b32 v106, s0, 3
	v_dual_lshrrev_b32 v10, 10, v0 :: v_dual_lshrrev_b32 v11, 1, v23
	v_dual_lshlrev_b32 v14, 3, v3 :: v_dual_add_nc_u32 v27, 48, v41
	v_writelane_b32 v106, s1, 4
	s_mul_i32 s0, s2, s11
	s_mul_i32 s1, s3, s10
	v_cmp_eq_u32_e64 s2, 1, v3
	v_add3_u32 v19, s0, s1, v19
	v_cmp_gt_u32_e64 s0, 4, v23
	v_bitop3_b32 v25, v0, v10, 0x3ff bitop3:0xa8
	v_lshl_add_u32 v3, v11, 3, 0x8000
	s_xor_b32 s1, s2, -1
	v_lshl_or_b32 v42, v11, 9, v14
	v_mul_u32_u24_e32 v43, 0x208, v11
	v_dual_lshrrev_b32 v10, 2, v23 :: v_dual_bitop2_b32 v11, 3, v0 bitop3:0x40
	s_and_b32 s94, s1, s0
	v_cmp_eq_u32_e64 s1, 0, v41
	v_cmp_gt_u32_e64 s3, 2, v2
	s_delay_alu instid0(VALU_DEP_3)
	v_dual_lshlrev_b32 v14, 3, v10 :: v_dual_lshlrev_b32 v46, 3, v11
	v_mul_u32_u24_e32 v45, 0x208, v10
	s_and_b32 s95, s2, s0
	s_and_b32 s96, s1, s3
	v_cmp_gt_u32_e64 s2, 16, v23
	v_cmp_eq_u32_e64 s3, 0, v11
	v_sub_nc_u32_e32 v16, v45, v14
	v_cmp_ne_u32_e64 s4, 0, v11
	v_cmp_eq_u32_e64 s5, 1, v11
	v_lshl_or_b32 v49, v10, 9, v46
	s_and_b32 s97, s3, s2
	v_cmp_lt_u32_e64 s3, 1, v11
	s_and_b32 s98, s4, s2
	s_and_b32 s99, s5, s2
	v_cmp_eq_u32_e64 s4, 2, v11
	v_cmp_eq_u32_e64 s5, 3, v11
	s_and_b32 s100, s3, s2
	v_cmp_gt_u32_e64 s3, 4, v2
	v_dual_lshrrev_b32 v10, 3, v23 :: v_dual_add_nc_u32 v50, v16, v46
	v_and_b32_e32 v11, 7, v0
	s_and_b32 s101, s4, s2
	s_and_b32 s102, s5, s2
	;; [unrolled: 1-line block ×3, first 2 shown]
	v_cmp_gt_u32_e64 s3, 64, v23
	v_cmp_eq_u32_e64 s4, 0, v11
	v_cmp_ne_u32_e64 s5, 0, v11
	v_add_nc_u32_e32 v48, 0x8000, v14
	v_and_b32_e32 v14, -8, v23
	v_mul_u32_u24_e32 v55, 0x208, v10
	s_and_b32 s104, s4, s3
	s_and_b32 vcc_hi, s5, s3
	v_cmp_lt_u32_e64 s4, 1, v11
	v_cmp_eq_u32_e64 s5, 2, v11
	v_lshlrev_b32_e32 v57, 3, v11
	v_cmp_eq_u32_e64 s6, 1, v11
	v_cmp_eq_u32_e64 s7, 3, v11
	s_and_b32 s39, s4, s3
	v_cmp_lt_u32_e64 s4, 3, v11
	s_and_b32 s40, s5, s3
	v_cmp_eq_u32_e64 s5, 4, v11
	v_lshl_or_b32 v59, v10, 9, v57
	v_lshrrev_b32_e32 v10, 4, v23
	v_add_nc_u32_e32 v58, 0x8000, v14
	v_sub_nc_u32_e32 v14, v55, v14
	s_and_b32 s43, s4, s3
	v_cmp_lt_u32_e64 s4, 4, v11
	s_and_b32 s44, s5, s3
	v_cmp_eq_u32_e64 s5, 6, v11
	v_dual_add_nc_u32 v60, v14, v57 :: v_dual_bitop2_b32 v14, 15, v0 bitop3:0x40
	s_and_b32 s38, s6, s3
	v_cmp_lt_u32_e64 s6, 2, v11
	s_and_b32 s45, s4, s3
	s_and_b32 s48, s5, s3
	v_cmp_eq_u32_e64 s4, 7, v11
	v_cmp_gt_u32_e64 s5, 8, v2
	s_and_b32 s41, s6, s3
	v_cmp_eq_u32_e64 s6, 5, v11
	s_and_b32 s42, s7, s3
	s_and_b32 s49, s4, s3
	;; [unrolled: 1-line block ×3, first 2 shown]
	v_cmp_gt_u32_e64 s4, 0x100, v23
	v_cmp_eq_u32_e64 s5, 0, v14
	s_and_b32 s46, s6, s3
	v_cmp_ne_u32_e64 s6, 0, v14
	v_cmp_lt_u32_e64 s7, 5, v11
	v_cmp_lt_u32_e64 s8, 2, v14
	s_and_b32 s5, s5, s4
	v_lshlrev_b32_e32 v11, 3, v10
	v_writelane_b32 v106, s5, 5
	v_cmp_eq_u32_e64 s5, 1, v14
	s_and_b32 s6, s6, s4
	s_and_b32 s47, s7, s3
	v_cmp_lt_u32_e64 s7, 1, v14
	v_writelane_b32 v106, s6, 6
	s_and_b32 s5, s5, s4
	v_cmp_eq_u32_e64 s6, 2, v14
	v_mul_u32_u24_e32 v61, 0x208, v10
	v_lshlrev_b32_e32 v62, 3, v14
	v_writelane_b32 v106, s5, 7
	s_and_b32 s5, s7, s4
	s_and_b32 s6, s6, s4
	v_cmp_eq_u32_e64 s7, 4, v14
	v_sub_nc_u32_e32 v16, v61, v11
	v_writelane_b32 v106, s5, 8
	v_cmp_eq_u32_e64 s5, 3, v14
	v_lshl_add_u32 v28, v27, 6, v2
	s_and_b32 s59, s7, s4
	v_cmp_lt_u32_e64 s7, 6, v14
	v_writelane_b32 v106, s6, 9
	s_and_b32 s6, s8, s4
	s_and_b32 s5, s5, s4
	v_cmp_eq_u32_e64 s8, 5, v14
	v_dual_add_nc_u32 v65, v16, v62 :: v_dual_add_nc_u32 v16, v26, v1
	v_writelane_b32 v106, s6, 10
	v_cmp_lt_u32_e64 s6, 3, v14
	v_add_nc_u32_e32 v1, v27, v1
	s_and_b32 s61, s8, s4
	v_cmp_lt_u32_e64 s8, 7, v14
	v_writelane_b32 v106, s5, 11
	v_cmp_lt_u32_e64 s5, 4, v14
	s_and_b32 s58, s6, s4
	v_cmp_lt_u32_e64 s6, 5, v14
	s_and_b32 s12, s7, s4
	v_cmp_eq_u32_e64 s7, 9, v14
	s_and_b32 s60, s5, s4
	v_cmp_eq_u32_e64 s5, 6, v14
	;; [unrolled: 2-line block ×3, first 2 shown]
	s_xor_b32 s93, vcc_lo, -1
	v_dual_cndmask_b32 v28, v28, v1 :: v_dual_add_nc_u32 v63, 0x8000, v11
	s_and_b32 s63, s5, s4
	v_cmp_eq_u32_e64 s5, 8, v14
	s_and_b32 s13, s6, s4
	v_cmp_lt_u32_e64 s6, 8, v14
	v_cndmask_b32_e32 v29, v17, v16, vcc_lo
	v_cmp_gt_u32_e32 vcc_lo, 16, v2
	s_and_b32 s25, s5, s4
	v_cmp_lt_u32_e64 s5, 9, v14
	s_and_b32 s27, s6, s4
	v_cmp_lt_u32_e64 s6, 10, v14
	s_and_b32 s23, s8, s4
	v_cmp_eq_u32_e64 s8, 10, v14
	s_and_b32 s31, s5, s4
	v_cmp_eq_u32_e64 s5, 11, v14
	;; [unrolled: 2-line block ×3, first 2 shown]
	s_and_b32 s29, s7, s4
	v_cmp_lt_u32_e64 s7, 11, v14
	s_and_b32 s26, s5, s4
	v_cmp_eq_u32_e64 s5, 13, v14
	v_cmp_le_i32_e64 s14, s9, v2
	v_lshl_or_b32 v64, v10, 9, v62
	s_and_b32 s30, s6, s4
	v_cmp_lt_u32_e64 s6, 13, v14
	v_add_nc_u64_e32 v[10:11], s[10:11], v[4:5]
	s_and_b32 s10, s5, s4
	v_cmp_eq_u32_e64 s5, 15, v14
	s_and_b32 s73, s1, vcc_lo
	v_cmp_gt_u32_e32 vcc_lo, 32, v2
	s_and_b32 s34, s8, s4
	v_cmp_lt_u32_e64 s8, 12, v14
	s_and_b32 s28, s7, s4
	v_cmp_eq_u32_e64 s7, 14, v14
	s_and_b32 s70, s14, s15
	s_and_b32 s11, s6, s4
	;; [unrolled: 1-line block ×3, first 2 shown]
	s_xor_b32 s5, s70, -1
	s_and_b32 s6, s1, vcc_lo
	v_cmp_gt_i32_e32 vcc_lo, s9, v2
	s_and_b32 s33, s8, s4
	s_and_b32 s92, s7, s4
	v_lshrrev_b32_e32 v1, 5, v23
	v_writelane_b32 v106, s6, 12
	s_and_b32 s71, s1, s5
	s_cmp_gt_i32 s89, 0
	v_mul_u64_e32 v[8:9], s[64:65], v[12:13]
	s_cselect_b32 s51, -1, 0
	s_and_b32 s5, s1, vcc_lo
	v_dual_lshlrev_b32 v67, 3, v1 :: v_dual_lshlrev_b32 v68, 9, v1
	v_mul_u64_e32 v[0:1], s[74:75], v[12:13]
	v_add_nc_u32_e32 v13, 0x50, v21
	v_writelane_b32 v106, s5, 13
	v_cmp_gt_i32_e64 s5, s82, v12
	v_cmp_gt_i32_e32 vcc_lo, s82, v6
	v_add_nc_u32_e32 v30, 0x60, v21
	v_add_nc_u32_e32 v21, 0x70, v21
	v_cmp_ne_u32_e64 s16, v2, v20
	v_cmp_ne_u32_e64 s17, v2, v26
	s_and_b32 s6, vcc_lo, s5
	v_cmp_gt_i32_e32 vcc_lo, s82, v13
	v_writelane_b32 v106, s6, 14
	v_mad_u32_u24 v47, 0x1f8, v2, v44
	v_cmp_ne_u32_e64 s18, v2, v27
	v_cmp_gt_u32_e64 s35, 0xf0, v23
	s_and_b32 s6, vcc_lo, s5
	v_cmp_gt_i32_e32 vcc_lo, s82, v30
	v_writelane_b32 v106, s6, 15
	v_mad_i32_i24 v52, 0xfffffe08, v2, v47
	v_dual_lshlrev_b32 v78, 3, v28 :: v_dual_lshlrev_b32 v83, 3, v66
	s_and_b32 s6, vcc_lo, s5
	v_cmp_gt_i32_e32 vcc_lo, s82, v21
	v_writelane_b32 v106, s6, 16
	v_mad_u32_u24 v53, 0x1f8, v2, v52
	v_dual_lshlrev_b32 v21, 3, v41 :: v_dual_lshlrev_b32 v75, 3, v24
	v_lshlrev_b32_e32 v77, 3, v29
	s_and_b32 s6, vcc_lo, s5
	v_cmp_le_i32_e32 vcc_lo, s9, v41
	v_writelane_b32 v106, s6, 17
	v_cmp_le_u32_e64 s6, v2, v41
	v_mad_i32_i24 v54, 0xfffffe08, v2, v53
	v_or_b32_e32 v81, 0xa000, v21
	s_or_b32 s7, vcc_lo, s14
	v_cmp_le_i32_e32 vcc_lo, s9, v20
	s_or_b32 s7, s7, s6
	v_mad_u32_u24 v56, 0x1f8, v2, v54
	v_writelane_b32 v106, s7, 18
	v_cmp_le_u32_e64 s7, v2, v20
	s_or_b32 s8, vcc_lo, s14
	v_cmp_le_i32_e32 vcc_lo, s9, v26
	v_mad_i32_i24 v69, 0xfffffe08, v2, v56
	v_or_b32_e32 v85, v68, v83
	s_or_b32 s8, s8, s7
	v_cmp_gt_u32_e64 s53, 64, v25
	v_writelane_b32 v106, s8, 19
	v_cmp_le_u32_e64 s8, v2, v26
	s_or_b32 s15, vcc_lo, s14
	v_cmp_le_i32_e32 vcc_lo, s9, v27
	v_mad_u32_u24 v70, 0x1f8, v2, v69
	v_dual_add_nc_u32 v92, v81, v44 :: v_dual_bitop2_b32 v30, v26, v2 bitop3:0x54
	s_or_b32 s9, s15, s8
	s_or_b32 s15, vcc_lo, s14
	v_writelane_b32 v106, s9, 20
	v_cmp_le_u32_e64 s9, v2, v27
	v_mad_i32_i24 v71, 0xfffffe08, v2, v70
	v_or_b32_e32 v32, v27, v2
	v_mul_i32_i24_e32 v51, 0xfffffe08, v2
	v_mul_u32_u24_e32 v15, 0x1f8, v2
	s_or_b32 s15, s15, s9
	v_mad_u32_u24 v72, 0x1f8, v2, v71
	v_writelane_b32 v106, s15, 21
	v_cmp_ne_u32_e64 s15, v2, v41
	v_mul_lo_u32 v14, v51, 6
	v_mul_u64_e32 v[10:11], s[74:75], v[10:11]
	v_mad_i32_i24 v73, 0xfffffe08, v2, v72
	v_mad_nc_u64_u32 v[12:13], s64, v41, v[18:19]
	v_writelane_b32 v106, s15, 22
	s_or_b32 s15, s14, s15
	v_mad_nc_u64_u32 v[16:17], s64, v26, v[18:19]
	v_mad_u32_u24 v76, 0x1f8, v2, v73
	v_cmp_lt_u32_e32 vcc_lo, 0x3ff, v23
	v_writelane_b32 v106, s15, 23
	s_or_b32 s15, s14, s16
	v_mad_u32 v14, v15, 7, v14
	v_mad_i32_i24 v79, 0xfffffe08, v2, v76
	v_mul_u32_u24_e32 v15, 0x1f0, v2
	v_writelane_b32 v106, s16, 24
	v_mad_u32 v13, s65, v41, v13
	v_lshlrev_b32_e32 v74, 3, v22
	v_mad_u32_u24 v80, 0x1f8, v2, v79
	v_mad_u32 v17, s65, v26, v17
	v_writelane_b32 v106, s15, 25
	s_or_b32 s15, s14, s17
	s_or_b32 s14, s14, s18
	v_dual_add_nc_u32 v82, v80, v21 :: v_dual_lshlrev_b32 v21, 9, v66
	v_writelane_b32 v106, s17, 26
	v_dual_sub_nc_u32 v31, v14, v15 :: v_dual_bitop2_b32 v29, v20, v2 bitop3:0x54
	v_mad_nc_u64_u32 v[14:15], s64, v20, v[18:19]
	s_delay_alu instid0(VALU_DEP_4)
	v_add_nc_u32_e32 v90, v83, v21
	v_writelane_b32 v106, s15, 27
	v_mad_nc_u64_u32 v[18:19], s64, v27, v[18:19]
	v_add_nc_u32_e32 v84, 0x8000, v67
	v_lshl_add_u32 v86, v4, 3, 0xa000
	v_lshl_add_u32 v87, v23, 3, 0x8000
	v_writelane_b32 v106, s18, 28
	v_add_nc_u32_e32 v88, 0x7c00, v31
	v_add_nc_u32_e32 v89, 0x8000, v44
	v_lshl_add_u32 v91, v41, 9, v73
	v_mad_u32 v15, s65, v20, v15
	v_writelane_b32 v106, s14, 29
	v_mov_b64_e32 v[20:21], 0
	v_mad_u32 v19, s65, v27, v19
	v_or_b32_e32 v93, 0x4100, v83
	v_subrev_nc_u32_e32 v94, 63, v2
	v_writelane_b32 v106, s35, 30
	v_cmp_gt_u32_e64 s35, 0xe0, v23
	v_cmp_eq_u32_e64 s14, 0, v25
	v_cmp_gt_u32_e64 s15, 2, v23
	v_cmp_gt_u32_e64 s16, 12, v23
	;; [unrolled: 1-line block ×3, first 2 shown]
	v_writelane_b32 v106, s35, 31
	v_cmp_gt_u32_e64 s35, 0xd0, v23
	v_cmp_gt_u32_e64 s18, 56, v23
	v_cmp_gt_u32_e64 s19, 48, v23
	v_cmp_gt_u32_e64 s20, 40, v23
	v_cmp_gt_u32_e64 s21, 32, v23
	v_writelane_b32 v105, s35, 0
	v_cmp_gt_u32_e64 s35, 0xc0, v23
	v_cmp_gt_u32_e64 s22, 24, v23
	v_cmp_eq_u32_e64 s36, 0, v4
	v_cmp_gt_u32_e64 s37, 64, v4
	s_add_co_i32 s52, s52, 1
	v_writelane_b32 v105, s35, 1
	v_cmp_gt_u32_e64 s35, 0xb0, v23
	s_xor_b32 s64, vcc_lo, -1
                                        ; implicit-def: $vgpr22
                                        ; implicit-def: $vgpr24
                                        ; implicit-def: $vgpr26
                                        ; implicit-def: $vgpr28
	v_writelane_b32 v105, s35, 2
	v_cmp_gt_u32_e64 s35, 0xa0, v23
	s_delay_alu instid0(VALU_DEP_1) | instskip(SKIP_1) | instid1(VALU_DEP_1)
	v_writelane_b32 v105, s35, 3
	v_cmp_gt_u32_e64 s35, 0x90, v23
	v_writelane_b32 v105, s35, 4
	v_cmp_gt_u32_e64 s35, 0x80, v23
	s_delay_alu instid0(VALU_DEP_1) | instskip(SKIP_1) | instid1(VALU_DEP_1)
	v_writelane_b32 v105, s35, 5
	v_cmp_gt_u32_e64 s35, 0x70, v23
	;; [unrolled: 5-line block ×3, first 2 shown]
	v_writelane_b32 v105, s35, 8
	v_cmp_gt_u32_e64 s35, 0x400, v23
	v_writelane_b32 v105, s53, 9
	v_cmp_gt_u32_e64 s53, 64, v29
	s_delay_alu instid0(VALU_DEP_1) | instskip(SKIP_1) | instid1(VALU_DEP_1)
	v_writelane_b32 v105, s53, 10
	v_cmp_gt_u32_e64 s53, 64, v30
	v_writelane_b32 v105, s53, 11
	v_cmp_gt_u32_e64 s53, 64, v32
	s_delay_alu instid0(VALU_DEP_1) | instskip(SKIP_1) | instid1(VALU_DEP_1)
	;; [unrolled: 5-line block ×13, first 2 shown]
	v_writelane_b32 v104, s53, 2
	v_cmp_gt_u32_e64 s53, 0x120, v23
	v_writelane_b32 v104, s53, 3
	s_branch .LBB60_3
.LBB60_2:                               ;   in Loop: Header=BB60_3 Depth=1
	s_wait_xcnt 0x0
	s_or_b32 exec_lo, exec_lo, s53
	s_add_co_i32 s80, s80, 0x10000
	global_wb scope:SCOPE_DEV
	s_wait_storecnt 0x0
	global_inv scope:SCOPE_DEV
	s_cmp_lt_u32 s80, s88
	s_cbranch_scc0 .LBB60_1174
.LBB60_3:                               ; =>This Loop Header: Depth=1
                                        ;     Child Loop BB60_569 Depth 2
                                        ;     Child Loop BB60_1010 Depth 2
                                        ;       Child Loop BB60_1012 Depth 3
                                        ;     Child Loop BB60_1056 Depth 2
	global_load_b64 v[32:33], v5, s[68:69]
	v_readlane_b32 s56, v106, 1
	v_readlane_b32 s57, v106, 2
	s_mul_u64 s[54:55], s[66:67], s[80:81]
	v_readlane_b32 s53, v106, 0
	s_lshl_b64 s[54:55], s[54:55], 3
	s_delay_alu instid0(SALU_CYCLE_1) | instskip(NEXT) | instid1(SALU_CYCLE_1)
	s_add_nc_u64 s[84:85], s[56:57], s[54:55]
	v_lshl_add_u64 v[30:31], v[8:9], 3, s[84:85]
	s_and_not1_b32 vcc_lo, exec_lo, s53
	s_cbranch_vccnz .LBB60_13
; %bb.4:                                ;   in Loop: Header=BB60_3 Depth=1
	s_delay_alu instid0(VALU_DEP_1)
	v_lshl_add_u64 v[34:35], v[6:7], 3, v[30:31]
	v_dual_mov_b32 v24, 0 :: v_dual_mov_b32 v22, 0
	v_mov_b32_e32 v23, 0
	s_wait_loadcnt 0x0
	s_barrier_signal -1
	s_barrier_wait -1
	s_wait_xcnt 0x0
	s_mov_b32 s53, exec_lo
	v_readlane_b32 s54, v106, 14
	s_and_b32 s54, s53, s54
	s_delay_alu instid0(SALU_CYCLE_1)
	s_mov_b32 exec_lo, s54
	s_cbranch_execz .LBB60_6
; %bb.5:                                ;   in Loop: Header=BB60_3 Depth=1
	global_load_b64 v[22:23], v[34:35], off
.LBB60_6:                               ;   in Loop: Header=BB60_3 Depth=1
	s_wait_xcnt 0x0
	s_or_b32 exec_lo, exec_lo, s53
	v_mov_b32_e32 v25, 0
	s_wait_loadcnt 0x0
	s_barrier_signal -1
	s_barrier_wait -1
	s_mov_b32 s53, exec_lo
	v_readlane_b32 s54, v106, 15
	s_and_b32 s54, s53, s54
	s_delay_alu instid0(SALU_CYCLE_1)
	s_mov_b32 exec_lo, s54
	s_cbranch_execz .LBB60_8
; %bb.7:                                ;   in Loop: Header=BB60_3 Depth=1
	global_load_b64 v[24:25], v[34:35], off offset:128
.LBB60_8:                               ;   in Loop: Header=BB60_3 Depth=1
	s_wait_xcnt 0x0
	s_or_b32 exec_lo, exec_lo, s53
	v_dual_mov_b32 v29, 0 :: v_dual_mov_b32 v26, 0
	v_mov_b32_e32 v27, 0
	s_wait_loadcnt 0x0
	s_barrier_signal -1
	s_barrier_wait -1
	s_mov_b32 s53, exec_lo
	v_readlane_b32 s54, v106, 16
	s_and_b32 s54, s53, s54
	s_delay_alu instid0(SALU_CYCLE_1)
	s_mov_b32 exec_lo, s54
	s_cbranch_execz .LBB60_10
; %bb.9:                                ;   in Loop: Header=BB60_3 Depth=1
	global_load_b64 v[26:27], v[34:35], off offset:256
.LBB60_10:                              ;   in Loop: Header=BB60_3 Depth=1
	s_wait_xcnt 0x0
	s_or_b32 exec_lo, exec_lo, s53
	v_mov_b32_e32 v28, 0
	s_wait_loadcnt 0x0
	s_barrier_signal -1
	s_barrier_wait -1
	s_mov_b32 s53, exec_lo
	v_readlane_b32 s54, v106, 17
	s_and_b32 s54, s53, s54
	s_delay_alu instid0(SALU_CYCLE_1)
	s_mov_b32 exec_lo, s54
	s_cbranch_execz .LBB60_12
; %bb.11:                               ;   in Loop: Header=BB60_3 Depth=1
	global_load_b64 v[28:29], v[34:35], off offset:384
.LBB60_12:                              ;   in Loop: Header=BB60_3 Depth=1
	s_wait_xcnt 0x0
	s_or_b32 exec_lo, exec_lo, s53
.LBB60_13:                              ;   in Loop: Header=BB60_3 Depth=1
	s_delay_alu instid0(SALU_CYCLE_1)
	s_and_not1_b32 vcc_lo, exec_lo, s91
	s_mov_b32 s53, -1
	s_cbranch_vccnz .LBB60_24
; %bb.14:                               ;   in Loop: Header=BB60_3 Depth=1
	s_wait_xcnt 0x0
	s_and_saveexec_b32 s53, s6
	s_delay_alu instid0(SALU_CYCLE_1)
	s_xor_b32 s65, exec_lo, s53
	s_cbranch_execnz .LBB60_1070
; %bb.15:                               ;   in Loop: Header=BB60_3 Depth=1
	s_and_not1_saveexec_b32 s53, s65
	s_cbranch_execnz .LBB60_1081
.LBB60_16:                              ;   in Loop: Header=BB60_3 Depth=1
	s_or_b32 exec_lo, exec_lo, s53
	s_and_saveexec_b32 s53, s7
	s_delay_alu instid0(SALU_CYCLE_1)
	s_xor_b32 s65, exec_lo, s53
	s_cbranch_execnz .LBB60_1082
.LBB60_17:                              ;   in Loop: Header=BB60_3 Depth=1
	s_and_not1_saveexec_b32 s53, s65
	s_cbranch_execnz .LBB60_1093
.LBB60_18:                              ;   in Loop: Header=BB60_3 Depth=1
	s_or_b32 exec_lo, exec_lo, s53
	s_and_saveexec_b32 s53, s8
	s_delay_alu instid0(SALU_CYCLE_1)
	s_xor_b32 s65, exec_lo, s53
	s_cbranch_execnz .LBB60_1094
.LBB60_19:                              ;   in Loop: Header=BB60_3 Depth=1
	s_and_not1_saveexec_b32 s53, s65
	s_cbranch_execnz .LBB60_1105
.LBB60_20:                              ;   in Loop: Header=BB60_3 Depth=1
	s_or_b32 exec_lo, exec_lo, s53
	s_and_saveexec_b32 s53, s9
	s_delay_alu instid0(SALU_CYCLE_1)
	s_xor_b32 s65, exec_lo, s53
	s_cbranch_execnz .LBB60_1106
.LBB60_21:                              ;   in Loop: Header=BB60_3 Depth=1
	s_and_not1_saveexec_b32 s53, s65
	s_cbranch_execz .LBB60_23
.LBB60_22:                              ;   in Loop: Header=BB60_3 Depth=1
	v_lshl_add_u64 v[34:35], v[18:19], 3, s[84:85]
	global_load_b64 v[34:35], v[34:35], off
	s_wait_loadcnt 0x0
	v_xor_b32_e32 v34, 0x80000000, v34
	ds_store_b64 v78, v[34:35]
.LBB60_23:                              ;   in Loop: Header=BB60_3 Depth=1
	s_or_b32 exec_lo, exec_lo, s53
	s_mov_b32 s53, 0
.LBB60_24:                              ;   in Loop: Header=BB60_3 Depth=1
	s_delay_alu instid0(SALU_CYCLE_1)
	s_and_b32 vcc_lo, exec_lo, s53
	s_cbranch_vccz .LBB60_82
; %bb.25:                               ;   in Loop: Header=BB60_3 Depth=1
	s_wait_xcnt 0x0
	s_mov_b32 s53, exec_lo
	v_readlane_b32 s54, v106, 18
	s_and_b32 s54, s53, s54
	s_delay_alu instid0(SALU_CYCLE_1)
	s_xor_b32 s65, s54, s53
	s_mov_b32 exec_lo, s54
	s_cbranch_execz .LBB60_37
; %bb.26:                               ;   in Loop: Header=BB60_3 Depth=1
	s_mov_b32 s53, exec_lo
	v_readlane_b32 s54, v106, 23
	s_and_b32 s54, s53, s54
	s_delay_alu instid0(SALU_CYCLE_1)
	s_xor_b32 s53, s54, s53
	s_mov_b32 exec_lo, s54
	s_cbranch_execz .LBB60_30
; %bb.27:                               ;   in Loop: Header=BB60_3 Depth=1
	s_mov_b32 s54, exec_lo
	v_readlane_b32 s55, v105, 9
	s_and_b32 s55, s54, s55
	s_delay_alu instid0(SALU_CYCLE_1)
	s_mov_b32 exec_lo, s55
; %bb.28:                               ;   in Loop: Header=BB60_3 Depth=1
	ds_store_b64 v82, v[20:21]
; %bb.29:                               ;   in Loop: Header=BB60_3 Depth=1
	s_or_b32 exec_lo, exec_lo, s54
.LBB60_30:                              ;   in Loop: Header=BB60_3 Depth=1
	s_and_not1_saveexec_b32 s86, s53
	s_cbranch_execz .LBB60_36
; %bb.31:                               ;   in Loop: Header=BB60_3 Depth=1
	v_lshl_add_u64 v[34:35], v[12:13], 3, s[84:85]
                                        ; implicit-def: $vgpr36_vgpr37
	global_load_b64 v[34:35], v[34:35], off
	s_wait_loadcnt 0x0
	v_cmp_ngt_f32_e64 s53, |v34|, |v35|
	s_and_saveexec_b32 s54, s53
	s_delay_alu instid0(SALU_CYCLE_1)
	s_xor_b32 s53, exec_lo, s54
	s_cbranch_execz .LBB60_33
; %bb.32:                               ;   in Loop: Header=BB60_3 Depth=1
	v_div_scale_f32 v36, null, -v35, -v35, v34
	v_div_scale_f32 v39, vcc_lo, v34, -v35, v34
	s_delay_alu instid0(VALU_DEP_2) | instskip(SKIP_1) | instid1(TRANS32_DEP_1)
	v_rcp_f32_e32 v37, v36
	v_nop
	v_fma_f32 v38, -v36, v37, 1.0
	s_delay_alu instid0(VALU_DEP_1) | instskip(NEXT) | instid1(VALU_DEP_1)
	v_fmac_f32_e32 v37, v38, v37
	v_mul_f32_e32 v38, v39, v37
	s_delay_alu instid0(VALU_DEP_1) | instskip(NEXT) | instid1(VALU_DEP_1)
	v_fma_f32 v40, -v36, v38, v39
	v_fmac_f32_e32 v38, v40, v37
	s_delay_alu instid0(VALU_DEP_1) | instskip(NEXT) | instid1(VALU_DEP_1)
	v_fma_f32 v36, -v36, v38, v39
	v_div_fmas_f32 v36, v36, v37, v38
	s_delay_alu instid0(VALU_DEP_1) | instskip(NEXT) | instid1(VALU_DEP_1)
	v_div_fixup_f32 v36, v36, -v35, v34
	v_fma_f32 v34, v34, v36, -v35
	s_delay_alu instid0(VALU_DEP_1) | instskip(SKIP_1) | instid1(VALU_DEP_2)
	v_div_scale_f32 v35, null, v34, v34, 1.0
	v_div_scale_f32 v39, vcc_lo, 1.0, v34, 1.0
	v_rcp_f32_e32 v37, v35
	v_nop
	s_delay_alu instid0(TRANS32_DEP_1) | instskip(NEXT) | instid1(VALU_DEP_1)
	v_fma_f32 v38, -v35, v37, 1.0
	v_fmac_f32_e32 v37, v38, v37
	s_delay_alu instid0(VALU_DEP_1) | instskip(NEXT) | instid1(VALU_DEP_1)
	v_mul_f32_e32 v38, v39, v37
	v_fma_f32 v40, -v35, v38, v39
	s_delay_alu instid0(VALU_DEP_1) | instskip(NEXT) | instid1(VALU_DEP_1)
	v_fmac_f32_e32 v38, v40, v37
	v_fma_f32 v35, -v35, v38, v39
	s_delay_alu instid0(VALU_DEP_1) | instskip(NEXT) | instid1(VALU_DEP_1)
	v_div_fmas_f32 v35, v35, v37, v38
	v_div_fixup_f32 v34, v35, v34, 1.0
	s_delay_alu instid0(VALU_DEP_1)
	v_mul_f32_e32 v36, v36, v34
	v_xor_b32_e32 v37, 0x80000000, v34
                                        ; implicit-def: $vgpr34_vgpr35
.LBB60_33:                              ;   in Loop: Header=BB60_3 Depth=1
	s_and_not1_saveexec_b32 s53, s53
	s_cbranch_execz .LBB60_35
; %bb.34:                               ;   in Loop: Header=BB60_3 Depth=1
	v_div_scale_f32 v36, null, v34, v34, -v35
	v_div_scale_f32 v39, vcc_lo, -v35, v34, -v35
	s_delay_alu instid0(VALU_DEP_2) | instskip(SKIP_1) | instid1(TRANS32_DEP_1)
	v_rcp_f32_e32 v37, v36
	v_nop
	v_fma_f32 v38, -v36, v37, 1.0
	s_delay_alu instid0(VALU_DEP_1) | instskip(NEXT) | instid1(VALU_DEP_1)
	v_fmac_f32_e32 v37, v38, v37
	v_mul_f32_e32 v38, v39, v37
	s_delay_alu instid0(VALU_DEP_1) | instskip(NEXT) | instid1(VALU_DEP_1)
	v_fma_f32 v40, -v36, v38, v39
	v_fmac_f32_e32 v38, v40, v37
	s_delay_alu instid0(VALU_DEP_1) | instskip(NEXT) | instid1(VALU_DEP_1)
	v_fma_f32 v36, -v36, v38, v39
	v_div_fmas_f32 v36, v36, v37, v38
	s_delay_alu instid0(VALU_DEP_1) | instskip(NEXT) | instid1(VALU_DEP_1)
	v_div_fixup_f32 v37, v36, v34, -v35
	v_fma_f32 v34, -v35, v37, v34
	s_delay_alu instid0(VALU_DEP_1) | instskip(NEXT) | instid1(VALU_DEP_1)
	v_div_scale_f32 v35, null, v34, v34, 1.0
	v_rcp_f32_e32 v36, v35
	v_nop
	s_delay_alu instid0(TRANS32_DEP_1) | instskip(NEXT) | instid1(VALU_DEP_1)
	v_fma_f32 v38, -v35, v36, 1.0
	v_fmac_f32_e32 v36, v38, v36
	v_div_scale_f32 v38, vcc_lo, 1.0, v34, 1.0
	s_delay_alu instid0(VALU_DEP_1) | instskip(NEXT) | instid1(VALU_DEP_1)
	v_mul_f32_e32 v39, v38, v36
	v_fma_f32 v40, -v35, v39, v38
	s_delay_alu instid0(VALU_DEP_1) | instskip(NEXT) | instid1(VALU_DEP_1)
	v_fmac_f32_e32 v39, v40, v36
	v_fma_f32 v35, -v35, v39, v38
	s_delay_alu instid0(VALU_DEP_1) | instskip(NEXT) | instid1(VALU_DEP_1)
	v_div_fmas_f32 v35, v35, v36, v39
	v_div_fixup_f32 v36, v35, v34, 1.0
	s_delay_alu instid0(VALU_DEP_1)
	v_mul_f32_e64 v37, v37, -v36
.LBB60_35:                              ;   in Loop: Header=BB60_3 Depth=1
	s_or_b32 exec_lo, exec_lo, s53
	ds_store_b64 v82, v[36:37]
.LBB60_36:                              ;   in Loop: Header=BB60_3 Depth=1
	s_or_b32 exec_lo, exec_lo, s86
.LBB60_37:                              ;   in Loop: Header=BB60_3 Depth=1
	s_and_not1_saveexec_b32 s53, s65
	s_cbranch_execz .LBB60_39
; %bb.38:                               ;   in Loop: Header=BB60_3 Depth=1
	v_lshl_add_u64 v[34:35], v[12:13], 3, s[84:85]
	global_load_b64 v[34:35], v[34:35], off
	s_wait_loadcnt 0x0
	v_xor_b32_e32 v34, 0x80000000, v34
	ds_store_b64 v82, v[34:35]
.LBB60_39:                              ;   in Loop: Header=BB60_3 Depth=1
	s_or_b32 exec_lo, exec_lo, s53
	s_delay_alu instid0(SALU_CYCLE_1) | instskip(SKIP_2) | instid1(SALU_CYCLE_1)
	s_mov_b32 s53, exec_lo
	v_readlane_b32 s54, v106, 19
	s_and_b32 s54, s53, s54
	s_xor_b32 s65, s54, s53
	s_mov_b32 exec_lo, s54
	s_cbranch_execz .LBB60_51
; %bb.40:                               ;   in Loop: Header=BB60_3 Depth=1
	s_mov_b32 s53, exec_lo
	v_readlane_b32 s54, v106, 25
	s_and_b32 s54, s53, s54
	s_delay_alu instid0(SALU_CYCLE_1)
	s_xor_b32 s53, s54, s53
	s_mov_b32 exec_lo, s54
	s_cbranch_execz .LBB60_44
; %bb.41:                               ;   in Loop: Header=BB60_3 Depth=1
	s_mov_b32 s54, exec_lo
	v_readlane_b32 s55, v105, 10
	s_and_b32 s55, s54, s55
	s_delay_alu instid0(SALU_CYCLE_1)
	s_mov_b32 exec_lo, s55
; %bb.42:                               ;   in Loop: Header=BB60_3 Depth=1
	ds_store_b64 v75, v[20:21]
; %bb.43:                               ;   in Loop: Header=BB60_3 Depth=1
	s_or_b32 exec_lo, exec_lo, s54
.LBB60_44:                              ;   in Loop: Header=BB60_3 Depth=1
	s_and_not1_saveexec_b32 s86, s53
	s_cbranch_execz .LBB60_50
; %bb.45:                               ;   in Loop: Header=BB60_3 Depth=1
	v_lshl_add_u64 v[34:35], v[14:15], 3, s[84:85]
                                        ; implicit-def: $vgpr36_vgpr37
	global_load_b64 v[34:35], v[34:35], off
	s_wait_loadcnt 0x0
	v_cmp_ngt_f32_e64 s53, |v34|, |v35|
	s_and_saveexec_b32 s54, s53
	s_delay_alu instid0(SALU_CYCLE_1)
	s_xor_b32 s53, exec_lo, s54
	s_cbranch_execz .LBB60_47
; %bb.46:                               ;   in Loop: Header=BB60_3 Depth=1
	v_div_scale_f32 v36, null, -v35, -v35, v34
	v_div_scale_f32 v39, vcc_lo, v34, -v35, v34
	s_delay_alu instid0(VALU_DEP_2) | instskip(SKIP_1) | instid1(TRANS32_DEP_1)
	v_rcp_f32_e32 v37, v36
	v_nop
	v_fma_f32 v38, -v36, v37, 1.0
	s_delay_alu instid0(VALU_DEP_1) | instskip(NEXT) | instid1(VALU_DEP_1)
	v_fmac_f32_e32 v37, v38, v37
	v_mul_f32_e32 v38, v39, v37
	s_delay_alu instid0(VALU_DEP_1) | instskip(NEXT) | instid1(VALU_DEP_1)
	v_fma_f32 v40, -v36, v38, v39
	v_fmac_f32_e32 v38, v40, v37
	s_delay_alu instid0(VALU_DEP_1) | instskip(NEXT) | instid1(VALU_DEP_1)
	v_fma_f32 v36, -v36, v38, v39
	v_div_fmas_f32 v36, v36, v37, v38
	s_delay_alu instid0(VALU_DEP_1) | instskip(NEXT) | instid1(VALU_DEP_1)
	v_div_fixup_f32 v36, v36, -v35, v34
	v_fma_f32 v34, v34, v36, -v35
	s_delay_alu instid0(VALU_DEP_1) | instskip(SKIP_1) | instid1(VALU_DEP_2)
	v_div_scale_f32 v35, null, v34, v34, 1.0
	v_div_scale_f32 v39, vcc_lo, 1.0, v34, 1.0
	v_rcp_f32_e32 v37, v35
	v_nop
	s_delay_alu instid0(TRANS32_DEP_1) | instskip(NEXT) | instid1(VALU_DEP_1)
	v_fma_f32 v38, -v35, v37, 1.0
	v_fmac_f32_e32 v37, v38, v37
	s_delay_alu instid0(VALU_DEP_1) | instskip(NEXT) | instid1(VALU_DEP_1)
	v_mul_f32_e32 v38, v39, v37
	v_fma_f32 v40, -v35, v38, v39
	s_delay_alu instid0(VALU_DEP_1) | instskip(NEXT) | instid1(VALU_DEP_1)
	v_fmac_f32_e32 v38, v40, v37
	v_fma_f32 v35, -v35, v38, v39
	s_delay_alu instid0(VALU_DEP_1) | instskip(NEXT) | instid1(VALU_DEP_1)
	v_div_fmas_f32 v35, v35, v37, v38
	v_div_fixup_f32 v34, v35, v34, 1.0
	s_delay_alu instid0(VALU_DEP_1)
	v_mul_f32_e32 v36, v36, v34
	v_xor_b32_e32 v37, 0x80000000, v34
                                        ; implicit-def: $vgpr34_vgpr35
.LBB60_47:                              ;   in Loop: Header=BB60_3 Depth=1
	s_and_not1_saveexec_b32 s53, s53
	s_cbranch_execz .LBB60_49
; %bb.48:                               ;   in Loop: Header=BB60_3 Depth=1
	v_div_scale_f32 v36, null, v34, v34, -v35
	v_div_scale_f32 v39, vcc_lo, -v35, v34, -v35
	s_delay_alu instid0(VALU_DEP_2) | instskip(SKIP_1) | instid1(TRANS32_DEP_1)
	v_rcp_f32_e32 v37, v36
	v_nop
	v_fma_f32 v38, -v36, v37, 1.0
	s_delay_alu instid0(VALU_DEP_1) | instskip(NEXT) | instid1(VALU_DEP_1)
	v_fmac_f32_e32 v37, v38, v37
	v_mul_f32_e32 v38, v39, v37
	s_delay_alu instid0(VALU_DEP_1) | instskip(NEXT) | instid1(VALU_DEP_1)
	v_fma_f32 v40, -v36, v38, v39
	v_fmac_f32_e32 v38, v40, v37
	s_delay_alu instid0(VALU_DEP_1) | instskip(NEXT) | instid1(VALU_DEP_1)
	v_fma_f32 v36, -v36, v38, v39
	v_div_fmas_f32 v36, v36, v37, v38
	s_delay_alu instid0(VALU_DEP_1) | instskip(NEXT) | instid1(VALU_DEP_1)
	v_div_fixup_f32 v37, v36, v34, -v35
	v_fma_f32 v34, -v35, v37, v34
	s_delay_alu instid0(VALU_DEP_1) | instskip(NEXT) | instid1(VALU_DEP_1)
	v_div_scale_f32 v35, null, v34, v34, 1.0
	v_rcp_f32_e32 v36, v35
	v_nop
	s_delay_alu instid0(TRANS32_DEP_1) | instskip(NEXT) | instid1(VALU_DEP_1)
	v_fma_f32 v38, -v35, v36, 1.0
	v_fmac_f32_e32 v36, v38, v36
	v_div_scale_f32 v38, vcc_lo, 1.0, v34, 1.0
	s_delay_alu instid0(VALU_DEP_1) | instskip(NEXT) | instid1(VALU_DEP_1)
	v_mul_f32_e32 v39, v38, v36
	v_fma_f32 v40, -v35, v39, v38
	s_delay_alu instid0(VALU_DEP_1) | instskip(NEXT) | instid1(VALU_DEP_1)
	v_fmac_f32_e32 v39, v40, v36
	v_fma_f32 v35, -v35, v39, v38
	s_delay_alu instid0(VALU_DEP_1) | instskip(NEXT) | instid1(VALU_DEP_1)
	v_div_fmas_f32 v35, v35, v36, v39
	v_div_fixup_f32 v36, v35, v34, 1.0
	s_delay_alu instid0(VALU_DEP_1)
	v_mul_f32_e64 v37, v37, -v36
.LBB60_49:                              ;   in Loop: Header=BB60_3 Depth=1
	s_or_b32 exec_lo, exec_lo, s53
	ds_store_b64 v75, v[36:37]
.LBB60_50:                              ;   in Loop: Header=BB60_3 Depth=1
	s_or_b32 exec_lo, exec_lo, s86
.LBB60_51:                              ;   in Loop: Header=BB60_3 Depth=1
	s_and_not1_saveexec_b32 s53, s65
	s_cbranch_execz .LBB60_53
; %bb.52:                               ;   in Loop: Header=BB60_3 Depth=1
	v_lshl_add_u64 v[34:35], v[14:15], 3, s[84:85]
	global_load_b64 v[34:35], v[34:35], off
	s_wait_loadcnt 0x0
	v_xor_b32_e32 v34, 0x80000000, v34
	ds_store_b64 v75, v[34:35]
.LBB60_53:                              ;   in Loop: Header=BB60_3 Depth=1
	s_or_b32 exec_lo, exec_lo, s53
	s_delay_alu instid0(SALU_CYCLE_1) | instskip(SKIP_2) | instid1(SALU_CYCLE_1)
	s_mov_b32 s53, exec_lo
	v_readlane_b32 s54, v106, 20
	s_and_b32 s54, s53, s54
	s_xor_b32 s65, s54, s53
	s_mov_b32 exec_lo, s54
	s_cbranch_execz .LBB60_65
; %bb.54:                               ;   in Loop: Header=BB60_3 Depth=1
	s_mov_b32 s53, exec_lo
	v_readlane_b32 s54, v106, 27
	s_and_b32 s54, s53, s54
	s_delay_alu instid0(SALU_CYCLE_1)
	s_xor_b32 s53, s54, s53
	s_mov_b32 exec_lo, s54
	s_cbranch_execz .LBB60_58
; %bb.55:                               ;   in Loop: Header=BB60_3 Depth=1
	s_mov_b32 s54, exec_lo
	v_readlane_b32 s55, v105, 11
	s_and_b32 s55, s54, s55
	s_delay_alu instid0(SALU_CYCLE_1)
	s_mov_b32 exec_lo, s55
; %bb.56:                               ;   in Loop: Header=BB60_3 Depth=1
	ds_store_b64 v77, v[20:21]
; %bb.57:                               ;   in Loop: Header=BB60_3 Depth=1
	s_or_b32 exec_lo, exec_lo, s54
.LBB60_58:                              ;   in Loop: Header=BB60_3 Depth=1
	s_and_not1_saveexec_b32 s86, s53
	s_cbranch_execz .LBB60_64
; %bb.59:                               ;   in Loop: Header=BB60_3 Depth=1
	v_lshl_add_u64 v[34:35], v[16:17], 3, s[84:85]
                                        ; implicit-def: $vgpr36_vgpr37
	global_load_b64 v[34:35], v[34:35], off
	s_wait_loadcnt 0x0
	v_cmp_ngt_f32_e64 s53, |v34|, |v35|
	s_and_saveexec_b32 s54, s53
	s_delay_alu instid0(SALU_CYCLE_1)
	s_xor_b32 s53, exec_lo, s54
	s_cbranch_execz .LBB60_61
; %bb.60:                               ;   in Loop: Header=BB60_3 Depth=1
	v_div_scale_f32 v36, null, -v35, -v35, v34
	v_div_scale_f32 v39, vcc_lo, v34, -v35, v34
	s_delay_alu instid0(VALU_DEP_2) | instskip(SKIP_1) | instid1(TRANS32_DEP_1)
	v_rcp_f32_e32 v37, v36
	v_nop
	v_fma_f32 v38, -v36, v37, 1.0
	s_delay_alu instid0(VALU_DEP_1) | instskip(NEXT) | instid1(VALU_DEP_1)
	v_fmac_f32_e32 v37, v38, v37
	v_mul_f32_e32 v38, v39, v37
	s_delay_alu instid0(VALU_DEP_1) | instskip(NEXT) | instid1(VALU_DEP_1)
	v_fma_f32 v40, -v36, v38, v39
	v_fmac_f32_e32 v38, v40, v37
	s_delay_alu instid0(VALU_DEP_1) | instskip(NEXT) | instid1(VALU_DEP_1)
	v_fma_f32 v36, -v36, v38, v39
	v_div_fmas_f32 v36, v36, v37, v38
	s_delay_alu instid0(VALU_DEP_1) | instskip(NEXT) | instid1(VALU_DEP_1)
	v_div_fixup_f32 v36, v36, -v35, v34
	v_fma_f32 v34, v34, v36, -v35
	s_delay_alu instid0(VALU_DEP_1) | instskip(SKIP_1) | instid1(VALU_DEP_2)
	v_div_scale_f32 v35, null, v34, v34, 1.0
	v_div_scale_f32 v39, vcc_lo, 1.0, v34, 1.0
	v_rcp_f32_e32 v37, v35
	v_nop
	s_delay_alu instid0(TRANS32_DEP_1) | instskip(NEXT) | instid1(VALU_DEP_1)
	v_fma_f32 v38, -v35, v37, 1.0
	v_fmac_f32_e32 v37, v38, v37
	s_delay_alu instid0(VALU_DEP_1) | instskip(NEXT) | instid1(VALU_DEP_1)
	v_mul_f32_e32 v38, v39, v37
	v_fma_f32 v40, -v35, v38, v39
	s_delay_alu instid0(VALU_DEP_1) | instskip(NEXT) | instid1(VALU_DEP_1)
	v_fmac_f32_e32 v38, v40, v37
	v_fma_f32 v35, -v35, v38, v39
	s_delay_alu instid0(VALU_DEP_1) | instskip(NEXT) | instid1(VALU_DEP_1)
	v_div_fmas_f32 v35, v35, v37, v38
	v_div_fixup_f32 v34, v35, v34, 1.0
	s_delay_alu instid0(VALU_DEP_1)
	v_mul_f32_e32 v36, v36, v34
	v_xor_b32_e32 v37, 0x80000000, v34
                                        ; implicit-def: $vgpr34_vgpr35
.LBB60_61:                              ;   in Loop: Header=BB60_3 Depth=1
	s_and_not1_saveexec_b32 s53, s53
	s_cbranch_execz .LBB60_63
; %bb.62:                               ;   in Loop: Header=BB60_3 Depth=1
	v_div_scale_f32 v36, null, v34, v34, -v35
	v_div_scale_f32 v39, vcc_lo, -v35, v34, -v35
	s_delay_alu instid0(VALU_DEP_2) | instskip(SKIP_1) | instid1(TRANS32_DEP_1)
	v_rcp_f32_e32 v37, v36
	v_nop
	v_fma_f32 v38, -v36, v37, 1.0
	s_delay_alu instid0(VALU_DEP_1) | instskip(NEXT) | instid1(VALU_DEP_1)
	v_fmac_f32_e32 v37, v38, v37
	v_mul_f32_e32 v38, v39, v37
	s_delay_alu instid0(VALU_DEP_1) | instskip(NEXT) | instid1(VALU_DEP_1)
	v_fma_f32 v40, -v36, v38, v39
	v_fmac_f32_e32 v38, v40, v37
	s_delay_alu instid0(VALU_DEP_1) | instskip(NEXT) | instid1(VALU_DEP_1)
	v_fma_f32 v36, -v36, v38, v39
	v_div_fmas_f32 v36, v36, v37, v38
	s_delay_alu instid0(VALU_DEP_1) | instskip(NEXT) | instid1(VALU_DEP_1)
	v_div_fixup_f32 v37, v36, v34, -v35
	v_fma_f32 v34, -v35, v37, v34
	s_delay_alu instid0(VALU_DEP_1) | instskip(NEXT) | instid1(VALU_DEP_1)
	v_div_scale_f32 v35, null, v34, v34, 1.0
	v_rcp_f32_e32 v36, v35
	v_nop
	s_delay_alu instid0(TRANS32_DEP_1) | instskip(NEXT) | instid1(VALU_DEP_1)
	v_fma_f32 v38, -v35, v36, 1.0
	v_fmac_f32_e32 v36, v38, v36
	v_div_scale_f32 v38, vcc_lo, 1.0, v34, 1.0
	s_delay_alu instid0(VALU_DEP_1) | instskip(NEXT) | instid1(VALU_DEP_1)
	v_mul_f32_e32 v39, v38, v36
	v_fma_f32 v40, -v35, v39, v38
	s_delay_alu instid0(VALU_DEP_1) | instskip(NEXT) | instid1(VALU_DEP_1)
	v_fmac_f32_e32 v39, v40, v36
	v_fma_f32 v35, -v35, v39, v38
	s_delay_alu instid0(VALU_DEP_1) | instskip(NEXT) | instid1(VALU_DEP_1)
	v_div_fmas_f32 v35, v35, v36, v39
	v_div_fixup_f32 v36, v35, v34, 1.0
	s_delay_alu instid0(VALU_DEP_1)
	v_mul_f32_e64 v37, v37, -v36
.LBB60_63:                              ;   in Loop: Header=BB60_3 Depth=1
	s_or_b32 exec_lo, exec_lo, s53
	ds_store_b64 v77, v[36:37]
.LBB60_64:                              ;   in Loop: Header=BB60_3 Depth=1
	s_or_b32 exec_lo, exec_lo, s86
.LBB60_65:                              ;   in Loop: Header=BB60_3 Depth=1
	s_and_not1_saveexec_b32 s53, s65
	s_cbranch_execz .LBB60_67
; %bb.66:                               ;   in Loop: Header=BB60_3 Depth=1
	v_lshl_add_u64 v[34:35], v[16:17], 3, s[84:85]
	global_load_b64 v[34:35], v[34:35], off
	s_wait_loadcnt 0x0
	v_xor_b32_e32 v34, 0x80000000, v34
	ds_store_b64 v77, v[34:35]
.LBB60_67:                              ;   in Loop: Header=BB60_3 Depth=1
	s_or_b32 exec_lo, exec_lo, s53
	s_delay_alu instid0(SALU_CYCLE_1) | instskip(SKIP_2) | instid1(SALU_CYCLE_1)
	s_mov_b32 s53, exec_lo
	v_readlane_b32 s54, v106, 21
	s_and_b32 s54, s53, s54
	s_xor_b32 s65, s54, s53
	s_mov_b32 exec_lo, s54
	s_cbranch_execz .LBB60_79
; %bb.68:                               ;   in Loop: Header=BB60_3 Depth=1
	s_mov_b32 s53, exec_lo
	v_readlane_b32 s54, v106, 29
	s_and_b32 s54, s53, s54
	s_delay_alu instid0(SALU_CYCLE_1)
	s_xor_b32 s53, s54, s53
	s_mov_b32 exec_lo, s54
	s_cbranch_execz .LBB60_72
; %bb.69:                               ;   in Loop: Header=BB60_3 Depth=1
	s_mov_b32 s54, exec_lo
	v_readlane_b32 s55, v105, 12
	s_and_b32 s55, s54, s55
	s_delay_alu instid0(SALU_CYCLE_1)
	s_mov_b32 exec_lo, s55
; %bb.70:                               ;   in Loop: Header=BB60_3 Depth=1
	ds_store_b64 v78, v[20:21]
; %bb.71:                               ;   in Loop: Header=BB60_3 Depth=1
	s_or_b32 exec_lo, exec_lo, s54
.LBB60_72:                              ;   in Loop: Header=BB60_3 Depth=1
	s_and_not1_saveexec_b32 s86, s53
	s_cbranch_execz .LBB60_78
; %bb.73:                               ;   in Loop: Header=BB60_3 Depth=1
	v_lshl_add_u64 v[34:35], v[18:19], 3, s[84:85]
                                        ; implicit-def: $vgpr36_vgpr37
	global_load_b64 v[34:35], v[34:35], off
	s_wait_loadcnt 0x0
	v_cmp_ngt_f32_e64 s53, |v34|, |v35|
	s_and_saveexec_b32 s54, s53
	s_delay_alu instid0(SALU_CYCLE_1)
	s_xor_b32 s53, exec_lo, s54
	s_cbranch_execz .LBB60_75
; %bb.74:                               ;   in Loop: Header=BB60_3 Depth=1
	v_div_scale_f32 v36, null, -v35, -v35, v34
	v_div_scale_f32 v39, vcc_lo, v34, -v35, v34
	s_delay_alu instid0(VALU_DEP_2) | instskip(SKIP_1) | instid1(TRANS32_DEP_1)
	v_rcp_f32_e32 v37, v36
	v_nop
	v_fma_f32 v38, -v36, v37, 1.0
	s_delay_alu instid0(VALU_DEP_1) | instskip(NEXT) | instid1(VALU_DEP_1)
	v_fmac_f32_e32 v37, v38, v37
	v_mul_f32_e32 v38, v39, v37
	s_delay_alu instid0(VALU_DEP_1) | instskip(NEXT) | instid1(VALU_DEP_1)
	v_fma_f32 v40, -v36, v38, v39
	v_fmac_f32_e32 v38, v40, v37
	s_delay_alu instid0(VALU_DEP_1) | instskip(NEXT) | instid1(VALU_DEP_1)
	v_fma_f32 v36, -v36, v38, v39
	v_div_fmas_f32 v36, v36, v37, v38
	s_delay_alu instid0(VALU_DEP_1) | instskip(NEXT) | instid1(VALU_DEP_1)
	v_div_fixup_f32 v36, v36, -v35, v34
	v_fma_f32 v34, v34, v36, -v35
	s_delay_alu instid0(VALU_DEP_1) | instskip(SKIP_1) | instid1(VALU_DEP_2)
	v_div_scale_f32 v35, null, v34, v34, 1.0
	v_div_scale_f32 v39, vcc_lo, 1.0, v34, 1.0
	v_rcp_f32_e32 v37, v35
	v_nop
	s_delay_alu instid0(TRANS32_DEP_1) | instskip(NEXT) | instid1(VALU_DEP_1)
	v_fma_f32 v38, -v35, v37, 1.0
	v_fmac_f32_e32 v37, v38, v37
	s_delay_alu instid0(VALU_DEP_1) | instskip(NEXT) | instid1(VALU_DEP_1)
	v_mul_f32_e32 v38, v39, v37
	v_fma_f32 v40, -v35, v38, v39
	s_delay_alu instid0(VALU_DEP_1) | instskip(NEXT) | instid1(VALU_DEP_1)
	v_fmac_f32_e32 v38, v40, v37
	v_fma_f32 v35, -v35, v38, v39
	s_delay_alu instid0(VALU_DEP_1) | instskip(NEXT) | instid1(VALU_DEP_1)
	v_div_fmas_f32 v35, v35, v37, v38
	v_div_fixup_f32 v34, v35, v34, 1.0
	s_delay_alu instid0(VALU_DEP_1)
	v_mul_f32_e32 v36, v36, v34
	v_xor_b32_e32 v37, 0x80000000, v34
                                        ; implicit-def: $vgpr34_vgpr35
.LBB60_75:                              ;   in Loop: Header=BB60_3 Depth=1
	s_and_not1_saveexec_b32 s53, s53
	s_cbranch_execz .LBB60_77
; %bb.76:                               ;   in Loop: Header=BB60_3 Depth=1
	v_div_scale_f32 v36, null, v34, v34, -v35
	v_div_scale_f32 v39, vcc_lo, -v35, v34, -v35
	s_delay_alu instid0(VALU_DEP_2) | instskip(SKIP_1) | instid1(TRANS32_DEP_1)
	v_rcp_f32_e32 v37, v36
	v_nop
	v_fma_f32 v38, -v36, v37, 1.0
	s_delay_alu instid0(VALU_DEP_1) | instskip(NEXT) | instid1(VALU_DEP_1)
	v_fmac_f32_e32 v37, v38, v37
	v_mul_f32_e32 v38, v39, v37
	s_delay_alu instid0(VALU_DEP_1) | instskip(NEXT) | instid1(VALU_DEP_1)
	v_fma_f32 v40, -v36, v38, v39
	v_fmac_f32_e32 v38, v40, v37
	s_delay_alu instid0(VALU_DEP_1) | instskip(NEXT) | instid1(VALU_DEP_1)
	v_fma_f32 v36, -v36, v38, v39
	v_div_fmas_f32 v36, v36, v37, v38
	s_delay_alu instid0(VALU_DEP_1) | instskip(NEXT) | instid1(VALU_DEP_1)
	v_div_fixup_f32 v37, v36, v34, -v35
	v_fma_f32 v34, -v35, v37, v34
	s_delay_alu instid0(VALU_DEP_1) | instskip(NEXT) | instid1(VALU_DEP_1)
	v_div_scale_f32 v35, null, v34, v34, 1.0
	v_rcp_f32_e32 v36, v35
	v_nop
	s_delay_alu instid0(TRANS32_DEP_1) | instskip(NEXT) | instid1(VALU_DEP_1)
	v_fma_f32 v38, -v35, v36, 1.0
	v_fmac_f32_e32 v36, v38, v36
	v_div_scale_f32 v38, vcc_lo, 1.0, v34, 1.0
	s_delay_alu instid0(VALU_DEP_1) | instskip(NEXT) | instid1(VALU_DEP_1)
	v_mul_f32_e32 v39, v38, v36
	v_fma_f32 v40, -v35, v39, v38
	s_delay_alu instid0(VALU_DEP_1) | instskip(NEXT) | instid1(VALU_DEP_1)
	v_fmac_f32_e32 v39, v40, v36
	v_fma_f32 v35, -v35, v39, v38
	s_delay_alu instid0(VALU_DEP_1) | instskip(NEXT) | instid1(VALU_DEP_1)
	v_div_fmas_f32 v35, v35, v36, v39
	v_div_fixup_f32 v36, v35, v34, 1.0
	s_delay_alu instid0(VALU_DEP_1)
	v_mul_f32_e64 v37, v37, -v36
.LBB60_77:                              ;   in Loop: Header=BB60_3 Depth=1
	s_or_b32 exec_lo, exec_lo, s53
	ds_store_b64 v78, v[36:37]
.LBB60_78:                              ;   in Loop: Header=BB60_3 Depth=1
	s_or_b32 exec_lo, exec_lo, s86
.LBB60_79:                              ;   in Loop: Header=BB60_3 Depth=1
	s_and_not1_saveexec_b32 s53, s65
	s_cbranch_execz .LBB60_81
; %bb.80:                               ;   in Loop: Header=BB60_3 Depth=1
	v_lshl_add_u64 v[34:35], v[18:19], 3, s[84:85]
	global_load_b64 v[34:35], v[34:35], off
	s_wait_loadcnt 0x0
	v_xor_b32_e32 v34, 0x80000000, v34
	ds_store_b64 v78, v[34:35]
.LBB60_81:                              ;   in Loop: Header=BB60_3 Depth=1
	s_or_b32 exec_lo, exec_lo, s53
.LBB60_82:                              ;   in Loop: Header=BB60_3 Depth=1
	s_delay_alu instid0(SALU_CYCLE_1)
	s_and_not1_b32 vcc_lo, exec_lo, s93
	s_wait_loadcnt_dscnt 0x0
	s_barrier_signal -1
	s_barrier_wait -1
	s_cbranch_vccnz .LBB60_1004
; %bb.83:                               ;   in Loop: Header=BB60_3 Depth=1
	s_and_saveexec_b32 s53, s14
	s_cbranch_execz .LBB60_85
; %bb.84:                               ;   in Loop: Header=BB60_3 Depth=1
	ds_load_b128 v[34:37], v5
	ds_load_b64 v[38:39], v5 offset:520
	s_wait_dscnt 0x1
	v_dual_mov_b32 v96, v37 :: v_dual_mov_b32 v97, v36
	s_wait_dscnt 0x0
	v_dual_mul_f32 v95, v39, v35 :: v_dual_mul_f32 v40, v38, v35
	s_delay_alu instid0(VALU_DEP_1) | instskip(NEXT) | instid1(VALU_DEP_1)
	v_xor_b32_e32 v98, 0x80000000, v95
	v_dual_fmac_f32 v40, v39, v34 :: v_dual_fmac_f32 v98, v38, v34
	s_delay_alu instid0(VALU_DEP_1) | instskip(NEXT) | instid1(VALU_DEP_1)
	v_pk_mul_f32 v[34:35], v[40:41], v[96:97] op_sel_hi:[0,1]
	v_pk_fma_f32 v[38:39], v[98:99], v[36:37], v[34:35] op_sel_hi:[0,1,1]
	v_pk_fma_f32 v[34:35], v[98:99], v[36:37], v[34:35] neg_lo:[0,0,1] neg_hi:[0,0,1]
	s_delay_alu instid0(VALU_DEP_2)
	v_mov_b32_e32 v35, v39
	ds_store_2addr_b64 v5, v[34:35], v[34:35] offset0:1 offset1:64
.LBB60_85:                              ;   in Loop: Header=BB60_3 Depth=1
	s_or_b32 exec_lo, exec_lo, s53
	v_mov_b32_e32 v35, 0
	s_wait_dscnt 0x0
	s_barrier_signal -1
	s_barrier_wait -1
	s_delay_alu instid0(VALU_DEP_1)
	v_mov_b32_e32 v34, v35
	s_and_saveexec_b32 s53, s0
	s_cbranch_execz .LBB60_89
; %bb.86:                               ;   in Loop: Header=BB60_3 Depth=1
	ds_load_b64 v[34:35], v42 offset:16
	ds_load_b64 v[36:37], v43
	s_wait_dscnt 0x0
	v_dual_mul_f32 v38, v37, v35 :: v_dual_mul_f32 v39, v36, v35
	s_delay_alu instid0(VALU_DEP_1) | instskip(NEXT) | instid1(VALU_DEP_1)
	v_dual_fma_f32 v38, v36, v34, -v38 :: v_dual_fmac_f32 v39, v37, v34
	v_pk_add_f32 v[34:35], v[38:39], 0 op_sel_hi:[1,0]
	s_and_saveexec_b32 s54, s15
	s_cbranch_execz .LBB60_88
; %bb.87:                               ;   in Loop: Header=BB60_3 Depth=1
	ds_load_b64 v[36:37], v44 offset:528
	ds_load_b64 v[38:39], v5 offset:8
	s_wait_dscnt 0x0
	v_pk_mul_f32 v[96:97], v[38:39], v[36:37] op_sel:[1,1] op_sel_hi:[0,1]
	s_delay_alu instid0(VALU_DEP_1) | instskip(SKIP_1) | instid1(VALU_DEP_2)
	v_pk_fma_f32 v[98:99], v[38:39], v[36:37], v[96:97] op_sel_hi:[1,0,1]
	v_pk_fma_f32 v[36:37], v[38:39], v[36:37], v[96:97] neg_lo:[0,0,1] neg_hi:[0,0,1]
	v_mov_b32_e32 v37, v99
	s_delay_alu instid0(VALU_DEP_1)
	v_pk_add_f32 v[34:35], v[34:35], v[36:37]
.LBB60_88:                              ;   in Loop: Header=BB60_3 Depth=1
	s_or_b32 exec_lo, exec_lo, s54
	s_delay_alu instid0(VALU_DEP_1)
	v_pk_add_f32 v[34:35], v[34:35], 0 neg_lo:[1,1] neg_hi:[1,1]
.LBB60_89:                              ;   in Loop: Header=BB60_3 Depth=1
	s_or_b32 exec_lo, exec_lo, s53
	s_and_saveexec_b32 s53, s94
	s_cbranch_execz .LBB60_91
; %bb.90:                               ;   in Loop: Header=BB60_3 Depth=1
	ds_load_b64 v[36:37], v5 offset:1040
	s_wait_dscnt 0x0
	v_pk_mul_f32 v[38:39], v[34:35], v[36:37] op_sel:[1,1] op_sel_hi:[1,0]
	s_delay_alu instid0(VALU_DEP_1) | instskip(SKIP_1) | instid1(VALU_DEP_2)
	v_pk_fma_f32 v[96:97], v[34:35], v[36:37], v[38:39] op_sel_hi:[0,1,1]
	v_pk_fma_f32 v[36:37], v[34:35], v[36:37], v[38:39] neg_lo:[0,0,1] neg_hi:[0,0,1]
	v_mov_b32_e32 v37, v97
	s_delay_alu instid0(VALU_DEP_1)
	v_mov_b64_e32 v[34:35], v[36:37]
	ds_store_b64 v3, v[36:37]
.LBB60_91:                              ;   in Loop: Header=BB60_3 Depth=1
	s_or_b32 exec_lo, exec_lo, s53
	s_wait_dscnt 0x0
	s_barrier_signal -1
	s_barrier_wait -1
	s_and_saveexec_b32 s53, s95
	s_cbranch_execz .LBB60_93
; %bb.92:                               ;   in Loop: Header=BB60_3 Depth=1
	ds_load_b64 v[36:37], v5 offset:1048
	ds_load_b64 v[38:39], v3
	s_wait_dscnt 0x0
	v_pk_mul_f32 v[96:97], v[38:39], v[36:37] op_sel:[1,1] op_sel_hi:[0,1]
	s_delay_alu instid0(VALU_DEP_1) | instskip(SKIP_1) | instid1(VALU_DEP_2)
	v_pk_fma_f32 v[98:99], v[38:39], v[36:37], v[96:97] op_sel_hi:[1,0,1]
	v_pk_fma_f32 v[36:37], v[38:39], v[36:37], v[96:97] neg_lo:[0,0,1] neg_hi:[0,0,1]
	v_mov_b32_e32 v37, v99
	s_delay_alu instid0(VALU_DEP_1)
	v_pk_add_f32 v[34:35], v[34:35], v[36:37]
.LBB60_93:                              ;   in Loop: Header=BB60_3 Depth=1
	s_or_b32 exec_lo, exec_lo, s53
	s_barrier_signal -1
	s_barrier_wait -1
	s_and_saveexec_b32 s53, s95
	s_cbranch_execz .LBB60_95
; %bb.94:                               ;   in Loop: Header=BB60_3 Depth=1
	ds_load_b64 v[36:37], v5 offset:1560
	s_wait_dscnt 0x0
	v_pk_mul_f32 v[38:39], v[34:35], v[36:37] op_sel:[1,1] op_sel_hi:[1,0]
	s_delay_alu instid0(VALU_DEP_1) | instskip(SKIP_1) | instid1(VALU_DEP_2)
	v_pk_fma_f32 v[96:97], v[34:35], v[36:37], v[38:39] op_sel_hi:[0,1,1]
	v_pk_fma_f32 v[36:37], v[34:35], v[36:37], v[38:39] neg_lo:[0,0,1] neg_hi:[0,0,1]
	v_mov_b32_e32 v37, v97
	s_delay_alu instid0(VALU_DEP_1)
	v_mov_b64_e32 v[34:35], v[36:37]
	ds_store_b64 v3, v[36:37]
.LBB60_95:                              ;   in Loop: Header=BB60_3 Depth=1
	s_or_b32 exec_lo, exec_lo, s53
	s_wait_dscnt 0x0
	s_barrier_signal -1
	s_barrier_wait -1
	s_barrier_signal -1
	s_barrier_wait -1
	s_and_saveexec_b32 s53, s0
; %bb.96:                               ;   in Loop: Header=BB60_3 Depth=1
	v_pk_add_f32 v[34:35], v[34:35], 0 neg_lo:[1,1] neg_hi:[1,1]
	ds_store_b64 v42, v[34:35] offset:16
; %bb.97:                               ;   in Loop: Header=BB60_3 Depth=1
	s_or_b32 exec_lo, exec_lo, s53
	s_wait_dscnt 0x0
	s_barrier_signal -1
	s_barrier_wait -1
	s_barrier_signal -1
	s_barrier_wait -1
	s_and_saveexec_b32 s53, s96
	s_cbranch_execz .LBB60_99
; %bb.98:                               ;   in Loop: Header=BB60_3 Depth=1
	ds_load_b64 v[34:35], v47 offset:16
	s_wait_dscnt 0x0
	ds_store_b64 v44, v[34:35] offset:1024
	ds_load_b64 v[34:35], v47 offset:24
	s_wait_dscnt 0x0
	ds_store_b64 v44, v[34:35] offset:1536
.LBB60_99:                              ;   in Loop: Header=BB60_3 Depth=1
	s_or_b32 exec_lo, exec_lo, s53
	s_wait_dscnt 0x0
	s_barrier_signal -1
	s_barrier_wait -1
	s_and_saveexec_b32 s53, s14
	s_cbranch_execz .LBB60_101
; %bb.100:                              ;   in Loop: Header=BB60_3 Depth=1
	ds_load_b128 v[34:37], v5 offset:1040
	ds_load_b64 v[38:39], v5 offset:1560
	s_wait_dscnt 0x1
	v_dual_mov_b32 v96, v37 :: v_dual_mov_b32 v97, v36
	s_wait_dscnt 0x0
	v_dual_mul_f32 v95, v39, v35 :: v_dual_mul_f32 v40, v38, v35
	s_delay_alu instid0(VALU_DEP_1) | instskip(NEXT) | instid1(VALU_DEP_1)
	v_xor_b32_e32 v98, 0x80000000, v95
	v_dual_fmac_f32 v40, v39, v34 :: v_dual_fmac_f32 v98, v38, v34
	s_delay_alu instid0(VALU_DEP_1) | instskip(NEXT) | instid1(VALU_DEP_1)
	v_pk_mul_f32 v[34:35], v[40:41], v[96:97] op_sel_hi:[0,1]
	v_pk_fma_f32 v[38:39], v[98:99], v[36:37], v[34:35] op_sel_hi:[0,1,1]
	v_pk_fma_f32 v[34:35], v[98:99], v[36:37], v[34:35] neg_lo:[0,0,1] neg_hi:[0,0,1]
	s_delay_alu instid0(VALU_DEP_2)
	v_mov_b32_e32 v35, v39
	ds_store_2addr_b64 v5, v[34:35], v[34:35] offset0:131 offset1:194
.LBB60_101:                             ;   in Loop: Header=BB60_3 Depth=1
	s_or_b32 exec_lo, exec_lo, s53
	v_mov_b32_e32 v34, 0
	s_wait_dscnt 0x0
	s_barrier_signal -1
	s_barrier_wait -1
	s_delay_alu instid0(VALU_DEP_1)
	v_mov_b32_e32 v35, v34
	s_and_saveexec_b32 s65, s2
	s_cbranch_execz .LBB60_107
; %bb.102:                              ;   in Loop: Header=BB60_3 Depth=1
	ds_load_b64 v[34:35], v49 offset:32
	ds_load_b64 v[36:37], v45
	s_wait_dscnt 0x0
	v_pk_mul_f32 v[38:39], v[36:37], v[34:35] op_sel:[0,1]
	s_delay_alu instid0(VALU_DEP_1) | instskip(SKIP_1) | instid1(VALU_DEP_2)
	v_pk_fma_f32 v[96:97], v[36:37], v[34:35], v[38:39] op_sel:[1,0,0] op_sel_hi:[0,0,1] neg_lo:[0,0,1] neg_hi:[0,0,1]
	v_pk_fma_f32 v[34:35], v[36:37], v[34:35], v[38:39] op_sel:[1,0,0] op_sel_hi:[0,1,1]
	v_mov_b32_e32 v35, v97
	s_delay_alu instid0(VALU_DEP_1)
	v_pk_add_f32 v[34:35], v[34:35], 0 op_sel_hi:[1,0]
	s_and_saveexec_b32 s53, s16
	s_cbranch_execnz .LBB60_1124
; %bb.103:                              ;   in Loop: Header=BB60_3 Depth=1
	s_or_b32 exec_lo, exec_lo, s53
	s_and_saveexec_b32 s53, s17
	s_cbranch_execnz .LBB60_1125
.LBB60_104:                             ;   in Loop: Header=BB60_3 Depth=1
	s_or_b32 exec_lo, exec_lo, s53
	s_and_saveexec_b32 s53, s0
	s_cbranch_execz .LBB60_106
.LBB60_105:                             ;   in Loop: Header=BB60_3 Depth=1
	ds_load_b64 v[36:37], v52 offset:1568
	ds_load_b64 v[38:39], v5 offset:24
	s_wait_dscnt 0x0
	v_pk_mul_f32 v[96:97], v[38:39], v[36:37] op_sel:[0,1]
	s_delay_alu instid0(VALU_DEP_1) | instskip(SKIP_1) | instid1(VALU_DEP_2)
	v_pk_fma_f32 v[98:99], v[38:39], v[36:37], v[96:97] op_sel:[1,0,0] op_sel_hi:[0,0,1] neg_lo:[0,0,1] neg_hi:[0,0,1]
	v_pk_fma_f32 v[36:37], v[38:39], v[36:37], v[96:97] op_sel:[1,0,0] op_sel_hi:[0,1,1]
	v_mov_b32_e32 v37, v99
	s_delay_alu instid0(VALU_DEP_1)
	v_pk_add_f32 v[34:35], v[34:35], v[36:37]
.LBB60_106:                             ;   in Loop: Header=BB60_3 Depth=1
	s_or_b32 exec_lo, exec_lo, s53
	s_delay_alu instid0(VALU_DEP_1) | instskip(NEXT) | instid1(VALU_DEP_1)
	v_pk_add_f32 v[36:37], v[34:35], 0 neg_lo:[1,1] neg_hi:[1,1]
	v_dual_mov_b32 v34, v37 :: v_dual_mov_b32 v35, v36
.LBB60_107:                             ;   in Loop: Header=BB60_3 Depth=1
	s_or_b32 exec_lo, exec_lo, s65
	s_and_saveexec_b32 s53, s97
	s_cbranch_execz .LBB60_109
; %bb.108:                              ;   in Loop: Header=BB60_3 Depth=1
	ds_load_b64 v[36:37], v5 offset:2080
	v_dual_mov_b32 v38, v35 :: v_dual_mov_b32 v39, v34
	s_wait_dscnt 0x0
	s_delay_alu instid0(VALU_DEP_1) | instskip(NEXT) | instid1(VALU_DEP_1)
	v_dual_mul_f32 v40, v38, v36 :: v_dual_mul_f32 v96, v35, v37
	v_pk_fma_f32 v[38:39], v[38:39], v[36:37], v[40:41] op_sel_hi:[1,1,0]
	s_delay_alu instid0(VALU_DEP_2) | instskip(NEXT) | instid1(VALU_DEP_2)
	v_pk_fma_f32 v[34:35], v[34:35], v[36:37], v[96:97] op_sel_hi:[1,1,0] neg_lo:[0,0,1] neg_hi:[0,0,1]
	v_mov_b32_e32 v35, v39
	ds_store_b64 v48, v[34:35]
.LBB60_109:                             ;   in Loop: Header=BB60_3 Depth=1
	s_or_b32 exec_lo, exec_lo, s53
	s_wait_dscnt 0x0
	s_barrier_signal -1
	s_barrier_wait -1
	s_and_saveexec_b32 s53, s98
	s_cbranch_execz .LBB60_111
; %bb.110:                              ;   in Loop: Header=BB60_3 Depth=1
	ds_load_b64 v[36:37], v46 offset:2080
	ds_load_b64 v[38:39], v48
	s_wait_dscnt 0x0
	v_dual_mul_f32 v40, v39, v37 :: v_dual_mul_f32 v97, v38, v37
	s_delay_alu instid0(VALU_DEP_1) | instskip(NEXT) | instid1(VALU_DEP_1)
	v_dual_fma_f32 v96, v38, v36, -v40 :: v_dual_fmac_f32 v97, v39, v36
	v_pk_add_f32 v[34:35], v[34:35], v[96:97]
.LBB60_111:                             ;   in Loop: Header=BB60_3 Depth=1
	s_or_b32 exec_lo, exec_lo, s53
	s_barrier_signal -1
	s_barrier_wait -1
	s_and_saveexec_b32 s53, s99
	s_cbranch_execz .LBB60_113
; %bb.112:                              ;   in Loop: Header=BB60_3 Depth=1
	ds_load_b64 v[36:37], v5 offset:2600
	s_wait_dscnt 0x0
	v_pk_mul_f32 v[38:39], v[34:35], v[36:37] op_sel:[1,1] op_sel_hi:[1,0]
	s_delay_alu instid0(VALU_DEP_1) | instskip(SKIP_1) | instid1(VALU_DEP_2)
	v_pk_fma_f32 v[96:97], v[34:35], v[36:37], v[38:39] op_sel_hi:[0,1,1]
	v_pk_fma_f32 v[36:37], v[34:35], v[36:37], v[38:39] neg_lo:[0,0,1] neg_hi:[0,0,1]
	v_mov_b32_e32 v37, v97
	s_delay_alu instid0(VALU_DEP_1)
	v_mov_b64_e32 v[34:35], v[36:37]
	ds_store_b64 v48, v[36:37]
.LBB60_113:                             ;   in Loop: Header=BB60_3 Depth=1
	s_or_b32 exec_lo, exec_lo, s53
	s_wait_dscnt 0x0
	s_barrier_signal -1
	s_barrier_wait -1
	s_and_saveexec_b32 s53, s100
	s_cbranch_execz .LBB60_115
; %bb.114:                              ;   in Loop: Header=BB60_3 Depth=1
	ds_load_b64 v[36:37], v46 offset:2592
	ds_load_b64 v[38:39], v48
	s_wait_dscnt 0x0
	v_pk_mul_f32 v[96:97], v[38:39], v[36:37] op_sel:[1,1] op_sel_hi:[0,1]
	s_delay_alu instid0(VALU_DEP_1) | instskip(SKIP_1) | instid1(VALU_DEP_2)
	v_pk_fma_f32 v[98:99], v[38:39], v[36:37], v[96:97] op_sel_hi:[1,0,1]
	v_pk_fma_f32 v[36:37], v[38:39], v[36:37], v[96:97] neg_lo:[0,0,1] neg_hi:[0,0,1]
	v_mov_b32_e32 v37, v99
	s_delay_alu instid0(VALU_DEP_1)
	v_pk_add_f32 v[34:35], v[34:35], v[36:37]
.LBB60_115:                             ;   in Loop: Header=BB60_3 Depth=1
	s_or_b32 exec_lo, exec_lo, s53
	s_barrier_signal -1
	s_barrier_wait -1
	s_and_saveexec_b32 s53, s101
	s_cbranch_execz .LBB60_117
; %bb.116:                              ;   in Loop: Header=BB60_3 Depth=1
	ds_load_b64 v[36:37], v5 offset:3120
	s_wait_dscnt 0x0
	v_pk_mul_f32 v[38:39], v[34:35], v[36:37] op_sel:[1,1] op_sel_hi:[1,0]
	s_delay_alu instid0(VALU_DEP_1) | instskip(SKIP_1) | instid1(VALU_DEP_2)
	v_pk_fma_f32 v[96:97], v[34:35], v[36:37], v[38:39] op_sel_hi:[0,1,1]
	v_pk_fma_f32 v[36:37], v[34:35], v[36:37], v[38:39] neg_lo:[0,0,1] neg_hi:[0,0,1]
	v_mov_b32_e32 v37, v97
	s_delay_alu instid0(VALU_DEP_1)
	v_mov_b64_e32 v[34:35], v[36:37]
	ds_store_b64 v48, v[36:37]
.LBB60_117:                             ;   in Loop: Header=BB60_3 Depth=1
	s_or_b32 exec_lo, exec_lo, s53
	s_wait_dscnt 0x0
	s_barrier_signal -1
	s_barrier_wait -1
	s_and_saveexec_b32 s53, s102
	s_cbranch_execz .LBB60_119
; %bb.118:                              ;   in Loop: Header=BB60_3 Depth=1
	ds_load_b64 v[36:37], v5 offset:3128
	ds_load_b64 v[38:39], v48
	s_wait_dscnt 0x0
	v_pk_mul_f32 v[96:97], v[38:39], v[36:37] op_sel:[1,1] op_sel_hi:[0,1]
	s_delay_alu instid0(VALU_DEP_1) | instskip(SKIP_1) | instid1(VALU_DEP_2)
	v_pk_fma_f32 v[98:99], v[38:39], v[36:37], v[96:97] op_sel_hi:[1,0,1]
	v_pk_fma_f32 v[36:37], v[38:39], v[36:37], v[96:97] neg_lo:[0,0,1] neg_hi:[0,0,1]
	v_mov_b32_e32 v37, v99
	s_delay_alu instid0(VALU_DEP_1)
	v_pk_add_f32 v[34:35], v[34:35], v[36:37]
.LBB60_119:                             ;   in Loop: Header=BB60_3 Depth=1
	s_or_b32 exec_lo, exec_lo, s53
	s_barrier_signal -1
	s_barrier_wait -1
	s_and_saveexec_b32 s53, s102
	s_cbranch_execz .LBB60_121
; %bb.120:                              ;   in Loop: Header=BB60_3 Depth=1
	ds_load_b64 v[36:37], v5 offset:3640
	s_wait_dscnt 0x0
	v_pk_mul_f32 v[38:39], v[34:35], v[36:37] op_sel:[1,1] op_sel_hi:[1,0]
	s_delay_alu instid0(VALU_DEP_1) | instskip(SKIP_1) | instid1(VALU_DEP_2)
	v_pk_fma_f32 v[96:97], v[34:35], v[36:37], v[38:39] op_sel_hi:[0,1,1]
	v_pk_fma_f32 v[36:37], v[34:35], v[36:37], v[38:39] neg_lo:[0,0,1] neg_hi:[0,0,1]
	v_mov_b32_e32 v37, v97
	s_delay_alu instid0(VALU_DEP_1)
	v_mov_b64_e32 v[34:35], v[36:37]
	ds_store_b64 v48, v[36:37]
.LBB60_121:                             ;   in Loop: Header=BB60_3 Depth=1
	s_or_b32 exec_lo, exec_lo, s53
	s_wait_dscnt 0x0
	s_barrier_signal -1
	s_barrier_wait -1
	s_barrier_signal -1
	s_barrier_wait -1
	s_and_saveexec_b32 s53, s2
; %bb.122:                              ;   in Loop: Header=BB60_3 Depth=1
	v_pk_add_f32 v[34:35], v[34:35], 0 neg_lo:[1,1] neg_hi:[1,1]
	ds_store_b64 v49, v[34:35] offset:32
; %bb.123:                              ;   in Loop: Header=BB60_3 Depth=1
	s_or_b32 exec_lo, exec_lo, s53
	s_wait_dscnt 0x0
	s_barrier_signal -1
	s_barrier_wait -1
	s_barrier_signal -1
	s_barrier_wait -1
	s_and_saveexec_b32 s53, s103
	s_cbranch_execz .LBB60_125
; %bb.124:                              ;   in Loop: Header=BB60_3 Depth=1
	ds_load_b64 v[34:35], v53 offset:32
	s_wait_dscnt 0x0
	ds_store_b64 v54, v[34:35] offset:2048
	ds_load_b64 v[34:35], v53 offset:40
	s_wait_dscnt 0x0
	ds_store_b64 v54, v[34:35] offset:2560
	;; [unrolled: 3-line block ×4, first 2 shown]
.LBB60_125:                             ;   in Loop: Header=BB60_3 Depth=1
	s_or_b32 exec_lo, exec_lo, s53
	s_wait_dscnt 0x0
	s_barrier_signal -1
	s_barrier_wait -1
	s_and_saveexec_b32 s53, s14
	s_cbranch_execz .LBB60_127
; %bb.126:                              ;   in Loop: Header=BB60_3 Depth=1
	ds_load_b128 v[34:37], v5 offset:2080
	ds_load_b64 v[38:39], v5 offset:2600
	s_wait_dscnt 0x1
	v_dual_mov_b32 v96, v37 :: v_dual_mov_b32 v97, v36
	s_wait_dscnt 0x0
	v_dual_mul_f32 v95, v39, v35 :: v_dual_mul_f32 v40, v38, v35
	s_delay_alu instid0(VALU_DEP_1) | instskip(NEXT) | instid1(VALU_DEP_1)
	v_xor_b32_e32 v98, 0x80000000, v95
	v_dual_fmac_f32 v40, v39, v34 :: v_dual_fmac_f32 v98, v38, v34
	s_delay_alu instid0(VALU_DEP_1) | instskip(NEXT) | instid1(VALU_DEP_1)
	v_pk_mul_f32 v[34:35], v[40:41], v[96:97] op_sel_hi:[0,1]
	v_pk_fma_f32 v[38:39], v[98:99], v[36:37], v[34:35] op_sel_hi:[0,1,1]
	v_pk_fma_f32 v[34:35], v[98:99], v[36:37], v[34:35] neg_lo:[0,0,1] neg_hi:[0,0,1]
	v_add_nc_u32_e64 v36, 0x800, 0
	s_delay_alu instid0(VALU_DEP_3)
	v_mov_b32_e32 v35, v39
	ds_store_2addr_b64 v36, v[34:35], v[34:35] offset0:5 offset1:68
.LBB60_127:                             ;   in Loop: Header=BB60_3 Depth=1
	s_or_b32 exec_lo, exec_lo, s53
	v_mov_b32_e32 v35, 0
	s_wait_dscnt 0x0
	s_barrier_signal -1
	s_barrier_wait -1
	s_delay_alu instid0(VALU_DEP_1)
	v_mov_b32_e32 v34, v35
	s_and_saveexec_b32 s53, s0
	s_cbranch_execz .LBB60_131
; %bb.128:                              ;   in Loop: Header=BB60_3 Depth=1
	ds_load_b64 v[34:35], v42 offset:2096
	ds_load_b64 v[36:37], v43 offset:2080
	s_wait_dscnt 0x0
	v_dual_mul_f32 v38, v37, v35 :: v_dual_mul_f32 v39, v36, v35
	s_delay_alu instid0(VALU_DEP_1) | instskip(NEXT) | instid1(VALU_DEP_1)
	v_dual_fma_f32 v38, v36, v34, -v38 :: v_dual_fmac_f32 v39, v37, v34
	v_pk_add_f32 v[34:35], v[38:39], 0 op_sel_hi:[1,0]
	s_and_saveexec_b32 s54, s15
	s_cbranch_execz .LBB60_130
; %bb.129:                              ;   in Loop: Header=BB60_3 Depth=1
	ds_load_b64 v[36:37], v54 offset:2608
	ds_load_b64 v[38:39], v5 offset:2088
	s_wait_dscnt 0x0
	v_pk_mul_f32 v[96:97], v[38:39], v[36:37] op_sel:[1,1] op_sel_hi:[0,1]
	s_delay_alu instid0(VALU_DEP_1) | instskip(SKIP_1) | instid1(VALU_DEP_2)
	v_pk_fma_f32 v[98:99], v[38:39], v[36:37], v[96:97] op_sel_hi:[1,0,1]
	v_pk_fma_f32 v[36:37], v[38:39], v[36:37], v[96:97] neg_lo:[0,0,1] neg_hi:[0,0,1]
	v_mov_b32_e32 v37, v99
	s_delay_alu instid0(VALU_DEP_1)
	v_pk_add_f32 v[34:35], v[34:35], v[36:37]
.LBB60_130:                             ;   in Loop: Header=BB60_3 Depth=1
	s_or_b32 exec_lo, exec_lo, s54
	s_delay_alu instid0(VALU_DEP_1)
	v_pk_add_f32 v[34:35], v[34:35], 0 neg_lo:[1,1] neg_hi:[1,1]
.LBB60_131:                             ;   in Loop: Header=BB60_3 Depth=1
	s_or_b32 exec_lo, exec_lo, s53
	s_and_saveexec_b32 s53, s94
	s_cbranch_execz .LBB60_133
; %bb.132:                              ;   in Loop: Header=BB60_3 Depth=1
	ds_load_b64 v[36:37], v5 offset:3120
	s_wait_dscnt 0x0
	v_pk_mul_f32 v[38:39], v[34:35], v[36:37] op_sel:[1,1] op_sel_hi:[1,0]
	s_delay_alu instid0(VALU_DEP_1) | instskip(SKIP_1) | instid1(VALU_DEP_2)
	v_pk_fma_f32 v[96:97], v[34:35], v[36:37], v[38:39] op_sel_hi:[0,1,1]
	v_pk_fma_f32 v[36:37], v[34:35], v[36:37], v[38:39] neg_lo:[0,0,1] neg_hi:[0,0,1]
	v_mov_b32_e32 v37, v97
	s_delay_alu instid0(VALU_DEP_1)
	v_mov_b64_e32 v[34:35], v[36:37]
	ds_store_b64 v3, v[36:37]
.LBB60_133:                             ;   in Loop: Header=BB60_3 Depth=1
	s_or_b32 exec_lo, exec_lo, s53
	s_wait_dscnt 0x0
	s_barrier_signal -1
	s_barrier_wait -1
	s_and_saveexec_b32 s53, s95
	s_cbranch_execz .LBB60_135
; %bb.134:                              ;   in Loop: Header=BB60_3 Depth=1
	ds_load_b64 v[36:37], v5 offset:3128
	ds_load_b64 v[38:39], v3
	s_wait_dscnt 0x0
	v_pk_mul_f32 v[96:97], v[38:39], v[36:37] op_sel:[1,1] op_sel_hi:[0,1]
	s_delay_alu instid0(VALU_DEP_1) | instskip(SKIP_1) | instid1(VALU_DEP_2)
	v_pk_fma_f32 v[98:99], v[38:39], v[36:37], v[96:97] op_sel_hi:[1,0,1]
	v_pk_fma_f32 v[36:37], v[38:39], v[36:37], v[96:97] neg_lo:[0,0,1] neg_hi:[0,0,1]
	v_mov_b32_e32 v37, v99
	s_delay_alu instid0(VALU_DEP_1)
	v_pk_add_f32 v[34:35], v[34:35], v[36:37]
.LBB60_135:                             ;   in Loop: Header=BB60_3 Depth=1
	s_or_b32 exec_lo, exec_lo, s53
	s_barrier_signal -1
	s_barrier_wait -1
	s_and_saveexec_b32 s53, s95
	s_cbranch_execz .LBB60_137
; %bb.136:                              ;   in Loop: Header=BB60_3 Depth=1
	ds_load_b64 v[36:37], v5 offset:3640
	s_wait_dscnt 0x0
	v_pk_mul_f32 v[38:39], v[34:35], v[36:37] op_sel:[1,1] op_sel_hi:[1,0]
	s_delay_alu instid0(VALU_DEP_1) | instskip(SKIP_1) | instid1(VALU_DEP_2)
	v_pk_fma_f32 v[96:97], v[34:35], v[36:37], v[38:39] op_sel_hi:[0,1,1]
	v_pk_fma_f32 v[36:37], v[34:35], v[36:37], v[38:39] neg_lo:[0,0,1] neg_hi:[0,0,1]
	v_mov_b32_e32 v37, v97
	s_delay_alu instid0(VALU_DEP_1)
	v_mov_b64_e32 v[34:35], v[36:37]
	ds_store_b64 v3, v[36:37]
.LBB60_137:                             ;   in Loop: Header=BB60_3 Depth=1
	s_or_b32 exec_lo, exec_lo, s53
	s_wait_dscnt 0x0
	s_barrier_signal -1
	s_barrier_wait -1
	s_barrier_signal -1
	s_barrier_wait -1
	s_and_saveexec_b32 s53, s0
; %bb.138:                              ;   in Loop: Header=BB60_3 Depth=1
	v_pk_add_f32 v[34:35], v[34:35], 0 neg_lo:[1,1] neg_hi:[1,1]
	ds_store_b64 v42, v[34:35] offset:2096
; %bb.139:                              ;   in Loop: Header=BB60_3 Depth=1
	s_or_b32 exec_lo, exec_lo, s53
	s_wait_dscnt 0x0
	s_barrier_signal -1
	s_barrier_wait -1
	s_barrier_signal -1
	s_barrier_wait -1
	s_and_saveexec_b32 s53, s96
	s_cbranch_execz .LBB60_141
; %bb.140:                              ;   in Loop: Header=BB60_3 Depth=1
	ds_load_b64 v[34:35], v56 offset:2096
	s_wait_dscnt 0x0
	ds_store_b64 v54, v[34:35] offset:3104
	ds_load_b64 v[34:35], v56 offset:2104
	s_wait_dscnt 0x0
	ds_store_b64 v54, v[34:35] offset:3616
.LBB60_141:                             ;   in Loop: Header=BB60_3 Depth=1
	s_or_b32 exec_lo, exec_lo, s53
	s_wait_dscnt 0x0
	s_barrier_signal -1
	s_barrier_wait -1
	s_and_saveexec_b32 s53, s14
	s_cbranch_execz .LBB60_143
; %bb.142:                              ;   in Loop: Header=BB60_3 Depth=1
	ds_load_b128 v[34:37], v5 offset:3120
	ds_load_b64 v[38:39], v5 offset:3640
	s_wait_dscnt 0x1
	v_dual_mov_b32 v96, v37 :: v_dual_mov_b32 v97, v36
	s_wait_dscnt 0x0
	v_dual_mul_f32 v95, v39, v35 :: v_dual_mul_f32 v40, v38, v35
	s_delay_alu instid0(VALU_DEP_1) | instskip(NEXT) | instid1(VALU_DEP_1)
	v_xor_b32_e32 v98, 0x80000000, v95
	v_dual_fmac_f32 v40, v39, v34 :: v_dual_fmac_f32 v98, v38, v34
	s_delay_alu instid0(VALU_DEP_1) | instskip(NEXT) | instid1(VALU_DEP_1)
	v_pk_mul_f32 v[34:35], v[40:41], v[96:97] op_sel_hi:[0,1]
	v_pk_fma_f32 v[38:39], v[98:99], v[36:37], v[34:35] op_sel_hi:[0,1,1]
	v_pk_fma_f32 v[34:35], v[98:99], v[36:37], v[34:35] neg_lo:[0,0,1] neg_hi:[0,0,1]
	v_add_nc_u32_e64 v36, 0x800, 0
	s_delay_alu instid0(VALU_DEP_3)
	v_mov_b32_e32 v35, v39
	ds_store_2addr_b64 v36, v[34:35], v[34:35] offset0:135 offset1:198
.LBB60_143:                             ;   in Loop: Header=BB60_3 Depth=1
	s_or_b32 exec_lo, exec_lo, s53
	v_mov_b32_e32 v34, 0
	s_wait_dscnt 0x0
	s_barrier_signal -1
	s_barrier_wait -1
	s_delay_alu instid0(VALU_DEP_1)
	v_mov_b32_e32 v35, v34
	s_and_saveexec_b32 s65, s3
	s_cbranch_execz .LBB60_153
; %bb.144:                              ;   in Loop: Header=BB60_3 Depth=1
	ds_load_b64 v[34:35], v59 offset:64
	ds_load_b64 v[36:37], v55
	s_wait_dscnt 0x0
	v_dual_mul_f32 v38, v37, v35 :: v_dual_mul_f32 v39, v36, v35
	s_delay_alu instid0(VALU_DEP_1) | instskip(NEXT) | instid1(VALU_DEP_1)
	v_dual_fma_f32 v35, v36, v34, -v38 :: v_dual_fmac_f32 v39, v37, v34
	v_add_f32_e32 v35, 0, v35
	s_delay_alu instid0(VALU_DEP_2)
	v_add_f32_e32 v34, 0, v39
	s_and_saveexec_b32 s53, s18
	s_cbranch_execnz .LBB60_1126
; %bb.145:                              ;   in Loop: Header=BB60_3 Depth=1
	s_or_b32 exec_lo, exec_lo, s53
	s_and_saveexec_b32 s53, s19
	s_cbranch_execnz .LBB60_1127
.LBB60_146:                             ;   in Loop: Header=BB60_3 Depth=1
	s_or_b32 exec_lo, exec_lo, s53
	s_and_saveexec_b32 s53, s20
	s_cbranch_execnz .LBB60_1128
.LBB60_147:                             ;   in Loop: Header=BB60_3 Depth=1
	s_or_b32 exec_lo, exec_lo, s53
	s_and_saveexec_b32 s53, s21
	s_cbranch_execnz .LBB60_1129
.LBB60_148:                             ;   in Loop: Header=BB60_3 Depth=1
	s_or_b32 exec_lo, exec_lo, s53
	s_and_saveexec_b32 s53, s22
	s_cbranch_execnz .LBB60_1130
.LBB60_149:                             ;   in Loop: Header=BB60_3 Depth=1
	s_or_b32 exec_lo, exec_lo, s53
	s_and_saveexec_b32 s53, s2
	s_cbranch_execnz .LBB60_1131
.LBB60_150:                             ;   in Loop: Header=BB60_3 Depth=1
	s_or_b32 exec_lo, exec_lo, s53
	s_and_saveexec_b32 s53, s17
	s_cbranch_execz .LBB60_152
.LBB60_151:                             ;   in Loop: Header=BB60_3 Depth=1
	ds_load_b64 v[36:37], v69 offset:3648
	ds_load_b64 v[38:39], v5 offset:56
	s_wait_dscnt 0x0
	v_pk_mul_f32 v[96:97], v[38:39], v[36:37] op_sel:[0,1]
	s_delay_alu instid0(VALU_DEP_1) | instskip(SKIP_1) | instid1(VALU_DEP_2)
	v_pk_fma_f32 v[98:99], v[38:39], v[36:37], v[96:97] op_sel:[1,0,0] op_sel_hi:[0,0,1] neg_lo:[0,0,1] neg_hi:[0,0,1]
	v_pk_fma_f32 v[36:37], v[38:39], v[36:37], v[96:97] op_sel:[1,0,0] op_sel_hi:[0,1,1]
	v_mov_b32_e32 v37, v99
	s_delay_alu instid0(VALU_DEP_1)
	v_pk_add_f32 v[34:35], v[34:35], v[36:37]
.LBB60_152:                             ;   in Loop: Header=BB60_3 Depth=1
	s_or_b32 exec_lo, exec_lo, s53
	s_delay_alu instid0(VALU_DEP_1) | instskip(NEXT) | instid1(VALU_DEP_1)
	v_pk_add_f32 v[36:37], v[34:35], 0 neg_lo:[1,1] neg_hi:[1,1]
	v_dual_mov_b32 v34, v37 :: v_dual_mov_b32 v35, v36
.LBB60_153:                             ;   in Loop: Header=BB60_3 Depth=1
	s_or_b32 exec_lo, exec_lo, s65
	s_and_saveexec_b32 s53, s104
	s_cbranch_execz .LBB60_155
; %bb.154:                              ;   in Loop: Header=BB60_3 Depth=1
	ds_load_b64 v[36:37], v5 offset:4160
	v_dual_mov_b32 v38, v35 :: v_dual_mov_b32 v39, v34
	s_wait_dscnt 0x0
	s_delay_alu instid0(VALU_DEP_1) | instskip(NEXT) | instid1(VALU_DEP_1)
	v_dual_mul_f32 v40, v38, v36 :: v_dual_mul_f32 v96, v35, v37
	v_pk_fma_f32 v[38:39], v[38:39], v[36:37], v[40:41] op_sel_hi:[1,1,0]
	s_delay_alu instid0(VALU_DEP_2) | instskip(NEXT) | instid1(VALU_DEP_2)
	v_pk_fma_f32 v[34:35], v[34:35], v[36:37], v[96:97] op_sel_hi:[1,1,0] neg_lo:[0,0,1] neg_hi:[0,0,1]
	v_mov_b32_e32 v35, v39
	ds_store_b64 v58, v[34:35]
.LBB60_155:                             ;   in Loop: Header=BB60_3 Depth=1
	s_or_b32 exec_lo, exec_lo, s53
	s_wait_dscnt 0x0
	s_barrier_signal -1
	s_barrier_wait -1
	s_and_saveexec_b32 s53, vcc_hi
	s_cbranch_execz .LBB60_157
; %bb.156:                              ;   in Loop: Header=BB60_3 Depth=1
	ds_load_b64 v[36:37], v57 offset:4160
	ds_load_b64 v[38:39], v58
	s_wait_dscnt 0x0
	v_dual_mul_f32 v40, v39, v37 :: v_dual_mul_f32 v97, v38, v37
	s_delay_alu instid0(VALU_DEP_1) | instskip(NEXT) | instid1(VALU_DEP_1)
	v_dual_fma_f32 v96, v38, v36, -v40 :: v_dual_fmac_f32 v97, v39, v36
	v_pk_add_f32 v[34:35], v[34:35], v[96:97]
.LBB60_157:                             ;   in Loop: Header=BB60_3 Depth=1
	s_or_b32 exec_lo, exec_lo, s53
	s_barrier_signal -1
	s_barrier_wait -1
	s_and_saveexec_b32 s53, s38
	s_cbranch_execz .LBB60_159
; %bb.158:                              ;   in Loop: Header=BB60_3 Depth=1
	ds_load_b64 v[36:37], v5 offset:4680
	s_wait_dscnt 0x0
	v_pk_mul_f32 v[38:39], v[34:35], v[36:37] op_sel:[1,1] op_sel_hi:[1,0]
	s_delay_alu instid0(VALU_DEP_1) | instskip(SKIP_1) | instid1(VALU_DEP_2)
	v_pk_fma_f32 v[96:97], v[34:35], v[36:37], v[38:39] op_sel_hi:[0,1,1]
	v_pk_fma_f32 v[34:35], v[34:35], v[36:37], v[38:39] op_sel_hi:[0,1,1] neg_lo:[0,0,1] neg_hi:[0,0,1]
	v_mov_b32_e32 v35, v97
	ds_store_b64 v58, v[34:35]
.LBB60_159:                             ;   in Loop: Header=BB60_3 Depth=1
	s_or_b32 exec_lo, exec_lo, s53
	s_wait_dscnt 0x0
	s_barrier_signal -1
	s_barrier_wait -1
	s_and_saveexec_b32 s53, s39
	s_cbranch_execz .LBB60_161
; %bb.160:                              ;   in Loop: Header=BB60_3 Depth=1
	ds_load_b64 v[36:37], v57 offset:4672
	ds_load_b64 v[38:39], v58
	s_wait_dscnt 0x0
	v_pk_mul_f32 v[96:97], v[38:39], v[36:37] op_sel:[1,1] op_sel_hi:[0,1]
	s_delay_alu instid0(VALU_DEP_1) | instskip(SKIP_1) | instid1(VALU_DEP_2)
	v_pk_fma_f32 v[98:99], v[38:39], v[36:37], v[96:97] op_sel_hi:[1,0,1]
	v_pk_fma_f32 v[36:37], v[38:39], v[36:37], v[96:97] op_sel_hi:[1,0,1] neg_lo:[0,0,1] neg_hi:[0,0,1]
	v_mov_b32_e32 v37, v99
	s_delay_alu instid0(VALU_DEP_1)
	v_pk_add_f32 v[34:35], v[34:35], v[36:37]
.LBB60_161:                             ;   in Loop: Header=BB60_3 Depth=1
	s_or_b32 exec_lo, exec_lo, s53
	s_barrier_signal -1
	s_barrier_wait -1
	s_and_saveexec_b32 s53, s40
	s_cbranch_execz .LBB60_163
; %bb.162:                              ;   in Loop: Header=BB60_3 Depth=1
	ds_load_b64 v[36:37], v5 offset:5200
	s_wait_dscnt 0x0
	v_pk_mul_f32 v[38:39], v[34:35], v[36:37] op_sel:[1,1] op_sel_hi:[1,0]
	s_delay_alu instid0(VALU_DEP_1) | instskip(SKIP_1) | instid1(VALU_DEP_2)
	v_pk_fma_f32 v[96:97], v[34:35], v[36:37], v[38:39] op_sel_hi:[0,1,1]
	v_pk_fma_f32 v[34:35], v[34:35], v[36:37], v[38:39] op_sel_hi:[0,1,1] neg_lo:[0,0,1] neg_hi:[0,0,1]
	v_mov_b32_e32 v35, v97
	ds_store_b64 v58, v[34:35]
.LBB60_163:                             ;   in Loop: Header=BB60_3 Depth=1
	s_or_b32 exec_lo, exec_lo, s53
	s_wait_dscnt 0x0
	s_barrier_signal -1
	s_barrier_wait -1
	s_and_saveexec_b32 s53, s41
	s_cbranch_execz .LBB60_165
; %bb.164:                              ;   in Loop: Header=BB60_3 Depth=1
	ds_load_b64 v[36:37], v57 offset:5184
	ds_load_b64 v[38:39], v58
	s_wait_dscnt 0x0
	v_pk_mul_f32 v[96:97], v[38:39], v[36:37] op_sel:[1,1] op_sel_hi:[0,1]
	s_delay_alu instid0(VALU_DEP_1) | instskip(SKIP_1) | instid1(VALU_DEP_2)
	v_pk_fma_f32 v[98:99], v[38:39], v[36:37], v[96:97] op_sel_hi:[1,0,1]
	v_pk_fma_f32 v[36:37], v[38:39], v[36:37], v[96:97] op_sel_hi:[1,0,1] neg_lo:[0,0,1] neg_hi:[0,0,1]
	v_mov_b32_e32 v37, v99
	s_delay_alu instid0(VALU_DEP_1)
	v_pk_add_f32 v[34:35], v[34:35], v[36:37]
.LBB60_165:                             ;   in Loop: Header=BB60_3 Depth=1
	;; [unrolled: 33-line block ×3, first 2 shown]
	s_or_b32 exec_lo, exec_lo, s53
	s_barrier_signal -1
	s_barrier_wait -1
	s_and_saveexec_b32 s53, s44
	s_cbranch_execz .LBB60_171
; %bb.170:                              ;   in Loop: Header=BB60_3 Depth=1
	ds_load_b64 v[36:37], v5 offset:6240
	s_wait_dscnt 0x0
	v_dual_mul_f32 v38, v34, v37 :: v_dual_mul_f32 v40, v35, v37
	s_delay_alu instid0(VALU_DEP_1) | instskip(NEXT) | instid1(VALU_DEP_2)
	v_pk_fma_f32 v[38:39], v[34:35], v[36:37], v[38:39] op_sel:[0,1,0] op_sel_hi:[1,0,0]
	v_pk_fma_f32 v[36:37], v[34:35], v[36:37], v[40:41] op_sel_hi:[1,1,0] neg_lo:[0,0,1] neg_hi:[0,0,1]
	s_delay_alu instid0(VALU_DEP_2) | instskip(NEXT) | instid1(VALU_DEP_1)
	v_mov_b32_e32 v37, v39
	v_mov_b64_e32 v[34:35], v[36:37]
	ds_store_b64 v58, v[36:37]
.LBB60_171:                             ;   in Loop: Header=BB60_3 Depth=1
	s_or_b32 exec_lo, exec_lo, s53
	s_wait_dscnt 0x0
	s_barrier_signal -1
	s_barrier_wait -1
	s_and_saveexec_b32 s53, s45
	s_cbranch_execz .LBB60_173
; %bb.172:                              ;   in Loop: Header=BB60_3 Depth=1
	ds_load_b64 v[36:37], v57 offset:6208
	ds_load_b64 v[38:39], v58
	s_wait_dscnt 0x0
	v_dual_mul_f32 v40, v39, v37 :: v_dual_mul_f32 v97, v38, v37
	s_delay_alu instid0(VALU_DEP_1) | instskip(NEXT) | instid1(VALU_DEP_1)
	v_dual_fma_f32 v96, v38, v36, -v40 :: v_dual_fmac_f32 v97, v39, v36
	v_pk_add_f32 v[34:35], v[34:35], v[96:97]
.LBB60_173:                             ;   in Loop: Header=BB60_3 Depth=1
	s_or_b32 exec_lo, exec_lo, s53
	s_barrier_signal -1
	s_barrier_wait -1
	s_and_saveexec_b32 s53, s46
	s_cbranch_execz .LBB60_175
; %bb.174:                              ;   in Loop: Header=BB60_3 Depth=1
	ds_load_b64 v[36:37], v5 offset:6760
	s_wait_dscnt 0x0
	v_pk_mul_f32 v[38:39], v[34:35], v[36:37] op_sel:[1,1] op_sel_hi:[1,0]
	s_delay_alu instid0(VALU_DEP_1) | instskip(SKIP_1) | instid1(VALU_DEP_2)
	v_pk_fma_f32 v[96:97], v[34:35], v[36:37], v[38:39] op_sel_hi:[0,1,1]
	v_pk_fma_f32 v[36:37], v[34:35], v[36:37], v[38:39] neg_lo:[0,0,1] neg_hi:[0,0,1]
	v_mov_b32_e32 v37, v97
	s_delay_alu instid0(VALU_DEP_1)
	v_mov_b64_e32 v[34:35], v[36:37]
	ds_store_b64 v58, v[36:37]
.LBB60_175:                             ;   in Loop: Header=BB60_3 Depth=1
	s_or_b32 exec_lo, exec_lo, s53
	s_wait_dscnt 0x0
	s_barrier_signal -1
	s_barrier_wait -1
	s_and_saveexec_b32 s53, s47
	s_cbranch_execz .LBB60_177
; %bb.176:                              ;   in Loop: Header=BB60_3 Depth=1
	ds_load_b64 v[36:37], v57 offset:6720
	ds_load_b64 v[38:39], v58
	s_wait_dscnt 0x0
	v_pk_mul_f32 v[96:97], v[38:39], v[36:37] op_sel:[1,1] op_sel_hi:[0,1]
	s_delay_alu instid0(VALU_DEP_1) | instskip(SKIP_1) | instid1(VALU_DEP_2)
	v_pk_fma_f32 v[98:99], v[38:39], v[36:37], v[96:97] op_sel_hi:[1,0,1]
	v_pk_fma_f32 v[36:37], v[38:39], v[36:37], v[96:97] neg_lo:[0,0,1] neg_hi:[0,0,1]
	v_mov_b32_e32 v37, v99
	s_delay_alu instid0(VALU_DEP_1)
	v_pk_add_f32 v[34:35], v[34:35], v[36:37]
.LBB60_177:                             ;   in Loop: Header=BB60_3 Depth=1
	s_or_b32 exec_lo, exec_lo, s53
	s_barrier_signal -1
	s_barrier_wait -1
	s_and_saveexec_b32 s53, s48
	s_cbranch_execz .LBB60_179
; %bb.178:                              ;   in Loop: Header=BB60_3 Depth=1
	ds_load_b64 v[36:37], v5 offset:7280
	s_wait_dscnt 0x0
	v_pk_mul_f32 v[38:39], v[34:35], v[36:37] op_sel:[1,1] op_sel_hi:[1,0]
	s_delay_alu instid0(VALU_DEP_1) | instskip(SKIP_1) | instid1(VALU_DEP_2)
	v_pk_fma_f32 v[96:97], v[34:35], v[36:37], v[38:39] op_sel_hi:[0,1,1]
	v_pk_fma_f32 v[36:37], v[34:35], v[36:37], v[38:39] neg_lo:[0,0,1] neg_hi:[0,0,1]
	v_mov_b32_e32 v37, v97
	s_delay_alu instid0(VALU_DEP_1)
	v_mov_b64_e32 v[34:35], v[36:37]
	ds_store_b64 v58, v[36:37]
.LBB60_179:                             ;   in Loop: Header=BB60_3 Depth=1
	s_or_b32 exec_lo, exec_lo, s53
	s_wait_dscnt 0x0
	s_barrier_signal -1
	s_barrier_wait -1
	s_and_saveexec_b32 s53, s49
	s_cbranch_execz .LBB60_181
; %bb.180:                              ;   in Loop: Header=BB60_3 Depth=1
	ds_load_b64 v[36:37], v5 offset:7288
	ds_load_b64 v[38:39], v58
	s_wait_dscnt 0x0
	v_pk_mul_f32 v[96:97], v[38:39], v[36:37] op_sel:[1,1] op_sel_hi:[0,1]
	s_delay_alu instid0(VALU_DEP_1) | instskip(SKIP_1) | instid1(VALU_DEP_2)
	v_pk_fma_f32 v[98:99], v[38:39], v[36:37], v[96:97] op_sel_hi:[1,0,1]
	v_pk_fma_f32 v[36:37], v[38:39], v[36:37], v[96:97] neg_lo:[0,0,1] neg_hi:[0,0,1]
	v_mov_b32_e32 v37, v99
	s_delay_alu instid0(VALU_DEP_1)
	v_pk_add_f32 v[34:35], v[34:35], v[36:37]
.LBB60_181:                             ;   in Loop: Header=BB60_3 Depth=1
	s_or_b32 exec_lo, exec_lo, s53
	s_barrier_signal -1
	s_barrier_wait -1
	s_and_saveexec_b32 s53, s49
	s_cbranch_execz .LBB60_183
; %bb.182:                              ;   in Loop: Header=BB60_3 Depth=1
	ds_load_b64 v[36:37], v5 offset:7800
	s_wait_dscnt 0x0
	v_pk_mul_f32 v[38:39], v[34:35], v[36:37] op_sel:[1,1] op_sel_hi:[1,0]
	s_delay_alu instid0(VALU_DEP_1) | instskip(SKIP_1) | instid1(VALU_DEP_2)
	v_pk_fma_f32 v[96:97], v[34:35], v[36:37], v[38:39] op_sel_hi:[0,1,1]
	v_pk_fma_f32 v[36:37], v[34:35], v[36:37], v[38:39] neg_lo:[0,0,1] neg_hi:[0,0,1]
	v_mov_b32_e32 v37, v97
	s_delay_alu instid0(VALU_DEP_1)
	v_mov_b64_e32 v[34:35], v[36:37]
	ds_store_b64 v58, v[36:37]
.LBB60_183:                             ;   in Loop: Header=BB60_3 Depth=1
	s_or_b32 exec_lo, exec_lo, s53
	s_wait_dscnt 0x0
	s_barrier_signal -1
	s_barrier_wait -1
	s_barrier_signal -1
	s_barrier_wait -1
	s_and_saveexec_b32 s53, s3
; %bb.184:                              ;   in Loop: Header=BB60_3 Depth=1
	v_pk_add_f32 v[34:35], v[34:35], 0 neg_lo:[1,1] neg_hi:[1,1]
	ds_store_b64 v59, v[34:35] offset:64
; %bb.185:                              ;   in Loop: Header=BB60_3 Depth=1
	s_or_b32 exec_lo, exec_lo, s53
	s_wait_dscnt 0x0
	s_barrier_signal -1
	s_barrier_wait -1
	s_barrier_signal -1
	s_barrier_wait -1
	s_and_saveexec_b32 s53, s50
	s_cbranch_execz .LBB60_187
; %bb.186:                              ;   in Loop: Header=BB60_3 Depth=1
	ds_load_b64 v[34:35], v70 offset:64
	s_wait_dscnt 0x0
	ds_store_b64 v71, v[34:35] offset:4096
	ds_load_b64 v[34:35], v70 offset:72
	s_wait_dscnt 0x0
	ds_store_b64 v71, v[34:35] offset:4608
	;; [unrolled: 3-line block ×8, first 2 shown]
.LBB60_187:                             ;   in Loop: Header=BB60_3 Depth=1
	s_or_b32 exec_lo, exec_lo, s53
	s_wait_dscnt 0x0
	s_barrier_signal -1
	s_barrier_wait -1
	s_and_saveexec_b32 s53, s14
	s_cbranch_execz .LBB60_189
; %bb.188:                              ;   in Loop: Header=BB60_3 Depth=1
	ds_load_b128 v[34:37], v5 offset:4160
	ds_load_b64 v[38:39], v5 offset:4680
	s_wait_dscnt 0x1
	v_dual_mov_b32 v96, v37 :: v_dual_mov_b32 v97, v36
	s_wait_dscnt 0x0
	v_dual_mul_f32 v95, v39, v35 :: v_dual_mul_f32 v40, v38, v35
	s_delay_alu instid0(VALU_DEP_1) | instskip(NEXT) | instid1(VALU_DEP_1)
	v_xor_b32_e32 v98, 0x80000000, v95
	v_dual_fmac_f32 v40, v39, v34 :: v_dual_fmac_f32 v98, v38, v34
	s_delay_alu instid0(VALU_DEP_1) | instskip(NEXT) | instid1(VALU_DEP_1)
	v_pk_mul_f32 v[34:35], v[40:41], v[96:97] op_sel_hi:[0,1]
	v_pk_fma_f32 v[38:39], v[98:99], v[36:37], v[34:35] op_sel_hi:[0,1,1]
	v_pk_fma_f32 v[34:35], v[98:99], v[36:37], v[34:35] neg_lo:[0,0,1] neg_hi:[0,0,1]
	v_add_nc_u32_e64 v36, 0x1000, 0
	s_delay_alu instid0(VALU_DEP_3)
	v_mov_b32_e32 v35, v39
	ds_store_2addr_b64 v36, v[34:35], v[34:35] offset0:9 offset1:72
.LBB60_189:                             ;   in Loop: Header=BB60_3 Depth=1
	s_or_b32 exec_lo, exec_lo, s53
	v_mov_b32_e32 v35, 0
	s_wait_dscnt 0x0
	s_barrier_signal -1
	s_barrier_wait -1
	s_delay_alu instid0(VALU_DEP_1)
	v_mov_b32_e32 v34, v35
	s_and_saveexec_b32 s53, s0
	s_cbranch_execz .LBB60_193
; %bb.190:                              ;   in Loop: Header=BB60_3 Depth=1
	ds_load_b64 v[34:35], v42 offset:4176
	ds_load_b64 v[36:37], v43 offset:4160
	s_wait_dscnt 0x0
	v_dual_mul_f32 v38, v37, v35 :: v_dual_mul_f32 v39, v36, v35
	s_delay_alu instid0(VALU_DEP_1) | instskip(NEXT) | instid1(VALU_DEP_1)
	v_dual_fma_f32 v38, v36, v34, -v38 :: v_dual_fmac_f32 v39, v37, v34
	v_pk_add_f32 v[34:35], v[38:39], 0 op_sel_hi:[1,0]
	s_and_saveexec_b32 s54, s15
	s_cbranch_execz .LBB60_192
; %bb.191:                              ;   in Loop: Header=BB60_3 Depth=1
	ds_load_b64 v[36:37], v71 offset:4688
	ds_load_b64 v[38:39], v5 offset:4168
	s_wait_dscnt 0x0
	v_pk_mul_f32 v[96:97], v[38:39], v[36:37] op_sel:[1,1] op_sel_hi:[0,1]
	s_delay_alu instid0(VALU_DEP_1) | instskip(SKIP_1) | instid1(VALU_DEP_2)
	v_pk_fma_f32 v[98:99], v[38:39], v[36:37], v[96:97] op_sel_hi:[1,0,1]
	v_pk_fma_f32 v[36:37], v[38:39], v[36:37], v[96:97] neg_lo:[0,0,1] neg_hi:[0,0,1]
	v_mov_b32_e32 v37, v99
	s_delay_alu instid0(VALU_DEP_1)
	v_pk_add_f32 v[34:35], v[34:35], v[36:37]
.LBB60_192:                             ;   in Loop: Header=BB60_3 Depth=1
	s_or_b32 exec_lo, exec_lo, s54
	s_delay_alu instid0(VALU_DEP_1)
	v_pk_add_f32 v[34:35], v[34:35], 0 neg_lo:[1,1] neg_hi:[1,1]
.LBB60_193:                             ;   in Loop: Header=BB60_3 Depth=1
	s_or_b32 exec_lo, exec_lo, s53
	s_and_saveexec_b32 s53, s94
	s_cbranch_execz .LBB60_195
; %bb.194:                              ;   in Loop: Header=BB60_3 Depth=1
	ds_load_b64 v[36:37], v5 offset:5200
	s_wait_dscnt 0x0
	v_pk_mul_f32 v[38:39], v[34:35], v[36:37] op_sel:[1,1] op_sel_hi:[1,0]
	s_delay_alu instid0(VALU_DEP_1) | instskip(SKIP_1) | instid1(VALU_DEP_2)
	v_pk_fma_f32 v[96:97], v[34:35], v[36:37], v[38:39] op_sel_hi:[0,1,1]
	v_pk_fma_f32 v[36:37], v[34:35], v[36:37], v[38:39] neg_lo:[0,0,1] neg_hi:[0,0,1]
	v_mov_b32_e32 v37, v97
	s_delay_alu instid0(VALU_DEP_1)
	v_mov_b64_e32 v[34:35], v[36:37]
	ds_store_b64 v3, v[36:37]
.LBB60_195:                             ;   in Loop: Header=BB60_3 Depth=1
	s_or_b32 exec_lo, exec_lo, s53
	s_wait_dscnt 0x0
	s_barrier_signal -1
	s_barrier_wait -1
	s_and_saveexec_b32 s53, s95
	s_cbranch_execz .LBB60_197
; %bb.196:                              ;   in Loop: Header=BB60_3 Depth=1
	ds_load_b64 v[36:37], v5 offset:5208
	ds_load_b64 v[38:39], v3
	s_wait_dscnt 0x0
	v_pk_mul_f32 v[96:97], v[38:39], v[36:37] op_sel:[1,1] op_sel_hi:[0,1]
	s_delay_alu instid0(VALU_DEP_1) | instskip(SKIP_1) | instid1(VALU_DEP_2)
	v_pk_fma_f32 v[98:99], v[38:39], v[36:37], v[96:97] op_sel_hi:[1,0,1]
	v_pk_fma_f32 v[36:37], v[38:39], v[36:37], v[96:97] neg_lo:[0,0,1] neg_hi:[0,0,1]
	v_mov_b32_e32 v37, v99
	s_delay_alu instid0(VALU_DEP_1)
	v_pk_add_f32 v[34:35], v[34:35], v[36:37]
.LBB60_197:                             ;   in Loop: Header=BB60_3 Depth=1
	s_or_b32 exec_lo, exec_lo, s53
	s_barrier_signal -1
	s_barrier_wait -1
	s_and_saveexec_b32 s53, s95
	s_cbranch_execz .LBB60_199
; %bb.198:                              ;   in Loop: Header=BB60_3 Depth=1
	ds_load_b64 v[36:37], v5 offset:5720
	s_wait_dscnt 0x0
	v_pk_mul_f32 v[38:39], v[34:35], v[36:37] op_sel:[1,1] op_sel_hi:[1,0]
	s_delay_alu instid0(VALU_DEP_1) | instskip(SKIP_1) | instid1(VALU_DEP_2)
	v_pk_fma_f32 v[96:97], v[34:35], v[36:37], v[38:39] op_sel_hi:[0,1,1]
	v_pk_fma_f32 v[36:37], v[34:35], v[36:37], v[38:39] neg_lo:[0,0,1] neg_hi:[0,0,1]
	v_mov_b32_e32 v37, v97
	s_delay_alu instid0(VALU_DEP_1)
	v_mov_b64_e32 v[34:35], v[36:37]
	ds_store_b64 v3, v[36:37]
.LBB60_199:                             ;   in Loop: Header=BB60_3 Depth=1
	s_or_b32 exec_lo, exec_lo, s53
	s_wait_dscnt 0x0
	s_barrier_signal -1
	s_barrier_wait -1
	s_barrier_signal -1
	s_barrier_wait -1
	s_and_saveexec_b32 s53, s0
; %bb.200:                              ;   in Loop: Header=BB60_3 Depth=1
	v_pk_add_f32 v[34:35], v[34:35], 0 neg_lo:[1,1] neg_hi:[1,1]
	ds_store_b64 v42, v[34:35] offset:4176
; %bb.201:                              ;   in Loop: Header=BB60_3 Depth=1
	s_or_b32 exec_lo, exec_lo, s53
	s_wait_dscnt 0x0
	s_barrier_signal -1
	s_barrier_wait -1
	s_barrier_signal -1
	s_barrier_wait -1
	s_and_saveexec_b32 s53, s96
	s_cbranch_execz .LBB60_203
; %bb.202:                              ;   in Loop: Header=BB60_3 Depth=1
	ds_load_b64 v[34:35], v72 offset:4176
	s_wait_dscnt 0x0
	ds_store_b64 v71, v[34:35] offset:5184
	ds_load_b64 v[34:35], v72 offset:4184
	s_wait_dscnt 0x0
	ds_store_b64 v71, v[34:35] offset:5696
.LBB60_203:                             ;   in Loop: Header=BB60_3 Depth=1
	s_or_b32 exec_lo, exec_lo, s53
	s_wait_dscnt 0x0
	s_barrier_signal -1
	s_barrier_wait -1
	s_and_saveexec_b32 s53, s14
	s_cbranch_execz .LBB60_205
; %bb.204:                              ;   in Loop: Header=BB60_3 Depth=1
	ds_load_b128 v[34:37], v5 offset:5200
	ds_load_b64 v[38:39], v5 offset:5720
	s_wait_dscnt 0x1
	v_dual_mov_b32 v96, v37 :: v_dual_mov_b32 v97, v36
	s_wait_dscnt 0x0
	v_dual_mul_f32 v95, v39, v35 :: v_dual_mul_f32 v40, v38, v35
	s_delay_alu instid0(VALU_DEP_1) | instskip(NEXT) | instid1(VALU_DEP_1)
	v_xor_b32_e32 v98, 0x80000000, v95
	v_dual_fmac_f32 v40, v39, v34 :: v_dual_fmac_f32 v98, v38, v34
	s_delay_alu instid0(VALU_DEP_1) | instskip(NEXT) | instid1(VALU_DEP_1)
	v_pk_mul_f32 v[34:35], v[40:41], v[96:97] op_sel_hi:[0,1]
	v_pk_fma_f32 v[38:39], v[98:99], v[36:37], v[34:35] op_sel_hi:[0,1,1]
	v_pk_fma_f32 v[34:35], v[98:99], v[36:37], v[34:35] neg_lo:[0,0,1] neg_hi:[0,0,1]
	v_add_nc_u32_e64 v36, 0x1000, 0
	s_delay_alu instid0(VALU_DEP_3)
	v_mov_b32_e32 v35, v39
	ds_store_2addr_b64 v36, v[34:35], v[34:35] offset0:139 offset1:202
.LBB60_205:                             ;   in Loop: Header=BB60_3 Depth=1
	s_or_b32 exec_lo, exec_lo, s53
	v_mov_b32_e32 v34, 0
	s_wait_dscnt 0x0
	s_barrier_signal -1
	s_barrier_wait -1
	s_delay_alu instid0(VALU_DEP_1)
	v_mov_b32_e32 v35, v34
	s_and_saveexec_b32 s65, s2
	s_cbranch_execz .LBB60_211
; %bb.206:                              ;   in Loop: Header=BB60_3 Depth=1
	ds_load_b64 v[34:35], v49 offset:4192
	ds_load_b64 v[36:37], v45 offset:4160
	s_wait_dscnt 0x0
	v_pk_mul_f32 v[38:39], v[36:37], v[34:35] op_sel:[0,1]
	s_delay_alu instid0(VALU_DEP_1) | instskip(SKIP_1) | instid1(VALU_DEP_2)
	v_pk_fma_f32 v[96:97], v[36:37], v[34:35], v[38:39] op_sel:[1,0,0] op_sel_hi:[0,0,1] neg_lo:[0,0,1] neg_hi:[0,0,1]
	v_pk_fma_f32 v[34:35], v[36:37], v[34:35], v[38:39] op_sel:[1,0,0] op_sel_hi:[0,1,1]
	v_mov_b32_e32 v35, v97
	s_delay_alu instid0(VALU_DEP_1)
	v_pk_add_f32 v[34:35], v[34:35], 0 op_sel_hi:[1,0]
	s_and_saveexec_b32 s53, s16
	s_cbranch_execnz .LBB60_1132
; %bb.207:                              ;   in Loop: Header=BB60_3 Depth=1
	s_or_b32 exec_lo, exec_lo, s53
	s_and_saveexec_b32 s53, s17
	s_cbranch_execnz .LBB60_1133
.LBB60_208:                             ;   in Loop: Header=BB60_3 Depth=1
	s_or_b32 exec_lo, exec_lo, s53
	s_and_saveexec_b32 s53, s0
	s_cbranch_execz .LBB60_210
.LBB60_209:                             ;   in Loop: Header=BB60_3 Depth=1
	ds_load_b64 v[36:37], v73 offset:5728
	ds_load_b64 v[38:39], v5 offset:4184
	s_wait_dscnt 0x0
	v_pk_mul_f32 v[96:97], v[38:39], v[36:37] op_sel:[0,1]
	s_delay_alu instid0(VALU_DEP_1) | instskip(SKIP_1) | instid1(VALU_DEP_2)
	v_pk_fma_f32 v[98:99], v[38:39], v[36:37], v[96:97] op_sel:[1,0,0] op_sel_hi:[0,0,1] neg_lo:[0,0,1] neg_hi:[0,0,1]
	v_pk_fma_f32 v[36:37], v[38:39], v[36:37], v[96:97] op_sel:[1,0,0] op_sel_hi:[0,1,1]
	v_mov_b32_e32 v37, v99
	s_delay_alu instid0(VALU_DEP_1)
	v_pk_add_f32 v[34:35], v[34:35], v[36:37]
.LBB60_210:                             ;   in Loop: Header=BB60_3 Depth=1
	s_or_b32 exec_lo, exec_lo, s53
	s_delay_alu instid0(VALU_DEP_1) | instskip(NEXT) | instid1(VALU_DEP_1)
	v_pk_add_f32 v[36:37], v[34:35], 0 neg_lo:[1,1] neg_hi:[1,1]
	v_dual_mov_b32 v34, v37 :: v_dual_mov_b32 v35, v36
.LBB60_211:                             ;   in Loop: Header=BB60_3 Depth=1
	s_or_b32 exec_lo, exec_lo, s65
	s_and_saveexec_b32 s53, s97
	s_cbranch_execz .LBB60_213
; %bb.212:                              ;   in Loop: Header=BB60_3 Depth=1
	ds_load_b64 v[36:37], v5 offset:6240
	v_dual_mov_b32 v38, v35 :: v_dual_mov_b32 v39, v34
	s_wait_dscnt 0x0
	s_delay_alu instid0(VALU_DEP_1) | instskip(NEXT) | instid1(VALU_DEP_1)
	v_dual_mul_f32 v40, v38, v36 :: v_dual_mul_f32 v96, v35, v37
	v_pk_fma_f32 v[38:39], v[38:39], v[36:37], v[40:41] op_sel_hi:[1,1,0]
	s_delay_alu instid0(VALU_DEP_2) | instskip(NEXT) | instid1(VALU_DEP_2)
	v_pk_fma_f32 v[34:35], v[34:35], v[36:37], v[96:97] op_sel_hi:[1,1,0] neg_lo:[0,0,1] neg_hi:[0,0,1]
	v_mov_b32_e32 v35, v39
	ds_store_b64 v48, v[34:35]
.LBB60_213:                             ;   in Loop: Header=BB60_3 Depth=1
	s_or_b32 exec_lo, exec_lo, s53
	s_wait_dscnt 0x0
	s_barrier_signal -1
	s_barrier_wait -1
	s_and_saveexec_b32 s53, s98
	s_cbranch_execz .LBB60_215
; %bb.214:                              ;   in Loop: Header=BB60_3 Depth=1
	ds_load_b64 v[36:37], v46 offset:6240
	ds_load_b64 v[38:39], v48
	s_wait_dscnt 0x0
	v_dual_mul_f32 v40, v39, v37 :: v_dual_mul_f32 v97, v38, v37
	s_delay_alu instid0(VALU_DEP_1) | instskip(NEXT) | instid1(VALU_DEP_1)
	v_dual_fma_f32 v96, v38, v36, -v40 :: v_dual_fmac_f32 v97, v39, v36
	v_pk_add_f32 v[34:35], v[34:35], v[96:97]
.LBB60_215:                             ;   in Loop: Header=BB60_3 Depth=1
	s_or_b32 exec_lo, exec_lo, s53
	s_barrier_signal -1
	s_barrier_wait -1
	s_and_saveexec_b32 s53, s99
	s_cbranch_execz .LBB60_217
; %bb.216:                              ;   in Loop: Header=BB60_3 Depth=1
	ds_load_b64 v[36:37], v5 offset:6760
	s_wait_dscnt 0x0
	v_pk_mul_f32 v[38:39], v[34:35], v[36:37] op_sel:[1,1] op_sel_hi:[1,0]
	s_delay_alu instid0(VALU_DEP_1) | instskip(SKIP_1) | instid1(VALU_DEP_2)
	v_pk_fma_f32 v[96:97], v[34:35], v[36:37], v[38:39] op_sel_hi:[0,1,1]
	v_pk_fma_f32 v[36:37], v[34:35], v[36:37], v[38:39] neg_lo:[0,0,1] neg_hi:[0,0,1]
	v_mov_b32_e32 v37, v97
	s_delay_alu instid0(VALU_DEP_1)
	v_mov_b64_e32 v[34:35], v[36:37]
	ds_store_b64 v48, v[36:37]
.LBB60_217:                             ;   in Loop: Header=BB60_3 Depth=1
	s_or_b32 exec_lo, exec_lo, s53
	s_wait_dscnt 0x0
	s_barrier_signal -1
	s_barrier_wait -1
	s_and_saveexec_b32 s53, s100
	s_cbranch_execz .LBB60_219
; %bb.218:                              ;   in Loop: Header=BB60_3 Depth=1
	ds_load_b64 v[36:37], v46 offset:6752
	ds_load_b64 v[38:39], v48
	s_wait_dscnt 0x0
	v_pk_mul_f32 v[96:97], v[38:39], v[36:37] op_sel:[1,1] op_sel_hi:[0,1]
	s_delay_alu instid0(VALU_DEP_1) | instskip(SKIP_1) | instid1(VALU_DEP_2)
	v_pk_fma_f32 v[98:99], v[38:39], v[36:37], v[96:97] op_sel_hi:[1,0,1]
	v_pk_fma_f32 v[36:37], v[38:39], v[36:37], v[96:97] neg_lo:[0,0,1] neg_hi:[0,0,1]
	v_mov_b32_e32 v37, v99
	s_delay_alu instid0(VALU_DEP_1)
	v_pk_add_f32 v[34:35], v[34:35], v[36:37]
.LBB60_219:                             ;   in Loop: Header=BB60_3 Depth=1
	s_or_b32 exec_lo, exec_lo, s53
	s_barrier_signal -1
	s_barrier_wait -1
	s_and_saveexec_b32 s53, s101
	s_cbranch_execz .LBB60_221
; %bb.220:                              ;   in Loop: Header=BB60_3 Depth=1
	ds_load_b64 v[36:37], v5 offset:7280
	s_wait_dscnt 0x0
	v_pk_mul_f32 v[38:39], v[34:35], v[36:37] op_sel:[1,1] op_sel_hi:[1,0]
	s_delay_alu instid0(VALU_DEP_1) | instskip(SKIP_1) | instid1(VALU_DEP_2)
	v_pk_fma_f32 v[96:97], v[34:35], v[36:37], v[38:39] op_sel_hi:[0,1,1]
	v_pk_fma_f32 v[36:37], v[34:35], v[36:37], v[38:39] neg_lo:[0,0,1] neg_hi:[0,0,1]
	v_mov_b32_e32 v37, v97
	s_delay_alu instid0(VALU_DEP_1)
	v_mov_b64_e32 v[34:35], v[36:37]
	ds_store_b64 v48, v[36:37]
.LBB60_221:                             ;   in Loop: Header=BB60_3 Depth=1
	s_or_b32 exec_lo, exec_lo, s53
	s_wait_dscnt 0x0
	s_barrier_signal -1
	s_barrier_wait -1
	s_and_saveexec_b32 s53, s102
	s_cbranch_execz .LBB60_223
; %bb.222:                              ;   in Loop: Header=BB60_3 Depth=1
	ds_load_b64 v[36:37], v5 offset:7288
	ds_load_b64 v[38:39], v48
	s_wait_dscnt 0x0
	v_pk_mul_f32 v[96:97], v[38:39], v[36:37] op_sel:[1,1] op_sel_hi:[0,1]
	s_delay_alu instid0(VALU_DEP_1) | instskip(SKIP_1) | instid1(VALU_DEP_2)
	v_pk_fma_f32 v[98:99], v[38:39], v[36:37], v[96:97] op_sel_hi:[1,0,1]
	v_pk_fma_f32 v[36:37], v[38:39], v[36:37], v[96:97] neg_lo:[0,0,1] neg_hi:[0,0,1]
	v_mov_b32_e32 v37, v99
	s_delay_alu instid0(VALU_DEP_1)
	v_pk_add_f32 v[34:35], v[34:35], v[36:37]
.LBB60_223:                             ;   in Loop: Header=BB60_3 Depth=1
	s_or_b32 exec_lo, exec_lo, s53
	s_barrier_signal -1
	s_barrier_wait -1
	s_and_saveexec_b32 s53, s102
	s_cbranch_execz .LBB60_225
; %bb.224:                              ;   in Loop: Header=BB60_3 Depth=1
	ds_load_b64 v[36:37], v5 offset:7800
	s_wait_dscnt 0x0
	v_pk_mul_f32 v[38:39], v[34:35], v[36:37] op_sel:[1,1] op_sel_hi:[1,0]
	s_delay_alu instid0(VALU_DEP_1) | instskip(SKIP_1) | instid1(VALU_DEP_2)
	v_pk_fma_f32 v[96:97], v[34:35], v[36:37], v[38:39] op_sel_hi:[0,1,1]
	v_pk_fma_f32 v[36:37], v[34:35], v[36:37], v[38:39] neg_lo:[0,0,1] neg_hi:[0,0,1]
	v_mov_b32_e32 v37, v97
	s_delay_alu instid0(VALU_DEP_1)
	v_mov_b64_e32 v[34:35], v[36:37]
	ds_store_b64 v48, v[36:37]
.LBB60_225:                             ;   in Loop: Header=BB60_3 Depth=1
	s_or_b32 exec_lo, exec_lo, s53
	s_wait_dscnt 0x0
	s_barrier_signal -1
	s_barrier_wait -1
	s_barrier_signal -1
	s_barrier_wait -1
	s_and_saveexec_b32 s53, s2
; %bb.226:                              ;   in Loop: Header=BB60_3 Depth=1
	v_pk_add_f32 v[34:35], v[34:35], 0 neg_lo:[1,1] neg_hi:[1,1]
	ds_store_b64 v49, v[34:35] offset:4192
; %bb.227:                              ;   in Loop: Header=BB60_3 Depth=1
	s_or_b32 exec_lo, exec_lo, s53
	s_wait_dscnt 0x0
	s_barrier_signal -1
	s_barrier_wait -1
	s_barrier_signal -1
	s_barrier_wait -1
	s_and_saveexec_b32 s53, s103
	s_cbranch_execz .LBB60_229
; %bb.228:                              ;   in Loop: Header=BB60_3 Depth=1
	ds_load_b64 v[34:35], v76 offset:4192
	s_wait_dscnt 0x0
	ds_store_b64 v79, v[34:35] offset:6208
	ds_load_b64 v[34:35], v76 offset:4200
	s_wait_dscnt 0x0
	ds_store_b64 v79, v[34:35] offset:6720
	;; [unrolled: 3-line block ×4, first 2 shown]
.LBB60_229:                             ;   in Loop: Header=BB60_3 Depth=1
	s_or_b32 exec_lo, exec_lo, s53
	s_wait_dscnt 0x0
	s_barrier_signal -1
	s_barrier_wait -1
	s_and_saveexec_b32 s53, s14
	s_cbranch_execz .LBB60_231
; %bb.230:                              ;   in Loop: Header=BB60_3 Depth=1
	ds_load_b128 v[34:37], v5 offset:6240
	ds_load_b64 v[38:39], v5 offset:6760
	s_wait_dscnt 0x1
	v_dual_mov_b32 v96, v37 :: v_dual_mov_b32 v97, v36
	s_wait_dscnt 0x0
	v_dual_mul_f32 v95, v39, v35 :: v_dual_mul_f32 v40, v38, v35
	s_delay_alu instid0(VALU_DEP_1) | instskip(NEXT) | instid1(VALU_DEP_1)
	v_xor_b32_e32 v98, 0x80000000, v95
	v_dual_fmac_f32 v40, v39, v34 :: v_dual_fmac_f32 v98, v38, v34
	s_delay_alu instid0(VALU_DEP_1) | instskip(NEXT) | instid1(VALU_DEP_1)
	v_pk_mul_f32 v[34:35], v[40:41], v[96:97] op_sel_hi:[0,1]
	v_pk_fma_f32 v[38:39], v[98:99], v[36:37], v[34:35] op_sel_hi:[0,1,1]
	v_pk_fma_f32 v[34:35], v[98:99], v[36:37], v[34:35] neg_lo:[0,0,1] neg_hi:[0,0,1]
	v_add_nc_u32_e64 v36, 0x1800, 0
	s_delay_alu instid0(VALU_DEP_3)
	v_mov_b32_e32 v35, v39
	ds_store_2addr_b64 v36, v[34:35], v[34:35] offset0:13 offset1:76
.LBB60_231:                             ;   in Loop: Header=BB60_3 Depth=1
	s_or_b32 exec_lo, exec_lo, s53
	v_mov_b32_e32 v35, 0
	s_wait_dscnt 0x0
	s_barrier_signal -1
	s_barrier_wait -1
	s_delay_alu instid0(VALU_DEP_1)
	v_mov_b32_e32 v34, v35
	s_and_saveexec_b32 s53, s0
	s_cbranch_execz .LBB60_235
; %bb.232:                              ;   in Loop: Header=BB60_3 Depth=1
	ds_load_b64 v[34:35], v42 offset:6256
	ds_load_b64 v[36:37], v43 offset:6240
	s_wait_dscnt 0x0
	v_dual_mul_f32 v38, v37, v35 :: v_dual_mul_f32 v39, v36, v35
	s_delay_alu instid0(VALU_DEP_1) | instskip(NEXT) | instid1(VALU_DEP_1)
	v_dual_fma_f32 v38, v36, v34, -v38 :: v_dual_fmac_f32 v39, v37, v34
	v_pk_add_f32 v[34:35], v[38:39], 0 op_sel_hi:[1,0]
	s_and_saveexec_b32 s54, s15
	s_cbranch_execz .LBB60_234
; %bb.233:                              ;   in Loop: Header=BB60_3 Depth=1
	ds_load_b64 v[36:37], v79 offset:6768
	ds_load_b64 v[38:39], v5 offset:6248
	s_wait_dscnt 0x0
	v_pk_mul_f32 v[96:97], v[38:39], v[36:37] op_sel:[1,1] op_sel_hi:[0,1]
	s_delay_alu instid0(VALU_DEP_1) | instskip(SKIP_1) | instid1(VALU_DEP_2)
	v_pk_fma_f32 v[98:99], v[38:39], v[36:37], v[96:97] op_sel_hi:[1,0,1]
	v_pk_fma_f32 v[36:37], v[38:39], v[36:37], v[96:97] neg_lo:[0,0,1] neg_hi:[0,0,1]
	v_mov_b32_e32 v37, v99
	s_delay_alu instid0(VALU_DEP_1)
	v_pk_add_f32 v[34:35], v[34:35], v[36:37]
.LBB60_234:                             ;   in Loop: Header=BB60_3 Depth=1
	s_or_b32 exec_lo, exec_lo, s54
	s_delay_alu instid0(VALU_DEP_1)
	v_pk_add_f32 v[34:35], v[34:35], 0 neg_lo:[1,1] neg_hi:[1,1]
.LBB60_235:                             ;   in Loop: Header=BB60_3 Depth=1
	s_or_b32 exec_lo, exec_lo, s53
	s_and_saveexec_b32 s53, s94
	s_cbranch_execz .LBB60_237
; %bb.236:                              ;   in Loop: Header=BB60_3 Depth=1
	ds_load_b64 v[36:37], v5 offset:7280
	s_wait_dscnt 0x0
	v_pk_mul_f32 v[38:39], v[34:35], v[36:37] op_sel:[1,1] op_sel_hi:[1,0]
	s_delay_alu instid0(VALU_DEP_1) | instskip(SKIP_1) | instid1(VALU_DEP_2)
	v_pk_fma_f32 v[96:97], v[34:35], v[36:37], v[38:39] op_sel_hi:[0,1,1]
	v_pk_fma_f32 v[36:37], v[34:35], v[36:37], v[38:39] neg_lo:[0,0,1] neg_hi:[0,0,1]
	v_mov_b32_e32 v37, v97
	s_delay_alu instid0(VALU_DEP_1)
	v_mov_b64_e32 v[34:35], v[36:37]
	ds_store_b64 v3, v[36:37]
.LBB60_237:                             ;   in Loop: Header=BB60_3 Depth=1
	s_or_b32 exec_lo, exec_lo, s53
	s_wait_dscnt 0x0
	s_barrier_signal -1
	s_barrier_wait -1
	s_and_saveexec_b32 s53, s95
	s_cbranch_execz .LBB60_239
; %bb.238:                              ;   in Loop: Header=BB60_3 Depth=1
	ds_load_b64 v[36:37], v5 offset:7288
	ds_load_b64 v[38:39], v3
	s_wait_dscnt 0x0
	v_pk_mul_f32 v[96:97], v[38:39], v[36:37] op_sel:[1,1] op_sel_hi:[0,1]
	s_delay_alu instid0(VALU_DEP_1) | instskip(SKIP_1) | instid1(VALU_DEP_2)
	v_pk_fma_f32 v[98:99], v[38:39], v[36:37], v[96:97] op_sel_hi:[1,0,1]
	v_pk_fma_f32 v[36:37], v[38:39], v[36:37], v[96:97] neg_lo:[0,0,1] neg_hi:[0,0,1]
	v_mov_b32_e32 v37, v99
	s_delay_alu instid0(VALU_DEP_1)
	v_pk_add_f32 v[34:35], v[34:35], v[36:37]
.LBB60_239:                             ;   in Loop: Header=BB60_3 Depth=1
	s_or_b32 exec_lo, exec_lo, s53
	s_barrier_signal -1
	s_barrier_wait -1
	s_and_saveexec_b32 s53, s95
	s_cbranch_execz .LBB60_241
; %bb.240:                              ;   in Loop: Header=BB60_3 Depth=1
	ds_load_b64 v[36:37], v5 offset:7800
	s_wait_dscnt 0x0
	v_pk_mul_f32 v[38:39], v[34:35], v[36:37] op_sel:[1,1] op_sel_hi:[1,0]
	s_delay_alu instid0(VALU_DEP_1) | instskip(SKIP_1) | instid1(VALU_DEP_2)
	v_pk_fma_f32 v[96:97], v[34:35], v[36:37], v[38:39] op_sel_hi:[0,1,1]
	v_pk_fma_f32 v[36:37], v[34:35], v[36:37], v[38:39] neg_lo:[0,0,1] neg_hi:[0,0,1]
	v_mov_b32_e32 v37, v97
	s_delay_alu instid0(VALU_DEP_1)
	v_mov_b64_e32 v[34:35], v[36:37]
	ds_store_b64 v3, v[36:37]
.LBB60_241:                             ;   in Loop: Header=BB60_3 Depth=1
	s_or_b32 exec_lo, exec_lo, s53
	s_wait_dscnt 0x0
	s_barrier_signal -1
	s_barrier_wait -1
	s_barrier_signal -1
	s_barrier_wait -1
	s_and_saveexec_b32 s53, s0
; %bb.242:                              ;   in Loop: Header=BB60_3 Depth=1
	v_pk_add_f32 v[34:35], v[34:35], 0 neg_lo:[1,1] neg_hi:[1,1]
	ds_store_b64 v42, v[34:35] offset:6256
; %bb.243:                              ;   in Loop: Header=BB60_3 Depth=1
	s_or_b32 exec_lo, exec_lo, s53
	s_wait_dscnt 0x0
	s_barrier_signal -1
	s_barrier_wait -1
	s_barrier_signal -1
	s_barrier_wait -1
	s_and_saveexec_b32 s53, s96
	s_cbranch_execz .LBB60_245
; %bb.244:                              ;   in Loop: Header=BB60_3 Depth=1
	ds_load_b64 v[34:35], v80 offset:6256
	s_wait_dscnt 0x0
	ds_store_b64 v79, v[34:35] offset:7264
	ds_load_b64 v[34:35], v80 offset:6264
	s_wait_dscnt 0x0
	ds_store_b64 v79, v[34:35] offset:7776
.LBB60_245:                             ;   in Loop: Header=BB60_3 Depth=1
	s_or_b32 exec_lo, exec_lo, s53
	s_wait_dscnt 0x0
	s_barrier_signal -1
	s_barrier_wait -1
	s_and_saveexec_b32 s53, s14
	s_cbranch_execz .LBB60_247
; %bb.246:                              ;   in Loop: Header=BB60_3 Depth=1
	ds_load_b128 v[34:37], v5 offset:7280
	ds_load_b64 v[38:39], v5 offset:7800
	s_wait_dscnt 0x1
	v_dual_mov_b32 v96, v37 :: v_dual_mov_b32 v97, v36
	s_wait_dscnt 0x0
	v_dual_mul_f32 v95, v39, v35 :: v_dual_mul_f32 v40, v38, v35
	s_delay_alu instid0(VALU_DEP_1) | instskip(NEXT) | instid1(VALU_DEP_1)
	v_xor_b32_e32 v98, 0x80000000, v95
	v_dual_fmac_f32 v40, v39, v34 :: v_dual_fmac_f32 v98, v38, v34
	s_delay_alu instid0(VALU_DEP_1) | instskip(NEXT) | instid1(VALU_DEP_1)
	v_pk_mul_f32 v[34:35], v[40:41], v[96:97] op_sel_hi:[0,1]
	v_pk_fma_f32 v[38:39], v[98:99], v[36:37], v[34:35] op_sel_hi:[0,1,1]
	v_pk_fma_f32 v[34:35], v[98:99], v[36:37], v[34:35] neg_lo:[0,0,1] neg_hi:[0,0,1]
	v_add_nc_u32_e64 v36, 0x1800, 0
	s_delay_alu instid0(VALU_DEP_3)
	v_mov_b32_e32 v35, v39
	ds_store_2addr_b64 v36, v[34:35], v[34:35] offset0:143 offset1:206
.LBB60_247:                             ;   in Loop: Header=BB60_3 Depth=1
	s_or_b32 exec_lo, exec_lo, s53
	v_mov_b32_e32 v34, 0
	s_wait_dscnt 0x0
	s_barrier_signal -1
	s_barrier_wait -1
	s_delay_alu instid0(VALU_DEP_1)
	v_mov_b32_e32 v35, v34
	s_and_saveexec_b32 s84, s4
	s_cbranch_execz .LBB60_275
; %bb.248:                              ;   in Loop: Header=BB60_3 Depth=1
	ds_load_b64 v[34:35], v64 offset:128
	ds_load_b64 v[36:37], v61
	s_wait_dscnt 0x0
	v_dual_mul_f32 v38, v37, v35 :: v_dual_mul_f32 v39, v36, v35
	s_delay_alu instid0(VALU_DEP_1) | instskip(NEXT) | instid1(VALU_DEP_1)
	v_dual_fma_f32 v35, v36, v34, -v38 :: v_dual_fmac_f32 v39, v37, v34
	v_add_f32_e32 v35, 0, v35
	s_delay_alu instid0(VALU_DEP_2) | instskip(SKIP_3) | instid1(SALU_CYCLE_1)
	v_add_f32_e32 v34, 0, v39
	s_mov_b32 s53, exec_lo
	v_readlane_b32 s54, v106, 30
	s_and_b32 s54, s53, s54
	s_mov_b32 exec_lo, s54
	s_cbranch_execz .LBB60_250
; %bb.249:                              ;   in Loop: Header=BB60_3 Depth=1
	ds_load_b64 v[36:37], v65 offset:640
	ds_load_b64 v[38:39], v61 offset:8
	s_wait_dscnt 0x0
	v_dual_mul_f32 v40, v39, v37 :: v_dual_mul_f32 v37, v38, v37
	s_delay_alu instid0(VALU_DEP_1) | instskip(NEXT) | instid1(VALU_DEP_1)
	v_dual_fma_f32 v38, v38, v36, -v40 :: v_dual_fmac_f32 v37, v39, v36
	v_dual_add_f32 v35, v35, v38 :: v_dual_add_f32 v34, v34, v37
.LBB60_250:                             ;   in Loop: Header=BB60_3 Depth=1
	s_or_b32 exec_lo, exec_lo, s53
	s_delay_alu instid0(SALU_CYCLE_1) | instskip(SKIP_2) | instid1(SALU_CYCLE_1)
	s_mov_b32 s53, exec_lo
	v_readlane_b32 s54, v106, 31
	s_and_b32 s54, s53, s54
	s_mov_b32 exec_lo, s54
	s_cbranch_execz .LBB60_252
; %bb.251:                              ;   in Loop: Header=BB60_3 Depth=1
	ds_load_b64 v[36:37], v65 offset:1152
	ds_load_b64 v[38:39], v61 offset:16
	s_wait_dscnt 0x0
	v_dual_mul_f32 v40, v39, v37 :: v_dual_mul_f32 v37, v38, v37
	s_delay_alu instid0(VALU_DEP_1) | instskip(NEXT) | instid1(VALU_DEP_1)
	v_dual_fma_f32 v38, v38, v36, -v40 :: v_dual_fmac_f32 v37, v39, v36
	v_dual_add_f32 v35, v35, v38 :: v_dual_add_f32 v34, v34, v37
.LBB60_252:                             ;   in Loop: Header=BB60_3 Depth=1
	s_or_b32 exec_lo, exec_lo, s53
	s_delay_alu instid0(SALU_CYCLE_1) | instskip(SKIP_2) | instid1(SALU_CYCLE_1)
	;; [unrolled: 16-line block ×10, first 2 shown]
	s_mov_b32 s53, exec_lo
	v_readlane_b32 s54, v105, 8
	s_and_b32 s54, s53, s54
	s_mov_b32 exec_lo, s54
	s_cbranch_execnz .LBB60_1134
; %bb.269:                              ;   in Loop: Header=BB60_3 Depth=1
	s_or_b32 exec_lo, exec_lo, s53
	s_and_saveexec_b32 s53, s3
	s_cbranch_execnz .LBB60_1135
.LBB60_270:                             ;   in Loop: Header=BB60_3 Depth=1
	s_or_b32 exec_lo, exec_lo, s53
	s_and_saveexec_b32 s53, s19
	s_cbranch_execnz .LBB60_1136
.LBB60_271:                             ;   in Loop: Header=BB60_3 Depth=1
	s_or_b32 exec_lo, exec_lo, s53
	s_and_saveexec_b32 s53, s21
	s_cbranch_execnz .LBB60_1137
.LBB60_272:                             ;   in Loop: Header=BB60_3 Depth=1
	s_or_b32 exec_lo, exec_lo, s53
	s_and_saveexec_b32 s53, s2
	s_cbranch_execz .LBB60_274
.LBB60_273:                             ;   in Loop: Header=BB60_3 Depth=1
	ds_load_b64 v[36:37], v44 offset:7808
	ds_load_b64 v[38:39], v5 offset:120
	s_wait_dscnt 0x0
	v_pk_mul_f32 v[96:97], v[38:39], v[36:37] op_sel:[0,1]
	s_delay_alu instid0(VALU_DEP_1) | instskip(SKIP_1) | instid1(VALU_DEP_2)
	v_pk_fma_f32 v[98:99], v[38:39], v[36:37], v[96:97] op_sel:[1,0,0] op_sel_hi:[0,0,1] neg_lo:[0,0,1] neg_hi:[0,0,1]
	v_pk_fma_f32 v[36:37], v[38:39], v[36:37], v[96:97] op_sel:[1,0,0] op_sel_hi:[0,1,1]
	v_mov_b32_e32 v37, v99
	s_delay_alu instid0(VALU_DEP_1)
	v_pk_add_f32 v[34:35], v[34:35], v[36:37]
.LBB60_274:                             ;   in Loop: Header=BB60_3 Depth=1
	s_or_b32 exec_lo, exec_lo, s53
	s_delay_alu instid0(VALU_DEP_1) | instskip(NEXT) | instid1(VALU_DEP_1)
	v_pk_add_f32 v[36:37], v[34:35], 0 neg_lo:[1,1] neg_hi:[1,1]
	v_dual_mov_b32 v34, v37 :: v_dual_mov_b32 v35, v36
.LBB60_275:                             ;   in Loop: Header=BB60_3 Depth=1
	s_or_b32 exec_lo, exec_lo, s84
	s_delay_alu instid0(SALU_CYCLE_1) | instskip(SKIP_2) | instid1(SALU_CYCLE_1)
	s_mov_b32 s53, exec_lo
	v_readlane_b32 s54, v106, 5
	s_and_b32 s54, s53, s54
	s_mov_b32 exec_lo, s54
	s_cbranch_execz .LBB60_277
; %bb.276:                              ;   in Loop: Header=BB60_3 Depth=1
	ds_load_b64 v[36:37], v5 offset:8320
	v_dual_mov_b32 v38, v35 :: v_dual_mov_b32 v39, v34
	s_wait_dscnt 0x0
	s_delay_alu instid0(VALU_DEP_1) | instskip(NEXT) | instid1(VALU_DEP_1)
	v_dual_mul_f32 v40, v38, v36 :: v_dual_mul_f32 v96, v35, v37
	v_pk_fma_f32 v[38:39], v[38:39], v[36:37], v[40:41] op_sel_hi:[1,1,0]
	s_delay_alu instid0(VALU_DEP_2) | instskip(NEXT) | instid1(VALU_DEP_2)
	v_pk_fma_f32 v[34:35], v[34:35], v[36:37], v[96:97] op_sel_hi:[1,1,0] neg_lo:[0,0,1] neg_hi:[0,0,1]
	v_mov_b32_e32 v35, v39
	ds_store_b64 v63, v[34:35]
.LBB60_277:                             ;   in Loop: Header=BB60_3 Depth=1
	s_or_b32 exec_lo, exec_lo, s53
	s_wait_dscnt 0x0
	s_barrier_signal -1
	s_barrier_wait -1
	s_mov_b32 s53, exec_lo
	v_readlane_b32 s54, v106, 6
	s_and_b32 s54, s53, s54
	s_delay_alu instid0(SALU_CYCLE_1)
	s_mov_b32 exec_lo, s54
	s_cbranch_execz .LBB60_279
; %bb.278:                              ;   in Loop: Header=BB60_3 Depth=1
	ds_load_b64 v[36:37], v62 offset:8320
	ds_load_b64 v[38:39], v63
	s_wait_dscnt 0x0
	v_dual_mul_f32 v40, v39, v37 :: v_dual_mul_f32 v97, v38, v37
	s_delay_alu instid0(VALU_DEP_1) | instskip(NEXT) | instid1(VALU_DEP_1)
	v_dual_fma_f32 v96, v38, v36, -v40 :: v_dual_fmac_f32 v97, v39, v36
	v_pk_add_f32 v[34:35], v[34:35], v[96:97]
.LBB60_279:                             ;   in Loop: Header=BB60_3 Depth=1
	s_or_b32 exec_lo, exec_lo, s53
	s_barrier_signal -1
	s_barrier_wait -1
	s_mov_b32 s53, exec_lo
	v_readlane_b32 s54, v106, 7
	s_and_b32 s54, s53, s54
	s_delay_alu instid0(SALU_CYCLE_1)
	s_mov_b32 exec_lo, s54
	s_cbranch_execz .LBB60_281
; %bb.280:                              ;   in Loop: Header=BB60_3 Depth=1
	ds_load_b64 v[36:37], v5 offset:8840
	s_wait_dscnt 0x0
	v_pk_mul_f32 v[38:39], v[34:35], v[36:37] op_sel:[1,1] op_sel_hi:[1,0]
	s_delay_alu instid0(VALU_DEP_1) | instskip(SKIP_1) | instid1(VALU_DEP_2)
	v_pk_fma_f32 v[96:97], v[34:35], v[36:37], v[38:39] op_sel_hi:[0,1,1]
	v_pk_fma_f32 v[34:35], v[34:35], v[36:37], v[38:39] op_sel_hi:[0,1,1] neg_lo:[0,0,1] neg_hi:[0,0,1]
	v_mov_b32_e32 v35, v97
	ds_store_b64 v63, v[34:35]
.LBB60_281:                             ;   in Loop: Header=BB60_3 Depth=1
	s_or_b32 exec_lo, exec_lo, s53
	s_wait_dscnt 0x0
	s_barrier_signal -1
	s_barrier_wait -1
	s_mov_b32 s53, exec_lo
	v_readlane_b32 s54, v106, 8
	s_and_b32 s54, s53, s54
	s_delay_alu instid0(SALU_CYCLE_1)
	s_mov_b32 exec_lo, s54
	s_cbranch_execz .LBB60_283
; %bb.282:                              ;   in Loop: Header=BB60_3 Depth=1
	ds_load_b64 v[36:37], v62 offset:8832
	ds_load_b64 v[38:39], v63
	s_wait_dscnt 0x0
	v_pk_mul_f32 v[96:97], v[38:39], v[36:37] op_sel:[1,1] op_sel_hi:[0,1]
	s_delay_alu instid0(VALU_DEP_1) | instskip(SKIP_1) | instid1(VALU_DEP_2)
	v_pk_fma_f32 v[98:99], v[38:39], v[36:37], v[96:97] op_sel_hi:[1,0,1]
	v_pk_fma_f32 v[36:37], v[38:39], v[36:37], v[96:97] op_sel_hi:[1,0,1] neg_lo:[0,0,1] neg_hi:[0,0,1]
	v_mov_b32_e32 v37, v99
	s_delay_alu instid0(VALU_DEP_1)
	v_pk_add_f32 v[34:35], v[34:35], v[36:37]
.LBB60_283:                             ;   in Loop: Header=BB60_3 Depth=1
	s_or_b32 exec_lo, exec_lo, s53
	s_barrier_signal -1
	s_barrier_wait -1
	s_mov_b32 s53, exec_lo
	v_readlane_b32 s54, v106, 9
	s_and_b32 s54, s53, s54
	s_delay_alu instid0(SALU_CYCLE_1)
	s_mov_b32 exec_lo, s54
	s_cbranch_execz .LBB60_285
; %bb.284:                              ;   in Loop: Header=BB60_3 Depth=1
	ds_load_b64 v[36:37], v5 offset:9360
	s_wait_dscnt 0x0
	v_pk_mul_f32 v[38:39], v[34:35], v[36:37] op_sel:[1,1] op_sel_hi:[1,0]
	s_delay_alu instid0(VALU_DEP_1) | instskip(SKIP_1) | instid1(VALU_DEP_2)
	v_pk_fma_f32 v[96:97], v[34:35], v[36:37], v[38:39] op_sel_hi:[0,1,1]
	v_pk_fma_f32 v[34:35], v[34:35], v[36:37], v[38:39] op_sel_hi:[0,1,1] neg_lo:[0,0,1] neg_hi:[0,0,1]
	v_mov_b32_e32 v35, v97
	ds_store_b64 v63, v[34:35]
.LBB60_285:                             ;   in Loop: Header=BB60_3 Depth=1
	s_or_b32 exec_lo, exec_lo, s53
	s_wait_dscnt 0x0
	s_barrier_signal -1
	s_barrier_wait -1
	s_mov_b32 s53, exec_lo
	v_readlane_b32 s54, v106, 10
	s_and_b32 s54, s53, s54
	s_delay_alu instid0(SALU_CYCLE_1)
	s_mov_b32 exec_lo, s54
	s_cbranch_execz .LBB60_287
; %bb.286:                              ;   in Loop: Header=BB60_3 Depth=1
	ds_load_b64 v[36:37], v62 offset:9344
	ds_load_b64 v[38:39], v63
	s_wait_dscnt 0x0
	v_pk_mul_f32 v[96:97], v[38:39], v[36:37] op_sel:[1,1] op_sel_hi:[0,1]
	s_delay_alu instid0(VALU_DEP_1) | instskip(SKIP_1) | instid1(VALU_DEP_2)
	v_pk_fma_f32 v[98:99], v[38:39], v[36:37], v[96:97] op_sel_hi:[1,0,1]
	v_pk_fma_f32 v[36:37], v[38:39], v[36:37], v[96:97] op_sel_hi:[1,0,1] neg_lo:[0,0,1] neg_hi:[0,0,1]
	v_mov_b32_e32 v37, v99
	s_delay_alu instid0(VALU_DEP_1)
	v_pk_add_f32 v[34:35], v[34:35], v[36:37]
.LBB60_287:                             ;   in Loop: Header=BB60_3 Depth=1
	s_or_b32 exec_lo, exec_lo, s53
	s_barrier_signal -1
	s_barrier_wait -1
	s_mov_b32 s53, exec_lo
	v_readlane_b32 s54, v106, 11
	s_and_b32 s54, s53, s54
	s_delay_alu instid0(SALU_CYCLE_1)
	s_mov_b32 exec_lo, s54
	s_cbranch_execz .LBB60_289
; %bb.288:                              ;   in Loop: Header=BB60_3 Depth=1
	ds_load_b64 v[36:37], v5 offset:9880
	s_wait_dscnt 0x0
	v_pk_mul_f32 v[38:39], v[34:35], v[36:37] op_sel:[1,1] op_sel_hi:[1,0]
	s_delay_alu instid0(VALU_DEP_1) | instskip(SKIP_1) | instid1(VALU_DEP_2)
	v_pk_fma_f32 v[96:97], v[34:35], v[36:37], v[38:39] op_sel_hi:[0,1,1]
	v_pk_fma_f32 v[34:35], v[34:35], v[36:37], v[38:39] op_sel_hi:[0,1,1] neg_lo:[0,0,1] neg_hi:[0,0,1]
	v_mov_b32_e32 v35, v97
	ds_store_b64 v63, v[34:35]
.LBB60_289:                             ;   in Loop: Header=BB60_3 Depth=1
	s_or_b32 exec_lo, exec_lo, s53
	s_wait_dscnt 0x0
	s_barrier_signal -1
	s_barrier_wait -1
	s_and_saveexec_b32 s53, s58
	s_cbranch_execz .LBB60_291
; %bb.290:                              ;   in Loop: Header=BB60_3 Depth=1
	ds_load_b64 v[36:37], v62 offset:9856
	ds_load_b64 v[38:39], v63
	s_wait_dscnt 0x0
	v_pk_mul_f32 v[96:97], v[38:39], v[36:37] op_sel:[1,1] op_sel_hi:[0,1]
	s_delay_alu instid0(VALU_DEP_1) | instskip(SKIP_1) | instid1(VALU_DEP_2)
	v_pk_fma_f32 v[98:99], v[38:39], v[36:37], v[96:97] op_sel_hi:[1,0,1]
	v_pk_fma_f32 v[36:37], v[38:39], v[36:37], v[96:97] op_sel_hi:[1,0,1] neg_lo:[0,0,1] neg_hi:[0,0,1]
	v_mov_b32_e32 v37, v99
	s_delay_alu instid0(VALU_DEP_1)
	v_pk_add_f32 v[34:35], v[34:35], v[36:37]
.LBB60_291:                             ;   in Loop: Header=BB60_3 Depth=1
	s_or_b32 exec_lo, exec_lo, s53
	s_barrier_signal -1
	s_barrier_wait -1
	s_and_saveexec_b32 s53, s59
	s_cbranch_execz .LBB60_293
; %bb.292:                              ;   in Loop: Header=BB60_3 Depth=1
	ds_load_b64 v[36:37], v5 offset:10400
	s_wait_dscnt 0x0
	v_dual_mul_f32 v38, v34, v37 :: v_dual_mul_f32 v40, v35, v37
	s_delay_alu instid0(VALU_DEP_1) | instskip(NEXT) | instid1(VALU_DEP_2)
	v_pk_fma_f32 v[38:39], v[34:35], v[36:37], v[38:39] op_sel:[0,1,0] op_sel_hi:[1,0,0]
	v_pk_fma_f32 v[36:37], v[34:35], v[36:37], v[40:41] op_sel_hi:[1,1,0] neg_lo:[0,0,1] neg_hi:[0,0,1]
	s_delay_alu instid0(VALU_DEP_2) | instskip(NEXT) | instid1(VALU_DEP_1)
	v_mov_b32_e32 v37, v39
	v_mov_b64_e32 v[34:35], v[36:37]
	ds_store_b64 v63, v[36:37]
.LBB60_293:                             ;   in Loop: Header=BB60_3 Depth=1
	s_or_b32 exec_lo, exec_lo, s53
	s_wait_dscnt 0x0
	s_barrier_signal -1
	s_barrier_wait -1
	s_and_saveexec_b32 s53, s60
	s_cbranch_execz .LBB60_295
; %bb.294:                              ;   in Loop: Header=BB60_3 Depth=1
	ds_load_b64 v[36:37], v62 offset:10368
	ds_load_b64 v[38:39], v63
	s_wait_dscnt 0x0
	v_dual_mul_f32 v40, v39, v37 :: v_dual_mul_f32 v97, v38, v37
	s_delay_alu instid0(VALU_DEP_1) | instskip(NEXT) | instid1(VALU_DEP_1)
	v_dual_fma_f32 v96, v38, v36, -v40 :: v_dual_fmac_f32 v97, v39, v36
	v_pk_add_f32 v[34:35], v[34:35], v[96:97]
.LBB60_295:                             ;   in Loop: Header=BB60_3 Depth=1
	s_or_b32 exec_lo, exec_lo, s53
	s_barrier_signal -1
	s_barrier_wait -1
	s_and_saveexec_b32 s53, s61
	s_cbranch_execz .LBB60_297
; %bb.296:                              ;   in Loop: Header=BB60_3 Depth=1
	ds_load_b64 v[36:37], v5 offset:10920
	s_wait_dscnt 0x0
	v_pk_mul_f32 v[38:39], v[34:35], v[36:37] op_sel:[1,1] op_sel_hi:[1,0]
	s_delay_alu instid0(VALU_DEP_1) | instskip(SKIP_1) | instid1(VALU_DEP_2)
	v_pk_fma_f32 v[96:97], v[34:35], v[36:37], v[38:39] op_sel_hi:[0,1,1]
	v_pk_fma_f32 v[34:35], v[34:35], v[36:37], v[38:39] op_sel_hi:[0,1,1] neg_lo:[0,0,1] neg_hi:[0,0,1]
	v_mov_b32_e32 v35, v97
	ds_store_b64 v63, v[34:35]
.LBB60_297:                             ;   in Loop: Header=BB60_3 Depth=1
	s_or_b32 exec_lo, exec_lo, s53
	s_wait_dscnt 0x0
	s_barrier_signal -1
	s_barrier_wait -1
	s_and_saveexec_b32 s53, s62
	s_cbranch_execz .LBB60_299
; %bb.298:                              ;   in Loop: Header=BB60_3 Depth=1
	ds_load_b64 v[36:37], v62 offset:10880
	ds_load_b64 v[38:39], v63
	s_wait_dscnt 0x0
	v_pk_mul_f32 v[96:97], v[38:39], v[36:37] op_sel:[1,1] op_sel_hi:[0,1]
	s_delay_alu instid0(VALU_DEP_1) | instskip(SKIP_1) | instid1(VALU_DEP_2)
	v_pk_fma_f32 v[98:99], v[38:39], v[36:37], v[96:97] op_sel_hi:[1,0,1]
	v_pk_fma_f32 v[36:37], v[38:39], v[36:37], v[96:97] op_sel_hi:[1,0,1] neg_lo:[0,0,1] neg_hi:[0,0,1]
	v_mov_b32_e32 v37, v99
	s_delay_alu instid0(VALU_DEP_1)
	v_pk_add_f32 v[34:35], v[34:35], v[36:37]
.LBB60_299:                             ;   in Loop: Header=BB60_3 Depth=1
	s_or_b32 exec_lo, exec_lo, s53
	s_barrier_signal -1
	s_barrier_wait -1
	s_and_saveexec_b32 s53, s63
	s_cbranch_execz .LBB60_301
; %bb.300:                              ;   in Loop: Header=BB60_3 Depth=1
	ds_load_b64 v[36:37], v5 offset:11440
	s_wait_dscnt 0x0
	v_pk_mul_f32 v[38:39], v[34:35], v[36:37] op_sel:[1,1] op_sel_hi:[1,0]
	s_delay_alu instid0(VALU_DEP_1) | instskip(SKIP_1) | instid1(VALU_DEP_2)
	v_pk_fma_f32 v[96:97], v[34:35], v[36:37], v[38:39] op_sel_hi:[0,1,1]
	v_pk_fma_f32 v[34:35], v[34:35], v[36:37], v[38:39] op_sel_hi:[0,1,1] neg_lo:[0,0,1] neg_hi:[0,0,1]
	v_mov_b32_e32 v35, v97
	ds_store_b64 v63, v[34:35]
.LBB60_301:                             ;   in Loop: Header=BB60_3 Depth=1
	s_or_b32 exec_lo, exec_lo, s53
	s_wait_dscnt 0x0
	s_barrier_signal -1
	s_barrier_wait -1
	s_and_saveexec_b32 s53, s12
	s_cbranch_execz .LBB60_303
; %bb.302:                              ;   in Loop: Header=BB60_3 Depth=1
	ds_load_b64 v[36:37], v62 offset:11392
	ds_load_b64 v[38:39], v63
	s_wait_dscnt 0x0
	v_pk_mul_f32 v[96:97], v[38:39], v[36:37] op_sel:[1,1] op_sel_hi:[0,1]
	s_delay_alu instid0(VALU_DEP_1) | instskip(SKIP_1) | instid1(VALU_DEP_2)
	v_pk_fma_f32 v[98:99], v[38:39], v[36:37], v[96:97] op_sel_hi:[1,0,1]
	v_pk_fma_f32 v[36:37], v[38:39], v[36:37], v[96:97] op_sel_hi:[1,0,1] neg_lo:[0,0,1] neg_hi:[0,0,1]
	v_mov_b32_e32 v37, v99
	s_delay_alu instid0(VALU_DEP_1)
	v_pk_add_f32 v[34:35], v[34:35], v[36:37]
.LBB60_303:                             ;   in Loop: Header=BB60_3 Depth=1
	;; [unrolled: 33-line block ×3, first 2 shown]
	s_or_b32 exec_lo, exec_lo, s53
	s_barrier_signal -1
	s_barrier_wait -1
	s_and_saveexec_b32 s53, s25
	s_cbranch_execz .LBB60_309
; %bb.308:                              ;   in Loop: Header=BB60_3 Depth=1
	ds_load_b64 v[36:37], v5 offset:12480
	s_wait_dscnt 0x0
	v_dual_mul_f32 v38, v34, v37 :: v_dual_mul_f32 v40, v35, v37
	s_delay_alu instid0(VALU_DEP_1) | instskip(NEXT) | instid1(VALU_DEP_2)
	v_pk_fma_f32 v[38:39], v[34:35], v[36:37], v[38:39] op_sel:[0,1,0] op_sel_hi:[1,0,0]
	v_pk_fma_f32 v[36:37], v[34:35], v[36:37], v[40:41] op_sel_hi:[1,1,0] neg_lo:[0,0,1] neg_hi:[0,0,1]
	s_delay_alu instid0(VALU_DEP_2) | instskip(NEXT) | instid1(VALU_DEP_1)
	v_mov_b32_e32 v37, v39
	v_mov_b64_e32 v[34:35], v[36:37]
	ds_store_b64 v63, v[36:37]
.LBB60_309:                             ;   in Loop: Header=BB60_3 Depth=1
	s_or_b32 exec_lo, exec_lo, s53
	s_wait_dscnt 0x0
	s_barrier_signal -1
	s_barrier_wait -1
	s_and_saveexec_b32 s53, s27
	s_cbranch_execz .LBB60_311
; %bb.310:                              ;   in Loop: Header=BB60_3 Depth=1
	ds_load_b64 v[36:37], v62 offset:12416
	ds_load_b64 v[38:39], v63
	s_wait_dscnt 0x0
	v_dual_mul_f32 v40, v39, v37 :: v_dual_mul_f32 v97, v38, v37
	s_delay_alu instid0(VALU_DEP_1) | instskip(NEXT) | instid1(VALU_DEP_1)
	v_dual_fma_f32 v96, v38, v36, -v40 :: v_dual_fmac_f32 v97, v39, v36
	v_pk_add_f32 v[34:35], v[34:35], v[96:97]
.LBB60_311:                             ;   in Loop: Header=BB60_3 Depth=1
	s_or_b32 exec_lo, exec_lo, s53
	s_barrier_signal -1
	s_barrier_wait -1
	s_and_saveexec_b32 s53, s29
	s_cbranch_execz .LBB60_313
; %bb.312:                              ;   in Loop: Header=BB60_3 Depth=1
	ds_load_b64 v[36:37], v5 offset:13000
	s_wait_dscnt 0x0
	v_pk_mul_f32 v[38:39], v[34:35], v[36:37] op_sel:[1,1] op_sel_hi:[1,0]
	s_delay_alu instid0(VALU_DEP_1) | instskip(SKIP_1) | instid1(VALU_DEP_2)
	v_pk_fma_f32 v[96:97], v[34:35], v[36:37], v[38:39] op_sel_hi:[0,1,1]
	v_pk_fma_f32 v[34:35], v[34:35], v[36:37], v[38:39] op_sel_hi:[0,1,1] neg_lo:[0,0,1] neg_hi:[0,0,1]
	v_mov_b32_e32 v35, v97
	ds_store_b64 v63, v[34:35]
.LBB60_313:                             ;   in Loop: Header=BB60_3 Depth=1
	s_or_b32 exec_lo, exec_lo, s53
	s_wait_dscnt 0x0
	s_barrier_signal -1
	s_barrier_wait -1
	s_and_saveexec_b32 s53, s31
	s_cbranch_execz .LBB60_315
; %bb.314:                              ;   in Loop: Header=BB60_3 Depth=1
	ds_load_b64 v[36:37], v62 offset:12928
	ds_load_b64 v[38:39], v63
	s_wait_dscnt 0x0
	v_pk_mul_f32 v[96:97], v[38:39], v[36:37] op_sel:[1,1] op_sel_hi:[0,1]
	s_delay_alu instid0(VALU_DEP_1) | instskip(SKIP_1) | instid1(VALU_DEP_2)
	v_pk_fma_f32 v[98:99], v[38:39], v[36:37], v[96:97] op_sel_hi:[1,0,1]
	v_pk_fma_f32 v[36:37], v[38:39], v[36:37], v[96:97] op_sel_hi:[1,0,1] neg_lo:[0,0,1] neg_hi:[0,0,1]
	v_mov_b32_e32 v37, v99
	s_delay_alu instid0(VALU_DEP_1)
	v_pk_add_f32 v[34:35], v[34:35], v[36:37]
.LBB60_315:                             ;   in Loop: Header=BB60_3 Depth=1
	s_or_b32 exec_lo, exec_lo, s53
	s_barrier_signal -1
	s_barrier_wait -1
	s_and_saveexec_b32 s53, s34
	s_cbranch_execz .LBB60_317
; %bb.316:                              ;   in Loop: Header=BB60_3 Depth=1
	ds_load_b64 v[36:37], v5 offset:13520
	s_wait_dscnt 0x0
	v_pk_mul_f32 v[38:39], v[34:35], v[36:37] op_sel:[1,1] op_sel_hi:[1,0]
	s_delay_alu instid0(VALU_DEP_1) | instskip(SKIP_1) | instid1(VALU_DEP_2)
	v_pk_fma_f32 v[96:97], v[34:35], v[36:37], v[38:39] op_sel_hi:[0,1,1]
	v_pk_fma_f32 v[34:35], v[34:35], v[36:37], v[38:39] op_sel_hi:[0,1,1] neg_lo:[0,0,1] neg_hi:[0,0,1]
	v_mov_b32_e32 v35, v97
	ds_store_b64 v63, v[34:35]
.LBB60_317:                             ;   in Loop: Header=BB60_3 Depth=1
	s_or_b32 exec_lo, exec_lo, s53
	s_wait_dscnt 0x0
	s_barrier_signal -1
	s_barrier_wait -1
	s_and_saveexec_b32 s53, s24
	s_cbranch_execz .LBB60_319
; %bb.318:                              ;   in Loop: Header=BB60_3 Depth=1
	ds_load_b64 v[36:37], v62 offset:13440
	ds_load_b64 v[38:39], v63
	s_wait_dscnt 0x0
	v_pk_mul_f32 v[96:97], v[38:39], v[36:37] op_sel:[1,1] op_sel_hi:[0,1]
	s_delay_alu instid0(VALU_DEP_1) | instskip(SKIP_1) | instid1(VALU_DEP_2)
	v_pk_fma_f32 v[98:99], v[38:39], v[36:37], v[96:97] op_sel_hi:[1,0,1]
	v_pk_fma_f32 v[36:37], v[38:39], v[36:37], v[96:97] op_sel_hi:[1,0,1] neg_lo:[0,0,1] neg_hi:[0,0,1]
	v_mov_b32_e32 v37, v99
	s_delay_alu instid0(VALU_DEP_1)
	v_pk_add_f32 v[34:35], v[34:35], v[36:37]
.LBB60_319:                             ;   in Loop: Header=BB60_3 Depth=1
	;; [unrolled: 33-line block ×3, first 2 shown]
	s_or_b32 exec_lo, exec_lo, s53
	s_barrier_signal -1
	s_barrier_wait -1
	s_and_saveexec_b32 s53, s30
	s_cbranch_execz .LBB60_325
; %bb.324:                              ;   in Loop: Header=BB60_3 Depth=1
	ds_load_b64 v[36:37], v5 offset:14560
	s_wait_dscnt 0x0
	v_dual_mul_f32 v38, v34, v37 :: v_dual_mul_f32 v40, v35, v37
	s_delay_alu instid0(VALU_DEP_1) | instskip(NEXT) | instid1(VALU_DEP_2)
	v_pk_fma_f32 v[38:39], v[34:35], v[36:37], v[38:39] op_sel:[0,1,0] op_sel_hi:[1,0,0]
	v_pk_fma_f32 v[36:37], v[34:35], v[36:37], v[40:41] op_sel_hi:[1,1,0] neg_lo:[0,0,1] neg_hi:[0,0,1]
	s_delay_alu instid0(VALU_DEP_2) | instskip(NEXT) | instid1(VALU_DEP_1)
	v_mov_b32_e32 v37, v39
	v_mov_b64_e32 v[34:35], v[36:37]
	ds_store_b64 v63, v[36:37]
.LBB60_325:                             ;   in Loop: Header=BB60_3 Depth=1
	s_or_b32 exec_lo, exec_lo, s53
	s_wait_dscnt 0x0
	s_barrier_signal -1
	s_barrier_wait -1
	s_and_saveexec_b32 s53, s33
	s_cbranch_execz .LBB60_327
; %bb.326:                              ;   in Loop: Header=BB60_3 Depth=1
	ds_load_b64 v[36:37], v62 offset:14464
	ds_load_b64 v[38:39], v63
	s_wait_dscnt 0x0
	v_dual_mul_f32 v40, v39, v37 :: v_dual_mul_f32 v97, v38, v37
	s_delay_alu instid0(VALU_DEP_1) | instskip(NEXT) | instid1(VALU_DEP_1)
	v_dual_fma_f32 v96, v38, v36, -v40 :: v_dual_fmac_f32 v97, v39, v36
	v_pk_add_f32 v[34:35], v[34:35], v[96:97]
.LBB60_327:                             ;   in Loop: Header=BB60_3 Depth=1
	s_or_b32 exec_lo, exec_lo, s53
	s_barrier_signal -1
	s_barrier_wait -1
	s_and_saveexec_b32 s53, s10
	s_cbranch_execz .LBB60_329
; %bb.328:                              ;   in Loop: Header=BB60_3 Depth=1
	ds_load_b64 v[36:37], v5 offset:15080
	s_wait_dscnt 0x0
	v_pk_mul_f32 v[38:39], v[34:35], v[36:37] op_sel:[1,1] op_sel_hi:[1,0]
	s_delay_alu instid0(VALU_DEP_1) | instskip(SKIP_1) | instid1(VALU_DEP_2)
	v_pk_fma_f32 v[96:97], v[34:35], v[36:37], v[38:39] op_sel_hi:[0,1,1]
	v_pk_fma_f32 v[36:37], v[34:35], v[36:37], v[38:39] neg_lo:[0,0,1] neg_hi:[0,0,1]
	v_mov_b32_e32 v37, v97
	s_delay_alu instid0(VALU_DEP_1)
	v_mov_b64_e32 v[34:35], v[36:37]
	ds_store_b64 v63, v[36:37]
.LBB60_329:                             ;   in Loop: Header=BB60_3 Depth=1
	s_or_b32 exec_lo, exec_lo, s53
	s_wait_dscnt 0x0
	s_barrier_signal -1
	s_barrier_wait -1
	s_and_saveexec_b32 s53, s11
	s_cbranch_execz .LBB60_331
; %bb.330:                              ;   in Loop: Header=BB60_3 Depth=1
	ds_load_b64 v[36:37], v62 offset:14976
	ds_load_b64 v[38:39], v63
	s_wait_dscnt 0x0
	v_pk_mul_f32 v[96:97], v[38:39], v[36:37] op_sel:[1,1] op_sel_hi:[0,1]
	s_delay_alu instid0(VALU_DEP_1) | instskip(SKIP_1) | instid1(VALU_DEP_2)
	v_pk_fma_f32 v[98:99], v[38:39], v[36:37], v[96:97] op_sel_hi:[1,0,1]
	v_pk_fma_f32 v[36:37], v[38:39], v[36:37], v[96:97] neg_lo:[0,0,1] neg_hi:[0,0,1]
	v_mov_b32_e32 v37, v99
	s_delay_alu instid0(VALU_DEP_1)
	v_pk_add_f32 v[34:35], v[34:35], v[36:37]
.LBB60_331:                             ;   in Loop: Header=BB60_3 Depth=1
	s_or_b32 exec_lo, exec_lo, s53
	s_barrier_signal -1
	s_barrier_wait -1
	s_and_saveexec_b32 s53, s92
	s_cbranch_execz .LBB60_333
; %bb.332:                              ;   in Loop: Header=BB60_3 Depth=1
	ds_load_b64 v[36:37], v5 offset:15600
	s_wait_dscnt 0x0
	v_pk_mul_f32 v[38:39], v[34:35], v[36:37] op_sel:[1,1] op_sel_hi:[1,0]
	s_delay_alu instid0(VALU_DEP_1) | instskip(SKIP_1) | instid1(VALU_DEP_2)
	v_pk_fma_f32 v[96:97], v[34:35], v[36:37], v[38:39] op_sel_hi:[0,1,1]
	v_pk_fma_f32 v[36:37], v[34:35], v[36:37], v[38:39] neg_lo:[0,0,1] neg_hi:[0,0,1]
	v_mov_b32_e32 v37, v97
	s_delay_alu instid0(VALU_DEP_1)
	v_mov_b64_e32 v[34:35], v[36:37]
	ds_store_b64 v63, v[36:37]
.LBB60_333:                             ;   in Loop: Header=BB60_3 Depth=1
	s_or_b32 exec_lo, exec_lo, s53
	s_wait_dscnt 0x0
	s_barrier_signal -1
	s_barrier_wait -1
	s_and_saveexec_b32 s53, s72
	s_cbranch_execz .LBB60_335
; %bb.334:                              ;   in Loop: Header=BB60_3 Depth=1
	ds_load_b64 v[36:37], v5 offset:15608
	ds_load_b64 v[38:39], v63
	s_wait_dscnt 0x0
	v_pk_mul_f32 v[96:97], v[38:39], v[36:37] op_sel:[1,1] op_sel_hi:[0,1]
	s_delay_alu instid0(VALU_DEP_1) | instskip(SKIP_1) | instid1(VALU_DEP_2)
	v_pk_fma_f32 v[98:99], v[38:39], v[36:37], v[96:97] op_sel_hi:[1,0,1]
	v_pk_fma_f32 v[36:37], v[38:39], v[36:37], v[96:97] neg_lo:[0,0,1] neg_hi:[0,0,1]
	v_mov_b32_e32 v37, v99
	s_delay_alu instid0(VALU_DEP_1)
	v_pk_add_f32 v[34:35], v[34:35], v[36:37]
.LBB60_335:                             ;   in Loop: Header=BB60_3 Depth=1
	s_or_b32 exec_lo, exec_lo, s53
	s_barrier_signal -1
	s_barrier_wait -1
	s_and_saveexec_b32 s53, s72
	s_cbranch_execz .LBB60_337
; %bb.336:                              ;   in Loop: Header=BB60_3 Depth=1
	ds_load_b64 v[36:37], v5 offset:16120
	s_wait_dscnt 0x0
	v_pk_mul_f32 v[38:39], v[34:35], v[36:37] op_sel:[1,1] op_sel_hi:[1,0]
	s_delay_alu instid0(VALU_DEP_1) | instskip(SKIP_1) | instid1(VALU_DEP_2)
	v_pk_fma_f32 v[96:97], v[34:35], v[36:37], v[38:39] op_sel_hi:[0,1,1]
	v_pk_fma_f32 v[36:37], v[34:35], v[36:37], v[38:39] neg_lo:[0,0,1] neg_hi:[0,0,1]
	v_mov_b32_e32 v37, v97
	s_delay_alu instid0(VALU_DEP_1)
	v_mov_b64_e32 v[34:35], v[36:37]
	ds_store_b64 v63, v[36:37]
.LBB60_337:                             ;   in Loop: Header=BB60_3 Depth=1
	s_or_b32 exec_lo, exec_lo, s53
	s_wait_dscnt 0x0
	s_barrier_signal -1
	s_barrier_wait -1
	s_barrier_signal -1
	s_barrier_wait -1
	s_and_saveexec_b32 s53, s4
; %bb.338:                              ;   in Loop: Header=BB60_3 Depth=1
	v_pk_add_f32 v[34:35], v[34:35], 0 neg_lo:[1,1] neg_hi:[1,1]
	ds_store_b64 v64, v[34:35] offset:128
; %bb.339:                              ;   in Loop: Header=BB60_3 Depth=1
	s_or_b32 exec_lo, exec_lo, s53
	s_wait_dscnt 0x0
	s_barrier_signal -1
	s_barrier_wait -1
	s_barrier_signal -1
	s_barrier_wait -1
	s_and_saveexec_b32 s53, s73
	s_cbranch_execz .LBB60_341
; %bb.340:                              ;   in Loop: Header=BB60_3 Depth=1
	ds_load_b64 v[34:35], v47 offset:128
	s_wait_dscnt 0x0
	ds_store_b64 v52, v[34:35] offset:8192
	ds_load_b64 v[34:35], v47 offset:136
	s_wait_dscnt 0x0
	ds_store_b64 v52, v[34:35] offset:8704
	;; [unrolled: 3-line block ×16, first 2 shown]
.LBB60_341:                             ;   in Loop: Header=BB60_3 Depth=1
	s_or_b32 exec_lo, exec_lo, s53
	s_wait_dscnt 0x0
	s_barrier_signal -1
	s_barrier_wait -1
	s_and_saveexec_b32 s53, s14
	s_cbranch_execz .LBB60_343
; %bb.342:                              ;   in Loop: Header=BB60_3 Depth=1
	ds_load_b128 v[34:37], v5 offset:8320
	ds_load_b64 v[38:39], v5 offset:8840
	s_wait_dscnt 0x1
	v_dual_mov_b32 v96, v37 :: v_dual_mov_b32 v97, v36
	s_wait_dscnt 0x0
	v_dual_mul_f32 v95, v39, v35 :: v_dual_mul_f32 v40, v38, v35
	s_delay_alu instid0(VALU_DEP_1) | instskip(NEXT) | instid1(VALU_DEP_1)
	v_xor_b32_e32 v98, 0x80000000, v95
	v_dual_fmac_f32 v40, v39, v34 :: v_dual_fmac_f32 v98, v38, v34
	s_delay_alu instid0(VALU_DEP_1) | instskip(NEXT) | instid1(VALU_DEP_1)
	v_pk_mul_f32 v[34:35], v[40:41], v[96:97] op_sel_hi:[0,1]
	v_pk_fma_f32 v[38:39], v[98:99], v[36:37], v[34:35] op_sel_hi:[0,1,1]
	v_pk_fma_f32 v[34:35], v[98:99], v[36:37], v[34:35] neg_lo:[0,0,1] neg_hi:[0,0,1]
	v_add_nc_u32_e64 v36, 0x2000, 0
	s_delay_alu instid0(VALU_DEP_3)
	v_mov_b32_e32 v35, v39
	ds_store_2addr_b64 v36, v[34:35], v[34:35] offset0:17 offset1:80
.LBB60_343:                             ;   in Loop: Header=BB60_3 Depth=1
	s_or_b32 exec_lo, exec_lo, s53
	v_mov_b32_e32 v35, 0
	s_wait_dscnt 0x0
	s_barrier_signal -1
	s_barrier_wait -1
	s_delay_alu instid0(VALU_DEP_1)
	v_mov_b32_e32 v34, v35
	s_and_saveexec_b32 s53, s0
	s_cbranch_execz .LBB60_347
; %bb.344:                              ;   in Loop: Header=BB60_3 Depth=1
	ds_load_b64 v[34:35], v42 offset:8336
	ds_load_b64 v[36:37], v43 offset:8320
	s_wait_dscnt 0x0
	v_dual_mul_f32 v38, v37, v35 :: v_dual_mul_f32 v39, v36, v35
	s_delay_alu instid0(VALU_DEP_1) | instskip(NEXT) | instid1(VALU_DEP_1)
	v_dual_fma_f32 v38, v36, v34, -v38 :: v_dual_fmac_f32 v39, v37, v34
	v_pk_add_f32 v[34:35], v[38:39], 0 op_sel_hi:[1,0]
	s_and_saveexec_b32 s54, s15
	s_cbranch_execz .LBB60_346
; %bb.345:                              ;   in Loop: Header=BB60_3 Depth=1
	ds_load_b64 v[36:37], v44 offset:8848
	ds_load_b64 v[38:39], v5 offset:8328
	s_wait_dscnt 0x0
	v_pk_mul_f32 v[96:97], v[38:39], v[36:37] op_sel:[1,1] op_sel_hi:[0,1]
	s_delay_alu instid0(VALU_DEP_1) | instskip(SKIP_1) | instid1(VALU_DEP_2)
	v_pk_fma_f32 v[98:99], v[38:39], v[36:37], v[96:97] op_sel_hi:[1,0,1]
	v_pk_fma_f32 v[36:37], v[38:39], v[36:37], v[96:97] neg_lo:[0,0,1] neg_hi:[0,0,1]
	v_mov_b32_e32 v37, v99
	s_delay_alu instid0(VALU_DEP_1)
	v_pk_add_f32 v[34:35], v[34:35], v[36:37]
.LBB60_346:                             ;   in Loop: Header=BB60_3 Depth=1
	s_or_b32 exec_lo, exec_lo, s54
	s_delay_alu instid0(VALU_DEP_1)
	v_pk_add_f32 v[34:35], v[34:35], 0 neg_lo:[1,1] neg_hi:[1,1]
.LBB60_347:                             ;   in Loop: Header=BB60_3 Depth=1
	s_or_b32 exec_lo, exec_lo, s53
	s_and_saveexec_b32 s53, s94
	s_cbranch_execz .LBB60_349
; %bb.348:                              ;   in Loop: Header=BB60_3 Depth=1
	ds_load_b64 v[36:37], v5 offset:9360
	s_wait_dscnt 0x0
	v_pk_mul_f32 v[38:39], v[34:35], v[36:37] op_sel:[1,1] op_sel_hi:[1,0]
	s_delay_alu instid0(VALU_DEP_1) | instskip(SKIP_1) | instid1(VALU_DEP_2)
	v_pk_fma_f32 v[96:97], v[34:35], v[36:37], v[38:39] op_sel_hi:[0,1,1]
	v_pk_fma_f32 v[36:37], v[34:35], v[36:37], v[38:39] neg_lo:[0,0,1] neg_hi:[0,0,1]
	v_mov_b32_e32 v37, v97
	s_delay_alu instid0(VALU_DEP_1)
	v_mov_b64_e32 v[34:35], v[36:37]
	ds_store_b64 v3, v[36:37]
.LBB60_349:                             ;   in Loop: Header=BB60_3 Depth=1
	s_or_b32 exec_lo, exec_lo, s53
	s_wait_dscnt 0x0
	s_barrier_signal -1
	s_barrier_wait -1
	s_and_saveexec_b32 s53, s95
	s_cbranch_execz .LBB60_351
; %bb.350:                              ;   in Loop: Header=BB60_3 Depth=1
	ds_load_b64 v[36:37], v5 offset:9368
	ds_load_b64 v[38:39], v3
	s_wait_dscnt 0x0
	v_pk_mul_f32 v[96:97], v[38:39], v[36:37] op_sel:[1,1] op_sel_hi:[0,1]
	s_delay_alu instid0(VALU_DEP_1) | instskip(SKIP_1) | instid1(VALU_DEP_2)
	v_pk_fma_f32 v[98:99], v[38:39], v[36:37], v[96:97] op_sel_hi:[1,0,1]
	v_pk_fma_f32 v[36:37], v[38:39], v[36:37], v[96:97] neg_lo:[0,0,1] neg_hi:[0,0,1]
	v_mov_b32_e32 v37, v99
	s_delay_alu instid0(VALU_DEP_1)
	v_pk_add_f32 v[34:35], v[34:35], v[36:37]
.LBB60_351:                             ;   in Loop: Header=BB60_3 Depth=1
	s_or_b32 exec_lo, exec_lo, s53
	s_barrier_signal -1
	s_barrier_wait -1
	s_and_saveexec_b32 s53, s95
	s_cbranch_execz .LBB60_353
; %bb.352:                              ;   in Loop: Header=BB60_3 Depth=1
	ds_load_b64 v[36:37], v5 offset:9880
	s_wait_dscnt 0x0
	v_pk_mul_f32 v[38:39], v[34:35], v[36:37] op_sel:[1,1] op_sel_hi:[1,0]
	s_delay_alu instid0(VALU_DEP_1) | instskip(SKIP_1) | instid1(VALU_DEP_2)
	v_pk_fma_f32 v[96:97], v[34:35], v[36:37], v[38:39] op_sel_hi:[0,1,1]
	v_pk_fma_f32 v[36:37], v[34:35], v[36:37], v[38:39] neg_lo:[0,0,1] neg_hi:[0,0,1]
	v_mov_b32_e32 v37, v97
	s_delay_alu instid0(VALU_DEP_1)
	v_mov_b64_e32 v[34:35], v[36:37]
	ds_store_b64 v3, v[36:37]
.LBB60_353:                             ;   in Loop: Header=BB60_3 Depth=1
	s_or_b32 exec_lo, exec_lo, s53
	s_wait_dscnt 0x0
	s_barrier_signal -1
	s_barrier_wait -1
	s_barrier_signal -1
	s_barrier_wait -1
	s_and_saveexec_b32 s53, s0
; %bb.354:                              ;   in Loop: Header=BB60_3 Depth=1
	v_pk_add_f32 v[34:35], v[34:35], 0 neg_lo:[1,1] neg_hi:[1,1]
	ds_store_b64 v42, v[34:35] offset:8336
; %bb.355:                              ;   in Loop: Header=BB60_3 Depth=1
	s_or_b32 exec_lo, exec_lo, s53
	s_wait_dscnt 0x0
	s_barrier_signal -1
	s_barrier_wait -1
	s_barrier_signal -1
	s_barrier_wait -1
	s_and_saveexec_b32 s53, s96
	s_cbranch_execz .LBB60_357
; %bb.356:                              ;   in Loop: Header=BB60_3 Depth=1
	ds_load_b64 v[34:35], v47 offset:8336
	s_wait_dscnt 0x0
	ds_store_b64 v44, v[34:35] offset:9344
	ds_load_b64 v[34:35], v47 offset:8344
	s_wait_dscnt 0x0
	ds_store_b64 v44, v[34:35] offset:9856
.LBB60_357:                             ;   in Loop: Header=BB60_3 Depth=1
	s_or_b32 exec_lo, exec_lo, s53
	s_wait_dscnt 0x0
	s_barrier_signal -1
	s_barrier_wait -1
	s_and_saveexec_b32 s53, s14
	s_cbranch_execz .LBB60_359
; %bb.358:                              ;   in Loop: Header=BB60_3 Depth=1
	ds_load_b128 v[34:37], v5 offset:9360
	ds_load_b64 v[38:39], v5 offset:9880
	s_wait_dscnt 0x1
	v_dual_mov_b32 v96, v37 :: v_dual_mov_b32 v97, v36
	s_wait_dscnt 0x0
	v_dual_mul_f32 v95, v39, v35 :: v_dual_mul_f32 v40, v38, v35
	s_delay_alu instid0(VALU_DEP_1) | instskip(NEXT) | instid1(VALU_DEP_1)
	v_xor_b32_e32 v98, 0x80000000, v95
	v_dual_fmac_f32 v40, v39, v34 :: v_dual_fmac_f32 v98, v38, v34
	s_delay_alu instid0(VALU_DEP_1) | instskip(NEXT) | instid1(VALU_DEP_1)
	v_pk_mul_f32 v[34:35], v[40:41], v[96:97] op_sel_hi:[0,1]
	v_pk_fma_f32 v[38:39], v[98:99], v[36:37], v[34:35] op_sel_hi:[0,1,1]
	v_pk_fma_f32 v[34:35], v[98:99], v[36:37], v[34:35] neg_lo:[0,0,1] neg_hi:[0,0,1]
	v_add_nc_u32_e64 v36, 0x2000, 0
	s_delay_alu instid0(VALU_DEP_3)
	v_mov_b32_e32 v35, v39
	ds_store_2addr_b64 v36, v[34:35], v[34:35] offset0:147 offset1:210
.LBB60_359:                             ;   in Loop: Header=BB60_3 Depth=1
	s_or_b32 exec_lo, exec_lo, s53
	v_mov_b32_e32 v34, 0
	s_wait_dscnt 0x0
	s_barrier_signal -1
	s_barrier_wait -1
	s_delay_alu instid0(VALU_DEP_1)
	v_mov_b32_e32 v35, v34
	s_and_saveexec_b32 s65, s2
	s_cbranch_execz .LBB60_365
; %bb.360:                              ;   in Loop: Header=BB60_3 Depth=1
	ds_load_b64 v[34:35], v49 offset:8352
	ds_load_b64 v[36:37], v45 offset:8320
	s_wait_dscnt 0x0
	v_pk_mul_f32 v[38:39], v[36:37], v[34:35] op_sel:[0,1]
	s_delay_alu instid0(VALU_DEP_1) | instskip(SKIP_1) | instid1(VALU_DEP_2)
	v_pk_fma_f32 v[96:97], v[36:37], v[34:35], v[38:39] op_sel:[1,0,0] op_sel_hi:[0,0,1] neg_lo:[0,0,1] neg_hi:[0,0,1]
	v_pk_fma_f32 v[34:35], v[36:37], v[34:35], v[38:39] op_sel:[1,0,0] op_sel_hi:[0,1,1]
	v_mov_b32_e32 v35, v97
	s_delay_alu instid0(VALU_DEP_1)
	v_pk_add_f32 v[34:35], v[34:35], 0 op_sel_hi:[1,0]
	s_and_saveexec_b32 s53, s16
	s_cbranch_execnz .LBB60_1138
; %bb.361:                              ;   in Loop: Header=BB60_3 Depth=1
	s_or_b32 exec_lo, exec_lo, s53
	s_and_saveexec_b32 s53, s17
	s_cbranch_execnz .LBB60_1139
.LBB60_362:                             ;   in Loop: Header=BB60_3 Depth=1
	s_or_b32 exec_lo, exec_lo, s53
	s_and_saveexec_b32 s53, s0
	s_cbranch_execz .LBB60_364
.LBB60_363:                             ;   in Loop: Header=BB60_3 Depth=1
	ds_load_b64 v[36:37], v52 offset:9888
	ds_load_b64 v[38:39], v5 offset:8344
	s_wait_dscnt 0x0
	v_pk_mul_f32 v[96:97], v[38:39], v[36:37] op_sel:[0,1]
	s_delay_alu instid0(VALU_DEP_1) | instskip(SKIP_1) | instid1(VALU_DEP_2)
	v_pk_fma_f32 v[98:99], v[38:39], v[36:37], v[96:97] op_sel:[1,0,0] op_sel_hi:[0,0,1] neg_lo:[0,0,1] neg_hi:[0,0,1]
	v_pk_fma_f32 v[36:37], v[38:39], v[36:37], v[96:97] op_sel:[1,0,0] op_sel_hi:[0,1,1]
	v_mov_b32_e32 v37, v99
	s_delay_alu instid0(VALU_DEP_1)
	v_pk_add_f32 v[34:35], v[34:35], v[36:37]
.LBB60_364:                             ;   in Loop: Header=BB60_3 Depth=1
	s_or_b32 exec_lo, exec_lo, s53
	s_delay_alu instid0(VALU_DEP_1) | instskip(NEXT) | instid1(VALU_DEP_1)
	v_pk_add_f32 v[36:37], v[34:35], 0 neg_lo:[1,1] neg_hi:[1,1]
	v_dual_mov_b32 v34, v37 :: v_dual_mov_b32 v35, v36
.LBB60_365:                             ;   in Loop: Header=BB60_3 Depth=1
	s_or_b32 exec_lo, exec_lo, s65
	s_and_saveexec_b32 s53, s97
	s_cbranch_execz .LBB60_367
; %bb.366:                              ;   in Loop: Header=BB60_3 Depth=1
	ds_load_b64 v[36:37], v5 offset:10400
	v_dual_mov_b32 v38, v35 :: v_dual_mov_b32 v39, v34
	s_wait_dscnt 0x0
	s_delay_alu instid0(VALU_DEP_1) | instskip(NEXT) | instid1(VALU_DEP_1)
	v_dual_mul_f32 v40, v38, v36 :: v_dual_mul_f32 v96, v35, v37
	v_pk_fma_f32 v[38:39], v[38:39], v[36:37], v[40:41] op_sel_hi:[1,1,0]
	s_delay_alu instid0(VALU_DEP_2) | instskip(NEXT) | instid1(VALU_DEP_2)
	v_pk_fma_f32 v[34:35], v[34:35], v[36:37], v[96:97] op_sel_hi:[1,1,0] neg_lo:[0,0,1] neg_hi:[0,0,1]
	v_mov_b32_e32 v35, v39
	ds_store_b64 v48, v[34:35]
.LBB60_367:                             ;   in Loop: Header=BB60_3 Depth=1
	s_or_b32 exec_lo, exec_lo, s53
	s_wait_dscnt 0x0
	s_barrier_signal -1
	s_barrier_wait -1
	s_and_saveexec_b32 s53, s98
	s_cbranch_execz .LBB60_369
; %bb.368:                              ;   in Loop: Header=BB60_3 Depth=1
	ds_load_b64 v[36:37], v46 offset:10400
	ds_load_b64 v[38:39], v48
	s_wait_dscnt 0x0
	v_dual_mul_f32 v40, v39, v37 :: v_dual_mul_f32 v97, v38, v37
	s_delay_alu instid0(VALU_DEP_1) | instskip(NEXT) | instid1(VALU_DEP_1)
	v_dual_fma_f32 v96, v38, v36, -v40 :: v_dual_fmac_f32 v97, v39, v36
	v_pk_add_f32 v[34:35], v[34:35], v[96:97]
.LBB60_369:                             ;   in Loop: Header=BB60_3 Depth=1
	s_or_b32 exec_lo, exec_lo, s53
	s_barrier_signal -1
	s_barrier_wait -1
	s_and_saveexec_b32 s53, s99
	s_cbranch_execz .LBB60_371
; %bb.370:                              ;   in Loop: Header=BB60_3 Depth=1
	ds_load_b64 v[36:37], v5 offset:10920
	s_wait_dscnt 0x0
	v_pk_mul_f32 v[38:39], v[34:35], v[36:37] op_sel:[1,1] op_sel_hi:[1,0]
	s_delay_alu instid0(VALU_DEP_1) | instskip(SKIP_1) | instid1(VALU_DEP_2)
	v_pk_fma_f32 v[96:97], v[34:35], v[36:37], v[38:39] op_sel_hi:[0,1,1]
	v_pk_fma_f32 v[36:37], v[34:35], v[36:37], v[38:39] neg_lo:[0,0,1] neg_hi:[0,0,1]
	v_mov_b32_e32 v37, v97
	s_delay_alu instid0(VALU_DEP_1)
	v_mov_b64_e32 v[34:35], v[36:37]
	ds_store_b64 v48, v[36:37]
.LBB60_371:                             ;   in Loop: Header=BB60_3 Depth=1
	s_or_b32 exec_lo, exec_lo, s53
	s_wait_dscnt 0x0
	s_barrier_signal -1
	s_barrier_wait -1
	s_and_saveexec_b32 s53, s100
	s_cbranch_execz .LBB60_373
; %bb.372:                              ;   in Loop: Header=BB60_3 Depth=1
	ds_load_b64 v[36:37], v46 offset:10912
	ds_load_b64 v[38:39], v48
	s_wait_dscnt 0x0
	v_pk_mul_f32 v[96:97], v[38:39], v[36:37] op_sel:[1,1] op_sel_hi:[0,1]
	s_delay_alu instid0(VALU_DEP_1) | instskip(SKIP_1) | instid1(VALU_DEP_2)
	v_pk_fma_f32 v[98:99], v[38:39], v[36:37], v[96:97] op_sel_hi:[1,0,1]
	v_pk_fma_f32 v[36:37], v[38:39], v[36:37], v[96:97] neg_lo:[0,0,1] neg_hi:[0,0,1]
	v_mov_b32_e32 v37, v99
	s_delay_alu instid0(VALU_DEP_1)
	v_pk_add_f32 v[34:35], v[34:35], v[36:37]
.LBB60_373:                             ;   in Loop: Header=BB60_3 Depth=1
	s_or_b32 exec_lo, exec_lo, s53
	s_barrier_signal -1
	s_barrier_wait -1
	s_and_saveexec_b32 s53, s101
	s_cbranch_execz .LBB60_375
; %bb.374:                              ;   in Loop: Header=BB60_3 Depth=1
	ds_load_b64 v[36:37], v5 offset:11440
	s_wait_dscnt 0x0
	v_pk_mul_f32 v[38:39], v[34:35], v[36:37] op_sel:[1,1] op_sel_hi:[1,0]
	s_delay_alu instid0(VALU_DEP_1) | instskip(SKIP_1) | instid1(VALU_DEP_2)
	v_pk_fma_f32 v[96:97], v[34:35], v[36:37], v[38:39] op_sel_hi:[0,1,1]
	v_pk_fma_f32 v[36:37], v[34:35], v[36:37], v[38:39] neg_lo:[0,0,1] neg_hi:[0,0,1]
	v_mov_b32_e32 v37, v97
	s_delay_alu instid0(VALU_DEP_1)
	v_mov_b64_e32 v[34:35], v[36:37]
	ds_store_b64 v48, v[36:37]
.LBB60_375:                             ;   in Loop: Header=BB60_3 Depth=1
	s_or_b32 exec_lo, exec_lo, s53
	s_wait_dscnt 0x0
	s_barrier_signal -1
	s_barrier_wait -1
	s_and_saveexec_b32 s53, s102
	s_cbranch_execz .LBB60_377
; %bb.376:                              ;   in Loop: Header=BB60_3 Depth=1
	ds_load_b64 v[36:37], v5 offset:11448
	ds_load_b64 v[38:39], v48
	s_wait_dscnt 0x0
	v_pk_mul_f32 v[96:97], v[38:39], v[36:37] op_sel:[1,1] op_sel_hi:[0,1]
	s_delay_alu instid0(VALU_DEP_1) | instskip(SKIP_1) | instid1(VALU_DEP_2)
	v_pk_fma_f32 v[98:99], v[38:39], v[36:37], v[96:97] op_sel_hi:[1,0,1]
	v_pk_fma_f32 v[36:37], v[38:39], v[36:37], v[96:97] neg_lo:[0,0,1] neg_hi:[0,0,1]
	v_mov_b32_e32 v37, v99
	s_delay_alu instid0(VALU_DEP_1)
	v_pk_add_f32 v[34:35], v[34:35], v[36:37]
.LBB60_377:                             ;   in Loop: Header=BB60_3 Depth=1
	s_or_b32 exec_lo, exec_lo, s53
	s_barrier_signal -1
	s_barrier_wait -1
	s_and_saveexec_b32 s53, s102
	s_cbranch_execz .LBB60_379
; %bb.378:                              ;   in Loop: Header=BB60_3 Depth=1
	ds_load_b64 v[36:37], v5 offset:11960
	s_wait_dscnt 0x0
	v_pk_mul_f32 v[38:39], v[34:35], v[36:37] op_sel:[1,1] op_sel_hi:[1,0]
	s_delay_alu instid0(VALU_DEP_1) | instskip(SKIP_1) | instid1(VALU_DEP_2)
	v_pk_fma_f32 v[96:97], v[34:35], v[36:37], v[38:39] op_sel_hi:[0,1,1]
	v_pk_fma_f32 v[36:37], v[34:35], v[36:37], v[38:39] neg_lo:[0,0,1] neg_hi:[0,0,1]
	v_mov_b32_e32 v37, v97
	s_delay_alu instid0(VALU_DEP_1)
	v_mov_b64_e32 v[34:35], v[36:37]
	ds_store_b64 v48, v[36:37]
.LBB60_379:                             ;   in Loop: Header=BB60_3 Depth=1
	s_or_b32 exec_lo, exec_lo, s53
	s_wait_dscnt 0x0
	s_barrier_signal -1
	s_barrier_wait -1
	s_barrier_signal -1
	s_barrier_wait -1
	s_and_saveexec_b32 s53, s2
; %bb.380:                              ;   in Loop: Header=BB60_3 Depth=1
	v_pk_add_f32 v[34:35], v[34:35], 0 neg_lo:[1,1] neg_hi:[1,1]
	ds_store_b64 v49, v[34:35] offset:8352
; %bb.381:                              ;   in Loop: Header=BB60_3 Depth=1
	s_or_b32 exec_lo, exec_lo, s53
	s_wait_dscnt 0x0
	s_barrier_signal -1
	s_barrier_wait -1
	s_barrier_signal -1
	s_barrier_wait -1
	s_and_saveexec_b32 s53, s103
	s_cbranch_execz .LBB60_383
; %bb.382:                              ;   in Loop: Header=BB60_3 Depth=1
	ds_load_b64 v[34:35], v53 offset:8352
	s_wait_dscnt 0x0
	ds_store_b64 v54, v[34:35] offset:10368
	ds_load_b64 v[34:35], v53 offset:8360
	s_wait_dscnt 0x0
	ds_store_b64 v54, v[34:35] offset:10880
	;; [unrolled: 3-line block ×4, first 2 shown]
.LBB60_383:                             ;   in Loop: Header=BB60_3 Depth=1
	s_or_b32 exec_lo, exec_lo, s53
	s_wait_dscnt 0x0
	s_barrier_signal -1
	s_barrier_wait -1
	s_and_saveexec_b32 s53, s14
	s_cbranch_execz .LBB60_385
; %bb.384:                              ;   in Loop: Header=BB60_3 Depth=1
	ds_load_b128 v[34:37], v5 offset:10400
	ds_load_b64 v[38:39], v5 offset:10920
	s_wait_dscnt 0x1
	v_dual_mov_b32 v96, v37 :: v_dual_mov_b32 v97, v36
	s_wait_dscnt 0x0
	v_dual_mul_f32 v95, v39, v35 :: v_dual_mul_f32 v40, v38, v35
	s_delay_alu instid0(VALU_DEP_1) | instskip(NEXT) | instid1(VALU_DEP_1)
	v_xor_b32_e32 v98, 0x80000000, v95
	v_dual_fmac_f32 v40, v39, v34 :: v_dual_fmac_f32 v98, v38, v34
	s_delay_alu instid0(VALU_DEP_1) | instskip(NEXT) | instid1(VALU_DEP_1)
	v_pk_mul_f32 v[34:35], v[40:41], v[96:97] op_sel_hi:[0,1]
	v_pk_fma_f32 v[38:39], v[98:99], v[36:37], v[34:35] op_sel_hi:[0,1,1]
	v_pk_fma_f32 v[34:35], v[98:99], v[36:37], v[34:35] neg_lo:[0,0,1] neg_hi:[0,0,1]
	v_add_nc_u32_e64 v36, 0x2800, 0
	s_delay_alu instid0(VALU_DEP_3)
	v_mov_b32_e32 v35, v39
	ds_store_2addr_b64 v36, v[34:35], v[34:35] offset0:21 offset1:84
.LBB60_385:                             ;   in Loop: Header=BB60_3 Depth=1
	s_or_b32 exec_lo, exec_lo, s53
	v_mov_b32_e32 v35, 0
	s_wait_dscnt 0x0
	s_barrier_signal -1
	s_barrier_wait -1
	s_delay_alu instid0(VALU_DEP_1)
	v_mov_b32_e32 v34, v35
	s_and_saveexec_b32 s53, s0
	s_cbranch_execz .LBB60_389
; %bb.386:                              ;   in Loop: Header=BB60_3 Depth=1
	ds_load_b64 v[34:35], v42 offset:10416
	ds_load_b64 v[36:37], v43 offset:10400
	s_wait_dscnt 0x0
	v_dual_mul_f32 v38, v37, v35 :: v_dual_mul_f32 v39, v36, v35
	s_delay_alu instid0(VALU_DEP_1) | instskip(NEXT) | instid1(VALU_DEP_1)
	v_dual_fma_f32 v38, v36, v34, -v38 :: v_dual_fmac_f32 v39, v37, v34
	v_pk_add_f32 v[34:35], v[38:39], 0 op_sel_hi:[1,0]
	s_and_saveexec_b32 s54, s15
	s_cbranch_execz .LBB60_388
; %bb.387:                              ;   in Loop: Header=BB60_3 Depth=1
	ds_load_b64 v[36:37], v54 offset:10928
	ds_load_b64 v[38:39], v5 offset:10408
	s_wait_dscnt 0x0
	v_pk_mul_f32 v[96:97], v[38:39], v[36:37] op_sel:[1,1] op_sel_hi:[0,1]
	s_delay_alu instid0(VALU_DEP_1) | instskip(SKIP_1) | instid1(VALU_DEP_2)
	v_pk_fma_f32 v[98:99], v[38:39], v[36:37], v[96:97] op_sel_hi:[1,0,1]
	v_pk_fma_f32 v[36:37], v[38:39], v[36:37], v[96:97] neg_lo:[0,0,1] neg_hi:[0,0,1]
	v_mov_b32_e32 v37, v99
	s_delay_alu instid0(VALU_DEP_1)
	v_pk_add_f32 v[34:35], v[34:35], v[36:37]
.LBB60_388:                             ;   in Loop: Header=BB60_3 Depth=1
	s_or_b32 exec_lo, exec_lo, s54
	s_delay_alu instid0(VALU_DEP_1)
	v_pk_add_f32 v[34:35], v[34:35], 0 neg_lo:[1,1] neg_hi:[1,1]
.LBB60_389:                             ;   in Loop: Header=BB60_3 Depth=1
	s_or_b32 exec_lo, exec_lo, s53
	s_and_saveexec_b32 s53, s94
	s_cbranch_execz .LBB60_391
; %bb.390:                              ;   in Loop: Header=BB60_3 Depth=1
	ds_load_b64 v[36:37], v5 offset:11440
	s_wait_dscnt 0x0
	v_pk_mul_f32 v[38:39], v[34:35], v[36:37] op_sel:[1,1] op_sel_hi:[1,0]
	s_delay_alu instid0(VALU_DEP_1) | instskip(SKIP_1) | instid1(VALU_DEP_2)
	v_pk_fma_f32 v[96:97], v[34:35], v[36:37], v[38:39] op_sel_hi:[0,1,1]
	v_pk_fma_f32 v[36:37], v[34:35], v[36:37], v[38:39] neg_lo:[0,0,1] neg_hi:[0,0,1]
	v_mov_b32_e32 v37, v97
	s_delay_alu instid0(VALU_DEP_1)
	v_mov_b64_e32 v[34:35], v[36:37]
	ds_store_b64 v3, v[36:37]
.LBB60_391:                             ;   in Loop: Header=BB60_3 Depth=1
	s_or_b32 exec_lo, exec_lo, s53
	s_wait_dscnt 0x0
	s_barrier_signal -1
	s_barrier_wait -1
	s_and_saveexec_b32 s53, s95
	s_cbranch_execz .LBB60_393
; %bb.392:                              ;   in Loop: Header=BB60_3 Depth=1
	ds_load_b64 v[36:37], v5 offset:11448
	ds_load_b64 v[38:39], v3
	s_wait_dscnt 0x0
	v_pk_mul_f32 v[96:97], v[38:39], v[36:37] op_sel:[1,1] op_sel_hi:[0,1]
	s_delay_alu instid0(VALU_DEP_1) | instskip(SKIP_1) | instid1(VALU_DEP_2)
	v_pk_fma_f32 v[98:99], v[38:39], v[36:37], v[96:97] op_sel_hi:[1,0,1]
	v_pk_fma_f32 v[36:37], v[38:39], v[36:37], v[96:97] neg_lo:[0,0,1] neg_hi:[0,0,1]
	v_mov_b32_e32 v37, v99
	s_delay_alu instid0(VALU_DEP_1)
	v_pk_add_f32 v[34:35], v[34:35], v[36:37]
.LBB60_393:                             ;   in Loop: Header=BB60_3 Depth=1
	s_or_b32 exec_lo, exec_lo, s53
	s_barrier_signal -1
	s_barrier_wait -1
	s_and_saveexec_b32 s53, s95
	s_cbranch_execz .LBB60_395
; %bb.394:                              ;   in Loop: Header=BB60_3 Depth=1
	ds_load_b64 v[36:37], v5 offset:11960
	s_wait_dscnt 0x0
	v_pk_mul_f32 v[38:39], v[34:35], v[36:37] op_sel:[1,1] op_sel_hi:[1,0]
	s_delay_alu instid0(VALU_DEP_1) | instskip(SKIP_1) | instid1(VALU_DEP_2)
	v_pk_fma_f32 v[96:97], v[34:35], v[36:37], v[38:39] op_sel_hi:[0,1,1]
	v_pk_fma_f32 v[36:37], v[34:35], v[36:37], v[38:39] neg_lo:[0,0,1] neg_hi:[0,0,1]
	v_mov_b32_e32 v37, v97
	s_delay_alu instid0(VALU_DEP_1)
	v_mov_b64_e32 v[34:35], v[36:37]
	ds_store_b64 v3, v[36:37]
.LBB60_395:                             ;   in Loop: Header=BB60_3 Depth=1
	s_or_b32 exec_lo, exec_lo, s53
	s_wait_dscnt 0x0
	s_barrier_signal -1
	s_barrier_wait -1
	s_barrier_signal -1
	s_barrier_wait -1
	s_and_saveexec_b32 s53, s0
; %bb.396:                              ;   in Loop: Header=BB60_3 Depth=1
	v_pk_add_f32 v[34:35], v[34:35], 0 neg_lo:[1,1] neg_hi:[1,1]
	ds_store_b64 v42, v[34:35] offset:10416
; %bb.397:                              ;   in Loop: Header=BB60_3 Depth=1
	s_or_b32 exec_lo, exec_lo, s53
	s_wait_dscnt 0x0
	s_barrier_signal -1
	s_barrier_wait -1
	s_barrier_signal -1
	s_barrier_wait -1
	s_and_saveexec_b32 s53, s96
	s_cbranch_execz .LBB60_399
; %bb.398:                              ;   in Loop: Header=BB60_3 Depth=1
	ds_load_b64 v[34:35], v56 offset:10416
	s_wait_dscnt 0x0
	ds_store_b64 v54, v[34:35] offset:11424
	ds_load_b64 v[34:35], v56 offset:10424
	s_wait_dscnt 0x0
	ds_store_b64 v54, v[34:35] offset:11936
.LBB60_399:                             ;   in Loop: Header=BB60_3 Depth=1
	s_or_b32 exec_lo, exec_lo, s53
	s_wait_dscnt 0x0
	s_barrier_signal -1
	s_barrier_wait -1
	s_and_saveexec_b32 s53, s14
	s_cbranch_execz .LBB60_401
; %bb.400:                              ;   in Loop: Header=BB60_3 Depth=1
	ds_load_b128 v[34:37], v5 offset:11440
	ds_load_b64 v[38:39], v5 offset:11960
	s_wait_dscnt 0x1
	v_dual_mov_b32 v96, v37 :: v_dual_mov_b32 v97, v36
	s_wait_dscnt 0x0
	v_dual_mul_f32 v95, v39, v35 :: v_dual_mul_f32 v40, v38, v35
	s_delay_alu instid0(VALU_DEP_1) | instskip(NEXT) | instid1(VALU_DEP_1)
	v_xor_b32_e32 v98, 0x80000000, v95
	v_dual_fmac_f32 v40, v39, v34 :: v_dual_fmac_f32 v98, v38, v34
	s_delay_alu instid0(VALU_DEP_1) | instskip(NEXT) | instid1(VALU_DEP_1)
	v_pk_mul_f32 v[34:35], v[40:41], v[96:97] op_sel_hi:[0,1]
	v_pk_fma_f32 v[38:39], v[98:99], v[36:37], v[34:35] op_sel_hi:[0,1,1]
	v_pk_fma_f32 v[34:35], v[98:99], v[36:37], v[34:35] neg_lo:[0,0,1] neg_hi:[0,0,1]
	v_add_nc_u32_e64 v36, 0x2800, 0
	s_delay_alu instid0(VALU_DEP_3)
	v_mov_b32_e32 v35, v39
	ds_store_2addr_b64 v36, v[34:35], v[34:35] offset0:151 offset1:214
.LBB60_401:                             ;   in Loop: Header=BB60_3 Depth=1
	s_or_b32 exec_lo, exec_lo, s53
	v_mov_b32_e32 v34, 0
	s_wait_dscnt 0x0
	s_barrier_signal -1
	s_barrier_wait -1
	s_delay_alu instid0(VALU_DEP_1)
	v_mov_b32_e32 v35, v34
	s_and_saveexec_b32 s65, s3
	s_cbranch_execz .LBB60_411
; %bb.402:                              ;   in Loop: Header=BB60_3 Depth=1
	ds_load_b64 v[34:35], v59 offset:8384
	ds_load_b64 v[36:37], v55 offset:8320
	s_wait_dscnt 0x0
	v_dual_mul_f32 v38, v37, v35 :: v_dual_mul_f32 v39, v36, v35
	s_delay_alu instid0(VALU_DEP_1) | instskip(NEXT) | instid1(VALU_DEP_1)
	v_dual_fma_f32 v35, v36, v34, -v38 :: v_dual_fmac_f32 v39, v37, v34
	v_add_f32_e32 v35, 0, v35
	s_delay_alu instid0(VALU_DEP_2)
	v_add_f32_e32 v34, 0, v39
	s_and_saveexec_b32 s53, s18
	s_cbranch_execnz .LBB60_1140
; %bb.403:                              ;   in Loop: Header=BB60_3 Depth=1
	s_or_b32 exec_lo, exec_lo, s53
	s_and_saveexec_b32 s53, s19
	s_cbranch_execnz .LBB60_1141
.LBB60_404:                             ;   in Loop: Header=BB60_3 Depth=1
	s_or_b32 exec_lo, exec_lo, s53
	s_and_saveexec_b32 s53, s20
	s_cbranch_execnz .LBB60_1142
.LBB60_405:                             ;   in Loop: Header=BB60_3 Depth=1
	s_or_b32 exec_lo, exec_lo, s53
	s_and_saveexec_b32 s53, s21
	s_cbranch_execnz .LBB60_1143
.LBB60_406:                             ;   in Loop: Header=BB60_3 Depth=1
	s_or_b32 exec_lo, exec_lo, s53
	s_and_saveexec_b32 s53, s22
	s_cbranch_execnz .LBB60_1144
.LBB60_407:                             ;   in Loop: Header=BB60_3 Depth=1
	s_or_b32 exec_lo, exec_lo, s53
	s_and_saveexec_b32 s53, s2
	s_cbranch_execnz .LBB60_1145
.LBB60_408:                             ;   in Loop: Header=BB60_3 Depth=1
	s_or_b32 exec_lo, exec_lo, s53
	s_and_saveexec_b32 s53, s17
	s_cbranch_execz .LBB60_410
.LBB60_409:                             ;   in Loop: Header=BB60_3 Depth=1
	ds_load_b64 v[36:37], v69 offset:11968
	ds_load_b64 v[38:39], v5 offset:8376
	s_wait_dscnt 0x0
	v_pk_mul_f32 v[96:97], v[38:39], v[36:37] op_sel:[0,1]
	s_delay_alu instid0(VALU_DEP_1) | instskip(SKIP_1) | instid1(VALU_DEP_2)
	v_pk_fma_f32 v[98:99], v[38:39], v[36:37], v[96:97] op_sel:[1,0,0] op_sel_hi:[0,0,1] neg_lo:[0,0,1] neg_hi:[0,0,1]
	v_pk_fma_f32 v[36:37], v[38:39], v[36:37], v[96:97] op_sel:[1,0,0] op_sel_hi:[0,1,1]
	v_mov_b32_e32 v37, v99
	s_delay_alu instid0(VALU_DEP_1)
	v_pk_add_f32 v[34:35], v[34:35], v[36:37]
.LBB60_410:                             ;   in Loop: Header=BB60_3 Depth=1
	s_or_b32 exec_lo, exec_lo, s53
	s_delay_alu instid0(VALU_DEP_1) | instskip(NEXT) | instid1(VALU_DEP_1)
	v_pk_add_f32 v[36:37], v[34:35], 0 neg_lo:[1,1] neg_hi:[1,1]
	v_dual_mov_b32 v34, v37 :: v_dual_mov_b32 v35, v36
.LBB60_411:                             ;   in Loop: Header=BB60_3 Depth=1
	s_or_b32 exec_lo, exec_lo, s65
	s_and_saveexec_b32 s53, s104
	s_cbranch_execz .LBB60_413
; %bb.412:                              ;   in Loop: Header=BB60_3 Depth=1
	ds_load_b64 v[36:37], v5 offset:12480
	v_dual_mov_b32 v38, v35 :: v_dual_mov_b32 v39, v34
	s_wait_dscnt 0x0
	s_delay_alu instid0(VALU_DEP_1) | instskip(NEXT) | instid1(VALU_DEP_1)
	v_dual_mul_f32 v40, v38, v36 :: v_dual_mul_f32 v96, v35, v37
	v_pk_fma_f32 v[38:39], v[38:39], v[36:37], v[40:41] op_sel_hi:[1,1,0]
	s_delay_alu instid0(VALU_DEP_2) | instskip(NEXT) | instid1(VALU_DEP_2)
	v_pk_fma_f32 v[34:35], v[34:35], v[36:37], v[96:97] op_sel_hi:[1,1,0] neg_lo:[0,0,1] neg_hi:[0,0,1]
	v_mov_b32_e32 v35, v39
	ds_store_b64 v58, v[34:35]
.LBB60_413:                             ;   in Loop: Header=BB60_3 Depth=1
	s_or_b32 exec_lo, exec_lo, s53
	s_wait_dscnt 0x0
	s_barrier_signal -1
	s_barrier_wait -1
	s_and_saveexec_b32 s53, vcc_hi
	s_cbranch_execz .LBB60_415
; %bb.414:                              ;   in Loop: Header=BB60_3 Depth=1
	ds_load_b64 v[36:37], v57 offset:12480
	ds_load_b64 v[38:39], v58
	s_wait_dscnt 0x0
	v_dual_mul_f32 v40, v39, v37 :: v_dual_mul_f32 v97, v38, v37
	s_delay_alu instid0(VALU_DEP_1) | instskip(NEXT) | instid1(VALU_DEP_1)
	v_dual_fma_f32 v96, v38, v36, -v40 :: v_dual_fmac_f32 v97, v39, v36
	v_pk_add_f32 v[34:35], v[34:35], v[96:97]
.LBB60_415:                             ;   in Loop: Header=BB60_3 Depth=1
	s_or_b32 exec_lo, exec_lo, s53
	s_barrier_signal -1
	s_barrier_wait -1
	s_and_saveexec_b32 s53, s38
	s_cbranch_execz .LBB60_417
; %bb.416:                              ;   in Loop: Header=BB60_3 Depth=1
	ds_load_b64 v[36:37], v5 offset:13000
	s_wait_dscnt 0x0
	v_pk_mul_f32 v[38:39], v[34:35], v[36:37] op_sel:[1,1] op_sel_hi:[1,0]
	s_delay_alu instid0(VALU_DEP_1) | instskip(SKIP_1) | instid1(VALU_DEP_2)
	v_pk_fma_f32 v[96:97], v[34:35], v[36:37], v[38:39] op_sel_hi:[0,1,1]
	v_pk_fma_f32 v[34:35], v[34:35], v[36:37], v[38:39] op_sel_hi:[0,1,1] neg_lo:[0,0,1] neg_hi:[0,0,1]
	v_mov_b32_e32 v35, v97
	ds_store_b64 v58, v[34:35]
.LBB60_417:                             ;   in Loop: Header=BB60_3 Depth=1
	s_or_b32 exec_lo, exec_lo, s53
	s_wait_dscnt 0x0
	s_barrier_signal -1
	s_barrier_wait -1
	s_and_saveexec_b32 s53, s39
	s_cbranch_execz .LBB60_419
; %bb.418:                              ;   in Loop: Header=BB60_3 Depth=1
	ds_load_b64 v[36:37], v57 offset:12992
	ds_load_b64 v[38:39], v58
	s_wait_dscnt 0x0
	v_pk_mul_f32 v[96:97], v[38:39], v[36:37] op_sel:[1,1] op_sel_hi:[0,1]
	s_delay_alu instid0(VALU_DEP_1) | instskip(SKIP_1) | instid1(VALU_DEP_2)
	v_pk_fma_f32 v[98:99], v[38:39], v[36:37], v[96:97] op_sel_hi:[1,0,1]
	v_pk_fma_f32 v[36:37], v[38:39], v[36:37], v[96:97] op_sel_hi:[1,0,1] neg_lo:[0,0,1] neg_hi:[0,0,1]
	v_mov_b32_e32 v37, v99
	s_delay_alu instid0(VALU_DEP_1)
	v_pk_add_f32 v[34:35], v[34:35], v[36:37]
.LBB60_419:                             ;   in Loop: Header=BB60_3 Depth=1
	s_or_b32 exec_lo, exec_lo, s53
	s_barrier_signal -1
	s_barrier_wait -1
	s_and_saveexec_b32 s53, s40
	s_cbranch_execz .LBB60_421
; %bb.420:                              ;   in Loop: Header=BB60_3 Depth=1
	ds_load_b64 v[36:37], v5 offset:13520
	s_wait_dscnt 0x0
	v_pk_mul_f32 v[38:39], v[34:35], v[36:37] op_sel:[1,1] op_sel_hi:[1,0]
	s_delay_alu instid0(VALU_DEP_1) | instskip(SKIP_1) | instid1(VALU_DEP_2)
	v_pk_fma_f32 v[96:97], v[34:35], v[36:37], v[38:39] op_sel_hi:[0,1,1]
	v_pk_fma_f32 v[34:35], v[34:35], v[36:37], v[38:39] op_sel_hi:[0,1,1] neg_lo:[0,0,1] neg_hi:[0,0,1]
	v_mov_b32_e32 v35, v97
	ds_store_b64 v58, v[34:35]
.LBB60_421:                             ;   in Loop: Header=BB60_3 Depth=1
	s_or_b32 exec_lo, exec_lo, s53
	s_wait_dscnt 0x0
	s_barrier_signal -1
	s_barrier_wait -1
	s_and_saveexec_b32 s53, s41
	s_cbranch_execz .LBB60_423
; %bb.422:                              ;   in Loop: Header=BB60_3 Depth=1
	ds_load_b64 v[36:37], v57 offset:13504
	ds_load_b64 v[38:39], v58
	s_wait_dscnt 0x0
	v_pk_mul_f32 v[96:97], v[38:39], v[36:37] op_sel:[1,1] op_sel_hi:[0,1]
	s_delay_alu instid0(VALU_DEP_1) | instskip(SKIP_1) | instid1(VALU_DEP_2)
	v_pk_fma_f32 v[98:99], v[38:39], v[36:37], v[96:97] op_sel_hi:[1,0,1]
	v_pk_fma_f32 v[36:37], v[38:39], v[36:37], v[96:97] op_sel_hi:[1,0,1] neg_lo:[0,0,1] neg_hi:[0,0,1]
	v_mov_b32_e32 v37, v99
	s_delay_alu instid0(VALU_DEP_1)
	v_pk_add_f32 v[34:35], v[34:35], v[36:37]
.LBB60_423:                             ;   in Loop: Header=BB60_3 Depth=1
	;; [unrolled: 33-line block ×3, first 2 shown]
	s_or_b32 exec_lo, exec_lo, s53
	s_barrier_signal -1
	s_barrier_wait -1
	s_and_saveexec_b32 s53, s44
	s_cbranch_execz .LBB60_429
; %bb.428:                              ;   in Loop: Header=BB60_3 Depth=1
	ds_load_b64 v[36:37], v5 offset:14560
	s_wait_dscnt 0x0
	v_dual_mul_f32 v38, v34, v37 :: v_dual_mul_f32 v40, v35, v37
	s_delay_alu instid0(VALU_DEP_1) | instskip(NEXT) | instid1(VALU_DEP_2)
	v_pk_fma_f32 v[38:39], v[34:35], v[36:37], v[38:39] op_sel:[0,1,0] op_sel_hi:[1,0,0]
	v_pk_fma_f32 v[36:37], v[34:35], v[36:37], v[40:41] op_sel_hi:[1,1,0] neg_lo:[0,0,1] neg_hi:[0,0,1]
	s_delay_alu instid0(VALU_DEP_2) | instskip(NEXT) | instid1(VALU_DEP_1)
	v_mov_b32_e32 v37, v39
	v_mov_b64_e32 v[34:35], v[36:37]
	ds_store_b64 v58, v[36:37]
.LBB60_429:                             ;   in Loop: Header=BB60_3 Depth=1
	s_or_b32 exec_lo, exec_lo, s53
	s_wait_dscnt 0x0
	s_barrier_signal -1
	s_barrier_wait -1
	s_and_saveexec_b32 s53, s45
	s_cbranch_execz .LBB60_431
; %bb.430:                              ;   in Loop: Header=BB60_3 Depth=1
	ds_load_b64 v[36:37], v57 offset:14528
	ds_load_b64 v[38:39], v58
	s_wait_dscnt 0x0
	v_dual_mul_f32 v40, v39, v37 :: v_dual_mul_f32 v97, v38, v37
	s_delay_alu instid0(VALU_DEP_1) | instskip(NEXT) | instid1(VALU_DEP_1)
	v_dual_fma_f32 v96, v38, v36, -v40 :: v_dual_fmac_f32 v97, v39, v36
	v_pk_add_f32 v[34:35], v[34:35], v[96:97]
.LBB60_431:                             ;   in Loop: Header=BB60_3 Depth=1
	s_or_b32 exec_lo, exec_lo, s53
	s_barrier_signal -1
	s_barrier_wait -1
	s_and_saveexec_b32 s53, s46
	s_cbranch_execz .LBB60_433
; %bb.432:                              ;   in Loop: Header=BB60_3 Depth=1
	ds_load_b64 v[36:37], v5 offset:15080
	s_wait_dscnt 0x0
	v_pk_mul_f32 v[38:39], v[34:35], v[36:37] op_sel:[1,1] op_sel_hi:[1,0]
	s_delay_alu instid0(VALU_DEP_1) | instskip(SKIP_1) | instid1(VALU_DEP_2)
	v_pk_fma_f32 v[96:97], v[34:35], v[36:37], v[38:39] op_sel_hi:[0,1,1]
	v_pk_fma_f32 v[36:37], v[34:35], v[36:37], v[38:39] neg_lo:[0,0,1] neg_hi:[0,0,1]
	v_mov_b32_e32 v37, v97
	s_delay_alu instid0(VALU_DEP_1)
	v_mov_b64_e32 v[34:35], v[36:37]
	ds_store_b64 v58, v[36:37]
.LBB60_433:                             ;   in Loop: Header=BB60_3 Depth=1
	s_or_b32 exec_lo, exec_lo, s53
	s_wait_dscnt 0x0
	s_barrier_signal -1
	s_barrier_wait -1
	s_and_saveexec_b32 s53, s47
	s_cbranch_execz .LBB60_435
; %bb.434:                              ;   in Loop: Header=BB60_3 Depth=1
	ds_load_b64 v[36:37], v57 offset:15040
	ds_load_b64 v[38:39], v58
	s_wait_dscnt 0x0
	v_pk_mul_f32 v[96:97], v[38:39], v[36:37] op_sel:[1,1] op_sel_hi:[0,1]
	s_delay_alu instid0(VALU_DEP_1) | instskip(SKIP_1) | instid1(VALU_DEP_2)
	v_pk_fma_f32 v[98:99], v[38:39], v[36:37], v[96:97] op_sel_hi:[1,0,1]
	v_pk_fma_f32 v[36:37], v[38:39], v[36:37], v[96:97] neg_lo:[0,0,1] neg_hi:[0,0,1]
	v_mov_b32_e32 v37, v99
	s_delay_alu instid0(VALU_DEP_1)
	v_pk_add_f32 v[34:35], v[34:35], v[36:37]
.LBB60_435:                             ;   in Loop: Header=BB60_3 Depth=1
	s_or_b32 exec_lo, exec_lo, s53
	s_barrier_signal -1
	s_barrier_wait -1
	s_and_saveexec_b32 s53, s48
	s_cbranch_execz .LBB60_437
; %bb.436:                              ;   in Loop: Header=BB60_3 Depth=1
	ds_load_b64 v[36:37], v5 offset:15600
	s_wait_dscnt 0x0
	v_pk_mul_f32 v[38:39], v[34:35], v[36:37] op_sel:[1,1] op_sel_hi:[1,0]
	s_delay_alu instid0(VALU_DEP_1) | instskip(SKIP_1) | instid1(VALU_DEP_2)
	v_pk_fma_f32 v[96:97], v[34:35], v[36:37], v[38:39] op_sel_hi:[0,1,1]
	v_pk_fma_f32 v[36:37], v[34:35], v[36:37], v[38:39] neg_lo:[0,0,1] neg_hi:[0,0,1]
	v_mov_b32_e32 v37, v97
	s_delay_alu instid0(VALU_DEP_1)
	v_mov_b64_e32 v[34:35], v[36:37]
	ds_store_b64 v58, v[36:37]
.LBB60_437:                             ;   in Loop: Header=BB60_3 Depth=1
	s_or_b32 exec_lo, exec_lo, s53
	s_wait_dscnt 0x0
	s_barrier_signal -1
	s_barrier_wait -1
	s_and_saveexec_b32 s53, s49
	s_cbranch_execz .LBB60_439
; %bb.438:                              ;   in Loop: Header=BB60_3 Depth=1
	ds_load_b64 v[36:37], v5 offset:15608
	ds_load_b64 v[38:39], v58
	s_wait_dscnt 0x0
	v_pk_mul_f32 v[96:97], v[38:39], v[36:37] op_sel:[1,1] op_sel_hi:[0,1]
	s_delay_alu instid0(VALU_DEP_1) | instskip(SKIP_1) | instid1(VALU_DEP_2)
	v_pk_fma_f32 v[98:99], v[38:39], v[36:37], v[96:97] op_sel_hi:[1,0,1]
	v_pk_fma_f32 v[36:37], v[38:39], v[36:37], v[96:97] neg_lo:[0,0,1] neg_hi:[0,0,1]
	v_mov_b32_e32 v37, v99
	s_delay_alu instid0(VALU_DEP_1)
	v_pk_add_f32 v[34:35], v[34:35], v[36:37]
.LBB60_439:                             ;   in Loop: Header=BB60_3 Depth=1
	s_or_b32 exec_lo, exec_lo, s53
	s_barrier_signal -1
	s_barrier_wait -1
	s_and_saveexec_b32 s53, s49
	s_cbranch_execz .LBB60_441
; %bb.440:                              ;   in Loop: Header=BB60_3 Depth=1
	ds_load_b64 v[36:37], v5 offset:16120
	s_wait_dscnt 0x0
	v_pk_mul_f32 v[38:39], v[34:35], v[36:37] op_sel:[1,1] op_sel_hi:[1,0]
	s_delay_alu instid0(VALU_DEP_1) | instskip(SKIP_1) | instid1(VALU_DEP_2)
	v_pk_fma_f32 v[96:97], v[34:35], v[36:37], v[38:39] op_sel_hi:[0,1,1]
	v_pk_fma_f32 v[36:37], v[34:35], v[36:37], v[38:39] neg_lo:[0,0,1] neg_hi:[0,0,1]
	v_mov_b32_e32 v37, v97
	s_delay_alu instid0(VALU_DEP_1)
	v_mov_b64_e32 v[34:35], v[36:37]
	ds_store_b64 v58, v[36:37]
.LBB60_441:                             ;   in Loop: Header=BB60_3 Depth=1
	s_or_b32 exec_lo, exec_lo, s53
	s_wait_dscnt 0x0
	s_barrier_signal -1
	s_barrier_wait -1
	s_barrier_signal -1
	s_barrier_wait -1
	s_and_saveexec_b32 s53, s3
; %bb.442:                              ;   in Loop: Header=BB60_3 Depth=1
	v_pk_add_f32 v[34:35], v[34:35], 0 neg_lo:[1,1] neg_hi:[1,1]
	ds_store_b64 v59, v[34:35] offset:8384
; %bb.443:                              ;   in Loop: Header=BB60_3 Depth=1
	s_or_b32 exec_lo, exec_lo, s53
	s_wait_dscnt 0x0
	s_barrier_signal -1
	s_barrier_wait -1
	s_barrier_signal -1
	s_barrier_wait -1
	s_and_saveexec_b32 s53, s50
	s_cbranch_execz .LBB60_445
; %bb.444:                              ;   in Loop: Header=BB60_3 Depth=1
	ds_load_b64 v[34:35], v70 offset:8384
	s_wait_dscnt 0x0
	ds_store_b64 v71, v[34:35] offset:12416
	ds_load_b64 v[34:35], v70 offset:8392
	s_wait_dscnt 0x0
	ds_store_b64 v71, v[34:35] offset:12928
	;; [unrolled: 3-line block ×8, first 2 shown]
.LBB60_445:                             ;   in Loop: Header=BB60_3 Depth=1
	s_or_b32 exec_lo, exec_lo, s53
	s_wait_dscnt 0x0
	s_barrier_signal -1
	s_barrier_wait -1
	s_and_saveexec_b32 s53, s14
	s_cbranch_execz .LBB60_447
; %bb.446:                              ;   in Loop: Header=BB60_3 Depth=1
	ds_load_b128 v[34:37], v5 offset:12480
	ds_load_b64 v[38:39], v5 offset:13000
	s_wait_dscnt 0x1
	v_dual_mov_b32 v96, v37 :: v_dual_mov_b32 v97, v36
	s_wait_dscnt 0x0
	v_dual_mul_f32 v95, v39, v35 :: v_dual_mul_f32 v40, v38, v35
	s_delay_alu instid0(VALU_DEP_1) | instskip(NEXT) | instid1(VALU_DEP_1)
	v_xor_b32_e32 v98, 0x80000000, v95
	v_dual_fmac_f32 v40, v39, v34 :: v_dual_fmac_f32 v98, v38, v34
	s_delay_alu instid0(VALU_DEP_1) | instskip(NEXT) | instid1(VALU_DEP_1)
	v_pk_mul_f32 v[34:35], v[40:41], v[96:97] op_sel_hi:[0,1]
	v_pk_fma_f32 v[38:39], v[98:99], v[36:37], v[34:35] op_sel_hi:[0,1,1]
	v_pk_fma_f32 v[34:35], v[98:99], v[36:37], v[34:35] neg_lo:[0,0,1] neg_hi:[0,0,1]
	v_add_nc_u32_e64 v36, 0x3000, 0
	s_delay_alu instid0(VALU_DEP_3)
	v_mov_b32_e32 v35, v39
	ds_store_2addr_b64 v36, v[34:35], v[34:35] offset0:25 offset1:88
.LBB60_447:                             ;   in Loop: Header=BB60_3 Depth=1
	s_or_b32 exec_lo, exec_lo, s53
	v_mov_b32_e32 v35, 0
	s_wait_dscnt 0x0
	s_barrier_signal -1
	s_barrier_wait -1
	s_delay_alu instid0(VALU_DEP_1)
	v_mov_b32_e32 v34, v35
	s_and_saveexec_b32 s53, s0
	s_cbranch_execz .LBB60_451
; %bb.448:                              ;   in Loop: Header=BB60_3 Depth=1
	ds_load_b64 v[34:35], v42 offset:12496
	ds_load_b64 v[36:37], v43 offset:12480
	s_wait_dscnt 0x0
	v_dual_mul_f32 v38, v37, v35 :: v_dual_mul_f32 v39, v36, v35
	s_delay_alu instid0(VALU_DEP_1) | instskip(NEXT) | instid1(VALU_DEP_1)
	v_dual_fma_f32 v38, v36, v34, -v38 :: v_dual_fmac_f32 v39, v37, v34
	v_pk_add_f32 v[34:35], v[38:39], 0 op_sel_hi:[1,0]
	s_and_saveexec_b32 s54, s15
	s_cbranch_execz .LBB60_450
; %bb.449:                              ;   in Loop: Header=BB60_3 Depth=1
	ds_load_b64 v[36:37], v71 offset:13008
	ds_load_b64 v[38:39], v5 offset:12488
	s_wait_dscnt 0x0
	v_pk_mul_f32 v[96:97], v[38:39], v[36:37] op_sel:[1,1] op_sel_hi:[0,1]
	s_delay_alu instid0(VALU_DEP_1) | instskip(SKIP_1) | instid1(VALU_DEP_2)
	v_pk_fma_f32 v[98:99], v[38:39], v[36:37], v[96:97] op_sel_hi:[1,0,1]
	v_pk_fma_f32 v[36:37], v[38:39], v[36:37], v[96:97] neg_lo:[0,0,1] neg_hi:[0,0,1]
	v_mov_b32_e32 v37, v99
	s_delay_alu instid0(VALU_DEP_1)
	v_pk_add_f32 v[34:35], v[34:35], v[36:37]
.LBB60_450:                             ;   in Loop: Header=BB60_3 Depth=1
	s_or_b32 exec_lo, exec_lo, s54
	s_delay_alu instid0(VALU_DEP_1)
	v_pk_add_f32 v[34:35], v[34:35], 0 neg_lo:[1,1] neg_hi:[1,1]
.LBB60_451:                             ;   in Loop: Header=BB60_3 Depth=1
	s_or_b32 exec_lo, exec_lo, s53
	s_and_saveexec_b32 s53, s94
	s_cbranch_execz .LBB60_453
; %bb.452:                              ;   in Loop: Header=BB60_3 Depth=1
	ds_load_b64 v[36:37], v5 offset:13520
	s_wait_dscnt 0x0
	v_pk_mul_f32 v[38:39], v[34:35], v[36:37] op_sel:[1,1] op_sel_hi:[1,0]
	s_delay_alu instid0(VALU_DEP_1) | instskip(SKIP_1) | instid1(VALU_DEP_2)
	v_pk_fma_f32 v[96:97], v[34:35], v[36:37], v[38:39] op_sel_hi:[0,1,1]
	v_pk_fma_f32 v[36:37], v[34:35], v[36:37], v[38:39] neg_lo:[0,0,1] neg_hi:[0,0,1]
	v_mov_b32_e32 v37, v97
	s_delay_alu instid0(VALU_DEP_1)
	v_mov_b64_e32 v[34:35], v[36:37]
	ds_store_b64 v3, v[36:37]
.LBB60_453:                             ;   in Loop: Header=BB60_3 Depth=1
	s_or_b32 exec_lo, exec_lo, s53
	s_wait_dscnt 0x0
	s_barrier_signal -1
	s_barrier_wait -1
	s_and_saveexec_b32 s53, s95
	s_cbranch_execz .LBB60_455
; %bb.454:                              ;   in Loop: Header=BB60_3 Depth=1
	ds_load_b64 v[36:37], v5 offset:13528
	ds_load_b64 v[38:39], v3
	s_wait_dscnt 0x0
	v_pk_mul_f32 v[96:97], v[38:39], v[36:37] op_sel:[1,1] op_sel_hi:[0,1]
	s_delay_alu instid0(VALU_DEP_1) | instskip(SKIP_1) | instid1(VALU_DEP_2)
	v_pk_fma_f32 v[98:99], v[38:39], v[36:37], v[96:97] op_sel_hi:[1,0,1]
	v_pk_fma_f32 v[36:37], v[38:39], v[36:37], v[96:97] neg_lo:[0,0,1] neg_hi:[0,0,1]
	v_mov_b32_e32 v37, v99
	s_delay_alu instid0(VALU_DEP_1)
	v_pk_add_f32 v[34:35], v[34:35], v[36:37]
.LBB60_455:                             ;   in Loop: Header=BB60_3 Depth=1
	s_or_b32 exec_lo, exec_lo, s53
	s_barrier_signal -1
	s_barrier_wait -1
	s_and_saveexec_b32 s53, s95
	s_cbranch_execz .LBB60_457
; %bb.456:                              ;   in Loop: Header=BB60_3 Depth=1
	ds_load_b64 v[36:37], v5 offset:14040
	s_wait_dscnt 0x0
	v_pk_mul_f32 v[38:39], v[34:35], v[36:37] op_sel:[1,1] op_sel_hi:[1,0]
	s_delay_alu instid0(VALU_DEP_1) | instskip(SKIP_1) | instid1(VALU_DEP_2)
	v_pk_fma_f32 v[96:97], v[34:35], v[36:37], v[38:39] op_sel_hi:[0,1,1]
	v_pk_fma_f32 v[36:37], v[34:35], v[36:37], v[38:39] neg_lo:[0,0,1] neg_hi:[0,0,1]
	v_mov_b32_e32 v37, v97
	s_delay_alu instid0(VALU_DEP_1)
	v_mov_b64_e32 v[34:35], v[36:37]
	ds_store_b64 v3, v[36:37]
.LBB60_457:                             ;   in Loop: Header=BB60_3 Depth=1
	s_or_b32 exec_lo, exec_lo, s53
	s_wait_dscnt 0x0
	s_barrier_signal -1
	s_barrier_wait -1
	s_barrier_signal -1
	s_barrier_wait -1
	s_and_saveexec_b32 s53, s0
; %bb.458:                              ;   in Loop: Header=BB60_3 Depth=1
	v_pk_add_f32 v[34:35], v[34:35], 0 neg_lo:[1,1] neg_hi:[1,1]
	ds_store_b64 v42, v[34:35] offset:12496
; %bb.459:                              ;   in Loop: Header=BB60_3 Depth=1
	s_or_b32 exec_lo, exec_lo, s53
	s_wait_dscnt 0x0
	s_barrier_signal -1
	s_barrier_wait -1
	s_barrier_signal -1
	s_barrier_wait -1
	s_and_saveexec_b32 s53, s96
	s_cbranch_execz .LBB60_461
; %bb.460:                              ;   in Loop: Header=BB60_3 Depth=1
	ds_load_b64 v[34:35], v72 offset:12496
	s_wait_dscnt 0x0
	ds_store_b64 v71, v[34:35] offset:13504
	ds_load_b64 v[34:35], v72 offset:12504
	s_wait_dscnt 0x0
	ds_store_b64 v71, v[34:35] offset:14016
.LBB60_461:                             ;   in Loop: Header=BB60_3 Depth=1
	s_or_b32 exec_lo, exec_lo, s53
	s_wait_dscnt 0x0
	s_barrier_signal -1
	s_barrier_wait -1
	s_and_saveexec_b32 s53, s14
	s_cbranch_execz .LBB60_463
; %bb.462:                              ;   in Loop: Header=BB60_3 Depth=1
	ds_load_b128 v[34:37], v5 offset:13520
	ds_load_b64 v[38:39], v5 offset:14040
	s_wait_dscnt 0x1
	v_dual_mov_b32 v96, v37 :: v_dual_mov_b32 v97, v36
	s_wait_dscnt 0x0
	v_dual_mul_f32 v95, v39, v35 :: v_dual_mul_f32 v40, v38, v35
	s_delay_alu instid0(VALU_DEP_1) | instskip(NEXT) | instid1(VALU_DEP_1)
	v_xor_b32_e32 v98, 0x80000000, v95
	v_dual_fmac_f32 v40, v39, v34 :: v_dual_fmac_f32 v98, v38, v34
	s_delay_alu instid0(VALU_DEP_1) | instskip(NEXT) | instid1(VALU_DEP_1)
	v_pk_mul_f32 v[34:35], v[40:41], v[96:97] op_sel_hi:[0,1]
	v_pk_fma_f32 v[38:39], v[98:99], v[36:37], v[34:35] op_sel_hi:[0,1,1]
	v_pk_fma_f32 v[34:35], v[98:99], v[36:37], v[34:35] neg_lo:[0,0,1] neg_hi:[0,0,1]
	v_add_nc_u32_e64 v36, 0x3000, 0
	s_delay_alu instid0(VALU_DEP_3)
	v_mov_b32_e32 v35, v39
	ds_store_2addr_b64 v36, v[34:35], v[34:35] offset0:155 offset1:218
.LBB60_463:                             ;   in Loop: Header=BB60_3 Depth=1
	s_or_b32 exec_lo, exec_lo, s53
	v_mov_b32_e32 v34, 0
	s_wait_dscnt 0x0
	s_barrier_signal -1
	s_barrier_wait -1
	s_delay_alu instid0(VALU_DEP_1)
	v_mov_b32_e32 v35, v34
	s_and_saveexec_b32 s65, s2
	s_cbranch_execz .LBB60_469
; %bb.464:                              ;   in Loop: Header=BB60_3 Depth=1
	ds_load_b64 v[34:35], v49 offset:12512
	ds_load_b64 v[36:37], v45 offset:12480
	s_wait_dscnt 0x0
	v_pk_mul_f32 v[38:39], v[36:37], v[34:35] op_sel:[0,1]
	s_delay_alu instid0(VALU_DEP_1) | instskip(SKIP_1) | instid1(VALU_DEP_2)
	v_pk_fma_f32 v[96:97], v[36:37], v[34:35], v[38:39] op_sel:[1,0,0] op_sel_hi:[0,0,1] neg_lo:[0,0,1] neg_hi:[0,0,1]
	v_pk_fma_f32 v[34:35], v[36:37], v[34:35], v[38:39] op_sel:[1,0,0] op_sel_hi:[0,1,1]
	v_mov_b32_e32 v35, v97
	s_delay_alu instid0(VALU_DEP_1)
	v_pk_add_f32 v[34:35], v[34:35], 0 op_sel_hi:[1,0]
	s_and_saveexec_b32 s53, s16
	s_cbranch_execnz .LBB60_1146
; %bb.465:                              ;   in Loop: Header=BB60_3 Depth=1
	s_or_b32 exec_lo, exec_lo, s53
	s_and_saveexec_b32 s53, s17
	s_cbranch_execnz .LBB60_1147
.LBB60_466:                             ;   in Loop: Header=BB60_3 Depth=1
	s_or_b32 exec_lo, exec_lo, s53
	s_and_saveexec_b32 s53, s0
	s_cbranch_execz .LBB60_468
.LBB60_467:                             ;   in Loop: Header=BB60_3 Depth=1
	ds_load_b64 v[36:37], v73 offset:14048
	ds_load_b64 v[38:39], v5 offset:12504
	s_wait_dscnt 0x0
	v_pk_mul_f32 v[96:97], v[38:39], v[36:37] op_sel:[0,1]
	s_delay_alu instid0(VALU_DEP_1) | instskip(SKIP_1) | instid1(VALU_DEP_2)
	v_pk_fma_f32 v[98:99], v[38:39], v[36:37], v[96:97] op_sel:[1,0,0] op_sel_hi:[0,0,1] neg_lo:[0,0,1] neg_hi:[0,0,1]
	v_pk_fma_f32 v[36:37], v[38:39], v[36:37], v[96:97] op_sel:[1,0,0] op_sel_hi:[0,1,1]
	v_mov_b32_e32 v37, v99
	s_delay_alu instid0(VALU_DEP_1)
	v_pk_add_f32 v[34:35], v[34:35], v[36:37]
.LBB60_468:                             ;   in Loop: Header=BB60_3 Depth=1
	s_or_b32 exec_lo, exec_lo, s53
	s_delay_alu instid0(VALU_DEP_1) | instskip(NEXT) | instid1(VALU_DEP_1)
	v_pk_add_f32 v[36:37], v[34:35], 0 neg_lo:[1,1] neg_hi:[1,1]
	v_dual_mov_b32 v34, v37 :: v_dual_mov_b32 v35, v36
.LBB60_469:                             ;   in Loop: Header=BB60_3 Depth=1
	s_or_b32 exec_lo, exec_lo, s65
	s_and_saveexec_b32 s53, s97
	s_cbranch_execz .LBB60_471
; %bb.470:                              ;   in Loop: Header=BB60_3 Depth=1
	ds_load_b64 v[36:37], v5 offset:14560
	v_dual_mov_b32 v38, v35 :: v_dual_mov_b32 v39, v34
	s_wait_dscnt 0x0
	s_delay_alu instid0(VALU_DEP_1) | instskip(NEXT) | instid1(VALU_DEP_1)
	v_dual_mul_f32 v40, v38, v36 :: v_dual_mul_f32 v96, v35, v37
	v_pk_fma_f32 v[38:39], v[38:39], v[36:37], v[40:41] op_sel_hi:[1,1,0]
	s_delay_alu instid0(VALU_DEP_2) | instskip(NEXT) | instid1(VALU_DEP_2)
	v_pk_fma_f32 v[34:35], v[34:35], v[36:37], v[96:97] op_sel_hi:[1,1,0] neg_lo:[0,0,1] neg_hi:[0,0,1]
	v_mov_b32_e32 v35, v39
	ds_store_b64 v48, v[34:35]
.LBB60_471:                             ;   in Loop: Header=BB60_3 Depth=1
	s_or_b32 exec_lo, exec_lo, s53
	s_wait_dscnt 0x0
	s_barrier_signal -1
	s_barrier_wait -1
	s_and_saveexec_b32 s53, s98
	s_cbranch_execz .LBB60_473
; %bb.472:                              ;   in Loop: Header=BB60_3 Depth=1
	ds_load_b64 v[36:37], v46 offset:14560
	ds_load_b64 v[38:39], v48
	s_wait_dscnt 0x0
	v_dual_mul_f32 v40, v39, v37 :: v_dual_mul_f32 v97, v38, v37
	s_delay_alu instid0(VALU_DEP_1) | instskip(NEXT) | instid1(VALU_DEP_1)
	v_dual_fma_f32 v96, v38, v36, -v40 :: v_dual_fmac_f32 v97, v39, v36
	v_pk_add_f32 v[34:35], v[34:35], v[96:97]
.LBB60_473:                             ;   in Loop: Header=BB60_3 Depth=1
	s_or_b32 exec_lo, exec_lo, s53
	s_barrier_signal -1
	s_barrier_wait -1
	s_and_saveexec_b32 s53, s99
	s_cbranch_execz .LBB60_475
; %bb.474:                              ;   in Loop: Header=BB60_3 Depth=1
	ds_load_b64 v[36:37], v5 offset:15080
	s_wait_dscnt 0x0
	v_pk_mul_f32 v[38:39], v[34:35], v[36:37] op_sel:[1,1] op_sel_hi:[1,0]
	s_delay_alu instid0(VALU_DEP_1) | instskip(SKIP_1) | instid1(VALU_DEP_2)
	v_pk_fma_f32 v[96:97], v[34:35], v[36:37], v[38:39] op_sel_hi:[0,1,1]
	v_pk_fma_f32 v[36:37], v[34:35], v[36:37], v[38:39] neg_lo:[0,0,1] neg_hi:[0,0,1]
	v_mov_b32_e32 v37, v97
	s_delay_alu instid0(VALU_DEP_1)
	v_mov_b64_e32 v[34:35], v[36:37]
	ds_store_b64 v48, v[36:37]
.LBB60_475:                             ;   in Loop: Header=BB60_3 Depth=1
	s_or_b32 exec_lo, exec_lo, s53
	s_wait_dscnt 0x0
	s_barrier_signal -1
	s_barrier_wait -1
	s_and_saveexec_b32 s53, s100
	s_cbranch_execz .LBB60_477
; %bb.476:                              ;   in Loop: Header=BB60_3 Depth=1
	ds_load_b64 v[36:37], v46 offset:15072
	ds_load_b64 v[38:39], v48
	s_wait_dscnt 0x0
	v_pk_mul_f32 v[96:97], v[38:39], v[36:37] op_sel:[1,1] op_sel_hi:[0,1]
	s_delay_alu instid0(VALU_DEP_1) | instskip(SKIP_1) | instid1(VALU_DEP_2)
	v_pk_fma_f32 v[98:99], v[38:39], v[36:37], v[96:97] op_sel_hi:[1,0,1]
	v_pk_fma_f32 v[36:37], v[38:39], v[36:37], v[96:97] neg_lo:[0,0,1] neg_hi:[0,0,1]
	v_mov_b32_e32 v37, v99
	s_delay_alu instid0(VALU_DEP_1)
	v_pk_add_f32 v[34:35], v[34:35], v[36:37]
.LBB60_477:                             ;   in Loop: Header=BB60_3 Depth=1
	s_or_b32 exec_lo, exec_lo, s53
	s_barrier_signal -1
	s_barrier_wait -1
	s_and_saveexec_b32 s53, s101
	s_cbranch_execz .LBB60_479
; %bb.478:                              ;   in Loop: Header=BB60_3 Depth=1
	ds_load_b64 v[36:37], v5 offset:15600
	s_wait_dscnt 0x0
	v_pk_mul_f32 v[38:39], v[34:35], v[36:37] op_sel:[1,1] op_sel_hi:[1,0]
	s_delay_alu instid0(VALU_DEP_1) | instskip(SKIP_1) | instid1(VALU_DEP_2)
	v_pk_fma_f32 v[96:97], v[34:35], v[36:37], v[38:39] op_sel_hi:[0,1,1]
	v_pk_fma_f32 v[36:37], v[34:35], v[36:37], v[38:39] neg_lo:[0,0,1] neg_hi:[0,0,1]
	v_mov_b32_e32 v37, v97
	s_delay_alu instid0(VALU_DEP_1)
	v_mov_b64_e32 v[34:35], v[36:37]
	ds_store_b64 v48, v[36:37]
.LBB60_479:                             ;   in Loop: Header=BB60_3 Depth=1
	s_or_b32 exec_lo, exec_lo, s53
	s_wait_dscnt 0x0
	s_barrier_signal -1
	s_barrier_wait -1
	s_and_saveexec_b32 s53, s102
	s_cbranch_execz .LBB60_481
; %bb.480:                              ;   in Loop: Header=BB60_3 Depth=1
	ds_load_b64 v[36:37], v5 offset:15608
	ds_load_b64 v[38:39], v48
	s_wait_dscnt 0x0
	v_pk_mul_f32 v[96:97], v[38:39], v[36:37] op_sel:[1,1] op_sel_hi:[0,1]
	s_delay_alu instid0(VALU_DEP_1) | instskip(SKIP_1) | instid1(VALU_DEP_2)
	v_pk_fma_f32 v[98:99], v[38:39], v[36:37], v[96:97] op_sel_hi:[1,0,1]
	v_pk_fma_f32 v[36:37], v[38:39], v[36:37], v[96:97] neg_lo:[0,0,1] neg_hi:[0,0,1]
	v_mov_b32_e32 v37, v99
	s_delay_alu instid0(VALU_DEP_1)
	v_pk_add_f32 v[34:35], v[34:35], v[36:37]
.LBB60_481:                             ;   in Loop: Header=BB60_3 Depth=1
	s_or_b32 exec_lo, exec_lo, s53
	s_barrier_signal -1
	s_barrier_wait -1
	s_and_saveexec_b32 s53, s102
	s_cbranch_execz .LBB60_483
; %bb.482:                              ;   in Loop: Header=BB60_3 Depth=1
	ds_load_b64 v[36:37], v5 offset:16120
	s_wait_dscnt 0x0
	v_pk_mul_f32 v[38:39], v[34:35], v[36:37] op_sel:[1,1] op_sel_hi:[1,0]
	s_delay_alu instid0(VALU_DEP_1) | instskip(SKIP_1) | instid1(VALU_DEP_2)
	v_pk_fma_f32 v[96:97], v[34:35], v[36:37], v[38:39] op_sel_hi:[0,1,1]
	v_pk_fma_f32 v[36:37], v[34:35], v[36:37], v[38:39] neg_lo:[0,0,1] neg_hi:[0,0,1]
	v_mov_b32_e32 v37, v97
	s_delay_alu instid0(VALU_DEP_1)
	v_mov_b64_e32 v[34:35], v[36:37]
	ds_store_b64 v48, v[36:37]
.LBB60_483:                             ;   in Loop: Header=BB60_3 Depth=1
	s_or_b32 exec_lo, exec_lo, s53
	s_wait_dscnt 0x0
	s_barrier_signal -1
	s_barrier_wait -1
	s_barrier_signal -1
	s_barrier_wait -1
	s_and_saveexec_b32 s53, s2
; %bb.484:                              ;   in Loop: Header=BB60_3 Depth=1
	v_pk_add_f32 v[34:35], v[34:35], 0 neg_lo:[1,1] neg_hi:[1,1]
	ds_store_b64 v49, v[34:35] offset:12512
; %bb.485:                              ;   in Loop: Header=BB60_3 Depth=1
	s_or_b32 exec_lo, exec_lo, s53
	s_wait_dscnt 0x0
	s_barrier_signal -1
	s_barrier_wait -1
	s_barrier_signal -1
	s_barrier_wait -1
	s_and_saveexec_b32 s53, s103
	s_cbranch_execz .LBB60_487
; %bb.486:                              ;   in Loop: Header=BB60_3 Depth=1
	ds_load_b64 v[34:35], v76 offset:12512
	s_wait_dscnt 0x0
	ds_store_b64 v79, v[34:35] offset:14528
	ds_load_b64 v[34:35], v76 offset:12520
	s_wait_dscnt 0x0
	ds_store_b64 v79, v[34:35] offset:15040
	;; [unrolled: 3-line block ×4, first 2 shown]
.LBB60_487:                             ;   in Loop: Header=BB60_3 Depth=1
	s_or_b32 exec_lo, exec_lo, s53
	s_wait_dscnt 0x0
	s_barrier_signal -1
	s_barrier_wait -1
	s_and_saveexec_b32 s53, s14
	s_cbranch_execz .LBB60_489
; %bb.488:                              ;   in Loop: Header=BB60_3 Depth=1
	ds_load_b128 v[34:37], v5 offset:14560
	ds_load_b64 v[38:39], v5 offset:15080
	s_wait_dscnt 0x1
	v_dual_mov_b32 v96, v37 :: v_dual_mov_b32 v97, v36
	s_wait_dscnt 0x0
	v_dual_mul_f32 v95, v39, v35 :: v_dual_mul_f32 v40, v38, v35
	s_delay_alu instid0(VALU_DEP_1) | instskip(NEXT) | instid1(VALU_DEP_1)
	v_xor_b32_e32 v98, 0x80000000, v95
	v_dual_fmac_f32 v40, v39, v34 :: v_dual_fmac_f32 v98, v38, v34
	s_delay_alu instid0(VALU_DEP_1) | instskip(NEXT) | instid1(VALU_DEP_1)
	v_pk_mul_f32 v[34:35], v[40:41], v[96:97] op_sel_hi:[0,1]
	v_pk_fma_f32 v[38:39], v[98:99], v[36:37], v[34:35] op_sel_hi:[0,1,1]
	v_pk_fma_f32 v[34:35], v[98:99], v[36:37], v[34:35] neg_lo:[0,0,1] neg_hi:[0,0,1]
	v_add_nc_u32_e64 v36, 0x3800, 0
	s_delay_alu instid0(VALU_DEP_3)
	v_mov_b32_e32 v35, v39
	ds_store_2addr_b64 v36, v[34:35], v[34:35] offset0:29 offset1:92
.LBB60_489:                             ;   in Loop: Header=BB60_3 Depth=1
	s_or_b32 exec_lo, exec_lo, s53
	v_mov_b32_e32 v35, 0
	s_wait_dscnt 0x0
	s_barrier_signal -1
	s_barrier_wait -1
	s_delay_alu instid0(VALU_DEP_1)
	v_mov_b32_e32 v34, v35
	s_and_saveexec_b32 s53, s0
	s_cbranch_execz .LBB60_493
; %bb.490:                              ;   in Loop: Header=BB60_3 Depth=1
	ds_load_b64 v[34:35], v42 offset:14576
	ds_load_b64 v[36:37], v43 offset:14560
	s_wait_dscnt 0x0
	v_dual_mul_f32 v38, v37, v35 :: v_dual_mul_f32 v39, v36, v35
	s_delay_alu instid0(VALU_DEP_1) | instskip(NEXT) | instid1(VALU_DEP_1)
	v_dual_fma_f32 v38, v36, v34, -v38 :: v_dual_fmac_f32 v39, v37, v34
	v_pk_add_f32 v[34:35], v[38:39], 0 op_sel_hi:[1,0]
	s_and_saveexec_b32 s54, s15
	s_cbranch_execz .LBB60_492
; %bb.491:                              ;   in Loop: Header=BB60_3 Depth=1
	ds_load_b64 v[36:37], v79 offset:15088
	ds_load_b64 v[38:39], v5 offset:14568
	s_wait_dscnt 0x0
	v_pk_mul_f32 v[96:97], v[38:39], v[36:37] op_sel:[1,1] op_sel_hi:[0,1]
	s_delay_alu instid0(VALU_DEP_1) | instskip(SKIP_1) | instid1(VALU_DEP_2)
	v_pk_fma_f32 v[98:99], v[38:39], v[36:37], v[96:97] op_sel_hi:[1,0,1]
	v_pk_fma_f32 v[36:37], v[38:39], v[36:37], v[96:97] neg_lo:[0,0,1] neg_hi:[0,0,1]
	v_mov_b32_e32 v37, v99
	s_delay_alu instid0(VALU_DEP_1)
	v_pk_add_f32 v[34:35], v[34:35], v[36:37]
.LBB60_492:                             ;   in Loop: Header=BB60_3 Depth=1
	s_or_b32 exec_lo, exec_lo, s54
	s_delay_alu instid0(VALU_DEP_1)
	v_pk_add_f32 v[34:35], v[34:35], 0 neg_lo:[1,1] neg_hi:[1,1]
.LBB60_493:                             ;   in Loop: Header=BB60_3 Depth=1
	s_or_b32 exec_lo, exec_lo, s53
	s_and_saveexec_b32 s53, s94
	s_cbranch_execz .LBB60_495
; %bb.494:                              ;   in Loop: Header=BB60_3 Depth=1
	ds_load_b64 v[36:37], v5 offset:15600
	s_wait_dscnt 0x0
	v_pk_mul_f32 v[38:39], v[34:35], v[36:37] op_sel:[1,1] op_sel_hi:[1,0]
	s_delay_alu instid0(VALU_DEP_1) | instskip(SKIP_1) | instid1(VALU_DEP_2)
	v_pk_fma_f32 v[96:97], v[34:35], v[36:37], v[38:39] op_sel_hi:[0,1,1]
	v_pk_fma_f32 v[36:37], v[34:35], v[36:37], v[38:39] neg_lo:[0,0,1] neg_hi:[0,0,1]
	v_mov_b32_e32 v37, v97
	s_delay_alu instid0(VALU_DEP_1)
	v_mov_b64_e32 v[34:35], v[36:37]
	ds_store_b64 v3, v[36:37]
.LBB60_495:                             ;   in Loop: Header=BB60_3 Depth=1
	s_or_b32 exec_lo, exec_lo, s53
	s_wait_dscnt 0x0
	s_barrier_signal -1
	s_barrier_wait -1
	s_and_saveexec_b32 s53, s95
	s_cbranch_execz .LBB60_497
; %bb.496:                              ;   in Loop: Header=BB60_3 Depth=1
	ds_load_b64 v[36:37], v5 offset:15608
	ds_load_b64 v[38:39], v3
	s_wait_dscnt 0x0
	v_pk_mul_f32 v[96:97], v[38:39], v[36:37] op_sel:[1,1] op_sel_hi:[0,1]
	s_delay_alu instid0(VALU_DEP_1) | instskip(SKIP_1) | instid1(VALU_DEP_2)
	v_pk_fma_f32 v[98:99], v[38:39], v[36:37], v[96:97] op_sel_hi:[1,0,1]
	v_pk_fma_f32 v[36:37], v[38:39], v[36:37], v[96:97] neg_lo:[0,0,1] neg_hi:[0,0,1]
	v_mov_b32_e32 v37, v99
	s_delay_alu instid0(VALU_DEP_1)
	v_pk_add_f32 v[34:35], v[34:35], v[36:37]
.LBB60_497:                             ;   in Loop: Header=BB60_3 Depth=1
	s_or_b32 exec_lo, exec_lo, s53
	s_barrier_signal -1
	s_barrier_wait -1
	s_and_saveexec_b32 s53, s95
	s_cbranch_execz .LBB60_499
; %bb.498:                              ;   in Loop: Header=BB60_3 Depth=1
	ds_load_b64 v[36:37], v5 offset:16120
	s_wait_dscnt 0x0
	v_pk_mul_f32 v[38:39], v[34:35], v[36:37] op_sel:[1,1] op_sel_hi:[1,0]
	s_delay_alu instid0(VALU_DEP_1) | instskip(SKIP_1) | instid1(VALU_DEP_2)
	v_pk_fma_f32 v[96:97], v[34:35], v[36:37], v[38:39] op_sel_hi:[0,1,1]
	v_pk_fma_f32 v[36:37], v[34:35], v[36:37], v[38:39] neg_lo:[0,0,1] neg_hi:[0,0,1]
	v_mov_b32_e32 v37, v97
	s_delay_alu instid0(VALU_DEP_1)
	v_mov_b64_e32 v[34:35], v[36:37]
	ds_store_b64 v3, v[36:37]
.LBB60_499:                             ;   in Loop: Header=BB60_3 Depth=1
	s_or_b32 exec_lo, exec_lo, s53
	s_wait_dscnt 0x0
	s_barrier_signal -1
	s_barrier_wait -1
	s_barrier_signal -1
	s_barrier_wait -1
	s_and_saveexec_b32 s53, s0
; %bb.500:                              ;   in Loop: Header=BB60_3 Depth=1
	v_pk_add_f32 v[34:35], v[34:35], 0 neg_lo:[1,1] neg_hi:[1,1]
	ds_store_b64 v42, v[34:35] offset:14576
; %bb.501:                              ;   in Loop: Header=BB60_3 Depth=1
	s_or_b32 exec_lo, exec_lo, s53
	s_wait_dscnt 0x0
	s_barrier_signal -1
	s_barrier_wait -1
	s_barrier_signal -1
	s_barrier_wait -1
	s_and_saveexec_b32 s53, s96
	s_cbranch_execz .LBB60_503
; %bb.502:                              ;   in Loop: Header=BB60_3 Depth=1
	ds_load_b64 v[34:35], v80 offset:14576
	s_wait_dscnt 0x0
	ds_store_b64 v79, v[34:35] offset:15584
	ds_load_b64 v[34:35], v80 offset:14584
	s_wait_dscnt 0x0
	ds_store_b64 v79, v[34:35] offset:16096
.LBB60_503:                             ;   in Loop: Header=BB60_3 Depth=1
	s_or_b32 exec_lo, exec_lo, s53
	s_wait_dscnt 0x0
	s_barrier_signal -1
	s_barrier_wait -1
	s_and_saveexec_b32 s53, s14
	s_cbranch_execz .LBB60_505
; %bb.504:                              ;   in Loop: Header=BB60_3 Depth=1
	ds_load_b128 v[34:37], v5 offset:15600
	ds_load_b64 v[38:39], v5 offset:16120
	s_wait_dscnt 0x1
	v_dual_mov_b32 v96, v37 :: v_dual_mov_b32 v97, v36
	s_wait_dscnt 0x0
	v_dual_mul_f32 v95, v39, v35 :: v_dual_mul_f32 v40, v38, v35
	s_delay_alu instid0(VALU_DEP_1) | instskip(NEXT) | instid1(VALU_DEP_1)
	v_xor_b32_e32 v98, 0x80000000, v95
	v_dual_fmac_f32 v40, v39, v34 :: v_dual_fmac_f32 v98, v38, v34
	s_delay_alu instid0(VALU_DEP_1) | instskip(NEXT) | instid1(VALU_DEP_1)
	v_pk_mul_f32 v[34:35], v[40:41], v[96:97] op_sel_hi:[0,1]
	v_pk_fma_f32 v[38:39], v[98:99], v[36:37], v[34:35] op_sel_hi:[0,1,1]
	v_pk_fma_f32 v[34:35], v[98:99], v[36:37], v[34:35] neg_lo:[0,0,1] neg_hi:[0,0,1]
	v_add_nc_u32_e64 v36, 0x3800, 0
	s_delay_alu instid0(VALU_DEP_3)
	v_mov_b32_e32 v35, v39
	ds_store_2addr_b64 v36, v[34:35], v[34:35] offset0:159 offset1:222
.LBB60_505:                             ;   in Loop: Header=BB60_3 Depth=1
	s_or_b32 exec_lo, exec_lo, s53
	v_mov_b64_e32 v[34:35], 0
	s_wait_dscnt 0x0
	s_barrier_signal -1
	s_barrier_wait -1
	s_and_saveexec_b32 s84, s35
	s_cbranch_execz .LBB60_567
; %bb.506:                              ;   in Loop: Header=BB60_3 Depth=1
	v_dual_add_nc_u32 v37, v83, v68 :: v_dual_add_nc_u32 v36, v68, v67
	ds_load_b64 v[34:35], v37 offset:256
	ds_load_b64 v[38:39], v36
	s_wait_dscnt 0x0
	v_pk_mul_f32 v[96:97], v[38:39], v[34:35] op_sel:[1,1] op_sel_hi:[0,1]
	s_delay_alu instid0(VALU_DEP_1) | instskip(SKIP_1) | instid1(VALU_DEP_2)
	v_pk_fma_f32 v[98:99], v[38:39], v[34:35], v[96:97] op_sel_hi:[1,0,1]
	v_pk_fma_f32 v[34:35], v[38:39], v[34:35], v[96:97] neg_lo:[0,0,1] neg_hi:[0,0,1]
	v_mov_b32_e32 v35, v99
	s_delay_alu instid0(VALU_DEP_1) | instskip(SKIP_3) | instid1(SALU_CYCLE_1)
	v_pk_add_f32 v[34:35], v[34:35], 0 op_sel_hi:[1,0]
	s_mov_b32 s53, exec_lo
	v_readlane_b32 s54, v105, 13
	s_and_b32 s54, s53, s54
	s_mov_b32 exec_lo, s54
	s_cbranch_execz .LBB60_508
; %bb.507:                              ;   in Loop: Header=BB60_3 Depth=1
	ds_load_b64 v[38:39], v37 offset:768
	ds_load_b64 v[96:97], v36 offset:8
	s_wait_dscnt 0x0
	v_pk_mul_f32 v[98:99], v[96:97], v[38:39] op_sel:[1,1] op_sel_hi:[0,1]
	s_delay_alu instid0(VALU_DEP_1) | instskip(SKIP_1) | instid1(VALU_DEP_2)
	v_pk_fma_f32 v[100:101], v[96:97], v[38:39], v[98:99] op_sel_hi:[1,0,1]
	v_pk_fma_f32 v[38:39], v[96:97], v[38:39], v[98:99] neg_lo:[0,0,1] neg_hi:[0,0,1]
	v_mov_b32_e32 v39, v101
	s_delay_alu instid0(VALU_DEP_1)
	v_pk_add_f32 v[34:35], v[34:35], v[38:39]
.LBB60_508:                             ;   in Loop: Header=BB60_3 Depth=1
	s_or_b32 exec_lo, exec_lo, s53
	s_delay_alu instid0(SALU_CYCLE_1) | instskip(SKIP_2) | instid1(SALU_CYCLE_1)
	s_mov_b32 s53, exec_lo
	v_readlane_b32 s54, v105, 14
	s_and_b32 s54, s53, s54
	s_mov_b32 exec_lo, s54
	s_cbranch_execz .LBB60_510
; %bb.509:                              ;   in Loop: Header=BB60_3 Depth=1
	ds_load_b64 v[38:39], v37 offset:1280
	ds_load_b64 v[96:97], v36 offset:16
	s_wait_dscnt 0x0
	v_pk_mul_f32 v[98:99], v[96:97], v[38:39] op_sel:[1,1] op_sel_hi:[0,1]
	s_delay_alu instid0(VALU_DEP_1) | instskip(SKIP_1) | instid1(VALU_DEP_2)
	v_pk_fma_f32 v[100:101], v[96:97], v[38:39], v[98:99] op_sel_hi:[1,0,1]
	v_pk_fma_f32 v[38:39], v[96:97], v[38:39], v[98:99] neg_lo:[0,0,1] neg_hi:[0,0,1]
	v_mov_b32_e32 v39, v101
	s_delay_alu instid0(VALU_DEP_1)
	v_pk_add_f32 v[34:35], v[34:35], v[38:39]
.LBB60_510:                             ;   in Loop: Header=BB60_3 Depth=1
	s_or_b32 exec_lo, exec_lo, s53
	s_delay_alu instid0(SALU_CYCLE_1) | instskip(SKIP_2) | instid1(SALU_CYCLE_1)
	s_mov_b32 s53, exec_lo
	v_readlane_b32 s54, v105, 15
	s_and_b32 s54, s53, s54
	s_mov_b32 exec_lo, s54
	s_cbranch_execz .LBB60_512
; %bb.511:                              ;   in Loop: Header=BB60_3 Depth=1
	ds_load_b64 v[38:39], v37 offset:1792
	ds_load_b64 v[96:97], v36 offset:24
	s_wait_dscnt 0x0
	v_pk_mul_f32 v[98:99], v[96:97], v[38:39] op_sel:[1,1] op_sel_hi:[0,1]
	s_delay_alu instid0(VALU_DEP_1) | instskip(SKIP_1) | instid1(VALU_DEP_2)
	v_pk_fma_f32 v[100:101], v[96:97], v[38:39], v[98:99] op_sel_hi:[1,0,1]
	v_pk_fma_f32 v[38:39], v[96:97], v[38:39], v[98:99] neg_lo:[0,0,1] neg_hi:[0,0,1]
	v_mov_b32_e32 v39, v101
	s_delay_alu instid0(VALU_DEP_1)
	v_pk_add_f32 v[34:35], v[34:35], v[38:39]
.LBB60_512:                             ;   in Loop: Header=BB60_3 Depth=1
	s_or_b32 exec_lo, exec_lo, s53
	s_delay_alu instid0(SALU_CYCLE_1) | instskip(SKIP_2) | instid1(SALU_CYCLE_1)
	s_mov_b32 s53, exec_lo
	v_readlane_b32 s54, v105, 16
	s_and_b32 s54, s53, s54
	s_mov_b32 exec_lo, s54
	s_cbranch_execz .LBB60_514
; %bb.513:                              ;   in Loop: Header=BB60_3 Depth=1
	ds_load_b64 v[38:39], v37 offset:2304
	ds_load_b64 v[96:97], v36 offset:32
	s_wait_dscnt 0x0
	v_pk_mul_f32 v[98:99], v[96:97], v[38:39] op_sel:[1,1] op_sel_hi:[0,1]
	s_delay_alu instid0(VALU_DEP_1) | instskip(SKIP_1) | instid1(VALU_DEP_2)
	v_pk_fma_f32 v[100:101], v[96:97], v[38:39], v[98:99] op_sel_hi:[1,0,1]
	v_pk_fma_f32 v[38:39], v[96:97], v[38:39], v[98:99] neg_lo:[0,0,1] neg_hi:[0,0,1]
	v_mov_b32_e32 v39, v101
	s_delay_alu instid0(VALU_DEP_1)
	v_pk_add_f32 v[34:35], v[34:35], v[38:39]
.LBB60_514:                             ;   in Loop: Header=BB60_3 Depth=1
	s_or_b32 exec_lo, exec_lo, s53
	s_delay_alu instid0(SALU_CYCLE_1) | instskip(SKIP_2) | instid1(SALU_CYCLE_1)
	s_mov_b32 s53, exec_lo
	v_readlane_b32 s54, v105, 17
	s_and_b32 s54, s53, s54
	s_mov_b32 exec_lo, s54
	s_cbranch_execz .LBB60_516
; %bb.515:                              ;   in Loop: Header=BB60_3 Depth=1
	ds_load_b64 v[38:39], v37 offset:2816
	ds_load_b64 v[96:97], v36 offset:40
	s_wait_dscnt 0x0
	v_pk_mul_f32 v[98:99], v[96:97], v[38:39] op_sel:[1,1] op_sel_hi:[0,1]
	s_delay_alu instid0(VALU_DEP_1) | instskip(SKIP_1) | instid1(VALU_DEP_2)
	v_pk_fma_f32 v[100:101], v[96:97], v[38:39], v[98:99] op_sel_hi:[1,0,1]
	v_pk_fma_f32 v[38:39], v[96:97], v[38:39], v[98:99] neg_lo:[0,0,1] neg_hi:[0,0,1]
	v_mov_b32_e32 v39, v101
	s_delay_alu instid0(VALU_DEP_1)
	v_pk_add_f32 v[34:35], v[34:35], v[38:39]
.LBB60_516:                             ;   in Loop: Header=BB60_3 Depth=1
	s_or_b32 exec_lo, exec_lo, s53
	s_delay_alu instid0(SALU_CYCLE_1) | instskip(SKIP_2) | instid1(SALU_CYCLE_1)
	s_mov_b32 s53, exec_lo
	v_readlane_b32 s54, v105, 18
	s_and_b32 s54, s53, s54
	s_mov_b32 exec_lo, s54
	s_cbranch_execz .LBB60_518
; %bb.517:                              ;   in Loop: Header=BB60_3 Depth=1
	ds_load_b64 v[38:39], v37 offset:3328
	ds_load_b64 v[96:97], v36 offset:48
	s_wait_dscnt 0x0
	v_pk_mul_f32 v[98:99], v[96:97], v[38:39] op_sel:[1,1] op_sel_hi:[0,1]
	s_delay_alu instid0(VALU_DEP_1) | instskip(SKIP_1) | instid1(VALU_DEP_2)
	v_pk_fma_f32 v[100:101], v[96:97], v[38:39], v[98:99] op_sel_hi:[1,0,1]
	v_pk_fma_f32 v[38:39], v[96:97], v[38:39], v[98:99] neg_lo:[0,0,1] neg_hi:[0,0,1]
	v_mov_b32_e32 v39, v101
	s_delay_alu instid0(VALU_DEP_1)
	v_pk_add_f32 v[34:35], v[34:35], v[38:39]
.LBB60_518:                             ;   in Loop: Header=BB60_3 Depth=1
	s_or_b32 exec_lo, exec_lo, s53
	s_delay_alu instid0(SALU_CYCLE_1) | instskip(SKIP_2) | instid1(SALU_CYCLE_1)
	s_mov_b32 s53, exec_lo
	v_readlane_b32 s54, v105, 19
	s_and_b32 s54, s53, s54
	s_mov_b32 exec_lo, s54
	s_cbranch_execz .LBB60_520
; %bb.519:                              ;   in Loop: Header=BB60_3 Depth=1
	ds_load_b64 v[38:39], v37 offset:3840
	ds_load_b64 v[96:97], v36 offset:56
	s_wait_dscnt 0x0
	v_pk_mul_f32 v[98:99], v[96:97], v[38:39] op_sel:[1,1] op_sel_hi:[0,1]
	s_delay_alu instid0(VALU_DEP_1) | instskip(SKIP_1) | instid1(VALU_DEP_2)
	v_pk_fma_f32 v[100:101], v[96:97], v[38:39], v[98:99] op_sel_hi:[1,0,1]
	v_pk_fma_f32 v[38:39], v[96:97], v[38:39], v[98:99] neg_lo:[0,0,1] neg_hi:[0,0,1]
	v_mov_b32_e32 v39, v101
	s_delay_alu instid0(VALU_DEP_1)
	v_pk_add_f32 v[34:35], v[34:35], v[38:39]
.LBB60_520:                             ;   in Loop: Header=BB60_3 Depth=1
	s_or_b32 exec_lo, exec_lo, s53
	s_delay_alu instid0(SALU_CYCLE_1) | instskip(SKIP_2) | instid1(SALU_CYCLE_1)
	s_mov_b32 s53, exec_lo
	v_readlane_b32 s54, v105, 20
	s_and_b32 s54, s53, s54
	s_mov_b32 exec_lo, s54
	s_cbranch_execz .LBB60_522
; %bb.521:                              ;   in Loop: Header=BB60_3 Depth=1
	ds_load_b64 v[38:39], v37 offset:4352
	ds_load_b64 v[96:97], v36 offset:64
	s_wait_dscnt 0x0
	v_pk_mul_f32 v[98:99], v[96:97], v[38:39] op_sel:[1,1] op_sel_hi:[0,1]
	s_delay_alu instid0(VALU_DEP_1) | instskip(SKIP_1) | instid1(VALU_DEP_2)
	v_pk_fma_f32 v[100:101], v[96:97], v[38:39], v[98:99] op_sel_hi:[1,0,1]
	v_pk_fma_f32 v[38:39], v[96:97], v[38:39], v[98:99] neg_lo:[0,0,1] neg_hi:[0,0,1]
	v_mov_b32_e32 v39, v101
	s_delay_alu instid0(VALU_DEP_1)
	v_pk_add_f32 v[34:35], v[34:35], v[38:39]
.LBB60_522:                             ;   in Loop: Header=BB60_3 Depth=1
	s_or_b32 exec_lo, exec_lo, s53
	s_delay_alu instid0(SALU_CYCLE_1) | instskip(SKIP_2) | instid1(SALU_CYCLE_1)
	s_mov_b32 s53, exec_lo
	v_readlane_b32 s54, v105, 21
	s_and_b32 s54, s53, s54
	s_mov_b32 exec_lo, s54
	s_cbranch_execz .LBB60_524
; %bb.523:                              ;   in Loop: Header=BB60_3 Depth=1
	ds_load_b64 v[38:39], v37 offset:4864
	ds_load_b64 v[96:97], v36 offset:72
	s_wait_dscnt 0x0
	v_pk_mul_f32 v[98:99], v[96:97], v[38:39] op_sel:[1,1] op_sel_hi:[0,1]
	s_delay_alu instid0(VALU_DEP_1) | instskip(SKIP_1) | instid1(VALU_DEP_2)
	v_pk_fma_f32 v[100:101], v[96:97], v[38:39], v[98:99] op_sel_hi:[1,0,1]
	v_pk_fma_f32 v[38:39], v[96:97], v[38:39], v[98:99] neg_lo:[0,0,1] neg_hi:[0,0,1]
	v_mov_b32_e32 v39, v101
	s_delay_alu instid0(VALU_DEP_1)
	v_pk_add_f32 v[34:35], v[34:35], v[38:39]
.LBB60_524:                             ;   in Loop: Header=BB60_3 Depth=1
	s_or_b32 exec_lo, exec_lo, s53
	s_delay_alu instid0(SALU_CYCLE_1) | instskip(SKIP_2) | instid1(SALU_CYCLE_1)
	s_mov_b32 s53, exec_lo
	v_readlane_b32 s54, v105, 22
	s_and_b32 s54, s53, s54
	s_mov_b32 exec_lo, s54
	s_cbranch_execz .LBB60_526
; %bb.525:                              ;   in Loop: Header=BB60_3 Depth=1
	ds_load_b64 v[38:39], v37 offset:5376
	ds_load_b64 v[96:97], v36 offset:80
	s_wait_dscnt 0x0
	v_pk_mul_f32 v[98:99], v[96:97], v[38:39] op_sel:[1,1] op_sel_hi:[0,1]
	s_delay_alu instid0(VALU_DEP_1) | instskip(SKIP_1) | instid1(VALU_DEP_2)
	v_pk_fma_f32 v[100:101], v[96:97], v[38:39], v[98:99] op_sel_hi:[1,0,1]
	v_pk_fma_f32 v[38:39], v[96:97], v[38:39], v[98:99] neg_lo:[0,0,1] neg_hi:[0,0,1]
	v_mov_b32_e32 v39, v101
	s_delay_alu instid0(VALU_DEP_1)
	v_pk_add_f32 v[34:35], v[34:35], v[38:39]
.LBB60_526:                             ;   in Loop: Header=BB60_3 Depth=1
	s_or_b32 exec_lo, exec_lo, s53
	s_delay_alu instid0(SALU_CYCLE_1) | instskip(SKIP_2) | instid1(SALU_CYCLE_1)
	s_mov_b32 s53, exec_lo
	v_readlane_b32 s54, v105, 23
	s_and_b32 s54, s53, s54
	s_mov_b32 exec_lo, s54
	s_cbranch_execz .LBB60_528
; %bb.527:                              ;   in Loop: Header=BB60_3 Depth=1
	ds_load_b64 v[38:39], v37 offset:5888
	ds_load_b64 v[96:97], v36 offset:88
	s_wait_dscnt 0x0
	v_pk_mul_f32 v[98:99], v[96:97], v[38:39] op_sel:[1,1] op_sel_hi:[0,1]
	s_delay_alu instid0(VALU_DEP_1) | instskip(SKIP_1) | instid1(VALU_DEP_2)
	v_pk_fma_f32 v[100:101], v[96:97], v[38:39], v[98:99] op_sel_hi:[1,0,1]
	v_pk_fma_f32 v[38:39], v[96:97], v[38:39], v[98:99] neg_lo:[0,0,1] neg_hi:[0,0,1]
	v_mov_b32_e32 v39, v101
	s_delay_alu instid0(VALU_DEP_1)
	v_pk_add_f32 v[34:35], v[34:35], v[38:39]
.LBB60_528:                             ;   in Loop: Header=BB60_3 Depth=1
	s_or_b32 exec_lo, exec_lo, s53
	s_delay_alu instid0(SALU_CYCLE_1) | instskip(SKIP_2) | instid1(SALU_CYCLE_1)
	s_mov_b32 s53, exec_lo
	v_readlane_b32 s54, v105, 24
	s_and_b32 s54, s53, s54
	s_mov_b32 exec_lo, s54
	s_cbranch_execz .LBB60_530
; %bb.529:                              ;   in Loop: Header=BB60_3 Depth=1
	ds_load_b64 v[38:39], v37 offset:6400
	ds_load_b64 v[96:97], v36 offset:96
	s_wait_dscnt 0x0
	v_pk_mul_f32 v[98:99], v[96:97], v[38:39] op_sel:[1,1] op_sel_hi:[0,1]
	s_delay_alu instid0(VALU_DEP_1) | instskip(SKIP_1) | instid1(VALU_DEP_2)
	v_pk_fma_f32 v[100:101], v[96:97], v[38:39], v[98:99] op_sel_hi:[1,0,1]
	v_pk_fma_f32 v[38:39], v[96:97], v[38:39], v[98:99] neg_lo:[0,0,1] neg_hi:[0,0,1]
	v_mov_b32_e32 v39, v101
	s_delay_alu instid0(VALU_DEP_1)
	v_pk_add_f32 v[34:35], v[34:35], v[38:39]
.LBB60_530:                             ;   in Loop: Header=BB60_3 Depth=1
	s_or_b32 exec_lo, exec_lo, s53
	s_delay_alu instid0(SALU_CYCLE_1) | instskip(SKIP_2) | instid1(SALU_CYCLE_1)
	s_mov_b32 s53, exec_lo
	v_readlane_b32 s54, v105, 25
	s_and_b32 s54, s53, s54
	s_mov_b32 exec_lo, s54
	s_cbranch_execz .LBB60_532
; %bb.531:                              ;   in Loop: Header=BB60_3 Depth=1
	ds_load_b64 v[38:39], v37 offset:6912
	ds_load_b64 v[96:97], v36 offset:104
	s_wait_dscnt 0x0
	v_pk_mul_f32 v[98:99], v[96:97], v[38:39] op_sel:[1,1] op_sel_hi:[0,1]
	s_delay_alu instid0(VALU_DEP_1) | instskip(SKIP_1) | instid1(VALU_DEP_2)
	v_pk_fma_f32 v[100:101], v[96:97], v[38:39], v[98:99] op_sel_hi:[1,0,1]
	v_pk_fma_f32 v[38:39], v[96:97], v[38:39], v[98:99] neg_lo:[0,0,1] neg_hi:[0,0,1]
	v_mov_b32_e32 v39, v101
	s_delay_alu instid0(VALU_DEP_1)
	v_pk_add_f32 v[34:35], v[34:35], v[38:39]
.LBB60_532:                             ;   in Loop: Header=BB60_3 Depth=1
	s_or_b32 exec_lo, exec_lo, s53
	s_delay_alu instid0(SALU_CYCLE_1) | instskip(SKIP_2) | instid1(SALU_CYCLE_1)
	s_mov_b32 s53, exec_lo
	v_readlane_b32 s54, v105, 26
	s_and_b32 s54, s53, s54
	s_mov_b32 exec_lo, s54
	s_cbranch_execz .LBB60_534
; %bb.533:                              ;   in Loop: Header=BB60_3 Depth=1
	ds_load_b64 v[38:39], v37 offset:7424
	ds_load_b64 v[96:97], v36 offset:112
	s_wait_dscnt 0x0
	v_pk_mul_f32 v[98:99], v[96:97], v[38:39] op_sel:[1,1] op_sel_hi:[0,1]
	s_delay_alu instid0(VALU_DEP_1) | instskip(SKIP_1) | instid1(VALU_DEP_2)
	v_pk_fma_f32 v[100:101], v[96:97], v[38:39], v[98:99] op_sel_hi:[1,0,1]
	v_pk_fma_f32 v[38:39], v[96:97], v[38:39], v[98:99] neg_lo:[0,0,1] neg_hi:[0,0,1]
	v_mov_b32_e32 v39, v101
	s_delay_alu instid0(VALU_DEP_1)
	v_pk_add_f32 v[34:35], v[34:35], v[38:39]
.LBB60_534:                             ;   in Loop: Header=BB60_3 Depth=1
	s_or_b32 exec_lo, exec_lo, s53
	s_delay_alu instid0(SALU_CYCLE_1) | instskip(SKIP_2) | instid1(SALU_CYCLE_1)
	s_mov_b32 s53, exec_lo
	v_readlane_b32 s54, v105, 27
	s_and_b32 s54, s53, s54
	s_mov_b32 exec_lo, s54
	s_cbranch_execz .LBB60_536
; %bb.535:                              ;   in Loop: Header=BB60_3 Depth=1
	ds_load_b64 v[38:39], v37 offset:7936
	ds_load_b64 v[96:97], v36 offset:120
	s_wait_dscnt 0x0
	v_pk_mul_f32 v[98:99], v[96:97], v[38:39] op_sel:[1,1] op_sel_hi:[0,1]
	s_delay_alu instid0(VALU_DEP_1) | instskip(SKIP_1) | instid1(VALU_DEP_2)
	v_pk_fma_f32 v[100:101], v[96:97], v[38:39], v[98:99] op_sel_hi:[1,0,1]
	v_pk_fma_f32 v[38:39], v[96:97], v[38:39], v[98:99] neg_lo:[0,0,1] neg_hi:[0,0,1]
	v_mov_b32_e32 v39, v101
	s_delay_alu instid0(VALU_DEP_1)
	v_pk_add_f32 v[34:35], v[34:35], v[38:39]
.LBB60_536:                             ;   in Loop: Header=BB60_3 Depth=1
	s_or_b32 exec_lo, exec_lo, s53
	s_delay_alu instid0(SALU_CYCLE_1) | instskip(SKIP_2) | instid1(SALU_CYCLE_1)
	s_mov_b32 s53, exec_lo
	v_readlane_b32 s54, v105, 28
	s_and_b32 s54, s53, s54
	s_mov_b32 exec_lo, s54
	s_cbranch_execz .LBB60_538
; %bb.537:                              ;   in Loop: Header=BB60_3 Depth=1
	ds_load_b64 v[38:39], v37 offset:8448
	ds_load_b64 v[96:97], v36 offset:128
	s_wait_dscnt 0x0
	v_pk_mul_f32 v[98:99], v[96:97], v[38:39] op_sel:[1,1] op_sel_hi:[0,1]
	s_delay_alu instid0(VALU_DEP_1) | instskip(SKIP_1) | instid1(VALU_DEP_2)
	v_pk_fma_f32 v[100:101], v[96:97], v[38:39], v[98:99] op_sel_hi:[1,0,1]
	v_pk_fma_f32 v[38:39], v[96:97], v[38:39], v[98:99] neg_lo:[0,0,1] neg_hi:[0,0,1]
	v_mov_b32_e32 v39, v101
	s_delay_alu instid0(VALU_DEP_1)
	v_pk_add_f32 v[34:35], v[34:35], v[38:39]
.LBB60_538:                             ;   in Loop: Header=BB60_3 Depth=1
	s_or_b32 exec_lo, exec_lo, s53
	s_delay_alu instid0(SALU_CYCLE_1) | instskip(SKIP_2) | instid1(SALU_CYCLE_1)
	s_mov_b32 s53, exec_lo
	v_readlane_b32 s54, v105, 29
	s_and_b32 s54, s53, s54
	s_mov_b32 exec_lo, s54
	s_cbranch_execz .LBB60_540
; %bb.539:                              ;   in Loop: Header=BB60_3 Depth=1
	ds_load_b64 v[38:39], v37 offset:8960
	ds_load_b64 v[96:97], v36 offset:136
	s_wait_dscnt 0x0
	v_pk_mul_f32 v[98:99], v[96:97], v[38:39] op_sel:[1,1] op_sel_hi:[0,1]
	s_delay_alu instid0(VALU_DEP_1) | instskip(SKIP_1) | instid1(VALU_DEP_2)
	v_pk_fma_f32 v[100:101], v[96:97], v[38:39], v[98:99] op_sel_hi:[1,0,1]
	v_pk_fma_f32 v[38:39], v[96:97], v[38:39], v[98:99] neg_lo:[0,0,1] neg_hi:[0,0,1]
	v_mov_b32_e32 v39, v101
	s_delay_alu instid0(VALU_DEP_1)
	v_pk_add_f32 v[34:35], v[34:35], v[38:39]
.LBB60_540:                             ;   in Loop: Header=BB60_3 Depth=1
	s_or_b32 exec_lo, exec_lo, s53
	s_delay_alu instid0(SALU_CYCLE_1) | instskip(SKIP_2) | instid1(SALU_CYCLE_1)
	s_mov_b32 s53, exec_lo
	v_readlane_b32 s54, v105, 30
	s_and_b32 s54, s53, s54
	s_mov_b32 exec_lo, s54
	s_cbranch_execz .LBB60_542
; %bb.541:                              ;   in Loop: Header=BB60_3 Depth=1
	ds_load_b64 v[38:39], v37 offset:9472
	ds_load_b64 v[96:97], v36 offset:144
	s_wait_dscnt 0x0
	v_pk_mul_f32 v[98:99], v[96:97], v[38:39] op_sel:[1,1] op_sel_hi:[0,1]
	s_delay_alu instid0(VALU_DEP_1) | instskip(SKIP_1) | instid1(VALU_DEP_2)
	v_pk_fma_f32 v[100:101], v[96:97], v[38:39], v[98:99] op_sel_hi:[1,0,1]
	v_pk_fma_f32 v[38:39], v[96:97], v[38:39], v[98:99] neg_lo:[0,0,1] neg_hi:[0,0,1]
	v_mov_b32_e32 v39, v101
	s_delay_alu instid0(VALU_DEP_1)
	v_pk_add_f32 v[34:35], v[34:35], v[38:39]
.LBB60_542:                             ;   in Loop: Header=BB60_3 Depth=1
	s_or_b32 exec_lo, exec_lo, s53
	s_delay_alu instid0(SALU_CYCLE_1) | instskip(SKIP_2) | instid1(SALU_CYCLE_1)
	s_mov_b32 s53, exec_lo
	v_readlane_b32 s54, v105, 31
	s_and_b32 s54, s53, s54
	s_mov_b32 exec_lo, s54
	s_cbranch_execz .LBB60_544
; %bb.543:                              ;   in Loop: Header=BB60_3 Depth=1
	ds_load_b64 v[38:39], v37 offset:9984
	ds_load_b64 v[96:97], v36 offset:152
	s_wait_dscnt 0x0
	v_pk_mul_f32 v[98:99], v[96:97], v[38:39] op_sel:[1,1] op_sel_hi:[0,1]
	s_delay_alu instid0(VALU_DEP_1) | instskip(SKIP_1) | instid1(VALU_DEP_2)
	v_pk_fma_f32 v[100:101], v[96:97], v[38:39], v[98:99] op_sel_hi:[1,0,1]
	v_pk_fma_f32 v[38:39], v[96:97], v[38:39], v[98:99] neg_lo:[0,0,1] neg_hi:[0,0,1]
	v_mov_b32_e32 v39, v101
	s_delay_alu instid0(VALU_DEP_1)
	v_pk_add_f32 v[34:35], v[34:35], v[38:39]
.LBB60_544:                             ;   in Loop: Header=BB60_3 Depth=1
	s_or_b32 exec_lo, exec_lo, s53
	s_delay_alu instid0(SALU_CYCLE_1) | instskip(SKIP_2) | instid1(SALU_CYCLE_1)
	s_mov_b32 s53, exec_lo
	v_readlane_b32 s54, v104, 0
	s_and_b32 s54, s53, s54
	s_mov_b32 exec_lo, s54
	s_cbranch_execz .LBB60_546
; %bb.545:                              ;   in Loop: Header=BB60_3 Depth=1
	ds_load_b64 v[38:39], v37 offset:10496
	ds_load_b64 v[96:97], v36 offset:160
	s_wait_dscnt 0x0
	v_pk_mul_f32 v[98:99], v[96:97], v[38:39] op_sel:[1,1] op_sel_hi:[0,1]
	s_delay_alu instid0(VALU_DEP_1) | instskip(SKIP_1) | instid1(VALU_DEP_2)
	v_pk_fma_f32 v[100:101], v[96:97], v[38:39], v[98:99] op_sel_hi:[1,0,1]
	v_pk_fma_f32 v[38:39], v[96:97], v[38:39], v[98:99] neg_lo:[0,0,1] neg_hi:[0,0,1]
	v_mov_b32_e32 v39, v101
	s_delay_alu instid0(VALU_DEP_1)
	v_pk_add_f32 v[34:35], v[34:35], v[38:39]
.LBB60_546:                             ;   in Loop: Header=BB60_3 Depth=1
	s_or_b32 exec_lo, exec_lo, s53
	s_delay_alu instid0(SALU_CYCLE_1) | instskip(SKIP_2) | instid1(SALU_CYCLE_1)
	s_mov_b32 s53, exec_lo
	v_readlane_b32 s54, v104, 1
	s_and_b32 s54, s53, s54
	s_mov_b32 exec_lo, s54
	s_cbranch_execz .LBB60_548
; %bb.547:                              ;   in Loop: Header=BB60_3 Depth=1
	ds_load_b64 v[38:39], v37 offset:11008
	ds_load_b64 v[96:97], v36 offset:168
	s_wait_dscnt 0x0
	v_pk_mul_f32 v[98:99], v[96:97], v[38:39] op_sel:[1,1] op_sel_hi:[0,1]
	s_delay_alu instid0(VALU_DEP_1) | instskip(SKIP_1) | instid1(VALU_DEP_2)
	v_pk_fma_f32 v[100:101], v[96:97], v[38:39], v[98:99] op_sel_hi:[1,0,1]
	v_pk_fma_f32 v[38:39], v[96:97], v[38:39], v[98:99] neg_lo:[0,0,1] neg_hi:[0,0,1]
	v_mov_b32_e32 v39, v101
	s_delay_alu instid0(VALU_DEP_1)
	v_pk_add_f32 v[34:35], v[34:35], v[38:39]
.LBB60_548:                             ;   in Loop: Header=BB60_3 Depth=1
	s_or_b32 exec_lo, exec_lo, s53
	s_delay_alu instid0(SALU_CYCLE_1) | instskip(SKIP_2) | instid1(SALU_CYCLE_1)
	s_mov_b32 s53, exec_lo
	v_readlane_b32 s54, v104, 2
	s_and_b32 s54, s53, s54
	s_mov_b32 exec_lo, s54
	s_cbranch_execz .LBB60_550
; %bb.549:                              ;   in Loop: Header=BB60_3 Depth=1
	ds_load_b64 v[38:39], v37 offset:11520
	ds_load_b64 v[96:97], v36 offset:176
	s_wait_dscnt 0x0
	v_pk_mul_f32 v[98:99], v[96:97], v[38:39] op_sel:[1,1] op_sel_hi:[0,1]
	s_delay_alu instid0(VALU_DEP_1) | instskip(SKIP_1) | instid1(VALU_DEP_2)
	v_pk_fma_f32 v[100:101], v[96:97], v[38:39], v[98:99] op_sel_hi:[1,0,1]
	v_pk_fma_f32 v[38:39], v[96:97], v[38:39], v[98:99] neg_lo:[0,0,1] neg_hi:[0,0,1]
	v_mov_b32_e32 v39, v101
	s_delay_alu instid0(VALU_DEP_1)
	v_pk_add_f32 v[34:35], v[34:35], v[38:39]
.LBB60_550:                             ;   in Loop: Header=BB60_3 Depth=1
	s_or_b32 exec_lo, exec_lo, s53
	s_delay_alu instid0(SALU_CYCLE_1) | instskip(SKIP_2) | instid1(SALU_CYCLE_1)
	s_mov_b32 s53, exec_lo
	v_readlane_b32 s54, v104, 3
	s_and_b32 s54, s53, s54
	s_mov_b32 exec_lo, s54
	s_cbranch_execz .LBB60_552
; %bb.551:                              ;   in Loop: Header=BB60_3 Depth=1
	ds_load_b64 v[38:39], v37 offset:12032
	ds_load_b64 v[96:97], v36 offset:184
	s_wait_dscnt 0x0
	v_pk_mul_f32 v[98:99], v[96:97], v[38:39] op_sel:[1,1] op_sel_hi:[0,1]
	s_delay_alu instid0(VALU_DEP_1) | instskip(SKIP_1) | instid1(VALU_DEP_2)
	v_pk_fma_f32 v[100:101], v[96:97], v[38:39], v[98:99] op_sel_hi:[1,0,1]
	v_pk_fma_f32 v[38:39], v[96:97], v[38:39], v[98:99] neg_lo:[0,0,1] neg_hi:[0,0,1]
	v_mov_b32_e32 v39, v101
	s_delay_alu instid0(VALU_DEP_1)
	v_pk_add_f32 v[34:35], v[34:35], v[38:39]
.LBB60_552:                             ;   in Loop: Header=BB60_3 Depth=1
	s_or_b32 exec_lo, exec_lo, s53
	s_and_saveexec_b32 s53, s4
	s_cbranch_execz .LBB60_554
; %bb.553:                              ;   in Loop: Header=BB60_3 Depth=1
	ds_load_b64 v[38:39], v37 offset:12544
	ds_load_b64 v[96:97], v36 offset:192
	s_wait_dscnt 0x0
	v_pk_mul_f32 v[98:99], v[96:97], v[38:39] op_sel:[1,1] op_sel_hi:[0,1]
	s_delay_alu instid0(VALU_DEP_1) | instskip(SKIP_1) | instid1(VALU_DEP_2)
	v_pk_fma_f32 v[100:101], v[96:97], v[38:39], v[98:99] op_sel_hi:[1,0,1]
	v_pk_fma_f32 v[38:39], v[96:97], v[38:39], v[98:99] neg_lo:[0,0,1] neg_hi:[0,0,1]
	v_mov_b32_e32 v39, v101
	s_delay_alu instid0(VALU_DEP_1)
	v_pk_add_f32 v[34:35], v[34:35], v[38:39]
.LBB60_554:                             ;   in Loop: Header=BB60_3 Depth=1
	s_or_b32 exec_lo, exec_lo, s53
	s_delay_alu instid0(SALU_CYCLE_1) | instskip(SKIP_2) | instid1(SALU_CYCLE_1)
	s_mov_b32 s53, exec_lo
	v_readlane_b32 s54, v106, 31
	s_and_b32 s54, s53, s54
	s_mov_b32 exec_lo, s54
	s_cbranch_execz .LBB60_556
; %bb.555:                              ;   in Loop: Header=BB60_3 Depth=1
	ds_load_b64 v[38:39], v37 offset:13056
	ds_load_b64 v[96:97], v36 offset:200
	s_wait_dscnt 0x0
	v_pk_mul_f32 v[98:99], v[96:97], v[38:39] op_sel:[1,1] op_sel_hi:[0,1]
	s_delay_alu instid0(VALU_DEP_1) | instskip(SKIP_1) | instid1(VALU_DEP_2)
	v_pk_fma_f32 v[100:101], v[96:97], v[38:39], v[98:99] op_sel_hi:[1,0,1]
	v_pk_fma_f32 v[38:39], v[96:97], v[38:39], v[98:99] neg_lo:[0,0,1] neg_hi:[0,0,1]
	v_mov_b32_e32 v39, v101
	s_delay_alu instid0(VALU_DEP_1)
	v_pk_add_f32 v[34:35], v[34:35], v[38:39]
.LBB60_556:                             ;   in Loop: Header=BB60_3 Depth=1
	s_or_b32 exec_lo, exec_lo, s53
	s_delay_alu instid0(SALU_CYCLE_1) | instskip(SKIP_2) | instid1(SALU_CYCLE_1)
	s_mov_b32 s53, exec_lo
	v_readlane_b32 s54, v105, 1
	s_and_b32 s54, s53, s54
	s_mov_b32 exec_lo, s54
	s_cbranch_execz .LBB60_558
; %bb.557:                              ;   in Loop: Header=BB60_3 Depth=1
	ds_load_b64 v[38:39], v37 offset:13568
	ds_load_b64 v[96:97], v36 offset:208
	s_wait_dscnt 0x0
	v_pk_mul_f32 v[98:99], v[96:97], v[38:39] op_sel:[1,1] op_sel_hi:[0,1]
	s_delay_alu instid0(VALU_DEP_1) | instskip(SKIP_1) | instid1(VALU_DEP_2)
	v_pk_fma_f32 v[100:101], v[96:97], v[38:39], v[98:99] op_sel_hi:[1,0,1]
	v_pk_fma_f32 v[38:39], v[96:97], v[38:39], v[98:99] neg_lo:[0,0,1] neg_hi:[0,0,1]
	v_mov_b32_e32 v39, v101
	s_delay_alu instid0(VALU_DEP_1)
	v_pk_add_f32 v[34:35], v[34:35], v[38:39]
.LBB60_558:                             ;   in Loop: Header=BB60_3 Depth=1
	s_or_b32 exec_lo, exec_lo, s53
	s_delay_alu instid0(SALU_CYCLE_1) | instskip(SKIP_2) | instid1(SALU_CYCLE_1)
	s_mov_b32 s53, exec_lo
	v_readlane_b32 s54, v105, 3
	s_and_b32 s54, s53, s54
	s_mov_b32 exec_lo, s54
	s_cbranch_execz .LBB60_560
; %bb.559:                              ;   in Loop: Header=BB60_3 Depth=1
	ds_load_b64 v[38:39], v37 offset:14080
	ds_load_b64 v[96:97], v36 offset:216
	s_wait_dscnt 0x0
	v_pk_mul_f32 v[98:99], v[96:97], v[38:39] op_sel:[1,1] op_sel_hi:[0,1]
	s_delay_alu instid0(VALU_DEP_1) | instskip(SKIP_1) | instid1(VALU_DEP_2)
	v_pk_fma_f32 v[100:101], v[96:97], v[38:39], v[98:99] op_sel_hi:[1,0,1]
	v_pk_fma_f32 v[38:39], v[96:97], v[38:39], v[98:99] neg_lo:[0,0,1] neg_hi:[0,0,1]
	v_mov_b32_e32 v39, v101
	s_delay_alu instid0(VALU_DEP_1)
	v_pk_add_f32 v[34:35], v[34:35], v[38:39]
.LBB60_560:                             ;   in Loop: Header=BB60_3 Depth=1
	s_or_b32 exec_lo, exec_lo, s53
	s_delay_alu instid0(SALU_CYCLE_1) | instskip(SKIP_2) | instid1(SALU_CYCLE_1)
	s_mov_b32 s53, exec_lo
	v_readlane_b32 s54, v105, 5
	s_and_b32 s54, s53, s54
	s_mov_b32 exec_lo, s54
	s_cbranch_execz .LBB60_562
; %bb.561:                              ;   in Loop: Header=BB60_3 Depth=1
	ds_load_b64 v[38:39], v37 offset:14592
	ds_load_b64 v[96:97], v36 offset:224
	s_wait_dscnt 0x0
	v_pk_mul_f32 v[98:99], v[96:97], v[38:39] op_sel:[1,1] op_sel_hi:[0,1]
	s_delay_alu instid0(VALU_DEP_1) | instskip(SKIP_1) | instid1(VALU_DEP_2)
	v_pk_fma_f32 v[100:101], v[96:97], v[38:39], v[98:99] op_sel_hi:[1,0,1]
	v_pk_fma_f32 v[38:39], v[96:97], v[38:39], v[98:99] neg_lo:[0,0,1] neg_hi:[0,0,1]
	v_mov_b32_e32 v39, v101
	s_delay_alu instid0(VALU_DEP_1)
	v_pk_add_f32 v[34:35], v[34:35], v[38:39]
.LBB60_562:                             ;   in Loop: Header=BB60_3 Depth=1
	s_or_b32 exec_lo, exec_lo, s53
	s_delay_alu instid0(SALU_CYCLE_1) | instskip(SKIP_2) | instid1(SALU_CYCLE_1)
	s_mov_b32 s53, exec_lo
	v_readlane_b32 s54, v105, 7
	s_and_b32 s54, s53, s54
	s_mov_b32 exec_lo, s54
	s_cbranch_execnz .LBB60_1148
; %bb.563:                              ;   in Loop: Header=BB60_3 Depth=1
	s_or_b32 exec_lo, exec_lo, s53
	s_and_saveexec_b32 s53, s3
	s_cbranch_execnz .LBB60_1149
.LBB60_564:                             ;   in Loop: Header=BB60_3 Depth=1
	s_or_b32 exec_lo, exec_lo, s53
	s_and_saveexec_b32 s53, s21
	s_cbranch_execz .LBB60_566
.LBB60_565:                             ;   in Loop: Header=BB60_3 Depth=1
	ds_load_b64 v[38:39], v83 offset:16128
	ds_load_b64 v[36:37], v36 offset:248
	s_wait_dscnt 0x0
	v_pk_mul_f32 v[96:97], v[36:37], v[38:39] op_sel:[1,1] op_sel_hi:[0,1]
	s_delay_alu instid0(VALU_DEP_1) | instskip(SKIP_1) | instid1(VALU_DEP_2)
	v_pk_fma_f32 v[98:99], v[36:37], v[38:39], v[96:97] op_sel_hi:[1,0,1]
	v_pk_fma_f32 v[36:37], v[36:37], v[38:39], v[96:97] neg_lo:[0,0,1] neg_hi:[0,0,1]
	v_mov_b32_e32 v37, v99
	s_delay_alu instid0(VALU_DEP_1)
	v_pk_add_f32 v[34:35], v[34:35], v[36:37]
.LBB60_566:                             ;   in Loop: Header=BB60_3 Depth=1
	s_or_b32 exec_lo, exec_lo, s53
	s_delay_alu instid0(VALU_DEP_1)
	v_pk_add_f32 v[34:35], v[34:35], 0 neg_lo:[1,1] neg_hi:[1,1]
.LBB60_567:                             ;   in Loop: Header=BB60_3 Depth=1
	s_or_b32 exec_lo, exec_lo, s84
	v_dual_mov_b32 v36, v66 :: v_dual_mov_b32 v37, v93
	s_mov_b32 s65, 0
	s_branch .LBB60_569
.LBB60_568:                             ;   in Loop: Header=BB60_569 Depth=2
	s_or_b32 exec_lo, exec_lo, s53
	v_add_nc_u32_e32 v37, 0x400, v37
	v_add_nc_u32_e32 v36, -2, v36
	s_add_co_i32 s65, s65, 2
	s_delay_alu instid0(SALU_CYCLE_1)
	s_cmp_eq_u32 s65, 32
	s_barrier_signal -1
	s_barrier_wait -1
	s_cbranch_scc1 .LBB60_577
.LBB60_569:                             ;   Parent Loop BB60_3 Depth=1
                                        ; =>  This Inner Loop Header: Depth=2
	s_delay_alu instid0(VALU_DEP_1) | instskip(SKIP_1) | instid1(SALU_CYCLE_1)
	v_cmp_eq_u32_e32 vcc_lo, 0, v36
	s_and_b32 s54, s64, vcc_lo
	s_and_saveexec_b32 s53, s54
	s_cbranch_execz .LBB60_571
; %bb.570:                              ;   in Loop: Header=BB60_569 Depth=2
	ds_load_b64 v[38:39], v90 offset:16640
	s_wait_dscnt 0x0
	v_pk_mul_f32 v[96:97], v[34:35], v[38:39] op_sel:[1,1] op_sel_hi:[1,0]
	s_delay_alu instid0(VALU_DEP_1) | instskip(SKIP_1) | instid1(VALU_DEP_2)
	v_pk_fma_f32 v[98:99], v[34:35], v[38:39], v[96:97] op_sel_hi:[0,1,1]
	v_pk_fma_f32 v[38:39], v[34:35], v[38:39], v[96:97] neg_lo:[0,0,1] neg_hi:[0,0,1]
	v_mov_b32_e32 v39, v99
	s_delay_alu instid0(VALU_DEP_1)
	v_mov_b64_e32 v[34:35], v[38:39]
	ds_store_b64 v84, v[38:39]
.LBB60_571:                             ;   in Loop: Header=BB60_569 Depth=2
	s_or_b32 exec_lo, exec_lo, s53
	v_cmp_lt_u32_e32 vcc_lo, s65, v66
	s_wait_dscnt 0x0
	s_barrier_signal -1
	s_barrier_wait -1
	s_and_b32 s54, s64, vcc_lo
	s_delay_alu instid0(SALU_CYCLE_1)
	s_and_saveexec_b32 s53, s54
	s_cbranch_execz .LBB60_573
; %bb.572:                              ;   in Loop: Header=BB60_569 Depth=2
	ds_load_b64 v[38:39], v37
	ds_load_b64 v[96:97], v84
	s_wait_dscnt 0x0
	v_pk_mul_f32 v[98:99], v[96:97], v[38:39] op_sel:[1,1] op_sel_hi:[0,1]
	s_delay_alu instid0(VALU_DEP_1) | instskip(SKIP_1) | instid1(VALU_DEP_2)
	v_pk_fma_f32 v[100:101], v[96:97], v[38:39], v[98:99] op_sel_hi:[1,0,1]
	v_pk_fma_f32 v[38:39], v[96:97], v[38:39], v[98:99] neg_lo:[0,0,1] neg_hi:[0,0,1]
	v_mov_b32_e32 v39, v101
	s_delay_alu instid0(VALU_DEP_1)
	v_pk_add_f32 v[34:35], v[34:35], v[38:39]
.LBB60_573:                             ;   in Loop: Header=BB60_569 Depth=2
	s_or_b32 exec_lo, exec_lo, s53
	s_or_b32 s53, s65, 1
	s_delay_alu instid0(SALU_CYCLE_1) | instskip(SKIP_3) | instid1(SALU_CYCLE_1)
	v_cmp_eq_u32_e32 vcc_lo, s53, v66
	s_barrier_signal -1
	s_barrier_wait -1
	s_and_b32 s55, s64, vcc_lo
	s_and_saveexec_b32 s54, s55
	s_cbranch_execz .LBB60_575
; %bb.574:                              ;   in Loop: Header=BB60_569 Depth=2
	ds_load_b64 v[38:39], v90 offset:16640
	s_wait_dscnt 0x0
	v_pk_mul_f32 v[96:97], v[34:35], v[38:39] op_sel:[1,1] op_sel_hi:[1,0]
	s_delay_alu instid0(VALU_DEP_1) | instskip(SKIP_1) | instid1(VALU_DEP_2)
	v_pk_fma_f32 v[98:99], v[34:35], v[38:39], v[96:97] op_sel_hi:[0,1,1]
	v_pk_fma_f32 v[38:39], v[34:35], v[38:39], v[96:97] neg_lo:[0,0,1] neg_hi:[0,0,1]
	v_mov_b32_e32 v39, v99
	s_delay_alu instid0(VALU_DEP_1)
	v_mov_b64_e32 v[34:35], v[38:39]
	ds_store_b64 v84, v[38:39]
.LBB60_575:                             ;   in Loop: Header=BB60_569 Depth=2
	s_or_b32 exec_lo, exec_lo, s54
	v_cmp_lt_u32_e32 vcc_lo, s53, v66
	s_wait_dscnt 0x0
	s_barrier_signal -1
	s_barrier_wait -1
	s_and_b32 s54, s64, vcc_lo
	s_delay_alu instid0(SALU_CYCLE_1)
	s_and_saveexec_b32 s53, s54
	s_cbranch_execz .LBB60_568
; %bb.576:                              ;   in Loop: Header=BB60_569 Depth=2
	ds_load_b64 v[38:39], v37 offset:512
	ds_load_b64 v[96:97], v84
	s_wait_dscnt 0x0
	v_pk_mul_f32 v[98:99], v[96:97], v[38:39] op_sel:[1,1] op_sel_hi:[0,1]
	s_delay_alu instid0(VALU_DEP_1) | instskip(SKIP_1) | instid1(VALU_DEP_2)
	v_pk_fma_f32 v[100:101], v[96:97], v[38:39], v[98:99] op_sel_hi:[1,0,1]
	v_pk_fma_f32 v[38:39], v[96:97], v[38:39], v[98:99] neg_lo:[0,0,1] neg_hi:[0,0,1]
	v_mov_b32_e32 v39, v101
	s_delay_alu instid0(VALU_DEP_1)
	v_pk_add_f32 v[34:35], v[34:35], v[38:39]
	s_branch .LBB60_568
.LBB60_577:                             ;   in Loop: Header=BB60_3 Depth=1
	s_and_saveexec_b32 s53, s35
; %bb.578:                              ;   in Loop: Header=BB60_3 Depth=1
	v_pk_add_f32 v[34:35], v[34:35], 0 neg_lo:[1,1] neg_hi:[1,1]
	ds_store_b64 v85, v[34:35] offset:256
; %bb.579:                              ;   in Loop: Header=BB60_3 Depth=1
	s_or_b32 exec_lo, exec_lo, s53
	s_wait_dscnt 0x0
	s_barrier_signal -1
	s_barrier_wait -1
	s_barrier_signal -1
	s_barrier_wait -1
	s_mov_b32 s65, exec_lo
	v_readlane_b32 s53, v106, 12
	s_and_b32 s53, s65, s53
	s_delay_alu instid0(SALU_CYCLE_1)
	s_mov_b32 exec_lo, s53
	s_cbranch_execz .LBB60_581
; %bb.580:                              ;   in Loop: Header=BB60_3 Depth=1
	ds_load_b64 v[34:35], v80 offset:256
	v_add_nc_u32_e32 v36, v80, v51
	s_wait_dscnt 0x0
	ds_store_b64 v36, v[34:35] offset:16384
	ds_load_b64 v[34:35], v80 offset:264
	s_wait_dscnt 0x0
	ds_store_b64 v36, v[34:35] offset:16896
	ds_load_b64 v[34:35], v80 offset:272
	;; [unrolled: 3-line block ×31, first 2 shown]
	s_wait_dscnt 0x0
	ds_store_b64 v36, v[34:35] offset:32256
.LBB60_581:                             ;   in Loop: Header=BB60_3 Depth=1
	s_or_b32 exec_lo, exec_lo, s65
	s_wait_dscnt 0x0
	s_barrier_signal -1
	s_barrier_wait -1
	s_and_saveexec_b32 s53, s14
	s_cbranch_execz .LBB60_583
; %bb.582:                              ;   in Loop: Header=BB60_3 Depth=1
	ds_load_b128 v[34:37], v5 offset:16640
	ds_load_b64 v[38:39], v5 offset:17160
	s_wait_dscnt 0x1
	v_dual_mov_b32 v96, v37 :: v_dual_mov_b32 v97, v36
	s_wait_dscnt 0x0
	v_dual_mul_f32 v95, v39, v35 :: v_dual_mul_f32 v40, v38, v35
	s_delay_alu instid0(VALU_DEP_1) | instskip(NEXT) | instid1(VALU_DEP_1)
	v_xor_b32_e32 v98, 0x80000000, v95
	v_dual_fmac_f32 v40, v39, v34 :: v_dual_fmac_f32 v98, v38, v34
	s_delay_alu instid0(VALU_DEP_1) | instskip(NEXT) | instid1(VALU_DEP_1)
	v_pk_mul_f32 v[34:35], v[40:41], v[96:97] op_sel_hi:[0,1]
	v_pk_fma_f32 v[38:39], v[98:99], v[36:37], v[34:35] op_sel_hi:[0,1,1]
	v_pk_fma_f32 v[34:35], v[98:99], v[36:37], v[34:35] neg_lo:[0,0,1] neg_hi:[0,0,1]
	v_add_nc_u32_e64 v36, 0x4000, 0
	s_delay_alu instid0(VALU_DEP_3)
	v_mov_b32_e32 v35, v39
	ds_store_2addr_b64 v36, v[34:35], v[34:35] offset0:33 offset1:96
.LBB60_583:                             ;   in Loop: Header=BB60_3 Depth=1
	s_or_b32 exec_lo, exec_lo, s53
	v_mov_b32_e32 v35, 0
	s_wait_dscnt 0x0
	s_barrier_signal -1
	s_barrier_wait -1
	s_delay_alu instid0(VALU_DEP_1)
	v_mov_b32_e32 v34, v35
	s_and_saveexec_b32 s53, s0
	s_cbranch_execz .LBB60_587
; %bb.584:                              ;   in Loop: Header=BB60_3 Depth=1
	ds_load_b64 v[34:35], v42 offset:16656
	ds_load_b64 v[36:37], v43 offset:16640
	s_wait_dscnt 0x0
	v_dual_mul_f32 v38, v37, v35 :: v_dual_mul_f32 v39, v36, v35
	s_delay_alu instid0(VALU_DEP_1) | instskip(NEXT) | instid1(VALU_DEP_1)
	v_dual_fma_f32 v38, v36, v34, -v38 :: v_dual_fmac_f32 v39, v37, v34
	v_pk_add_f32 v[34:35], v[38:39], 0 op_sel_hi:[1,0]
	s_and_saveexec_b32 s54, s15
	s_cbranch_execz .LBB60_586
; %bb.585:                              ;   in Loop: Header=BB60_3 Depth=1
	ds_load_b64 v[36:37], v44 offset:17168
	ds_load_b64 v[38:39], v5 offset:16648
	s_wait_dscnt 0x0
	v_pk_mul_f32 v[96:97], v[38:39], v[36:37] op_sel:[1,1] op_sel_hi:[0,1]
	s_delay_alu instid0(VALU_DEP_1) | instskip(SKIP_1) | instid1(VALU_DEP_2)
	v_pk_fma_f32 v[98:99], v[38:39], v[36:37], v[96:97] op_sel_hi:[1,0,1]
	v_pk_fma_f32 v[36:37], v[38:39], v[36:37], v[96:97] neg_lo:[0,0,1] neg_hi:[0,0,1]
	v_mov_b32_e32 v37, v99
	s_delay_alu instid0(VALU_DEP_1)
	v_pk_add_f32 v[34:35], v[34:35], v[36:37]
.LBB60_586:                             ;   in Loop: Header=BB60_3 Depth=1
	s_or_b32 exec_lo, exec_lo, s54
	s_delay_alu instid0(VALU_DEP_1)
	v_pk_add_f32 v[34:35], v[34:35], 0 neg_lo:[1,1] neg_hi:[1,1]
.LBB60_587:                             ;   in Loop: Header=BB60_3 Depth=1
	s_or_b32 exec_lo, exec_lo, s53
	s_and_saveexec_b32 s53, s94
	s_cbranch_execz .LBB60_589
; %bb.588:                              ;   in Loop: Header=BB60_3 Depth=1
	ds_load_b64 v[36:37], v5 offset:17680
	s_wait_dscnt 0x0
	v_pk_mul_f32 v[38:39], v[34:35], v[36:37] op_sel:[1,1] op_sel_hi:[1,0]
	s_delay_alu instid0(VALU_DEP_1) | instskip(SKIP_1) | instid1(VALU_DEP_2)
	v_pk_fma_f32 v[96:97], v[34:35], v[36:37], v[38:39] op_sel_hi:[0,1,1]
	v_pk_fma_f32 v[36:37], v[34:35], v[36:37], v[38:39] neg_lo:[0,0,1] neg_hi:[0,0,1]
	v_mov_b32_e32 v37, v97
	s_delay_alu instid0(VALU_DEP_1)
	v_mov_b64_e32 v[34:35], v[36:37]
	ds_store_b64 v3, v[36:37]
.LBB60_589:                             ;   in Loop: Header=BB60_3 Depth=1
	s_or_b32 exec_lo, exec_lo, s53
	s_wait_dscnt 0x0
	s_barrier_signal -1
	s_barrier_wait -1
	s_and_saveexec_b32 s53, s95
	s_cbranch_execz .LBB60_591
; %bb.590:                              ;   in Loop: Header=BB60_3 Depth=1
	ds_load_b64 v[36:37], v5 offset:17688
	ds_load_b64 v[38:39], v3
	s_wait_dscnt 0x0
	v_pk_mul_f32 v[96:97], v[38:39], v[36:37] op_sel:[1,1] op_sel_hi:[0,1]
	s_delay_alu instid0(VALU_DEP_1) | instskip(SKIP_1) | instid1(VALU_DEP_2)
	v_pk_fma_f32 v[98:99], v[38:39], v[36:37], v[96:97] op_sel_hi:[1,0,1]
	v_pk_fma_f32 v[36:37], v[38:39], v[36:37], v[96:97] neg_lo:[0,0,1] neg_hi:[0,0,1]
	v_mov_b32_e32 v37, v99
	s_delay_alu instid0(VALU_DEP_1)
	v_pk_add_f32 v[34:35], v[34:35], v[36:37]
.LBB60_591:                             ;   in Loop: Header=BB60_3 Depth=1
	s_or_b32 exec_lo, exec_lo, s53
	s_barrier_signal -1
	s_barrier_wait -1
	s_and_saveexec_b32 s53, s95
	s_cbranch_execz .LBB60_593
; %bb.592:                              ;   in Loop: Header=BB60_3 Depth=1
	ds_load_b64 v[36:37], v5 offset:18200
	s_wait_dscnt 0x0
	v_pk_mul_f32 v[38:39], v[34:35], v[36:37] op_sel:[1,1] op_sel_hi:[1,0]
	s_delay_alu instid0(VALU_DEP_1) | instskip(SKIP_1) | instid1(VALU_DEP_2)
	v_pk_fma_f32 v[96:97], v[34:35], v[36:37], v[38:39] op_sel_hi:[0,1,1]
	v_pk_fma_f32 v[36:37], v[34:35], v[36:37], v[38:39] neg_lo:[0,0,1] neg_hi:[0,0,1]
	v_mov_b32_e32 v37, v97
	s_delay_alu instid0(VALU_DEP_1)
	v_mov_b64_e32 v[34:35], v[36:37]
	ds_store_b64 v3, v[36:37]
.LBB60_593:                             ;   in Loop: Header=BB60_3 Depth=1
	s_or_b32 exec_lo, exec_lo, s53
	s_wait_dscnt 0x0
	s_barrier_signal -1
	s_barrier_wait -1
	s_barrier_signal -1
	s_barrier_wait -1
	s_and_saveexec_b32 s53, s0
; %bb.594:                              ;   in Loop: Header=BB60_3 Depth=1
	v_pk_add_f32 v[34:35], v[34:35], 0 neg_lo:[1,1] neg_hi:[1,1]
	ds_store_b64 v42, v[34:35] offset:16656
; %bb.595:                              ;   in Loop: Header=BB60_3 Depth=1
	s_or_b32 exec_lo, exec_lo, s53
	s_wait_dscnt 0x0
	s_barrier_signal -1
	s_barrier_wait -1
	s_barrier_signal -1
	s_barrier_wait -1
	s_and_saveexec_b32 s53, s96
	s_cbranch_execz .LBB60_597
; %bb.596:                              ;   in Loop: Header=BB60_3 Depth=1
	ds_load_b64 v[34:35], v47 offset:16656
	s_wait_dscnt 0x0
	ds_store_b64 v44, v[34:35] offset:17664
	ds_load_b64 v[34:35], v47 offset:16664
	s_wait_dscnt 0x0
	ds_store_b64 v44, v[34:35] offset:18176
.LBB60_597:                             ;   in Loop: Header=BB60_3 Depth=1
	s_or_b32 exec_lo, exec_lo, s53
	s_wait_dscnt 0x0
	s_barrier_signal -1
	s_barrier_wait -1
	s_and_saveexec_b32 s53, s14
	s_cbranch_execz .LBB60_599
; %bb.598:                              ;   in Loop: Header=BB60_3 Depth=1
	ds_load_b128 v[34:37], v5 offset:17680
	ds_load_b64 v[38:39], v5 offset:18200
	s_wait_dscnt 0x1
	v_dual_mov_b32 v96, v37 :: v_dual_mov_b32 v97, v36
	s_wait_dscnt 0x0
	v_dual_mul_f32 v95, v39, v35 :: v_dual_mul_f32 v40, v38, v35
	s_delay_alu instid0(VALU_DEP_1) | instskip(NEXT) | instid1(VALU_DEP_1)
	v_xor_b32_e32 v98, 0x80000000, v95
	v_dual_fmac_f32 v40, v39, v34 :: v_dual_fmac_f32 v98, v38, v34
	s_delay_alu instid0(VALU_DEP_1) | instskip(NEXT) | instid1(VALU_DEP_1)
	v_pk_mul_f32 v[34:35], v[40:41], v[96:97] op_sel_hi:[0,1]
	v_pk_fma_f32 v[38:39], v[98:99], v[36:37], v[34:35] op_sel_hi:[0,1,1]
	v_pk_fma_f32 v[34:35], v[98:99], v[36:37], v[34:35] neg_lo:[0,0,1] neg_hi:[0,0,1]
	v_add_nc_u32_e64 v36, 0x4000, 0
	s_delay_alu instid0(VALU_DEP_3)
	v_mov_b32_e32 v35, v39
	ds_store_2addr_b64 v36, v[34:35], v[34:35] offset0:163 offset1:226
.LBB60_599:                             ;   in Loop: Header=BB60_3 Depth=1
	s_or_b32 exec_lo, exec_lo, s53
	v_mov_b32_e32 v34, 0
	s_wait_dscnt 0x0
	s_barrier_signal -1
	s_barrier_wait -1
	s_delay_alu instid0(VALU_DEP_1)
	v_mov_b32_e32 v35, v34
	s_and_saveexec_b32 s65, s2
	s_cbranch_execz .LBB60_605
; %bb.600:                              ;   in Loop: Header=BB60_3 Depth=1
	ds_load_b64 v[34:35], v49 offset:16672
	ds_load_b64 v[36:37], v45 offset:16640
	s_wait_dscnt 0x0
	v_pk_mul_f32 v[38:39], v[36:37], v[34:35] op_sel:[0,1]
	s_delay_alu instid0(VALU_DEP_1) | instskip(SKIP_1) | instid1(VALU_DEP_2)
	v_pk_fma_f32 v[96:97], v[36:37], v[34:35], v[38:39] op_sel:[1,0,0] op_sel_hi:[0,0,1] neg_lo:[0,0,1] neg_hi:[0,0,1]
	v_pk_fma_f32 v[34:35], v[36:37], v[34:35], v[38:39] op_sel:[1,0,0] op_sel_hi:[0,1,1]
	v_mov_b32_e32 v35, v97
	s_delay_alu instid0(VALU_DEP_1)
	v_pk_add_f32 v[34:35], v[34:35], 0 op_sel_hi:[1,0]
	s_and_saveexec_b32 s53, s16
	s_cbranch_execnz .LBB60_1150
; %bb.601:                              ;   in Loop: Header=BB60_3 Depth=1
	s_or_b32 exec_lo, exec_lo, s53
	s_and_saveexec_b32 s53, s17
	s_cbranch_execnz .LBB60_1151
.LBB60_602:                             ;   in Loop: Header=BB60_3 Depth=1
	s_or_b32 exec_lo, exec_lo, s53
	s_and_saveexec_b32 s53, s0
	s_cbranch_execz .LBB60_604
.LBB60_603:                             ;   in Loop: Header=BB60_3 Depth=1
	ds_load_b64 v[36:37], v52 offset:18208
	ds_load_b64 v[38:39], v5 offset:16664
	s_wait_dscnt 0x0
	v_pk_mul_f32 v[96:97], v[38:39], v[36:37] op_sel:[0,1]
	s_delay_alu instid0(VALU_DEP_1) | instskip(SKIP_1) | instid1(VALU_DEP_2)
	v_pk_fma_f32 v[98:99], v[38:39], v[36:37], v[96:97] op_sel:[1,0,0] op_sel_hi:[0,0,1] neg_lo:[0,0,1] neg_hi:[0,0,1]
	v_pk_fma_f32 v[36:37], v[38:39], v[36:37], v[96:97] op_sel:[1,0,0] op_sel_hi:[0,1,1]
	v_mov_b32_e32 v37, v99
	s_delay_alu instid0(VALU_DEP_1)
	v_pk_add_f32 v[34:35], v[34:35], v[36:37]
.LBB60_604:                             ;   in Loop: Header=BB60_3 Depth=1
	s_or_b32 exec_lo, exec_lo, s53
	s_delay_alu instid0(VALU_DEP_1) | instskip(NEXT) | instid1(VALU_DEP_1)
	v_pk_add_f32 v[36:37], v[34:35], 0 neg_lo:[1,1] neg_hi:[1,1]
	v_dual_mov_b32 v34, v37 :: v_dual_mov_b32 v35, v36
.LBB60_605:                             ;   in Loop: Header=BB60_3 Depth=1
	s_or_b32 exec_lo, exec_lo, s65
	s_and_saveexec_b32 s53, s97
	s_cbranch_execz .LBB60_607
; %bb.606:                              ;   in Loop: Header=BB60_3 Depth=1
	ds_load_b64 v[36:37], v5 offset:18720
	v_dual_mov_b32 v38, v35 :: v_dual_mov_b32 v39, v34
	s_wait_dscnt 0x0
	s_delay_alu instid0(VALU_DEP_1) | instskip(NEXT) | instid1(VALU_DEP_1)
	v_dual_mul_f32 v40, v38, v36 :: v_dual_mul_f32 v96, v35, v37
	v_pk_fma_f32 v[38:39], v[38:39], v[36:37], v[40:41] op_sel_hi:[1,1,0]
	s_delay_alu instid0(VALU_DEP_2) | instskip(NEXT) | instid1(VALU_DEP_2)
	v_pk_fma_f32 v[34:35], v[34:35], v[36:37], v[96:97] op_sel_hi:[1,1,0] neg_lo:[0,0,1] neg_hi:[0,0,1]
	v_mov_b32_e32 v35, v39
	ds_store_b64 v48, v[34:35]
.LBB60_607:                             ;   in Loop: Header=BB60_3 Depth=1
	s_or_b32 exec_lo, exec_lo, s53
	s_wait_dscnt 0x0
	s_barrier_signal -1
	s_barrier_wait -1
	s_and_saveexec_b32 s53, s98
	s_cbranch_execz .LBB60_609
; %bb.608:                              ;   in Loop: Header=BB60_3 Depth=1
	ds_load_b64 v[36:37], v46 offset:18720
	ds_load_b64 v[38:39], v48
	s_wait_dscnt 0x0
	v_dual_mul_f32 v40, v39, v37 :: v_dual_mul_f32 v97, v38, v37
	s_delay_alu instid0(VALU_DEP_1) | instskip(NEXT) | instid1(VALU_DEP_1)
	v_dual_fma_f32 v96, v38, v36, -v40 :: v_dual_fmac_f32 v97, v39, v36
	v_pk_add_f32 v[34:35], v[34:35], v[96:97]
.LBB60_609:                             ;   in Loop: Header=BB60_3 Depth=1
	s_or_b32 exec_lo, exec_lo, s53
	s_barrier_signal -1
	s_barrier_wait -1
	s_and_saveexec_b32 s53, s99
	s_cbranch_execz .LBB60_611
; %bb.610:                              ;   in Loop: Header=BB60_3 Depth=1
	ds_load_b64 v[36:37], v5 offset:19240
	s_wait_dscnt 0x0
	v_pk_mul_f32 v[38:39], v[34:35], v[36:37] op_sel:[1,1] op_sel_hi:[1,0]
	s_delay_alu instid0(VALU_DEP_1) | instskip(SKIP_1) | instid1(VALU_DEP_2)
	v_pk_fma_f32 v[96:97], v[34:35], v[36:37], v[38:39] op_sel_hi:[0,1,1]
	v_pk_fma_f32 v[36:37], v[34:35], v[36:37], v[38:39] neg_lo:[0,0,1] neg_hi:[0,0,1]
	v_mov_b32_e32 v37, v97
	s_delay_alu instid0(VALU_DEP_1)
	v_mov_b64_e32 v[34:35], v[36:37]
	ds_store_b64 v48, v[36:37]
.LBB60_611:                             ;   in Loop: Header=BB60_3 Depth=1
	s_or_b32 exec_lo, exec_lo, s53
	s_wait_dscnt 0x0
	s_barrier_signal -1
	s_barrier_wait -1
	s_and_saveexec_b32 s53, s100
	s_cbranch_execz .LBB60_613
; %bb.612:                              ;   in Loop: Header=BB60_3 Depth=1
	ds_load_b64 v[36:37], v46 offset:19232
	ds_load_b64 v[38:39], v48
	s_wait_dscnt 0x0
	v_pk_mul_f32 v[96:97], v[38:39], v[36:37] op_sel:[1,1] op_sel_hi:[0,1]
	s_delay_alu instid0(VALU_DEP_1) | instskip(SKIP_1) | instid1(VALU_DEP_2)
	v_pk_fma_f32 v[98:99], v[38:39], v[36:37], v[96:97] op_sel_hi:[1,0,1]
	v_pk_fma_f32 v[36:37], v[38:39], v[36:37], v[96:97] neg_lo:[0,0,1] neg_hi:[0,0,1]
	v_mov_b32_e32 v37, v99
	s_delay_alu instid0(VALU_DEP_1)
	v_pk_add_f32 v[34:35], v[34:35], v[36:37]
.LBB60_613:                             ;   in Loop: Header=BB60_3 Depth=1
	s_or_b32 exec_lo, exec_lo, s53
	s_barrier_signal -1
	s_barrier_wait -1
	s_and_saveexec_b32 s53, s101
	s_cbranch_execz .LBB60_615
; %bb.614:                              ;   in Loop: Header=BB60_3 Depth=1
	ds_load_b64 v[36:37], v5 offset:19760
	s_wait_dscnt 0x0
	v_pk_mul_f32 v[38:39], v[34:35], v[36:37] op_sel:[1,1] op_sel_hi:[1,0]
	s_delay_alu instid0(VALU_DEP_1) | instskip(SKIP_1) | instid1(VALU_DEP_2)
	v_pk_fma_f32 v[96:97], v[34:35], v[36:37], v[38:39] op_sel_hi:[0,1,1]
	v_pk_fma_f32 v[36:37], v[34:35], v[36:37], v[38:39] neg_lo:[0,0,1] neg_hi:[0,0,1]
	v_mov_b32_e32 v37, v97
	s_delay_alu instid0(VALU_DEP_1)
	v_mov_b64_e32 v[34:35], v[36:37]
	ds_store_b64 v48, v[36:37]
.LBB60_615:                             ;   in Loop: Header=BB60_3 Depth=1
	s_or_b32 exec_lo, exec_lo, s53
	s_wait_dscnt 0x0
	s_barrier_signal -1
	s_barrier_wait -1
	s_and_saveexec_b32 s53, s102
	s_cbranch_execz .LBB60_617
; %bb.616:                              ;   in Loop: Header=BB60_3 Depth=1
	ds_load_b64 v[36:37], v5 offset:19768
	ds_load_b64 v[38:39], v48
	s_wait_dscnt 0x0
	v_pk_mul_f32 v[96:97], v[38:39], v[36:37] op_sel:[1,1] op_sel_hi:[0,1]
	s_delay_alu instid0(VALU_DEP_1) | instskip(SKIP_1) | instid1(VALU_DEP_2)
	v_pk_fma_f32 v[98:99], v[38:39], v[36:37], v[96:97] op_sel_hi:[1,0,1]
	v_pk_fma_f32 v[36:37], v[38:39], v[36:37], v[96:97] neg_lo:[0,0,1] neg_hi:[0,0,1]
	v_mov_b32_e32 v37, v99
	s_delay_alu instid0(VALU_DEP_1)
	v_pk_add_f32 v[34:35], v[34:35], v[36:37]
.LBB60_617:                             ;   in Loop: Header=BB60_3 Depth=1
	s_or_b32 exec_lo, exec_lo, s53
	s_barrier_signal -1
	s_barrier_wait -1
	s_and_saveexec_b32 s53, s102
	s_cbranch_execz .LBB60_619
; %bb.618:                              ;   in Loop: Header=BB60_3 Depth=1
	ds_load_b64 v[36:37], v5 offset:20280
	s_wait_dscnt 0x0
	v_pk_mul_f32 v[38:39], v[34:35], v[36:37] op_sel:[1,1] op_sel_hi:[1,0]
	s_delay_alu instid0(VALU_DEP_1) | instskip(SKIP_1) | instid1(VALU_DEP_2)
	v_pk_fma_f32 v[96:97], v[34:35], v[36:37], v[38:39] op_sel_hi:[0,1,1]
	v_pk_fma_f32 v[36:37], v[34:35], v[36:37], v[38:39] neg_lo:[0,0,1] neg_hi:[0,0,1]
	v_mov_b32_e32 v37, v97
	s_delay_alu instid0(VALU_DEP_1)
	v_mov_b64_e32 v[34:35], v[36:37]
	ds_store_b64 v48, v[36:37]
.LBB60_619:                             ;   in Loop: Header=BB60_3 Depth=1
	s_or_b32 exec_lo, exec_lo, s53
	s_wait_dscnt 0x0
	s_barrier_signal -1
	s_barrier_wait -1
	s_barrier_signal -1
	s_barrier_wait -1
	s_and_saveexec_b32 s53, s2
; %bb.620:                              ;   in Loop: Header=BB60_3 Depth=1
	v_pk_add_f32 v[34:35], v[34:35], 0 neg_lo:[1,1] neg_hi:[1,1]
	ds_store_b64 v49, v[34:35] offset:16672
; %bb.621:                              ;   in Loop: Header=BB60_3 Depth=1
	s_or_b32 exec_lo, exec_lo, s53
	s_wait_dscnt 0x0
	s_barrier_signal -1
	s_barrier_wait -1
	s_barrier_signal -1
	s_barrier_wait -1
	s_and_saveexec_b32 s53, s103
	s_cbranch_execz .LBB60_623
; %bb.622:                              ;   in Loop: Header=BB60_3 Depth=1
	ds_load_b64 v[34:35], v53 offset:16672
	s_wait_dscnt 0x0
	ds_store_b64 v54, v[34:35] offset:18688
	ds_load_b64 v[34:35], v53 offset:16680
	s_wait_dscnt 0x0
	ds_store_b64 v54, v[34:35] offset:19200
	;; [unrolled: 3-line block ×4, first 2 shown]
.LBB60_623:                             ;   in Loop: Header=BB60_3 Depth=1
	s_or_b32 exec_lo, exec_lo, s53
	s_wait_dscnt 0x0
	s_barrier_signal -1
	s_barrier_wait -1
	s_and_saveexec_b32 s53, s14
	s_cbranch_execz .LBB60_625
; %bb.624:                              ;   in Loop: Header=BB60_3 Depth=1
	ds_load_b128 v[34:37], v5 offset:18720
	ds_load_b64 v[38:39], v5 offset:19240
	s_wait_dscnt 0x1
	v_dual_mov_b32 v96, v37 :: v_dual_mov_b32 v97, v36
	s_wait_dscnt 0x0
	v_dual_mul_f32 v95, v39, v35 :: v_dual_mul_f32 v40, v38, v35
	s_delay_alu instid0(VALU_DEP_1) | instskip(NEXT) | instid1(VALU_DEP_1)
	v_xor_b32_e32 v98, 0x80000000, v95
	v_dual_fmac_f32 v40, v39, v34 :: v_dual_fmac_f32 v98, v38, v34
	s_delay_alu instid0(VALU_DEP_1) | instskip(NEXT) | instid1(VALU_DEP_1)
	v_pk_mul_f32 v[34:35], v[40:41], v[96:97] op_sel_hi:[0,1]
	v_pk_fma_f32 v[38:39], v[98:99], v[36:37], v[34:35] op_sel_hi:[0,1,1]
	v_pk_fma_f32 v[34:35], v[98:99], v[36:37], v[34:35] neg_lo:[0,0,1] neg_hi:[0,0,1]
	v_add_nc_u32_e64 v36, 0x4800, 0
	s_delay_alu instid0(VALU_DEP_3)
	v_mov_b32_e32 v35, v39
	ds_store_2addr_b64 v36, v[34:35], v[34:35] offset0:37 offset1:100
.LBB60_625:                             ;   in Loop: Header=BB60_3 Depth=1
	s_or_b32 exec_lo, exec_lo, s53
	v_mov_b32_e32 v35, 0
	s_wait_dscnt 0x0
	s_barrier_signal -1
	s_barrier_wait -1
	s_delay_alu instid0(VALU_DEP_1)
	v_mov_b32_e32 v34, v35
	s_and_saveexec_b32 s53, s0
	s_cbranch_execz .LBB60_629
; %bb.626:                              ;   in Loop: Header=BB60_3 Depth=1
	ds_load_b64 v[34:35], v42 offset:18736
	ds_load_b64 v[36:37], v43 offset:18720
	s_wait_dscnt 0x0
	v_dual_mul_f32 v38, v37, v35 :: v_dual_mul_f32 v39, v36, v35
	s_delay_alu instid0(VALU_DEP_1) | instskip(NEXT) | instid1(VALU_DEP_1)
	v_dual_fma_f32 v38, v36, v34, -v38 :: v_dual_fmac_f32 v39, v37, v34
	v_pk_add_f32 v[34:35], v[38:39], 0 op_sel_hi:[1,0]
	s_and_saveexec_b32 s54, s15
	s_cbranch_execz .LBB60_628
; %bb.627:                              ;   in Loop: Header=BB60_3 Depth=1
	ds_load_b64 v[36:37], v54 offset:19248
	ds_load_b64 v[38:39], v5 offset:18728
	s_wait_dscnt 0x0
	v_pk_mul_f32 v[96:97], v[38:39], v[36:37] op_sel:[1,1] op_sel_hi:[0,1]
	s_delay_alu instid0(VALU_DEP_1) | instskip(SKIP_1) | instid1(VALU_DEP_2)
	v_pk_fma_f32 v[98:99], v[38:39], v[36:37], v[96:97] op_sel_hi:[1,0,1]
	v_pk_fma_f32 v[36:37], v[38:39], v[36:37], v[96:97] neg_lo:[0,0,1] neg_hi:[0,0,1]
	v_mov_b32_e32 v37, v99
	s_delay_alu instid0(VALU_DEP_1)
	v_pk_add_f32 v[34:35], v[34:35], v[36:37]
.LBB60_628:                             ;   in Loop: Header=BB60_3 Depth=1
	s_or_b32 exec_lo, exec_lo, s54
	s_delay_alu instid0(VALU_DEP_1)
	v_pk_add_f32 v[34:35], v[34:35], 0 neg_lo:[1,1] neg_hi:[1,1]
.LBB60_629:                             ;   in Loop: Header=BB60_3 Depth=1
	s_or_b32 exec_lo, exec_lo, s53
	s_and_saveexec_b32 s53, s94
	s_cbranch_execz .LBB60_631
; %bb.630:                              ;   in Loop: Header=BB60_3 Depth=1
	ds_load_b64 v[36:37], v5 offset:19760
	s_wait_dscnt 0x0
	v_pk_mul_f32 v[38:39], v[34:35], v[36:37] op_sel:[1,1] op_sel_hi:[1,0]
	s_delay_alu instid0(VALU_DEP_1) | instskip(SKIP_1) | instid1(VALU_DEP_2)
	v_pk_fma_f32 v[96:97], v[34:35], v[36:37], v[38:39] op_sel_hi:[0,1,1]
	v_pk_fma_f32 v[36:37], v[34:35], v[36:37], v[38:39] neg_lo:[0,0,1] neg_hi:[0,0,1]
	v_mov_b32_e32 v37, v97
	s_delay_alu instid0(VALU_DEP_1)
	v_mov_b64_e32 v[34:35], v[36:37]
	ds_store_b64 v3, v[36:37]
.LBB60_631:                             ;   in Loop: Header=BB60_3 Depth=1
	s_or_b32 exec_lo, exec_lo, s53
	s_wait_dscnt 0x0
	s_barrier_signal -1
	s_barrier_wait -1
	s_and_saveexec_b32 s53, s95
	s_cbranch_execz .LBB60_633
; %bb.632:                              ;   in Loop: Header=BB60_3 Depth=1
	ds_load_b64 v[36:37], v5 offset:19768
	ds_load_b64 v[38:39], v3
	s_wait_dscnt 0x0
	v_pk_mul_f32 v[96:97], v[38:39], v[36:37] op_sel:[1,1] op_sel_hi:[0,1]
	s_delay_alu instid0(VALU_DEP_1) | instskip(SKIP_1) | instid1(VALU_DEP_2)
	v_pk_fma_f32 v[98:99], v[38:39], v[36:37], v[96:97] op_sel_hi:[1,0,1]
	v_pk_fma_f32 v[36:37], v[38:39], v[36:37], v[96:97] neg_lo:[0,0,1] neg_hi:[0,0,1]
	v_mov_b32_e32 v37, v99
	s_delay_alu instid0(VALU_DEP_1)
	v_pk_add_f32 v[34:35], v[34:35], v[36:37]
.LBB60_633:                             ;   in Loop: Header=BB60_3 Depth=1
	s_or_b32 exec_lo, exec_lo, s53
	s_barrier_signal -1
	s_barrier_wait -1
	s_and_saveexec_b32 s53, s95
	s_cbranch_execz .LBB60_635
; %bb.634:                              ;   in Loop: Header=BB60_3 Depth=1
	ds_load_b64 v[36:37], v5 offset:20280
	s_wait_dscnt 0x0
	v_pk_mul_f32 v[38:39], v[34:35], v[36:37] op_sel:[1,1] op_sel_hi:[1,0]
	s_delay_alu instid0(VALU_DEP_1) | instskip(SKIP_1) | instid1(VALU_DEP_2)
	v_pk_fma_f32 v[96:97], v[34:35], v[36:37], v[38:39] op_sel_hi:[0,1,1]
	v_pk_fma_f32 v[36:37], v[34:35], v[36:37], v[38:39] neg_lo:[0,0,1] neg_hi:[0,0,1]
	v_mov_b32_e32 v37, v97
	s_delay_alu instid0(VALU_DEP_1)
	v_mov_b64_e32 v[34:35], v[36:37]
	ds_store_b64 v3, v[36:37]
.LBB60_635:                             ;   in Loop: Header=BB60_3 Depth=1
	s_or_b32 exec_lo, exec_lo, s53
	s_wait_dscnt 0x0
	s_barrier_signal -1
	s_barrier_wait -1
	s_barrier_signal -1
	s_barrier_wait -1
	s_and_saveexec_b32 s53, s0
; %bb.636:                              ;   in Loop: Header=BB60_3 Depth=1
	v_pk_add_f32 v[34:35], v[34:35], 0 neg_lo:[1,1] neg_hi:[1,1]
	ds_store_b64 v42, v[34:35] offset:18736
; %bb.637:                              ;   in Loop: Header=BB60_3 Depth=1
	s_or_b32 exec_lo, exec_lo, s53
	s_wait_dscnt 0x0
	s_barrier_signal -1
	s_barrier_wait -1
	s_barrier_signal -1
	s_barrier_wait -1
	s_and_saveexec_b32 s53, s96
	s_cbranch_execz .LBB60_639
; %bb.638:                              ;   in Loop: Header=BB60_3 Depth=1
	ds_load_b64 v[34:35], v56 offset:18736
	s_wait_dscnt 0x0
	ds_store_b64 v54, v[34:35] offset:19744
	ds_load_b64 v[34:35], v56 offset:18744
	s_wait_dscnt 0x0
	ds_store_b64 v54, v[34:35] offset:20256
.LBB60_639:                             ;   in Loop: Header=BB60_3 Depth=1
	s_or_b32 exec_lo, exec_lo, s53
	s_wait_dscnt 0x0
	s_barrier_signal -1
	s_barrier_wait -1
	s_and_saveexec_b32 s53, s14
	s_cbranch_execz .LBB60_641
; %bb.640:                              ;   in Loop: Header=BB60_3 Depth=1
	ds_load_b128 v[34:37], v5 offset:19760
	ds_load_b64 v[38:39], v5 offset:20280
	s_wait_dscnt 0x1
	v_dual_mov_b32 v96, v37 :: v_dual_mov_b32 v97, v36
	s_wait_dscnt 0x0
	v_dual_mul_f32 v95, v39, v35 :: v_dual_mul_f32 v40, v38, v35
	s_delay_alu instid0(VALU_DEP_1) | instskip(NEXT) | instid1(VALU_DEP_1)
	v_xor_b32_e32 v98, 0x80000000, v95
	v_dual_fmac_f32 v40, v39, v34 :: v_dual_fmac_f32 v98, v38, v34
	s_delay_alu instid0(VALU_DEP_1) | instskip(NEXT) | instid1(VALU_DEP_1)
	v_pk_mul_f32 v[34:35], v[40:41], v[96:97] op_sel_hi:[0,1]
	v_pk_fma_f32 v[38:39], v[98:99], v[36:37], v[34:35] op_sel_hi:[0,1,1]
	v_pk_fma_f32 v[34:35], v[98:99], v[36:37], v[34:35] neg_lo:[0,0,1] neg_hi:[0,0,1]
	v_add_nc_u32_e64 v36, 0x4800, 0
	s_delay_alu instid0(VALU_DEP_3)
	v_mov_b32_e32 v35, v39
	ds_store_2addr_b64 v36, v[34:35], v[34:35] offset0:167 offset1:230
.LBB60_641:                             ;   in Loop: Header=BB60_3 Depth=1
	s_or_b32 exec_lo, exec_lo, s53
	v_mov_b32_e32 v34, 0
	s_wait_dscnt 0x0
	s_barrier_signal -1
	s_barrier_wait -1
	s_delay_alu instid0(VALU_DEP_1)
	v_mov_b32_e32 v35, v34
	s_and_saveexec_b32 s65, s3
	s_cbranch_execz .LBB60_651
; %bb.642:                              ;   in Loop: Header=BB60_3 Depth=1
	ds_load_b64 v[34:35], v59 offset:16704
	ds_load_b64 v[36:37], v55 offset:16640
	s_wait_dscnt 0x0
	v_dual_mul_f32 v38, v37, v35 :: v_dual_mul_f32 v39, v36, v35
	s_delay_alu instid0(VALU_DEP_1) | instskip(NEXT) | instid1(VALU_DEP_1)
	v_dual_fma_f32 v35, v36, v34, -v38 :: v_dual_fmac_f32 v39, v37, v34
	v_add_f32_e32 v35, 0, v35
	s_delay_alu instid0(VALU_DEP_2)
	v_add_f32_e32 v34, 0, v39
	s_and_saveexec_b32 s53, s18
	s_cbranch_execnz .LBB60_1152
; %bb.643:                              ;   in Loop: Header=BB60_3 Depth=1
	s_or_b32 exec_lo, exec_lo, s53
	s_and_saveexec_b32 s53, s19
	s_cbranch_execnz .LBB60_1153
.LBB60_644:                             ;   in Loop: Header=BB60_3 Depth=1
	s_or_b32 exec_lo, exec_lo, s53
	s_and_saveexec_b32 s53, s20
	s_cbranch_execnz .LBB60_1154
.LBB60_645:                             ;   in Loop: Header=BB60_3 Depth=1
	s_or_b32 exec_lo, exec_lo, s53
	s_and_saveexec_b32 s53, s21
	s_cbranch_execnz .LBB60_1155
.LBB60_646:                             ;   in Loop: Header=BB60_3 Depth=1
	s_or_b32 exec_lo, exec_lo, s53
	s_and_saveexec_b32 s53, s22
	s_cbranch_execnz .LBB60_1156
.LBB60_647:                             ;   in Loop: Header=BB60_3 Depth=1
	s_or_b32 exec_lo, exec_lo, s53
	s_and_saveexec_b32 s53, s2
	s_cbranch_execnz .LBB60_1157
.LBB60_648:                             ;   in Loop: Header=BB60_3 Depth=1
	s_or_b32 exec_lo, exec_lo, s53
	s_and_saveexec_b32 s53, s17
	s_cbranch_execz .LBB60_650
.LBB60_649:                             ;   in Loop: Header=BB60_3 Depth=1
	ds_load_b64 v[36:37], v69 offset:20288
	ds_load_b64 v[38:39], v5 offset:16696
	s_wait_dscnt 0x0
	v_pk_mul_f32 v[96:97], v[38:39], v[36:37] op_sel:[0,1]
	s_delay_alu instid0(VALU_DEP_1) | instskip(SKIP_1) | instid1(VALU_DEP_2)
	v_pk_fma_f32 v[98:99], v[38:39], v[36:37], v[96:97] op_sel:[1,0,0] op_sel_hi:[0,0,1] neg_lo:[0,0,1] neg_hi:[0,0,1]
	v_pk_fma_f32 v[36:37], v[38:39], v[36:37], v[96:97] op_sel:[1,0,0] op_sel_hi:[0,1,1]
	v_mov_b32_e32 v37, v99
	s_delay_alu instid0(VALU_DEP_1)
	v_pk_add_f32 v[34:35], v[34:35], v[36:37]
.LBB60_650:                             ;   in Loop: Header=BB60_3 Depth=1
	s_or_b32 exec_lo, exec_lo, s53
	s_delay_alu instid0(VALU_DEP_1) | instskip(NEXT) | instid1(VALU_DEP_1)
	v_pk_add_f32 v[36:37], v[34:35], 0 neg_lo:[1,1] neg_hi:[1,1]
	v_dual_mov_b32 v34, v37 :: v_dual_mov_b32 v35, v36
.LBB60_651:                             ;   in Loop: Header=BB60_3 Depth=1
	s_or_b32 exec_lo, exec_lo, s65
	s_and_saveexec_b32 s53, s104
	s_cbranch_execz .LBB60_653
; %bb.652:                              ;   in Loop: Header=BB60_3 Depth=1
	ds_load_b64 v[36:37], v5 offset:20800
	v_dual_mov_b32 v38, v35 :: v_dual_mov_b32 v39, v34
	s_wait_dscnt 0x0
	s_delay_alu instid0(VALU_DEP_1) | instskip(NEXT) | instid1(VALU_DEP_1)
	v_dual_mul_f32 v40, v38, v36 :: v_dual_mul_f32 v96, v35, v37
	v_pk_fma_f32 v[38:39], v[38:39], v[36:37], v[40:41] op_sel_hi:[1,1,0]
	s_delay_alu instid0(VALU_DEP_2) | instskip(NEXT) | instid1(VALU_DEP_2)
	v_pk_fma_f32 v[34:35], v[34:35], v[36:37], v[96:97] op_sel_hi:[1,1,0] neg_lo:[0,0,1] neg_hi:[0,0,1]
	v_mov_b32_e32 v35, v39
	ds_store_b64 v58, v[34:35]
.LBB60_653:                             ;   in Loop: Header=BB60_3 Depth=1
	s_or_b32 exec_lo, exec_lo, s53
	s_wait_dscnt 0x0
	s_barrier_signal -1
	s_barrier_wait -1
	s_and_saveexec_b32 s53, vcc_hi
	s_cbranch_execz .LBB60_655
; %bb.654:                              ;   in Loop: Header=BB60_3 Depth=1
	ds_load_b64 v[36:37], v57 offset:20800
	ds_load_b64 v[38:39], v58
	s_wait_dscnt 0x0
	v_dual_mul_f32 v40, v39, v37 :: v_dual_mul_f32 v97, v38, v37
	s_delay_alu instid0(VALU_DEP_1) | instskip(NEXT) | instid1(VALU_DEP_1)
	v_dual_fma_f32 v96, v38, v36, -v40 :: v_dual_fmac_f32 v97, v39, v36
	v_pk_add_f32 v[34:35], v[34:35], v[96:97]
.LBB60_655:                             ;   in Loop: Header=BB60_3 Depth=1
	s_or_b32 exec_lo, exec_lo, s53
	s_barrier_signal -1
	s_barrier_wait -1
	s_and_saveexec_b32 s53, s38
	s_cbranch_execz .LBB60_657
; %bb.656:                              ;   in Loop: Header=BB60_3 Depth=1
	ds_load_b64 v[36:37], v5 offset:21320
	s_wait_dscnt 0x0
	v_pk_mul_f32 v[38:39], v[34:35], v[36:37] op_sel:[1,1] op_sel_hi:[1,0]
	s_delay_alu instid0(VALU_DEP_1) | instskip(SKIP_1) | instid1(VALU_DEP_2)
	v_pk_fma_f32 v[96:97], v[34:35], v[36:37], v[38:39] op_sel_hi:[0,1,1]
	v_pk_fma_f32 v[34:35], v[34:35], v[36:37], v[38:39] op_sel_hi:[0,1,1] neg_lo:[0,0,1] neg_hi:[0,0,1]
	v_mov_b32_e32 v35, v97
	ds_store_b64 v58, v[34:35]
.LBB60_657:                             ;   in Loop: Header=BB60_3 Depth=1
	s_or_b32 exec_lo, exec_lo, s53
	s_wait_dscnt 0x0
	s_barrier_signal -1
	s_barrier_wait -1
	s_and_saveexec_b32 s53, s39
	s_cbranch_execz .LBB60_659
; %bb.658:                              ;   in Loop: Header=BB60_3 Depth=1
	ds_load_b64 v[36:37], v57 offset:21312
	ds_load_b64 v[38:39], v58
	s_wait_dscnt 0x0
	v_pk_mul_f32 v[96:97], v[38:39], v[36:37] op_sel:[1,1] op_sel_hi:[0,1]
	s_delay_alu instid0(VALU_DEP_1) | instskip(SKIP_1) | instid1(VALU_DEP_2)
	v_pk_fma_f32 v[98:99], v[38:39], v[36:37], v[96:97] op_sel_hi:[1,0,1]
	v_pk_fma_f32 v[36:37], v[38:39], v[36:37], v[96:97] op_sel_hi:[1,0,1] neg_lo:[0,0,1] neg_hi:[0,0,1]
	v_mov_b32_e32 v37, v99
	s_delay_alu instid0(VALU_DEP_1)
	v_pk_add_f32 v[34:35], v[34:35], v[36:37]
.LBB60_659:                             ;   in Loop: Header=BB60_3 Depth=1
	s_or_b32 exec_lo, exec_lo, s53
	s_barrier_signal -1
	s_barrier_wait -1
	s_and_saveexec_b32 s53, s40
	s_cbranch_execz .LBB60_661
; %bb.660:                              ;   in Loop: Header=BB60_3 Depth=1
	ds_load_b64 v[36:37], v5 offset:21840
	s_wait_dscnt 0x0
	v_pk_mul_f32 v[38:39], v[34:35], v[36:37] op_sel:[1,1] op_sel_hi:[1,0]
	s_delay_alu instid0(VALU_DEP_1) | instskip(SKIP_1) | instid1(VALU_DEP_2)
	v_pk_fma_f32 v[96:97], v[34:35], v[36:37], v[38:39] op_sel_hi:[0,1,1]
	v_pk_fma_f32 v[34:35], v[34:35], v[36:37], v[38:39] op_sel_hi:[0,1,1] neg_lo:[0,0,1] neg_hi:[0,0,1]
	v_mov_b32_e32 v35, v97
	ds_store_b64 v58, v[34:35]
.LBB60_661:                             ;   in Loop: Header=BB60_3 Depth=1
	s_or_b32 exec_lo, exec_lo, s53
	s_wait_dscnt 0x0
	s_barrier_signal -1
	s_barrier_wait -1
	s_and_saveexec_b32 s53, s41
	s_cbranch_execz .LBB60_663
; %bb.662:                              ;   in Loop: Header=BB60_3 Depth=1
	ds_load_b64 v[36:37], v57 offset:21824
	ds_load_b64 v[38:39], v58
	s_wait_dscnt 0x0
	v_pk_mul_f32 v[96:97], v[38:39], v[36:37] op_sel:[1,1] op_sel_hi:[0,1]
	s_delay_alu instid0(VALU_DEP_1) | instskip(SKIP_1) | instid1(VALU_DEP_2)
	v_pk_fma_f32 v[98:99], v[38:39], v[36:37], v[96:97] op_sel_hi:[1,0,1]
	v_pk_fma_f32 v[36:37], v[38:39], v[36:37], v[96:97] op_sel_hi:[1,0,1] neg_lo:[0,0,1] neg_hi:[0,0,1]
	v_mov_b32_e32 v37, v99
	s_delay_alu instid0(VALU_DEP_1)
	v_pk_add_f32 v[34:35], v[34:35], v[36:37]
.LBB60_663:                             ;   in Loop: Header=BB60_3 Depth=1
	;; [unrolled: 33-line block ×3, first 2 shown]
	s_or_b32 exec_lo, exec_lo, s53
	s_barrier_signal -1
	s_barrier_wait -1
	s_and_saveexec_b32 s53, s44
	s_cbranch_execz .LBB60_669
; %bb.668:                              ;   in Loop: Header=BB60_3 Depth=1
	ds_load_b64 v[36:37], v5 offset:22880
	s_wait_dscnt 0x0
	v_dual_mul_f32 v38, v34, v37 :: v_dual_mul_f32 v40, v35, v37
	s_delay_alu instid0(VALU_DEP_1) | instskip(NEXT) | instid1(VALU_DEP_2)
	v_pk_fma_f32 v[38:39], v[34:35], v[36:37], v[38:39] op_sel:[0,1,0] op_sel_hi:[1,0,0]
	v_pk_fma_f32 v[36:37], v[34:35], v[36:37], v[40:41] op_sel_hi:[1,1,0] neg_lo:[0,0,1] neg_hi:[0,0,1]
	s_delay_alu instid0(VALU_DEP_2) | instskip(NEXT) | instid1(VALU_DEP_1)
	v_mov_b32_e32 v37, v39
	v_mov_b64_e32 v[34:35], v[36:37]
	ds_store_b64 v58, v[36:37]
.LBB60_669:                             ;   in Loop: Header=BB60_3 Depth=1
	s_or_b32 exec_lo, exec_lo, s53
	s_wait_dscnt 0x0
	s_barrier_signal -1
	s_barrier_wait -1
	s_and_saveexec_b32 s53, s45
	s_cbranch_execz .LBB60_671
; %bb.670:                              ;   in Loop: Header=BB60_3 Depth=1
	ds_load_b64 v[36:37], v57 offset:22848
	ds_load_b64 v[38:39], v58
	s_wait_dscnt 0x0
	v_dual_mul_f32 v40, v39, v37 :: v_dual_mul_f32 v97, v38, v37
	s_delay_alu instid0(VALU_DEP_1) | instskip(NEXT) | instid1(VALU_DEP_1)
	v_dual_fma_f32 v96, v38, v36, -v40 :: v_dual_fmac_f32 v97, v39, v36
	v_pk_add_f32 v[34:35], v[34:35], v[96:97]
.LBB60_671:                             ;   in Loop: Header=BB60_3 Depth=1
	s_or_b32 exec_lo, exec_lo, s53
	s_barrier_signal -1
	s_barrier_wait -1
	s_and_saveexec_b32 s53, s46
	s_cbranch_execz .LBB60_673
; %bb.672:                              ;   in Loop: Header=BB60_3 Depth=1
	ds_load_b64 v[36:37], v5 offset:23400
	s_wait_dscnt 0x0
	v_pk_mul_f32 v[38:39], v[34:35], v[36:37] op_sel:[1,1] op_sel_hi:[1,0]
	s_delay_alu instid0(VALU_DEP_1) | instskip(SKIP_1) | instid1(VALU_DEP_2)
	v_pk_fma_f32 v[96:97], v[34:35], v[36:37], v[38:39] op_sel_hi:[0,1,1]
	v_pk_fma_f32 v[36:37], v[34:35], v[36:37], v[38:39] neg_lo:[0,0,1] neg_hi:[0,0,1]
	v_mov_b32_e32 v37, v97
	s_delay_alu instid0(VALU_DEP_1)
	v_mov_b64_e32 v[34:35], v[36:37]
	ds_store_b64 v58, v[36:37]
.LBB60_673:                             ;   in Loop: Header=BB60_3 Depth=1
	s_or_b32 exec_lo, exec_lo, s53
	s_wait_dscnt 0x0
	s_barrier_signal -1
	s_barrier_wait -1
	s_and_saveexec_b32 s53, s47
	s_cbranch_execz .LBB60_675
; %bb.674:                              ;   in Loop: Header=BB60_3 Depth=1
	ds_load_b64 v[36:37], v57 offset:23360
	ds_load_b64 v[38:39], v58
	s_wait_dscnt 0x0
	v_pk_mul_f32 v[96:97], v[38:39], v[36:37] op_sel:[1,1] op_sel_hi:[0,1]
	s_delay_alu instid0(VALU_DEP_1) | instskip(SKIP_1) | instid1(VALU_DEP_2)
	v_pk_fma_f32 v[98:99], v[38:39], v[36:37], v[96:97] op_sel_hi:[1,0,1]
	v_pk_fma_f32 v[36:37], v[38:39], v[36:37], v[96:97] neg_lo:[0,0,1] neg_hi:[0,0,1]
	v_mov_b32_e32 v37, v99
	s_delay_alu instid0(VALU_DEP_1)
	v_pk_add_f32 v[34:35], v[34:35], v[36:37]
.LBB60_675:                             ;   in Loop: Header=BB60_3 Depth=1
	s_or_b32 exec_lo, exec_lo, s53
	s_barrier_signal -1
	s_barrier_wait -1
	s_and_saveexec_b32 s53, s48
	s_cbranch_execz .LBB60_677
; %bb.676:                              ;   in Loop: Header=BB60_3 Depth=1
	ds_load_b64 v[36:37], v5 offset:23920
	s_wait_dscnt 0x0
	v_pk_mul_f32 v[38:39], v[34:35], v[36:37] op_sel:[1,1] op_sel_hi:[1,0]
	s_delay_alu instid0(VALU_DEP_1) | instskip(SKIP_1) | instid1(VALU_DEP_2)
	v_pk_fma_f32 v[96:97], v[34:35], v[36:37], v[38:39] op_sel_hi:[0,1,1]
	v_pk_fma_f32 v[36:37], v[34:35], v[36:37], v[38:39] neg_lo:[0,0,1] neg_hi:[0,0,1]
	v_mov_b32_e32 v37, v97
	s_delay_alu instid0(VALU_DEP_1)
	v_mov_b64_e32 v[34:35], v[36:37]
	ds_store_b64 v58, v[36:37]
.LBB60_677:                             ;   in Loop: Header=BB60_3 Depth=1
	s_or_b32 exec_lo, exec_lo, s53
	s_wait_dscnt 0x0
	s_barrier_signal -1
	s_barrier_wait -1
	s_and_saveexec_b32 s53, s49
	s_cbranch_execz .LBB60_679
; %bb.678:                              ;   in Loop: Header=BB60_3 Depth=1
	ds_load_b64 v[36:37], v5 offset:23928
	ds_load_b64 v[38:39], v58
	s_wait_dscnt 0x0
	v_pk_mul_f32 v[96:97], v[38:39], v[36:37] op_sel:[1,1] op_sel_hi:[0,1]
	s_delay_alu instid0(VALU_DEP_1) | instskip(SKIP_1) | instid1(VALU_DEP_2)
	v_pk_fma_f32 v[98:99], v[38:39], v[36:37], v[96:97] op_sel_hi:[1,0,1]
	v_pk_fma_f32 v[36:37], v[38:39], v[36:37], v[96:97] neg_lo:[0,0,1] neg_hi:[0,0,1]
	v_mov_b32_e32 v37, v99
	s_delay_alu instid0(VALU_DEP_1)
	v_pk_add_f32 v[34:35], v[34:35], v[36:37]
.LBB60_679:                             ;   in Loop: Header=BB60_3 Depth=1
	s_or_b32 exec_lo, exec_lo, s53
	s_barrier_signal -1
	s_barrier_wait -1
	s_and_saveexec_b32 s53, s49
	s_cbranch_execz .LBB60_681
; %bb.680:                              ;   in Loop: Header=BB60_3 Depth=1
	ds_load_b64 v[36:37], v5 offset:24440
	s_wait_dscnt 0x0
	v_pk_mul_f32 v[38:39], v[34:35], v[36:37] op_sel:[1,1] op_sel_hi:[1,0]
	s_delay_alu instid0(VALU_DEP_1) | instskip(SKIP_1) | instid1(VALU_DEP_2)
	v_pk_fma_f32 v[96:97], v[34:35], v[36:37], v[38:39] op_sel_hi:[0,1,1]
	v_pk_fma_f32 v[36:37], v[34:35], v[36:37], v[38:39] neg_lo:[0,0,1] neg_hi:[0,0,1]
	v_mov_b32_e32 v37, v97
	s_delay_alu instid0(VALU_DEP_1)
	v_mov_b64_e32 v[34:35], v[36:37]
	ds_store_b64 v58, v[36:37]
.LBB60_681:                             ;   in Loop: Header=BB60_3 Depth=1
	s_or_b32 exec_lo, exec_lo, s53
	s_wait_dscnt 0x0
	s_barrier_signal -1
	s_barrier_wait -1
	s_barrier_signal -1
	s_barrier_wait -1
	s_and_saveexec_b32 s53, s3
; %bb.682:                              ;   in Loop: Header=BB60_3 Depth=1
	v_pk_add_f32 v[34:35], v[34:35], 0 neg_lo:[1,1] neg_hi:[1,1]
	ds_store_b64 v59, v[34:35] offset:16704
; %bb.683:                              ;   in Loop: Header=BB60_3 Depth=1
	s_or_b32 exec_lo, exec_lo, s53
	s_wait_dscnt 0x0
	s_barrier_signal -1
	s_barrier_wait -1
	s_barrier_signal -1
	s_barrier_wait -1
	s_and_saveexec_b32 s53, s50
	s_cbranch_execz .LBB60_685
; %bb.684:                              ;   in Loop: Header=BB60_3 Depth=1
	ds_load_b64 v[34:35], v70 offset:16704
	s_wait_dscnt 0x0
	ds_store_b64 v71, v[34:35] offset:20736
	ds_load_b64 v[34:35], v70 offset:16712
	s_wait_dscnt 0x0
	ds_store_b64 v71, v[34:35] offset:21248
	;; [unrolled: 3-line block ×8, first 2 shown]
.LBB60_685:                             ;   in Loop: Header=BB60_3 Depth=1
	s_or_b32 exec_lo, exec_lo, s53
	s_wait_dscnt 0x0
	s_barrier_signal -1
	s_barrier_wait -1
	s_and_saveexec_b32 s53, s14
	s_cbranch_execz .LBB60_687
; %bb.686:                              ;   in Loop: Header=BB60_3 Depth=1
	ds_load_b128 v[34:37], v5 offset:20800
	ds_load_b64 v[38:39], v5 offset:21320
	s_wait_dscnt 0x1
	v_dual_mov_b32 v96, v37 :: v_dual_mov_b32 v97, v36
	s_wait_dscnt 0x0
	v_dual_mul_f32 v95, v39, v35 :: v_dual_mul_f32 v40, v38, v35
	s_delay_alu instid0(VALU_DEP_1) | instskip(NEXT) | instid1(VALU_DEP_1)
	v_xor_b32_e32 v98, 0x80000000, v95
	v_dual_fmac_f32 v40, v39, v34 :: v_dual_fmac_f32 v98, v38, v34
	s_delay_alu instid0(VALU_DEP_1) | instskip(NEXT) | instid1(VALU_DEP_1)
	v_pk_mul_f32 v[34:35], v[40:41], v[96:97] op_sel_hi:[0,1]
	v_pk_fma_f32 v[38:39], v[98:99], v[36:37], v[34:35] op_sel_hi:[0,1,1]
	v_pk_fma_f32 v[34:35], v[98:99], v[36:37], v[34:35] neg_lo:[0,0,1] neg_hi:[0,0,1]
	v_add_nc_u32_e64 v36, 0x5000, 0
	s_delay_alu instid0(VALU_DEP_3)
	v_mov_b32_e32 v35, v39
	ds_store_2addr_b64 v36, v[34:35], v[34:35] offset0:41 offset1:104
.LBB60_687:                             ;   in Loop: Header=BB60_3 Depth=1
	s_or_b32 exec_lo, exec_lo, s53
	v_mov_b32_e32 v35, 0
	s_wait_dscnt 0x0
	s_barrier_signal -1
	s_barrier_wait -1
	s_delay_alu instid0(VALU_DEP_1)
	v_mov_b32_e32 v34, v35
	s_and_saveexec_b32 s53, s0
	s_cbranch_execz .LBB60_691
; %bb.688:                              ;   in Loop: Header=BB60_3 Depth=1
	ds_load_b64 v[34:35], v42 offset:20816
	ds_load_b64 v[36:37], v43 offset:20800
	s_wait_dscnt 0x0
	v_dual_mul_f32 v38, v37, v35 :: v_dual_mul_f32 v39, v36, v35
	s_delay_alu instid0(VALU_DEP_1) | instskip(NEXT) | instid1(VALU_DEP_1)
	v_dual_fma_f32 v38, v36, v34, -v38 :: v_dual_fmac_f32 v39, v37, v34
	v_pk_add_f32 v[34:35], v[38:39], 0 op_sel_hi:[1,0]
	s_and_saveexec_b32 s54, s15
	s_cbranch_execz .LBB60_690
; %bb.689:                              ;   in Loop: Header=BB60_3 Depth=1
	ds_load_b64 v[36:37], v71 offset:21328
	ds_load_b64 v[38:39], v5 offset:20808
	s_wait_dscnt 0x0
	v_pk_mul_f32 v[96:97], v[38:39], v[36:37] op_sel:[1,1] op_sel_hi:[0,1]
	s_delay_alu instid0(VALU_DEP_1) | instskip(SKIP_1) | instid1(VALU_DEP_2)
	v_pk_fma_f32 v[98:99], v[38:39], v[36:37], v[96:97] op_sel_hi:[1,0,1]
	v_pk_fma_f32 v[36:37], v[38:39], v[36:37], v[96:97] neg_lo:[0,0,1] neg_hi:[0,0,1]
	v_mov_b32_e32 v37, v99
	s_delay_alu instid0(VALU_DEP_1)
	v_pk_add_f32 v[34:35], v[34:35], v[36:37]
.LBB60_690:                             ;   in Loop: Header=BB60_3 Depth=1
	s_or_b32 exec_lo, exec_lo, s54
	s_delay_alu instid0(VALU_DEP_1)
	v_pk_add_f32 v[34:35], v[34:35], 0 neg_lo:[1,1] neg_hi:[1,1]
.LBB60_691:                             ;   in Loop: Header=BB60_3 Depth=1
	s_or_b32 exec_lo, exec_lo, s53
	s_and_saveexec_b32 s53, s94
	s_cbranch_execz .LBB60_693
; %bb.692:                              ;   in Loop: Header=BB60_3 Depth=1
	ds_load_b64 v[36:37], v5 offset:21840
	s_wait_dscnt 0x0
	v_pk_mul_f32 v[38:39], v[34:35], v[36:37] op_sel:[1,1] op_sel_hi:[1,0]
	s_delay_alu instid0(VALU_DEP_1) | instskip(SKIP_1) | instid1(VALU_DEP_2)
	v_pk_fma_f32 v[96:97], v[34:35], v[36:37], v[38:39] op_sel_hi:[0,1,1]
	v_pk_fma_f32 v[36:37], v[34:35], v[36:37], v[38:39] neg_lo:[0,0,1] neg_hi:[0,0,1]
	v_mov_b32_e32 v37, v97
	s_delay_alu instid0(VALU_DEP_1)
	v_mov_b64_e32 v[34:35], v[36:37]
	ds_store_b64 v3, v[36:37]
.LBB60_693:                             ;   in Loop: Header=BB60_3 Depth=1
	s_or_b32 exec_lo, exec_lo, s53
	s_wait_dscnt 0x0
	s_barrier_signal -1
	s_barrier_wait -1
	s_and_saveexec_b32 s53, s95
	s_cbranch_execz .LBB60_695
; %bb.694:                              ;   in Loop: Header=BB60_3 Depth=1
	ds_load_b64 v[36:37], v5 offset:21848
	ds_load_b64 v[38:39], v3
	s_wait_dscnt 0x0
	v_pk_mul_f32 v[96:97], v[38:39], v[36:37] op_sel:[1,1] op_sel_hi:[0,1]
	s_delay_alu instid0(VALU_DEP_1) | instskip(SKIP_1) | instid1(VALU_DEP_2)
	v_pk_fma_f32 v[98:99], v[38:39], v[36:37], v[96:97] op_sel_hi:[1,0,1]
	v_pk_fma_f32 v[36:37], v[38:39], v[36:37], v[96:97] neg_lo:[0,0,1] neg_hi:[0,0,1]
	v_mov_b32_e32 v37, v99
	s_delay_alu instid0(VALU_DEP_1)
	v_pk_add_f32 v[34:35], v[34:35], v[36:37]
.LBB60_695:                             ;   in Loop: Header=BB60_3 Depth=1
	s_or_b32 exec_lo, exec_lo, s53
	s_barrier_signal -1
	s_barrier_wait -1
	s_and_saveexec_b32 s53, s95
	s_cbranch_execz .LBB60_697
; %bb.696:                              ;   in Loop: Header=BB60_3 Depth=1
	ds_load_b64 v[36:37], v5 offset:22360
	s_wait_dscnt 0x0
	v_pk_mul_f32 v[38:39], v[34:35], v[36:37] op_sel:[1,1] op_sel_hi:[1,0]
	s_delay_alu instid0(VALU_DEP_1) | instskip(SKIP_1) | instid1(VALU_DEP_2)
	v_pk_fma_f32 v[96:97], v[34:35], v[36:37], v[38:39] op_sel_hi:[0,1,1]
	v_pk_fma_f32 v[36:37], v[34:35], v[36:37], v[38:39] neg_lo:[0,0,1] neg_hi:[0,0,1]
	v_mov_b32_e32 v37, v97
	s_delay_alu instid0(VALU_DEP_1)
	v_mov_b64_e32 v[34:35], v[36:37]
	ds_store_b64 v3, v[36:37]
.LBB60_697:                             ;   in Loop: Header=BB60_3 Depth=1
	s_or_b32 exec_lo, exec_lo, s53
	s_wait_dscnt 0x0
	s_barrier_signal -1
	s_barrier_wait -1
	s_barrier_signal -1
	s_barrier_wait -1
	s_and_saveexec_b32 s53, s0
; %bb.698:                              ;   in Loop: Header=BB60_3 Depth=1
	v_pk_add_f32 v[34:35], v[34:35], 0 neg_lo:[1,1] neg_hi:[1,1]
	ds_store_b64 v42, v[34:35] offset:20816
; %bb.699:                              ;   in Loop: Header=BB60_3 Depth=1
	s_or_b32 exec_lo, exec_lo, s53
	s_wait_dscnt 0x0
	s_barrier_signal -1
	s_barrier_wait -1
	s_barrier_signal -1
	s_barrier_wait -1
	s_and_saveexec_b32 s53, s96
	s_cbranch_execz .LBB60_701
; %bb.700:                              ;   in Loop: Header=BB60_3 Depth=1
	ds_load_b64 v[34:35], v72 offset:20816
	s_wait_dscnt 0x0
	ds_store_b64 v71, v[34:35] offset:21824
	ds_load_b64 v[34:35], v72 offset:20824
	s_wait_dscnt 0x0
	ds_store_b64 v71, v[34:35] offset:22336
.LBB60_701:                             ;   in Loop: Header=BB60_3 Depth=1
	s_or_b32 exec_lo, exec_lo, s53
	s_wait_dscnt 0x0
	s_barrier_signal -1
	s_barrier_wait -1
	s_and_saveexec_b32 s53, s14
	s_cbranch_execz .LBB60_703
; %bb.702:                              ;   in Loop: Header=BB60_3 Depth=1
	ds_load_b128 v[34:37], v5 offset:21840
	ds_load_b64 v[38:39], v5 offset:22360
	s_wait_dscnt 0x1
	v_dual_mov_b32 v96, v37 :: v_dual_mov_b32 v97, v36
	s_wait_dscnt 0x0
	v_dual_mul_f32 v95, v39, v35 :: v_dual_mul_f32 v40, v38, v35
	s_delay_alu instid0(VALU_DEP_1) | instskip(NEXT) | instid1(VALU_DEP_1)
	v_xor_b32_e32 v98, 0x80000000, v95
	v_dual_fmac_f32 v40, v39, v34 :: v_dual_fmac_f32 v98, v38, v34
	s_delay_alu instid0(VALU_DEP_1) | instskip(NEXT) | instid1(VALU_DEP_1)
	v_pk_mul_f32 v[34:35], v[40:41], v[96:97] op_sel_hi:[0,1]
	v_pk_fma_f32 v[38:39], v[98:99], v[36:37], v[34:35] op_sel_hi:[0,1,1]
	v_pk_fma_f32 v[34:35], v[98:99], v[36:37], v[34:35] neg_lo:[0,0,1] neg_hi:[0,0,1]
	v_add_nc_u32_e64 v36, 0x5000, 0
	s_delay_alu instid0(VALU_DEP_3)
	v_mov_b32_e32 v35, v39
	ds_store_2addr_b64 v36, v[34:35], v[34:35] offset0:171 offset1:234
.LBB60_703:                             ;   in Loop: Header=BB60_3 Depth=1
	s_or_b32 exec_lo, exec_lo, s53
	v_mov_b32_e32 v34, 0
	s_wait_dscnt 0x0
	s_barrier_signal -1
	s_barrier_wait -1
	s_delay_alu instid0(VALU_DEP_1)
	v_mov_b32_e32 v35, v34
	s_and_saveexec_b32 s65, s2
	s_cbranch_execz .LBB60_709
; %bb.704:                              ;   in Loop: Header=BB60_3 Depth=1
	ds_load_b64 v[34:35], v49 offset:20832
	ds_load_b64 v[36:37], v45 offset:20800
	s_wait_dscnt 0x0
	v_pk_mul_f32 v[38:39], v[36:37], v[34:35] op_sel:[0,1]
	s_delay_alu instid0(VALU_DEP_1) | instskip(SKIP_1) | instid1(VALU_DEP_2)
	v_pk_fma_f32 v[96:97], v[36:37], v[34:35], v[38:39] op_sel:[1,0,0] op_sel_hi:[0,0,1] neg_lo:[0,0,1] neg_hi:[0,0,1]
	v_pk_fma_f32 v[34:35], v[36:37], v[34:35], v[38:39] op_sel:[1,0,0] op_sel_hi:[0,1,1]
	v_mov_b32_e32 v35, v97
	s_delay_alu instid0(VALU_DEP_1)
	v_pk_add_f32 v[34:35], v[34:35], 0 op_sel_hi:[1,0]
	s_and_saveexec_b32 s53, s16
	s_cbranch_execnz .LBB60_1158
; %bb.705:                              ;   in Loop: Header=BB60_3 Depth=1
	s_or_b32 exec_lo, exec_lo, s53
	s_and_saveexec_b32 s53, s17
	s_cbranch_execnz .LBB60_1159
.LBB60_706:                             ;   in Loop: Header=BB60_3 Depth=1
	s_or_b32 exec_lo, exec_lo, s53
	s_and_saveexec_b32 s53, s0
	s_cbranch_execz .LBB60_708
.LBB60_707:                             ;   in Loop: Header=BB60_3 Depth=1
	ds_load_b64 v[36:37], v73 offset:22368
	ds_load_b64 v[38:39], v5 offset:20824
	s_wait_dscnt 0x0
	v_pk_mul_f32 v[96:97], v[38:39], v[36:37] op_sel:[0,1]
	s_delay_alu instid0(VALU_DEP_1) | instskip(SKIP_1) | instid1(VALU_DEP_2)
	v_pk_fma_f32 v[98:99], v[38:39], v[36:37], v[96:97] op_sel:[1,0,0] op_sel_hi:[0,0,1] neg_lo:[0,0,1] neg_hi:[0,0,1]
	v_pk_fma_f32 v[36:37], v[38:39], v[36:37], v[96:97] op_sel:[1,0,0] op_sel_hi:[0,1,1]
	v_mov_b32_e32 v37, v99
	s_delay_alu instid0(VALU_DEP_1)
	v_pk_add_f32 v[34:35], v[34:35], v[36:37]
.LBB60_708:                             ;   in Loop: Header=BB60_3 Depth=1
	s_or_b32 exec_lo, exec_lo, s53
	s_delay_alu instid0(VALU_DEP_1) | instskip(NEXT) | instid1(VALU_DEP_1)
	v_pk_add_f32 v[36:37], v[34:35], 0 neg_lo:[1,1] neg_hi:[1,1]
	v_dual_mov_b32 v34, v37 :: v_dual_mov_b32 v35, v36
.LBB60_709:                             ;   in Loop: Header=BB60_3 Depth=1
	s_or_b32 exec_lo, exec_lo, s65
	s_and_saveexec_b32 s53, s97
	s_cbranch_execz .LBB60_711
; %bb.710:                              ;   in Loop: Header=BB60_3 Depth=1
	ds_load_b64 v[36:37], v5 offset:22880
	v_dual_mov_b32 v38, v35 :: v_dual_mov_b32 v39, v34
	s_wait_dscnt 0x0
	s_delay_alu instid0(VALU_DEP_1) | instskip(NEXT) | instid1(VALU_DEP_1)
	v_dual_mul_f32 v40, v38, v36 :: v_dual_mul_f32 v96, v35, v37
	v_pk_fma_f32 v[38:39], v[38:39], v[36:37], v[40:41] op_sel_hi:[1,1,0]
	s_delay_alu instid0(VALU_DEP_2) | instskip(NEXT) | instid1(VALU_DEP_2)
	v_pk_fma_f32 v[34:35], v[34:35], v[36:37], v[96:97] op_sel_hi:[1,1,0] neg_lo:[0,0,1] neg_hi:[0,0,1]
	v_mov_b32_e32 v35, v39
	ds_store_b64 v48, v[34:35]
.LBB60_711:                             ;   in Loop: Header=BB60_3 Depth=1
	s_or_b32 exec_lo, exec_lo, s53
	s_wait_dscnt 0x0
	s_barrier_signal -1
	s_barrier_wait -1
	s_and_saveexec_b32 s53, s98
	s_cbranch_execz .LBB60_713
; %bb.712:                              ;   in Loop: Header=BB60_3 Depth=1
	ds_load_b64 v[36:37], v46 offset:22880
	ds_load_b64 v[38:39], v48
	s_wait_dscnt 0x0
	v_dual_mul_f32 v40, v39, v37 :: v_dual_mul_f32 v97, v38, v37
	s_delay_alu instid0(VALU_DEP_1) | instskip(NEXT) | instid1(VALU_DEP_1)
	v_dual_fma_f32 v96, v38, v36, -v40 :: v_dual_fmac_f32 v97, v39, v36
	v_pk_add_f32 v[34:35], v[34:35], v[96:97]
.LBB60_713:                             ;   in Loop: Header=BB60_3 Depth=1
	s_or_b32 exec_lo, exec_lo, s53
	s_barrier_signal -1
	s_barrier_wait -1
	s_and_saveexec_b32 s53, s99
	s_cbranch_execz .LBB60_715
; %bb.714:                              ;   in Loop: Header=BB60_3 Depth=1
	ds_load_b64 v[36:37], v5 offset:23400
	s_wait_dscnt 0x0
	v_pk_mul_f32 v[38:39], v[34:35], v[36:37] op_sel:[1,1] op_sel_hi:[1,0]
	s_delay_alu instid0(VALU_DEP_1) | instskip(SKIP_1) | instid1(VALU_DEP_2)
	v_pk_fma_f32 v[96:97], v[34:35], v[36:37], v[38:39] op_sel_hi:[0,1,1]
	v_pk_fma_f32 v[36:37], v[34:35], v[36:37], v[38:39] neg_lo:[0,0,1] neg_hi:[0,0,1]
	v_mov_b32_e32 v37, v97
	s_delay_alu instid0(VALU_DEP_1)
	v_mov_b64_e32 v[34:35], v[36:37]
	ds_store_b64 v48, v[36:37]
.LBB60_715:                             ;   in Loop: Header=BB60_3 Depth=1
	s_or_b32 exec_lo, exec_lo, s53
	s_wait_dscnt 0x0
	s_barrier_signal -1
	s_barrier_wait -1
	s_and_saveexec_b32 s53, s100
	s_cbranch_execz .LBB60_717
; %bb.716:                              ;   in Loop: Header=BB60_3 Depth=1
	ds_load_b64 v[36:37], v46 offset:23392
	ds_load_b64 v[38:39], v48
	s_wait_dscnt 0x0
	v_pk_mul_f32 v[96:97], v[38:39], v[36:37] op_sel:[1,1] op_sel_hi:[0,1]
	s_delay_alu instid0(VALU_DEP_1) | instskip(SKIP_1) | instid1(VALU_DEP_2)
	v_pk_fma_f32 v[98:99], v[38:39], v[36:37], v[96:97] op_sel_hi:[1,0,1]
	v_pk_fma_f32 v[36:37], v[38:39], v[36:37], v[96:97] neg_lo:[0,0,1] neg_hi:[0,0,1]
	v_mov_b32_e32 v37, v99
	s_delay_alu instid0(VALU_DEP_1)
	v_pk_add_f32 v[34:35], v[34:35], v[36:37]
.LBB60_717:                             ;   in Loop: Header=BB60_3 Depth=1
	s_or_b32 exec_lo, exec_lo, s53
	s_barrier_signal -1
	s_barrier_wait -1
	s_and_saveexec_b32 s53, s101
	s_cbranch_execz .LBB60_719
; %bb.718:                              ;   in Loop: Header=BB60_3 Depth=1
	ds_load_b64 v[36:37], v5 offset:23920
	s_wait_dscnt 0x0
	v_pk_mul_f32 v[38:39], v[34:35], v[36:37] op_sel:[1,1] op_sel_hi:[1,0]
	s_delay_alu instid0(VALU_DEP_1) | instskip(SKIP_1) | instid1(VALU_DEP_2)
	v_pk_fma_f32 v[96:97], v[34:35], v[36:37], v[38:39] op_sel_hi:[0,1,1]
	v_pk_fma_f32 v[36:37], v[34:35], v[36:37], v[38:39] neg_lo:[0,0,1] neg_hi:[0,0,1]
	v_mov_b32_e32 v37, v97
	s_delay_alu instid0(VALU_DEP_1)
	v_mov_b64_e32 v[34:35], v[36:37]
	ds_store_b64 v48, v[36:37]
.LBB60_719:                             ;   in Loop: Header=BB60_3 Depth=1
	s_or_b32 exec_lo, exec_lo, s53
	s_wait_dscnt 0x0
	s_barrier_signal -1
	s_barrier_wait -1
	s_and_saveexec_b32 s53, s102
	s_cbranch_execz .LBB60_721
; %bb.720:                              ;   in Loop: Header=BB60_3 Depth=1
	ds_load_b64 v[36:37], v5 offset:23928
	ds_load_b64 v[38:39], v48
	s_wait_dscnt 0x0
	v_pk_mul_f32 v[96:97], v[38:39], v[36:37] op_sel:[1,1] op_sel_hi:[0,1]
	s_delay_alu instid0(VALU_DEP_1) | instskip(SKIP_1) | instid1(VALU_DEP_2)
	v_pk_fma_f32 v[98:99], v[38:39], v[36:37], v[96:97] op_sel_hi:[1,0,1]
	v_pk_fma_f32 v[36:37], v[38:39], v[36:37], v[96:97] neg_lo:[0,0,1] neg_hi:[0,0,1]
	v_mov_b32_e32 v37, v99
	s_delay_alu instid0(VALU_DEP_1)
	v_pk_add_f32 v[34:35], v[34:35], v[36:37]
.LBB60_721:                             ;   in Loop: Header=BB60_3 Depth=1
	s_or_b32 exec_lo, exec_lo, s53
	s_barrier_signal -1
	s_barrier_wait -1
	s_and_saveexec_b32 s53, s102
	s_cbranch_execz .LBB60_723
; %bb.722:                              ;   in Loop: Header=BB60_3 Depth=1
	ds_load_b64 v[36:37], v5 offset:24440
	s_wait_dscnt 0x0
	v_pk_mul_f32 v[38:39], v[34:35], v[36:37] op_sel:[1,1] op_sel_hi:[1,0]
	s_delay_alu instid0(VALU_DEP_1) | instskip(SKIP_1) | instid1(VALU_DEP_2)
	v_pk_fma_f32 v[96:97], v[34:35], v[36:37], v[38:39] op_sel_hi:[0,1,1]
	v_pk_fma_f32 v[36:37], v[34:35], v[36:37], v[38:39] neg_lo:[0,0,1] neg_hi:[0,0,1]
	v_mov_b32_e32 v37, v97
	s_delay_alu instid0(VALU_DEP_1)
	v_mov_b64_e32 v[34:35], v[36:37]
	ds_store_b64 v48, v[36:37]
.LBB60_723:                             ;   in Loop: Header=BB60_3 Depth=1
	s_or_b32 exec_lo, exec_lo, s53
	s_wait_dscnt 0x0
	s_barrier_signal -1
	s_barrier_wait -1
	s_barrier_signal -1
	s_barrier_wait -1
	s_and_saveexec_b32 s53, s2
; %bb.724:                              ;   in Loop: Header=BB60_3 Depth=1
	v_pk_add_f32 v[34:35], v[34:35], 0 neg_lo:[1,1] neg_hi:[1,1]
	ds_store_b64 v49, v[34:35] offset:20832
; %bb.725:                              ;   in Loop: Header=BB60_3 Depth=1
	s_or_b32 exec_lo, exec_lo, s53
	s_wait_dscnt 0x0
	s_barrier_signal -1
	s_barrier_wait -1
	s_barrier_signal -1
	s_barrier_wait -1
	s_and_saveexec_b32 s53, s103
	s_cbranch_execz .LBB60_727
; %bb.726:                              ;   in Loop: Header=BB60_3 Depth=1
	ds_load_b64 v[34:35], v76 offset:20832
	s_wait_dscnt 0x0
	ds_store_b64 v79, v[34:35] offset:22848
	ds_load_b64 v[34:35], v76 offset:20840
	s_wait_dscnt 0x0
	ds_store_b64 v79, v[34:35] offset:23360
	;; [unrolled: 3-line block ×4, first 2 shown]
.LBB60_727:                             ;   in Loop: Header=BB60_3 Depth=1
	s_or_b32 exec_lo, exec_lo, s53
	s_wait_dscnt 0x0
	s_barrier_signal -1
	s_barrier_wait -1
	s_and_saveexec_b32 s53, s14
	s_cbranch_execz .LBB60_729
; %bb.728:                              ;   in Loop: Header=BB60_3 Depth=1
	ds_load_b128 v[34:37], v5 offset:22880
	ds_load_b64 v[38:39], v5 offset:23400
	s_wait_dscnt 0x1
	v_dual_mov_b32 v96, v37 :: v_dual_mov_b32 v97, v36
	s_wait_dscnt 0x0
	v_dual_mul_f32 v95, v39, v35 :: v_dual_mul_f32 v40, v38, v35
	s_delay_alu instid0(VALU_DEP_1) | instskip(NEXT) | instid1(VALU_DEP_1)
	v_xor_b32_e32 v98, 0x80000000, v95
	v_dual_fmac_f32 v40, v39, v34 :: v_dual_fmac_f32 v98, v38, v34
	s_delay_alu instid0(VALU_DEP_1) | instskip(NEXT) | instid1(VALU_DEP_1)
	v_pk_mul_f32 v[34:35], v[40:41], v[96:97] op_sel_hi:[0,1]
	v_pk_fma_f32 v[38:39], v[98:99], v[36:37], v[34:35] op_sel_hi:[0,1,1]
	v_pk_fma_f32 v[34:35], v[98:99], v[36:37], v[34:35] neg_lo:[0,0,1] neg_hi:[0,0,1]
	v_add_nc_u32_e64 v36, 0x5800, 0
	s_delay_alu instid0(VALU_DEP_3)
	v_mov_b32_e32 v35, v39
	ds_store_2addr_b64 v36, v[34:35], v[34:35] offset0:45 offset1:108
.LBB60_729:                             ;   in Loop: Header=BB60_3 Depth=1
	s_or_b32 exec_lo, exec_lo, s53
	v_mov_b32_e32 v35, 0
	s_wait_dscnt 0x0
	s_barrier_signal -1
	s_barrier_wait -1
	s_delay_alu instid0(VALU_DEP_1)
	v_mov_b32_e32 v34, v35
	s_and_saveexec_b32 s53, s0
	s_cbranch_execz .LBB60_733
; %bb.730:                              ;   in Loop: Header=BB60_3 Depth=1
	ds_load_b64 v[34:35], v42 offset:22896
	ds_load_b64 v[36:37], v43 offset:22880
	s_wait_dscnt 0x0
	v_dual_mul_f32 v38, v37, v35 :: v_dual_mul_f32 v39, v36, v35
	s_delay_alu instid0(VALU_DEP_1) | instskip(NEXT) | instid1(VALU_DEP_1)
	v_dual_fma_f32 v38, v36, v34, -v38 :: v_dual_fmac_f32 v39, v37, v34
	v_pk_add_f32 v[34:35], v[38:39], 0 op_sel_hi:[1,0]
	s_and_saveexec_b32 s54, s15
	s_cbranch_execz .LBB60_732
; %bb.731:                              ;   in Loop: Header=BB60_3 Depth=1
	ds_load_b64 v[36:37], v79 offset:23408
	ds_load_b64 v[38:39], v5 offset:22888
	s_wait_dscnt 0x0
	v_pk_mul_f32 v[96:97], v[38:39], v[36:37] op_sel:[1,1] op_sel_hi:[0,1]
	s_delay_alu instid0(VALU_DEP_1) | instskip(SKIP_1) | instid1(VALU_DEP_2)
	v_pk_fma_f32 v[98:99], v[38:39], v[36:37], v[96:97] op_sel_hi:[1,0,1]
	v_pk_fma_f32 v[36:37], v[38:39], v[36:37], v[96:97] neg_lo:[0,0,1] neg_hi:[0,0,1]
	v_mov_b32_e32 v37, v99
	s_delay_alu instid0(VALU_DEP_1)
	v_pk_add_f32 v[34:35], v[34:35], v[36:37]
.LBB60_732:                             ;   in Loop: Header=BB60_3 Depth=1
	s_or_b32 exec_lo, exec_lo, s54
	s_delay_alu instid0(VALU_DEP_1)
	v_pk_add_f32 v[34:35], v[34:35], 0 neg_lo:[1,1] neg_hi:[1,1]
.LBB60_733:                             ;   in Loop: Header=BB60_3 Depth=1
	s_or_b32 exec_lo, exec_lo, s53
	s_and_saveexec_b32 s53, s94
	s_cbranch_execz .LBB60_735
; %bb.734:                              ;   in Loop: Header=BB60_3 Depth=1
	ds_load_b64 v[36:37], v5 offset:23920
	s_wait_dscnt 0x0
	v_pk_mul_f32 v[38:39], v[34:35], v[36:37] op_sel:[1,1] op_sel_hi:[1,0]
	s_delay_alu instid0(VALU_DEP_1) | instskip(SKIP_1) | instid1(VALU_DEP_2)
	v_pk_fma_f32 v[96:97], v[34:35], v[36:37], v[38:39] op_sel_hi:[0,1,1]
	v_pk_fma_f32 v[36:37], v[34:35], v[36:37], v[38:39] neg_lo:[0,0,1] neg_hi:[0,0,1]
	v_mov_b32_e32 v37, v97
	s_delay_alu instid0(VALU_DEP_1)
	v_mov_b64_e32 v[34:35], v[36:37]
	ds_store_b64 v3, v[36:37]
.LBB60_735:                             ;   in Loop: Header=BB60_3 Depth=1
	s_or_b32 exec_lo, exec_lo, s53
	s_wait_dscnt 0x0
	s_barrier_signal -1
	s_barrier_wait -1
	s_and_saveexec_b32 s53, s95
	s_cbranch_execz .LBB60_737
; %bb.736:                              ;   in Loop: Header=BB60_3 Depth=1
	ds_load_b64 v[36:37], v5 offset:23928
	ds_load_b64 v[38:39], v3
	s_wait_dscnt 0x0
	v_pk_mul_f32 v[96:97], v[38:39], v[36:37] op_sel:[1,1] op_sel_hi:[0,1]
	s_delay_alu instid0(VALU_DEP_1) | instskip(SKIP_1) | instid1(VALU_DEP_2)
	v_pk_fma_f32 v[98:99], v[38:39], v[36:37], v[96:97] op_sel_hi:[1,0,1]
	v_pk_fma_f32 v[36:37], v[38:39], v[36:37], v[96:97] neg_lo:[0,0,1] neg_hi:[0,0,1]
	v_mov_b32_e32 v37, v99
	s_delay_alu instid0(VALU_DEP_1)
	v_pk_add_f32 v[34:35], v[34:35], v[36:37]
.LBB60_737:                             ;   in Loop: Header=BB60_3 Depth=1
	s_or_b32 exec_lo, exec_lo, s53
	s_barrier_signal -1
	s_barrier_wait -1
	s_and_saveexec_b32 s53, s95
	s_cbranch_execz .LBB60_739
; %bb.738:                              ;   in Loop: Header=BB60_3 Depth=1
	ds_load_b64 v[36:37], v5 offset:24440
	s_wait_dscnt 0x0
	v_pk_mul_f32 v[38:39], v[34:35], v[36:37] op_sel:[1,1] op_sel_hi:[1,0]
	s_delay_alu instid0(VALU_DEP_1) | instskip(SKIP_1) | instid1(VALU_DEP_2)
	v_pk_fma_f32 v[96:97], v[34:35], v[36:37], v[38:39] op_sel_hi:[0,1,1]
	v_pk_fma_f32 v[36:37], v[34:35], v[36:37], v[38:39] neg_lo:[0,0,1] neg_hi:[0,0,1]
	v_mov_b32_e32 v37, v97
	s_delay_alu instid0(VALU_DEP_1)
	v_mov_b64_e32 v[34:35], v[36:37]
	ds_store_b64 v3, v[36:37]
.LBB60_739:                             ;   in Loop: Header=BB60_3 Depth=1
	s_or_b32 exec_lo, exec_lo, s53
	s_wait_dscnt 0x0
	s_barrier_signal -1
	s_barrier_wait -1
	s_barrier_signal -1
	s_barrier_wait -1
	s_and_saveexec_b32 s53, s0
; %bb.740:                              ;   in Loop: Header=BB60_3 Depth=1
	v_pk_add_f32 v[34:35], v[34:35], 0 neg_lo:[1,1] neg_hi:[1,1]
	ds_store_b64 v42, v[34:35] offset:22896
; %bb.741:                              ;   in Loop: Header=BB60_3 Depth=1
	s_or_b32 exec_lo, exec_lo, s53
	s_wait_dscnt 0x0
	s_barrier_signal -1
	s_barrier_wait -1
	s_barrier_signal -1
	s_barrier_wait -1
	s_and_saveexec_b32 s53, s96
	s_cbranch_execz .LBB60_743
; %bb.742:                              ;   in Loop: Header=BB60_3 Depth=1
	ds_load_b64 v[34:35], v80 offset:22896
	s_wait_dscnt 0x0
	ds_store_b64 v79, v[34:35] offset:23904
	ds_load_b64 v[34:35], v80 offset:22904
	s_wait_dscnt 0x0
	ds_store_b64 v79, v[34:35] offset:24416
.LBB60_743:                             ;   in Loop: Header=BB60_3 Depth=1
	s_or_b32 exec_lo, exec_lo, s53
	s_wait_dscnt 0x0
	s_barrier_signal -1
	s_barrier_wait -1
	s_and_saveexec_b32 s53, s14
	s_cbranch_execz .LBB60_745
; %bb.744:                              ;   in Loop: Header=BB60_3 Depth=1
	ds_load_b128 v[34:37], v5 offset:23920
	ds_load_b64 v[38:39], v5 offset:24440
	s_wait_dscnt 0x1
	v_dual_mov_b32 v96, v37 :: v_dual_mov_b32 v97, v36
	s_wait_dscnt 0x0
	v_dual_mul_f32 v95, v39, v35 :: v_dual_mul_f32 v40, v38, v35
	s_delay_alu instid0(VALU_DEP_1) | instskip(NEXT) | instid1(VALU_DEP_1)
	v_xor_b32_e32 v98, 0x80000000, v95
	v_dual_fmac_f32 v40, v39, v34 :: v_dual_fmac_f32 v98, v38, v34
	s_delay_alu instid0(VALU_DEP_1) | instskip(NEXT) | instid1(VALU_DEP_1)
	v_pk_mul_f32 v[34:35], v[40:41], v[96:97] op_sel_hi:[0,1]
	v_pk_fma_f32 v[38:39], v[98:99], v[36:37], v[34:35] op_sel_hi:[0,1,1]
	v_pk_fma_f32 v[34:35], v[98:99], v[36:37], v[34:35] neg_lo:[0,0,1] neg_hi:[0,0,1]
	v_add_nc_u32_e64 v36, 0x5800, 0
	s_delay_alu instid0(VALU_DEP_3)
	v_mov_b32_e32 v35, v39
	ds_store_2addr_b64 v36, v[34:35], v[34:35] offset0:175 offset1:238
.LBB60_745:                             ;   in Loop: Header=BB60_3 Depth=1
	s_or_b32 exec_lo, exec_lo, s53
	v_mov_b32_e32 v34, 0
	s_wait_dscnt 0x0
	s_barrier_signal -1
	s_barrier_wait -1
	s_delay_alu instid0(VALU_DEP_1)
	v_mov_b32_e32 v35, v34
	s_and_saveexec_b32 s84, s4
	s_cbranch_execz .LBB60_773
; %bb.746:                              ;   in Loop: Header=BB60_3 Depth=1
	ds_load_b64 v[34:35], v64 offset:16768
	ds_load_b64 v[36:37], v61 offset:16640
	s_wait_dscnt 0x0
	v_dual_mul_f32 v38, v37, v35 :: v_dual_mul_f32 v39, v36, v35
	s_delay_alu instid0(VALU_DEP_1) | instskip(NEXT) | instid1(VALU_DEP_1)
	v_dual_fma_f32 v35, v36, v34, -v38 :: v_dual_fmac_f32 v39, v37, v34
	v_add_f32_e32 v35, 0, v35
	s_delay_alu instid0(VALU_DEP_2) | instskip(SKIP_3) | instid1(SALU_CYCLE_1)
	v_add_f32_e32 v34, 0, v39
	s_mov_b32 s53, exec_lo
	v_readlane_b32 s54, v106, 30
	s_and_b32 s54, s53, s54
	s_mov_b32 exec_lo, s54
	s_cbranch_execz .LBB60_748
; %bb.747:                              ;   in Loop: Header=BB60_3 Depth=1
	ds_load_b64 v[36:37], v65 offset:17280
	ds_load_b64 v[38:39], v61 offset:16648
	s_wait_dscnt 0x0
	v_dual_mul_f32 v40, v39, v37 :: v_dual_mul_f32 v37, v38, v37
	s_delay_alu instid0(VALU_DEP_1) | instskip(NEXT) | instid1(VALU_DEP_1)
	v_dual_fma_f32 v38, v38, v36, -v40 :: v_dual_fmac_f32 v37, v39, v36
	v_dual_add_f32 v35, v35, v38 :: v_dual_add_f32 v34, v34, v37
.LBB60_748:                             ;   in Loop: Header=BB60_3 Depth=1
	s_or_b32 exec_lo, exec_lo, s53
	s_delay_alu instid0(SALU_CYCLE_1) | instskip(SKIP_2) | instid1(SALU_CYCLE_1)
	s_mov_b32 s53, exec_lo
	v_readlane_b32 s54, v106, 31
	s_and_b32 s54, s53, s54
	s_mov_b32 exec_lo, s54
	s_cbranch_execz .LBB60_750
; %bb.749:                              ;   in Loop: Header=BB60_3 Depth=1
	ds_load_b64 v[36:37], v65 offset:17792
	ds_load_b64 v[38:39], v61 offset:16656
	s_wait_dscnt 0x0
	v_dual_mul_f32 v40, v39, v37 :: v_dual_mul_f32 v37, v38, v37
	s_delay_alu instid0(VALU_DEP_1) | instskip(NEXT) | instid1(VALU_DEP_1)
	v_dual_fma_f32 v38, v38, v36, -v40 :: v_dual_fmac_f32 v37, v39, v36
	v_dual_add_f32 v35, v35, v38 :: v_dual_add_f32 v34, v34, v37
.LBB60_750:                             ;   in Loop: Header=BB60_3 Depth=1
	s_or_b32 exec_lo, exec_lo, s53
	s_delay_alu instid0(SALU_CYCLE_1) | instskip(SKIP_2) | instid1(SALU_CYCLE_1)
	;; [unrolled: 16-line block ×10, first 2 shown]
	s_mov_b32 s53, exec_lo
	v_readlane_b32 s54, v105, 8
	s_and_b32 s54, s53, s54
	s_mov_b32 exec_lo, s54
	s_cbranch_execnz .LBB60_1160
; %bb.767:                              ;   in Loop: Header=BB60_3 Depth=1
	s_or_b32 exec_lo, exec_lo, s53
	s_and_saveexec_b32 s53, s3
	s_cbranch_execnz .LBB60_1161
.LBB60_768:                             ;   in Loop: Header=BB60_3 Depth=1
	s_or_b32 exec_lo, exec_lo, s53
	s_and_saveexec_b32 s53, s19
	s_cbranch_execnz .LBB60_1162
.LBB60_769:                             ;   in Loop: Header=BB60_3 Depth=1
	s_or_b32 exec_lo, exec_lo, s53
	s_and_saveexec_b32 s53, s21
	s_cbranch_execnz .LBB60_1163
.LBB60_770:                             ;   in Loop: Header=BB60_3 Depth=1
	s_or_b32 exec_lo, exec_lo, s53
	s_and_saveexec_b32 s53, s2
	s_cbranch_execz .LBB60_772
.LBB60_771:                             ;   in Loop: Header=BB60_3 Depth=1
	ds_load_b64 v[36:37], v44 offset:24448
	ds_load_b64 v[38:39], v5 offset:16760
	s_wait_dscnt 0x0
	v_pk_mul_f32 v[96:97], v[38:39], v[36:37] op_sel:[0,1]
	s_delay_alu instid0(VALU_DEP_1) | instskip(SKIP_1) | instid1(VALU_DEP_2)
	v_pk_fma_f32 v[98:99], v[38:39], v[36:37], v[96:97] op_sel:[1,0,0] op_sel_hi:[0,0,1] neg_lo:[0,0,1] neg_hi:[0,0,1]
	v_pk_fma_f32 v[36:37], v[38:39], v[36:37], v[96:97] op_sel:[1,0,0] op_sel_hi:[0,1,1]
	v_mov_b32_e32 v37, v99
	s_delay_alu instid0(VALU_DEP_1)
	v_pk_add_f32 v[34:35], v[34:35], v[36:37]
.LBB60_772:                             ;   in Loop: Header=BB60_3 Depth=1
	s_or_b32 exec_lo, exec_lo, s53
	s_delay_alu instid0(VALU_DEP_1) | instskip(NEXT) | instid1(VALU_DEP_1)
	v_pk_add_f32 v[36:37], v[34:35], 0 neg_lo:[1,1] neg_hi:[1,1]
	v_dual_mov_b32 v34, v37 :: v_dual_mov_b32 v35, v36
.LBB60_773:                             ;   in Loop: Header=BB60_3 Depth=1
	s_or_b32 exec_lo, exec_lo, s84
	s_delay_alu instid0(SALU_CYCLE_1) | instskip(SKIP_2) | instid1(SALU_CYCLE_1)
	s_mov_b32 s53, exec_lo
	v_readlane_b32 s54, v106, 5
	s_and_b32 s54, s53, s54
	s_mov_b32 exec_lo, s54
	s_cbranch_execz .LBB60_775
; %bb.774:                              ;   in Loop: Header=BB60_3 Depth=1
	ds_load_b64 v[36:37], v5 offset:24960
	v_dual_mov_b32 v38, v35 :: v_dual_mov_b32 v39, v34
	s_wait_dscnt 0x0
	s_delay_alu instid0(VALU_DEP_1) | instskip(NEXT) | instid1(VALU_DEP_1)
	v_dual_mul_f32 v40, v38, v36 :: v_dual_mul_f32 v96, v35, v37
	v_pk_fma_f32 v[38:39], v[38:39], v[36:37], v[40:41] op_sel_hi:[1,1,0]
	s_delay_alu instid0(VALU_DEP_2) | instskip(NEXT) | instid1(VALU_DEP_2)
	v_pk_fma_f32 v[34:35], v[34:35], v[36:37], v[96:97] op_sel_hi:[1,1,0] neg_lo:[0,0,1] neg_hi:[0,0,1]
	v_mov_b32_e32 v35, v39
	ds_store_b64 v63, v[34:35]
.LBB60_775:                             ;   in Loop: Header=BB60_3 Depth=1
	s_or_b32 exec_lo, exec_lo, s53
	s_wait_dscnt 0x0
	s_barrier_signal -1
	s_barrier_wait -1
	s_mov_b32 s53, exec_lo
	v_readlane_b32 s54, v106, 6
	s_and_b32 s54, s53, s54
	s_delay_alu instid0(SALU_CYCLE_1)
	s_mov_b32 exec_lo, s54
	s_cbranch_execz .LBB60_777
; %bb.776:                              ;   in Loop: Header=BB60_3 Depth=1
	ds_load_b64 v[36:37], v62 offset:24960
	ds_load_b64 v[38:39], v63
	s_wait_dscnt 0x0
	v_dual_mul_f32 v40, v39, v37 :: v_dual_mul_f32 v97, v38, v37
	s_delay_alu instid0(VALU_DEP_1) | instskip(NEXT) | instid1(VALU_DEP_1)
	v_dual_fma_f32 v96, v38, v36, -v40 :: v_dual_fmac_f32 v97, v39, v36
	v_pk_add_f32 v[34:35], v[34:35], v[96:97]
.LBB60_777:                             ;   in Loop: Header=BB60_3 Depth=1
	s_or_b32 exec_lo, exec_lo, s53
	s_barrier_signal -1
	s_barrier_wait -1
	s_mov_b32 s53, exec_lo
	v_readlane_b32 s54, v106, 7
	s_and_b32 s54, s53, s54
	s_delay_alu instid0(SALU_CYCLE_1)
	s_mov_b32 exec_lo, s54
	s_cbranch_execz .LBB60_779
; %bb.778:                              ;   in Loop: Header=BB60_3 Depth=1
	ds_load_b64 v[36:37], v5 offset:25480
	s_wait_dscnt 0x0
	v_pk_mul_f32 v[38:39], v[34:35], v[36:37] op_sel:[1,1] op_sel_hi:[1,0]
	s_delay_alu instid0(VALU_DEP_1) | instskip(SKIP_1) | instid1(VALU_DEP_2)
	v_pk_fma_f32 v[96:97], v[34:35], v[36:37], v[38:39] op_sel_hi:[0,1,1]
	v_pk_fma_f32 v[34:35], v[34:35], v[36:37], v[38:39] op_sel_hi:[0,1,1] neg_lo:[0,0,1] neg_hi:[0,0,1]
	v_mov_b32_e32 v35, v97
	ds_store_b64 v63, v[34:35]
.LBB60_779:                             ;   in Loop: Header=BB60_3 Depth=1
	s_or_b32 exec_lo, exec_lo, s53
	s_wait_dscnt 0x0
	s_barrier_signal -1
	s_barrier_wait -1
	s_mov_b32 s53, exec_lo
	v_readlane_b32 s54, v106, 8
	s_and_b32 s54, s53, s54
	s_delay_alu instid0(SALU_CYCLE_1)
	s_mov_b32 exec_lo, s54
	s_cbranch_execz .LBB60_781
; %bb.780:                              ;   in Loop: Header=BB60_3 Depth=1
	ds_load_b64 v[36:37], v62 offset:25472
	ds_load_b64 v[38:39], v63
	s_wait_dscnt 0x0
	v_pk_mul_f32 v[96:97], v[38:39], v[36:37] op_sel:[1,1] op_sel_hi:[0,1]
	s_delay_alu instid0(VALU_DEP_1) | instskip(SKIP_1) | instid1(VALU_DEP_2)
	v_pk_fma_f32 v[98:99], v[38:39], v[36:37], v[96:97] op_sel_hi:[1,0,1]
	v_pk_fma_f32 v[36:37], v[38:39], v[36:37], v[96:97] op_sel_hi:[1,0,1] neg_lo:[0,0,1] neg_hi:[0,0,1]
	v_mov_b32_e32 v37, v99
	s_delay_alu instid0(VALU_DEP_1)
	v_pk_add_f32 v[34:35], v[34:35], v[36:37]
.LBB60_781:                             ;   in Loop: Header=BB60_3 Depth=1
	s_or_b32 exec_lo, exec_lo, s53
	s_barrier_signal -1
	s_barrier_wait -1
	s_mov_b32 s53, exec_lo
	v_readlane_b32 s54, v106, 9
	s_and_b32 s54, s53, s54
	s_delay_alu instid0(SALU_CYCLE_1)
	s_mov_b32 exec_lo, s54
	s_cbranch_execz .LBB60_783
; %bb.782:                              ;   in Loop: Header=BB60_3 Depth=1
	ds_load_b64 v[36:37], v5 offset:26000
	s_wait_dscnt 0x0
	v_pk_mul_f32 v[38:39], v[34:35], v[36:37] op_sel:[1,1] op_sel_hi:[1,0]
	s_delay_alu instid0(VALU_DEP_1) | instskip(SKIP_1) | instid1(VALU_DEP_2)
	v_pk_fma_f32 v[96:97], v[34:35], v[36:37], v[38:39] op_sel_hi:[0,1,1]
	v_pk_fma_f32 v[34:35], v[34:35], v[36:37], v[38:39] op_sel_hi:[0,1,1] neg_lo:[0,0,1] neg_hi:[0,0,1]
	v_mov_b32_e32 v35, v97
	ds_store_b64 v63, v[34:35]
.LBB60_783:                             ;   in Loop: Header=BB60_3 Depth=1
	s_or_b32 exec_lo, exec_lo, s53
	s_wait_dscnt 0x0
	s_barrier_signal -1
	s_barrier_wait -1
	s_mov_b32 s53, exec_lo
	v_readlane_b32 s54, v106, 10
	s_and_b32 s54, s53, s54
	s_delay_alu instid0(SALU_CYCLE_1)
	s_mov_b32 exec_lo, s54
	s_cbranch_execz .LBB60_785
; %bb.784:                              ;   in Loop: Header=BB60_3 Depth=1
	ds_load_b64 v[36:37], v62 offset:25984
	ds_load_b64 v[38:39], v63
	s_wait_dscnt 0x0
	v_pk_mul_f32 v[96:97], v[38:39], v[36:37] op_sel:[1,1] op_sel_hi:[0,1]
	s_delay_alu instid0(VALU_DEP_1) | instskip(SKIP_1) | instid1(VALU_DEP_2)
	v_pk_fma_f32 v[98:99], v[38:39], v[36:37], v[96:97] op_sel_hi:[1,0,1]
	v_pk_fma_f32 v[36:37], v[38:39], v[36:37], v[96:97] op_sel_hi:[1,0,1] neg_lo:[0,0,1] neg_hi:[0,0,1]
	v_mov_b32_e32 v37, v99
	s_delay_alu instid0(VALU_DEP_1)
	v_pk_add_f32 v[34:35], v[34:35], v[36:37]
.LBB60_785:                             ;   in Loop: Header=BB60_3 Depth=1
	s_or_b32 exec_lo, exec_lo, s53
	s_barrier_signal -1
	s_barrier_wait -1
	s_mov_b32 s53, exec_lo
	v_readlane_b32 s54, v106, 11
	s_and_b32 s54, s53, s54
	s_delay_alu instid0(SALU_CYCLE_1)
	s_mov_b32 exec_lo, s54
	s_cbranch_execz .LBB60_787
; %bb.786:                              ;   in Loop: Header=BB60_3 Depth=1
	ds_load_b64 v[36:37], v5 offset:26520
	s_wait_dscnt 0x0
	v_pk_mul_f32 v[38:39], v[34:35], v[36:37] op_sel:[1,1] op_sel_hi:[1,0]
	s_delay_alu instid0(VALU_DEP_1) | instskip(SKIP_1) | instid1(VALU_DEP_2)
	v_pk_fma_f32 v[96:97], v[34:35], v[36:37], v[38:39] op_sel_hi:[0,1,1]
	v_pk_fma_f32 v[34:35], v[34:35], v[36:37], v[38:39] op_sel_hi:[0,1,1] neg_lo:[0,0,1] neg_hi:[0,0,1]
	v_mov_b32_e32 v35, v97
	ds_store_b64 v63, v[34:35]
.LBB60_787:                             ;   in Loop: Header=BB60_3 Depth=1
	s_or_b32 exec_lo, exec_lo, s53
	s_wait_dscnt 0x0
	s_barrier_signal -1
	s_barrier_wait -1
	s_and_saveexec_b32 s53, s58
	s_cbranch_execz .LBB60_789
; %bb.788:                              ;   in Loop: Header=BB60_3 Depth=1
	ds_load_b64 v[36:37], v62 offset:26496
	ds_load_b64 v[38:39], v63
	s_wait_dscnt 0x0
	v_pk_mul_f32 v[96:97], v[38:39], v[36:37] op_sel:[1,1] op_sel_hi:[0,1]
	s_delay_alu instid0(VALU_DEP_1) | instskip(SKIP_1) | instid1(VALU_DEP_2)
	v_pk_fma_f32 v[98:99], v[38:39], v[36:37], v[96:97] op_sel_hi:[1,0,1]
	v_pk_fma_f32 v[36:37], v[38:39], v[36:37], v[96:97] op_sel_hi:[1,0,1] neg_lo:[0,0,1] neg_hi:[0,0,1]
	v_mov_b32_e32 v37, v99
	s_delay_alu instid0(VALU_DEP_1)
	v_pk_add_f32 v[34:35], v[34:35], v[36:37]
.LBB60_789:                             ;   in Loop: Header=BB60_3 Depth=1
	s_or_b32 exec_lo, exec_lo, s53
	s_barrier_signal -1
	s_barrier_wait -1
	s_and_saveexec_b32 s53, s59
	s_cbranch_execz .LBB60_791
; %bb.790:                              ;   in Loop: Header=BB60_3 Depth=1
	ds_load_b64 v[36:37], v5 offset:27040
	s_wait_dscnt 0x0
	v_dual_mul_f32 v38, v34, v37 :: v_dual_mul_f32 v40, v35, v37
	s_delay_alu instid0(VALU_DEP_1) | instskip(NEXT) | instid1(VALU_DEP_2)
	v_pk_fma_f32 v[38:39], v[34:35], v[36:37], v[38:39] op_sel:[0,1,0] op_sel_hi:[1,0,0]
	v_pk_fma_f32 v[36:37], v[34:35], v[36:37], v[40:41] op_sel_hi:[1,1,0] neg_lo:[0,0,1] neg_hi:[0,0,1]
	s_delay_alu instid0(VALU_DEP_2) | instskip(NEXT) | instid1(VALU_DEP_1)
	v_mov_b32_e32 v37, v39
	v_mov_b64_e32 v[34:35], v[36:37]
	ds_store_b64 v63, v[36:37]
.LBB60_791:                             ;   in Loop: Header=BB60_3 Depth=1
	s_or_b32 exec_lo, exec_lo, s53
	s_wait_dscnt 0x0
	s_barrier_signal -1
	s_barrier_wait -1
	s_and_saveexec_b32 s53, s60
	s_cbranch_execz .LBB60_793
; %bb.792:                              ;   in Loop: Header=BB60_3 Depth=1
	ds_load_b64 v[36:37], v62 offset:27008
	ds_load_b64 v[38:39], v63
	s_wait_dscnt 0x0
	v_dual_mul_f32 v40, v39, v37 :: v_dual_mul_f32 v97, v38, v37
	s_delay_alu instid0(VALU_DEP_1) | instskip(NEXT) | instid1(VALU_DEP_1)
	v_dual_fma_f32 v96, v38, v36, -v40 :: v_dual_fmac_f32 v97, v39, v36
	v_pk_add_f32 v[34:35], v[34:35], v[96:97]
.LBB60_793:                             ;   in Loop: Header=BB60_3 Depth=1
	s_or_b32 exec_lo, exec_lo, s53
	s_barrier_signal -1
	s_barrier_wait -1
	s_and_saveexec_b32 s53, s61
	s_cbranch_execz .LBB60_795
; %bb.794:                              ;   in Loop: Header=BB60_3 Depth=1
	ds_load_b64 v[36:37], v5 offset:27560
	s_wait_dscnt 0x0
	v_pk_mul_f32 v[38:39], v[34:35], v[36:37] op_sel:[1,1] op_sel_hi:[1,0]
	s_delay_alu instid0(VALU_DEP_1) | instskip(SKIP_1) | instid1(VALU_DEP_2)
	v_pk_fma_f32 v[96:97], v[34:35], v[36:37], v[38:39] op_sel_hi:[0,1,1]
	v_pk_fma_f32 v[34:35], v[34:35], v[36:37], v[38:39] op_sel_hi:[0,1,1] neg_lo:[0,0,1] neg_hi:[0,0,1]
	v_mov_b32_e32 v35, v97
	ds_store_b64 v63, v[34:35]
.LBB60_795:                             ;   in Loop: Header=BB60_3 Depth=1
	s_or_b32 exec_lo, exec_lo, s53
	s_wait_dscnt 0x0
	s_barrier_signal -1
	s_barrier_wait -1
	s_and_saveexec_b32 s53, s62
	s_cbranch_execz .LBB60_797
; %bb.796:                              ;   in Loop: Header=BB60_3 Depth=1
	ds_load_b64 v[36:37], v62 offset:27520
	ds_load_b64 v[38:39], v63
	s_wait_dscnt 0x0
	v_pk_mul_f32 v[96:97], v[38:39], v[36:37] op_sel:[1,1] op_sel_hi:[0,1]
	s_delay_alu instid0(VALU_DEP_1) | instskip(SKIP_1) | instid1(VALU_DEP_2)
	v_pk_fma_f32 v[98:99], v[38:39], v[36:37], v[96:97] op_sel_hi:[1,0,1]
	v_pk_fma_f32 v[36:37], v[38:39], v[36:37], v[96:97] op_sel_hi:[1,0,1] neg_lo:[0,0,1] neg_hi:[0,0,1]
	v_mov_b32_e32 v37, v99
	s_delay_alu instid0(VALU_DEP_1)
	v_pk_add_f32 v[34:35], v[34:35], v[36:37]
.LBB60_797:                             ;   in Loop: Header=BB60_3 Depth=1
	s_or_b32 exec_lo, exec_lo, s53
	s_barrier_signal -1
	s_barrier_wait -1
	s_and_saveexec_b32 s53, s63
	s_cbranch_execz .LBB60_799
; %bb.798:                              ;   in Loop: Header=BB60_3 Depth=1
	ds_load_b64 v[36:37], v5 offset:28080
	s_wait_dscnt 0x0
	v_pk_mul_f32 v[38:39], v[34:35], v[36:37] op_sel:[1,1] op_sel_hi:[1,0]
	s_delay_alu instid0(VALU_DEP_1) | instskip(SKIP_1) | instid1(VALU_DEP_2)
	v_pk_fma_f32 v[96:97], v[34:35], v[36:37], v[38:39] op_sel_hi:[0,1,1]
	v_pk_fma_f32 v[34:35], v[34:35], v[36:37], v[38:39] op_sel_hi:[0,1,1] neg_lo:[0,0,1] neg_hi:[0,0,1]
	v_mov_b32_e32 v35, v97
	ds_store_b64 v63, v[34:35]
.LBB60_799:                             ;   in Loop: Header=BB60_3 Depth=1
	s_or_b32 exec_lo, exec_lo, s53
	s_wait_dscnt 0x0
	s_barrier_signal -1
	s_barrier_wait -1
	s_and_saveexec_b32 s53, s12
	s_cbranch_execz .LBB60_801
; %bb.800:                              ;   in Loop: Header=BB60_3 Depth=1
	ds_load_b64 v[36:37], v62 offset:28032
	ds_load_b64 v[38:39], v63
	s_wait_dscnt 0x0
	v_pk_mul_f32 v[96:97], v[38:39], v[36:37] op_sel:[1,1] op_sel_hi:[0,1]
	s_delay_alu instid0(VALU_DEP_1) | instskip(SKIP_1) | instid1(VALU_DEP_2)
	v_pk_fma_f32 v[98:99], v[38:39], v[36:37], v[96:97] op_sel_hi:[1,0,1]
	v_pk_fma_f32 v[36:37], v[38:39], v[36:37], v[96:97] op_sel_hi:[1,0,1] neg_lo:[0,0,1] neg_hi:[0,0,1]
	v_mov_b32_e32 v37, v99
	s_delay_alu instid0(VALU_DEP_1)
	v_pk_add_f32 v[34:35], v[34:35], v[36:37]
.LBB60_801:                             ;   in Loop: Header=BB60_3 Depth=1
	;; [unrolled: 33-line block ×3, first 2 shown]
	s_or_b32 exec_lo, exec_lo, s53
	s_barrier_signal -1
	s_barrier_wait -1
	s_and_saveexec_b32 s53, s25
	s_cbranch_execz .LBB60_807
; %bb.806:                              ;   in Loop: Header=BB60_3 Depth=1
	ds_load_b64 v[36:37], v5 offset:29120
	s_wait_dscnt 0x0
	v_dual_mul_f32 v38, v34, v37 :: v_dual_mul_f32 v40, v35, v37
	s_delay_alu instid0(VALU_DEP_1) | instskip(NEXT) | instid1(VALU_DEP_2)
	v_pk_fma_f32 v[38:39], v[34:35], v[36:37], v[38:39] op_sel:[0,1,0] op_sel_hi:[1,0,0]
	v_pk_fma_f32 v[36:37], v[34:35], v[36:37], v[40:41] op_sel_hi:[1,1,0] neg_lo:[0,0,1] neg_hi:[0,0,1]
	s_delay_alu instid0(VALU_DEP_2) | instskip(NEXT) | instid1(VALU_DEP_1)
	v_mov_b32_e32 v37, v39
	v_mov_b64_e32 v[34:35], v[36:37]
	ds_store_b64 v63, v[36:37]
.LBB60_807:                             ;   in Loop: Header=BB60_3 Depth=1
	s_or_b32 exec_lo, exec_lo, s53
	s_wait_dscnt 0x0
	s_barrier_signal -1
	s_barrier_wait -1
	s_and_saveexec_b32 s53, s27
	s_cbranch_execz .LBB60_809
; %bb.808:                              ;   in Loop: Header=BB60_3 Depth=1
	ds_load_b64 v[36:37], v62 offset:29056
	ds_load_b64 v[38:39], v63
	s_wait_dscnt 0x0
	v_dual_mul_f32 v40, v39, v37 :: v_dual_mul_f32 v97, v38, v37
	s_delay_alu instid0(VALU_DEP_1) | instskip(NEXT) | instid1(VALU_DEP_1)
	v_dual_fma_f32 v96, v38, v36, -v40 :: v_dual_fmac_f32 v97, v39, v36
	v_pk_add_f32 v[34:35], v[34:35], v[96:97]
.LBB60_809:                             ;   in Loop: Header=BB60_3 Depth=1
	s_or_b32 exec_lo, exec_lo, s53
	s_barrier_signal -1
	s_barrier_wait -1
	s_and_saveexec_b32 s53, s29
	s_cbranch_execz .LBB60_811
; %bb.810:                              ;   in Loop: Header=BB60_3 Depth=1
	ds_load_b64 v[36:37], v5 offset:29640
	s_wait_dscnt 0x0
	v_pk_mul_f32 v[38:39], v[34:35], v[36:37] op_sel:[1,1] op_sel_hi:[1,0]
	s_delay_alu instid0(VALU_DEP_1) | instskip(SKIP_1) | instid1(VALU_DEP_2)
	v_pk_fma_f32 v[96:97], v[34:35], v[36:37], v[38:39] op_sel_hi:[0,1,1]
	v_pk_fma_f32 v[34:35], v[34:35], v[36:37], v[38:39] op_sel_hi:[0,1,1] neg_lo:[0,0,1] neg_hi:[0,0,1]
	v_mov_b32_e32 v35, v97
	ds_store_b64 v63, v[34:35]
.LBB60_811:                             ;   in Loop: Header=BB60_3 Depth=1
	s_or_b32 exec_lo, exec_lo, s53
	s_wait_dscnt 0x0
	s_barrier_signal -1
	s_barrier_wait -1
	s_and_saveexec_b32 s53, s31
	s_cbranch_execz .LBB60_813
; %bb.812:                              ;   in Loop: Header=BB60_3 Depth=1
	ds_load_b64 v[36:37], v62 offset:29568
	ds_load_b64 v[38:39], v63
	s_wait_dscnt 0x0
	v_pk_mul_f32 v[96:97], v[38:39], v[36:37] op_sel:[1,1] op_sel_hi:[0,1]
	s_delay_alu instid0(VALU_DEP_1) | instskip(SKIP_1) | instid1(VALU_DEP_2)
	v_pk_fma_f32 v[98:99], v[38:39], v[36:37], v[96:97] op_sel_hi:[1,0,1]
	v_pk_fma_f32 v[36:37], v[38:39], v[36:37], v[96:97] op_sel_hi:[1,0,1] neg_lo:[0,0,1] neg_hi:[0,0,1]
	v_mov_b32_e32 v37, v99
	s_delay_alu instid0(VALU_DEP_1)
	v_pk_add_f32 v[34:35], v[34:35], v[36:37]
.LBB60_813:                             ;   in Loop: Header=BB60_3 Depth=1
	s_or_b32 exec_lo, exec_lo, s53
	s_barrier_signal -1
	s_barrier_wait -1
	s_and_saveexec_b32 s53, s34
	s_cbranch_execz .LBB60_815
; %bb.814:                              ;   in Loop: Header=BB60_3 Depth=1
	ds_load_b64 v[36:37], v5 offset:30160
	s_wait_dscnt 0x0
	v_pk_mul_f32 v[38:39], v[34:35], v[36:37] op_sel:[1,1] op_sel_hi:[1,0]
	s_delay_alu instid0(VALU_DEP_1) | instskip(SKIP_1) | instid1(VALU_DEP_2)
	v_pk_fma_f32 v[96:97], v[34:35], v[36:37], v[38:39] op_sel_hi:[0,1,1]
	v_pk_fma_f32 v[34:35], v[34:35], v[36:37], v[38:39] op_sel_hi:[0,1,1] neg_lo:[0,0,1] neg_hi:[0,0,1]
	v_mov_b32_e32 v35, v97
	ds_store_b64 v63, v[34:35]
.LBB60_815:                             ;   in Loop: Header=BB60_3 Depth=1
	s_or_b32 exec_lo, exec_lo, s53
	s_wait_dscnt 0x0
	s_barrier_signal -1
	s_barrier_wait -1
	s_and_saveexec_b32 s53, s24
	s_cbranch_execz .LBB60_817
; %bb.816:                              ;   in Loop: Header=BB60_3 Depth=1
	ds_load_b64 v[36:37], v62 offset:30080
	ds_load_b64 v[38:39], v63
	s_wait_dscnt 0x0
	v_pk_mul_f32 v[96:97], v[38:39], v[36:37] op_sel:[1,1] op_sel_hi:[0,1]
	s_delay_alu instid0(VALU_DEP_1) | instskip(SKIP_1) | instid1(VALU_DEP_2)
	v_pk_fma_f32 v[98:99], v[38:39], v[36:37], v[96:97] op_sel_hi:[1,0,1]
	v_pk_fma_f32 v[36:37], v[38:39], v[36:37], v[96:97] op_sel_hi:[1,0,1] neg_lo:[0,0,1] neg_hi:[0,0,1]
	v_mov_b32_e32 v37, v99
	s_delay_alu instid0(VALU_DEP_1)
	v_pk_add_f32 v[34:35], v[34:35], v[36:37]
.LBB60_817:                             ;   in Loop: Header=BB60_3 Depth=1
	;; [unrolled: 33-line block ×3, first 2 shown]
	s_or_b32 exec_lo, exec_lo, s53
	s_barrier_signal -1
	s_barrier_wait -1
	s_and_saveexec_b32 s53, s30
	s_cbranch_execz .LBB60_823
; %bb.822:                              ;   in Loop: Header=BB60_3 Depth=1
	ds_load_b64 v[36:37], v5 offset:31200
	s_wait_dscnt 0x0
	v_dual_mul_f32 v38, v34, v37 :: v_dual_mul_f32 v40, v35, v37
	s_delay_alu instid0(VALU_DEP_1) | instskip(NEXT) | instid1(VALU_DEP_2)
	v_pk_fma_f32 v[38:39], v[34:35], v[36:37], v[38:39] op_sel:[0,1,0] op_sel_hi:[1,0,0]
	v_pk_fma_f32 v[36:37], v[34:35], v[36:37], v[40:41] op_sel_hi:[1,1,0] neg_lo:[0,0,1] neg_hi:[0,0,1]
	s_delay_alu instid0(VALU_DEP_2) | instskip(NEXT) | instid1(VALU_DEP_1)
	v_mov_b32_e32 v37, v39
	v_mov_b64_e32 v[34:35], v[36:37]
	ds_store_b64 v63, v[36:37]
.LBB60_823:                             ;   in Loop: Header=BB60_3 Depth=1
	s_or_b32 exec_lo, exec_lo, s53
	s_wait_dscnt 0x0
	s_barrier_signal -1
	s_barrier_wait -1
	s_and_saveexec_b32 s53, s33
	s_cbranch_execz .LBB60_825
; %bb.824:                              ;   in Loop: Header=BB60_3 Depth=1
	ds_load_b64 v[36:37], v62 offset:31104
	ds_load_b64 v[38:39], v63
	s_wait_dscnt 0x0
	v_dual_mul_f32 v40, v39, v37 :: v_dual_mul_f32 v97, v38, v37
	s_delay_alu instid0(VALU_DEP_1) | instskip(NEXT) | instid1(VALU_DEP_1)
	v_dual_fma_f32 v96, v38, v36, -v40 :: v_dual_fmac_f32 v97, v39, v36
	v_pk_add_f32 v[34:35], v[34:35], v[96:97]
.LBB60_825:                             ;   in Loop: Header=BB60_3 Depth=1
	s_or_b32 exec_lo, exec_lo, s53
	s_barrier_signal -1
	s_barrier_wait -1
	s_and_saveexec_b32 s53, s10
	s_cbranch_execz .LBB60_827
; %bb.826:                              ;   in Loop: Header=BB60_3 Depth=1
	ds_load_b64 v[36:37], v5 offset:31720
	s_wait_dscnt 0x0
	v_pk_mul_f32 v[38:39], v[34:35], v[36:37] op_sel:[1,1] op_sel_hi:[1,0]
	s_delay_alu instid0(VALU_DEP_1) | instskip(SKIP_1) | instid1(VALU_DEP_2)
	v_pk_fma_f32 v[96:97], v[34:35], v[36:37], v[38:39] op_sel_hi:[0,1,1]
	v_pk_fma_f32 v[36:37], v[34:35], v[36:37], v[38:39] neg_lo:[0,0,1] neg_hi:[0,0,1]
	v_mov_b32_e32 v37, v97
	s_delay_alu instid0(VALU_DEP_1)
	v_mov_b64_e32 v[34:35], v[36:37]
	ds_store_b64 v63, v[36:37]
.LBB60_827:                             ;   in Loop: Header=BB60_3 Depth=1
	s_or_b32 exec_lo, exec_lo, s53
	s_wait_dscnt 0x0
	s_barrier_signal -1
	s_barrier_wait -1
	s_and_saveexec_b32 s53, s11
	s_cbranch_execz .LBB60_829
; %bb.828:                              ;   in Loop: Header=BB60_3 Depth=1
	ds_load_b64 v[36:37], v62 offset:31616
	ds_load_b64 v[38:39], v63
	s_wait_dscnt 0x0
	v_pk_mul_f32 v[96:97], v[38:39], v[36:37] op_sel:[1,1] op_sel_hi:[0,1]
	s_delay_alu instid0(VALU_DEP_1) | instskip(SKIP_1) | instid1(VALU_DEP_2)
	v_pk_fma_f32 v[98:99], v[38:39], v[36:37], v[96:97] op_sel_hi:[1,0,1]
	v_pk_fma_f32 v[36:37], v[38:39], v[36:37], v[96:97] neg_lo:[0,0,1] neg_hi:[0,0,1]
	v_mov_b32_e32 v37, v99
	s_delay_alu instid0(VALU_DEP_1)
	v_pk_add_f32 v[34:35], v[34:35], v[36:37]
.LBB60_829:                             ;   in Loop: Header=BB60_3 Depth=1
	s_or_b32 exec_lo, exec_lo, s53
	s_barrier_signal -1
	s_barrier_wait -1
	s_and_saveexec_b32 s53, s92
	s_cbranch_execz .LBB60_831
; %bb.830:                              ;   in Loop: Header=BB60_3 Depth=1
	ds_load_b64 v[36:37], v5 offset:32240
	s_wait_dscnt 0x0
	v_pk_mul_f32 v[38:39], v[34:35], v[36:37] op_sel:[1,1] op_sel_hi:[1,0]
	s_delay_alu instid0(VALU_DEP_1) | instskip(SKIP_1) | instid1(VALU_DEP_2)
	v_pk_fma_f32 v[96:97], v[34:35], v[36:37], v[38:39] op_sel_hi:[0,1,1]
	v_pk_fma_f32 v[36:37], v[34:35], v[36:37], v[38:39] neg_lo:[0,0,1] neg_hi:[0,0,1]
	v_mov_b32_e32 v37, v97
	s_delay_alu instid0(VALU_DEP_1)
	v_mov_b64_e32 v[34:35], v[36:37]
	ds_store_b64 v63, v[36:37]
.LBB60_831:                             ;   in Loop: Header=BB60_3 Depth=1
	s_or_b32 exec_lo, exec_lo, s53
	s_wait_dscnt 0x0
	s_barrier_signal -1
	s_barrier_wait -1
	s_and_saveexec_b32 s53, s72
	s_cbranch_execz .LBB60_833
; %bb.832:                              ;   in Loop: Header=BB60_3 Depth=1
	ds_load_b64 v[36:37], v5 offset:32248
	ds_load_b64 v[38:39], v63
	s_wait_dscnt 0x0
	v_pk_mul_f32 v[96:97], v[38:39], v[36:37] op_sel:[1,1] op_sel_hi:[0,1]
	s_delay_alu instid0(VALU_DEP_1) | instskip(SKIP_1) | instid1(VALU_DEP_2)
	v_pk_fma_f32 v[98:99], v[38:39], v[36:37], v[96:97] op_sel_hi:[1,0,1]
	v_pk_fma_f32 v[36:37], v[38:39], v[36:37], v[96:97] neg_lo:[0,0,1] neg_hi:[0,0,1]
	v_mov_b32_e32 v37, v99
	s_delay_alu instid0(VALU_DEP_1)
	v_pk_add_f32 v[34:35], v[34:35], v[36:37]
.LBB60_833:                             ;   in Loop: Header=BB60_3 Depth=1
	s_or_b32 exec_lo, exec_lo, s53
	s_barrier_signal -1
	s_barrier_wait -1
	s_and_saveexec_b32 s53, s72
	s_cbranch_execz .LBB60_835
; %bb.834:                              ;   in Loop: Header=BB60_3 Depth=1
	ds_load_b64 v[36:37], v5 offset:32760
	s_wait_dscnt 0x0
	v_pk_mul_f32 v[38:39], v[34:35], v[36:37] op_sel:[1,1] op_sel_hi:[1,0]
	s_delay_alu instid0(VALU_DEP_1) | instskip(SKIP_1) | instid1(VALU_DEP_2)
	v_pk_fma_f32 v[96:97], v[34:35], v[36:37], v[38:39] op_sel_hi:[0,1,1]
	v_pk_fma_f32 v[36:37], v[34:35], v[36:37], v[38:39] neg_lo:[0,0,1] neg_hi:[0,0,1]
	v_mov_b32_e32 v37, v97
	s_delay_alu instid0(VALU_DEP_1)
	v_mov_b64_e32 v[34:35], v[36:37]
	ds_store_b64 v63, v[36:37]
.LBB60_835:                             ;   in Loop: Header=BB60_3 Depth=1
	s_or_b32 exec_lo, exec_lo, s53
	s_wait_dscnt 0x0
	s_barrier_signal -1
	s_barrier_wait -1
	s_barrier_signal -1
	s_barrier_wait -1
	s_and_saveexec_b32 s53, s4
; %bb.836:                              ;   in Loop: Header=BB60_3 Depth=1
	v_pk_add_f32 v[34:35], v[34:35], 0 neg_lo:[1,1] neg_hi:[1,1]
	ds_store_b64 v64, v[34:35] offset:16768
; %bb.837:                              ;   in Loop: Header=BB60_3 Depth=1
	s_or_b32 exec_lo, exec_lo, s53
	s_wait_dscnt 0x0
	s_barrier_signal -1
	s_barrier_wait -1
	s_barrier_signal -1
	s_barrier_wait -1
	s_and_saveexec_b32 s53, s73
	s_cbranch_execz .LBB60_839
; %bb.838:                              ;   in Loop: Header=BB60_3 Depth=1
	ds_load_b64 v[34:35], v47 offset:16768
	s_wait_dscnt 0x0
	ds_store_b64 v52, v[34:35] offset:24832
	ds_load_b64 v[34:35], v47 offset:16776
	s_wait_dscnt 0x0
	ds_store_b64 v52, v[34:35] offset:25344
	;; [unrolled: 3-line block ×16, first 2 shown]
.LBB60_839:                             ;   in Loop: Header=BB60_3 Depth=1
	s_or_b32 exec_lo, exec_lo, s53
	s_wait_dscnt 0x0
	s_barrier_signal -1
	s_barrier_wait -1
	s_and_saveexec_b32 s53, s14
	s_cbranch_execz .LBB60_841
; %bb.840:                              ;   in Loop: Header=BB60_3 Depth=1
	ds_load_b128 v[34:37], v5 offset:24960
	ds_load_b64 v[38:39], v5 offset:25480
	s_wait_dscnt 0x1
	v_dual_mov_b32 v96, v37 :: v_dual_mov_b32 v97, v36
	s_wait_dscnt 0x0
	v_dual_mul_f32 v95, v39, v35 :: v_dual_mul_f32 v40, v38, v35
	s_delay_alu instid0(VALU_DEP_1) | instskip(NEXT) | instid1(VALU_DEP_1)
	v_xor_b32_e32 v98, 0x80000000, v95
	v_dual_fmac_f32 v40, v39, v34 :: v_dual_fmac_f32 v98, v38, v34
	s_delay_alu instid0(VALU_DEP_1) | instskip(NEXT) | instid1(VALU_DEP_1)
	v_pk_mul_f32 v[34:35], v[40:41], v[96:97] op_sel_hi:[0,1]
	v_pk_fma_f32 v[38:39], v[98:99], v[36:37], v[34:35] op_sel_hi:[0,1,1]
	v_pk_fma_f32 v[34:35], v[98:99], v[36:37], v[34:35] neg_lo:[0,0,1] neg_hi:[0,0,1]
	v_add_nc_u32_e64 v36, 0x6000, 0
	s_delay_alu instid0(VALU_DEP_3)
	v_mov_b32_e32 v35, v39
	ds_store_2addr_b64 v36, v[34:35], v[34:35] offset0:49 offset1:112
.LBB60_841:                             ;   in Loop: Header=BB60_3 Depth=1
	s_or_b32 exec_lo, exec_lo, s53
	v_mov_b32_e32 v35, 0
	s_wait_dscnt 0x0
	s_barrier_signal -1
	s_barrier_wait -1
	s_delay_alu instid0(VALU_DEP_1)
	v_mov_b32_e32 v34, v35
	s_and_saveexec_b32 s53, s0
	s_cbranch_execz .LBB60_845
; %bb.842:                              ;   in Loop: Header=BB60_3 Depth=1
	ds_load_b64 v[34:35], v42 offset:24976
	ds_load_b64 v[36:37], v43 offset:24960
	s_wait_dscnt 0x0
	v_dual_mul_f32 v38, v37, v35 :: v_dual_mul_f32 v39, v36, v35
	s_delay_alu instid0(VALU_DEP_1) | instskip(NEXT) | instid1(VALU_DEP_1)
	v_dual_fma_f32 v38, v36, v34, -v38 :: v_dual_fmac_f32 v39, v37, v34
	v_pk_add_f32 v[34:35], v[38:39], 0 op_sel_hi:[1,0]
	s_and_saveexec_b32 s54, s15
	s_cbranch_execz .LBB60_844
; %bb.843:                              ;   in Loop: Header=BB60_3 Depth=1
	ds_load_b64 v[36:37], v44 offset:25488
	ds_load_b64 v[38:39], v5 offset:24968
	s_wait_dscnt 0x0
	v_pk_mul_f32 v[96:97], v[38:39], v[36:37] op_sel:[1,1] op_sel_hi:[0,1]
	s_delay_alu instid0(VALU_DEP_1) | instskip(SKIP_1) | instid1(VALU_DEP_2)
	v_pk_fma_f32 v[98:99], v[38:39], v[36:37], v[96:97] op_sel_hi:[1,0,1]
	v_pk_fma_f32 v[36:37], v[38:39], v[36:37], v[96:97] neg_lo:[0,0,1] neg_hi:[0,0,1]
	v_mov_b32_e32 v37, v99
	s_delay_alu instid0(VALU_DEP_1)
	v_pk_add_f32 v[34:35], v[34:35], v[36:37]
.LBB60_844:                             ;   in Loop: Header=BB60_3 Depth=1
	s_or_b32 exec_lo, exec_lo, s54
	s_delay_alu instid0(VALU_DEP_1)
	v_pk_add_f32 v[34:35], v[34:35], 0 neg_lo:[1,1] neg_hi:[1,1]
.LBB60_845:                             ;   in Loop: Header=BB60_3 Depth=1
	s_or_b32 exec_lo, exec_lo, s53
	s_and_saveexec_b32 s53, s94
	s_cbranch_execz .LBB60_847
; %bb.846:                              ;   in Loop: Header=BB60_3 Depth=1
	ds_load_b64 v[36:37], v5 offset:26000
	s_wait_dscnt 0x0
	v_pk_mul_f32 v[38:39], v[34:35], v[36:37] op_sel:[1,1] op_sel_hi:[1,0]
	s_delay_alu instid0(VALU_DEP_1) | instskip(SKIP_1) | instid1(VALU_DEP_2)
	v_pk_fma_f32 v[96:97], v[34:35], v[36:37], v[38:39] op_sel_hi:[0,1,1]
	v_pk_fma_f32 v[36:37], v[34:35], v[36:37], v[38:39] neg_lo:[0,0,1] neg_hi:[0,0,1]
	v_mov_b32_e32 v37, v97
	s_delay_alu instid0(VALU_DEP_1)
	v_mov_b64_e32 v[34:35], v[36:37]
	ds_store_b64 v3, v[36:37]
.LBB60_847:                             ;   in Loop: Header=BB60_3 Depth=1
	s_or_b32 exec_lo, exec_lo, s53
	s_wait_dscnt 0x0
	s_barrier_signal -1
	s_barrier_wait -1
	s_and_saveexec_b32 s53, s95
	s_cbranch_execz .LBB60_849
; %bb.848:                              ;   in Loop: Header=BB60_3 Depth=1
	ds_load_b64 v[36:37], v5 offset:26008
	ds_load_b64 v[38:39], v3
	s_wait_dscnt 0x0
	v_pk_mul_f32 v[96:97], v[38:39], v[36:37] op_sel:[1,1] op_sel_hi:[0,1]
	s_delay_alu instid0(VALU_DEP_1) | instskip(SKIP_1) | instid1(VALU_DEP_2)
	v_pk_fma_f32 v[98:99], v[38:39], v[36:37], v[96:97] op_sel_hi:[1,0,1]
	v_pk_fma_f32 v[36:37], v[38:39], v[36:37], v[96:97] neg_lo:[0,0,1] neg_hi:[0,0,1]
	v_mov_b32_e32 v37, v99
	s_delay_alu instid0(VALU_DEP_1)
	v_pk_add_f32 v[34:35], v[34:35], v[36:37]
.LBB60_849:                             ;   in Loop: Header=BB60_3 Depth=1
	s_or_b32 exec_lo, exec_lo, s53
	s_barrier_signal -1
	s_barrier_wait -1
	s_and_saveexec_b32 s53, s95
	s_cbranch_execz .LBB60_851
; %bb.850:                              ;   in Loop: Header=BB60_3 Depth=1
	ds_load_b64 v[36:37], v5 offset:26520
	s_wait_dscnt 0x0
	v_pk_mul_f32 v[38:39], v[34:35], v[36:37] op_sel:[1,1] op_sel_hi:[1,0]
	s_delay_alu instid0(VALU_DEP_1) | instskip(SKIP_1) | instid1(VALU_DEP_2)
	v_pk_fma_f32 v[96:97], v[34:35], v[36:37], v[38:39] op_sel_hi:[0,1,1]
	v_pk_fma_f32 v[36:37], v[34:35], v[36:37], v[38:39] neg_lo:[0,0,1] neg_hi:[0,0,1]
	v_mov_b32_e32 v37, v97
	s_delay_alu instid0(VALU_DEP_1)
	v_mov_b64_e32 v[34:35], v[36:37]
	ds_store_b64 v3, v[36:37]
.LBB60_851:                             ;   in Loop: Header=BB60_3 Depth=1
	s_or_b32 exec_lo, exec_lo, s53
	s_wait_dscnt 0x0
	s_barrier_signal -1
	s_barrier_wait -1
	s_barrier_signal -1
	s_barrier_wait -1
	s_and_saveexec_b32 s53, s0
; %bb.852:                              ;   in Loop: Header=BB60_3 Depth=1
	v_pk_add_f32 v[34:35], v[34:35], 0 neg_lo:[1,1] neg_hi:[1,1]
	ds_store_b64 v42, v[34:35] offset:24976
; %bb.853:                              ;   in Loop: Header=BB60_3 Depth=1
	s_or_b32 exec_lo, exec_lo, s53
	s_wait_dscnt 0x0
	s_barrier_signal -1
	s_barrier_wait -1
	s_barrier_signal -1
	s_barrier_wait -1
	s_and_saveexec_b32 s53, s96
	s_cbranch_execz .LBB60_855
; %bb.854:                              ;   in Loop: Header=BB60_3 Depth=1
	ds_load_b64 v[34:35], v47 offset:24976
	s_wait_dscnt 0x0
	ds_store_b64 v44, v[34:35] offset:25984
	ds_load_b64 v[34:35], v47 offset:24984
	s_wait_dscnt 0x0
	ds_store_b64 v44, v[34:35] offset:26496
.LBB60_855:                             ;   in Loop: Header=BB60_3 Depth=1
	s_or_b32 exec_lo, exec_lo, s53
	s_wait_dscnt 0x0
	s_barrier_signal -1
	s_barrier_wait -1
	s_and_saveexec_b32 s53, s14
	s_cbranch_execz .LBB60_857
; %bb.856:                              ;   in Loop: Header=BB60_3 Depth=1
	ds_load_b128 v[34:37], v5 offset:26000
	ds_load_b64 v[38:39], v5 offset:26520
	s_wait_dscnt 0x1
	v_dual_mov_b32 v96, v37 :: v_dual_mov_b32 v97, v36
	s_wait_dscnt 0x0
	v_dual_mul_f32 v95, v39, v35 :: v_dual_mul_f32 v40, v38, v35
	s_delay_alu instid0(VALU_DEP_1) | instskip(NEXT) | instid1(VALU_DEP_1)
	v_xor_b32_e32 v98, 0x80000000, v95
	v_dual_fmac_f32 v40, v39, v34 :: v_dual_fmac_f32 v98, v38, v34
	s_delay_alu instid0(VALU_DEP_1) | instskip(NEXT) | instid1(VALU_DEP_1)
	v_pk_mul_f32 v[34:35], v[40:41], v[96:97] op_sel_hi:[0,1]
	v_pk_fma_f32 v[38:39], v[98:99], v[36:37], v[34:35] op_sel_hi:[0,1,1]
	v_pk_fma_f32 v[34:35], v[98:99], v[36:37], v[34:35] neg_lo:[0,0,1] neg_hi:[0,0,1]
	v_add_nc_u32_e64 v36, 0x6000, 0
	s_delay_alu instid0(VALU_DEP_3)
	v_mov_b32_e32 v35, v39
	ds_store_2addr_b64 v36, v[34:35], v[34:35] offset0:179 offset1:242
.LBB60_857:                             ;   in Loop: Header=BB60_3 Depth=1
	s_or_b32 exec_lo, exec_lo, s53
	v_mov_b32_e32 v34, 0
	s_wait_dscnt 0x0
	s_barrier_signal -1
	s_barrier_wait -1
	s_delay_alu instid0(VALU_DEP_1)
	v_mov_b32_e32 v35, v34
	s_and_saveexec_b32 s65, s2
	s_cbranch_execz .LBB60_863
; %bb.858:                              ;   in Loop: Header=BB60_3 Depth=1
	ds_load_b64 v[34:35], v49 offset:24992
	ds_load_b64 v[36:37], v45 offset:24960
	s_wait_dscnt 0x0
	v_pk_mul_f32 v[38:39], v[36:37], v[34:35] op_sel:[0,1]
	s_delay_alu instid0(VALU_DEP_1) | instskip(SKIP_1) | instid1(VALU_DEP_2)
	v_pk_fma_f32 v[96:97], v[36:37], v[34:35], v[38:39] op_sel:[1,0,0] op_sel_hi:[0,0,1] neg_lo:[0,0,1] neg_hi:[0,0,1]
	v_pk_fma_f32 v[34:35], v[36:37], v[34:35], v[38:39] op_sel:[1,0,0] op_sel_hi:[0,1,1]
	v_mov_b32_e32 v35, v97
	s_delay_alu instid0(VALU_DEP_1)
	v_pk_add_f32 v[34:35], v[34:35], 0 op_sel_hi:[1,0]
	s_and_saveexec_b32 s53, s16
	s_cbranch_execnz .LBB60_1164
; %bb.859:                              ;   in Loop: Header=BB60_3 Depth=1
	s_or_b32 exec_lo, exec_lo, s53
	s_and_saveexec_b32 s53, s17
	s_cbranch_execnz .LBB60_1165
.LBB60_860:                             ;   in Loop: Header=BB60_3 Depth=1
	s_or_b32 exec_lo, exec_lo, s53
	s_and_saveexec_b32 s53, s0
	s_cbranch_execz .LBB60_862
.LBB60_861:                             ;   in Loop: Header=BB60_3 Depth=1
	ds_load_b64 v[36:37], v52 offset:26528
	ds_load_b64 v[38:39], v5 offset:24984
	s_wait_dscnt 0x0
	v_pk_mul_f32 v[96:97], v[38:39], v[36:37] op_sel:[0,1]
	s_delay_alu instid0(VALU_DEP_1) | instskip(SKIP_1) | instid1(VALU_DEP_2)
	v_pk_fma_f32 v[98:99], v[38:39], v[36:37], v[96:97] op_sel:[1,0,0] op_sel_hi:[0,0,1] neg_lo:[0,0,1] neg_hi:[0,0,1]
	v_pk_fma_f32 v[36:37], v[38:39], v[36:37], v[96:97] op_sel:[1,0,0] op_sel_hi:[0,1,1]
	v_mov_b32_e32 v37, v99
	s_delay_alu instid0(VALU_DEP_1)
	v_pk_add_f32 v[34:35], v[34:35], v[36:37]
.LBB60_862:                             ;   in Loop: Header=BB60_3 Depth=1
	s_or_b32 exec_lo, exec_lo, s53
	s_delay_alu instid0(VALU_DEP_1) | instskip(NEXT) | instid1(VALU_DEP_1)
	v_pk_add_f32 v[36:37], v[34:35], 0 neg_lo:[1,1] neg_hi:[1,1]
	v_dual_mov_b32 v34, v37 :: v_dual_mov_b32 v35, v36
.LBB60_863:                             ;   in Loop: Header=BB60_3 Depth=1
	s_or_b32 exec_lo, exec_lo, s65
	s_and_saveexec_b32 s53, s97
	s_cbranch_execz .LBB60_865
; %bb.864:                              ;   in Loop: Header=BB60_3 Depth=1
	ds_load_b64 v[36:37], v5 offset:27040
	v_dual_mov_b32 v38, v35 :: v_dual_mov_b32 v39, v34
	s_wait_dscnt 0x0
	s_delay_alu instid0(VALU_DEP_1) | instskip(NEXT) | instid1(VALU_DEP_1)
	v_dual_mul_f32 v40, v38, v36 :: v_dual_mul_f32 v96, v35, v37
	v_pk_fma_f32 v[38:39], v[38:39], v[36:37], v[40:41] op_sel_hi:[1,1,0]
	s_delay_alu instid0(VALU_DEP_2) | instskip(NEXT) | instid1(VALU_DEP_2)
	v_pk_fma_f32 v[34:35], v[34:35], v[36:37], v[96:97] op_sel_hi:[1,1,0] neg_lo:[0,0,1] neg_hi:[0,0,1]
	v_mov_b32_e32 v35, v39
	ds_store_b64 v48, v[34:35]
.LBB60_865:                             ;   in Loop: Header=BB60_3 Depth=1
	s_or_b32 exec_lo, exec_lo, s53
	s_wait_dscnt 0x0
	s_barrier_signal -1
	s_barrier_wait -1
	s_and_saveexec_b32 s53, s98
	s_cbranch_execz .LBB60_867
; %bb.866:                              ;   in Loop: Header=BB60_3 Depth=1
	ds_load_b64 v[36:37], v46 offset:27040
	ds_load_b64 v[38:39], v48
	s_wait_dscnt 0x0
	v_dual_mul_f32 v40, v39, v37 :: v_dual_mul_f32 v97, v38, v37
	s_delay_alu instid0(VALU_DEP_1) | instskip(NEXT) | instid1(VALU_DEP_1)
	v_dual_fma_f32 v96, v38, v36, -v40 :: v_dual_fmac_f32 v97, v39, v36
	v_pk_add_f32 v[34:35], v[34:35], v[96:97]
.LBB60_867:                             ;   in Loop: Header=BB60_3 Depth=1
	s_or_b32 exec_lo, exec_lo, s53
	s_barrier_signal -1
	s_barrier_wait -1
	s_and_saveexec_b32 s53, s99
	s_cbranch_execz .LBB60_869
; %bb.868:                              ;   in Loop: Header=BB60_3 Depth=1
	ds_load_b64 v[36:37], v5 offset:27560
	s_wait_dscnt 0x0
	v_pk_mul_f32 v[38:39], v[34:35], v[36:37] op_sel:[1,1] op_sel_hi:[1,0]
	s_delay_alu instid0(VALU_DEP_1) | instskip(SKIP_1) | instid1(VALU_DEP_2)
	v_pk_fma_f32 v[96:97], v[34:35], v[36:37], v[38:39] op_sel_hi:[0,1,1]
	v_pk_fma_f32 v[36:37], v[34:35], v[36:37], v[38:39] neg_lo:[0,0,1] neg_hi:[0,0,1]
	v_mov_b32_e32 v37, v97
	s_delay_alu instid0(VALU_DEP_1)
	v_mov_b64_e32 v[34:35], v[36:37]
	ds_store_b64 v48, v[36:37]
.LBB60_869:                             ;   in Loop: Header=BB60_3 Depth=1
	s_or_b32 exec_lo, exec_lo, s53
	s_wait_dscnt 0x0
	s_barrier_signal -1
	s_barrier_wait -1
	s_and_saveexec_b32 s53, s100
	s_cbranch_execz .LBB60_871
; %bb.870:                              ;   in Loop: Header=BB60_3 Depth=1
	ds_load_b64 v[36:37], v46 offset:27552
	ds_load_b64 v[38:39], v48
	s_wait_dscnt 0x0
	v_pk_mul_f32 v[96:97], v[38:39], v[36:37] op_sel:[1,1] op_sel_hi:[0,1]
	s_delay_alu instid0(VALU_DEP_1) | instskip(SKIP_1) | instid1(VALU_DEP_2)
	v_pk_fma_f32 v[98:99], v[38:39], v[36:37], v[96:97] op_sel_hi:[1,0,1]
	v_pk_fma_f32 v[36:37], v[38:39], v[36:37], v[96:97] neg_lo:[0,0,1] neg_hi:[0,0,1]
	v_mov_b32_e32 v37, v99
	s_delay_alu instid0(VALU_DEP_1)
	v_pk_add_f32 v[34:35], v[34:35], v[36:37]
.LBB60_871:                             ;   in Loop: Header=BB60_3 Depth=1
	s_or_b32 exec_lo, exec_lo, s53
	s_barrier_signal -1
	s_barrier_wait -1
	s_and_saveexec_b32 s53, s101
	s_cbranch_execz .LBB60_873
; %bb.872:                              ;   in Loop: Header=BB60_3 Depth=1
	ds_load_b64 v[36:37], v5 offset:28080
	s_wait_dscnt 0x0
	v_pk_mul_f32 v[38:39], v[34:35], v[36:37] op_sel:[1,1] op_sel_hi:[1,0]
	s_delay_alu instid0(VALU_DEP_1) | instskip(SKIP_1) | instid1(VALU_DEP_2)
	v_pk_fma_f32 v[96:97], v[34:35], v[36:37], v[38:39] op_sel_hi:[0,1,1]
	v_pk_fma_f32 v[36:37], v[34:35], v[36:37], v[38:39] neg_lo:[0,0,1] neg_hi:[0,0,1]
	v_mov_b32_e32 v37, v97
	s_delay_alu instid0(VALU_DEP_1)
	v_mov_b64_e32 v[34:35], v[36:37]
	ds_store_b64 v48, v[36:37]
.LBB60_873:                             ;   in Loop: Header=BB60_3 Depth=1
	s_or_b32 exec_lo, exec_lo, s53
	s_wait_dscnt 0x0
	s_barrier_signal -1
	s_barrier_wait -1
	s_and_saveexec_b32 s53, s102
	s_cbranch_execz .LBB60_875
; %bb.874:                              ;   in Loop: Header=BB60_3 Depth=1
	ds_load_b64 v[36:37], v5 offset:28088
	ds_load_b64 v[38:39], v48
	s_wait_dscnt 0x0
	v_pk_mul_f32 v[96:97], v[38:39], v[36:37] op_sel:[1,1] op_sel_hi:[0,1]
	s_delay_alu instid0(VALU_DEP_1) | instskip(SKIP_1) | instid1(VALU_DEP_2)
	v_pk_fma_f32 v[98:99], v[38:39], v[36:37], v[96:97] op_sel_hi:[1,0,1]
	v_pk_fma_f32 v[36:37], v[38:39], v[36:37], v[96:97] neg_lo:[0,0,1] neg_hi:[0,0,1]
	v_mov_b32_e32 v37, v99
	s_delay_alu instid0(VALU_DEP_1)
	v_pk_add_f32 v[34:35], v[34:35], v[36:37]
.LBB60_875:                             ;   in Loop: Header=BB60_3 Depth=1
	s_or_b32 exec_lo, exec_lo, s53
	s_barrier_signal -1
	s_barrier_wait -1
	s_and_saveexec_b32 s53, s102
	s_cbranch_execz .LBB60_877
; %bb.876:                              ;   in Loop: Header=BB60_3 Depth=1
	ds_load_b64 v[36:37], v5 offset:28600
	s_wait_dscnt 0x0
	v_pk_mul_f32 v[38:39], v[34:35], v[36:37] op_sel:[1,1] op_sel_hi:[1,0]
	s_delay_alu instid0(VALU_DEP_1) | instskip(SKIP_1) | instid1(VALU_DEP_2)
	v_pk_fma_f32 v[96:97], v[34:35], v[36:37], v[38:39] op_sel_hi:[0,1,1]
	v_pk_fma_f32 v[36:37], v[34:35], v[36:37], v[38:39] neg_lo:[0,0,1] neg_hi:[0,0,1]
	v_mov_b32_e32 v37, v97
	s_delay_alu instid0(VALU_DEP_1)
	v_mov_b64_e32 v[34:35], v[36:37]
	ds_store_b64 v48, v[36:37]
.LBB60_877:                             ;   in Loop: Header=BB60_3 Depth=1
	s_or_b32 exec_lo, exec_lo, s53
	s_wait_dscnt 0x0
	s_barrier_signal -1
	s_barrier_wait -1
	s_barrier_signal -1
	s_barrier_wait -1
	s_and_saveexec_b32 s53, s2
; %bb.878:                              ;   in Loop: Header=BB60_3 Depth=1
	v_pk_add_f32 v[34:35], v[34:35], 0 neg_lo:[1,1] neg_hi:[1,1]
	ds_store_b64 v49, v[34:35] offset:24992
; %bb.879:                              ;   in Loop: Header=BB60_3 Depth=1
	s_or_b32 exec_lo, exec_lo, s53
	s_wait_dscnt 0x0
	s_barrier_signal -1
	s_barrier_wait -1
	s_barrier_signal -1
	s_barrier_wait -1
	s_and_saveexec_b32 s53, s103
	s_cbranch_execz .LBB60_881
; %bb.880:                              ;   in Loop: Header=BB60_3 Depth=1
	ds_load_b64 v[34:35], v53 offset:24992
	s_wait_dscnt 0x0
	ds_store_b64 v54, v[34:35] offset:27008
	ds_load_b64 v[34:35], v53 offset:25000
	s_wait_dscnt 0x0
	ds_store_b64 v54, v[34:35] offset:27520
	;; [unrolled: 3-line block ×4, first 2 shown]
.LBB60_881:                             ;   in Loop: Header=BB60_3 Depth=1
	s_or_b32 exec_lo, exec_lo, s53
	s_wait_dscnt 0x0
	s_barrier_signal -1
	s_barrier_wait -1
	s_and_saveexec_b32 s53, s14
	s_cbranch_execz .LBB60_883
; %bb.882:                              ;   in Loop: Header=BB60_3 Depth=1
	ds_load_b128 v[34:37], v5 offset:27040
	ds_load_b64 v[38:39], v5 offset:27560
	s_wait_dscnt 0x1
	v_dual_mov_b32 v96, v37 :: v_dual_mov_b32 v97, v36
	s_wait_dscnt 0x0
	v_dual_mul_f32 v95, v39, v35 :: v_dual_mul_f32 v40, v38, v35
	s_delay_alu instid0(VALU_DEP_1) | instskip(NEXT) | instid1(VALU_DEP_1)
	v_xor_b32_e32 v98, 0x80000000, v95
	v_dual_fmac_f32 v40, v39, v34 :: v_dual_fmac_f32 v98, v38, v34
	s_delay_alu instid0(VALU_DEP_1) | instskip(NEXT) | instid1(VALU_DEP_1)
	v_pk_mul_f32 v[34:35], v[40:41], v[96:97] op_sel_hi:[0,1]
	v_pk_fma_f32 v[38:39], v[98:99], v[36:37], v[34:35] op_sel_hi:[0,1,1]
	v_pk_fma_f32 v[34:35], v[98:99], v[36:37], v[34:35] neg_lo:[0,0,1] neg_hi:[0,0,1]
	v_add_nc_u32_e64 v36, 0x6800, 0
	s_delay_alu instid0(VALU_DEP_3)
	v_mov_b32_e32 v35, v39
	ds_store_2addr_b64 v36, v[34:35], v[34:35] offset0:53 offset1:116
.LBB60_883:                             ;   in Loop: Header=BB60_3 Depth=1
	s_or_b32 exec_lo, exec_lo, s53
	v_mov_b32_e32 v35, 0
	s_wait_dscnt 0x0
	s_barrier_signal -1
	s_barrier_wait -1
	s_delay_alu instid0(VALU_DEP_1)
	v_mov_b32_e32 v34, v35
	s_and_saveexec_b32 s53, s0
	s_cbranch_execz .LBB60_887
; %bb.884:                              ;   in Loop: Header=BB60_3 Depth=1
	ds_load_b64 v[34:35], v42 offset:27056
	ds_load_b64 v[36:37], v43 offset:27040
	s_wait_dscnt 0x0
	v_dual_mul_f32 v38, v37, v35 :: v_dual_mul_f32 v39, v36, v35
	s_delay_alu instid0(VALU_DEP_1) | instskip(NEXT) | instid1(VALU_DEP_1)
	v_dual_fma_f32 v38, v36, v34, -v38 :: v_dual_fmac_f32 v39, v37, v34
	v_pk_add_f32 v[34:35], v[38:39], 0 op_sel_hi:[1,0]
	s_and_saveexec_b32 s54, s15
	s_cbranch_execz .LBB60_886
; %bb.885:                              ;   in Loop: Header=BB60_3 Depth=1
	ds_load_b64 v[36:37], v54 offset:27568
	ds_load_b64 v[38:39], v5 offset:27048
	s_wait_dscnt 0x0
	v_pk_mul_f32 v[96:97], v[38:39], v[36:37] op_sel:[1,1] op_sel_hi:[0,1]
	s_delay_alu instid0(VALU_DEP_1) | instskip(SKIP_1) | instid1(VALU_DEP_2)
	v_pk_fma_f32 v[98:99], v[38:39], v[36:37], v[96:97] op_sel_hi:[1,0,1]
	v_pk_fma_f32 v[36:37], v[38:39], v[36:37], v[96:97] neg_lo:[0,0,1] neg_hi:[0,0,1]
	v_mov_b32_e32 v37, v99
	s_delay_alu instid0(VALU_DEP_1)
	v_pk_add_f32 v[34:35], v[34:35], v[36:37]
.LBB60_886:                             ;   in Loop: Header=BB60_3 Depth=1
	s_or_b32 exec_lo, exec_lo, s54
	s_delay_alu instid0(VALU_DEP_1)
	v_pk_add_f32 v[34:35], v[34:35], 0 neg_lo:[1,1] neg_hi:[1,1]
.LBB60_887:                             ;   in Loop: Header=BB60_3 Depth=1
	s_or_b32 exec_lo, exec_lo, s53
	s_and_saveexec_b32 s53, s94
	s_cbranch_execz .LBB60_889
; %bb.888:                              ;   in Loop: Header=BB60_3 Depth=1
	ds_load_b64 v[36:37], v5 offset:28080
	s_wait_dscnt 0x0
	v_pk_mul_f32 v[38:39], v[34:35], v[36:37] op_sel:[1,1] op_sel_hi:[1,0]
	s_delay_alu instid0(VALU_DEP_1) | instskip(SKIP_1) | instid1(VALU_DEP_2)
	v_pk_fma_f32 v[96:97], v[34:35], v[36:37], v[38:39] op_sel_hi:[0,1,1]
	v_pk_fma_f32 v[36:37], v[34:35], v[36:37], v[38:39] neg_lo:[0,0,1] neg_hi:[0,0,1]
	v_mov_b32_e32 v37, v97
	s_delay_alu instid0(VALU_DEP_1)
	v_mov_b64_e32 v[34:35], v[36:37]
	ds_store_b64 v3, v[36:37]
.LBB60_889:                             ;   in Loop: Header=BB60_3 Depth=1
	s_or_b32 exec_lo, exec_lo, s53
	s_wait_dscnt 0x0
	s_barrier_signal -1
	s_barrier_wait -1
	s_and_saveexec_b32 s53, s95
	s_cbranch_execz .LBB60_891
; %bb.890:                              ;   in Loop: Header=BB60_3 Depth=1
	ds_load_b64 v[36:37], v5 offset:28088
	ds_load_b64 v[38:39], v3
	s_wait_dscnt 0x0
	v_pk_mul_f32 v[96:97], v[38:39], v[36:37] op_sel:[1,1] op_sel_hi:[0,1]
	s_delay_alu instid0(VALU_DEP_1) | instskip(SKIP_1) | instid1(VALU_DEP_2)
	v_pk_fma_f32 v[98:99], v[38:39], v[36:37], v[96:97] op_sel_hi:[1,0,1]
	v_pk_fma_f32 v[36:37], v[38:39], v[36:37], v[96:97] neg_lo:[0,0,1] neg_hi:[0,0,1]
	v_mov_b32_e32 v37, v99
	s_delay_alu instid0(VALU_DEP_1)
	v_pk_add_f32 v[34:35], v[34:35], v[36:37]
.LBB60_891:                             ;   in Loop: Header=BB60_3 Depth=1
	s_or_b32 exec_lo, exec_lo, s53
	s_barrier_signal -1
	s_barrier_wait -1
	s_and_saveexec_b32 s53, s95
	s_cbranch_execz .LBB60_893
; %bb.892:                              ;   in Loop: Header=BB60_3 Depth=1
	ds_load_b64 v[36:37], v5 offset:28600
	s_wait_dscnt 0x0
	v_pk_mul_f32 v[38:39], v[34:35], v[36:37] op_sel:[1,1] op_sel_hi:[1,0]
	s_delay_alu instid0(VALU_DEP_1) | instskip(SKIP_1) | instid1(VALU_DEP_2)
	v_pk_fma_f32 v[96:97], v[34:35], v[36:37], v[38:39] op_sel_hi:[0,1,1]
	v_pk_fma_f32 v[36:37], v[34:35], v[36:37], v[38:39] neg_lo:[0,0,1] neg_hi:[0,0,1]
	v_mov_b32_e32 v37, v97
	s_delay_alu instid0(VALU_DEP_1)
	v_mov_b64_e32 v[34:35], v[36:37]
	ds_store_b64 v3, v[36:37]
.LBB60_893:                             ;   in Loop: Header=BB60_3 Depth=1
	s_or_b32 exec_lo, exec_lo, s53
	s_wait_dscnt 0x0
	s_barrier_signal -1
	s_barrier_wait -1
	s_barrier_signal -1
	s_barrier_wait -1
	s_and_saveexec_b32 s53, s0
; %bb.894:                              ;   in Loop: Header=BB60_3 Depth=1
	v_pk_add_f32 v[34:35], v[34:35], 0 neg_lo:[1,1] neg_hi:[1,1]
	ds_store_b64 v42, v[34:35] offset:27056
; %bb.895:                              ;   in Loop: Header=BB60_3 Depth=1
	s_or_b32 exec_lo, exec_lo, s53
	s_wait_dscnt 0x0
	s_barrier_signal -1
	s_barrier_wait -1
	s_barrier_signal -1
	s_barrier_wait -1
	s_and_saveexec_b32 s53, s96
	s_cbranch_execz .LBB60_897
; %bb.896:                              ;   in Loop: Header=BB60_3 Depth=1
	ds_load_b64 v[34:35], v56 offset:27056
	s_wait_dscnt 0x0
	ds_store_b64 v54, v[34:35] offset:28064
	ds_load_b64 v[34:35], v56 offset:27064
	s_wait_dscnt 0x0
	ds_store_b64 v54, v[34:35] offset:28576
.LBB60_897:                             ;   in Loop: Header=BB60_3 Depth=1
	s_or_b32 exec_lo, exec_lo, s53
	s_wait_dscnt 0x0
	s_barrier_signal -1
	s_barrier_wait -1
	s_and_saveexec_b32 s53, s14
	s_cbranch_execz .LBB60_899
; %bb.898:                              ;   in Loop: Header=BB60_3 Depth=1
	ds_load_b128 v[34:37], v5 offset:28080
	ds_load_b64 v[38:39], v5 offset:28600
	s_wait_dscnt 0x1
	v_dual_mov_b32 v96, v37 :: v_dual_mov_b32 v97, v36
	s_wait_dscnt 0x0
	v_dual_mul_f32 v95, v39, v35 :: v_dual_mul_f32 v40, v38, v35
	s_delay_alu instid0(VALU_DEP_1) | instskip(NEXT) | instid1(VALU_DEP_1)
	v_xor_b32_e32 v98, 0x80000000, v95
	v_dual_fmac_f32 v40, v39, v34 :: v_dual_fmac_f32 v98, v38, v34
	s_delay_alu instid0(VALU_DEP_1) | instskip(NEXT) | instid1(VALU_DEP_1)
	v_pk_mul_f32 v[34:35], v[40:41], v[96:97] op_sel_hi:[0,1]
	v_pk_fma_f32 v[38:39], v[98:99], v[36:37], v[34:35] op_sel_hi:[0,1,1]
	v_pk_fma_f32 v[34:35], v[98:99], v[36:37], v[34:35] neg_lo:[0,0,1] neg_hi:[0,0,1]
	v_add_nc_u32_e64 v36, 0x6800, 0
	s_delay_alu instid0(VALU_DEP_3)
	v_mov_b32_e32 v35, v39
	ds_store_2addr_b64 v36, v[34:35], v[34:35] offset0:183 offset1:246
.LBB60_899:                             ;   in Loop: Header=BB60_3 Depth=1
	s_or_b32 exec_lo, exec_lo, s53
	v_mov_b32_e32 v34, 0
	s_wait_dscnt 0x0
	s_barrier_signal -1
	s_barrier_wait -1
	s_delay_alu instid0(VALU_DEP_1)
	v_mov_b32_e32 v35, v34
	s_and_saveexec_b32 s65, s3
	s_cbranch_execz .LBB60_909
; %bb.900:                              ;   in Loop: Header=BB60_3 Depth=1
	ds_load_b64 v[34:35], v59 offset:25024
	ds_load_b64 v[36:37], v55 offset:24960
	s_wait_dscnt 0x0
	v_dual_mul_f32 v38, v37, v35 :: v_dual_mul_f32 v39, v36, v35
	s_delay_alu instid0(VALU_DEP_1) | instskip(NEXT) | instid1(VALU_DEP_1)
	v_dual_fma_f32 v35, v36, v34, -v38 :: v_dual_fmac_f32 v39, v37, v34
	v_add_f32_e32 v35, 0, v35
	s_delay_alu instid0(VALU_DEP_2)
	v_add_f32_e32 v34, 0, v39
	s_and_saveexec_b32 s53, s18
	s_cbranch_execnz .LBB60_1166
; %bb.901:                              ;   in Loop: Header=BB60_3 Depth=1
	s_or_b32 exec_lo, exec_lo, s53
	s_and_saveexec_b32 s53, s19
	s_cbranch_execnz .LBB60_1167
.LBB60_902:                             ;   in Loop: Header=BB60_3 Depth=1
	s_or_b32 exec_lo, exec_lo, s53
	s_and_saveexec_b32 s53, s20
	s_cbranch_execnz .LBB60_1168
.LBB60_903:                             ;   in Loop: Header=BB60_3 Depth=1
	s_or_b32 exec_lo, exec_lo, s53
	s_and_saveexec_b32 s53, s21
	s_cbranch_execnz .LBB60_1169
.LBB60_904:                             ;   in Loop: Header=BB60_3 Depth=1
	s_or_b32 exec_lo, exec_lo, s53
	s_and_saveexec_b32 s53, s22
	s_cbranch_execnz .LBB60_1170
.LBB60_905:                             ;   in Loop: Header=BB60_3 Depth=1
	s_or_b32 exec_lo, exec_lo, s53
	s_and_saveexec_b32 s53, s2
	s_cbranch_execnz .LBB60_1171
.LBB60_906:                             ;   in Loop: Header=BB60_3 Depth=1
	s_or_b32 exec_lo, exec_lo, s53
	s_and_saveexec_b32 s53, s17
	s_cbranch_execz .LBB60_908
.LBB60_907:                             ;   in Loop: Header=BB60_3 Depth=1
	ds_load_b64 v[36:37], v69 offset:28608
	ds_load_b64 v[38:39], v5 offset:25016
	s_wait_dscnt 0x0
	v_pk_mul_f32 v[96:97], v[38:39], v[36:37] op_sel:[0,1]
	s_delay_alu instid0(VALU_DEP_1) | instskip(SKIP_1) | instid1(VALU_DEP_2)
	v_pk_fma_f32 v[98:99], v[38:39], v[36:37], v[96:97] op_sel:[1,0,0] op_sel_hi:[0,0,1] neg_lo:[0,0,1] neg_hi:[0,0,1]
	v_pk_fma_f32 v[36:37], v[38:39], v[36:37], v[96:97] op_sel:[1,0,0] op_sel_hi:[0,1,1]
	v_mov_b32_e32 v37, v99
	s_delay_alu instid0(VALU_DEP_1)
	v_pk_add_f32 v[34:35], v[34:35], v[36:37]
.LBB60_908:                             ;   in Loop: Header=BB60_3 Depth=1
	s_or_b32 exec_lo, exec_lo, s53
	s_delay_alu instid0(VALU_DEP_1) | instskip(NEXT) | instid1(VALU_DEP_1)
	v_pk_add_f32 v[36:37], v[34:35], 0 neg_lo:[1,1] neg_hi:[1,1]
	v_dual_mov_b32 v34, v37 :: v_dual_mov_b32 v35, v36
.LBB60_909:                             ;   in Loop: Header=BB60_3 Depth=1
	s_or_b32 exec_lo, exec_lo, s65
	s_and_saveexec_b32 s53, s104
	s_cbranch_execz .LBB60_911
; %bb.910:                              ;   in Loop: Header=BB60_3 Depth=1
	ds_load_b64 v[36:37], v5 offset:29120
	v_dual_mov_b32 v38, v35 :: v_dual_mov_b32 v39, v34
	s_wait_dscnt 0x0
	s_delay_alu instid0(VALU_DEP_1) | instskip(NEXT) | instid1(VALU_DEP_1)
	v_dual_mul_f32 v40, v38, v36 :: v_dual_mul_f32 v96, v35, v37
	v_pk_fma_f32 v[38:39], v[38:39], v[36:37], v[40:41] op_sel_hi:[1,1,0]
	s_delay_alu instid0(VALU_DEP_2) | instskip(NEXT) | instid1(VALU_DEP_2)
	v_pk_fma_f32 v[34:35], v[34:35], v[36:37], v[96:97] op_sel_hi:[1,1,0] neg_lo:[0,0,1] neg_hi:[0,0,1]
	v_mov_b32_e32 v35, v39
	ds_store_b64 v58, v[34:35]
.LBB60_911:                             ;   in Loop: Header=BB60_3 Depth=1
	s_or_b32 exec_lo, exec_lo, s53
	s_wait_dscnt 0x0
	s_barrier_signal -1
	s_barrier_wait -1
	s_and_saveexec_b32 s53, vcc_hi
	s_cbranch_execz .LBB60_913
; %bb.912:                              ;   in Loop: Header=BB60_3 Depth=1
	ds_load_b64 v[36:37], v57 offset:29120
	ds_load_b64 v[38:39], v58
	s_wait_dscnt 0x0
	v_dual_mul_f32 v40, v39, v37 :: v_dual_mul_f32 v97, v38, v37
	s_delay_alu instid0(VALU_DEP_1) | instskip(NEXT) | instid1(VALU_DEP_1)
	v_dual_fma_f32 v96, v38, v36, -v40 :: v_dual_fmac_f32 v97, v39, v36
	v_pk_add_f32 v[34:35], v[34:35], v[96:97]
.LBB60_913:                             ;   in Loop: Header=BB60_3 Depth=1
	s_or_b32 exec_lo, exec_lo, s53
	s_barrier_signal -1
	s_barrier_wait -1
	s_and_saveexec_b32 s53, s38
	s_cbranch_execz .LBB60_915
; %bb.914:                              ;   in Loop: Header=BB60_3 Depth=1
	ds_load_b64 v[36:37], v5 offset:29640
	s_wait_dscnt 0x0
	v_pk_mul_f32 v[38:39], v[34:35], v[36:37] op_sel:[1,1] op_sel_hi:[1,0]
	s_delay_alu instid0(VALU_DEP_1) | instskip(SKIP_1) | instid1(VALU_DEP_2)
	v_pk_fma_f32 v[96:97], v[34:35], v[36:37], v[38:39] op_sel_hi:[0,1,1]
	v_pk_fma_f32 v[34:35], v[34:35], v[36:37], v[38:39] op_sel_hi:[0,1,1] neg_lo:[0,0,1] neg_hi:[0,0,1]
	v_mov_b32_e32 v35, v97
	ds_store_b64 v58, v[34:35]
.LBB60_915:                             ;   in Loop: Header=BB60_3 Depth=1
	s_or_b32 exec_lo, exec_lo, s53
	s_wait_dscnt 0x0
	s_barrier_signal -1
	s_barrier_wait -1
	s_and_saveexec_b32 s53, s39
	s_cbranch_execz .LBB60_917
; %bb.916:                              ;   in Loop: Header=BB60_3 Depth=1
	ds_load_b64 v[36:37], v57 offset:29632
	ds_load_b64 v[38:39], v58
	s_wait_dscnt 0x0
	v_pk_mul_f32 v[96:97], v[38:39], v[36:37] op_sel:[1,1] op_sel_hi:[0,1]
	s_delay_alu instid0(VALU_DEP_1) | instskip(SKIP_1) | instid1(VALU_DEP_2)
	v_pk_fma_f32 v[98:99], v[38:39], v[36:37], v[96:97] op_sel_hi:[1,0,1]
	v_pk_fma_f32 v[36:37], v[38:39], v[36:37], v[96:97] op_sel_hi:[1,0,1] neg_lo:[0,0,1] neg_hi:[0,0,1]
	v_mov_b32_e32 v37, v99
	s_delay_alu instid0(VALU_DEP_1)
	v_pk_add_f32 v[34:35], v[34:35], v[36:37]
.LBB60_917:                             ;   in Loop: Header=BB60_3 Depth=1
	s_or_b32 exec_lo, exec_lo, s53
	s_barrier_signal -1
	s_barrier_wait -1
	s_and_saveexec_b32 s53, s40
	s_cbranch_execz .LBB60_919
; %bb.918:                              ;   in Loop: Header=BB60_3 Depth=1
	ds_load_b64 v[36:37], v5 offset:30160
	s_wait_dscnt 0x0
	v_pk_mul_f32 v[38:39], v[34:35], v[36:37] op_sel:[1,1] op_sel_hi:[1,0]
	s_delay_alu instid0(VALU_DEP_1) | instskip(SKIP_1) | instid1(VALU_DEP_2)
	v_pk_fma_f32 v[96:97], v[34:35], v[36:37], v[38:39] op_sel_hi:[0,1,1]
	v_pk_fma_f32 v[34:35], v[34:35], v[36:37], v[38:39] op_sel_hi:[0,1,1] neg_lo:[0,0,1] neg_hi:[0,0,1]
	v_mov_b32_e32 v35, v97
	ds_store_b64 v58, v[34:35]
.LBB60_919:                             ;   in Loop: Header=BB60_3 Depth=1
	s_or_b32 exec_lo, exec_lo, s53
	s_wait_dscnt 0x0
	s_barrier_signal -1
	s_barrier_wait -1
	s_and_saveexec_b32 s53, s41
	s_cbranch_execz .LBB60_921
; %bb.920:                              ;   in Loop: Header=BB60_3 Depth=1
	ds_load_b64 v[36:37], v57 offset:30144
	ds_load_b64 v[38:39], v58
	s_wait_dscnt 0x0
	v_pk_mul_f32 v[96:97], v[38:39], v[36:37] op_sel:[1,1] op_sel_hi:[0,1]
	s_delay_alu instid0(VALU_DEP_1) | instskip(SKIP_1) | instid1(VALU_DEP_2)
	v_pk_fma_f32 v[98:99], v[38:39], v[36:37], v[96:97] op_sel_hi:[1,0,1]
	v_pk_fma_f32 v[36:37], v[38:39], v[36:37], v[96:97] op_sel_hi:[1,0,1] neg_lo:[0,0,1] neg_hi:[0,0,1]
	v_mov_b32_e32 v37, v99
	s_delay_alu instid0(VALU_DEP_1)
	v_pk_add_f32 v[34:35], v[34:35], v[36:37]
.LBB60_921:                             ;   in Loop: Header=BB60_3 Depth=1
	;; [unrolled: 33-line block ×3, first 2 shown]
	s_or_b32 exec_lo, exec_lo, s53
	s_barrier_signal -1
	s_barrier_wait -1
	s_and_saveexec_b32 s53, s44
	s_cbranch_execz .LBB60_927
; %bb.926:                              ;   in Loop: Header=BB60_3 Depth=1
	ds_load_b64 v[36:37], v5 offset:31200
	s_wait_dscnt 0x0
	v_dual_mul_f32 v38, v34, v37 :: v_dual_mul_f32 v40, v35, v37
	s_delay_alu instid0(VALU_DEP_1) | instskip(NEXT) | instid1(VALU_DEP_2)
	v_pk_fma_f32 v[38:39], v[34:35], v[36:37], v[38:39] op_sel:[0,1,0] op_sel_hi:[1,0,0]
	v_pk_fma_f32 v[36:37], v[34:35], v[36:37], v[40:41] op_sel_hi:[1,1,0] neg_lo:[0,0,1] neg_hi:[0,0,1]
	s_delay_alu instid0(VALU_DEP_2) | instskip(NEXT) | instid1(VALU_DEP_1)
	v_mov_b32_e32 v37, v39
	v_mov_b64_e32 v[34:35], v[36:37]
	ds_store_b64 v58, v[36:37]
.LBB60_927:                             ;   in Loop: Header=BB60_3 Depth=1
	s_or_b32 exec_lo, exec_lo, s53
	s_wait_dscnt 0x0
	s_barrier_signal -1
	s_barrier_wait -1
	s_and_saveexec_b32 s53, s45
	s_cbranch_execz .LBB60_929
; %bb.928:                              ;   in Loop: Header=BB60_3 Depth=1
	ds_load_b64 v[36:37], v57 offset:31168
	ds_load_b64 v[38:39], v58
	s_wait_dscnt 0x0
	v_dual_mul_f32 v40, v39, v37 :: v_dual_mul_f32 v97, v38, v37
	s_delay_alu instid0(VALU_DEP_1) | instskip(NEXT) | instid1(VALU_DEP_1)
	v_dual_fma_f32 v96, v38, v36, -v40 :: v_dual_fmac_f32 v97, v39, v36
	v_pk_add_f32 v[34:35], v[34:35], v[96:97]
.LBB60_929:                             ;   in Loop: Header=BB60_3 Depth=1
	s_or_b32 exec_lo, exec_lo, s53
	s_barrier_signal -1
	s_barrier_wait -1
	s_and_saveexec_b32 s53, s46
	s_cbranch_execz .LBB60_931
; %bb.930:                              ;   in Loop: Header=BB60_3 Depth=1
	ds_load_b64 v[36:37], v5 offset:31720
	s_wait_dscnt 0x0
	v_pk_mul_f32 v[38:39], v[34:35], v[36:37] op_sel:[1,1] op_sel_hi:[1,0]
	s_delay_alu instid0(VALU_DEP_1) | instskip(SKIP_1) | instid1(VALU_DEP_2)
	v_pk_fma_f32 v[96:97], v[34:35], v[36:37], v[38:39] op_sel_hi:[0,1,1]
	v_pk_fma_f32 v[36:37], v[34:35], v[36:37], v[38:39] neg_lo:[0,0,1] neg_hi:[0,0,1]
	v_mov_b32_e32 v37, v97
	s_delay_alu instid0(VALU_DEP_1)
	v_mov_b64_e32 v[34:35], v[36:37]
	ds_store_b64 v58, v[36:37]
.LBB60_931:                             ;   in Loop: Header=BB60_3 Depth=1
	s_or_b32 exec_lo, exec_lo, s53
	s_wait_dscnt 0x0
	s_barrier_signal -1
	s_barrier_wait -1
	s_and_saveexec_b32 s53, s47
	s_cbranch_execz .LBB60_933
; %bb.932:                              ;   in Loop: Header=BB60_3 Depth=1
	ds_load_b64 v[36:37], v57 offset:31680
	ds_load_b64 v[38:39], v58
	s_wait_dscnt 0x0
	v_pk_mul_f32 v[96:97], v[38:39], v[36:37] op_sel:[1,1] op_sel_hi:[0,1]
	s_delay_alu instid0(VALU_DEP_1) | instskip(SKIP_1) | instid1(VALU_DEP_2)
	v_pk_fma_f32 v[98:99], v[38:39], v[36:37], v[96:97] op_sel_hi:[1,0,1]
	v_pk_fma_f32 v[36:37], v[38:39], v[36:37], v[96:97] neg_lo:[0,0,1] neg_hi:[0,0,1]
	v_mov_b32_e32 v37, v99
	s_delay_alu instid0(VALU_DEP_1)
	v_pk_add_f32 v[34:35], v[34:35], v[36:37]
.LBB60_933:                             ;   in Loop: Header=BB60_3 Depth=1
	s_or_b32 exec_lo, exec_lo, s53
	s_barrier_signal -1
	s_barrier_wait -1
	s_and_saveexec_b32 s53, s48
	s_cbranch_execz .LBB60_935
; %bb.934:                              ;   in Loop: Header=BB60_3 Depth=1
	ds_load_b64 v[36:37], v5 offset:32240
	s_wait_dscnt 0x0
	v_pk_mul_f32 v[38:39], v[34:35], v[36:37] op_sel:[1,1] op_sel_hi:[1,0]
	s_delay_alu instid0(VALU_DEP_1) | instskip(SKIP_1) | instid1(VALU_DEP_2)
	v_pk_fma_f32 v[96:97], v[34:35], v[36:37], v[38:39] op_sel_hi:[0,1,1]
	v_pk_fma_f32 v[36:37], v[34:35], v[36:37], v[38:39] neg_lo:[0,0,1] neg_hi:[0,0,1]
	v_mov_b32_e32 v37, v97
	s_delay_alu instid0(VALU_DEP_1)
	v_mov_b64_e32 v[34:35], v[36:37]
	ds_store_b64 v58, v[36:37]
.LBB60_935:                             ;   in Loop: Header=BB60_3 Depth=1
	s_or_b32 exec_lo, exec_lo, s53
	s_wait_dscnt 0x0
	s_barrier_signal -1
	s_barrier_wait -1
	s_and_saveexec_b32 s53, s49
	s_cbranch_execz .LBB60_937
; %bb.936:                              ;   in Loop: Header=BB60_3 Depth=1
	ds_load_b64 v[36:37], v5 offset:32248
	ds_load_b64 v[38:39], v58
	s_wait_dscnt 0x0
	v_pk_mul_f32 v[96:97], v[38:39], v[36:37] op_sel:[1,1] op_sel_hi:[0,1]
	s_delay_alu instid0(VALU_DEP_1) | instskip(SKIP_1) | instid1(VALU_DEP_2)
	v_pk_fma_f32 v[98:99], v[38:39], v[36:37], v[96:97] op_sel_hi:[1,0,1]
	v_pk_fma_f32 v[36:37], v[38:39], v[36:37], v[96:97] neg_lo:[0,0,1] neg_hi:[0,0,1]
	v_mov_b32_e32 v37, v99
	s_delay_alu instid0(VALU_DEP_1)
	v_pk_add_f32 v[34:35], v[34:35], v[36:37]
.LBB60_937:                             ;   in Loop: Header=BB60_3 Depth=1
	s_or_b32 exec_lo, exec_lo, s53
	s_barrier_signal -1
	s_barrier_wait -1
	s_and_saveexec_b32 s53, s49
	s_cbranch_execz .LBB60_939
; %bb.938:                              ;   in Loop: Header=BB60_3 Depth=1
	ds_load_b64 v[36:37], v5 offset:32760
	s_wait_dscnt 0x0
	v_pk_mul_f32 v[38:39], v[34:35], v[36:37] op_sel:[1,1] op_sel_hi:[1,0]
	s_delay_alu instid0(VALU_DEP_1) | instskip(SKIP_1) | instid1(VALU_DEP_2)
	v_pk_fma_f32 v[96:97], v[34:35], v[36:37], v[38:39] op_sel_hi:[0,1,1]
	v_pk_fma_f32 v[36:37], v[34:35], v[36:37], v[38:39] neg_lo:[0,0,1] neg_hi:[0,0,1]
	v_mov_b32_e32 v37, v97
	s_delay_alu instid0(VALU_DEP_1)
	v_mov_b64_e32 v[34:35], v[36:37]
	ds_store_b64 v58, v[36:37]
.LBB60_939:                             ;   in Loop: Header=BB60_3 Depth=1
	s_or_b32 exec_lo, exec_lo, s53
	s_wait_dscnt 0x0
	s_barrier_signal -1
	s_barrier_wait -1
	s_barrier_signal -1
	s_barrier_wait -1
	s_and_saveexec_b32 s53, s3
; %bb.940:                              ;   in Loop: Header=BB60_3 Depth=1
	v_pk_add_f32 v[34:35], v[34:35], 0 neg_lo:[1,1] neg_hi:[1,1]
	ds_store_b64 v59, v[34:35] offset:25024
; %bb.941:                              ;   in Loop: Header=BB60_3 Depth=1
	s_or_b32 exec_lo, exec_lo, s53
	s_wait_dscnt 0x0
	s_barrier_signal -1
	s_barrier_wait -1
	s_barrier_signal -1
	s_barrier_wait -1
	s_and_saveexec_b32 s53, s50
	s_cbranch_execz .LBB60_943
; %bb.942:                              ;   in Loop: Header=BB60_3 Depth=1
	ds_load_b64 v[34:35], v70 offset:25024
	s_wait_dscnt 0x0
	ds_store_b64 v71, v[34:35] offset:29056
	ds_load_b64 v[34:35], v70 offset:25032
	s_wait_dscnt 0x0
	ds_store_b64 v71, v[34:35] offset:29568
	;; [unrolled: 3-line block ×8, first 2 shown]
.LBB60_943:                             ;   in Loop: Header=BB60_3 Depth=1
	s_or_b32 exec_lo, exec_lo, s53
	s_wait_dscnt 0x0
	s_barrier_signal -1
	s_barrier_wait -1
	s_and_saveexec_b32 s53, s14
	s_cbranch_execz .LBB60_945
; %bb.944:                              ;   in Loop: Header=BB60_3 Depth=1
	ds_load_b128 v[34:37], v5 offset:29120
	ds_load_b64 v[38:39], v5 offset:29640
	s_wait_dscnt 0x1
	v_dual_mov_b32 v96, v37 :: v_dual_mov_b32 v97, v36
	s_wait_dscnt 0x0
	v_dual_mul_f32 v95, v39, v35 :: v_dual_mul_f32 v40, v38, v35
	s_delay_alu instid0(VALU_DEP_1) | instskip(NEXT) | instid1(VALU_DEP_1)
	v_xor_b32_e32 v98, 0x80000000, v95
	v_dual_fmac_f32 v40, v39, v34 :: v_dual_fmac_f32 v98, v38, v34
	s_delay_alu instid0(VALU_DEP_1) | instskip(NEXT) | instid1(VALU_DEP_1)
	v_pk_mul_f32 v[34:35], v[40:41], v[96:97] op_sel_hi:[0,1]
	v_pk_fma_f32 v[38:39], v[98:99], v[36:37], v[34:35] op_sel_hi:[0,1,1]
	v_pk_fma_f32 v[34:35], v[98:99], v[36:37], v[34:35] neg_lo:[0,0,1] neg_hi:[0,0,1]
	v_add_nc_u32_e64 v36, 0x7000, 0
	s_delay_alu instid0(VALU_DEP_3)
	v_mov_b32_e32 v35, v39
	ds_store_2addr_b64 v36, v[34:35], v[34:35] offset0:57 offset1:120
.LBB60_945:                             ;   in Loop: Header=BB60_3 Depth=1
	s_or_b32 exec_lo, exec_lo, s53
	v_mov_b32_e32 v35, 0
	s_wait_dscnt 0x0
	s_barrier_signal -1
	s_barrier_wait -1
	s_delay_alu instid0(VALU_DEP_1)
	v_mov_b32_e32 v34, v35
	s_and_saveexec_b32 s53, s0
	s_cbranch_execz .LBB60_949
; %bb.946:                              ;   in Loop: Header=BB60_3 Depth=1
	ds_load_b64 v[34:35], v42 offset:29136
	ds_load_b64 v[36:37], v43 offset:29120
	s_wait_dscnt 0x0
	v_dual_mul_f32 v38, v37, v35 :: v_dual_mul_f32 v39, v36, v35
	s_delay_alu instid0(VALU_DEP_1) | instskip(NEXT) | instid1(VALU_DEP_1)
	v_dual_fma_f32 v38, v36, v34, -v38 :: v_dual_fmac_f32 v39, v37, v34
	v_pk_add_f32 v[34:35], v[38:39], 0 op_sel_hi:[1,0]
	s_and_saveexec_b32 s54, s15
	s_cbranch_execz .LBB60_948
; %bb.947:                              ;   in Loop: Header=BB60_3 Depth=1
	ds_load_b64 v[36:37], v71 offset:29648
	ds_load_b64 v[38:39], v5 offset:29128
	s_wait_dscnt 0x0
	v_pk_mul_f32 v[96:97], v[38:39], v[36:37] op_sel:[1,1] op_sel_hi:[0,1]
	s_delay_alu instid0(VALU_DEP_1) | instskip(SKIP_1) | instid1(VALU_DEP_2)
	v_pk_fma_f32 v[98:99], v[38:39], v[36:37], v[96:97] op_sel_hi:[1,0,1]
	v_pk_fma_f32 v[36:37], v[38:39], v[36:37], v[96:97] neg_lo:[0,0,1] neg_hi:[0,0,1]
	v_mov_b32_e32 v37, v99
	s_delay_alu instid0(VALU_DEP_1)
	v_pk_add_f32 v[34:35], v[34:35], v[36:37]
.LBB60_948:                             ;   in Loop: Header=BB60_3 Depth=1
	s_or_b32 exec_lo, exec_lo, s54
	s_delay_alu instid0(VALU_DEP_1)
	v_pk_add_f32 v[34:35], v[34:35], 0 neg_lo:[1,1] neg_hi:[1,1]
.LBB60_949:                             ;   in Loop: Header=BB60_3 Depth=1
	s_or_b32 exec_lo, exec_lo, s53
	s_and_saveexec_b32 s53, s94
	s_cbranch_execz .LBB60_951
; %bb.950:                              ;   in Loop: Header=BB60_3 Depth=1
	ds_load_b64 v[36:37], v5 offset:30160
	s_wait_dscnt 0x0
	v_pk_mul_f32 v[38:39], v[34:35], v[36:37] op_sel:[1,1] op_sel_hi:[1,0]
	s_delay_alu instid0(VALU_DEP_1) | instskip(SKIP_1) | instid1(VALU_DEP_2)
	v_pk_fma_f32 v[96:97], v[34:35], v[36:37], v[38:39] op_sel_hi:[0,1,1]
	v_pk_fma_f32 v[36:37], v[34:35], v[36:37], v[38:39] neg_lo:[0,0,1] neg_hi:[0,0,1]
	v_mov_b32_e32 v37, v97
	s_delay_alu instid0(VALU_DEP_1)
	v_mov_b64_e32 v[34:35], v[36:37]
	ds_store_b64 v3, v[36:37]
.LBB60_951:                             ;   in Loop: Header=BB60_3 Depth=1
	s_or_b32 exec_lo, exec_lo, s53
	s_wait_dscnt 0x0
	s_barrier_signal -1
	s_barrier_wait -1
	s_and_saveexec_b32 s53, s95
	s_cbranch_execz .LBB60_953
; %bb.952:                              ;   in Loop: Header=BB60_3 Depth=1
	ds_load_b64 v[36:37], v5 offset:30168
	ds_load_b64 v[38:39], v3
	s_wait_dscnt 0x0
	v_pk_mul_f32 v[96:97], v[38:39], v[36:37] op_sel:[1,1] op_sel_hi:[0,1]
	s_delay_alu instid0(VALU_DEP_1) | instskip(SKIP_1) | instid1(VALU_DEP_2)
	v_pk_fma_f32 v[98:99], v[38:39], v[36:37], v[96:97] op_sel_hi:[1,0,1]
	v_pk_fma_f32 v[36:37], v[38:39], v[36:37], v[96:97] neg_lo:[0,0,1] neg_hi:[0,0,1]
	v_mov_b32_e32 v37, v99
	s_delay_alu instid0(VALU_DEP_1)
	v_pk_add_f32 v[34:35], v[34:35], v[36:37]
.LBB60_953:                             ;   in Loop: Header=BB60_3 Depth=1
	s_or_b32 exec_lo, exec_lo, s53
	s_barrier_signal -1
	s_barrier_wait -1
	s_and_saveexec_b32 s53, s95
	s_cbranch_execz .LBB60_955
; %bb.954:                              ;   in Loop: Header=BB60_3 Depth=1
	ds_load_b64 v[36:37], v5 offset:30680
	s_wait_dscnt 0x0
	v_pk_mul_f32 v[38:39], v[34:35], v[36:37] op_sel:[1,1] op_sel_hi:[1,0]
	s_delay_alu instid0(VALU_DEP_1) | instskip(SKIP_1) | instid1(VALU_DEP_2)
	v_pk_fma_f32 v[96:97], v[34:35], v[36:37], v[38:39] op_sel_hi:[0,1,1]
	v_pk_fma_f32 v[36:37], v[34:35], v[36:37], v[38:39] neg_lo:[0,0,1] neg_hi:[0,0,1]
	v_mov_b32_e32 v37, v97
	s_delay_alu instid0(VALU_DEP_1)
	v_mov_b64_e32 v[34:35], v[36:37]
	ds_store_b64 v3, v[36:37]
.LBB60_955:                             ;   in Loop: Header=BB60_3 Depth=1
	s_or_b32 exec_lo, exec_lo, s53
	s_wait_dscnt 0x0
	s_barrier_signal -1
	s_barrier_wait -1
	s_barrier_signal -1
	s_barrier_wait -1
	s_and_saveexec_b32 s53, s0
; %bb.956:                              ;   in Loop: Header=BB60_3 Depth=1
	v_pk_add_f32 v[34:35], v[34:35], 0 neg_lo:[1,1] neg_hi:[1,1]
	ds_store_b64 v42, v[34:35] offset:29136
; %bb.957:                              ;   in Loop: Header=BB60_3 Depth=1
	s_or_b32 exec_lo, exec_lo, s53
	s_wait_dscnt 0x0
	s_barrier_signal -1
	s_barrier_wait -1
	s_barrier_signal -1
	s_barrier_wait -1
	s_and_saveexec_b32 s53, s96
	s_cbranch_execz .LBB60_959
; %bb.958:                              ;   in Loop: Header=BB60_3 Depth=1
	ds_load_b64 v[34:35], v72 offset:29136
	s_wait_dscnt 0x0
	ds_store_b64 v71, v[34:35] offset:30144
	ds_load_b64 v[34:35], v72 offset:29144
	s_wait_dscnt 0x0
	ds_store_b64 v71, v[34:35] offset:30656
.LBB60_959:                             ;   in Loop: Header=BB60_3 Depth=1
	s_or_b32 exec_lo, exec_lo, s53
	s_wait_dscnt 0x0
	s_barrier_signal -1
	s_barrier_wait -1
	s_and_saveexec_b32 s53, s14
	s_cbranch_execz .LBB60_961
; %bb.960:                              ;   in Loop: Header=BB60_3 Depth=1
	ds_load_b128 v[34:37], v5 offset:30160
	ds_load_b64 v[38:39], v5 offset:30680
	s_wait_dscnt 0x1
	v_dual_mov_b32 v96, v37 :: v_dual_mov_b32 v97, v36
	s_wait_dscnt 0x0
	v_dual_mul_f32 v95, v39, v35 :: v_dual_mul_f32 v40, v38, v35
	s_delay_alu instid0(VALU_DEP_1) | instskip(NEXT) | instid1(VALU_DEP_1)
	v_xor_b32_e32 v98, 0x80000000, v95
	v_dual_fmac_f32 v40, v39, v34 :: v_dual_fmac_f32 v98, v38, v34
	s_delay_alu instid0(VALU_DEP_1) | instskip(NEXT) | instid1(VALU_DEP_1)
	v_pk_mul_f32 v[34:35], v[40:41], v[96:97] op_sel_hi:[0,1]
	v_pk_fma_f32 v[38:39], v[98:99], v[36:37], v[34:35] op_sel_hi:[0,1,1]
	v_pk_fma_f32 v[34:35], v[98:99], v[36:37], v[34:35] neg_lo:[0,0,1] neg_hi:[0,0,1]
	v_add_nc_u32_e64 v36, 0x7000, 0
	s_delay_alu instid0(VALU_DEP_3)
	v_mov_b32_e32 v35, v39
	ds_store_2addr_b64 v36, v[34:35], v[34:35] offset0:187 offset1:250
.LBB60_961:                             ;   in Loop: Header=BB60_3 Depth=1
	s_or_b32 exec_lo, exec_lo, s53
	v_mov_b32_e32 v34, 0
	s_wait_dscnt 0x0
	s_barrier_signal -1
	s_barrier_wait -1
	s_delay_alu instid0(VALU_DEP_1)
	v_mov_b32_e32 v35, v34
	s_and_saveexec_b32 s65, s2
	s_cbranch_execz .LBB60_967
; %bb.962:                              ;   in Loop: Header=BB60_3 Depth=1
	ds_load_b64 v[34:35], v49 offset:29152
	ds_load_b64 v[36:37], v45 offset:29120
	s_wait_dscnt 0x0
	v_pk_mul_f32 v[38:39], v[36:37], v[34:35] op_sel:[0,1]
	s_delay_alu instid0(VALU_DEP_1) | instskip(SKIP_1) | instid1(VALU_DEP_2)
	v_pk_fma_f32 v[96:97], v[36:37], v[34:35], v[38:39] op_sel:[1,0,0] op_sel_hi:[0,0,1] neg_lo:[0,0,1] neg_hi:[0,0,1]
	v_pk_fma_f32 v[34:35], v[36:37], v[34:35], v[38:39] op_sel:[1,0,0] op_sel_hi:[0,1,1]
	v_mov_b32_e32 v35, v97
	s_delay_alu instid0(VALU_DEP_1)
	v_pk_add_f32 v[34:35], v[34:35], 0 op_sel_hi:[1,0]
	s_and_saveexec_b32 s53, s16
	s_cbranch_execnz .LBB60_1172
; %bb.963:                              ;   in Loop: Header=BB60_3 Depth=1
	s_or_b32 exec_lo, exec_lo, s53
	s_and_saveexec_b32 s53, s17
	s_cbranch_execnz .LBB60_1173
.LBB60_964:                             ;   in Loop: Header=BB60_3 Depth=1
	s_or_b32 exec_lo, exec_lo, s53
	s_and_saveexec_b32 s53, s0
	s_cbranch_execz .LBB60_966
.LBB60_965:                             ;   in Loop: Header=BB60_3 Depth=1
	ds_load_b64 v[36:37], v73 offset:30688
	ds_load_b64 v[38:39], v5 offset:29144
	s_wait_dscnt 0x0
	v_pk_mul_f32 v[96:97], v[38:39], v[36:37] op_sel:[0,1]
	s_delay_alu instid0(VALU_DEP_1) | instskip(SKIP_1) | instid1(VALU_DEP_2)
	v_pk_fma_f32 v[98:99], v[38:39], v[36:37], v[96:97] op_sel:[1,0,0] op_sel_hi:[0,0,1] neg_lo:[0,0,1] neg_hi:[0,0,1]
	v_pk_fma_f32 v[36:37], v[38:39], v[36:37], v[96:97] op_sel:[1,0,0] op_sel_hi:[0,1,1]
	v_mov_b32_e32 v37, v99
	s_delay_alu instid0(VALU_DEP_1)
	v_pk_add_f32 v[34:35], v[34:35], v[36:37]
.LBB60_966:                             ;   in Loop: Header=BB60_3 Depth=1
	s_or_b32 exec_lo, exec_lo, s53
	s_delay_alu instid0(VALU_DEP_1) | instskip(NEXT) | instid1(VALU_DEP_1)
	v_pk_add_f32 v[36:37], v[34:35], 0 neg_lo:[1,1] neg_hi:[1,1]
	v_dual_mov_b32 v34, v37 :: v_dual_mov_b32 v35, v36
.LBB60_967:                             ;   in Loop: Header=BB60_3 Depth=1
	s_or_b32 exec_lo, exec_lo, s65
	s_and_saveexec_b32 s53, s97
	s_cbranch_execz .LBB60_969
; %bb.968:                              ;   in Loop: Header=BB60_3 Depth=1
	ds_load_b64 v[36:37], v5 offset:31200
	v_dual_mov_b32 v38, v35 :: v_dual_mov_b32 v39, v34
	s_wait_dscnt 0x0
	s_delay_alu instid0(VALU_DEP_1) | instskip(NEXT) | instid1(VALU_DEP_1)
	v_dual_mul_f32 v40, v38, v36 :: v_dual_mul_f32 v96, v35, v37
	v_pk_fma_f32 v[38:39], v[38:39], v[36:37], v[40:41] op_sel_hi:[1,1,0]
	s_delay_alu instid0(VALU_DEP_2) | instskip(NEXT) | instid1(VALU_DEP_2)
	v_pk_fma_f32 v[34:35], v[34:35], v[36:37], v[96:97] op_sel_hi:[1,1,0] neg_lo:[0,0,1] neg_hi:[0,0,1]
	v_mov_b32_e32 v35, v39
	ds_store_b64 v48, v[34:35]
.LBB60_969:                             ;   in Loop: Header=BB60_3 Depth=1
	s_or_b32 exec_lo, exec_lo, s53
	s_wait_dscnt 0x0
	s_barrier_signal -1
	s_barrier_wait -1
	s_and_saveexec_b32 s53, s98
	s_cbranch_execz .LBB60_971
; %bb.970:                              ;   in Loop: Header=BB60_3 Depth=1
	ds_load_b64 v[36:37], v46 offset:31200
	ds_load_b64 v[38:39], v48
	s_wait_dscnt 0x0
	v_dual_mul_f32 v40, v39, v37 :: v_dual_mul_f32 v97, v38, v37
	s_delay_alu instid0(VALU_DEP_1) | instskip(NEXT) | instid1(VALU_DEP_1)
	v_dual_fma_f32 v96, v38, v36, -v40 :: v_dual_fmac_f32 v97, v39, v36
	v_pk_add_f32 v[34:35], v[34:35], v[96:97]
.LBB60_971:                             ;   in Loop: Header=BB60_3 Depth=1
	s_or_b32 exec_lo, exec_lo, s53
	s_barrier_signal -1
	s_barrier_wait -1
	s_and_saveexec_b32 s53, s99
	s_cbranch_execz .LBB60_973
; %bb.972:                              ;   in Loop: Header=BB60_3 Depth=1
	ds_load_b64 v[36:37], v5 offset:31720
	s_wait_dscnt 0x0
	v_pk_mul_f32 v[38:39], v[34:35], v[36:37] op_sel:[1,1] op_sel_hi:[1,0]
	s_delay_alu instid0(VALU_DEP_1) | instskip(SKIP_1) | instid1(VALU_DEP_2)
	v_pk_fma_f32 v[96:97], v[34:35], v[36:37], v[38:39] op_sel_hi:[0,1,1]
	v_pk_fma_f32 v[36:37], v[34:35], v[36:37], v[38:39] neg_lo:[0,0,1] neg_hi:[0,0,1]
	v_mov_b32_e32 v37, v97
	s_delay_alu instid0(VALU_DEP_1)
	v_mov_b64_e32 v[34:35], v[36:37]
	ds_store_b64 v48, v[36:37]
.LBB60_973:                             ;   in Loop: Header=BB60_3 Depth=1
	s_or_b32 exec_lo, exec_lo, s53
	s_wait_dscnt 0x0
	s_barrier_signal -1
	s_barrier_wait -1
	s_and_saveexec_b32 s53, s100
	s_cbranch_execz .LBB60_975
; %bb.974:                              ;   in Loop: Header=BB60_3 Depth=1
	ds_load_b64 v[36:37], v46 offset:31712
	ds_load_b64 v[38:39], v48
	s_wait_dscnt 0x0
	v_pk_mul_f32 v[96:97], v[38:39], v[36:37] op_sel:[1,1] op_sel_hi:[0,1]
	s_delay_alu instid0(VALU_DEP_1) | instskip(SKIP_1) | instid1(VALU_DEP_2)
	v_pk_fma_f32 v[98:99], v[38:39], v[36:37], v[96:97] op_sel_hi:[1,0,1]
	v_pk_fma_f32 v[36:37], v[38:39], v[36:37], v[96:97] neg_lo:[0,0,1] neg_hi:[0,0,1]
	v_mov_b32_e32 v37, v99
	s_delay_alu instid0(VALU_DEP_1)
	v_pk_add_f32 v[34:35], v[34:35], v[36:37]
.LBB60_975:                             ;   in Loop: Header=BB60_3 Depth=1
	s_or_b32 exec_lo, exec_lo, s53
	s_barrier_signal -1
	s_barrier_wait -1
	s_and_saveexec_b32 s53, s101
	s_cbranch_execz .LBB60_977
; %bb.976:                              ;   in Loop: Header=BB60_3 Depth=1
	ds_load_b64 v[36:37], v5 offset:32240
	s_wait_dscnt 0x0
	v_pk_mul_f32 v[38:39], v[34:35], v[36:37] op_sel:[1,1] op_sel_hi:[1,0]
	s_delay_alu instid0(VALU_DEP_1) | instskip(SKIP_1) | instid1(VALU_DEP_2)
	v_pk_fma_f32 v[96:97], v[34:35], v[36:37], v[38:39] op_sel_hi:[0,1,1]
	v_pk_fma_f32 v[36:37], v[34:35], v[36:37], v[38:39] neg_lo:[0,0,1] neg_hi:[0,0,1]
	v_mov_b32_e32 v37, v97
	s_delay_alu instid0(VALU_DEP_1)
	v_mov_b64_e32 v[34:35], v[36:37]
	ds_store_b64 v48, v[36:37]
.LBB60_977:                             ;   in Loop: Header=BB60_3 Depth=1
	s_or_b32 exec_lo, exec_lo, s53
	s_wait_dscnt 0x0
	s_barrier_signal -1
	s_barrier_wait -1
	s_and_saveexec_b32 s53, s102
	s_cbranch_execz .LBB60_979
; %bb.978:                              ;   in Loop: Header=BB60_3 Depth=1
	ds_load_b64 v[36:37], v5 offset:32248
	ds_load_b64 v[38:39], v48
	s_wait_dscnt 0x0
	v_pk_mul_f32 v[96:97], v[38:39], v[36:37] op_sel:[1,1] op_sel_hi:[0,1]
	s_delay_alu instid0(VALU_DEP_1) | instskip(SKIP_1) | instid1(VALU_DEP_2)
	v_pk_fma_f32 v[98:99], v[38:39], v[36:37], v[96:97] op_sel_hi:[1,0,1]
	v_pk_fma_f32 v[36:37], v[38:39], v[36:37], v[96:97] neg_lo:[0,0,1] neg_hi:[0,0,1]
	v_mov_b32_e32 v37, v99
	s_delay_alu instid0(VALU_DEP_1)
	v_pk_add_f32 v[34:35], v[34:35], v[36:37]
.LBB60_979:                             ;   in Loop: Header=BB60_3 Depth=1
	s_or_b32 exec_lo, exec_lo, s53
	s_barrier_signal -1
	s_barrier_wait -1
	s_and_saveexec_b32 s53, s102
	s_cbranch_execz .LBB60_981
; %bb.980:                              ;   in Loop: Header=BB60_3 Depth=1
	ds_load_b64 v[36:37], v5 offset:32760
	s_wait_dscnt 0x0
	v_pk_mul_f32 v[38:39], v[34:35], v[36:37] op_sel:[1,1] op_sel_hi:[1,0]
	s_delay_alu instid0(VALU_DEP_1) | instskip(SKIP_1) | instid1(VALU_DEP_2)
	v_pk_fma_f32 v[96:97], v[34:35], v[36:37], v[38:39] op_sel_hi:[0,1,1]
	v_pk_fma_f32 v[36:37], v[34:35], v[36:37], v[38:39] neg_lo:[0,0,1] neg_hi:[0,0,1]
	v_mov_b32_e32 v37, v97
	s_delay_alu instid0(VALU_DEP_1)
	v_mov_b64_e32 v[34:35], v[36:37]
	ds_store_b64 v48, v[36:37]
.LBB60_981:                             ;   in Loop: Header=BB60_3 Depth=1
	s_or_b32 exec_lo, exec_lo, s53
	s_wait_dscnt 0x0
	s_barrier_signal -1
	s_barrier_wait -1
	s_barrier_signal -1
	s_barrier_wait -1
	s_and_saveexec_b32 s53, s2
; %bb.982:                              ;   in Loop: Header=BB60_3 Depth=1
	v_pk_add_f32 v[34:35], v[34:35], 0 neg_lo:[1,1] neg_hi:[1,1]
	ds_store_b64 v49, v[34:35] offset:29152
; %bb.983:                              ;   in Loop: Header=BB60_3 Depth=1
	s_or_b32 exec_lo, exec_lo, s53
	s_wait_dscnt 0x0
	s_barrier_signal -1
	s_barrier_wait -1
	s_barrier_signal -1
	s_barrier_wait -1
	s_and_saveexec_b32 s53, s103
	s_cbranch_execz .LBB60_985
; %bb.984:                              ;   in Loop: Header=BB60_3 Depth=1
	ds_load_b64 v[34:35], v76 offset:29152
	s_wait_dscnt 0x0
	ds_store_b64 v79, v[34:35] offset:31168
	ds_load_b64 v[34:35], v76 offset:29160
	s_wait_dscnt 0x0
	ds_store_b64 v79, v[34:35] offset:31680
	;; [unrolled: 3-line block ×4, first 2 shown]
.LBB60_985:                             ;   in Loop: Header=BB60_3 Depth=1
	s_or_b32 exec_lo, exec_lo, s53
	s_wait_dscnt 0x0
	s_barrier_signal -1
	s_barrier_wait -1
	s_and_saveexec_b32 s53, s14
	s_cbranch_execz .LBB60_987
; %bb.986:                              ;   in Loop: Header=BB60_3 Depth=1
	ds_load_b128 v[34:37], v5 offset:31200
	ds_load_b64 v[38:39], v5 offset:31720
	s_wait_dscnt 0x1
	v_dual_mov_b32 v96, v37 :: v_dual_mov_b32 v97, v36
	s_wait_dscnt 0x0
	v_dual_mul_f32 v95, v39, v35 :: v_dual_mul_f32 v40, v38, v35
	s_delay_alu instid0(VALU_DEP_1) | instskip(NEXT) | instid1(VALU_DEP_1)
	v_xor_b32_e32 v98, 0x80000000, v95
	v_dual_fmac_f32 v40, v39, v34 :: v_dual_fmac_f32 v98, v38, v34
	s_delay_alu instid0(VALU_DEP_1) | instskip(NEXT) | instid1(VALU_DEP_1)
	v_pk_mul_f32 v[34:35], v[40:41], v[96:97] op_sel_hi:[0,1]
	v_pk_fma_f32 v[38:39], v[98:99], v[36:37], v[34:35] op_sel_hi:[0,1,1]
	v_pk_fma_f32 v[34:35], v[98:99], v[36:37], v[34:35] neg_lo:[0,0,1] neg_hi:[0,0,1]
	v_add_nc_u32_e64 v36, 0x7800, 0
	s_delay_alu instid0(VALU_DEP_3)
	v_mov_b32_e32 v35, v39
	ds_store_2addr_b64 v36, v[34:35], v[34:35] offset0:61 offset1:124
.LBB60_987:                             ;   in Loop: Header=BB60_3 Depth=1
	s_or_b32 exec_lo, exec_lo, s53
	v_mov_b32_e32 v35, 0
	s_wait_dscnt 0x0
	s_barrier_signal -1
	s_barrier_wait -1
	s_delay_alu instid0(VALU_DEP_1)
	v_mov_b32_e32 v34, v35
	s_and_saveexec_b32 s53, s0
	s_cbranch_execz .LBB60_991
; %bb.988:                              ;   in Loop: Header=BB60_3 Depth=1
	ds_load_b64 v[34:35], v42 offset:31216
	ds_load_b64 v[36:37], v43 offset:31200
	s_wait_dscnt 0x0
	v_dual_mul_f32 v38, v37, v35 :: v_dual_mul_f32 v39, v36, v35
	s_delay_alu instid0(VALU_DEP_1) | instskip(NEXT) | instid1(VALU_DEP_1)
	v_dual_fma_f32 v38, v36, v34, -v38 :: v_dual_fmac_f32 v39, v37, v34
	v_pk_add_f32 v[34:35], v[38:39], 0 op_sel_hi:[1,0]
	s_and_saveexec_b32 s54, s15
	s_cbranch_execz .LBB60_990
; %bb.989:                              ;   in Loop: Header=BB60_3 Depth=1
	ds_load_b64 v[36:37], v79 offset:31728
	ds_load_b64 v[38:39], v5 offset:31208
	s_wait_dscnt 0x0
	v_pk_mul_f32 v[96:97], v[38:39], v[36:37] op_sel:[1,1] op_sel_hi:[0,1]
	s_delay_alu instid0(VALU_DEP_1) | instskip(SKIP_1) | instid1(VALU_DEP_2)
	v_pk_fma_f32 v[98:99], v[38:39], v[36:37], v[96:97] op_sel_hi:[1,0,1]
	v_pk_fma_f32 v[36:37], v[38:39], v[36:37], v[96:97] neg_lo:[0,0,1] neg_hi:[0,0,1]
	v_mov_b32_e32 v37, v99
	s_delay_alu instid0(VALU_DEP_1)
	v_pk_add_f32 v[34:35], v[34:35], v[36:37]
.LBB60_990:                             ;   in Loop: Header=BB60_3 Depth=1
	s_or_b32 exec_lo, exec_lo, s54
	s_delay_alu instid0(VALU_DEP_1)
	v_pk_add_f32 v[34:35], v[34:35], 0 neg_lo:[1,1] neg_hi:[1,1]
.LBB60_991:                             ;   in Loop: Header=BB60_3 Depth=1
	s_or_b32 exec_lo, exec_lo, s53
	s_and_saveexec_b32 s53, s94
	s_cbranch_execz .LBB60_993
; %bb.992:                              ;   in Loop: Header=BB60_3 Depth=1
	ds_load_b64 v[36:37], v5 offset:32240
	s_wait_dscnt 0x0
	v_pk_mul_f32 v[38:39], v[34:35], v[36:37] op_sel:[1,1] op_sel_hi:[1,0]
	s_delay_alu instid0(VALU_DEP_1) | instskip(SKIP_1) | instid1(VALU_DEP_2)
	v_pk_fma_f32 v[96:97], v[34:35], v[36:37], v[38:39] op_sel_hi:[0,1,1]
	v_pk_fma_f32 v[36:37], v[34:35], v[36:37], v[38:39] neg_lo:[0,0,1] neg_hi:[0,0,1]
	v_mov_b32_e32 v37, v97
	s_delay_alu instid0(VALU_DEP_1)
	v_mov_b64_e32 v[34:35], v[36:37]
	ds_store_b64 v3, v[36:37]
.LBB60_993:                             ;   in Loop: Header=BB60_3 Depth=1
	s_or_b32 exec_lo, exec_lo, s53
	s_wait_dscnt 0x0
	s_barrier_signal -1
	s_barrier_wait -1
	s_and_saveexec_b32 s53, s95
	s_cbranch_execz .LBB60_995
; %bb.994:                              ;   in Loop: Header=BB60_3 Depth=1
	ds_load_b64 v[36:37], v5 offset:32248
	ds_load_b64 v[38:39], v3
	s_wait_dscnt 0x0
	v_pk_mul_f32 v[96:97], v[38:39], v[36:37] op_sel:[1,1] op_sel_hi:[0,1]
	s_delay_alu instid0(VALU_DEP_1) | instskip(SKIP_1) | instid1(VALU_DEP_2)
	v_pk_fma_f32 v[98:99], v[38:39], v[36:37], v[96:97] op_sel_hi:[1,0,1]
	v_pk_fma_f32 v[36:37], v[38:39], v[36:37], v[96:97] neg_lo:[0,0,1] neg_hi:[0,0,1]
	v_mov_b32_e32 v37, v99
	s_delay_alu instid0(VALU_DEP_1)
	v_pk_add_f32 v[34:35], v[34:35], v[36:37]
.LBB60_995:                             ;   in Loop: Header=BB60_3 Depth=1
	s_or_b32 exec_lo, exec_lo, s53
	s_barrier_signal -1
	s_barrier_wait -1
	s_and_saveexec_b32 s53, s95
	s_cbranch_execz .LBB60_997
; %bb.996:                              ;   in Loop: Header=BB60_3 Depth=1
	ds_load_b64 v[36:37], v5 offset:32760
	s_wait_dscnt 0x0
	v_pk_mul_f32 v[38:39], v[34:35], v[36:37] op_sel:[1,1] op_sel_hi:[1,0]
	s_delay_alu instid0(VALU_DEP_1) | instskip(SKIP_1) | instid1(VALU_DEP_2)
	v_pk_fma_f32 v[96:97], v[34:35], v[36:37], v[38:39] op_sel_hi:[0,1,1]
	v_pk_fma_f32 v[36:37], v[34:35], v[36:37], v[38:39] neg_lo:[0,0,1] neg_hi:[0,0,1]
	v_mov_b32_e32 v37, v97
	s_delay_alu instid0(VALU_DEP_1)
	v_mov_b64_e32 v[34:35], v[36:37]
	ds_store_b64 v3, v[36:37]
.LBB60_997:                             ;   in Loop: Header=BB60_3 Depth=1
	s_or_b32 exec_lo, exec_lo, s53
	s_wait_dscnt 0x0
	s_barrier_signal -1
	s_barrier_wait -1
	s_barrier_signal -1
	s_barrier_wait -1
	s_and_saveexec_b32 s53, s0
; %bb.998:                              ;   in Loop: Header=BB60_3 Depth=1
	v_pk_add_f32 v[34:35], v[34:35], 0 neg_lo:[1,1] neg_hi:[1,1]
	ds_store_b64 v42, v[34:35] offset:31216
; %bb.999:                              ;   in Loop: Header=BB60_3 Depth=1
	s_or_b32 exec_lo, exec_lo, s53
	s_wait_dscnt 0x0
	s_barrier_signal -1
	s_barrier_wait -1
	s_barrier_signal -1
	s_barrier_wait -1
	s_and_saveexec_b32 s53, s96
	s_cbranch_execz .LBB60_1001
; %bb.1000:                             ;   in Loop: Header=BB60_3 Depth=1
	ds_load_b64 v[34:35], v80 offset:31216
	s_wait_dscnt 0x0
	ds_store_b64 v79, v[34:35] offset:32224
	ds_load_b64 v[34:35], v80 offset:31224
	s_wait_dscnt 0x0
	ds_store_b64 v79, v[34:35] offset:32736
.LBB60_1001:                            ;   in Loop: Header=BB60_3 Depth=1
	s_or_b32 exec_lo, exec_lo, s53
	s_wait_dscnt 0x0
	s_barrier_signal -1
	s_barrier_wait -1
	s_and_saveexec_b32 s53, s14
	s_cbranch_execz .LBB60_1003
; %bb.1002:                             ;   in Loop: Header=BB60_3 Depth=1
	ds_load_b128 v[34:37], v5 offset:32240
	ds_load_b64 v[38:39], v5 offset:32760
	s_wait_dscnt 0x1
	v_dual_mov_b32 v96, v37 :: v_dual_mov_b32 v97, v36
	s_wait_dscnt 0x0
	v_dual_mul_f32 v95, v39, v35 :: v_dual_mul_f32 v40, v38, v35
	s_delay_alu instid0(VALU_DEP_1) | instskip(NEXT) | instid1(VALU_DEP_1)
	v_xor_b32_e32 v98, 0x80000000, v95
	v_dual_fmac_f32 v40, v39, v34 :: v_dual_fmac_f32 v98, v38, v34
	s_delay_alu instid0(VALU_DEP_1) | instskip(NEXT) | instid1(VALU_DEP_1)
	v_pk_mul_f32 v[34:35], v[40:41], v[96:97] op_sel_hi:[0,1]
	v_pk_fma_f32 v[38:39], v[98:99], v[36:37], v[34:35] op_sel_hi:[0,1,1]
	v_pk_fma_f32 v[34:35], v[98:99], v[36:37], v[34:35] neg_lo:[0,0,1] neg_hi:[0,0,1]
	v_add_nc_u32_e64 v36, 0x7800, 0
	s_delay_alu instid0(VALU_DEP_3)
	v_mov_b32_e32 v35, v39
	ds_store_2addr_b64 v36, v[34:35], v[34:35] offset0:191 offset1:254
.LBB60_1003:                            ;   in Loop: Header=BB60_3 Depth=1
	s_or_b32 exec_lo, exec_lo, s53
.LBB60_1004:                            ;   in Loop: Header=BB60_3 Depth=1
	v_readlane_b32 s56, v106, 3
	v_mov_b64_e32 v[34:35], 0
	v_readlane_b32 s57, v106, 4
	s_mul_u64 s[54:55], s[76:77], s[80:81]
	s_wait_dscnt 0x0
	s_lshl_b64 s[54:55], s[54:55], 3
	s_barrier_signal -1
	s_add_nc_u64 s[84:85], s[56:57], s[54:55]
	s_barrier_wait -1
	s_and_saveexec_b32 s53, s71
	s_cbranch_execz .LBB60_1006
; %bb.1005:                             ;   in Loop: Header=BB60_3 Depth=1
	v_lshl_add_u64 v[34:35], v[0:1], 3, s[84:85]
	global_load_b64 v[34:35], v[34:35], off
	s_wait_loadcnt 0x0
	v_pk_mul_f32 v[36:37], v[32:33], v[34:35] op_sel:[1,0] neg_lo:[1,0]
	s_delay_alu instid0(VALU_DEP_1)
	v_pk_fma_f32 v[34:35], v[32:33], v[34:35], v[36:37] op_sel:[0,0,1] op_sel_hi:[0,1,0] neg_lo:[1,0,0] neg_hi:[1,0,0]
.LBB60_1006:                            ;   in Loop: Header=BB60_3 Depth=1
	s_or_b32 exec_lo, exec_lo, s53
	s_delay_alu instid0(SALU_CYCLE_1)
	s_and_not1_b32 vcc_lo, exec_lo, s51
	s_cbranch_vccnz .LBB60_1041
; %bb.1007:                             ;   in Loop: Header=BB60_3 Depth=1
	v_mov_b32_e32 v95, -1
	s_lshl_b64 s[54:55], s[80:81], 2
	s_mov_b32 s65, 0
	s_add_nc_u64 s[86:87], s[78:79], s[54:55]
	s_branch .LBB60_1010
.LBB60_1008:                            ;   in Loop: Header=BB60_1010 Depth=2
	s_wait_xcnt 0x0
	ds_load_b64 v[32:33], v81 offset:384
	s_wait_loadcnt_dscnt 0x0
	v_pk_mul_f32 v[38:39], v[38:39], v[32:33] op_sel:[0,1] op_sel_hi:[0,0]
	s_delay_alu instid0(VALU_DEP_1) | instskip(SKIP_1) | instid1(VALU_DEP_2)
	v_pk_fma_f32 v[96:97], v[36:37], v[32:33], v[38:39] op_sel_hi:[0,1,1] neg_lo:[0,0,1] neg_hi:[0,0,1]
	v_pk_fma_f32 v[32:33], v[36:37], v[32:33], v[38:39]
	v_mov_b32_e32 v33, v97
	s_delay_alu instid0(VALU_DEP_1)
	v_pk_add_f32 v[34:35], v[34:35], v[32:33]
.LBB60_1009:                            ;   in Loop: Header=BB60_1010 Depth=2
	s_or_b32 exec_lo, exec_lo, s53
	s_add_co_i32 s65, s65, 1
	s_delay_alu instid0(SALU_CYCLE_1)
	s_cmp_eq_u32 s65, s89
	s_cbranch_scc1 .LBB60_1041
.LBB60_1010:                            ;   Parent Loop BB60_3 Depth=1
                                        ; =>  This Loop Header: Depth=2
                                        ;       Child Loop BB60_1012 Depth 3
	v_cmp_gt_i32_e32 vcc_lo, s65, v95
	s_and_b32 s54, s36, vcc_lo
	s_delay_alu instid0(SALU_CYCLE_1)
	s_and_saveexec_b32 s53, s54
	s_cbranch_execz .LBB60_1013
; %bb.1011:                             ;   in Loop: Header=BB60_1010 Depth=2
	global_load_b32 v95, v5, s[86:87]
	s_wait_loadcnt 0x0
	v_cmp_le_i32_e32 vcc_lo, s65, v95
	s_cbranch_vccnz .LBB60_1013
.LBB60_1012:                            ;   Parent Loop BB60_3 Depth=1
                                        ;     Parent Loop BB60_1010 Depth=2
                                        ; =>    This Inner Loop Header: Depth=3
	global_wb scope:SCOPE_DEV
	s_wait_storecnt 0x0
	global_inv scope:SCOPE_DEV
	global_load_b32 v95, v5, s[86:87]
	s_wait_loadcnt 0x0
	v_cmp_gt_i32_e32 vcc_lo, s65, v95
	s_cbranch_vccnz .LBB60_1012
.LBB60_1013:                            ;   in Loop: Header=BB60_1010 Depth=2
	s_or_b32 exec_lo, exec_lo, s53
	s_sub_co_i32 s53, s90, s65
	global_wb scope:SCOPE_DEV
	s_wait_storecnt 0x0
	global_inv scope:SCOPE_DEV
	s_lshl_b32 s54, s53, 6
	s_wait_loadcnt 0x0
	s_barrier_signal -1
	s_barrier_wait -1
	s_and_saveexec_b32 s55, s37
	s_cbranch_execz .LBB60_1018
; %bb.1014:                             ;   in Loop: Header=BB60_1010 Depth=2
	s_ashr_i32 vcc_lo, s54, 31
	s_delay_alu instid0(SALU_CYCLE_1) | instskip(NEXT) | instid1(VALU_DEP_1)
	v_dual_mov_b32 v33, vcc_lo :: v_dual_bitop2_b32 v32, s54, v4 bitop3:0x54
	v_cmp_le_i64_e32 vcc_lo, s[82:83], v[32:33]
	s_and_saveexec_b32 s56, vcc_lo
	s_delay_alu instid0(SALU_CYCLE_1)
	s_xor_b32 vcc_lo, exec_lo, s56
; %bb.1015:                             ;   in Loop: Header=BB60_1010 Depth=2
	ds_store_b64 v86, v[20:21]
                                        ; implicit-def: $vgpr32_vgpr33
; %bb.1016:                             ;   in Loop: Header=BB60_1010 Depth=2
	s_and_not1_saveexec_b32 s56, vcc_lo
	s_cbranch_execz .LBB60_1018
; %bb.1017:                             ;   in Loop: Header=BB60_1010 Depth=2
	v_mul_u64_e32 v[32:33], s[74:75], v[32:33]
	s_delay_alu instid0(VALU_DEP_1)
	v_lshl_add_u64 v[32:33], v[32:33], 3, s[84:85]
	global_load_b64 v[32:33], v[32:33], off
	s_wait_loadcnt 0x0
	ds_store_b64 v86, v[32:33]
.LBB60_1018:                            ;   in Loop: Header=BB60_1010 Depth=2
	s_or_b32 exec_lo, exec_lo, s55
	v_add_nc_u32_e32 v36, s54, v41
	s_cmp_lg_u32 s53, s52
	s_wait_dscnt 0x0
	s_cselect_b32 s54, -1, 0
	s_barrier_signal -1
	v_ashrrev_i32_e32 v37, 31, v36
	v_cmp_gt_i32_e32 vcc_lo, s82, v36
	s_barrier_wait -1
	s_delay_alu instid0(VALU_DEP_2) | instskip(SKIP_2) | instid1(SALU_CYCLE_1)
	v_lshl_add_u64 v[32:33], v[36:37], 3, v[30:31]
	v_cndmask_b32_e64 v37, 0, 1, s54
	s_and_b32 s55, vcc_lo, s5
	s_and_saveexec_b32 s53, s55
	s_cbranch_execz .LBB60_1024
; %bb.1019:                             ;   in Loop: Header=BB60_1010 Depth=2
	v_mov_b32_e32 v38, v22
	s_and_not1_b32 vcc_lo, exec_lo, s54
	s_cbranch_vccnz .LBB60_1021
; %bb.1020:                             ;   in Loop: Header=BB60_1010 Depth=2
	global_load_b32 v38, v[32:33], off
.LBB60_1021:                            ;   in Loop: Header=BB60_1010 Depth=2
	v_cmp_ne_u32_e32 vcc_lo, 1, v37
	v_mov_b32_e32 v40, v23
	s_cbranch_vccnz .LBB60_1023
; %bb.1022:                             ;   in Loop: Header=BB60_1010 Depth=2
	global_load_b32 v40, v[32:33], off offset:4
.LBB60_1023:                            ;   in Loop: Header=BB60_1010 Depth=2
	ds_load_b64 v[96:97], v81
	s_wait_loadcnt_dscnt 0x0
	v_pk_mul_f32 v[98:99], v[40:41], v[96:97] op_sel:[0,1] op_sel_hi:[0,0]
	s_delay_alu instid0(VALU_DEP_1) | instskip(SKIP_1) | instid1(VALU_DEP_2)
	v_pk_fma_f32 v[100:101], v[38:39], v[96:97], v[98:99] op_sel_hi:[0,1,1] neg_lo:[0,0,1] neg_hi:[0,0,1]
	v_pk_fma_f32 v[38:39], v[38:39], v[96:97], v[98:99]
	v_mov_b32_e32 v39, v101
	s_delay_alu instid0(VALU_DEP_1)
	v_pk_add_f32 v[34:35], v[34:35], v[38:39]
.LBB60_1024:                            ;   in Loop: Header=BB60_1010 Depth=2
	s_or_b32 exec_lo, exec_lo, s53
	v_add_nc_u32_e32 v38, 16, v36
	s_delay_alu instid0(VALU_DEP_1) | instskip(SKIP_1) | instid1(SALU_CYCLE_1)
	v_cmp_gt_i32_e32 vcc_lo, s82, v38
	s_and_b32 s54, vcc_lo, s5
	s_and_saveexec_b32 s53, s54
	s_cbranch_execz .LBB60_1030
; %bb.1025:                             ;   in Loop: Header=BB60_1010 Depth=2
	v_cmp_ne_u32_e32 vcc_lo, 1, v37
	v_mov_b32_e32 v38, v24
	s_cbranch_vccnz .LBB60_1027
; %bb.1026:                             ;   in Loop: Header=BB60_1010 Depth=2
	global_load_b32 v38, v[32:33], off offset:128
.LBB60_1027:                            ;   in Loop: Header=BB60_1010 Depth=2
	v_cmp_ne_u32_e32 vcc_lo, 1, v37
	v_mov_b32_e32 v39, v25
	s_cbranch_vccnz .LBB60_1029
; %bb.1028:                             ;   in Loop: Header=BB60_1010 Depth=2
	global_load_b32 v39, v[32:33], off offset:132
.LBB60_1029:                            ;   in Loop: Header=BB60_1010 Depth=2
	ds_load_b64 v[96:97], v81 offset:128
	s_wait_loadcnt 0x0
	v_dual_mov_b32 v98, v39 :: v_dual_mov_b32 v99, v38
	s_wait_dscnt 0x0
	v_dual_mul_f32 v40, v39, v96 :: v_dual_mul_f32 v100, v39, v97
	s_delay_alu instid0(VALU_DEP_1) | instskip(NEXT) | instid1(VALU_DEP_2)
	v_pk_fma_f32 v[98:99], v[98:99], v[96:97], v[40:41] op_sel_hi:[1,1,0] neg_lo:[0,0,1] neg_hi:[0,0,1]
	v_pk_fma_f32 v[38:39], v[38:39], v[96:97], v[100:101] op_sel_hi:[1,1,0]
	s_delay_alu instid0(VALU_DEP_2) | instskip(NEXT) | instid1(VALU_DEP_1)
	v_mov_b32_e32 v39, v99
	v_pk_add_f32 v[34:35], v[34:35], v[38:39]
.LBB60_1030:                            ;   in Loop: Header=BB60_1010 Depth=2
	s_or_b32 exec_lo, exec_lo, s53
	v_add_nc_u32_e32 v38, 32, v36
	s_delay_alu instid0(VALU_DEP_1) | instskip(SKIP_1) | instid1(SALU_CYCLE_1)
	v_cmp_gt_i32_e32 vcc_lo, s82, v38
	s_and_b32 s54, vcc_lo, s5
	s_and_saveexec_b32 s53, s54
	s_cbranch_execz .LBB60_1036
; %bb.1031:                             ;   in Loop: Header=BB60_1010 Depth=2
	v_cmp_ne_u32_e32 vcc_lo, 1, v37
	v_mov_b32_e32 v38, v26
	s_cbranch_vccnz .LBB60_1033
; %bb.1032:                             ;   in Loop: Header=BB60_1010 Depth=2
	global_load_b32 v38, v[32:33], off offset:256
.LBB60_1033:                            ;   in Loop: Header=BB60_1010 Depth=2
	v_cmp_ne_u32_e32 vcc_lo, 1, v37
	v_mov_b32_e32 v40, v27
	s_cbranch_vccnz .LBB60_1035
; %bb.1034:                             ;   in Loop: Header=BB60_1010 Depth=2
	global_load_b32 v40, v[32:33], off offset:260
.LBB60_1035:                            ;   in Loop: Header=BB60_1010 Depth=2
	ds_load_b64 v[96:97], v81 offset:256
	s_wait_loadcnt_dscnt 0x0
	v_pk_mul_f32 v[98:99], v[40:41], v[96:97] op_sel:[0,1] op_sel_hi:[0,0]
	s_delay_alu instid0(VALU_DEP_1) | instskip(SKIP_1) | instid1(VALU_DEP_2)
	v_pk_fma_f32 v[100:101], v[38:39], v[96:97], v[98:99] op_sel_hi:[0,1,1] neg_lo:[0,0,1] neg_hi:[0,0,1]
	v_pk_fma_f32 v[38:39], v[38:39], v[96:97], v[98:99]
	v_mov_b32_e32 v39, v101
	s_delay_alu instid0(VALU_DEP_1)
	v_pk_add_f32 v[34:35], v[34:35], v[38:39]
.LBB60_1036:                            ;   in Loop: Header=BB60_1010 Depth=2
	s_or_b32 exec_lo, exec_lo, s53
	v_add_nc_u32_e32 v36, 48, v36
	s_delay_alu instid0(VALU_DEP_1) | instskip(SKIP_1) | instid1(SALU_CYCLE_1)
	v_cmp_gt_i32_e32 vcc_lo, s82, v36
	s_and_b32 s54, vcc_lo, s5
	s_and_saveexec_b32 s53, s54
	s_cbranch_execz .LBB60_1009
; %bb.1037:                             ;   in Loop: Header=BB60_1010 Depth=2
	v_cmp_ne_u32_e32 vcc_lo, 1, v37
	v_mov_b32_e32 v36, v28
	s_cbranch_vccnz .LBB60_1039
; %bb.1038:                             ;   in Loop: Header=BB60_1010 Depth=2
	global_load_b32 v36, v[32:33], off offset:384
.LBB60_1039:                            ;   in Loop: Header=BB60_1010 Depth=2
	v_cmp_ne_u32_e32 vcc_lo, 1, v37
	v_mov_b32_e32 v38, v29
	s_cbranch_vccnz .LBB60_1008
; %bb.1040:                             ;   in Loop: Header=BB60_1010 Depth=2
	global_load_b32 v38, v[32:33], off offset:388
	s_branch .LBB60_1008
.LBB60_1041:                            ;   in Loop: Header=BB60_3 Depth=1
	ds_store_b64 v87, v[34:35]
	s_wait_dscnt 0x0
	s_barrier_signal -1
	s_barrier_wait -1
	s_and_saveexec_b32 s53, s1
	s_cbranch_execz .LBB60_1043
; %bb.1042:                             ;   in Loop: Header=BB60_3 Depth=1
	ds_load_2addr_stride64_b64 v[30:33], v89 offset0:1 offset1:2
	ds_load_2addr_stride64_b64 v[36:39], v89 offset0:3 offset1:4
	;; [unrolled: 1-line block ×3, first 2 shown]
	s_wait_dscnt 0x2
	v_pk_add_f32 v[30:31], v[34:35], v[30:31]
	s_delay_alu instid0(VALU_DEP_1) | instskip(SKIP_3) | instid1(VALU_DEP_1)
	v_pk_add_f32 v[34:35], v[30:31], v[32:33]
	ds_load_2addr_stride64_b64 v[30:33], v89 offset0:7 offset1:8
	s_wait_dscnt 0x2
	v_pk_add_f32 v[34:35], v[34:35], v[36:37]
	v_pk_add_f32 v[38:39], v[34:35], v[38:39]
	ds_load_2addr_stride64_b64 v[34:37], v89 offset0:9 offset1:10
	s_wait_dscnt 0x2
	v_pk_add_f32 v[38:39], v[38:39], v[96:97]
	s_delay_alu instid0(VALU_DEP_1) | instskip(SKIP_3) | instid1(VALU_DEP_1)
	v_pk_add_f32 v[38:39], v[38:39], v[98:99]
	ds_load_2addr_stride64_b64 v[96:99], v89 offset0:11 offset1:12
	s_wait_dscnt 0x2
	v_pk_add_f32 v[30:31], v[38:39], v[30:31]
	v_pk_add_f32 v[38:39], v[30:31], v[32:33]
	ds_load_2addr_stride64_b64 v[30:33], v89 offset0:13 offset1:14
	s_wait_dscnt 0x2
	v_pk_add_f32 v[34:35], v[38:39], v[34:35]
	s_delay_alu instid0(VALU_DEP_1) | instskip(SKIP_3) | instid1(VALU_DEP_1)
	v_pk_add_f32 v[34:35], v[34:35], v[36:37]
	ds_load_b64 v[36:37], v89 offset:7680
	s_wait_dscnt 0x2
	v_pk_add_f32 v[34:35], v[34:35], v[96:97]
	v_pk_add_f32 v[34:35], v[34:35], v[98:99]
	s_wait_dscnt 0x1
	s_delay_alu instid0(VALU_DEP_1) | instskip(NEXT) | instid1(VALU_DEP_1)
	v_pk_add_f32 v[30:31], v[34:35], v[30:31]
	v_pk_add_f32 v[30:31], v[30:31], v[32:33]
	s_wait_dscnt 0x0
	s_delay_alu instid0(VALU_DEP_1) | instskip(NEXT) | instid1(VALU_DEP_1)
	v_pk_add_f32 v[30:31], v[30:31], v[36:37]
	v_cndmask_b32_e64 v35, -v31, 0, s70
	s_delay_alu instid0(VALU_DEP_2)
	v_cndmask_b32_e64 v34, -v30, 0, s70
.LBB60_1043:                            ;   in Loop: Header=BB60_3 Depth=1
	s_or_b32 exec_lo, exec_lo, s53
	s_delay_alu instid0(SALU_CYCLE_1)
	s_and_not1_b32 vcc_lo, exec_lo, s93
	s_cbranch_vccnz .LBB60_1053
; %bb.1044:                             ;   in Loop: Header=BB60_3 Depth=1
	s_and_saveexec_b32 s53, s1
; %bb.1045:                             ;   in Loop: Header=BB60_3 Depth=1
	ds_store_b64 v92, v[34:35]
; %bb.1046:                             ;   in Loop: Header=BB60_3 Depth=1
	s_or_b32 exec_lo, exec_lo, s53
	v_mov_b64_e32 v[30:31], 0
	s_wait_dscnt 0x0
	s_barrier_signal -1
	s_barrier_wait -1
	s_and_saveexec_b32 s53, s6
	s_cbranch_execnz .LBB60_1117
; %bb.1047:                             ;   in Loop: Header=BB60_3 Depth=1
	s_or_b32 exec_lo, exec_lo, s53
	s_and_saveexec_b32 s53, s7
	s_cbranch_execnz .LBB60_1118
.LBB60_1048:                            ;   in Loop: Header=BB60_3 Depth=1
	s_or_b32 exec_lo, exec_lo, s53
	s_and_saveexec_b32 s53, s8
	s_cbranch_execnz .LBB60_1119
.LBB60_1049:                            ;   in Loop: Header=BB60_3 Depth=1
	s_or_b32 exec_lo, exec_lo, s53
	s_and_saveexec_b32 s53, s9
	s_cbranch_execz .LBB60_1051
.LBB60_1050:                            ;   in Loop: Header=BB60_3 Depth=1
	ds_load_b64 v[32:33], v91 offset:24576
	ds_load_b64 v[36:37], v81 offset:384
	s_wait_dscnt 0x0
	v_pk_mul_f32 v[38:39], v[36:37], v[32:33] op_sel:[1,1] op_sel_hi:[0,1]
	s_delay_alu instid0(VALU_DEP_1) | instskip(SKIP_1) | instid1(VALU_DEP_2)
	v_pk_fma_f32 v[96:97], v[36:37], v[32:33], v[38:39] op_sel_hi:[1,0,1]
	v_pk_fma_f32 v[32:33], v[36:37], v[32:33], v[38:39] neg_lo:[0,0,1] neg_hi:[0,0,1]
	v_mov_b32_e32 v33, v97
	s_delay_alu instid0(VALU_DEP_1)
	v_pk_add_f32 v[30:31], v[30:31], v[32:33]
.LBB60_1051:                            ;   in Loop: Header=BB60_3 Depth=1
	s_or_b32 exec_lo, exec_lo, s53
	s_mov_b32 s86, 0
	s_mov_b32 s65, 0
	ds_store_b64 v87, v[30:31]
	s_wait_dscnt 0x0
	s_barrier_signal -1
	s_barrier_wait -1
                                        ; implicit-def: $vgpr32_vgpr33
	s_and_saveexec_b32 s53, s1
	s_cbranch_execz .LBB60_1120
; %bb.1052:                             ;   in Loop: Header=BB60_3 Depth=1
	ds_load_2addr_stride64_b64 v[36:39], v89 offset0:1 offset1:2
	ds_load_2addr_stride64_b64 v[96:99], v89 offset0:3 offset1:4
	;; [unrolled: 1-line block ×3, first 2 shown]
	s_mov_b32 s65, exec_lo
	s_wait_dscnt 0x2
	v_pk_add_f32 v[30:31], v[30:31], v[36:37]
	s_delay_alu instid0(VALU_DEP_1) | instskip(SKIP_3) | instid1(VALU_DEP_1)
	v_pk_add_f32 v[36:37], v[30:31], v[38:39]
	ds_load_2addr_stride64_b64 v[30:33], v89 offset0:7 offset1:8
	s_wait_dscnt 0x2
	v_pk_add_f32 v[36:37], v[36:37], v[96:97]
	v_pk_add_f32 v[96:97], v[36:37], v[98:99]
	ds_load_2addr_stride64_b64 v[36:39], v89 offset0:9 offset1:10
	s_wait_dscnt 0x2
	v_pk_add_f32 v[96:97], v[96:97], v[100:101]
	s_delay_alu instid0(VALU_DEP_1) | instskip(SKIP_3) | instid1(VALU_DEP_1)
	v_pk_add_f32 v[100:101], v[96:97], v[102:103]
	ds_load_2addr_stride64_b64 v[96:99], v89 offset0:11 offset1:12
	s_wait_dscnt 0x2
	v_pk_add_f32 v[30:31], v[100:101], v[30:31]
	v_pk_add_f32 v[30:31], v[30:31], v[32:33]
	s_wait_dscnt 0x1
	s_delay_alu instid0(VALU_DEP_1)
	v_pk_add_f32 v[36:37], v[30:31], v[36:37]
	ds_load_2addr_stride64_b64 v[30:33], v89 offset0:13 offset1:14
	v_pk_add_f32 v[36:37], v[36:37], v[38:39]
	ds_load_b64 v[38:39], v89 offset:7680
	s_wait_dscnt 0x2
	v_pk_add_f32 v[36:37], v[36:37], v[96:97]
	s_delay_alu instid0(VALU_DEP_1) | instskip(SKIP_1) | instid1(VALU_DEP_1)
	v_pk_add_f32 v[36:37], v[36:37], v[98:99]
	s_wait_dscnt 0x1
	v_pk_add_f32 v[30:31], v[36:37], v[30:31]
	s_delay_alu instid0(VALU_DEP_1) | instskip(SKIP_1) | instid1(VALU_DEP_1)
	v_pk_add_f32 v[30:31], v[30:31], v[32:33]
	s_wait_dscnt 0x0
	v_pk_add_f32 v[32:33], v[30:31], v[38:39]
	s_or_b32 exec_lo, exec_lo, s53
	s_delay_alu instid0(SALU_CYCLE_1)
	s_and_b32 vcc_lo, exec_lo, s86
	s_cbranch_vccnz .LBB60_1054
	s_branch .LBB60_1121
.LBB60_1053:                            ;   in Loop: Header=BB60_3 Depth=1
	s_mov_b32 s65, 0
                                        ; implicit-def: $vgpr32_vgpr33
	s_cbranch_execz .LBB60_1121
.LBB60_1054:                            ;   in Loop: Header=BB60_3 Depth=1
	v_dual_mov_b32 v30, v94 :: v_dual_mov_b32 v31, v88
	s_mov_b32 s86, 63
	s_branch .LBB60_1056
.LBB60_1055:                            ;   in Loop: Header=BB60_1056 Depth=2
	s_or_b32 exec_lo, exec_lo, s53
	v_add_nc_u32_e32 v31, 0xfffffc00, v31
	v_add_nc_u32_e32 v30, 2, v30
	s_add_co_i32 s86, s86, -2
	s_cmp_lg_u32 s87, 0
	s_barrier_signal -1
	s_barrier_wait -1
	s_cbranch_scc0 .LBB60_1064
.LBB60_1056:                            ;   Parent Loop BB60_3 Depth=1
                                        ; =>  This Inner Loop Header: Depth=2
	s_delay_alu instid0(VALU_DEP_1) | instskip(SKIP_2) | instid1(SALU_CYCLE_1)
	v_cmp_eq_u32_e32 vcc_lo, 0, v30
	v_add_nc_u32_e32 v32, v80, v44
	s_and_b32 s54, s1, vcc_lo
	s_and_saveexec_b32 s53, s54
	s_cbranch_execz .LBB60_1058
; %bb.1057:                             ;   in Loop: Header=BB60_1056 Depth=2
	ds_load_b64 v[36:37], v32
	s_wait_dscnt 0x0
	v_pk_mul_f32 v[38:39], v[34:35], v[36:37] op_sel:[1,1] op_sel_hi:[1,0]
	s_delay_alu instid0(VALU_DEP_1) | instskip(SKIP_1) | instid1(VALU_DEP_2)
	v_pk_fma_f32 v[96:97], v[34:35], v[36:37], v[38:39] op_sel_hi:[0,1,1]
	v_pk_fma_f32 v[36:37], v[34:35], v[36:37], v[38:39] neg_lo:[0,0,1] neg_hi:[0,0,1]
	v_mov_b32_e32 v37, v97
	s_delay_alu instid0(VALU_DEP_1)
	v_mov_b64_e32 v[34:35], v[36:37]
	ds_store_b64 v5, v[36:37] offset:41472
.LBB60_1058:                            ;   in Loop: Header=BB60_1056 Depth=2
	s_or_b32 exec_lo, exec_lo, s53
	v_cmp_gt_u32_e32 vcc_lo, s86, v2
	s_wait_dscnt 0x0
	s_barrier_signal -1
	s_barrier_wait -1
	s_and_b32 s54, s1, vcc_lo
	s_delay_alu instid0(SALU_CYCLE_1)
	s_and_saveexec_b32 s53, s54
	s_cbranch_execz .LBB60_1060
; %bb.1059:                             ;   in Loop: Header=BB60_1056 Depth=2
	ds_load_b64 v[36:37], v31 offset:512
	ds_load_b64 v[38:39], v5 offset:41472
	s_wait_dscnt 0x0
	v_pk_mul_f32 v[96:97], v[38:39], v[36:37] op_sel:[1,1] op_sel_hi:[0,1]
	s_delay_alu instid0(VALU_DEP_1) | instskip(SKIP_1) | instid1(VALU_DEP_2)
	v_pk_fma_f32 v[98:99], v[38:39], v[36:37], v[96:97] op_sel_hi:[1,0,1]
	v_pk_fma_f32 v[36:37], v[38:39], v[36:37], v[96:97] neg_lo:[0,0,1] neg_hi:[0,0,1]
	v_mov_b32_e32 v37, v99
	s_delay_alu instid0(VALU_DEP_1)
	v_pk_add_f32 v[34:35], v[34:35], v[36:37]
.LBB60_1060:                            ;   in Loop: Header=BB60_1056 Depth=2
	s_or_b32 exec_lo, exec_lo, s53
	s_add_co_i32 s87, s86, -1
	s_delay_alu instid0(SALU_CYCLE_1) | instskip(SKIP_3) | instid1(SALU_CYCLE_1)
	v_cmp_eq_u32_e32 vcc_lo, s87, v2
	s_barrier_signal -1
	s_barrier_wait -1
	s_and_b32 s54, s1, vcc_lo
	s_and_saveexec_b32 s53, s54
	s_cbranch_execz .LBB60_1062
; %bb.1061:                             ;   in Loop: Header=BB60_1056 Depth=2
	ds_load_b64 v[32:33], v32
	s_wait_dscnt 0x0
	v_pk_mul_f32 v[36:37], v[34:35], v[32:33] op_sel:[1,1] op_sel_hi:[1,0]
	s_delay_alu instid0(VALU_DEP_1) | instskip(SKIP_1) | instid1(VALU_DEP_2)
	v_pk_fma_f32 v[38:39], v[34:35], v[32:33], v[36:37] op_sel_hi:[0,1,1]
	v_pk_fma_f32 v[32:33], v[34:35], v[32:33], v[36:37] neg_lo:[0,0,1] neg_hi:[0,0,1]
	v_mov_b32_e32 v33, v39
	s_delay_alu instid0(VALU_DEP_1)
	v_mov_b64_e32 v[34:35], v[32:33]
	ds_store_b64 v5, v[32:33] offset:41472
.LBB60_1062:                            ;   in Loop: Header=BB60_1056 Depth=2
	s_or_b32 exec_lo, exec_lo, s53
	v_cmp_gt_u32_e32 vcc_lo, s87, v2
	s_wait_dscnt 0x0
	s_barrier_signal -1
	s_barrier_wait -1
	s_and_b32 s54, s1, vcc_lo
	s_delay_alu instid0(SALU_CYCLE_1)
	s_and_saveexec_b32 s53, s54
	s_cbranch_execz .LBB60_1055
; %bb.1063:                             ;   in Loop: Header=BB60_1056 Depth=2
	ds_load_b64 v[32:33], v31
	ds_load_b64 v[36:37], v5 offset:41472
	s_wait_dscnt 0x0
	v_pk_mul_f32 v[38:39], v[36:37], v[32:33] op_sel:[1,1] op_sel_hi:[0,1]
	s_delay_alu instid0(VALU_DEP_1) | instskip(SKIP_1) | instid1(VALU_DEP_2)
	v_pk_fma_f32 v[96:97], v[36:37], v[32:33], v[38:39] op_sel_hi:[1,0,1]
	v_pk_fma_f32 v[32:33], v[36:37], v[32:33], v[38:39] neg_lo:[0,0,1] neg_hi:[0,0,1]
	v_mov_b32_e32 v33, v97
	s_delay_alu instid0(VALU_DEP_1)
	v_pk_add_f32 v[34:35], v[34:35], v[32:33]
	s_branch .LBB60_1055
.LBB60_1064:                            ;   in Loop: Header=BB60_3 Depth=1
	s_and_b32 vcc_lo, exec_lo, s91
	s_mov_b32 s53, -1
	s_cbranch_vccnz .LBB60_1122
; %bb.1065:                             ;   in Loop: Header=BB60_3 Depth=1
	s_and_not1_b32 vcc_lo, exec_lo, s53
	s_cbranch_vccz .LBB60_1123
.LBB60_1066:                            ;   in Loop: Header=BB60_3 Depth=1
	s_and_saveexec_b32 s53, s65
	s_cbranch_execz .LBB60_1068
.LBB60_1067:                            ;   in Loop: Header=BB60_3 Depth=1
	v_lshl_add_u64 v[30:31], v[10:11], 3, s[84:85]
	global_store_b64 v[30:31], v[34:35], off
.LBB60_1068:                            ;   in Loop: Header=BB60_3 Depth=1
	s_wait_xcnt 0x0
	s_or_b32 exec_lo, exec_lo, s53
	global_wb scope:SCOPE_DEV
	s_wait_storecnt 0x0
	global_inv scope:SCOPE_DEV
	s_wait_loadcnt 0x0
	s_barrier_signal -1
	s_barrier_wait -1
	s_and_saveexec_b32 s53, s36
	s_cbranch_execz .LBB60_2
; %bb.1069:                             ;   in Loop: Header=BB60_3 Depth=1
	s_lshl_b64 s[54:55], s[80:81], 2
	s_delay_alu instid0(SALU_CYCLE_1)
	s_add_nc_u64 s[54:55], s[78:79], s[54:55]
	global_load_b32 v30, v5, s[54:55]
	s_wait_loadcnt 0x0
	v_add_nc_u32_e32 v30, 1, v30
	global_store_b32 v5, v30, s[54:55]
	s_branch .LBB60_2
.LBB60_1070:                            ;   in Loop: Header=BB60_3 Depth=1
	s_mov_b32 s53, exec_lo
	v_readlane_b32 s54, v106, 22
	s_and_b32 s54, s53, s54
	s_delay_alu instid0(SALU_CYCLE_1)
	s_xor_b32 s53, s54, s53
	s_mov_b32 exec_lo, s54
	s_cbranch_execz .LBB60_1074
; %bb.1071:                             ;   in Loop: Header=BB60_3 Depth=1
	s_mov_b32 s54, exec_lo
	v_readlane_b32 s55, v105, 9
	s_and_b32 s55, s54, s55
	s_delay_alu instid0(SALU_CYCLE_1)
	s_mov_b32 exec_lo, s55
; %bb.1072:                             ;   in Loop: Header=BB60_3 Depth=1
	ds_store_b64 v74, v[20:21]
; %bb.1073:                             ;   in Loop: Header=BB60_3 Depth=1
	s_or_b32 exec_lo, exec_lo, s54
.LBB60_1074:                            ;   in Loop: Header=BB60_3 Depth=1
	s_and_not1_saveexec_b32 s86, s53
	s_cbranch_execz .LBB60_1080
; %bb.1075:                             ;   in Loop: Header=BB60_3 Depth=1
	v_lshl_add_u64 v[34:35], v[12:13], 3, s[84:85]
                                        ; implicit-def: $vgpr36_vgpr37
	global_load_b64 v[34:35], v[34:35], off
	s_wait_loadcnt 0x0
	v_cmp_ngt_f32_e64 s53, |v34|, |v35|
	s_and_saveexec_b32 s54, s53
	s_delay_alu instid0(SALU_CYCLE_1)
	s_xor_b32 s53, exec_lo, s54
	s_cbranch_execz .LBB60_1077
; %bb.1076:                             ;   in Loop: Header=BB60_3 Depth=1
	v_div_scale_f32 v36, null, -v35, -v35, v34
	v_div_scale_f32 v39, vcc_lo, v34, -v35, v34
	s_delay_alu instid0(VALU_DEP_2) | instskip(SKIP_1) | instid1(TRANS32_DEP_1)
	v_rcp_f32_e32 v37, v36
	v_nop
	v_fma_f32 v38, -v36, v37, 1.0
	s_delay_alu instid0(VALU_DEP_1) | instskip(NEXT) | instid1(VALU_DEP_1)
	v_fmac_f32_e32 v37, v38, v37
	v_mul_f32_e32 v38, v39, v37
	s_delay_alu instid0(VALU_DEP_1) | instskip(NEXT) | instid1(VALU_DEP_1)
	v_fma_f32 v40, -v36, v38, v39
	v_fmac_f32_e32 v38, v40, v37
	s_delay_alu instid0(VALU_DEP_1) | instskip(NEXT) | instid1(VALU_DEP_1)
	v_fma_f32 v36, -v36, v38, v39
	v_div_fmas_f32 v36, v36, v37, v38
	s_delay_alu instid0(VALU_DEP_1) | instskip(NEXT) | instid1(VALU_DEP_1)
	v_div_fixup_f32 v36, v36, -v35, v34
	v_fma_f32 v34, v34, v36, -v35
	s_delay_alu instid0(VALU_DEP_1) | instskip(SKIP_1) | instid1(VALU_DEP_2)
	v_div_scale_f32 v35, null, v34, v34, 1.0
	v_div_scale_f32 v39, vcc_lo, 1.0, v34, 1.0
	v_rcp_f32_e32 v37, v35
	v_nop
	s_delay_alu instid0(TRANS32_DEP_1) | instskip(NEXT) | instid1(VALU_DEP_1)
	v_fma_f32 v38, -v35, v37, 1.0
	v_fmac_f32_e32 v37, v38, v37
	s_delay_alu instid0(VALU_DEP_1) | instskip(NEXT) | instid1(VALU_DEP_1)
	v_mul_f32_e32 v38, v39, v37
	v_fma_f32 v40, -v35, v38, v39
	s_delay_alu instid0(VALU_DEP_1) | instskip(NEXT) | instid1(VALU_DEP_1)
	v_fmac_f32_e32 v38, v40, v37
	v_fma_f32 v35, -v35, v38, v39
	s_delay_alu instid0(VALU_DEP_1) | instskip(NEXT) | instid1(VALU_DEP_1)
	v_div_fmas_f32 v35, v35, v37, v38
	v_div_fixup_f32 v34, v35, v34, 1.0
	s_delay_alu instid0(VALU_DEP_1)
	v_mul_f32_e32 v36, v36, v34
	v_xor_b32_e32 v37, 0x80000000, v34
                                        ; implicit-def: $vgpr34_vgpr35
.LBB60_1077:                            ;   in Loop: Header=BB60_3 Depth=1
	s_and_not1_saveexec_b32 s53, s53
	s_cbranch_execz .LBB60_1079
; %bb.1078:                             ;   in Loop: Header=BB60_3 Depth=1
	v_div_scale_f32 v36, null, v34, v34, -v35
	v_div_scale_f32 v39, vcc_lo, -v35, v34, -v35
	s_delay_alu instid0(VALU_DEP_2) | instskip(SKIP_1) | instid1(TRANS32_DEP_1)
	v_rcp_f32_e32 v37, v36
	v_nop
	v_fma_f32 v38, -v36, v37, 1.0
	s_delay_alu instid0(VALU_DEP_1) | instskip(NEXT) | instid1(VALU_DEP_1)
	v_fmac_f32_e32 v37, v38, v37
	v_mul_f32_e32 v38, v39, v37
	s_delay_alu instid0(VALU_DEP_1) | instskip(NEXT) | instid1(VALU_DEP_1)
	v_fma_f32 v40, -v36, v38, v39
	v_fmac_f32_e32 v38, v40, v37
	s_delay_alu instid0(VALU_DEP_1) | instskip(NEXT) | instid1(VALU_DEP_1)
	v_fma_f32 v36, -v36, v38, v39
	v_div_fmas_f32 v36, v36, v37, v38
	s_delay_alu instid0(VALU_DEP_1) | instskip(NEXT) | instid1(VALU_DEP_1)
	v_div_fixup_f32 v37, v36, v34, -v35
	v_fma_f32 v34, -v35, v37, v34
	s_delay_alu instid0(VALU_DEP_1) | instskip(NEXT) | instid1(VALU_DEP_1)
	v_div_scale_f32 v35, null, v34, v34, 1.0
	v_rcp_f32_e32 v36, v35
	v_nop
	s_delay_alu instid0(TRANS32_DEP_1) | instskip(NEXT) | instid1(VALU_DEP_1)
	v_fma_f32 v38, -v35, v36, 1.0
	v_fmac_f32_e32 v36, v38, v36
	v_div_scale_f32 v38, vcc_lo, 1.0, v34, 1.0
	s_delay_alu instid0(VALU_DEP_1) | instskip(NEXT) | instid1(VALU_DEP_1)
	v_mul_f32_e32 v39, v38, v36
	v_fma_f32 v40, -v35, v39, v38
	s_delay_alu instid0(VALU_DEP_1) | instskip(NEXT) | instid1(VALU_DEP_1)
	v_fmac_f32_e32 v39, v40, v36
	v_fma_f32 v35, -v35, v39, v38
	s_delay_alu instid0(VALU_DEP_1) | instskip(NEXT) | instid1(VALU_DEP_1)
	v_div_fmas_f32 v35, v35, v36, v39
	v_div_fixup_f32 v36, v35, v34, 1.0
	s_delay_alu instid0(VALU_DEP_1)
	v_mul_f32_e64 v37, v37, -v36
.LBB60_1079:                            ;   in Loop: Header=BB60_3 Depth=1
	s_or_b32 exec_lo, exec_lo, s53
	ds_store_b64 v74, v[36:37]
.LBB60_1080:                            ;   in Loop: Header=BB60_3 Depth=1
	s_or_b32 exec_lo, exec_lo, s86
	s_and_not1_saveexec_b32 s53, s65
	s_cbranch_execz .LBB60_16
.LBB60_1081:                            ;   in Loop: Header=BB60_3 Depth=1
	v_lshl_add_u64 v[34:35], v[12:13], 3, s[84:85]
	global_load_b64 v[34:35], v[34:35], off
	s_wait_loadcnt 0x0
	v_xor_b32_e32 v34, 0x80000000, v34
	ds_store_b64 v74, v[34:35]
	s_or_b32 exec_lo, exec_lo, s53
	s_and_saveexec_b32 s53, s7
	s_delay_alu instid0(SALU_CYCLE_1)
	s_xor_b32 s65, exec_lo, s53
	s_cbranch_execz .LBB60_17
.LBB60_1082:                            ;   in Loop: Header=BB60_3 Depth=1
	s_mov_b32 s53, exec_lo
	v_readlane_b32 s54, v106, 24
	s_and_b32 s54, s53, s54
	s_delay_alu instid0(SALU_CYCLE_1)
	s_xor_b32 s53, s54, s53
	s_mov_b32 exec_lo, s54
	s_cbranch_execz .LBB60_1086
; %bb.1083:                             ;   in Loop: Header=BB60_3 Depth=1
	s_mov_b32 s54, exec_lo
	v_readlane_b32 s55, v105, 10
	s_and_b32 s55, s54, s55
	s_delay_alu instid0(SALU_CYCLE_1)
	s_mov_b32 exec_lo, s55
; %bb.1084:                             ;   in Loop: Header=BB60_3 Depth=1
	ds_store_b64 v75, v[20:21]
; %bb.1085:                             ;   in Loop: Header=BB60_3 Depth=1
	s_or_b32 exec_lo, exec_lo, s54
.LBB60_1086:                            ;   in Loop: Header=BB60_3 Depth=1
	s_and_not1_saveexec_b32 s86, s53
	s_cbranch_execz .LBB60_1092
; %bb.1087:                             ;   in Loop: Header=BB60_3 Depth=1
	v_lshl_add_u64 v[34:35], v[14:15], 3, s[84:85]
                                        ; implicit-def: $vgpr36_vgpr37
	global_load_b64 v[34:35], v[34:35], off
	s_wait_loadcnt 0x0
	v_cmp_ngt_f32_e64 s53, |v34|, |v35|
	s_and_saveexec_b32 s54, s53
	s_delay_alu instid0(SALU_CYCLE_1)
	s_xor_b32 s53, exec_lo, s54
	s_cbranch_execz .LBB60_1089
; %bb.1088:                             ;   in Loop: Header=BB60_3 Depth=1
	v_div_scale_f32 v36, null, -v35, -v35, v34
	v_div_scale_f32 v39, vcc_lo, v34, -v35, v34
	s_delay_alu instid0(VALU_DEP_2) | instskip(SKIP_1) | instid1(TRANS32_DEP_1)
	v_rcp_f32_e32 v37, v36
	v_nop
	v_fma_f32 v38, -v36, v37, 1.0
	s_delay_alu instid0(VALU_DEP_1) | instskip(NEXT) | instid1(VALU_DEP_1)
	v_fmac_f32_e32 v37, v38, v37
	v_mul_f32_e32 v38, v39, v37
	s_delay_alu instid0(VALU_DEP_1) | instskip(NEXT) | instid1(VALU_DEP_1)
	v_fma_f32 v40, -v36, v38, v39
	v_fmac_f32_e32 v38, v40, v37
	s_delay_alu instid0(VALU_DEP_1) | instskip(NEXT) | instid1(VALU_DEP_1)
	v_fma_f32 v36, -v36, v38, v39
	v_div_fmas_f32 v36, v36, v37, v38
	s_delay_alu instid0(VALU_DEP_1) | instskip(NEXT) | instid1(VALU_DEP_1)
	v_div_fixup_f32 v36, v36, -v35, v34
	v_fma_f32 v34, v34, v36, -v35
	s_delay_alu instid0(VALU_DEP_1) | instskip(SKIP_1) | instid1(VALU_DEP_2)
	v_div_scale_f32 v35, null, v34, v34, 1.0
	v_div_scale_f32 v39, vcc_lo, 1.0, v34, 1.0
	v_rcp_f32_e32 v37, v35
	v_nop
	s_delay_alu instid0(TRANS32_DEP_1) | instskip(NEXT) | instid1(VALU_DEP_1)
	v_fma_f32 v38, -v35, v37, 1.0
	v_fmac_f32_e32 v37, v38, v37
	s_delay_alu instid0(VALU_DEP_1) | instskip(NEXT) | instid1(VALU_DEP_1)
	v_mul_f32_e32 v38, v39, v37
	v_fma_f32 v40, -v35, v38, v39
	s_delay_alu instid0(VALU_DEP_1) | instskip(NEXT) | instid1(VALU_DEP_1)
	v_fmac_f32_e32 v38, v40, v37
	v_fma_f32 v35, -v35, v38, v39
	s_delay_alu instid0(VALU_DEP_1) | instskip(NEXT) | instid1(VALU_DEP_1)
	v_div_fmas_f32 v35, v35, v37, v38
	v_div_fixup_f32 v34, v35, v34, 1.0
	s_delay_alu instid0(VALU_DEP_1)
	v_mul_f32_e32 v36, v36, v34
	v_xor_b32_e32 v37, 0x80000000, v34
                                        ; implicit-def: $vgpr34_vgpr35
.LBB60_1089:                            ;   in Loop: Header=BB60_3 Depth=1
	s_and_not1_saveexec_b32 s53, s53
	s_cbranch_execz .LBB60_1091
; %bb.1090:                             ;   in Loop: Header=BB60_3 Depth=1
	v_div_scale_f32 v36, null, v34, v34, -v35
	v_div_scale_f32 v39, vcc_lo, -v35, v34, -v35
	s_delay_alu instid0(VALU_DEP_2) | instskip(SKIP_1) | instid1(TRANS32_DEP_1)
	v_rcp_f32_e32 v37, v36
	v_nop
	v_fma_f32 v38, -v36, v37, 1.0
	s_delay_alu instid0(VALU_DEP_1) | instskip(NEXT) | instid1(VALU_DEP_1)
	v_fmac_f32_e32 v37, v38, v37
	v_mul_f32_e32 v38, v39, v37
	s_delay_alu instid0(VALU_DEP_1) | instskip(NEXT) | instid1(VALU_DEP_1)
	v_fma_f32 v40, -v36, v38, v39
	v_fmac_f32_e32 v38, v40, v37
	s_delay_alu instid0(VALU_DEP_1) | instskip(NEXT) | instid1(VALU_DEP_1)
	v_fma_f32 v36, -v36, v38, v39
	v_div_fmas_f32 v36, v36, v37, v38
	s_delay_alu instid0(VALU_DEP_1) | instskip(NEXT) | instid1(VALU_DEP_1)
	v_div_fixup_f32 v37, v36, v34, -v35
	v_fma_f32 v34, -v35, v37, v34
	s_delay_alu instid0(VALU_DEP_1) | instskip(NEXT) | instid1(VALU_DEP_1)
	v_div_scale_f32 v35, null, v34, v34, 1.0
	v_rcp_f32_e32 v36, v35
	v_nop
	s_delay_alu instid0(TRANS32_DEP_1) | instskip(NEXT) | instid1(VALU_DEP_1)
	v_fma_f32 v38, -v35, v36, 1.0
	v_fmac_f32_e32 v36, v38, v36
	v_div_scale_f32 v38, vcc_lo, 1.0, v34, 1.0
	s_delay_alu instid0(VALU_DEP_1) | instskip(NEXT) | instid1(VALU_DEP_1)
	v_mul_f32_e32 v39, v38, v36
	v_fma_f32 v40, -v35, v39, v38
	s_delay_alu instid0(VALU_DEP_1) | instskip(NEXT) | instid1(VALU_DEP_1)
	v_fmac_f32_e32 v39, v40, v36
	v_fma_f32 v35, -v35, v39, v38
	s_delay_alu instid0(VALU_DEP_1) | instskip(NEXT) | instid1(VALU_DEP_1)
	v_div_fmas_f32 v35, v35, v36, v39
	v_div_fixup_f32 v36, v35, v34, 1.0
	s_delay_alu instid0(VALU_DEP_1)
	v_mul_f32_e64 v37, v37, -v36
.LBB60_1091:                            ;   in Loop: Header=BB60_3 Depth=1
	s_or_b32 exec_lo, exec_lo, s53
	ds_store_b64 v75, v[36:37]
.LBB60_1092:                            ;   in Loop: Header=BB60_3 Depth=1
	s_or_b32 exec_lo, exec_lo, s86
	s_and_not1_saveexec_b32 s53, s65
	s_cbranch_execz .LBB60_18
.LBB60_1093:                            ;   in Loop: Header=BB60_3 Depth=1
	v_lshl_add_u64 v[34:35], v[14:15], 3, s[84:85]
	global_load_b64 v[34:35], v[34:35], off
	s_wait_loadcnt 0x0
	v_xor_b32_e32 v34, 0x80000000, v34
	ds_store_b64 v75, v[34:35]
	s_or_b32 exec_lo, exec_lo, s53
	s_and_saveexec_b32 s53, s8
	s_delay_alu instid0(SALU_CYCLE_1)
	s_xor_b32 s65, exec_lo, s53
	s_cbranch_execz .LBB60_19
.LBB60_1094:                            ;   in Loop: Header=BB60_3 Depth=1
	s_mov_b32 s53, exec_lo
	v_readlane_b32 s54, v106, 26
	s_and_b32 s54, s53, s54
	s_delay_alu instid0(SALU_CYCLE_1)
	s_xor_b32 s53, s54, s53
	s_mov_b32 exec_lo, s54
	s_cbranch_execz .LBB60_1098
; %bb.1095:                             ;   in Loop: Header=BB60_3 Depth=1
	s_mov_b32 s54, exec_lo
	v_readlane_b32 s55, v105, 11
	s_and_b32 s55, s54, s55
	s_delay_alu instid0(SALU_CYCLE_1)
	s_mov_b32 exec_lo, s55
; %bb.1096:                             ;   in Loop: Header=BB60_3 Depth=1
	ds_store_b64 v77, v[20:21]
; %bb.1097:                             ;   in Loop: Header=BB60_3 Depth=1
	s_or_b32 exec_lo, exec_lo, s54
.LBB60_1098:                            ;   in Loop: Header=BB60_3 Depth=1
	s_and_not1_saveexec_b32 s86, s53
	s_cbranch_execz .LBB60_1104
; %bb.1099:                             ;   in Loop: Header=BB60_3 Depth=1
	v_lshl_add_u64 v[34:35], v[16:17], 3, s[84:85]
                                        ; implicit-def: $vgpr36_vgpr37
	global_load_b64 v[34:35], v[34:35], off
	s_wait_loadcnt 0x0
	v_cmp_ngt_f32_e64 s53, |v34|, |v35|
	s_and_saveexec_b32 s54, s53
	s_delay_alu instid0(SALU_CYCLE_1)
	s_xor_b32 s53, exec_lo, s54
	s_cbranch_execz .LBB60_1101
; %bb.1100:                             ;   in Loop: Header=BB60_3 Depth=1
	v_div_scale_f32 v36, null, -v35, -v35, v34
	v_div_scale_f32 v39, vcc_lo, v34, -v35, v34
	s_delay_alu instid0(VALU_DEP_2) | instskip(SKIP_1) | instid1(TRANS32_DEP_1)
	v_rcp_f32_e32 v37, v36
	v_nop
	v_fma_f32 v38, -v36, v37, 1.0
	s_delay_alu instid0(VALU_DEP_1) | instskip(NEXT) | instid1(VALU_DEP_1)
	v_fmac_f32_e32 v37, v38, v37
	v_mul_f32_e32 v38, v39, v37
	s_delay_alu instid0(VALU_DEP_1) | instskip(NEXT) | instid1(VALU_DEP_1)
	v_fma_f32 v40, -v36, v38, v39
	v_fmac_f32_e32 v38, v40, v37
	s_delay_alu instid0(VALU_DEP_1) | instskip(NEXT) | instid1(VALU_DEP_1)
	v_fma_f32 v36, -v36, v38, v39
	v_div_fmas_f32 v36, v36, v37, v38
	s_delay_alu instid0(VALU_DEP_1) | instskip(NEXT) | instid1(VALU_DEP_1)
	v_div_fixup_f32 v36, v36, -v35, v34
	v_fma_f32 v34, v34, v36, -v35
	s_delay_alu instid0(VALU_DEP_1) | instskip(SKIP_1) | instid1(VALU_DEP_2)
	v_div_scale_f32 v35, null, v34, v34, 1.0
	v_div_scale_f32 v39, vcc_lo, 1.0, v34, 1.0
	v_rcp_f32_e32 v37, v35
	v_nop
	s_delay_alu instid0(TRANS32_DEP_1) | instskip(NEXT) | instid1(VALU_DEP_1)
	v_fma_f32 v38, -v35, v37, 1.0
	v_fmac_f32_e32 v37, v38, v37
	s_delay_alu instid0(VALU_DEP_1) | instskip(NEXT) | instid1(VALU_DEP_1)
	v_mul_f32_e32 v38, v39, v37
	v_fma_f32 v40, -v35, v38, v39
	s_delay_alu instid0(VALU_DEP_1) | instskip(NEXT) | instid1(VALU_DEP_1)
	v_fmac_f32_e32 v38, v40, v37
	v_fma_f32 v35, -v35, v38, v39
	s_delay_alu instid0(VALU_DEP_1) | instskip(NEXT) | instid1(VALU_DEP_1)
	v_div_fmas_f32 v35, v35, v37, v38
	v_div_fixup_f32 v34, v35, v34, 1.0
	s_delay_alu instid0(VALU_DEP_1)
	v_mul_f32_e32 v36, v36, v34
	v_xor_b32_e32 v37, 0x80000000, v34
                                        ; implicit-def: $vgpr34_vgpr35
.LBB60_1101:                            ;   in Loop: Header=BB60_3 Depth=1
	s_and_not1_saveexec_b32 s53, s53
	s_cbranch_execz .LBB60_1103
; %bb.1102:                             ;   in Loop: Header=BB60_3 Depth=1
	v_div_scale_f32 v36, null, v34, v34, -v35
	v_div_scale_f32 v39, vcc_lo, -v35, v34, -v35
	s_delay_alu instid0(VALU_DEP_2) | instskip(SKIP_1) | instid1(TRANS32_DEP_1)
	v_rcp_f32_e32 v37, v36
	v_nop
	v_fma_f32 v38, -v36, v37, 1.0
	s_delay_alu instid0(VALU_DEP_1) | instskip(NEXT) | instid1(VALU_DEP_1)
	v_fmac_f32_e32 v37, v38, v37
	v_mul_f32_e32 v38, v39, v37
	s_delay_alu instid0(VALU_DEP_1) | instskip(NEXT) | instid1(VALU_DEP_1)
	v_fma_f32 v40, -v36, v38, v39
	v_fmac_f32_e32 v38, v40, v37
	s_delay_alu instid0(VALU_DEP_1) | instskip(NEXT) | instid1(VALU_DEP_1)
	v_fma_f32 v36, -v36, v38, v39
	v_div_fmas_f32 v36, v36, v37, v38
	s_delay_alu instid0(VALU_DEP_1) | instskip(NEXT) | instid1(VALU_DEP_1)
	v_div_fixup_f32 v37, v36, v34, -v35
	v_fma_f32 v34, -v35, v37, v34
	s_delay_alu instid0(VALU_DEP_1) | instskip(NEXT) | instid1(VALU_DEP_1)
	v_div_scale_f32 v35, null, v34, v34, 1.0
	v_rcp_f32_e32 v36, v35
	v_nop
	s_delay_alu instid0(TRANS32_DEP_1) | instskip(NEXT) | instid1(VALU_DEP_1)
	v_fma_f32 v38, -v35, v36, 1.0
	v_fmac_f32_e32 v36, v38, v36
	v_div_scale_f32 v38, vcc_lo, 1.0, v34, 1.0
	s_delay_alu instid0(VALU_DEP_1) | instskip(NEXT) | instid1(VALU_DEP_1)
	v_mul_f32_e32 v39, v38, v36
	v_fma_f32 v40, -v35, v39, v38
	s_delay_alu instid0(VALU_DEP_1) | instskip(NEXT) | instid1(VALU_DEP_1)
	v_fmac_f32_e32 v39, v40, v36
	v_fma_f32 v35, -v35, v39, v38
	s_delay_alu instid0(VALU_DEP_1) | instskip(NEXT) | instid1(VALU_DEP_1)
	v_div_fmas_f32 v35, v35, v36, v39
	v_div_fixup_f32 v36, v35, v34, 1.0
	s_delay_alu instid0(VALU_DEP_1)
	v_mul_f32_e64 v37, v37, -v36
.LBB60_1103:                            ;   in Loop: Header=BB60_3 Depth=1
	s_or_b32 exec_lo, exec_lo, s53
	ds_store_b64 v77, v[36:37]
.LBB60_1104:                            ;   in Loop: Header=BB60_3 Depth=1
	s_or_b32 exec_lo, exec_lo, s86
	s_and_not1_saveexec_b32 s53, s65
	s_cbranch_execz .LBB60_20
.LBB60_1105:                            ;   in Loop: Header=BB60_3 Depth=1
	v_lshl_add_u64 v[34:35], v[16:17], 3, s[84:85]
	global_load_b64 v[34:35], v[34:35], off
	s_wait_loadcnt 0x0
	v_xor_b32_e32 v34, 0x80000000, v34
	ds_store_b64 v77, v[34:35]
	s_or_b32 exec_lo, exec_lo, s53
	s_and_saveexec_b32 s53, s9
	s_delay_alu instid0(SALU_CYCLE_1)
	s_xor_b32 s65, exec_lo, s53
	s_cbranch_execz .LBB60_21
.LBB60_1106:                            ;   in Loop: Header=BB60_3 Depth=1
	s_mov_b32 s53, exec_lo
	v_readlane_b32 s54, v106, 28
	s_and_b32 s54, s53, s54
	s_delay_alu instid0(SALU_CYCLE_1)
	s_xor_b32 s53, s54, s53
	s_mov_b32 exec_lo, s54
	s_cbranch_execz .LBB60_1110
; %bb.1107:                             ;   in Loop: Header=BB60_3 Depth=1
	s_mov_b32 s54, exec_lo
	v_readlane_b32 s55, v105, 12
	s_and_b32 s55, s54, s55
	s_delay_alu instid0(SALU_CYCLE_1)
	s_mov_b32 exec_lo, s55
; %bb.1108:                             ;   in Loop: Header=BB60_3 Depth=1
	ds_store_b64 v78, v[20:21]
; %bb.1109:                             ;   in Loop: Header=BB60_3 Depth=1
	s_or_b32 exec_lo, exec_lo, s54
.LBB60_1110:                            ;   in Loop: Header=BB60_3 Depth=1
	s_and_not1_saveexec_b32 s86, s53
	s_cbranch_execz .LBB60_1116
; %bb.1111:                             ;   in Loop: Header=BB60_3 Depth=1
	v_lshl_add_u64 v[34:35], v[18:19], 3, s[84:85]
                                        ; implicit-def: $vgpr36_vgpr37
	global_load_b64 v[34:35], v[34:35], off
	s_wait_loadcnt 0x0
	v_cmp_ngt_f32_e64 s53, |v34|, |v35|
	s_and_saveexec_b32 s54, s53
	s_delay_alu instid0(SALU_CYCLE_1)
	s_xor_b32 s53, exec_lo, s54
	s_cbranch_execz .LBB60_1113
; %bb.1112:                             ;   in Loop: Header=BB60_3 Depth=1
	v_div_scale_f32 v36, null, -v35, -v35, v34
	v_div_scale_f32 v39, vcc_lo, v34, -v35, v34
	s_delay_alu instid0(VALU_DEP_2) | instskip(SKIP_1) | instid1(TRANS32_DEP_1)
	v_rcp_f32_e32 v37, v36
	v_nop
	v_fma_f32 v38, -v36, v37, 1.0
	s_delay_alu instid0(VALU_DEP_1) | instskip(NEXT) | instid1(VALU_DEP_1)
	v_fmac_f32_e32 v37, v38, v37
	v_mul_f32_e32 v38, v39, v37
	s_delay_alu instid0(VALU_DEP_1) | instskip(NEXT) | instid1(VALU_DEP_1)
	v_fma_f32 v40, -v36, v38, v39
	v_fmac_f32_e32 v38, v40, v37
	s_delay_alu instid0(VALU_DEP_1) | instskip(NEXT) | instid1(VALU_DEP_1)
	v_fma_f32 v36, -v36, v38, v39
	v_div_fmas_f32 v36, v36, v37, v38
	s_delay_alu instid0(VALU_DEP_1) | instskip(NEXT) | instid1(VALU_DEP_1)
	v_div_fixup_f32 v36, v36, -v35, v34
	v_fma_f32 v34, v34, v36, -v35
	s_delay_alu instid0(VALU_DEP_1) | instskip(SKIP_1) | instid1(VALU_DEP_2)
	v_div_scale_f32 v35, null, v34, v34, 1.0
	v_div_scale_f32 v39, vcc_lo, 1.0, v34, 1.0
	v_rcp_f32_e32 v37, v35
	v_nop
	s_delay_alu instid0(TRANS32_DEP_1) | instskip(NEXT) | instid1(VALU_DEP_1)
	v_fma_f32 v38, -v35, v37, 1.0
	v_fmac_f32_e32 v37, v38, v37
	s_delay_alu instid0(VALU_DEP_1) | instskip(NEXT) | instid1(VALU_DEP_1)
	v_mul_f32_e32 v38, v39, v37
	v_fma_f32 v40, -v35, v38, v39
	s_delay_alu instid0(VALU_DEP_1) | instskip(NEXT) | instid1(VALU_DEP_1)
	v_fmac_f32_e32 v38, v40, v37
	v_fma_f32 v35, -v35, v38, v39
	s_delay_alu instid0(VALU_DEP_1) | instskip(NEXT) | instid1(VALU_DEP_1)
	v_div_fmas_f32 v35, v35, v37, v38
	v_div_fixup_f32 v34, v35, v34, 1.0
	s_delay_alu instid0(VALU_DEP_1)
	v_mul_f32_e32 v36, v36, v34
	v_xor_b32_e32 v37, 0x80000000, v34
                                        ; implicit-def: $vgpr34_vgpr35
.LBB60_1113:                            ;   in Loop: Header=BB60_3 Depth=1
	s_and_not1_saveexec_b32 s53, s53
	s_cbranch_execz .LBB60_1115
; %bb.1114:                             ;   in Loop: Header=BB60_3 Depth=1
	v_div_scale_f32 v36, null, v34, v34, -v35
	v_div_scale_f32 v39, vcc_lo, -v35, v34, -v35
	s_delay_alu instid0(VALU_DEP_2) | instskip(SKIP_1) | instid1(TRANS32_DEP_1)
	v_rcp_f32_e32 v37, v36
	v_nop
	v_fma_f32 v38, -v36, v37, 1.0
	s_delay_alu instid0(VALU_DEP_1) | instskip(NEXT) | instid1(VALU_DEP_1)
	v_fmac_f32_e32 v37, v38, v37
	v_mul_f32_e32 v38, v39, v37
	s_delay_alu instid0(VALU_DEP_1) | instskip(NEXT) | instid1(VALU_DEP_1)
	v_fma_f32 v40, -v36, v38, v39
	v_fmac_f32_e32 v38, v40, v37
	s_delay_alu instid0(VALU_DEP_1) | instskip(NEXT) | instid1(VALU_DEP_1)
	v_fma_f32 v36, -v36, v38, v39
	v_div_fmas_f32 v36, v36, v37, v38
	s_delay_alu instid0(VALU_DEP_1) | instskip(NEXT) | instid1(VALU_DEP_1)
	v_div_fixup_f32 v37, v36, v34, -v35
	v_fma_f32 v34, -v35, v37, v34
	s_delay_alu instid0(VALU_DEP_1) | instskip(NEXT) | instid1(VALU_DEP_1)
	v_div_scale_f32 v35, null, v34, v34, 1.0
	v_rcp_f32_e32 v36, v35
	v_nop
	s_delay_alu instid0(TRANS32_DEP_1) | instskip(NEXT) | instid1(VALU_DEP_1)
	v_fma_f32 v38, -v35, v36, 1.0
	v_fmac_f32_e32 v36, v38, v36
	v_div_scale_f32 v38, vcc_lo, 1.0, v34, 1.0
	s_delay_alu instid0(VALU_DEP_1) | instskip(NEXT) | instid1(VALU_DEP_1)
	v_mul_f32_e32 v39, v38, v36
	v_fma_f32 v40, -v35, v39, v38
	s_delay_alu instid0(VALU_DEP_1) | instskip(NEXT) | instid1(VALU_DEP_1)
	v_fmac_f32_e32 v39, v40, v36
	v_fma_f32 v35, -v35, v39, v38
	s_delay_alu instid0(VALU_DEP_1) | instskip(NEXT) | instid1(VALU_DEP_1)
	v_div_fmas_f32 v35, v35, v36, v39
	v_div_fixup_f32 v36, v35, v34, 1.0
	s_delay_alu instid0(VALU_DEP_1)
	v_mul_f32_e64 v37, v37, -v36
.LBB60_1115:                            ;   in Loop: Header=BB60_3 Depth=1
	s_or_b32 exec_lo, exec_lo, s53
	ds_store_b64 v78, v[36:37]
.LBB60_1116:                            ;   in Loop: Header=BB60_3 Depth=1
	s_or_b32 exec_lo, exec_lo, s86
	s_and_not1_saveexec_b32 s53, s65
	s_cbranch_execnz .LBB60_22
	s_branch .LBB60_23
.LBB60_1117:                            ;   in Loop: Header=BB60_3 Depth=1
	ds_load_b64 v[30:31], v91
	ds_load_b64 v[32:33], v81
	s_wait_dscnt 0x0
	v_dual_mul_f32 v36, v33, v31 :: v_dual_mul_f32 v31, v32, v31
	s_delay_alu instid0(VALU_DEP_1) | instskip(NEXT) | instid1(VALU_DEP_1)
	v_dual_fma_f32 v32, v32, v30, -v36 :: v_dual_fmac_f32 v31, v33, v30
	v_dual_add_f32 v30, 0, v32 :: v_dual_add_f32 v31, 0, v31
	s_or_b32 exec_lo, exec_lo, s53
	s_and_saveexec_b32 s53, s7
	s_cbranch_execz .LBB60_1048
.LBB60_1118:                            ;   in Loop: Header=BB60_3 Depth=1
	ds_load_b64 v[32:33], v91 offset:8192
	ds_load_b64 v[36:37], v81 offset:128
	s_wait_dscnt 0x0
	v_dual_mul_f32 v38, v37, v33 :: v_dual_mul_f32 v39, v36, v33
	s_delay_alu instid0(VALU_DEP_1) | instskip(NEXT) | instid1(VALU_DEP_1)
	v_dual_fma_f32 v38, v36, v32, -v38 :: v_dual_fmac_f32 v39, v37, v32
	v_pk_add_f32 v[30:31], v[30:31], v[38:39]
	s_or_b32 exec_lo, exec_lo, s53
	s_and_saveexec_b32 s53, s8
	s_cbranch_execz .LBB60_1049
.LBB60_1119:                            ;   in Loop: Header=BB60_3 Depth=1
	ds_load_b64 v[32:33], v91 offset:16384
	ds_load_b64 v[36:37], v81 offset:256
	s_wait_dscnt 0x0
	v_pk_mul_f32 v[38:39], v[36:37], v[32:33] op_sel:[1,1] op_sel_hi:[0,1]
	s_delay_alu instid0(VALU_DEP_1) | instskip(SKIP_1) | instid1(VALU_DEP_2)
	v_pk_fma_f32 v[96:97], v[36:37], v[32:33], v[38:39] op_sel_hi:[1,0,1]
	v_pk_fma_f32 v[32:33], v[36:37], v[32:33], v[38:39] neg_lo:[0,0,1] neg_hi:[0,0,1]
	v_mov_b32_e32 v33, v97
	s_delay_alu instid0(VALU_DEP_1)
	v_pk_add_f32 v[30:31], v[30:31], v[32:33]
	s_or_b32 exec_lo, exec_lo, s53
	s_and_saveexec_b32 s53, s9
	s_cbranch_execnz .LBB60_1050
	s_branch .LBB60_1051
.LBB60_1120:                            ;   in Loop: Header=BB60_3 Depth=1
	s_or_b32 exec_lo, exec_lo, s53
	s_delay_alu instid0(SALU_CYCLE_1)
	s_and_b32 vcc_lo, exec_lo, s86
	s_cbranch_vccnz .LBB60_1054
.LBB60_1121:                            ;   in Loop: Header=BB60_3 Depth=1
	v_mov_b64_e32 v[34:35], v[32:33]
	s_and_saveexec_b32 s53, s65
	s_cbranch_execnz .LBB60_1067
	s_branch .LBB60_1068
.LBB60_1122:                            ;   in Loop: Header=BB60_3 Depth=1
	s_and_not1_b32 s54, s65, exec_lo
	s_and_b32 s55, s1, exec_lo
	s_delay_alu instid0(SALU_CYCLE_1)
	s_or_b32 s65, s54, s55
	s_cbranch_execnz .LBB60_1066
.LBB60_1123:                            ;   in Loop: Header=BB60_3 Depth=1
	v_readlane_b32 s54, v106, 13
	s_and_not1_b32 s53, s65, exec_lo
	s_and_b32 s54, s54, exec_lo
	s_delay_alu instid0(SALU_CYCLE_1) | instskip(NEXT) | instid1(SALU_CYCLE_1)
	s_or_b32 s65, s53, s54
	s_and_saveexec_b32 s53, s65
	s_cbranch_execnz .LBB60_1067
	s_branch .LBB60_1068
.LBB60_1124:                            ;   in Loop: Header=BB60_3 Depth=1
	ds_load_b64 v[36:37], v50 offset:544
	ds_load_b64 v[38:39], v45 offset:8
	s_wait_dscnt 0x0
	v_pk_mul_f32 v[96:97], v[38:39], v[36:37] op_sel:[0,1]
	s_delay_alu instid0(VALU_DEP_1) | instskip(SKIP_1) | instid1(VALU_DEP_2)
	v_pk_fma_f32 v[98:99], v[38:39], v[36:37], v[96:97] op_sel:[1,0,0] op_sel_hi:[0,0,1] neg_lo:[0,0,1] neg_hi:[0,0,1]
	v_pk_fma_f32 v[36:37], v[38:39], v[36:37], v[96:97] op_sel:[1,0,0] op_sel_hi:[0,1,1]
	v_mov_b32_e32 v37, v99
	s_delay_alu instid0(VALU_DEP_1)
	v_pk_add_f32 v[34:35], v[34:35], v[36:37]
	s_or_b32 exec_lo, exec_lo, s53
	s_and_saveexec_b32 s53, s17
	s_cbranch_execz .LBB60_104
.LBB60_1125:                            ;   in Loop: Header=BB60_3 Depth=1
	ds_load_b64 v[36:37], v49 offset:1056
	ds_load_b64 v[38:39], v45 offset:16
	s_wait_dscnt 0x0
	v_pk_mul_f32 v[96:97], v[38:39], v[36:37] op_sel:[0,1]
	s_delay_alu instid0(VALU_DEP_1) | instskip(SKIP_1) | instid1(VALU_DEP_2)
	v_pk_fma_f32 v[98:99], v[38:39], v[36:37], v[96:97] op_sel:[1,0,0] op_sel_hi:[0,0,1] neg_lo:[0,0,1] neg_hi:[0,0,1]
	v_pk_fma_f32 v[36:37], v[38:39], v[36:37], v[96:97] op_sel:[1,0,0] op_sel_hi:[0,1,1]
	v_mov_b32_e32 v37, v99
	s_delay_alu instid0(VALU_DEP_1)
	v_pk_add_f32 v[34:35], v[34:35], v[36:37]
	s_or_b32 exec_lo, exec_lo, s53
	s_and_saveexec_b32 s53, s0
	s_cbranch_execnz .LBB60_105
	s_branch .LBB60_106
.LBB60_1126:                            ;   in Loop: Header=BB60_3 Depth=1
	ds_load_b64 v[36:37], v60 offset:576
	ds_load_b64 v[38:39], v55 offset:8
	s_wait_dscnt 0x0
	v_dual_mul_f32 v40, v39, v37 :: v_dual_mul_f32 v37, v38, v37
	s_delay_alu instid0(VALU_DEP_1) | instskip(NEXT) | instid1(VALU_DEP_1)
	v_dual_fma_f32 v38, v38, v36, -v40 :: v_dual_fmac_f32 v37, v39, v36
	v_dual_add_f32 v35, v35, v38 :: v_dual_add_f32 v34, v34, v37
	s_or_b32 exec_lo, exec_lo, s53
	s_and_saveexec_b32 s53, s19
	s_cbranch_execz .LBB60_146
.LBB60_1127:                            ;   in Loop: Header=BB60_3 Depth=1
	ds_load_b64 v[36:37], v60 offset:1088
	ds_load_b64 v[38:39], v55 offset:16
	s_wait_dscnt 0x0
	v_dual_mul_f32 v40, v39, v37 :: v_dual_mul_f32 v37, v38, v37
	s_delay_alu instid0(VALU_DEP_1) | instskip(NEXT) | instid1(VALU_DEP_1)
	v_dual_fma_f32 v38, v38, v36, -v40 :: v_dual_fmac_f32 v37, v39, v36
	v_dual_add_f32 v35, v35, v38 :: v_dual_add_f32 v34, v34, v37
	s_or_b32 exec_lo, exec_lo, s53
	s_and_saveexec_b32 s53, s20
	s_cbranch_execz .LBB60_147
.LBB60_1128:                            ;   in Loop: Header=BB60_3 Depth=1
	ds_load_b64 v[36:37], v60 offset:1600
	ds_load_b64 v[38:39], v55 offset:24
	s_wait_dscnt 0x0
	v_dual_mul_f32 v40, v39, v37 :: v_dual_mul_f32 v37, v38, v37
	s_delay_alu instid0(VALU_DEP_1) | instskip(NEXT) | instid1(VALU_DEP_1)
	v_dual_fma_f32 v38, v38, v36, -v40 :: v_dual_fmac_f32 v37, v39, v36
	v_dual_add_f32 v35, v35, v38 :: v_dual_add_f32 v34, v34, v37
	s_or_b32 exec_lo, exec_lo, s53
	s_and_saveexec_b32 s53, s21
	s_cbranch_execz .LBB60_148
.LBB60_1129:                            ;   in Loop: Header=BB60_3 Depth=1
	ds_load_b64 v[36:37], v59 offset:2112
	ds_load_b64 v[38:39], v55 offset:32
	s_wait_dscnt 0x0
	v_dual_mul_f32 v40, v39, v37 :: v_dual_mul_f32 v96, v38, v37
	s_delay_alu instid0(VALU_DEP_1) | instskip(NEXT) | instid1(VALU_DEP_2)
	v_fma_f32 v97, v38, v36, -v40
	v_fmac_f32_e32 v96, v39, v36
	s_delay_alu instid0(VALU_DEP_1)
	v_pk_add_f32 v[34:35], v[34:35], v[96:97]
	s_or_b32 exec_lo, exec_lo, s53
	s_and_saveexec_b32 s53, s22
	s_cbranch_execz .LBB60_149
.LBB60_1130:                            ;   in Loop: Header=BB60_3 Depth=1
	ds_load_b64 v[36:37], v60 offset:2624
	ds_load_b64 v[38:39], v55 offset:40
	s_wait_dscnt 0x0
	v_pk_mul_f32 v[96:97], v[38:39], v[36:37] op_sel:[0,1]
	s_delay_alu instid0(VALU_DEP_1) | instskip(SKIP_1) | instid1(VALU_DEP_2)
	v_pk_fma_f32 v[98:99], v[38:39], v[36:37], v[96:97] op_sel:[1,0,0] op_sel_hi:[0,0,1] neg_lo:[0,0,1] neg_hi:[0,0,1]
	v_pk_fma_f32 v[36:37], v[38:39], v[36:37], v[96:97] op_sel:[1,0,0] op_sel_hi:[0,1,1]
	v_mov_b32_e32 v37, v99
	s_delay_alu instid0(VALU_DEP_1)
	v_pk_add_f32 v[34:35], v[34:35], v[36:37]
	s_or_b32 exec_lo, exec_lo, s53
	s_and_saveexec_b32 s53, s2
	s_cbranch_execz .LBB60_150
.LBB60_1131:                            ;   in Loop: Header=BB60_3 Depth=1
	ds_load_b64 v[36:37], v59 offset:3136
	ds_load_b64 v[38:39], v55 offset:48
	s_wait_dscnt 0x0
	v_pk_mul_f32 v[96:97], v[38:39], v[36:37] op_sel:[0,1]
	s_delay_alu instid0(VALU_DEP_1) | instskip(SKIP_1) | instid1(VALU_DEP_2)
	v_pk_fma_f32 v[98:99], v[38:39], v[36:37], v[96:97] op_sel:[1,0,0] op_sel_hi:[0,0,1] neg_lo:[0,0,1] neg_hi:[0,0,1]
	v_pk_fma_f32 v[36:37], v[38:39], v[36:37], v[96:97] op_sel:[1,0,0] op_sel_hi:[0,1,1]
	v_mov_b32_e32 v37, v99
	s_delay_alu instid0(VALU_DEP_1)
	v_pk_add_f32 v[34:35], v[34:35], v[36:37]
	s_or_b32 exec_lo, exec_lo, s53
	s_and_saveexec_b32 s53, s17
	s_cbranch_execnz .LBB60_151
	s_branch .LBB60_152
.LBB60_1132:                            ;   in Loop: Header=BB60_3 Depth=1
	ds_load_b64 v[36:37], v50 offset:4704
	ds_load_b64 v[38:39], v45 offset:4168
	s_wait_dscnt 0x0
	v_pk_mul_f32 v[96:97], v[38:39], v[36:37] op_sel:[0,1]
	s_delay_alu instid0(VALU_DEP_1) | instskip(SKIP_1) | instid1(VALU_DEP_2)
	v_pk_fma_f32 v[98:99], v[38:39], v[36:37], v[96:97] op_sel:[1,0,0] op_sel_hi:[0,0,1] neg_lo:[0,0,1] neg_hi:[0,0,1]
	v_pk_fma_f32 v[36:37], v[38:39], v[36:37], v[96:97] op_sel:[1,0,0] op_sel_hi:[0,1,1]
	v_mov_b32_e32 v37, v99
	s_delay_alu instid0(VALU_DEP_1)
	v_pk_add_f32 v[34:35], v[34:35], v[36:37]
	s_or_b32 exec_lo, exec_lo, s53
	s_and_saveexec_b32 s53, s17
	s_cbranch_execz .LBB60_208
.LBB60_1133:                            ;   in Loop: Header=BB60_3 Depth=1
	ds_load_b64 v[36:37], v49 offset:5216
	ds_load_b64 v[38:39], v45 offset:4176
	s_wait_dscnt 0x0
	v_pk_mul_f32 v[96:97], v[38:39], v[36:37] op_sel:[0,1]
	s_delay_alu instid0(VALU_DEP_1) | instskip(SKIP_1) | instid1(VALU_DEP_2)
	v_pk_fma_f32 v[98:99], v[38:39], v[36:37], v[96:97] op_sel:[1,0,0] op_sel_hi:[0,0,1] neg_lo:[0,0,1] neg_hi:[0,0,1]
	v_pk_fma_f32 v[36:37], v[38:39], v[36:37], v[96:97] op_sel:[1,0,0] op_sel_hi:[0,1,1]
	v_mov_b32_e32 v37, v99
	s_delay_alu instid0(VALU_DEP_1)
	v_pk_add_f32 v[34:35], v[34:35], v[36:37]
	s_or_b32 exec_lo, exec_lo, s53
	s_and_saveexec_b32 s53, s0
	s_cbranch_execnz .LBB60_209
	s_branch .LBB60_210
.LBB60_1134:                            ;   in Loop: Header=BB60_3 Depth=1
	ds_load_b64 v[36:37], v65 offset:5760
	ds_load_b64 v[38:39], v61 offset:88
	s_wait_dscnt 0x0
	v_dual_mul_f32 v40, v39, v37 :: v_dual_mul_f32 v37, v38, v37
	s_delay_alu instid0(VALU_DEP_1) | instskip(NEXT) | instid1(VALU_DEP_1)
	v_dual_fma_f32 v38, v38, v36, -v40 :: v_dual_fmac_f32 v37, v39, v36
	v_dual_add_f32 v35, v35, v38 :: v_dual_add_f32 v34, v34, v37
	s_or_b32 exec_lo, exec_lo, s53
	s_and_saveexec_b32 s53, s3
	s_cbranch_execz .LBB60_270
.LBB60_1135:                            ;   in Loop: Header=BB60_3 Depth=1
	ds_load_b64 v[36:37], v64 offset:6272
	ds_load_b64 v[38:39], v61 offset:96
	s_wait_dscnt 0x0
	v_dual_mul_f32 v40, v39, v37 :: v_dual_mul_f32 v96, v38, v37
	s_delay_alu instid0(VALU_DEP_1) | instskip(NEXT) | instid1(VALU_DEP_2)
	v_fma_f32 v97, v38, v36, -v40
	v_fmac_f32_e32 v96, v39, v36
	s_delay_alu instid0(VALU_DEP_1)
	v_pk_add_f32 v[34:35], v[34:35], v[96:97]
	s_or_b32 exec_lo, exec_lo, s53
	s_and_saveexec_b32 s53, s19
	s_cbranch_execz .LBB60_271
.LBB60_1136:                            ;   in Loop: Header=BB60_3 Depth=1
	ds_load_b64 v[36:37], v65 offset:6784
	ds_load_b64 v[38:39], v61 offset:104
	s_wait_dscnt 0x0
	v_pk_mul_f32 v[96:97], v[38:39], v[36:37] op_sel:[0,1]
	s_delay_alu instid0(VALU_DEP_1) | instskip(SKIP_1) | instid1(VALU_DEP_2)
	v_pk_fma_f32 v[98:99], v[38:39], v[36:37], v[96:97] op_sel:[1,0,0] op_sel_hi:[0,0,1] neg_lo:[0,0,1] neg_hi:[0,0,1]
	v_pk_fma_f32 v[36:37], v[38:39], v[36:37], v[96:97] op_sel:[1,0,0] op_sel_hi:[0,1,1]
	v_mov_b32_e32 v37, v99
	s_delay_alu instid0(VALU_DEP_1)
	v_pk_add_f32 v[34:35], v[34:35], v[36:37]
	s_or_b32 exec_lo, exec_lo, s53
	s_and_saveexec_b32 s53, s21
	s_cbranch_execz .LBB60_272
.LBB60_1137:                            ;   in Loop: Header=BB60_3 Depth=1
	ds_load_b64 v[36:37], v64 offset:7296
	ds_load_b64 v[38:39], v61 offset:112
	s_wait_dscnt 0x0
	v_pk_mul_f32 v[96:97], v[38:39], v[36:37] op_sel:[0,1]
	s_delay_alu instid0(VALU_DEP_1) | instskip(SKIP_1) | instid1(VALU_DEP_2)
	v_pk_fma_f32 v[98:99], v[38:39], v[36:37], v[96:97] op_sel:[1,0,0] op_sel_hi:[0,0,1] neg_lo:[0,0,1] neg_hi:[0,0,1]
	v_pk_fma_f32 v[36:37], v[38:39], v[36:37], v[96:97] op_sel:[1,0,0] op_sel_hi:[0,1,1]
	v_mov_b32_e32 v37, v99
	s_delay_alu instid0(VALU_DEP_1)
	v_pk_add_f32 v[34:35], v[34:35], v[36:37]
	s_or_b32 exec_lo, exec_lo, s53
	s_and_saveexec_b32 s53, s2
	s_cbranch_execnz .LBB60_273
	s_branch .LBB60_274
.LBB60_1138:                            ;   in Loop: Header=BB60_3 Depth=1
	ds_load_b64 v[36:37], v50 offset:8864
	ds_load_b64 v[38:39], v45 offset:8328
	s_wait_dscnt 0x0
	v_pk_mul_f32 v[96:97], v[38:39], v[36:37] op_sel:[0,1]
	s_delay_alu instid0(VALU_DEP_1) | instskip(SKIP_1) | instid1(VALU_DEP_2)
	v_pk_fma_f32 v[98:99], v[38:39], v[36:37], v[96:97] op_sel:[1,0,0] op_sel_hi:[0,0,1] neg_lo:[0,0,1] neg_hi:[0,0,1]
	v_pk_fma_f32 v[36:37], v[38:39], v[36:37], v[96:97] op_sel:[1,0,0] op_sel_hi:[0,1,1]
	v_mov_b32_e32 v37, v99
	s_delay_alu instid0(VALU_DEP_1)
	v_pk_add_f32 v[34:35], v[34:35], v[36:37]
	s_or_b32 exec_lo, exec_lo, s53
	s_and_saveexec_b32 s53, s17
	s_cbranch_execz .LBB60_362
.LBB60_1139:                            ;   in Loop: Header=BB60_3 Depth=1
	ds_load_b64 v[36:37], v49 offset:9376
	ds_load_b64 v[38:39], v45 offset:8336
	s_wait_dscnt 0x0
	v_pk_mul_f32 v[96:97], v[38:39], v[36:37] op_sel:[0,1]
	s_delay_alu instid0(VALU_DEP_1) | instskip(SKIP_1) | instid1(VALU_DEP_2)
	v_pk_fma_f32 v[98:99], v[38:39], v[36:37], v[96:97] op_sel:[1,0,0] op_sel_hi:[0,0,1] neg_lo:[0,0,1] neg_hi:[0,0,1]
	v_pk_fma_f32 v[36:37], v[38:39], v[36:37], v[96:97] op_sel:[1,0,0] op_sel_hi:[0,1,1]
	v_mov_b32_e32 v37, v99
	s_delay_alu instid0(VALU_DEP_1)
	v_pk_add_f32 v[34:35], v[34:35], v[36:37]
	s_or_b32 exec_lo, exec_lo, s53
	s_and_saveexec_b32 s53, s0
	s_cbranch_execnz .LBB60_363
	s_branch .LBB60_364
.LBB60_1140:                            ;   in Loop: Header=BB60_3 Depth=1
	ds_load_b64 v[36:37], v60 offset:8896
	ds_load_b64 v[38:39], v55 offset:8328
	s_wait_dscnt 0x0
	v_dual_mul_f32 v40, v39, v37 :: v_dual_mul_f32 v37, v38, v37
	s_delay_alu instid0(VALU_DEP_1) | instskip(NEXT) | instid1(VALU_DEP_1)
	v_dual_fma_f32 v38, v38, v36, -v40 :: v_dual_fmac_f32 v37, v39, v36
	v_dual_add_f32 v35, v35, v38 :: v_dual_add_f32 v34, v34, v37
	s_or_b32 exec_lo, exec_lo, s53
	s_and_saveexec_b32 s53, s19
	s_cbranch_execz .LBB60_404
.LBB60_1141:                            ;   in Loop: Header=BB60_3 Depth=1
	ds_load_b64 v[36:37], v60 offset:9408
	ds_load_b64 v[38:39], v55 offset:8336
	s_wait_dscnt 0x0
	v_dual_mul_f32 v40, v39, v37 :: v_dual_mul_f32 v37, v38, v37
	s_delay_alu instid0(VALU_DEP_1) | instskip(NEXT) | instid1(VALU_DEP_1)
	v_dual_fma_f32 v38, v38, v36, -v40 :: v_dual_fmac_f32 v37, v39, v36
	v_dual_add_f32 v35, v35, v38 :: v_dual_add_f32 v34, v34, v37
	s_or_b32 exec_lo, exec_lo, s53
	s_and_saveexec_b32 s53, s20
	s_cbranch_execz .LBB60_405
.LBB60_1142:                            ;   in Loop: Header=BB60_3 Depth=1
	ds_load_b64 v[36:37], v60 offset:9920
	ds_load_b64 v[38:39], v55 offset:8344
	s_wait_dscnt 0x0
	v_dual_mul_f32 v40, v39, v37 :: v_dual_mul_f32 v37, v38, v37
	s_delay_alu instid0(VALU_DEP_1) | instskip(NEXT) | instid1(VALU_DEP_1)
	v_dual_fma_f32 v38, v38, v36, -v40 :: v_dual_fmac_f32 v37, v39, v36
	v_dual_add_f32 v35, v35, v38 :: v_dual_add_f32 v34, v34, v37
	s_or_b32 exec_lo, exec_lo, s53
	s_and_saveexec_b32 s53, s21
	s_cbranch_execz .LBB60_406
.LBB60_1143:                            ;   in Loop: Header=BB60_3 Depth=1
	ds_load_b64 v[36:37], v59 offset:10432
	ds_load_b64 v[38:39], v55 offset:8352
	s_wait_dscnt 0x0
	v_dual_mul_f32 v40, v39, v37 :: v_dual_mul_f32 v96, v38, v37
	s_delay_alu instid0(VALU_DEP_1) | instskip(NEXT) | instid1(VALU_DEP_2)
	v_fma_f32 v97, v38, v36, -v40
	v_fmac_f32_e32 v96, v39, v36
	s_delay_alu instid0(VALU_DEP_1)
	v_pk_add_f32 v[34:35], v[34:35], v[96:97]
	s_or_b32 exec_lo, exec_lo, s53
	s_and_saveexec_b32 s53, s22
	s_cbranch_execz .LBB60_407
.LBB60_1144:                            ;   in Loop: Header=BB60_3 Depth=1
	ds_load_b64 v[36:37], v60 offset:10944
	ds_load_b64 v[38:39], v55 offset:8360
	s_wait_dscnt 0x0
	v_pk_mul_f32 v[96:97], v[38:39], v[36:37] op_sel:[0,1]
	s_delay_alu instid0(VALU_DEP_1) | instskip(SKIP_1) | instid1(VALU_DEP_2)
	v_pk_fma_f32 v[98:99], v[38:39], v[36:37], v[96:97] op_sel:[1,0,0] op_sel_hi:[0,0,1] neg_lo:[0,0,1] neg_hi:[0,0,1]
	v_pk_fma_f32 v[36:37], v[38:39], v[36:37], v[96:97] op_sel:[1,0,0] op_sel_hi:[0,1,1]
	v_mov_b32_e32 v37, v99
	s_delay_alu instid0(VALU_DEP_1)
	v_pk_add_f32 v[34:35], v[34:35], v[36:37]
	s_or_b32 exec_lo, exec_lo, s53
	s_and_saveexec_b32 s53, s2
	s_cbranch_execz .LBB60_408
.LBB60_1145:                            ;   in Loop: Header=BB60_3 Depth=1
	ds_load_b64 v[36:37], v59 offset:11456
	ds_load_b64 v[38:39], v55 offset:8368
	s_wait_dscnt 0x0
	v_pk_mul_f32 v[96:97], v[38:39], v[36:37] op_sel:[0,1]
	s_delay_alu instid0(VALU_DEP_1) | instskip(SKIP_1) | instid1(VALU_DEP_2)
	v_pk_fma_f32 v[98:99], v[38:39], v[36:37], v[96:97] op_sel:[1,0,0] op_sel_hi:[0,0,1] neg_lo:[0,0,1] neg_hi:[0,0,1]
	v_pk_fma_f32 v[36:37], v[38:39], v[36:37], v[96:97] op_sel:[1,0,0] op_sel_hi:[0,1,1]
	v_mov_b32_e32 v37, v99
	s_delay_alu instid0(VALU_DEP_1)
	v_pk_add_f32 v[34:35], v[34:35], v[36:37]
	s_or_b32 exec_lo, exec_lo, s53
	s_and_saveexec_b32 s53, s17
	s_cbranch_execnz .LBB60_409
	s_branch .LBB60_410
.LBB60_1146:                            ;   in Loop: Header=BB60_3 Depth=1
	ds_load_b64 v[36:37], v50 offset:13024
	ds_load_b64 v[38:39], v45 offset:12488
	s_wait_dscnt 0x0
	v_pk_mul_f32 v[96:97], v[38:39], v[36:37] op_sel:[0,1]
	s_delay_alu instid0(VALU_DEP_1) | instskip(SKIP_1) | instid1(VALU_DEP_2)
	v_pk_fma_f32 v[98:99], v[38:39], v[36:37], v[96:97] op_sel:[1,0,0] op_sel_hi:[0,0,1] neg_lo:[0,0,1] neg_hi:[0,0,1]
	v_pk_fma_f32 v[36:37], v[38:39], v[36:37], v[96:97] op_sel:[1,0,0] op_sel_hi:[0,1,1]
	v_mov_b32_e32 v37, v99
	s_delay_alu instid0(VALU_DEP_1)
	v_pk_add_f32 v[34:35], v[34:35], v[36:37]
	s_or_b32 exec_lo, exec_lo, s53
	s_and_saveexec_b32 s53, s17
	s_cbranch_execz .LBB60_466
.LBB60_1147:                            ;   in Loop: Header=BB60_3 Depth=1
	ds_load_b64 v[36:37], v49 offset:13536
	ds_load_b64 v[38:39], v45 offset:12496
	s_wait_dscnt 0x0
	v_pk_mul_f32 v[96:97], v[38:39], v[36:37] op_sel:[0,1]
	s_delay_alu instid0(VALU_DEP_1) | instskip(SKIP_1) | instid1(VALU_DEP_2)
	v_pk_fma_f32 v[98:99], v[38:39], v[36:37], v[96:97] op_sel:[1,0,0] op_sel_hi:[0,0,1] neg_lo:[0,0,1] neg_hi:[0,0,1]
	v_pk_fma_f32 v[36:37], v[38:39], v[36:37], v[96:97] op_sel:[1,0,0] op_sel_hi:[0,1,1]
	v_mov_b32_e32 v37, v99
	s_delay_alu instid0(VALU_DEP_1)
	v_pk_add_f32 v[34:35], v[34:35], v[36:37]
	s_or_b32 exec_lo, exec_lo, s53
	s_and_saveexec_b32 s53, s0
	s_cbranch_execnz .LBB60_467
	s_branch .LBB60_468
.LBB60_1148:                            ;   in Loop: Header=BB60_3 Depth=1
	ds_load_b64 v[38:39], v37 offset:15104
	ds_load_b64 v[96:97], v36 offset:232
	s_wait_dscnt 0x0
	v_pk_mul_f32 v[98:99], v[96:97], v[38:39] op_sel:[1,1] op_sel_hi:[0,1]
	s_delay_alu instid0(VALU_DEP_1) | instskip(SKIP_1) | instid1(VALU_DEP_2)
	v_pk_fma_f32 v[100:101], v[96:97], v[38:39], v[98:99] op_sel_hi:[1,0,1]
	v_pk_fma_f32 v[38:39], v[96:97], v[38:39], v[98:99] neg_lo:[0,0,1] neg_hi:[0,0,1]
	v_mov_b32_e32 v39, v101
	s_delay_alu instid0(VALU_DEP_1)
	v_pk_add_f32 v[34:35], v[34:35], v[38:39]
	s_or_b32 exec_lo, exec_lo, s53
	s_and_saveexec_b32 s53, s3
	s_cbranch_execz .LBB60_564
.LBB60_1149:                            ;   in Loop: Header=BB60_3 Depth=1
	ds_load_b64 v[38:39], v37 offset:15616
	ds_load_b64 v[96:97], v36 offset:240
	s_wait_dscnt 0x0
	v_pk_mul_f32 v[98:99], v[96:97], v[38:39] op_sel:[1,1] op_sel_hi:[0,1]
	s_delay_alu instid0(VALU_DEP_1) | instskip(SKIP_1) | instid1(VALU_DEP_2)
	v_pk_fma_f32 v[100:101], v[96:97], v[38:39], v[98:99] op_sel_hi:[1,0,1]
	v_pk_fma_f32 v[38:39], v[96:97], v[38:39], v[98:99] neg_lo:[0,0,1] neg_hi:[0,0,1]
	v_mov_b32_e32 v39, v101
	s_delay_alu instid0(VALU_DEP_1)
	v_pk_add_f32 v[34:35], v[34:35], v[38:39]
	s_or_b32 exec_lo, exec_lo, s53
	s_and_saveexec_b32 s53, s21
	s_cbranch_execnz .LBB60_565
	s_branch .LBB60_566
.LBB60_1150:                            ;   in Loop: Header=BB60_3 Depth=1
	ds_load_b64 v[36:37], v50 offset:17184
	ds_load_b64 v[38:39], v45 offset:16648
	s_wait_dscnt 0x0
	v_pk_mul_f32 v[96:97], v[38:39], v[36:37] op_sel:[0,1]
	s_delay_alu instid0(VALU_DEP_1) | instskip(SKIP_1) | instid1(VALU_DEP_2)
	v_pk_fma_f32 v[98:99], v[38:39], v[36:37], v[96:97] op_sel:[1,0,0] op_sel_hi:[0,0,1] neg_lo:[0,0,1] neg_hi:[0,0,1]
	v_pk_fma_f32 v[36:37], v[38:39], v[36:37], v[96:97] op_sel:[1,0,0] op_sel_hi:[0,1,1]
	v_mov_b32_e32 v37, v99
	s_delay_alu instid0(VALU_DEP_1)
	v_pk_add_f32 v[34:35], v[34:35], v[36:37]
	s_or_b32 exec_lo, exec_lo, s53
	s_and_saveexec_b32 s53, s17
	s_cbranch_execz .LBB60_602
.LBB60_1151:                            ;   in Loop: Header=BB60_3 Depth=1
	ds_load_b64 v[36:37], v49 offset:17696
	ds_load_b64 v[38:39], v45 offset:16656
	s_wait_dscnt 0x0
	v_pk_mul_f32 v[96:97], v[38:39], v[36:37] op_sel:[0,1]
	s_delay_alu instid0(VALU_DEP_1) | instskip(SKIP_1) | instid1(VALU_DEP_2)
	v_pk_fma_f32 v[98:99], v[38:39], v[36:37], v[96:97] op_sel:[1,0,0] op_sel_hi:[0,0,1] neg_lo:[0,0,1] neg_hi:[0,0,1]
	v_pk_fma_f32 v[36:37], v[38:39], v[36:37], v[96:97] op_sel:[1,0,0] op_sel_hi:[0,1,1]
	v_mov_b32_e32 v37, v99
	s_delay_alu instid0(VALU_DEP_1)
	v_pk_add_f32 v[34:35], v[34:35], v[36:37]
	s_or_b32 exec_lo, exec_lo, s53
	s_and_saveexec_b32 s53, s0
	s_cbranch_execnz .LBB60_603
	s_branch .LBB60_604
.LBB60_1152:                            ;   in Loop: Header=BB60_3 Depth=1
	ds_load_b64 v[36:37], v60 offset:17216
	ds_load_b64 v[38:39], v55 offset:16648
	s_wait_dscnt 0x0
	v_dual_mul_f32 v40, v39, v37 :: v_dual_mul_f32 v37, v38, v37
	s_delay_alu instid0(VALU_DEP_1) | instskip(NEXT) | instid1(VALU_DEP_1)
	v_dual_fma_f32 v38, v38, v36, -v40 :: v_dual_fmac_f32 v37, v39, v36
	v_dual_add_f32 v35, v35, v38 :: v_dual_add_f32 v34, v34, v37
	s_or_b32 exec_lo, exec_lo, s53
	s_and_saveexec_b32 s53, s19
	s_cbranch_execz .LBB60_644
.LBB60_1153:                            ;   in Loop: Header=BB60_3 Depth=1
	ds_load_b64 v[36:37], v60 offset:17728
	ds_load_b64 v[38:39], v55 offset:16656
	s_wait_dscnt 0x0
	v_dual_mul_f32 v40, v39, v37 :: v_dual_mul_f32 v37, v38, v37
	s_delay_alu instid0(VALU_DEP_1) | instskip(NEXT) | instid1(VALU_DEP_1)
	v_dual_fma_f32 v38, v38, v36, -v40 :: v_dual_fmac_f32 v37, v39, v36
	v_dual_add_f32 v35, v35, v38 :: v_dual_add_f32 v34, v34, v37
	s_or_b32 exec_lo, exec_lo, s53
	s_and_saveexec_b32 s53, s20
	s_cbranch_execz .LBB60_645
.LBB60_1154:                            ;   in Loop: Header=BB60_3 Depth=1
	ds_load_b64 v[36:37], v60 offset:18240
	ds_load_b64 v[38:39], v55 offset:16664
	s_wait_dscnt 0x0
	v_dual_mul_f32 v40, v39, v37 :: v_dual_mul_f32 v37, v38, v37
	s_delay_alu instid0(VALU_DEP_1) | instskip(NEXT) | instid1(VALU_DEP_1)
	v_dual_fma_f32 v38, v38, v36, -v40 :: v_dual_fmac_f32 v37, v39, v36
	v_dual_add_f32 v35, v35, v38 :: v_dual_add_f32 v34, v34, v37
	s_or_b32 exec_lo, exec_lo, s53
	s_and_saveexec_b32 s53, s21
	s_cbranch_execz .LBB60_646
.LBB60_1155:                            ;   in Loop: Header=BB60_3 Depth=1
	ds_load_b64 v[36:37], v59 offset:18752
	ds_load_b64 v[38:39], v55 offset:16672
	s_wait_dscnt 0x0
	v_dual_mul_f32 v40, v39, v37 :: v_dual_mul_f32 v96, v38, v37
	s_delay_alu instid0(VALU_DEP_1) | instskip(NEXT) | instid1(VALU_DEP_2)
	v_fma_f32 v97, v38, v36, -v40
	v_fmac_f32_e32 v96, v39, v36
	s_delay_alu instid0(VALU_DEP_1)
	v_pk_add_f32 v[34:35], v[34:35], v[96:97]
	s_or_b32 exec_lo, exec_lo, s53
	s_and_saveexec_b32 s53, s22
	s_cbranch_execz .LBB60_647
.LBB60_1156:                            ;   in Loop: Header=BB60_3 Depth=1
	ds_load_b64 v[36:37], v60 offset:19264
	ds_load_b64 v[38:39], v55 offset:16680
	s_wait_dscnt 0x0
	v_pk_mul_f32 v[96:97], v[38:39], v[36:37] op_sel:[0,1]
	s_delay_alu instid0(VALU_DEP_1) | instskip(SKIP_1) | instid1(VALU_DEP_2)
	v_pk_fma_f32 v[98:99], v[38:39], v[36:37], v[96:97] op_sel:[1,0,0] op_sel_hi:[0,0,1] neg_lo:[0,0,1] neg_hi:[0,0,1]
	v_pk_fma_f32 v[36:37], v[38:39], v[36:37], v[96:97] op_sel:[1,0,0] op_sel_hi:[0,1,1]
	v_mov_b32_e32 v37, v99
	s_delay_alu instid0(VALU_DEP_1)
	v_pk_add_f32 v[34:35], v[34:35], v[36:37]
	s_or_b32 exec_lo, exec_lo, s53
	s_and_saveexec_b32 s53, s2
	s_cbranch_execz .LBB60_648
.LBB60_1157:                            ;   in Loop: Header=BB60_3 Depth=1
	ds_load_b64 v[36:37], v59 offset:19776
	ds_load_b64 v[38:39], v55 offset:16688
	s_wait_dscnt 0x0
	v_pk_mul_f32 v[96:97], v[38:39], v[36:37] op_sel:[0,1]
	s_delay_alu instid0(VALU_DEP_1) | instskip(SKIP_1) | instid1(VALU_DEP_2)
	v_pk_fma_f32 v[98:99], v[38:39], v[36:37], v[96:97] op_sel:[1,0,0] op_sel_hi:[0,0,1] neg_lo:[0,0,1] neg_hi:[0,0,1]
	v_pk_fma_f32 v[36:37], v[38:39], v[36:37], v[96:97] op_sel:[1,0,0] op_sel_hi:[0,1,1]
	v_mov_b32_e32 v37, v99
	s_delay_alu instid0(VALU_DEP_1)
	v_pk_add_f32 v[34:35], v[34:35], v[36:37]
	s_or_b32 exec_lo, exec_lo, s53
	s_and_saveexec_b32 s53, s17
	s_cbranch_execnz .LBB60_649
	s_branch .LBB60_650
.LBB60_1158:                            ;   in Loop: Header=BB60_3 Depth=1
	ds_load_b64 v[36:37], v50 offset:21344
	ds_load_b64 v[38:39], v45 offset:20808
	s_wait_dscnt 0x0
	v_pk_mul_f32 v[96:97], v[38:39], v[36:37] op_sel:[0,1]
	s_delay_alu instid0(VALU_DEP_1) | instskip(SKIP_1) | instid1(VALU_DEP_2)
	v_pk_fma_f32 v[98:99], v[38:39], v[36:37], v[96:97] op_sel:[1,0,0] op_sel_hi:[0,0,1] neg_lo:[0,0,1] neg_hi:[0,0,1]
	v_pk_fma_f32 v[36:37], v[38:39], v[36:37], v[96:97] op_sel:[1,0,0] op_sel_hi:[0,1,1]
	v_mov_b32_e32 v37, v99
	s_delay_alu instid0(VALU_DEP_1)
	v_pk_add_f32 v[34:35], v[34:35], v[36:37]
	s_or_b32 exec_lo, exec_lo, s53
	s_and_saveexec_b32 s53, s17
	s_cbranch_execz .LBB60_706
.LBB60_1159:                            ;   in Loop: Header=BB60_3 Depth=1
	ds_load_b64 v[36:37], v49 offset:21856
	ds_load_b64 v[38:39], v45 offset:20816
	s_wait_dscnt 0x0
	v_pk_mul_f32 v[96:97], v[38:39], v[36:37] op_sel:[0,1]
	s_delay_alu instid0(VALU_DEP_1) | instskip(SKIP_1) | instid1(VALU_DEP_2)
	v_pk_fma_f32 v[98:99], v[38:39], v[36:37], v[96:97] op_sel:[1,0,0] op_sel_hi:[0,0,1] neg_lo:[0,0,1] neg_hi:[0,0,1]
	v_pk_fma_f32 v[36:37], v[38:39], v[36:37], v[96:97] op_sel:[1,0,0] op_sel_hi:[0,1,1]
	v_mov_b32_e32 v37, v99
	s_delay_alu instid0(VALU_DEP_1)
	v_pk_add_f32 v[34:35], v[34:35], v[36:37]
	s_or_b32 exec_lo, exec_lo, s53
	s_and_saveexec_b32 s53, s0
	s_cbranch_execnz .LBB60_707
	s_branch .LBB60_708
.LBB60_1160:                            ;   in Loop: Header=BB60_3 Depth=1
	ds_load_b64 v[36:37], v65 offset:22400
	ds_load_b64 v[38:39], v61 offset:16728
	s_wait_dscnt 0x0
	v_dual_mul_f32 v40, v39, v37 :: v_dual_mul_f32 v37, v38, v37
	s_delay_alu instid0(VALU_DEP_1) | instskip(NEXT) | instid1(VALU_DEP_1)
	v_dual_fma_f32 v38, v38, v36, -v40 :: v_dual_fmac_f32 v37, v39, v36
	v_dual_add_f32 v35, v35, v38 :: v_dual_add_f32 v34, v34, v37
	s_or_b32 exec_lo, exec_lo, s53
	s_and_saveexec_b32 s53, s3
	s_cbranch_execz .LBB60_768
.LBB60_1161:                            ;   in Loop: Header=BB60_3 Depth=1
	ds_load_b64 v[36:37], v64 offset:22912
	ds_load_b64 v[38:39], v61 offset:16736
	s_wait_dscnt 0x0
	v_dual_mul_f32 v40, v39, v37 :: v_dual_mul_f32 v96, v38, v37
	s_delay_alu instid0(VALU_DEP_1) | instskip(NEXT) | instid1(VALU_DEP_2)
	v_fma_f32 v97, v38, v36, -v40
	v_fmac_f32_e32 v96, v39, v36
	s_delay_alu instid0(VALU_DEP_1)
	v_pk_add_f32 v[34:35], v[34:35], v[96:97]
	s_or_b32 exec_lo, exec_lo, s53
	s_and_saveexec_b32 s53, s19
	s_cbranch_execz .LBB60_769
.LBB60_1162:                            ;   in Loop: Header=BB60_3 Depth=1
	ds_load_b64 v[36:37], v65 offset:23424
	ds_load_b64 v[38:39], v61 offset:16744
	s_wait_dscnt 0x0
	v_pk_mul_f32 v[96:97], v[38:39], v[36:37] op_sel:[0,1]
	s_delay_alu instid0(VALU_DEP_1) | instskip(SKIP_1) | instid1(VALU_DEP_2)
	v_pk_fma_f32 v[98:99], v[38:39], v[36:37], v[96:97] op_sel:[1,0,0] op_sel_hi:[0,0,1] neg_lo:[0,0,1] neg_hi:[0,0,1]
	v_pk_fma_f32 v[36:37], v[38:39], v[36:37], v[96:97] op_sel:[1,0,0] op_sel_hi:[0,1,1]
	v_mov_b32_e32 v37, v99
	s_delay_alu instid0(VALU_DEP_1)
	v_pk_add_f32 v[34:35], v[34:35], v[36:37]
	s_or_b32 exec_lo, exec_lo, s53
	s_and_saveexec_b32 s53, s21
	s_cbranch_execz .LBB60_770
.LBB60_1163:                            ;   in Loop: Header=BB60_3 Depth=1
	ds_load_b64 v[36:37], v64 offset:23936
	ds_load_b64 v[38:39], v61 offset:16752
	s_wait_dscnt 0x0
	v_pk_mul_f32 v[96:97], v[38:39], v[36:37] op_sel:[0,1]
	s_delay_alu instid0(VALU_DEP_1) | instskip(SKIP_1) | instid1(VALU_DEP_2)
	v_pk_fma_f32 v[98:99], v[38:39], v[36:37], v[96:97] op_sel:[1,0,0] op_sel_hi:[0,0,1] neg_lo:[0,0,1] neg_hi:[0,0,1]
	v_pk_fma_f32 v[36:37], v[38:39], v[36:37], v[96:97] op_sel:[1,0,0] op_sel_hi:[0,1,1]
	v_mov_b32_e32 v37, v99
	s_delay_alu instid0(VALU_DEP_1)
	v_pk_add_f32 v[34:35], v[34:35], v[36:37]
	s_or_b32 exec_lo, exec_lo, s53
	s_and_saveexec_b32 s53, s2
	s_cbranch_execnz .LBB60_771
	s_branch .LBB60_772
.LBB60_1164:                            ;   in Loop: Header=BB60_3 Depth=1
	ds_load_b64 v[36:37], v50 offset:25504
	ds_load_b64 v[38:39], v45 offset:24968
	s_wait_dscnt 0x0
	v_pk_mul_f32 v[96:97], v[38:39], v[36:37] op_sel:[0,1]
	s_delay_alu instid0(VALU_DEP_1) | instskip(SKIP_1) | instid1(VALU_DEP_2)
	v_pk_fma_f32 v[98:99], v[38:39], v[36:37], v[96:97] op_sel:[1,0,0] op_sel_hi:[0,0,1] neg_lo:[0,0,1] neg_hi:[0,0,1]
	v_pk_fma_f32 v[36:37], v[38:39], v[36:37], v[96:97] op_sel:[1,0,0] op_sel_hi:[0,1,1]
	v_mov_b32_e32 v37, v99
	s_delay_alu instid0(VALU_DEP_1)
	v_pk_add_f32 v[34:35], v[34:35], v[36:37]
	s_or_b32 exec_lo, exec_lo, s53
	s_and_saveexec_b32 s53, s17
	s_cbranch_execz .LBB60_860
.LBB60_1165:                            ;   in Loop: Header=BB60_3 Depth=1
	ds_load_b64 v[36:37], v49 offset:26016
	ds_load_b64 v[38:39], v45 offset:24976
	s_wait_dscnt 0x0
	v_pk_mul_f32 v[96:97], v[38:39], v[36:37] op_sel:[0,1]
	s_delay_alu instid0(VALU_DEP_1) | instskip(SKIP_1) | instid1(VALU_DEP_2)
	v_pk_fma_f32 v[98:99], v[38:39], v[36:37], v[96:97] op_sel:[1,0,0] op_sel_hi:[0,0,1] neg_lo:[0,0,1] neg_hi:[0,0,1]
	v_pk_fma_f32 v[36:37], v[38:39], v[36:37], v[96:97] op_sel:[1,0,0] op_sel_hi:[0,1,1]
	v_mov_b32_e32 v37, v99
	s_delay_alu instid0(VALU_DEP_1)
	v_pk_add_f32 v[34:35], v[34:35], v[36:37]
	s_or_b32 exec_lo, exec_lo, s53
	s_and_saveexec_b32 s53, s0
	s_cbranch_execnz .LBB60_861
	s_branch .LBB60_862
.LBB60_1166:                            ;   in Loop: Header=BB60_3 Depth=1
	ds_load_b64 v[36:37], v60 offset:25536
	ds_load_b64 v[38:39], v55 offset:24968
	s_wait_dscnt 0x0
	v_dual_mul_f32 v40, v39, v37 :: v_dual_mul_f32 v37, v38, v37
	s_delay_alu instid0(VALU_DEP_1) | instskip(NEXT) | instid1(VALU_DEP_1)
	v_dual_fma_f32 v38, v38, v36, -v40 :: v_dual_fmac_f32 v37, v39, v36
	v_dual_add_f32 v35, v35, v38 :: v_dual_add_f32 v34, v34, v37
	s_or_b32 exec_lo, exec_lo, s53
	s_and_saveexec_b32 s53, s19
	s_cbranch_execz .LBB60_902
.LBB60_1167:                            ;   in Loop: Header=BB60_3 Depth=1
	ds_load_b64 v[36:37], v60 offset:26048
	ds_load_b64 v[38:39], v55 offset:24976
	s_wait_dscnt 0x0
	v_dual_mul_f32 v40, v39, v37 :: v_dual_mul_f32 v37, v38, v37
	s_delay_alu instid0(VALU_DEP_1) | instskip(NEXT) | instid1(VALU_DEP_1)
	v_dual_fma_f32 v38, v38, v36, -v40 :: v_dual_fmac_f32 v37, v39, v36
	v_dual_add_f32 v35, v35, v38 :: v_dual_add_f32 v34, v34, v37
	s_or_b32 exec_lo, exec_lo, s53
	s_and_saveexec_b32 s53, s20
	s_cbranch_execz .LBB60_903
.LBB60_1168:                            ;   in Loop: Header=BB60_3 Depth=1
	ds_load_b64 v[36:37], v60 offset:26560
	ds_load_b64 v[38:39], v55 offset:24984
	s_wait_dscnt 0x0
	v_dual_mul_f32 v40, v39, v37 :: v_dual_mul_f32 v37, v38, v37
	s_delay_alu instid0(VALU_DEP_1) | instskip(NEXT) | instid1(VALU_DEP_1)
	v_dual_fma_f32 v38, v38, v36, -v40 :: v_dual_fmac_f32 v37, v39, v36
	v_dual_add_f32 v35, v35, v38 :: v_dual_add_f32 v34, v34, v37
	s_or_b32 exec_lo, exec_lo, s53
	s_and_saveexec_b32 s53, s21
	s_cbranch_execz .LBB60_904
.LBB60_1169:                            ;   in Loop: Header=BB60_3 Depth=1
	ds_load_b64 v[36:37], v59 offset:27072
	ds_load_b64 v[38:39], v55 offset:24992
	s_wait_dscnt 0x0
	v_dual_mul_f32 v40, v39, v37 :: v_dual_mul_f32 v96, v38, v37
	s_delay_alu instid0(VALU_DEP_1) | instskip(NEXT) | instid1(VALU_DEP_2)
	v_fma_f32 v97, v38, v36, -v40
	v_fmac_f32_e32 v96, v39, v36
	s_delay_alu instid0(VALU_DEP_1)
	v_pk_add_f32 v[34:35], v[34:35], v[96:97]
	s_or_b32 exec_lo, exec_lo, s53
	s_and_saveexec_b32 s53, s22
	s_cbranch_execz .LBB60_905
.LBB60_1170:                            ;   in Loop: Header=BB60_3 Depth=1
	ds_load_b64 v[36:37], v60 offset:27584
	ds_load_b64 v[38:39], v55 offset:25000
	s_wait_dscnt 0x0
	v_pk_mul_f32 v[96:97], v[38:39], v[36:37] op_sel:[0,1]
	s_delay_alu instid0(VALU_DEP_1) | instskip(SKIP_1) | instid1(VALU_DEP_2)
	v_pk_fma_f32 v[98:99], v[38:39], v[36:37], v[96:97] op_sel:[1,0,0] op_sel_hi:[0,0,1] neg_lo:[0,0,1] neg_hi:[0,0,1]
	v_pk_fma_f32 v[36:37], v[38:39], v[36:37], v[96:97] op_sel:[1,0,0] op_sel_hi:[0,1,1]
	v_mov_b32_e32 v37, v99
	s_delay_alu instid0(VALU_DEP_1)
	v_pk_add_f32 v[34:35], v[34:35], v[36:37]
	s_or_b32 exec_lo, exec_lo, s53
	s_and_saveexec_b32 s53, s2
	s_cbranch_execz .LBB60_906
.LBB60_1171:                            ;   in Loop: Header=BB60_3 Depth=1
	ds_load_b64 v[36:37], v59 offset:28096
	ds_load_b64 v[38:39], v55 offset:25008
	s_wait_dscnt 0x0
	v_pk_mul_f32 v[96:97], v[38:39], v[36:37] op_sel:[0,1]
	s_delay_alu instid0(VALU_DEP_1) | instskip(SKIP_1) | instid1(VALU_DEP_2)
	v_pk_fma_f32 v[98:99], v[38:39], v[36:37], v[96:97] op_sel:[1,0,0] op_sel_hi:[0,0,1] neg_lo:[0,0,1] neg_hi:[0,0,1]
	v_pk_fma_f32 v[36:37], v[38:39], v[36:37], v[96:97] op_sel:[1,0,0] op_sel_hi:[0,1,1]
	v_mov_b32_e32 v37, v99
	s_delay_alu instid0(VALU_DEP_1)
	v_pk_add_f32 v[34:35], v[34:35], v[36:37]
	s_or_b32 exec_lo, exec_lo, s53
	s_and_saveexec_b32 s53, s17
	s_cbranch_execnz .LBB60_907
	s_branch .LBB60_908
.LBB60_1172:                            ;   in Loop: Header=BB60_3 Depth=1
	ds_load_b64 v[36:37], v50 offset:29664
	ds_load_b64 v[38:39], v45 offset:29128
	s_wait_dscnt 0x0
	v_pk_mul_f32 v[96:97], v[38:39], v[36:37] op_sel:[0,1]
	s_delay_alu instid0(VALU_DEP_1) | instskip(SKIP_1) | instid1(VALU_DEP_2)
	v_pk_fma_f32 v[98:99], v[38:39], v[36:37], v[96:97] op_sel:[1,0,0] op_sel_hi:[0,0,1] neg_lo:[0,0,1] neg_hi:[0,0,1]
	v_pk_fma_f32 v[36:37], v[38:39], v[36:37], v[96:97] op_sel:[1,0,0] op_sel_hi:[0,1,1]
	v_mov_b32_e32 v37, v99
	s_delay_alu instid0(VALU_DEP_1)
	v_pk_add_f32 v[34:35], v[34:35], v[36:37]
	s_or_b32 exec_lo, exec_lo, s53
	s_and_saveexec_b32 s53, s17
	s_cbranch_execz .LBB60_964
.LBB60_1173:                            ;   in Loop: Header=BB60_3 Depth=1
	ds_load_b64 v[36:37], v49 offset:30176
	ds_load_b64 v[38:39], v45 offset:29136
	s_wait_dscnt 0x0
	v_pk_mul_f32 v[96:97], v[38:39], v[36:37] op_sel:[0,1]
	s_delay_alu instid0(VALU_DEP_1) | instskip(SKIP_1) | instid1(VALU_DEP_2)
	v_pk_fma_f32 v[98:99], v[38:39], v[36:37], v[96:97] op_sel:[1,0,0] op_sel_hi:[0,0,1] neg_lo:[0,0,1] neg_hi:[0,0,1]
	v_pk_fma_f32 v[36:37], v[38:39], v[36:37], v[96:97] op_sel:[1,0,0] op_sel_hi:[0,1,1]
	v_mov_b32_e32 v37, v99
	s_delay_alu instid0(VALU_DEP_1)
	v_pk_add_f32 v[34:35], v[34:35], v[36:37]
	s_or_b32 exec_lo, exec_lo, s53
	s_and_saveexec_b32 s53, s0
	s_cbranch_execnz .LBB60_965
	s_branch .LBB60_966
.LBB60_1174:
	s_endpgm
	.section	.rodata,"a",@progbits
	.p2align	6, 0x0
	.amdhsa_kernel _ZL19rocblas_trsv_deviceILi64ELi16ELb1ELb1ELb1ELb0E19rocblas_complex_numIfEPKS1_S3_PS1_EviT7_lllT6_T8_lllPii
		.amdhsa_group_segment_fixed_size 41480
		.amdhsa_private_segment_fixed_size 0
		.amdhsa_kernarg_size 352
		.amdhsa_user_sgpr_count 2
		.amdhsa_user_sgpr_dispatch_ptr 0
		.amdhsa_user_sgpr_queue_ptr 0
		.amdhsa_user_sgpr_kernarg_segment_ptr 1
		.amdhsa_user_sgpr_dispatch_id 0
		.amdhsa_user_sgpr_kernarg_preload_length 0
		.amdhsa_user_sgpr_kernarg_preload_offset 0
		.amdhsa_user_sgpr_private_segment_size 0
		.amdhsa_wavefront_size32 1
		.amdhsa_uses_dynamic_stack 0
		.amdhsa_enable_private_segment 0
		.amdhsa_system_sgpr_workgroup_id_x 1
		.amdhsa_system_sgpr_workgroup_id_y 0
		.amdhsa_system_sgpr_workgroup_id_z 1
		.amdhsa_system_sgpr_workgroup_info 0
		.amdhsa_system_vgpr_workitem_id 1
		.amdhsa_next_free_vgpr 107
		.amdhsa_next_free_sgpr 105
		.amdhsa_named_barrier_count 0
		.amdhsa_reserve_vcc 1
		.amdhsa_float_round_mode_32 0
		.amdhsa_float_round_mode_16_64 0
		.amdhsa_float_denorm_mode_32 3
		.amdhsa_float_denorm_mode_16_64 3
		.amdhsa_fp16_overflow 0
		.amdhsa_memory_ordered 1
		.amdhsa_forward_progress 1
		.amdhsa_inst_pref_size 255
		.amdhsa_round_robin_scheduling 0
		.amdhsa_exception_fp_ieee_invalid_op 0
		.amdhsa_exception_fp_denorm_src 0
		.amdhsa_exception_fp_ieee_div_zero 0
		.amdhsa_exception_fp_ieee_overflow 0
		.amdhsa_exception_fp_ieee_underflow 0
		.amdhsa_exception_fp_ieee_inexact 0
		.amdhsa_exception_int_div_zero 0
	.end_amdhsa_kernel
	.section	.text._ZL19rocblas_trsv_deviceILi64ELi16ELb1ELb1ELb1ELb0E19rocblas_complex_numIfEPKS1_S3_PS1_EviT7_lllT6_T8_lllPii,"axG",@progbits,_ZL19rocblas_trsv_deviceILi64ELi16ELb1ELb1ELb1ELb0E19rocblas_complex_numIfEPKS1_S3_PS1_EviT7_lllT6_T8_lllPii,comdat
.Lfunc_end60:
	.size	_ZL19rocblas_trsv_deviceILi64ELi16ELb1ELb1ELb1ELb0E19rocblas_complex_numIfEPKS1_S3_PS1_EviT7_lllT6_T8_lllPii, .Lfunc_end60-_ZL19rocblas_trsv_deviceILi64ELi16ELb1ELb1ELb1ELb0E19rocblas_complex_numIfEPKS1_S3_PS1_EviT7_lllT6_T8_lllPii
                                        ; -- End function
	.set _ZL19rocblas_trsv_deviceILi64ELi16ELb1ELb1ELb1ELb0E19rocblas_complex_numIfEPKS1_S3_PS1_EviT7_lllT6_T8_lllPii.num_vgpr, 107
	.set _ZL19rocblas_trsv_deviceILi64ELi16ELb1ELb1ELb1ELb0E19rocblas_complex_numIfEPKS1_S3_PS1_EviT7_lllT6_T8_lllPii.num_agpr, 0
	.set _ZL19rocblas_trsv_deviceILi64ELi16ELb1ELb1ELb1ELb0E19rocblas_complex_numIfEPKS1_S3_PS1_EviT7_lllT6_T8_lllPii.numbered_sgpr, 105
	.set _ZL19rocblas_trsv_deviceILi64ELi16ELb1ELb1ELb1ELb0E19rocblas_complex_numIfEPKS1_S3_PS1_EviT7_lllT6_T8_lllPii.num_named_barrier, 0
	.set _ZL19rocblas_trsv_deviceILi64ELi16ELb1ELb1ELb1ELb0E19rocblas_complex_numIfEPKS1_S3_PS1_EviT7_lllT6_T8_lllPii.private_seg_size, 0
	.set _ZL19rocblas_trsv_deviceILi64ELi16ELb1ELb1ELb1ELb0E19rocblas_complex_numIfEPKS1_S3_PS1_EviT7_lllT6_T8_lllPii.uses_vcc, 1
	.set _ZL19rocblas_trsv_deviceILi64ELi16ELb1ELb1ELb1ELb0E19rocblas_complex_numIfEPKS1_S3_PS1_EviT7_lllT6_T8_lllPii.uses_flat_scratch, 0
	.set _ZL19rocblas_trsv_deviceILi64ELi16ELb1ELb1ELb1ELb0E19rocblas_complex_numIfEPKS1_S3_PS1_EviT7_lllT6_T8_lllPii.has_dyn_sized_stack, 0
	.set _ZL19rocblas_trsv_deviceILi64ELi16ELb1ELb1ELb1ELb0E19rocblas_complex_numIfEPKS1_S3_PS1_EviT7_lllT6_T8_lllPii.has_recursion, 0
	.set _ZL19rocblas_trsv_deviceILi64ELi16ELb1ELb1ELb1ELb0E19rocblas_complex_numIfEPKS1_S3_PS1_EviT7_lllT6_T8_lllPii.has_indirect_call, 0
	.section	.AMDGPU.csdata,"",@progbits
; Kernel info:
; codeLenInByte = 55152
; TotalNumSgprs: 107
; NumVgprs: 107
; ScratchSize: 0
; MemoryBound: 0
; FloatMode: 240
; IeeeMode: 1
; LDSByteSize: 41480 bytes/workgroup (compile time only)
; SGPRBlocks: 0
; VGPRBlocks: 6
; NumSGPRsForWavesPerEU: 107
; NumVGPRsForWavesPerEU: 107
; NamedBarCnt: 0
; Occupancy: 9
; WaveLimiterHint : 0
; COMPUTE_PGM_RSRC2:SCRATCH_EN: 0
; COMPUTE_PGM_RSRC2:USER_SGPR: 2
; COMPUTE_PGM_RSRC2:TRAP_HANDLER: 0
; COMPUTE_PGM_RSRC2:TGID_X_EN: 1
; COMPUTE_PGM_RSRC2:TGID_Y_EN: 0
; COMPUTE_PGM_RSRC2:TGID_Z_EN: 1
; COMPUTE_PGM_RSRC2:TIDIG_COMP_CNT: 1
	.section	.text._ZL19rocblas_trsv_deviceILi64ELi16ELb0ELb0ELb0ELb1E19rocblas_complex_numIfES1_PKS1_PS1_EviT7_lllT6_T8_lllPii,"axG",@progbits,_ZL19rocblas_trsv_deviceILi64ELi16ELb0ELb0ELb0ELb1E19rocblas_complex_numIfES1_PKS1_PS1_EviT7_lllT6_T8_lllPii,comdat
	.globl	_ZL19rocblas_trsv_deviceILi64ELi16ELb0ELb0ELb0ELb1E19rocblas_complex_numIfES1_PKS1_PS1_EviT7_lllT6_T8_lllPii ; -- Begin function _ZL19rocblas_trsv_deviceILi64ELi16ELb0ELb0ELb0ELb1E19rocblas_complex_numIfES1_PKS1_PS1_EviT7_lllT6_T8_lllPii
	.p2align	8
	.type	_ZL19rocblas_trsv_deviceILi64ELi16ELb0ELb0ELb0ELb1E19rocblas_complex_numIfES1_PKS1_PS1_EviT7_lllT6_T8_lllPii,@function
_ZL19rocblas_trsv_deviceILi64ELi16ELb0ELb0ELb0ELb1E19rocblas_complex_numIfES1_PKS1_PS1_EviT7_lllT6_T8_lllPii: ; @_ZL19rocblas_trsv_deviceILi64ELi16ELb0ELb0ELb0ELb1E19rocblas_complex_numIfES1_PKS1_PS1_EviT7_lllT6_T8_lllPii
; %bb.0:
	s_load_b32 s102, s[0:1], 0x58
	s_bfe_u32 s2, ttmp6, 0x40014
	s_lshr_b32 s3, ttmp7, 16
	s_add_co_i32 s2, s2, 1
	s_bfe_u32 s5, ttmp6, 0x40008
	s_mul_i32 s4, s3, s2
	s_getreg_b32 s2, hwreg(HW_REG_IB_STS2, 6, 4)
	s_add_co_i32 s5, s5, s4
	s_cmp_eq_u32 s2, 0
	s_mov_b32 s81, 0
	s_cselect_b32 s80, s3, s5
	s_wait_kmcnt 0x0
	s_cmp_ge_u32 s80, s102
	s_cbranch_scc1 .LBB61_1050
; %bb.1:
	s_clause 0x4
	s_load_b256 s[64:71], s[0:1], 0x8
	s_load_b256 s[72:79], s[0:1], 0x30
	s_load_b32 s3, s[0:1], 0x6c
	s_load_b32 s104, s[0:1], 0x60
	;; [unrolled: 1-line block ×3, first 2 shown]
	s_bfe_u32 s4, ttmp6, 0x4000c
	s_and_b32 s5, ttmp6, 15
	s_add_co_i32 s4, s4, 1
	v_bfe_u32 v2, v0, 10, 10
	s_mul_i32 s4, ttmp9, s4
	v_and_b32_e32 v4, 0x3ff, v0
	s_add_co_i32 s5, s5, s4
	v_dual_mov_b32 v7, 0 :: v_dual_bitop2_b32 v1, 1, v0 bitop3:0x40
	v_dual_add_nc_u32 v36, 16, v2 :: v_dual_bitop2_b32 v3, 3, v0 bitop3:0x40
	s_delay_alu instid0(VALU_DEP_3) | instskip(SKIP_1) | instid1(VALU_DEP_4)
	v_lshl_add_u32 v42, v2, 6, v4
                                        ; implicit-def: $vgpr88 : SGPR spill to VGPR lane
	v_dual_add_nc_u32 v40, 32, v2 :: v_dual_bitop2_b32 v17, 7, v0 bitop3:0x40
	v_cmp_eq_u32_e32 vcc_lo, 0, v1
	s_wait_kmcnt 0x0
	s_lshl_b64 s[10:11], s[66:67], 3
	s_lshl_b64 s[12:13], s[74:75], 3
	s_cmp_eq_u32 s2, 0
	v_cmp_ne_u32_e64 s6, 3, v3
	s_cselect_b32 s103, ttmp9, s5
	s_add_co_i32 s2, s82, -1
	s_ashr_i32 s83, s82, 31
	s_and_b32 s4, s3, 0xffff
	s_ashr_i32 s3, s2, 31
	s_lshr_b32 s5, s83, 26
	s_lshr_b32 s3, s3, 26
	s_add_co_i32 s5, s82, s5
	s_add_co_i32 s104, s104, -1
	s_add_co_i32 s2, s2, s3
	s_and_not1_b32 s5, s5, 63
	s_sub_co_i32 s18, s104, s103
	s_ashr_i32 s2, s2, 6
	s_sub_co_i32 s30, s82, s5
	s_cmp_eq_u32 s2, s18
	v_mad_u32_u24 v6, v2, s4, v4
	s_cselect_b32 s2, -1, 0
	s_cmp_lg_u32 s30, 0
	v_cmp_eq_u32_e64 s5, 3, v3
	s_cselect_b32 s3, -1, 0
	v_cmp_eq_u32_e64 s7, 2, v3
	s_and_b32 s31, s3, s2
	s_add_nc_u64 s[2:3], s[68:69], 1
	s_xor_b32 vcc_hi, s31, -1
	s_cmp_lg_u32 s103, 0
	v_dual_add_nc_u32 v38, 48, v2 :: v_dual_bitop2_b32 v18, 15, v0 bitop3:0x40
	s_cselect_b32 s4, -1, 0
	s_lshl_b32 s16, s18, 6
	v_writelane_b32 v88, s4, 0
	s_ashr_i32 s17, s16, 31
	s_cmp_gt_i32 s103, 4
	s_mul_u64 s[14:15], s[2:3], s[16:17]
	v_cmp_gt_u32_e64 s2, 4, v42
	v_cmp_gt_u32_e64 s3, 16, v42
	s_cselect_b32 s4, -1, 0
	v_cmp_ne_u32_e64 s8, 15, v18
	s_and_b32 s44, s4, vcc_hi
	v_cmp_eq_u32_e64 s4, 1, v1
	s_and_b32 s46, vcc_lo, s2
	s_and_b32 s47, s5, s3
	v_cmp_gt_u32_e32 vcc_lo, 2, v3
	v_cmp_eq_u32_e64 s5, 1, v3
	s_and_b32 s45, s4, s2
	s_and_b32 s48, s6, s3
	;; [unrolled: 1-line block ×3, first 2 shown]
	v_cmp_eq_u32_e64 s6, 0, v3
	v_cmp_gt_u32_e64 s4, 64, v42
	v_cmp_eq_u32_e64 s7, 7, v17
	s_and_b32 s50, vcc_lo, s3
	v_cmp_ne_u32_e32 vcc_lo, 7, v17
	s_and_b32 s51, s5, s3
	v_cmp_eq_u32_e64 s5, 6, v17
	s_and_b32 s52, s6, s3
	s_and_b32 s53, s7, s4
	s_and_b32 s54, vcc_lo, s4
	v_cmp_gt_u32_e32 vcc_lo, 6, v17
	v_cmp_eq_u32_e64 s6, 5, v17
	v_cmp_gt_u32_e64 s7, 5, v17
	s_and_b32 s55, s5, s4
	v_cmp_eq_u32_e64 s5, 4, v17
	s_and_b32 s56, vcc_lo, s4
	s_and_b32 s57, s6, s4
	s_and_b32 s58, s7, s4
	v_cmp_gt_u32_e32 vcc_lo, 4, v17
	s_and_b32 s59, s5, s4
	v_cmp_eq_u32_e64 s5, 3, v17
	v_cmp_gt_u32_e64 s6, 3, v17
	v_cmp_eq_u32_e64 s7, 2, v17
	s_and_b32 s60, vcc_lo, s4
	v_cmp_gt_u32_e32 vcc_lo, 2, v17
	s_and_b32 s61, s5, s4
	s_and_b32 s62, s6, s4
	;; [unrolled: 1-line block ×3, first 2 shown]
	v_cmp_eq_u32_e64 s6, 0, v17
	v_cmp_gt_u32_e64 s5, 0x100, v42
	v_cmp_eq_u32_e64 s7, 15, v18
	s_and_b32 s19, vcc_lo, s4
	v_cmp_eq_u32_e32 vcc_lo, 1, v17
	s_and_b32 s23, s6, s4
	v_dual_add_nc_u32 v16, s16, v2 :: v_dual_add_nc_u32 v8, s16, v4
	s_and_b32 s6, s7, s5
	s_and_b32 s21, vcc_lo, s4
	v_writelane_b32 v88, s6, 1
	v_cmp_eq_u32_e32 vcc_lo, 14, v18
	s_and_b32 s6, s8, s5
	v_cmp_eq_u32_e64 s7, 13, v18
	s_clause 0x1
	s_load_b64 s[90:91], s[0:1], 0x28
	s_load_b64 s[86:87], s[0:1], 0x50
	v_writelane_b32 v88, s6, 2
	v_cmp_gt_u32_e64 s6, 14, v18
	s_and_b32 s8, vcc_lo, s5
	v_cmp_gt_u32_e32 vcc_lo, 13, v18
	v_add_nc_u32_e32 v14, 64, v16
	v_writelane_b32 v88, s8, 3
	s_and_b32 s6, s6, s5
	v_cmp_eq_u32_e64 s8, 12, v18
	s_delay_alu instid0(VALU_DEP_3)
	v_dual_ashrrev_i32 v9, 31, v8 :: v_dual_ashrrev_i32 v15, 31, v14
	v_writelane_b32 v88, s6, 4
	s_and_b32 s6, s7, s5
	s_and_b32 s7, vcc_lo, s5
	v_cmp_eq_u32_e32 vcc_lo, 11, v18
	v_mul_u64_e32 v[10:11], s[68:69], v[14:15]
	v_writelane_b32 v88, s6, 5
	v_cmp_gt_u32_e64 s6, 12, v18
	v_lshrrev_b32_e32 v15, 1, v42
	s_and_b32 s9, vcc_lo, s5
	v_cmp_eq_u32_e32 vcc_lo, 9, v18
	v_writelane_b32 v88, s7, 6
	s_and_b32 s7, s8, s5
	s_and_b32 s6, s6, s5
	v_cmp_gt_u32_e64 s8, 10, v18
	s_and_b32 s74, vcc_lo, s5
	v_writelane_b32 v88, s7, 7
	v_cmp_gt_u32_e64 s7, 11, v18
	v_cmp_gt_u32_e32 vcc_lo, 8, v18
	v_dual_lshrrev_b32 v5, 10, v0 :: v_dual_lshlrev_b32 v19, 9, v15
	v_writelane_b32 v88, s6, 8
	v_cmp_eq_u32_e64 s6, 10, v18
	s_and_b32 s7, s7, s5
	s_and_b32 s85, vcc_lo, s5
	v_cmp_eq_u32_e32 vcc_lo, 6, v18
	v_writelane_b32 v88, s9, 9
	s_and_b32 s6, s6, s5
	s_and_b32 s9, s8, s5
	v_cmp_eq_u32_e64 s8, 7, v18
	s_and_b32 s22, vcc_lo, s5
	v_writelane_b32 v88, s7, 10
	v_cmp_eq_u32_e64 s7, 8, v18
	v_cmp_eq_u32_e32 vcc_lo, 4, v18
	s_and_b32 s38, s8, s5
	v_cmp_gt_u32_e64 s8, 5, v18
	v_writelane_b32 v88, s6, 11
	v_cmp_gt_u32_e64 s6, 9, v18
	s_and_b32 s84, s7, s5
	v_cmp_gt_u32_e64 s7, 6, v18
	s_and_b32 s43, vcc_lo, s5
	v_cmp_gt_u32_e32 vcc_lo, 3, v18
	s_and_b32 s75, s6, s5
	v_cmp_gt_u32_e64 s6, 7, v18
	s_and_b32 s24, s7, s5
	v_cmp_eq_u32_e64 s7, 3, v18
	s_and_b32 s29, vcc_lo, s5
	v_cmp_le_i32_e32 vcc_lo, s30, v4
	s_and_b32 s20, s6, s5
	v_cmp_eq_u32_e64 s6, 5, v18
	s_and_b32 s28, s8, s5
	v_cmp_eq_u32_e64 s8, 2, v18
	;; [unrolled: 2-line block ×3, first 2 shown]
	s_and_b32 s26, s6, s5
	v_cmp_gt_u32_e64 s6, 4, v18
	s_and_b32 s36, vcc_lo, s31
	s_and_b32 s34, s8, s5
	v_cmp_eq_u32_e64 s8, 0, v18
	s_and_b32 s37, s7, s5
	s_and_b32 s25, s6, s5
	v_cmp_gt_u32_e64 s6, 2, v18
	s_xor_b32 s7, s36, -1
	v_bitop3_b32 v43, v0, v5, 0x3ff bitop3:0xa8
	v_dual_lshlrev_b32 v5, 3, v1 :: v_dual_lshrrev_b32 v1, 2, v42
	s_and_b32 s35, s6, s5
	v_cmp_eq_u32_e64 s6, 0, v2
	s_and_b32 s39, s8, s5
	s_wait_kmcnt 0x0
	s_xor_b32 s66, s91, 0x80000000
	v_add_nc_u64_e32 v[12:13], s[16:17], v[6:7]
	v_cmp_le_i32_e64 s8, s30, v36
	s_and_b32 s40, s6, s7
	v_cmp_le_i32_e64 s7, s30, v2
	s_cmp_gt_i32 s103, 0
	v_lshl_add_u32 v44, v15, 3, 0x8000
	s_cselect_b32 s41, -1, 0
	v_dual_sub_nc_u32 v45, 0, v19 :: v_dual_lshlrev_b32 v46, 3, v4
	s_or_b32 s17, s7, vcc_lo
	v_cmp_le_i32_e64 s7, s30, v40
	v_dual_sub_nc_u32 v47, v5, v19 :: v_dual_lshlrev_b32 v15, 9, v1
	v_dual_lshlrev_b32 v19, 6, v42 :: v_dual_lshlrev_b32 v49, 3, v3
	s_or_b32 s16, s8, vcc_lo
	s_or_b32 s8, s7, vcc_lo
	v_cmp_le_i32_e64 s7, s30, v38
	v_lshl_add_u32 v48, v1, 3, 0x8000
	v_and_b32_e32 v1, 0x1fff8, v42
	v_dual_sub_nc_u32 v50, 0, v15 :: v_dual_lshlrev_b32 v51, 3, v17
	v_and_b32_e32 v3, 0x7ffe00, v19
	s_or_b32 s7, s7, vcc_lo
	v_cmp_gt_i32_e32 vcc_lo, s30, v4
	v_sub_nc_u32_e32 v52, v49, v15
	v_dual_mov_b32 v28, 0 :: v_dual_add_nc_u32 v53, 0x8000, v1
	v_dual_lshrrev_b32 v1, 4, v42 :: v_dual_sub_nc_u32 v54, 0, v3
	v_dual_sub_nc_u32 v55, v51, v3 :: v_dual_lshrrev_b32 v3, 5, v42
	v_and_b32_e32 v56, 31, v0
	v_dual_mov_b32 v41, v7 :: v_dual_bitop2_b32 v78, v36, v4 bitop3:0x54
	v_mbcnt_lo_u32_b32 v22, -1, 0
	s_add_nc_u64 s[88:89], s[64:65], s[10:11]
	v_cmp_gt_i32_e64 s0, s82, v8
	v_dual_lshlrev_b32 v0, 9, v1 :: v_dual_lshlrev_b32 v57, 3, v18
	v_lshl_add_u32 v58, v1, 3, 0x8000
	v_dual_lshlrev_b32 v1, 9, v3 :: v_dual_lshlrev_b32 v59, 3, v56
	v_lshl_add_u32 v62, v3, 3, 0x8000
	s_and_b32 s10, s6, vcc_lo
	v_add_nc_u32_e32 v3, 0x50, v16
	v_cmp_gt_i32_e32 vcc_lo, s82, v14
	v_mul_u64_e32 v[18:19], s[68:69], v[40:41]
	v_dual_lshlrev_b32 v29, 20, v22 :: v_dual_bitop2_b32 v41, v38, v4 bitop3:0x54
	v_writelane_b32 v88, s10, 12
	s_and_b32 s10, s0, vcc_lo
	v_dual_mov_b32 v37, v7 :: v_dual_add_nc_u32 v14, 0x60, v16
	s_delay_alu instid0(VALU_DEP_3)
	v_add_nc_u64_e32 v[22:23], src_flat_scratch_base_lo, v[28:29]
	v_mov_b32_e32 v28, 8
	v_cmp_gt_i32_e32 vcc_lo, s82, v3
	v_writelane_b32 v88, s10, 13
	s_mov_b32 s67, s91
	s_mov_b32 s91, s90
                                        ; implicit-def: $vgpr87 : SGPR spill to VGPR lane
	v_add_max_i32_e64 v79, 0x70, v16, v8
	s_and_b32 s10, s0, vcc_lo
	v_cmp_gt_i32_e32 vcc_lo, s82, v14
	v_writelane_b32 v88, s10, 14
	v_mul_u64_e32 v[16:17], s[68:69], v[36:37]
	v_dual_mov_b32 v39, v7 :: v_dual_bitop2_b32 v37, v40, v4 bitop3:0x54
	s_and_b32 s10, s0, vcc_lo
	v_lshl_add_u32 v66, v2, 3, 0xa000
	v_writelane_b32 v88, s10, 15
	v_cmp_le_u32_e64 s10, v2, v4
	v_dual_mov_b32 v3, v7 :: v_dual_sub_nc_u32 v60, 0, v0
	s_delay_alu instid0(VALU_DEP_4) | instskip(NEXT) | instid1(VALU_DEP_3)
	v_dual_sub_nc_u32 v61, v57, v0 :: v_dual_add_nc_u32 v70, v66, v46
	v_writelane_b32 v88, s10, 16
	s_or_b32 s10, s17, s10
	v_dual_sub_nc_u32 v63, 0, v1 :: v_dual_sub_nc_u32 v64, v59, v1
	v_mul_u64_e32 v[0:1], s[76:77], v[8:9]
	v_writelane_b32 v88, s10, 17
	v_cmp_le_u32_e64 s10, v36, v4
	v_mul_u64_e32 v[12:13], s[76:77], v[12:13]
	v_mul_u64_e32 v[14:15], s[68:69], v[2:3]
	;; [unrolled: 1-line block ×3, first 2 shown]
                                        ; implicit-def: $vgpr86 : SGPR spill to VGPR lane
	v_add_nc_u64_e32 v[24:25], src_flat_scratch_base_lo, v[28:29]
	v_writelane_b32 v88, s10, 18
	s_or_b32 s10, s16, s10
	v_dual_mov_b32 v28, 16 :: v_dual_add_nc_u32 v75, 0x7800, v46
	v_lshlrev_b32_e32 v30, 3, v4
	v_writelane_b32 v88, s10, 19
	v_cmp_le_u32_e64 s10, v40, v4
	s_delay_alu instid0(VALU_DEP_4)
	v_add_nc_u64_e32 v[26:27], src_flat_scratch_base_lo, v[28:29]
	v_mov_b32_e32 v28, 24
	v_mov_b64_e32 v[32:33], 0
	v_mov_b64_e32 v[34:35], 0x3f800000
	v_writelane_b32 v88, s10, 20
	s_or_b32 s8, s8, s10
	v_add_nc_u64_e32 v[28:29], src_flat_scratch_base_lo, v[28:29]
	v_cmp_lt_u32_e32 vcc_lo, 0x3ff, v42
	s_add_nc_u64 s[72:73], s[72:73], s[12:13]
	v_writelane_b32 v88, s8, 21
	v_cmp_le_u32_e64 s8, v38, v4
	v_lshl_add_u32 v65, v6, 3, 0xa000
	s_add_co_i32 s1, s18, 1
	v_lshl_add_u32 v67, v42, 3, 0x8000
	v_or_b32_e32 v68, 0x8000, v46
	v_writelane_b32 v88, s8, 22
	s_or_b32 s7, s7, s8
	v_cmp_gt_u32_e64 s8, 0xf0, v42
	v_lshl_add_u32 v69, v2, 9, v46
	v_lshl_add_u32 v3, v36, 9, v46
	v_writelane_b32 v88, s7, 23
	v_lshl_add_u32 v71, v40, 9, v46
	v_lshl_add_u32 v72, v38, 9, v46
	v_or_b32_e32 v73, 0x3800, v59
	v_subrev_nc_u32_e32 v74, 31, v56
	v_writelane_b32 v88, s66, 24
	v_subrev_nc_u32_e32 v76, 63, v4
	v_mov_b32_e32 v31, v7
	v_add_nc_u32_e64 v77, 0x7800, 0
	v_cmp_eq_u32_e64 s10, 0, v43
	v_writelane_b32 v88, s67, 25
	v_cmp_gt_u32_e64 s11, 2, v42
	v_cmp_gt_u32_e64 s12, 12, v42
	;; [unrolled: 1-line block ×4, first 2 shown]
	v_writelane_b32 v88, s90, 26
	v_cmp_gt_u32_e64 s17, 32, v42
	v_cmp_gt_u32_e64 s18, 24, v42
	;; [unrolled: 1-line block ×3, first 2 shown]
	v_cmp_eq_u32_e64 s31, 0, v6
	v_writelane_b32 v88, s91, 27
	s_lshl_b64 s[90:91], s[14:15], 3
	v_cmp_gt_u32_e64 s14, 56, v42
	v_cmp_gt_u32_e64 s15, 48, v42
	v_cmp_gt_u32_e64 s33, 64, v6
	v_writelane_b32 v88, s8, 28
	v_cmp_gt_u32_e64 s8, 0xe0, v42
	s_xor_b32 s7, vcc_lo, -1
	s_lshl_b64 s[92:93], s[68:69], 7
	s_lshl_b64 s[94:95], s[68:69], 8
	s_mul_u64 s[96:97], s[68:69], 0x180
	v_writelane_b32 v88, s8, 29
	v_cmp_gt_u32_e64 s8, 0xd0, v42
	s_delay_alu instid0(VALU_DEP_1) | instskip(SKIP_1) | instid1(VALU_DEP_1)
	v_writelane_b32 v88, s8, 30
	v_cmp_gt_u32_e64 s8, 0xc0, v42
	v_writelane_b32 v88, s8, 31
	v_cmp_gt_u32_e64 s8, 0xb0, v42
	s_delay_alu instid0(VALU_DEP_1) | instskip(SKIP_1) | instid1(VALU_DEP_1)
	v_writelane_b32 v87, s8, 0
	v_cmp_gt_u32_e64 s8, 0xa0, v42
	;; [unrolled: 5-line block ×4, first 2 shown]
	v_writelane_b32 v87, s8, 5
	v_cmp_gt_u32_e64 s8, 0x50, v42
	s_delay_alu instid0(VALU_DEP_1) | instskip(SKIP_1) | instid1(VALU_DEP_1)
	v_writelane_b32 v87, s8, 6
	v_cmp_le_u32_e64 s8, v4, v2
	v_writelane_b32 v87, s8, 7
	v_cmp_le_u32_e64 s8, v4, v36
	s_delay_alu instid0(VALU_DEP_1) | instskip(SKIP_1) | instid1(VALU_DEP_1)
	v_writelane_b32 v87, s8, 8
	v_cmp_le_u32_e64 s8, v4, v40
	v_writelane_b32 v87, s8, 9
	v_cmp_le_u32_e64 s8, v4, v38
	s_delay_alu instid0(VALU_DEP_1) | instskip(SKIP_1) | instid1(VALU_DEP_1)
	v_writelane_b32 v87, s8, 10
	v_cmp_le_i32_e64 s8, s82, v79
	v_writelane_b32 v87, s8, 11
	v_cmp_gt_u32_e64 s8, 64, v43
	s_delay_alu instid0(VALU_DEP_1) | instskip(SKIP_1) | instid1(VALU_DEP_1)
	v_writelane_b32 v87, s8, 12
	v_cmp_gt_u32_e64 s8, 64, v78
	v_writelane_b32 v87, s8, 13
	v_cmp_gt_u32_e64 s8, 64, v37
	s_delay_alu instid0(VALU_DEP_1) | instskip(SKIP_1) | instid1(VALU_DEP_1)
	v_writelane_b32 v87, s8, 14
	v_cmp_gt_u32_e64 s8, 64, v41
	;; [unrolled: 5-line block ×13, first 2 shown]
	v_writelane_b32 v86, s8, 5
	v_cmp_gt_u32_e64 s8, 0x120, v42
	s_delay_alu instid0(VALU_DEP_1)
	v_writelane_b32 v86, s8, 6
	s_branch .LBB61_3
.LBB61_2:                               ;   in Loop: Header=BB61_3 Depth=1
	s_wait_xcnt 0x0
	s_or_b32 exec_lo, exec_lo, s8
	s_add_co_i32 s80, s80, 0x10000
	global_wb scope:SCOPE_DEV
	s_wait_storecnt 0x0
	global_inv scope:SCOPE_DEV
	s_cmp_lt_u32 s80, s102
	s_cbranch_scc0 .LBB61_1050
.LBB61_3:                               ; =>This Loop Header: Depth=1
                                        ;     Child Loop BB61_524 Depth 2
                                        ;     Child Loop BB61_940 Depth 2
                                        ;       Child Loop BB61_942 Depth 3
                                        ;     Child Loop BB61_974 Depth 2
	v_readlane_b32 s8, v88, 0
	s_mul_u64 s[66:67], s[70:71], s[80:81]
	s_delay_alu instid0(SALU_CYCLE_1) | instskip(NEXT) | instid1(SALU_CYCLE_1)
	s_lshl_b64 s[66:67], s[66:67], 3
	s_add_nc_u64 s[66:67], s[88:89], s[66:67]
	s_and_not1_b32 vcc_lo, exec_lo, s8
	s_cbranch_vccnz .LBB61_15
; %bb.4:                                ;   in Loop: Header=BB61_3 Depth=1
	v_lshl_add_u64 v[36:37], v[10:11], 3, s[66:67]
	v_dual_mov_b32 v38, 0 :: v_dual_mov_b32 v40, 0
	v_mov_b32_e32 v41, 0
	v_readlane_b32 s42, v88, 13
	s_delay_alu instid0(VALU_DEP_4)
	v_lshl_add_u64 v[36:37], v[8:9], 3, v[36:37]
	s_barrier_signal -1
	s_barrier_wait -1
	s_and_saveexec_b32 s8, s42
	s_cbranch_execz .LBB61_6
; %bb.5:                                ;   in Loop: Header=BB61_3 Depth=1
	global_load_b64 v[40:41], v[36:37], off
.LBB61_6:                               ;   in Loop: Header=BB61_3 Depth=1
	s_wait_xcnt 0x0
	s_or_b32 exec_lo, exec_lo, s8
	v_mov_b32_e32 v39, 0
	v_readlane_b32 s42, v88, 14
	s_wait_loadcnt 0x0
	scratch_store_b64 off, v[40:41], off
	s_wait_storecnt 0x0
	s_barrier_signal -1
	s_barrier_wait -1
	s_wait_xcnt 0x0
	s_and_saveexec_b32 s8, s42
	s_cbranch_execz .LBB61_8
; %bb.7:                                ;   in Loop: Header=BB61_3 Depth=1
	v_add_nc_u64_e32 v[38:39], s[92:93], v[36:37]
	global_load_b64 v[38:39], v[38:39], off
.LBB61_8:                               ;   in Loop: Header=BB61_3 Depth=1
	s_wait_xcnt 0x0
	s_or_b32 exec_lo, exec_lo, s8
	s_wait_loadcnt 0x0
	scratch_store_b64 off, v[38:39], off offset:8
	s_wait_xcnt 0x0
	v_dual_mov_b32 v38, 0 :: v_dual_mov_b32 v39, 0
	v_readlane_b32 s42, v88, 15
	s_wait_storecnt 0x0
	s_barrier_signal -1
	s_barrier_wait -1
	s_and_saveexec_b32 s8, s42
	s_cbranch_execz .LBB61_10
; %bb.9:                                ;   in Loop: Header=BB61_3 Depth=1
	v_add_nc_u64_e32 v[38:39], s[94:95], v[36:37]
	global_load_b64 v[38:39], v[38:39], off
.LBB61_10:                              ;   in Loop: Header=BB61_3 Depth=1
	s_wait_xcnt 0x0
	s_or_b32 exec_lo, exec_lo, s8
	v_readlane_b32 s42, v87, 11
	s_wait_loadcnt 0x0
	scratch_store_b64 off, v[38:39], off offset:16
	s_wait_storecnt 0x0
	s_barrier_signal -1
	s_barrier_wait -1
	s_wait_xcnt 0x0
	s_and_saveexec_b32 s8, s42
	s_delay_alu instid0(SALU_CYCLE_1)
	s_xor_b32 s8, exec_lo, s8
	s_cbranch_execz .LBB61_12
; %bb.11:                               ;   in Loop: Header=BB61_3 Depth=1
	scratch_store_b64 off, v[32:33], off offset:24
                                        ; implicit-def: $vgpr36_vgpr37
.LBB61_12:                              ;   in Loop: Header=BB61_3 Depth=1
	s_wait_xcnt 0x0
	s_and_not1_saveexec_b32 s8, s8
	s_cbranch_execz .LBB61_14
; %bb.13:                               ;   in Loop: Header=BB61_3 Depth=1
	v_add_nc_u64_e32 v[36:37], s[96:97], v[36:37]
	global_load_b64 v[36:37], v[36:37], off
	s_wait_loadcnt 0x0
	scratch_store_b64 off, v[36:37], off offset:24
.LBB61_14:                              ;   in Loop: Header=BB61_3 Depth=1
	s_wait_xcnt 0x0
	s_or_b32 exec_lo, exec_lo, s8
.LBB61_15:                              ;   in Loop: Header=BB61_3 Depth=1
	s_add_nc_u64 s[98:99], s[66:67], s[90:91]
	s_and_not1_b32 vcc_lo, exec_lo, vcc_hi
	v_add_nc_u64_e32 v[36:37], s[98:99], v[30:31]
	s_mov_b32 s8, -1
	s_cbranch_vccnz .LBB61_41
; %bb.16:                               ;   in Loop: Header=BB61_3 Depth=1
	v_readlane_b32 s42, v88, 16
	s_and_saveexec_b32 s8, s42
	s_delay_alu instid0(SALU_CYCLE_1)
	s_xor_b32 s8, exec_lo, s8
	s_cbranch_execz .LBB61_20
; %bb.17:                               ;   in Loop: Header=BB61_3 Depth=1
	v_readlane_b32 s42, v87, 12
	s_and_saveexec_b32 s64, s42
; %bb.18:                               ;   in Loop: Header=BB61_3 Depth=1
	ds_store_b64 v69, v[32:33]
; %bb.19:                               ;   in Loop: Header=BB61_3 Depth=1
	s_or_b32 exec_lo, exec_lo, s64
.LBB61_20:                              ;   in Loop: Header=BB61_3 Depth=1
	s_and_not1_saveexec_b32 s8, s8
	s_cbranch_execz .LBB61_22
; %bb.21:                               ;   in Loop: Header=BB61_3 Depth=1
	v_lshl_add_u64 v[38:39], v[14:15], 3, v[36:37]
	global_load_b64 v[38:39], v[38:39], off
	s_wait_loadcnt 0x0
	s_wait_xcnt 0x0
	v_pk_add_f32 v[38:39], v[38:39], 0 neg_lo:[1,1] neg_hi:[1,1]
	ds_store_b64 v69, v[38:39]
.LBB61_22:                              ;   in Loop: Header=BB61_3 Depth=1
	s_or_b32 exec_lo, exec_lo, s8
	v_readlane_b32 s42, v88, 18
	s_and_saveexec_b32 s8, s42
	s_delay_alu instid0(SALU_CYCLE_1)
	s_xor_b32 s8, exec_lo, s8
	s_cbranch_execz .LBB61_26
; %bb.23:                               ;   in Loop: Header=BB61_3 Depth=1
	v_readlane_b32 s42, v87, 13
	s_and_saveexec_b32 s64, s42
; %bb.24:                               ;   in Loop: Header=BB61_3 Depth=1
	ds_store_b64 v3, v[32:33]
; %bb.25:                               ;   in Loop: Header=BB61_3 Depth=1
	s_or_b32 exec_lo, exec_lo, s64
.LBB61_26:                              ;   in Loop: Header=BB61_3 Depth=1
	s_and_not1_saveexec_b32 s8, s8
	s_cbranch_execz .LBB61_28
; %bb.27:                               ;   in Loop: Header=BB61_3 Depth=1
	v_lshl_add_u64 v[38:39], v[16:17], 3, v[36:37]
	global_load_b64 v[38:39], v[38:39], off
	s_wait_loadcnt 0x0
	s_wait_xcnt 0x0
	v_pk_add_f32 v[38:39], v[38:39], 0 neg_lo:[1,1] neg_hi:[1,1]
	ds_store_b64 v3, v[38:39]
.LBB61_28:                              ;   in Loop: Header=BB61_3 Depth=1
	s_or_b32 exec_lo, exec_lo, s8
	;; [unrolled: 24-line block ×4, first 2 shown]
	s_mov_b32 s8, 0
.LBB61_41:                              ;   in Loop: Header=BB61_3 Depth=1
	s_delay_alu instid0(SALU_CYCLE_1)
	s_and_b32 vcc_lo, exec_lo, s8
	s_cbranch_vccz .LBB61_67
; %bb.42:                               ;   in Loop: Header=BB61_3 Depth=1
	v_readlane_b32 s42, v88, 17
	s_and_saveexec_b32 s8, s42
	s_delay_alu instid0(SALU_CYCLE_1)
	s_xor_b32 s8, exec_lo, s8
	s_cbranch_execz .LBB61_46
; %bb.43:                               ;   in Loop: Header=BB61_3 Depth=1
	v_readlane_b32 s42, v87, 12
	s_and_saveexec_b32 s64, s42
; %bb.44:                               ;   in Loop: Header=BB61_3 Depth=1
	ds_store_b64 v69, v[32:33]
; %bb.45:                               ;   in Loop: Header=BB61_3 Depth=1
	s_or_b32 exec_lo, exec_lo, s64
.LBB61_46:                              ;   in Loop: Header=BB61_3 Depth=1
	s_and_not1_saveexec_b32 s8, s8
	s_cbranch_execz .LBB61_48
; %bb.47:                               ;   in Loop: Header=BB61_3 Depth=1
	v_lshl_add_u64 v[38:39], v[14:15], 3, v[36:37]
	global_load_b64 v[38:39], v[38:39], off
	s_wait_loadcnt 0x0
	s_wait_xcnt 0x0
	v_pk_add_f32 v[38:39], v[38:39], 0 neg_lo:[1,1] neg_hi:[1,1]
	ds_store_b64 v69, v[38:39]
.LBB61_48:                              ;   in Loop: Header=BB61_3 Depth=1
	s_or_b32 exec_lo, exec_lo, s8
	v_readlane_b32 s42, v88, 19
	s_and_saveexec_b32 s8, s42
	s_delay_alu instid0(SALU_CYCLE_1)
	s_xor_b32 s8, exec_lo, s8
	s_cbranch_execz .LBB61_52
; %bb.49:                               ;   in Loop: Header=BB61_3 Depth=1
	v_readlane_b32 s42, v87, 13
	s_and_saveexec_b32 s64, s42
; %bb.50:                               ;   in Loop: Header=BB61_3 Depth=1
	ds_store_b64 v3, v[32:33]
; %bb.51:                               ;   in Loop: Header=BB61_3 Depth=1
	s_or_b32 exec_lo, exec_lo, s64
.LBB61_52:                              ;   in Loop: Header=BB61_3 Depth=1
	s_and_not1_saveexec_b32 s8, s8
	s_cbranch_execz .LBB61_54
; %bb.53:                               ;   in Loop: Header=BB61_3 Depth=1
	v_lshl_add_u64 v[38:39], v[16:17], 3, v[36:37]
	global_load_b64 v[38:39], v[38:39], off
	s_wait_loadcnt 0x0
	s_wait_xcnt 0x0
	v_pk_add_f32 v[38:39], v[38:39], 0 neg_lo:[1,1] neg_hi:[1,1]
	ds_store_b64 v3, v[38:39]
.LBB61_54:                              ;   in Loop: Header=BB61_3 Depth=1
	s_or_b32 exec_lo, exec_lo, s8
	;; [unrolled: 24-line block ×3, first 2 shown]
	v_readlane_b32 s42, v88, 23
	s_and_saveexec_b32 s8, s42
	s_delay_alu instid0(SALU_CYCLE_1)
	s_xor_b32 s8, exec_lo, s8
	s_cbranch_execz .LBB61_64
; %bb.61:                               ;   in Loop: Header=BB61_3 Depth=1
	v_readlane_b32 s42, v87, 15
	s_and_saveexec_b32 s64, s42
; %bb.62:                               ;   in Loop: Header=BB61_3 Depth=1
	ds_store_b64 v72, v[32:33]
; %bb.63:                               ;   in Loop: Header=BB61_3 Depth=1
	s_or_b32 exec_lo, exec_lo, s64
                                        ; implicit-def: $vgpr36_vgpr37
.LBB61_64:                              ;   in Loop: Header=BB61_3 Depth=1
	s_and_not1_saveexec_b32 s8, s8
	s_cbranch_execz .LBB61_66
; %bb.65:                               ;   in Loop: Header=BB61_3 Depth=1
	v_lshl_add_u64 v[36:37], v[20:21], 3, v[36:37]
	global_load_b64 v[36:37], v[36:37], off
	s_wait_loadcnt 0x0
	s_wait_xcnt 0x0
	v_pk_add_f32 v[36:37], v[36:37], 0 neg_lo:[1,1] neg_hi:[1,1]
	ds_store_b64 v72, v[36:37]
.LBB61_66:                              ;   in Loop: Header=BB61_3 Depth=1
	s_or_b32 exec_lo, exec_lo, s8
.LBB61_67:                              ;   in Loop: Header=BB61_3 Depth=1
	s_delay_alu instid0(SALU_CYCLE_1)
	s_and_not1_b32 vcc_lo, exec_lo, s44
	s_wait_storecnt_dscnt 0x0
	s_barrier_signal -1
	s_barrier_wait -1
	s_cbranch_vccnz .LBB61_935
; %bb.68:                               ;   in Loop: Header=BB61_3 Depth=1
	s_and_saveexec_b32 s8, s10
; %bb.69:                               ;   in Loop: Header=BB61_3 Depth=1
	ds_store_2addr_b64 v77, v[34:35], v[34:35] offset0:190 offset1:255
; %bb.70:                               ;   in Loop: Header=BB61_3 Depth=1
	s_or_b32 exec_lo, exec_lo, s8
	v_dual_mov_b32 v36, 0 :: v_dual_mov_b32 v37, 0
	s_wait_dscnt 0x0
	s_barrier_signal -1
	s_barrier_wait -1
	global_wb scope:SCOPE_DEV
	s_wait_storecnt 0x0
	global_inv scope:SCOPE_DEV
	s_and_saveexec_b32 s8, s2
	s_cbranch_execz .LBB61_74
; %bb.71:                               ;   in Loop: Header=BB61_3 Depth=1
	ds_load_b64 v[36:37], v5 offset:32224
	ds_load_b64 v[38:39], v45 offset:32752
	s_wait_dscnt 0x0
	v_pk_mul_f32 v[40:41], v[38:39], v[36:37] op_sel:[1,1] op_sel_hi:[0,1]
	s_delay_alu instid0(VALU_DEP_1) | instskip(SKIP_1) | instid1(VALU_DEP_2)
	v_pk_fma_f32 v[42:43], v[38:39], v[36:37], v[40:41] op_sel_hi:[1,0,1]
	v_pk_fma_f32 v[36:37], v[38:39], v[36:37], v[40:41] neg_lo:[0,0,1] neg_hi:[0,0,1]
	v_mov_b32_e32 v37, v43
	s_delay_alu instid0(VALU_DEP_1)
	v_pk_add_f32 v[36:37], v[36:37], 0 op_sel_hi:[1,0]
	s_and_saveexec_b32 s64, s11
	s_cbranch_execz .LBB61_73
; %bb.72:                               ;   in Loop: Header=BB61_3 Depth=1
	ds_load_b64 v[38:39], v46 offset:32736
	ds_load_b64 v[40:41], v7 offset:32760
	s_wait_dscnt 0x0
	v_pk_mul_f32 v[42:43], v[40:41], v[38:39] op_sel:[1,1] op_sel_hi:[0,1]
	s_delay_alu instid0(VALU_DEP_1) | instskip(SKIP_1) | instid1(VALU_DEP_2)
	v_pk_fma_f32 v[78:79], v[40:41], v[38:39], v[42:43] op_sel_hi:[1,0,1]
	v_pk_fma_f32 v[38:39], v[40:41], v[38:39], v[42:43] neg_lo:[0,0,1] neg_hi:[0,0,1]
	v_mov_b32_e32 v39, v79
	s_delay_alu instid0(VALU_DEP_1)
	v_pk_add_f32 v[36:37], v[36:37], v[38:39]
.LBB61_73:                              ;   in Loop: Header=BB61_3 Depth=1
	s_or_b32 exec_lo, exec_lo, s64
.LBB61_74:                              ;   in Loop: Header=BB61_3 Depth=1
	s_delay_alu instid0(SALU_CYCLE_1)
	s_or_b32 exec_lo, exec_lo, s8
	s_and_saveexec_b32 s8, s45
; %bb.75:                               ;   in Loop: Header=BB61_3 Depth=1
	s_delay_alu instid0(VALU_DEP_1)
	v_pk_add_f32 v[38:39], v[36:37], 0 neg_lo:[1,1] neg_hi:[1,1]
	ds_store_b64 v44, v[38:39]
; %bb.76:                               ;   in Loop: Header=BB61_3 Depth=1
	s_or_b32 exec_lo, exec_lo, s8
	s_wait_loadcnt_dscnt 0x0
	s_barrier_signal -1
	s_barrier_wait -1
	s_and_saveexec_b32 s8, s46
	s_cbranch_execz .LBB61_78
; %bb.77:                               ;   in Loop: Header=BB61_3 Depth=1
	ds_load_b64 v[38:39], v7 offset:31712
	ds_load_b64 v[40:41], v44
	s_wait_dscnt 0x0
	v_pk_mul_f32 v[42:43], v[40:41], v[38:39] op_sel_hi:[1,0]
	s_delay_alu instid0(VALU_DEP_1) | instskip(SKIP_1) | instid1(VALU_DEP_2)
	v_pk_fma_f32 v[78:79], v[40:41], v[38:39], v[42:43] op_sel:[1,1,0] op_sel_hi:[0,1,1]
	v_pk_fma_f32 v[38:39], v[40:41], v[38:39], v[42:43] op_sel:[1,1,0] op_sel_hi:[0,1,1] neg_lo:[0,0,1] neg_hi:[0,0,1]
	v_pk_add_f32 v[40:41], v[36:37], v[78:79] neg_lo:[0,1] neg_hi:[0,1]
	s_delay_alu instid0(VALU_DEP_2) | instskip(NEXT) | instid1(VALU_DEP_2)
	v_pk_add_f32 v[36:37], v[36:37], v[38:39]
	v_mov_b32_e32 v37, v41
.LBB61_78:                              ;   in Loop: Header=BB61_3 Depth=1
	s_or_b32 exec_lo, exec_lo, s8
	s_barrier_signal -1
	s_barrier_wait -1
	s_and_saveexec_b32 s8, s46
; %bb.79:                               ;   in Loop: Header=BB61_3 Depth=1
	v_pk_add_f32 v[38:39], v[36:37], 0 neg_lo:[1,1] neg_hi:[1,1]
	ds_store_b64 v44, v[38:39]
; %bb.80:                               ;   in Loop: Header=BB61_3 Depth=1
	s_or_b32 exec_lo, exec_lo, s8
	s_wait_dscnt 0x0
	s_barrier_signal -1
	s_barrier_wait -1
	s_barrier_signal -1
	s_barrier_wait -1
	s_and_saveexec_b32 s8, s2
; %bb.81:                               ;   in Loop: Header=BB61_3 Depth=1
	ds_store_b64 v47, v[36:37] offset:32736
; %bb.82:                               ;   in Loop: Header=BB61_3 Depth=1
	s_or_b32 exec_lo, exec_lo, s8
	s_wait_dscnt 0x0
	s_barrier_signal -1
	s_barrier_wait -1
	s_barrier_signal -1
	s_barrier_wait -1
	s_and_saveexec_b32 s8, s10
; %bb.83:                               ;   in Loop: Header=BB61_3 Depth=1
	ds_store_2addr_b64 v77, v[34:35], v[34:35] offset0:60 offset1:125
; %bb.84:                               ;   in Loop: Header=BB61_3 Depth=1
	s_or_b32 exec_lo, exec_lo, s8
	v_mov_b64_e32 v[36:37], 0
	s_wait_dscnt 0x0
	s_barrier_signal -1
	s_barrier_wait -1
	global_wb scope:SCOPE_DEV
	s_wait_storecnt 0x0
	global_inv scope:SCOPE_DEV
	s_and_saveexec_b32 s98, s3
	s_cbranch_execz .LBB61_90
; %bb.85:                               ;   in Loop: Header=BB61_3 Depth=1
	ds_load_b64 v[36:37], v49 offset:31168
	ds_load_b64 v[38:39], v50 offset:32736
	s_wait_dscnt 0x0
	v_dual_mul_f32 v40, v39, v37 :: v_dual_mul_f32 v37, v38, v37
	s_delay_alu instid0(VALU_DEP_1) | instskip(NEXT) | instid1(VALU_DEP_1)
	v_dual_fma_f32 v38, v38, v36, -v40 :: v_dual_fmac_f32 v37, v39, v36
	v_dual_add_f32 v36, 0, v38 :: v_dual_add_f32 v37, 0, v37
	s_and_saveexec_b32 s8, s12
	s_cbranch_execnz .LBB61_1000
; %bb.86:                               ;   in Loop: Header=BB61_3 Depth=1
	s_or_b32 exec_lo, exec_lo, s8
	s_and_saveexec_b32 s8, s13
	s_cbranch_execnz .LBB61_1001
.LBB61_87:                              ;   in Loop: Header=BB61_3 Depth=1
	s_or_b32 exec_lo, exec_lo, s8
	s_and_saveexec_b32 s8, s2
	s_cbranch_execz .LBB61_89
.LBB61_88:                              ;   in Loop: Header=BB61_3 Depth=1
	ds_load_b64 v[38:39], v46 offset:32704
	ds_load_b64 v[40:41], v7 offset:32760
	s_wait_dscnt 0x0
	v_pk_mul_f32 v[42:43], v[40:41], v[38:39] op_sel:[1,1] op_sel_hi:[0,1]
	s_delay_alu instid0(VALU_DEP_1) | instskip(SKIP_1) | instid1(VALU_DEP_2)
	v_pk_fma_f32 v[78:79], v[40:41], v[38:39], v[42:43] op_sel_hi:[1,0,1]
	v_pk_fma_f32 v[38:39], v[40:41], v[38:39], v[42:43] neg_lo:[0,0,1] neg_hi:[0,0,1]
	v_mov_b32_e32 v39, v79
	s_delay_alu instid0(VALU_DEP_1)
	v_pk_add_f32 v[36:37], v[36:37], v[38:39]
.LBB61_89:                              ;   in Loop: Header=BB61_3 Depth=1
	s_or_b32 exec_lo, exec_lo, s8
.LBB61_90:                              ;   in Loop: Header=BB61_3 Depth=1
	s_delay_alu instid0(SALU_CYCLE_1)
	s_or_b32 exec_lo, exec_lo, s98
	s_and_saveexec_b32 s8, s47
; %bb.91:                               ;   in Loop: Header=BB61_3 Depth=1
	s_delay_alu instid0(VALU_DEP_1)
	v_pk_add_f32 v[38:39], v[36:37], 0 neg_lo:[1,1] neg_hi:[1,1]
	ds_store_b64 v48, v[38:39]
; %bb.92:                               ;   in Loop: Header=BB61_3 Depth=1
	s_or_b32 exec_lo, exec_lo, s8
	s_wait_loadcnt_dscnt 0x0
	s_barrier_signal -1
	s_barrier_wait -1
	s_and_saveexec_b32 s8, s48
	s_cbranch_execz .LBB61_94
; %bb.93:                               ;   in Loop: Header=BB61_3 Depth=1
	ds_load_b64 v[38:39], v49 offset:30656
	ds_load_b64 v[40:41], v48
	s_wait_dscnt 0x0
	v_pk_mul_f32 v[42:43], v[40:41], v[38:39] op_sel:[1,1] op_sel_hi:[0,1]
	s_delay_alu instid0(VALU_DEP_1) | instskip(SKIP_1) | instid1(VALU_DEP_2)
	v_pk_fma_f32 v[78:79], v[40:41], v[38:39], v[42:43] op_sel_hi:[1,0,1]
	v_pk_fma_f32 v[38:39], v[40:41], v[38:39], v[42:43] neg_lo:[0,0,1] neg_hi:[0,0,1]
	v_mov_b32_e32 v39, v79
	s_delay_alu instid0(VALU_DEP_1)
	v_pk_add_f32 v[36:37], v[36:37], v[38:39] neg_lo:[0,1] neg_hi:[0,1]
.LBB61_94:                              ;   in Loop: Header=BB61_3 Depth=1
	s_or_b32 exec_lo, exec_lo, s8
	s_barrier_signal -1
	s_barrier_wait -1
	s_and_saveexec_b32 s8, s49
; %bb.95:                               ;   in Loop: Header=BB61_3 Depth=1
	v_pk_add_f32 v[38:39], v[36:37], 0 neg_lo:[1,1] neg_hi:[1,1]
	ds_store_b64 v48, v[38:39]
; %bb.96:                               ;   in Loop: Header=BB61_3 Depth=1
	s_or_b32 exec_lo, exec_lo, s8
	s_wait_dscnt 0x0
	s_barrier_signal -1
	s_barrier_wait -1
	s_and_saveexec_b32 s8, s50
	s_cbranch_execz .LBB61_98
; %bb.97:                               ;   in Loop: Header=BB61_3 Depth=1
	ds_load_b64 v[38:39], v49 offset:30144
	ds_load_b64 v[40:41], v48
	s_wait_dscnt 0x0
	v_pk_mul_f32 v[42:43], v[40:41], v[38:39] op_sel:[1,1] op_sel_hi:[0,1]
	s_delay_alu instid0(VALU_DEP_1) | instskip(SKIP_1) | instid1(VALU_DEP_2)
	v_pk_fma_f32 v[78:79], v[40:41], v[38:39], v[42:43] op_sel_hi:[1,0,1]
	v_pk_fma_f32 v[38:39], v[40:41], v[38:39], v[42:43] neg_lo:[0,0,1] neg_hi:[0,0,1]
	v_mov_b32_e32 v39, v79
	s_delay_alu instid0(VALU_DEP_1)
	v_pk_add_f32 v[36:37], v[36:37], v[38:39] neg_lo:[0,1] neg_hi:[0,1]
.LBB61_98:                              ;   in Loop: Header=BB61_3 Depth=1
	s_or_b32 exec_lo, exec_lo, s8
	s_barrier_signal -1
	s_barrier_wait -1
	s_and_saveexec_b32 s8, s51
; %bb.99:                               ;   in Loop: Header=BB61_3 Depth=1
	v_pk_add_f32 v[38:39], v[36:37], 0 neg_lo:[1,1] neg_hi:[1,1]
	ds_store_b64 v48, v[38:39]
; %bb.100:                              ;   in Loop: Header=BB61_3 Depth=1
	s_or_b32 exec_lo, exec_lo, s8
	s_wait_dscnt 0x0
	s_barrier_signal -1
	s_barrier_wait -1
	s_and_saveexec_b32 s8, s52
	s_cbranch_execz .LBB61_102
; %bb.101:                              ;   in Loop: Header=BB61_3 Depth=1
	ds_load_b64 v[38:39], v7 offset:29632
	ds_load_b64 v[40:41], v48
	s_wait_dscnt 0x0
	v_pk_mul_f32 v[42:43], v[40:41], v[38:39] op_sel:[1,1] op_sel_hi:[0,1]
	s_delay_alu instid0(VALU_DEP_1) | instskip(SKIP_1) | instid1(VALU_DEP_2)
	v_pk_fma_f32 v[78:79], v[40:41], v[38:39], v[42:43] op_sel_hi:[1,0,1]
	v_pk_fma_f32 v[38:39], v[40:41], v[38:39], v[42:43] neg_lo:[0,0,1] neg_hi:[0,0,1]
	v_mov_b32_e32 v39, v79
	s_delay_alu instid0(VALU_DEP_1)
	v_pk_add_f32 v[36:37], v[36:37], v[38:39] neg_lo:[0,1] neg_hi:[0,1]
.LBB61_102:                             ;   in Loop: Header=BB61_3 Depth=1
	s_or_b32 exec_lo, exec_lo, s8
	s_barrier_signal -1
	s_barrier_wait -1
	s_and_saveexec_b32 s8, s52
; %bb.103:                              ;   in Loop: Header=BB61_3 Depth=1
	v_pk_add_f32 v[38:39], v[36:37], 0 neg_lo:[1,1] neg_hi:[1,1]
	ds_store_b64 v48, v[38:39]
; %bb.104:                              ;   in Loop: Header=BB61_3 Depth=1
	s_or_b32 exec_lo, exec_lo, s8
	s_wait_dscnt 0x0
	s_barrier_signal -1
	s_barrier_wait -1
	s_barrier_signal -1
	s_barrier_wait -1
	s_and_saveexec_b32 s8, s3
; %bb.105:                              ;   in Loop: Header=BB61_3 Depth=1
	ds_store_b64 v52, v[36:37] offset:32704
; %bb.106:                              ;   in Loop: Header=BB61_3 Depth=1
	s_or_b32 exec_lo, exec_lo, s8
	s_wait_dscnt 0x0
	s_barrier_signal -1
	s_barrier_wait -1
	s_barrier_signal -1
	s_barrier_wait -1
	s_and_saveexec_b32 s8, s10
; %bb.107:                              ;   in Loop: Header=BB61_3 Depth=1
	v_add_nc_u32_e64 v36, 0x7000, 0
	ds_store_2addr_b64 v36, v[34:35], v[34:35] offset0:186 offset1:251
; %bb.108:                              ;   in Loop: Header=BB61_3 Depth=1
	s_or_b32 exec_lo, exec_lo, s8
	v_dual_mov_b32 v36, 0 :: v_dual_mov_b32 v37, 0
	s_wait_dscnt 0x0
	s_barrier_signal -1
	s_barrier_wait -1
	global_wb scope:SCOPE_DEV
	s_wait_storecnt 0x0
	global_inv scope:SCOPE_DEV
	s_and_saveexec_b32 s8, s2
	s_cbranch_execz .LBB61_112
; %bb.109:                              ;   in Loop: Header=BB61_3 Depth=1
	ds_load_b64 v[36:37], v5 offset:30144
	ds_load_b64 v[38:39], v45 offset:30672
	s_wait_dscnt 0x0
	v_pk_mul_f32 v[40:41], v[38:39], v[36:37] op_sel:[1,1] op_sel_hi:[0,1]
	s_delay_alu instid0(VALU_DEP_1) | instskip(SKIP_1) | instid1(VALU_DEP_2)
	v_pk_fma_f32 v[42:43], v[38:39], v[36:37], v[40:41] op_sel_hi:[1,0,1]
	v_pk_fma_f32 v[36:37], v[38:39], v[36:37], v[40:41] neg_lo:[0,0,1] neg_hi:[0,0,1]
	v_mov_b32_e32 v37, v43
	s_delay_alu instid0(VALU_DEP_1)
	v_pk_add_f32 v[36:37], v[36:37], 0 op_sel_hi:[1,0]
	s_and_saveexec_b32 s64, s11
	s_cbranch_execz .LBB61_111
; %bb.110:                              ;   in Loop: Header=BB61_3 Depth=1
	ds_load_b64 v[38:39], v46 offset:30656
	ds_load_b64 v[40:41], v7 offset:30680
	s_wait_dscnt 0x0
	v_pk_mul_f32 v[42:43], v[40:41], v[38:39] op_sel:[1,1] op_sel_hi:[0,1]
	s_delay_alu instid0(VALU_DEP_1) | instskip(SKIP_1) | instid1(VALU_DEP_2)
	v_pk_fma_f32 v[78:79], v[40:41], v[38:39], v[42:43] op_sel_hi:[1,0,1]
	v_pk_fma_f32 v[38:39], v[40:41], v[38:39], v[42:43] neg_lo:[0,0,1] neg_hi:[0,0,1]
	v_mov_b32_e32 v39, v79
	s_delay_alu instid0(VALU_DEP_1)
	v_pk_add_f32 v[36:37], v[36:37], v[38:39]
.LBB61_111:                             ;   in Loop: Header=BB61_3 Depth=1
	s_or_b32 exec_lo, exec_lo, s64
.LBB61_112:                             ;   in Loop: Header=BB61_3 Depth=1
	s_delay_alu instid0(SALU_CYCLE_1)
	s_or_b32 exec_lo, exec_lo, s8
	s_and_saveexec_b32 s8, s45
; %bb.113:                              ;   in Loop: Header=BB61_3 Depth=1
	s_delay_alu instid0(VALU_DEP_1)
	v_pk_add_f32 v[38:39], v[36:37], 0 neg_lo:[1,1] neg_hi:[1,1]
	ds_store_b64 v44, v[38:39]
; %bb.114:                              ;   in Loop: Header=BB61_3 Depth=1
	s_or_b32 exec_lo, exec_lo, s8
	s_wait_loadcnt_dscnt 0x0
	s_barrier_signal -1
	s_barrier_wait -1
	s_and_saveexec_b32 s8, s46
	s_cbranch_execz .LBB61_116
; %bb.115:                              ;   in Loop: Header=BB61_3 Depth=1
	ds_load_b64 v[38:39], v7 offset:29632
	ds_load_b64 v[40:41], v44
	s_wait_dscnt 0x0
	v_pk_mul_f32 v[42:43], v[40:41], v[38:39] op_sel_hi:[1,0]
	s_delay_alu instid0(VALU_DEP_1) | instskip(SKIP_1) | instid1(VALU_DEP_2)
	v_pk_fma_f32 v[78:79], v[40:41], v[38:39], v[42:43] op_sel:[1,1,0] op_sel_hi:[0,1,1]
	v_pk_fma_f32 v[38:39], v[40:41], v[38:39], v[42:43] op_sel:[1,1,0] op_sel_hi:[0,1,1] neg_lo:[0,0,1] neg_hi:[0,0,1]
	v_pk_add_f32 v[40:41], v[36:37], v[78:79] neg_lo:[0,1] neg_hi:[0,1]
	s_delay_alu instid0(VALU_DEP_2) | instskip(NEXT) | instid1(VALU_DEP_2)
	v_pk_add_f32 v[36:37], v[36:37], v[38:39]
	v_mov_b32_e32 v37, v41
.LBB61_116:                             ;   in Loop: Header=BB61_3 Depth=1
	s_or_b32 exec_lo, exec_lo, s8
	s_barrier_signal -1
	s_barrier_wait -1
	s_and_saveexec_b32 s8, s46
; %bb.117:                              ;   in Loop: Header=BB61_3 Depth=1
	v_pk_add_f32 v[38:39], v[36:37], 0 neg_lo:[1,1] neg_hi:[1,1]
	ds_store_b64 v44, v[38:39]
; %bb.118:                              ;   in Loop: Header=BB61_3 Depth=1
	s_or_b32 exec_lo, exec_lo, s8
	s_wait_dscnt 0x0
	s_barrier_signal -1
	s_barrier_wait -1
	s_barrier_signal -1
	s_barrier_wait -1
	s_and_saveexec_b32 s8, s2
; %bb.119:                              ;   in Loop: Header=BB61_3 Depth=1
	ds_store_b64 v47, v[36:37] offset:30656
; %bb.120:                              ;   in Loop: Header=BB61_3 Depth=1
	s_or_b32 exec_lo, exec_lo, s8
	s_wait_dscnt 0x0
	s_barrier_signal -1
	s_barrier_wait -1
	s_barrier_signal -1
	s_barrier_wait -1
	s_and_saveexec_b32 s8, s10
; %bb.121:                              ;   in Loop: Header=BB61_3 Depth=1
	v_add_nc_u32_e64 v36, 0x7000, 0
	ds_store_2addr_b64 v36, v[34:35], v[34:35] offset0:56 offset1:121
; %bb.122:                              ;   in Loop: Header=BB61_3 Depth=1
	s_or_b32 exec_lo, exec_lo, s8
	v_mov_b64_e32 v[36:37], 0
	s_wait_dscnt 0x0
	s_barrier_signal -1
	s_barrier_wait -1
	global_wb scope:SCOPE_DEV
	s_wait_storecnt 0x0
	global_inv scope:SCOPE_DEV
	s_and_saveexec_b32 s98, s4
	s_cbranch_execz .LBB61_132
; %bb.123:                              ;   in Loop: Header=BB61_3 Depth=1
	ds_load_b64 v[36:37], v51 offset:29056
	ds_load_b64 v[38:39], v54 offset:32704
	s_wait_dscnt 0x0
	v_dual_mul_f32 v40, v39, v37 :: v_dual_mul_f32 v37, v38, v37
	s_delay_alu instid0(VALU_DEP_1) | instskip(NEXT) | instid1(VALU_DEP_1)
	v_dual_fma_f32 v38, v38, v36, -v40 :: v_dual_fmac_f32 v37, v39, v36
	v_dual_add_f32 v36, 0, v38 :: v_dual_add_f32 v37, 0, v37
	s_and_saveexec_b32 s8, s14
	s_cbranch_execnz .LBB61_1002
; %bb.124:                              ;   in Loop: Header=BB61_3 Depth=1
	s_or_b32 exec_lo, exec_lo, s8
	s_and_saveexec_b32 s8, s15
	s_cbranch_execnz .LBB61_1003
.LBB61_125:                             ;   in Loop: Header=BB61_3 Depth=1
	s_or_b32 exec_lo, exec_lo, s8
	s_and_saveexec_b32 s8, s16
	s_cbranch_execnz .LBB61_1004
.LBB61_126:                             ;   in Loop: Header=BB61_3 Depth=1
	s_or_b32 exec_lo, exec_lo, s8
	s_and_saveexec_b32 s8, s17
	s_cbranch_execnz .LBB61_1005
.LBB61_127:                             ;   in Loop: Header=BB61_3 Depth=1
	s_or_b32 exec_lo, exec_lo, s8
	s_and_saveexec_b32 s8, s18
	s_cbranch_execnz .LBB61_1006
.LBB61_128:                             ;   in Loop: Header=BB61_3 Depth=1
	s_or_b32 exec_lo, exec_lo, s8
	s_and_saveexec_b32 s8, s3
	s_cbranch_execnz .LBB61_1007
.LBB61_129:                             ;   in Loop: Header=BB61_3 Depth=1
	s_or_b32 exec_lo, exec_lo, s8
	s_and_saveexec_b32 s8, s13
	s_cbranch_execz .LBB61_131
.LBB61_130:                             ;   in Loop: Header=BB61_3 Depth=1
	ds_load_b64 v[38:39], v46 offset:32640
	ds_load_b64 v[40:41], v7 offset:32760
	s_wait_dscnt 0x0
	v_pk_mul_f32 v[42:43], v[40:41], v[38:39] op_sel:[1,1] op_sel_hi:[0,1]
	s_delay_alu instid0(VALU_DEP_1) | instskip(SKIP_1) | instid1(VALU_DEP_2)
	v_pk_fma_f32 v[78:79], v[40:41], v[38:39], v[42:43] op_sel_hi:[1,0,1]
	v_pk_fma_f32 v[38:39], v[40:41], v[38:39], v[42:43] neg_lo:[0,0,1] neg_hi:[0,0,1]
	v_mov_b32_e32 v39, v79
	s_delay_alu instid0(VALU_DEP_1)
	v_pk_add_f32 v[36:37], v[36:37], v[38:39]
.LBB61_131:                             ;   in Loop: Header=BB61_3 Depth=1
	s_or_b32 exec_lo, exec_lo, s8
.LBB61_132:                             ;   in Loop: Header=BB61_3 Depth=1
	s_delay_alu instid0(SALU_CYCLE_1)
	s_or_b32 exec_lo, exec_lo, s98
	s_and_saveexec_b32 s8, s53
; %bb.133:                              ;   in Loop: Header=BB61_3 Depth=1
	s_delay_alu instid0(VALU_DEP_1)
	v_pk_add_f32 v[38:39], v[36:37], 0 neg_lo:[1,1] neg_hi:[1,1]
	ds_store_b64 v53, v[38:39]
; %bb.134:                              ;   in Loop: Header=BB61_3 Depth=1
	s_or_b32 exec_lo, exec_lo, s8
	s_wait_loadcnt_dscnt 0x0
	s_barrier_signal -1
	s_barrier_wait -1
	s_and_saveexec_b32 s8, s54
	s_cbranch_execz .LBB61_136
; %bb.135:                              ;   in Loop: Header=BB61_3 Depth=1
	ds_load_b64 v[38:39], v51 offset:28544
	ds_load_b64 v[40:41], v53
	s_wait_dscnt 0x0
	v_pk_mul_f32 v[42:43], v[40:41], v[38:39] op_sel:[1,1] op_sel_hi:[0,1]
	s_delay_alu instid0(VALU_DEP_1) | instskip(SKIP_1) | instid1(VALU_DEP_2)
	v_pk_fma_f32 v[78:79], v[40:41], v[38:39], v[42:43] op_sel_hi:[1,0,1]
	v_pk_fma_f32 v[38:39], v[40:41], v[38:39], v[42:43] neg_lo:[0,0,1] neg_hi:[0,0,1]
	v_mov_b32_e32 v39, v79
	s_delay_alu instid0(VALU_DEP_1)
	v_pk_add_f32 v[36:37], v[36:37], v[38:39] neg_lo:[0,1] neg_hi:[0,1]
.LBB61_136:                             ;   in Loop: Header=BB61_3 Depth=1
	s_or_b32 exec_lo, exec_lo, s8
	s_barrier_signal -1
	s_barrier_wait -1
	s_and_saveexec_b32 s8, s55
; %bb.137:                              ;   in Loop: Header=BB61_3 Depth=1
	v_pk_add_f32 v[38:39], v[36:37], 0 neg_lo:[1,1] neg_hi:[1,1]
	ds_store_b64 v53, v[38:39]
; %bb.138:                              ;   in Loop: Header=BB61_3 Depth=1
	s_or_b32 exec_lo, exec_lo, s8
	s_wait_dscnt 0x0
	s_barrier_signal -1
	s_barrier_wait -1
	s_and_saveexec_b32 s8, s56
	s_cbranch_execz .LBB61_140
; %bb.139:                              ;   in Loop: Header=BB61_3 Depth=1
	ds_load_b64 v[38:39], v51 offset:28032
	ds_load_b64 v[40:41], v53
	s_wait_dscnt 0x0
	v_dual_mul_f32 v42, v41, v39 :: v_dual_mul_f32 v39, v40, v39
	s_delay_alu instid0(VALU_DEP_1) | instskip(NEXT) | instid1(VALU_DEP_1)
	v_dual_fma_f32 v40, v40, v38, -v42 :: v_dual_fmac_f32 v39, v41, v38
	v_dual_sub_f32 v36, v36, v40 :: v_dual_sub_f32 v37, v37, v39
.LBB61_140:                             ;   in Loop: Header=BB61_3 Depth=1
	s_or_b32 exec_lo, exec_lo, s8
	s_barrier_signal -1
	s_barrier_wait -1
	s_and_saveexec_b32 s8, s57
; %bb.141:                              ;   in Loop: Header=BB61_3 Depth=1
	v_pk_add_f32 v[38:39], v[36:37], 0 neg_lo:[1,1] neg_hi:[1,1]
	ds_store_b64 v53, v[38:39]
; %bb.142:                              ;   in Loop: Header=BB61_3 Depth=1
	s_or_b32 exec_lo, exec_lo, s8
	s_wait_dscnt 0x0
	s_barrier_signal -1
	s_barrier_wait -1
	s_and_saveexec_b32 s8, s58
	s_cbranch_execz .LBB61_144
; %bb.143:                              ;   in Loop: Header=BB61_3 Depth=1
	ds_load_b64 v[38:39], v51 offset:27520
	ds_load_b64 v[40:41], v53
	s_wait_dscnt 0x0
	v_dual_mul_f32 v42, v41, v39 :: v_dual_mul_f32 v43, v40, v39
	s_delay_alu instid0(VALU_DEP_1) | instskip(NEXT) | instid1(VALU_DEP_1)
	v_dual_fma_f32 v42, v40, v38, -v42 :: v_dual_fmac_f32 v43, v41, v38
	v_pk_add_f32 v[36:37], v[36:37], v[42:43] neg_lo:[0,1] neg_hi:[0,1]
.LBB61_144:                             ;   in Loop: Header=BB61_3 Depth=1
	s_or_b32 exec_lo, exec_lo, s8
	s_barrier_signal -1
	s_barrier_wait -1
	s_and_saveexec_b32 s8, s59
; %bb.145:                              ;   in Loop: Header=BB61_3 Depth=1
	v_pk_add_f32 v[38:39], v[36:37], 0 neg_lo:[1,1] neg_hi:[1,1]
	ds_store_b64 v53, v[38:39]
; %bb.146:                              ;   in Loop: Header=BB61_3 Depth=1
	s_or_b32 exec_lo, exec_lo, s8
	s_wait_dscnt 0x0
	s_barrier_signal -1
	s_barrier_wait -1
	s_and_saveexec_b32 s8, s60
	s_cbranch_execz .LBB61_148
; %bb.147:                              ;   in Loop: Header=BB61_3 Depth=1
	ds_load_b64 v[38:39], v51 offset:27008
	ds_load_b64 v[40:41], v53
	s_wait_dscnt 0x0
	v_pk_mul_f32 v[42:43], v[40:41], v[38:39] op_sel:[1,1] op_sel_hi:[0,1]
	s_delay_alu instid0(VALU_DEP_1) | instskip(SKIP_1) | instid1(VALU_DEP_2)
	v_pk_fma_f32 v[78:79], v[40:41], v[38:39], v[42:43] op_sel_hi:[1,0,1]
	v_pk_fma_f32 v[38:39], v[40:41], v[38:39], v[42:43] neg_lo:[0,0,1] neg_hi:[0,0,1]
	v_mov_b32_e32 v39, v79
	s_delay_alu instid0(VALU_DEP_1)
	v_pk_add_f32 v[36:37], v[36:37], v[38:39] neg_lo:[0,1] neg_hi:[0,1]
.LBB61_148:                             ;   in Loop: Header=BB61_3 Depth=1
	s_or_b32 exec_lo, exec_lo, s8
	s_barrier_signal -1
	s_barrier_wait -1
	s_and_saveexec_b32 s8, s61
; %bb.149:                              ;   in Loop: Header=BB61_3 Depth=1
	v_pk_add_f32 v[38:39], v[36:37], 0 neg_lo:[1,1] neg_hi:[1,1]
	ds_store_b64 v53, v[38:39]
; %bb.150:                              ;   in Loop: Header=BB61_3 Depth=1
	s_or_b32 exec_lo, exec_lo, s8
	s_wait_dscnt 0x0
	s_barrier_signal -1
	s_barrier_wait -1
	s_and_saveexec_b32 s8, s62
	s_cbranch_execz .LBB61_152
; %bb.151:                              ;   in Loop: Header=BB61_3 Depth=1
	ds_load_b64 v[38:39], v51 offset:26496
	ds_load_b64 v[40:41], v53
	s_wait_dscnt 0x0
	v_pk_mul_f32 v[42:43], v[40:41], v[38:39] op_sel:[1,1] op_sel_hi:[0,1]
	s_delay_alu instid0(VALU_DEP_1) | instskip(SKIP_1) | instid1(VALU_DEP_2)
	v_pk_fma_f32 v[78:79], v[40:41], v[38:39], v[42:43] op_sel_hi:[1,0,1]
	v_pk_fma_f32 v[38:39], v[40:41], v[38:39], v[42:43] neg_lo:[0,0,1] neg_hi:[0,0,1]
	v_mov_b32_e32 v39, v79
	s_delay_alu instid0(VALU_DEP_1)
	v_pk_add_f32 v[36:37], v[36:37], v[38:39] neg_lo:[0,1] neg_hi:[0,1]
.LBB61_152:                             ;   in Loop: Header=BB61_3 Depth=1
	;; [unrolled: 26-line block ×4, first 2 shown]
	s_or_b32 exec_lo, exec_lo, s8
	s_barrier_signal -1
	s_barrier_wait -1
	s_and_saveexec_b32 s8, s23
; %bb.161:                              ;   in Loop: Header=BB61_3 Depth=1
	v_pk_add_f32 v[38:39], v[36:37], 0 neg_lo:[1,1] neg_hi:[1,1]
	ds_store_b64 v53, v[38:39]
; %bb.162:                              ;   in Loop: Header=BB61_3 Depth=1
	s_or_b32 exec_lo, exec_lo, s8
	s_wait_dscnt 0x0
	s_barrier_signal -1
	s_barrier_wait -1
	s_barrier_signal -1
	s_barrier_wait -1
	s_and_saveexec_b32 s8, s4
; %bb.163:                              ;   in Loop: Header=BB61_3 Depth=1
	ds_store_b64 v55, v[36:37] offset:32640
; %bb.164:                              ;   in Loop: Header=BB61_3 Depth=1
	s_or_b32 exec_lo, exec_lo, s8
	s_wait_dscnt 0x0
	s_barrier_signal -1
	s_barrier_wait -1
	s_barrier_signal -1
	s_barrier_wait -1
	s_and_saveexec_b32 s8, s10
; %bb.165:                              ;   in Loop: Header=BB61_3 Depth=1
	v_add_nc_u32_e64 v36, 0x6800, 0
	ds_store_2addr_b64 v36, v[34:35], v[34:35] offset0:182 offset1:247
; %bb.166:                              ;   in Loop: Header=BB61_3 Depth=1
	s_or_b32 exec_lo, exec_lo, s8
	v_dual_mov_b32 v36, 0 :: v_dual_mov_b32 v37, 0
	s_wait_dscnt 0x0
	s_barrier_signal -1
	s_barrier_wait -1
	global_wb scope:SCOPE_DEV
	s_wait_storecnt 0x0
	global_inv scope:SCOPE_DEV
	s_and_saveexec_b32 s8, s2
	s_cbranch_execz .LBB61_170
; %bb.167:                              ;   in Loop: Header=BB61_3 Depth=1
	ds_load_b64 v[36:37], v5 offset:28064
	ds_load_b64 v[38:39], v45 offset:28592
	s_wait_dscnt 0x0
	v_pk_mul_f32 v[40:41], v[38:39], v[36:37] op_sel:[1,1] op_sel_hi:[0,1]
	s_delay_alu instid0(VALU_DEP_1) | instskip(SKIP_1) | instid1(VALU_DEP_2)
	v_pk_fma_f32 v[42:43], v[38:39], v[36:37], v[40:41] op_sel_hi:[1,0,1]
	v_pk_fma_f32 v[36:37], v[38:39], v[36:37], v[40:41] neg_lo:[0,0,1] neg_hi:[0,0,1]
	v_mov_b32_e32 v37, v43
	s_delay_alu instid0(VALU_DEP_1)
	v_pk_add_f32 v[36:37], v[36:37], 0 op_sel_hi:[1,0]
	s_and_saveexec_b32 s64, s11
	s_cbranch_execz .LBB61_169
; %bb.168:                              ;   in Loop: Header=BB61_3 Depth=1
	ds_load_b64 v[38:39], v46 offset:28576
	ds_load_b64 v[40:41], v7 offset:28600
	s_wait_dscnt 0x0
	v_pk_mul_f32 v[42:43], v[40:41], v[38:39] op_sel:[1,1] op_sel_hi:[0,1]
	s_delay_alu instid0(VALU_DEP_1) | instskip(SKIP_1) | instid1(VALU_DEP_2)
	v_pk_fma_f32 v[78:79], v[40:41], v[38:39], v[42:43] op_sel_hi:[1,0,1]
	v_pk_fma_f32 v[38:39], v[40:41], v[38:39], v[42:43] neg_lo:[0,0,1] neg_hi:[0,0,1]
	v_mov_b32_e32 v39, v79
	s_delay_alu instid0(VALU_DEP_1)
	v_pk_add_f32 v[36:37], v[36:37], v[38:39]
.LBB61_169:                             ;   in Loop: Header=BB61_3 Depth=1
	s_or_b32 exec_lo, exec_lo, s64
.LBB61_170:                             ;   in Loop: Header=BB61_3 Depth=1
	s_delay_alu instid0(SALU_CYCLE_1)
	s_or_b32 exec_lo, exec_lo, s8
	s_and_saveexec_b32 s8, s45
; %bb.171:                              ;   in Loop: Header=BB61_3 Depth=1
	s_delay_alu instid0(VALU_DEP_1)
	v_pk_add_f32 v[38:39], v[36:37], 0 neg_lo:[1,1] neg_hi:[1,1]
	ds_store_b64 v44, v[38:39]
; %bb.172:                              ;   in Loop: Header=BB61_3 Depth=1
	s_or_b32 exec_lo, exec_lo, s8
	s_wait_loadcnt_dscnt 0x0
	s_barrier_signal -1
	s_barrier_wait -1
	s_and_saveexec_b32 s8, s46
	s_cbranch_execz .LBB61_174
; %bb.173:                              ;   in Loop: Header=BB61_3 Depth=1
	ds_load_b64 v[38:39], v7 offset:27552
	ds_load_b64 v[40:41], v44
	s_wait_dscnt 0x0
	v_pk_mul_f32 v[42:43], v[40:41], v[38:39] op_sel_hi:[1,0]
	s_delay_alu instid0(VALU_DEP_1) | instskip(SKIP_1) | instid1(VALU_DEP_2)
	v_pk_fma_f32 v[78:79], v[40:41], v[38:39], v[42:43] op_sel:[1,1,0] op_sel_hi:[0,1,1]
	v_pk_fma_f32 v[38:39], v[40:41], v[38:39], v[42:43] op_sel:[1,1,0] op_sel_hi:[0,1,1] neg_lo:[0,0,1] neg_hi:[0,0,1]
	v_pk_add_f32 v[40:41], v[36:37], v[78:79] neg_lo:[0,1] neg_hi:[0,1]
	s_delay_alu instid0(VALU_DEP_2) | instskip(NEXT) | instid1(VALU_DEP_2)
	v_pk_add_f32 v[36:37], v[36:37], v[38:39]
	v_mov_b32_e32 v37, v41
.LBB61_174:                             ;   in Loop: Header=BB61_3 Depth=1
	s_or_b32 exec_lo, exec_lo, s8
	s_barrier_signal -1
	s_barrier_wait -1
	s_and_saveexec_b32 s8, s46
; %bb.175:                              ;   in Loop: Header=BB61_3 Depth=1
	v_pk_add_f32 v[38:39], v[36:37], 0 neg_lo:[1,1] neg_hi:[1,1]
	ds_store_b64 v44, v[38:39]
; %bb.176:                              ;   in Loop: Header=BB61_3 Depth=1
	s_or_b32 exec_lo, exec_lo, s8
	s_wait_dscnt 0x0
	s_barrier_signal -1
	s_barrier_wait -1
	s_barrier_signal -1
	s_barrier_wait -1
	s_and_saveexec_b32 s8, s2
; %bb.177:                              ;   in Loop: Header=BB61_3 Depth=1
	ds_store_b64 v47, v[36:37] offset:28576
; %bb.178:                              ;   in Loop: Header=BB61_3 Depth=1
	s_or_b32 exec_lo, exec_lo, s8
	s_wait_dscnt 0x0
	s_barrier_signal -1
	s_barrier_wait -1
	s_barrier_signal -1
	s_barrier_wait -1
	s_and_saveexec_b32 s8, s10
; %bb.179:                              ;   in Loop: Header=BB61_3 Depth=1
	v_add_nc_u32_e64 v36, 0x6800, 0
	ds_store_2addr_b64 v36, v[34:35], v[34:35] offset0:52 offset1:117
; %bb.180:                              ;   in Loop: Header=BB61_3 Depth=1
	s_or_b32 exec_lo, exec_lo, s8
	v_mov_b64_e32 v[36:37], 0
	s_wait_dscnt 0x0
	s_barrier_signal -1
	s_barrier_wait -1
	global_wb scope:SCOPE_DEV
	s_wait_storecnt 0x0
	global_inv scope:SCOPE_DEV
	s_and_saveexec_b32 s98, s3
	s_cbranch_execz .LBB61_186
; %bb.181:                              ;   in Loop: Header=BB61_3 Depth=1
	ds_load_b64 v[36:37], v49 offset:27008
	ds_load_b64 v[38:39], v50 offset:28576
	s_wait_dscnt 0x0
	v_dual_mul_f32 v40, v39, v37 :: v_dual_mul_f32 v37, v38, v37
	s_delay_alu instid0(VALU_DEP_1) | instskip(NEXT) | instid1(VALU_DEP_1)
	v_dual_fma_f32 v38, v38, v36, -v40 :: v_dual_fmac_f32 v37, v39, v36
	v_dual_add_f32 v36, 0, v38 :: v_dual_add_f32 v37, 0, v37
	s_and_saveexec_b32 s8, s12
	s_cbranch_execnz .LBB61_1008
; %bb.182:                              ;   in Loop: Header=BB61_3 Depth=1
	s_or_b32 exec_lo, exec_lo, s8
	s_and_saveexec_b32 s8, s13
	s_cbranch_execnz .LBB61_1009
.LBB61_183:                             ;   in Loop: Header=BB61_3 Depth=1
	s_or_b32 exec_lo, exec_lo, s8
	s_and_saveexec_b32 s8, s2
	s_cbranch_execz .LBB61_185
.LBB61_184:                             ;   in Loop: Header=BB61_3 Depth=1
	ds_load_b64 v[38:39], v46 offset:28544
	ds_load_b64 v[40:41], v7 offset:28600
	s_wait_dscnt 0x0
	v_pk_mul_f32 v[42:43], v[40:41], v[38:39] op_sel:[1,1] op_sel_hi:[0,1]
	s_delay_alu instid0(VALU_DEP_1) | instskip(SKIP_1) | instid1(VALU_DEP_2)
	v_pk_fma_f32 v[78:79], v[40:41], v[38:39], v[42:43] op_sel_hi:[1,0,1]
	v_pk_fma_f32 v[38:39], v[40:41], v[38:39], v[42:43] neg_lo:[0,0,1] neg_hi:[0,0,1]
	v_mov_b32_e32 v39, v79
	s_delay_alu instid0(VALU_DEP_1)
	v_pk_add_f32 v[36:37], v[36:37], v[38:39]
.LBB61_185:                             ;   in Loop: Header=BB61_3 Depth=1
	s_or_b32 exec_lo, exec_lo, s8
.LBB61_186:                             ;   in Loop: Header=BB61_3 Depth=1
	s_delay_alu instid0(SALU_CYCLE_1)
	s_or_b32 exec_lo, exec_lo, s98
	s_and_saveexec_b32 s8, s47
; %bb.187:                              ;   in Loop: Header=BB61_3 Depth=1
	s_delay_alu instid0(VALU_DEP_1)
	v_pk_add_f32 v[38:39], v[36:37], 0 neg_lo:[1,1] neg_hi:[1,1]
	ds_store_b64 v48, v[38:39]
; %bb.188:                              ;   in Loop: Header=BB61_3 Depth=1
	s_or_b32 exec_lo, exec_lo, s8
	s_wait_loadcnt_dscnt 0x0
	s_barrier_signal -1
	s_barrier_wait -1
	s_and_saveexec_b32 s8, s48
	s_cbranch_execz .LBB61_190
; %bb.189:                              ;   in Loop: Header=BB61_3 Depth=1
	ds_load_b64 v[38:39], v49 offset:26496
	ds_load_b64 v[40:41], v48
	s_wait_dscnt 0x0
	v_pk_mul_f32 v[42:43], v[40:41], v[38:39] op_sel:[1,1] op_sel_hi:[0,1]
	s_delay_alu instid0(VALU_DEP_1) | instskip(SKIP_1) | instid1(VALU_DEP_2)
	v_pk_fma_f32 v[78:79], v[40:41], v[38:39], v[42:43] op_sel_hi:[1,0,1]
	v_pk_fma_f32 v[38:39], v[40:41], v[38:39], v[42:43] neg_lo:[0,0,1] neg_hi:[0,0,1]
	v_mov_b32_e32 v39, v79
	s_delay_alu instid0(VALU_DEP_1)
	v_pk_add_f32 v[36:37], v[36:37], v[38:39] neg_lo:[0,1] neg_hi:[0,1]
.LBB61_190:                             ;   in Loop: Header=BB61_3 Depth=1
	s_or_b32 exec_lo, exec_lo, s8
	s_barrier_signal -1
	s_barrier_wait -1
	s_and_saveexec_b32 s8, s49
; %bb.191:                              ;   in Loop: Header=BB61_3 Depth=1
	v_pk_add_f32 v[38:39], v[36:37], 0 neg_lo:[1,1] neg_hi:[1,1]
	ds_store_b64 v48, v[38:39]
; %bb.192:                              ;   in Loop: Header=BB61_3 Depth=1
	s_or_b32 exec_lo, exec_lo, s8
	s_wait_dscnt 0x0
	s_barrier_signal -1
	s_barrier_wait -1
	s_and_saveexec_b32 s8, s50
	s_cbranch_execz .LBB61_194
; %bb.193:                              ;   in Loop: Header=BB61_3 Depth=1
	ds_load_b64 v[38:39], v49 offset:25984
	ds_load_b64 v[40:41], v48
	s_wait_dscnt 0x0
	v_pk_mul_f32 v[42:43], v[40:41], v[38:39] op_sel:[1,1] op_sel_hi:[0,1]
	s_delay_alu instid0(VALU_DEP_1) | instskip(SKIP_1) | instid1(VALU_DEP_2)
	v_pk_fma_f32 v[78:79], v[40:41], v[38:39], v[42:43] op_sel_hi:[1,0,1]
	v_pk_fma_f32 v[38:39], v[40:41], v[38:39], v[42:43] neg_lo:[0,0,1] neg_hi:[0,0,1]
	v_mov_b32_e32 v39, v79
	s_delay_alu instid0(VALU_DEP_1)
	v_pk_add_f32 v[36:37], v[36:37], v[38:39] neg_lo:[0,1] neg_hi:[0,1]
.LBB61_194:                             ;   in Loop: Header=BB61_3 Depth=1
	s_or_b32 exec_lo, exec_lo, s8
	s_barrier_signal -1
	s_barrier_wait -1
	s_and_saveexec_b32 s8, s51
; %bb.195:                              ;   in Loop: Header=BB61_3 Depth=1
	v_pk_add_f32 v[38:39], v[36:37], 0 neg_lo:[1,1] neg_hi:[1,1]
	ds_store_b64 v48, v[38:39]
; %bb.196:                              ;   in Loop: Header=BB61_3 Depth=1
	s_or_b32 exec_lo, exec_lo, s8
	s_wait_dscnt 0x0
	;; [unrolled: 26-line block ×3, first 2 shown]
	s_barrier_signal -1
	s_barrier_wait -1
	s_barrier_signal -1
	s_barrier_wait -1
	s_and_saveexec_b32 s8, s3
; %bb.201:                              ;   in Loop: Header=BB61_3 Depth=1
	ds_store_b64 v52, v[36:37] offset:28544
; %bb.202:                              ;   in Loop: Header=BB61_3 Depth=1
	s_or_b32 exec_lo, exec_lo, s8
	s_wait_dscnt 0x0
	s_barrier_signal -1
	s_barrier_wait -1
	s_barrier_signal -1
	s_barrier_wait -1
	s_and_saveexec_b32 s8, s10
; %bb.203:                              ;   in Loop: Header=BB61_3 Depth=1
	v_add_nc_u32_e64 v36, 0x6000, 0
	ds_store_2addr_b64 v36, v[34:35], v[34:35] offset0:178 offset1:243
; %bb.204:                              ;   in Loop: Header=BB61_3 Depth=1
	s_or_b32 exec_lo, exec_lo, s8
	v_dual_mov_b32 v36, 0 :: v_dual_mov_b32 v37, 0
	s_wait_dscnt 0x0
	s_barrier_signal -1
	s_barrier_wait -1
	global_wb scope:SCOPE_DEV
	s_wait_storecnt 0x0
	global_inv scope:SCOPE_DEV
	s_and_saveexec_b32 s8, s2
	s_cbranch_execz .LBB61_208
; %bb.205:                              ;   in Loop: Header=BB61_3 Depth=1
	ds_load_b64 v[36:37], v5 offset:25984
	ds_load_b64 v[38:39], v45 offset:26512
	s_wait_dscnt 0x0
	v_pk_mul_f32 v[40:41], v[38:39], v[36:37] op_sel:[1,1] op_sel_hi:[0,1]
	s_delay_alu instid0(VALU_DEP_1) | instskip(SKIP_1) | instid1(VALU_DEP_2)
	v_pk_fma_f32 v[42:43], v[38:39], v[36:37], v[40:41] op_sel_hi:[1,0,1]
	v_pk_fma_f32 v[36:37], v[38:39], v[36:37], v[40:41] neg_lo:[0,0,1] neg_hi:[0,0,1]
	v_mov_b32_e32 v37, v43
	s_delay_alu instid0(VALU_DEP_1)
	v_pk_add_f32 v[36:37], v[36:37], 0 op_sel_hi:[1,0]
	s_and_saveexec_b32 s64, s11
	s_cbranch_execz .LBB61_207
; %bb.206:                              ;   in Loop: Header=BB61_3 Depth=1
	ds_load_b64 v[38:39], v46 offset:26496
	ds_load_b64 v[40:41], v7 offset:26520
	s_wait_dscnt 0x0
	v_pk_mul_f32 v[42:43], v[40:41], v[38:39] op_sel:[1,1] op_sel_hi:[0,1]
	s_delay_alu instid0(VALU_DEP_1) | instskip(SKIP_1) | instid1(VALU_DEP_2)
	v_pk_fma_f32 v[78:79], v[40:41], v[38:39], v[42:43] op_sel_hi:[1,0,1]
	v_pk_fma_f32 v[38:39], v[40:41], v[38:39], v[42:43] neg_lo:[0,0,1] neg_hi:[0,0,1]
	v_mov_b32_e32 v39, v79
	s_delay_alu instid0(VALU_DEP_1)
	v_pk_add_f32 v[36:37], v[36:37], v[38:39]
.LBB61_207:                             ;   in Loop: Header=BB61_3 Depth=1
	s_or_b32 exec_lo, exec_lo, s64
.LBB61_208:                             ;   in Loop: Header=BB61_3 Depth=1
	s_delay_alu instid0(SALU_CYCLE_1)
	s_or_b32 exec_lo, exec_lo, s8
	s_and_saveexec_b32 s8, s45
; %bb.209:                              ;   in Loop: Header=BB61_3 Depth=1
	s_delay_alu instid0(VALU_DEP_1)
	v_pk_add_f32 v[38:39], v[36:37], 0 neg_lo:[1,1] neg_hi:[1,1]
	ds_store_b64 v44, v[38:39]
; %bb.210:                              ;   in Loop: Header=BB61_3 Depth=1
	s_or_b32 exec_lo, exec_lo, s8
	s_wait_loadcnt_dscnt 0x0
	s_barrier_signal -1
	s_barrier_wait -1
	s_and_saveexec_b32 s8, s46
	s_cbranch_execz .LBB61_212
; %bb.211:                              ;   in Loop: Header=BB61_3 Depth=1
	ds_load_b64 v[38:39], v7 offset:25472
	ds_load_b64 v[40:41], v44
	s_wait_dscnt 0x0
	v_pk_mul_f32 v[42:43], v[40:41], v[38:39] op_sel_hi:[1,0]
	s_delay_alu instid0(VALU_DEP_1) | instskip(SKIP_1) | instid1(VALU_DEP_2)
	v_pk_fma_f32 v[78:79], v[40:41], v[38:39], v[42:43] op_sel:[1,1,0] op_sel_hi:[0,1,1]
	v_pk_fma_f32 v[38:39], v[40:41], v[38:39], v[42:43] op_sel:[1,1,0] op_sel_hi:[0,1,1] neg_lo:[0,0,1] neg_hi:[0,0,1]
	v_pk_add_f32 v[40:41], v[36:37], v[78:79] neg_lo:[0,1] neg_hi:[0,1]
	s_delay_alu instid0(VALU_DEP_2) | instskip(NEXT) | instid1(VALU_DEP_2)
	v_pk_add_f32 v[36:37], v[36:37], v[38:39]
	v_mov_b32_e32 v37, v41
.LBB61_212:                             ;   in Loop: Header=BB61_3 Depth=1
	s_or_b32 exec_lo, exec_lo, s8
	s_barrier_signal -1
	s_barrier_wait -1
	s_and_saveexec_b32 s8, s46
; %bb.213:                              ;   in Loop: Header=BB61_3 Depth=1
	v_pk_add_f32 v[38:39], v[36:37], 0 neg_lo:[1,1] neg_hi:[1,1]
	ds_store_b64 v44, v[38:39]
; %bb.214:                              ;   in Loop: Header=BB61_3 Depth=1
	s_or_b32 exec_lo, exec_lo, s8
	s_wait_dscnt 0x0
	s_barrier_signal -1
	s_barrier_wait -1
	s_barrier_signal -1
	s_barrier_wait -1
	s_and_saveexec_b32 s8, s2
; %bb.215:                              ;   in Loop: Header=BB61_3 Depth=1
	ds_store_b64 v47, v[36:37] offset:26496
; %bb.216:                              ;   in Loop: Header=BB61_3 Depth=1
	s_or_b32 exec_lo, exec_lo, s8
	s_wait_dscnt 0x0
	s_barrier_signal -1
	s_barrier_wait -1
	s_barrier_signal -1
	s_barrier_wait -1
	s_and_saveexec_b32 s8, s10
; %bb.217:                              ;   in Loop: Header=BB61_3 Depth=1
	v_add_nc_u32_e64 v36, 0x6000, 0
	ds_store_2addr_b64 v36, v[34:35], v[34:35] offset0:48 offset1:113
; %bb.218:                              ;   in Loop: Header=BB61_3 Depth=1
	s_or_b32 exec_lo, exec_lo, s8
	v_mov_b64_e32 v[36:37], 0
	s_wait_dscnt 0x0
	s_barrier_signal -1
	s_barrier_wait -1
	global_wb scope:SCOPE_DEV
	s_wait_storecnt 0x0
	global_inv scope:SCOPE_DEV
	s_and_saveexec_b32 s98, s5
	s_cbranch_execz .LBB61_246
; %bb.219:                              ;   in Loop: Header=BB61_3 Depth=1
	ds_load_b64 v[36:37], v57 offset:24832
	ds_load_b64 v[38:39], v60 offset:32640
	v_readlane_b32 s42, v88, 28
	s_wait_dscnt 0x0
	v_dual_mul_f32 v40, v39, v37 :: v_dual_mul_f32 v37, v38, v37
	s_delay_alu instid0(VALU_DEP_1) | instskip(NEXT) | instid1(VALU_DEP_1)
	v_dual_fma_f32 v38, v38, v36, -v40 :: v_dual_fmac_f32 v37, v39, v36
	v_dual_add_f32 v36, 0, v38 :: v_dual_add_f32 v37, 0, v37
	s_and_saveexec_b32 s8, s42
	s_cbranch_execz .LBB61_221
; %bb.220:                              ;   in Loop: Header=BB61_3 Depth=1
	ds_load_b64 v[38:39], v57 offset:25344
	ds_load_b64 v[40:41], v60 offset:32648
	s_wait_dscnt 0x0
	v_dual_mul_f32 v42, v41, v39 :: v_dual_mul_f32 v39, v40, v39
	s_delay_alu instid0(VALU_DEP_1) | instskip(NEXT) | instid1(VALU_DEP_1)
	v_dual_fma_f32 v40, v40, v38, -v42 :: v_dual_fmac_f32 v39, v41, v38
	v_dual_add_f32 v36, v36, v40 :: v_dual_add_f32 v37, v37, v39
.LBB61_221:                             ;   in Loop: Header=BB61_3 Depth=1
	s_or_b32 exec_lo, exec_lo, s8
	v_readlane_b32 s42, v88, 29
	s_and_saveexec_b32 s8, s42
	s_cbranch_execz .LBB61_223
; %bb.222:                              ;   in Loop: Header=BB61_3 Depth=1
	ds_load_b64 v[38:39], v57 offset:25856
	ds_load_b64 v[40:41], v60 offset:32656
	s_wait_dscnt 0x0
	v_dual_mul_f32 v42, v41, v39 :: v_dual_mul_f32 v39, v40, v39
	s_delay_alu instid0(VALU_DEP_1) | instskip(NEXT) | instid1(VALU_DEP_1)
	v_dual_fma_f32 v40, v40, v38, -v42 :: v_dual_fmac_f32 v39, v41, v38
	v_dual_add_f32 v36, v36, v40 :: v_dual_add_f32 v37, v37, v39
.LBB61_223:                             ;   in Loop: Header=BB61_3 Depth=1
	s_or_b32 exec_lo, exec_lo, s8
	v_readlane_b32 s42, v88, 30
	;; [unrolled: 13-line block ×10, first 2 shown]
	s_and_saveexec_b32 s8, s42
	s_cbranch_execnz .LBB61_1010
; %bb.240:                              ;   in Loop: Header=BB61_3 Depth=1
	s_or_b32 exec_lo, exec_lo, s8
	s_and_saveexec_b32 s8, s4
	s_cbranch_execnz .LBB61_1011
.LBB61_241:                             ;   in Loop: Header=BB61_3 Depth=1
	s_or_b32 exec_lo, exec_lo, s8
	s_and_saveexec_b32 s8, s15
	s_cbranch_execnz .LBB61_1012
.LBB61_242:                             ;   in Loop: Header=BB61_3 Depth=1
	s_or_b32 exec_lo, exec_lo, s8
	s_and_saveexec_b32 s8, s17
	s_cbranch_execnz .LBB61_1013
.LBB61_243:                             ;   in Loop: Header=BB61_3 Depth=1
	s_or_b32 exec_lo, exec_lo, s8
	s_and_saveexec_b32 s8, s3
	s_cbranch_execz .LBB61_245
.LBB61_244:                             ;   in Loop: Header=BB61_3 Depth=1
	ds_load_b64 v[38:39], v46 offset:32512
	ds_load_b64 v[40:41], v7 offset:32760
	s_wait_dscnt 0x0
	v_pk_mul_f32 v[42:43], v[40:41], v[38:39] op_sel:[1,1] op_sel_hi:[0,1]
	s_delay_alu instid0(VALU_DEP_1) | instskip(SKIP_1) | instid1(VALU_DEP_2)
	v_pk_fma_f32 v[78:79], v[40:41], v[38:39], v[42:43] op_sel_hi:[1,0,1]
	v_pk_fma_f32 v[38:39], v[40:41], v[38:39], v[42:43] neg_lo:[0,0,1] neg_hi:[0,0,1]
	v_mov_b32_e32 v39, v79
	s_delay_alu instid0(VALU_DEP_1)
	v_pk_add_f32 v[36:37], v[36:37], v[38:39]
.LBB61_245:                             ;   in Loop: Header=BB61_3 Depth=1
	s_or_b32 exec_lo, exec_lo, s8
.LBB61_246:                             ;   in Loop: Header=BB61_3 Depth=1
	s_delay_alu instid0(SALU_CYCLE_1)
	s_or_b32 exec_lo, exec_lo, s98
	v_readlane_b32 s42, v88, 1
	s_and_saveexec_b32 s8, s42
; %bb.247:                              ;   in Loop: Header=BB61_3 Depth=1
	v_pk_add_f32 v[38:39], v[36:37], 0 neg_lo:[1,1] neg_hi:[1,1]
	ds_store_b64 v58, v[38:39]
; %bb.248:                              ;   in Loop: Header=BB61_3 Depth=1
	s_or_b32 exec_lo, exec_lo, s8
	v_readlane_b32 s42, v88, 2
	s_wait_loadcnt_dscnt 0x0
	s_barrier_signal -1
	s_barrier_wait -1
	s_and_saveexec_b32 s8, s42
	s_cbranch_execz .LBB61_250
; %bb.249:                              ;   in Loop: Header=BB61_3 Depth=1
	ds_load_b64 v[38:39], v57 offset:24320
	ds_load_b64 v[40:41], v58
	s_wait_dscnt 0x0
	v_pk_mul_f32 v[42:43], v[40:41], v[38:39] op_sel:[1,1] op_sel_hi:[0,1]
	s_delay_alu instid0(VALU_DEP_1) | instskip(SKIP_1) | instid1(VALU_DEP_2)
	v_pk_fma_f32 v[78:79], v[40:41], v[38:39], v[42:43] op_sel_hi:[1,0,1]
	v_pk_fma_f32 v[38:39], v[40:41], v[38:39], v[42:43] neg_lo:[0,0,1] neg_hi:[0,0,1]
	v_mov_b32_e32 v39, v79
	s_delay_alu instid0(VALU_DEP_1)
	v_pk_add_f32 v[36:37], v[36:37], v[38:39] neg_lo:[0,1] neg_hi:[0,1]
.LBB61_250:                             ;   in Loop: Header=BB61_3 Depth=1
	s_or_b32 exec_lo, exec_lo, s8
	v_readlane_b32 s42, v88, 3
	s_barrier_signal -1
	s_barrier_wait -1
	s_and_saveexec_b32 s8, s42
; %bb.251:                              ;   in Loop: Header=BB61_3 Depth=1
	v_pk_add_f32 v[38:39], v[36:37], 0 neg_lo:[1,1] neg_hi:[1,1]
	ds_store_b64 v58, v[38:39]
; %bb.252:                              ;   in Loop: Header=BB61_3 Depth=1
	s_or_b32 exec_lo, exec_lo, s8
	v_readlane_b32 s42, v88, 4
	s_wait_dscnt 0x0
	s_barrier_signal -1
	s_barrier_wait -1
	s_and_saveexec_b32 s8, s42
	s_cbranch_execz .LBB61_254
; %bb.253:                              ;   in Loop: Header=BB61_3 Depth=1
	ds_load_b64 v[38:39], v57 offset:23808
	ds_load_b64 v[40:41], v58
	s_wait_dscnt 0x0
	v_pk_mul_f32 v[42:43], v[40:41], v[38:39] op_sel:[1,1] op_sel_hi:[0,1]
	s_delay_alu instid0(VALU_DEP_1) | instskip(SKIP_1) | instid1(VALU_DEP_2)
	v_pk_fma_f32 v[78:79], v[40:41], v[38:39], v[42:43] op_sel_hi:[1,0,1]
	v_pk_fma_f32 v[38:39], v[40:41], v[38:39], v[42:43] neg_lo:[0,0,1] neg_hi:[0,0,1]
	v_mov_b32_e32 v39, v79
	s_delay_alu instid0(VALU_DEP_1)
	v_pk_add_f32 v[36:37], v[36:37], v[38:39] neg_lo:[0,1] neg_hi:[0,1]
.LBB61_254:                             ;   in Loop: Header=BB61_3 Depth=1
	s_or_b32 exec_lo, exec_lo, s8
	v_readlane_b32 s42, v88, 5
	s_barrier_signal -1
	s_barrier_wait -1
	s_and_saveexec_b32 s8, s42
; %bb.255:                              ;   in Loop: Header=BB61_3 Depth=1
	v_pk_add_f32 v[38:39], v[36:37], 0 neg_lo:[1,1] neg_hi:[1,1]
	ds_store_b64 v58, v[38:39]
; %bb.256:                              ;   in Loop: Header=BB61_3 Depth=1
	s_or_b32 exec_lo, exec_lo, s8
	v_readlane_b32 s42, v88, 6
	s_wait_dscnt 0x0
	;; [unrolled: 28-line block ×3, first 2 shown]
	s_barrier_signal -1
	s_barrier_wait -1
	s_and_saveexec_b32 s8, s42
	s_cbranch_execz .LBB61_262
; %bb.261:                              ;   in Loop: Header=BB61_3 Depth=1
	ds_load_b64 v[38:39], v57 offset:22784
	ds_load_b64 v[40:41], v58
	s_wait_dscnt 0x0
	v_dual_mul_f32 v42, v41, v39 :: v_dual_mul_f32 v39, v40, v39
	s_delay_alu instid0(VALU_DEP_1) | instskip(NEXT) | instid1(VALU_DEP_1)
	v_dual_fma_f32 v40, v40, v38, -v42 :: v_dual_fmac_f32 v39, v41, v38
	v_dual_sub_f32 v36, v36, v40 :: v_dual_sub_f32 v37, v37, v39
.LBB61_262:                             ;   in Loop: Header=BB61_3 Depth=1
	s_or_b32 exec_lo, exec_lo, s8
	v_readlane_b32 s42, v88, 9
	s_barrier_signal -1
	s_barrier_wait -1
	s_and_saveexec_b32 s8, s42
; %bb.263:                              ;   in Loop: Header=BB61_3 Depth=1
	v_pk_add_f32 v[38:39], v[36:37], 0 neg_lo:[1,1] neg_hi:[1,1]
	ds_store_b64 v58, v[38:39]
; %bb.264:                              ;   in Loop: Header=BB61_3 Depth=1
	s_or_b32 exec_lo, exec_lo, s8
	v_readlane_b32 s42, v88, 10
	s_wait_dscnt 0x0
	s_barrier_signal -1
	s_barrier_wait -1
	s_and_saveexec_b32 s8, s42
	s_cbranch_execz .LBB61_266
; %bb.265:                              ;   in Loop: Header=BB61_3 Depth=1
	ds_load_b64 v[38:39], v57 offset:22272
	ds_load_b64 v[40:41], v58
	s_wait_dscnt 0x0
	v_dual_mul_f32 v42, v41, v39 :: v_dual_mul_f32 v43, v40, v39
	s_delay_alu instid0(VALU_DEP_1) | instskip(NEXT) | instid1(VALU_DEP_1)
	v_dual_fma_f32 v42, v40, v38, -v42 :: v_dual_fmac_f32 v43, v41, v38
	v_pk_add_f32 v[36:37], v[36:37], v[42:43] neg_lo:[0,1] neg_hi:[0,1]
.LBB61_266:                             ;   in Loop: Header=BB61_3 Depth=1
	s_or_b32 exec_lo, exec_lo, s8
	v_readlane_b32 s42, v88, 11
	s_barrier_signal -1
	s_barrier_wait -1
	s_and_saveexec_b32 s8, s42
; %bb.267:                              ;   in Loop: Header=BB61_3 Depth=1
	v_pk_add_f32 v[38:39], v[36:37], 0 neg_lo:[1,1] neg_hi:[1,1]
	ds_store_b64 v58, v[38:39]
; %bb.268:                              ;   in Loop: Header=BB61_3 Depth=1
	s_or_b32 exec_lo, exec_lo, s8
	s_wait_dscnt 0x0
	s_barrier_signal -1
	s_barrier_wait -1
	s_and_saveexec_b32 s8, s9
	s_cbranch_execz .LBB61_270
; %bb.269:                              ;   in Loop: Header=BB61_3 Depth=1
	ds_load_b64 v[38:39], v57 offset:21760
	ds_load_b64 v[40:41], v58
	s_wait_dscnt 0x0
	v_pk_mul_f32 v[42:43], v[40:41], v[38:39] op_sel:[1,1] op_sel_hi:[0,1]
	s_delay_alu instid0(VALU_DEP_1) | instskip(SKIP_1) | instid1(VALU_DEP_2)
	v_pk_fma_f32 v[78:79], v[40:41], v[38:39], v[42:43] op_sel_hi:[1,0,1]
	v_pk_fma_f32 v[38:39], v[40:41], v[38:39], v[42:43] neg_lo:[0,0,1] neg_hi:[0,0,1]
	v_mov_b32_e32 v39, v79
	s_delay_alu instid0(VALU_DEP_1)
	v_pk_add_f32 v[36:37], v[36:37], v[38:39] neg_lo:[0,1] neg_hi:[0,1]
.LBB61_270:                             ;   in Loop: Header=BB61_3 Depth=1
	s_or_b32 exec_lo, exec_lo, s8
	s_barrier_signal -1
	s_barrier_wait -1
	s_and_saveexec_b32 s8, s74
; %bb.271:                              ;   in Loop: Header=BB61_3 Depth=1
	v_pk_add_f32 v[38:39], v[36:37], 0 neg_lo:[1,1] neg_hi:[1,1]
	ds_store_b64 v58, v[38:39]
; %bb.272:                              ;   in Loop: Header=BB61_3 Depth=1
	s_or_b32 exec_lo, exec_lo, s8
	s_wait_dscnt 0x0
	s_barrier_signal -1
	s_barrier_wait -1
	s_and_saveexec_b32 s8, s75
	s_cbranch_execz .LBB61_274
; %bb.273:                              ;   in Loop: Header=BB61_3 Depth=1
	ds_load_b64 v[38:39], v57 offset:21248
	ds_load_b64 v[40:41], v58
	s_wait_dscnt 0x0
	v_pk_mul_f32 v[42:43], v[40:41], v[38:39] op_sel:[1,1] op_sel_hi:[0,1]
	s_delay_alu instid0(VALU_DEP_1) | instskip(SKIP_1) | instid1(VALU_DEP_2)
	v_pk_fma_f32 v[78:79], v[40:41], v[38:39], v[42:43] op_sel_hi:[1,0,1]
	v_pk_fma_f32 v[38:39], v[40:41], v[38:39], v[42:43] neg_lo:[0,0,1] neg_hi:[0,0,1]
	v_mov_b32_e32 v39, v79
	s_delay_alu instid0(VALU_DEP_1)
	v_pk_add_f32 v[36:37], v[36:37], v[38:39] neg_lo:[0,1] neg_hi:[0,1]
.LBB61_274:                             ;   in Loop: Header=BB61_3 Depth=1
	s_or_b32 exec_lo, exec_lo, s8
	s_barrier_signal -1
	s_barrier_wait -1
	s_and_saveexec_b32 s8, s84
; %bb.275:                              ;   in Loop: Header=BB61_3 Depth=1
	v_pk_add_f32 v[38:39], v[36:37], 0 neg_lo:[1,1] neg_hi:[1,1]
	ds_store_b64 v58, v[38:39]
; %bb.276:                              ;   in Loop: Header=BB61_3 Depth=1
	s_or_b32 exec_lo, exec_lo, s8
	s_wait_dscnt 0x0
	s_barrier_signal -1
	s_barrier_wait -1
	s_and_saveexec_b32 s8, s85
	s_cbranch_execz .LBB61_278
; %bb.277:                              ;   in Loop: Header=BB61_3 Depth=1
	ds_load_b64 v[38:39], v57 offset:20736
	ds_load_b64 v[40:41], v58
	s_wait_dscnt 0x0
	v_pk_mul_f32 v[42:43], v[40:41], v[38:39] op_sel:[1,1] op_sel_hi:[0,1]
	s_delay_alu instid0(VALU_DEP_1) | instskip(SKIP_1) | instid1(VALU_DEP_2)
	v_pk_fma_f32 v[78:79], v[40:41], v[38:39], v[42:43] op_sel_hi:[1,0,1]
	v_pk_fma_f32 v[38:39], v[40:41], v[38:39], v[42:43] neg_lo:[0,0,1] neg_hi:[0,0,1]
	v_mov_b32_e32 v39, v79
	s_delay_alu instid0(VALU_DEP_1)
	v_pk_add_f32 v[36:37], v[36:37], v[38:39] neg_lo:[0,1] neg_hi:[0,1]
.LBB61_278:                             ;   in Loop: Header=BB61_3 Depth=1
	s_or_b32 exec_lo, exec_lo, s8
	s_barrier_signal -1
	s_barrier_wait -1
	s_and_saveexec_b32 s8, s38
; %bb.279:                              ;   in Loop: Header=BB61_3 Depth=1
	v_pk_add_f32 v[38:39], v[36:37], 0 neg_lo:[1,1] neg_hi:[1,1]
	ds_store_b64 v58, v[38:39]
; %bb.280:                              ;   in Loop: Header=BB61_3 Depth=1
	s_or_b32 exec_lo, exec_lo, s8
	s_wait_dscnt 0x0
	s_barrier_signal -1
	s_barrier_wait -1
	s_and_saveexec_b32 s8, s20
	s_cbranch_execz .LBB61_282
; %bb.281:                              ;   in Loop: Header=BB61_3 Depth=1
	ds_load_b64 v[38:39], v57 offset:20224
	ds_load_b64 v[40:41], v58
	s_wait_dscnt 0x0
	v_pk_mul_f32 v[42:43], v[40:41], v[38:39] op_sel:[1,1] op_sel_hi:[0,1]
	s_delay_alu instid0(VALU_DEP_1) | instskip(SKIP_1) | instid1(VALU_DEP_2)
	v_pk_fma_f32 v[78:79], v[40:41], v[38:39], v[42:43] op_sel_hi:[1,0,1]
	v_pk_fma_f32 v[38:39], v[40:41], v[38:39], v[42:43] neg_lo:[0,0,1] neg_hi:[0,0,1]
	v_mov_b32_e32 v39, v79
	s_delay_alu instid0(VALU_DEP_1)
	v_pk_add_f32 v[36:37], v[36:37], v[38:39] neg_lo:[0,1] neg_hi:[0,1]
.LBB61_282:                             ;   in Loop: Header=BB61_3 Depth=1
	s_or_b32 exec_lo, exec_lo, s8
	s_barrier_signal -1
	s_barrier_wait -1
	s_and_saveexec_b32 s8, s22
; %bb.283:                              ;   in Loop: Header=BB61_3 Depth=1
	v_pk_add_f32 v[38:39], v[36:37], 0 neg_lo:[1,1] neg_hi:[1,1]
	ds_store_b64 v58, v[38:39]
; %bb.284:                              ;   in Loop: Header=BB61_3 Depth=1
	s_or_b32 exec_lo, exec_lo, s8
	s_wait_dscnt 0x0
	s_barrier_signal -1
	s_barrier_wait -1
	s_and_saveexec_b32 s8, s24
	s_cbranch_execz .LBB61_286
; %bb.285:                              ;   in Loop: Header=BB61_3 Depth=1
	ds_load_b64 v[38:39], v57 offset:19712
	ds_load_b64 v[40:41], v58
	s_wait_dscnt 0x0
	v_dual_mul_f32 v42, v41, v39 :: v_dual_mul_f32 v39, v40, v39
	s_delay_alu instid0(VALU_DEP_1) | instskip(NEXT) | instid1(VALU_DEP_1)
	v_dual_fma_f32 v40, v40, v38, -v42 :: v_dual_fmac_f32 v39, v41, v38
	v_dual_sub_f32 v36, v36, v40 :: v_dual_sub_f32 v37, v37, v39
.LBB61_286:                             ;   in Loop: Header=BB61_3 Depth=1
	s_or_b32 exec_lo, exec_lo, s8
	s_barrier_signal -1
	s_barrier_wait -1
	s_and_saveexec_b32 s8, s26
; %bb.287:                              ;   in Loop: Header=BB61_3 Depth=1
	v_pk_add_f32 v[38:39], v[36:37], 0 neg_lo:[1,1] neg_hi:[1,1]
	ds_store_b64 v58, v[38:39]
; %bb.288:                              ;   in Loop: Header=BB61_3 Depth=1
	s_or_b32 exec_lo, exec_lo, s8
	s_wait_dscnt 0x0
	s_barrier_signal -1
	s_barrier_wait -1
	s_and_saveexec_b32 s8, s28
	s_cbranch_execz .LBB61_290
; %bb.289:                              ;   in Loop: Header=BB61_3 Depth=1
	ds_load_b64 v[38:39], v57 offset:19200
	ds_load_b64 v[40:41], v58
	s_wait_dscnt 0x0
	v_dual_mul_f32 v42, v41, v39 :: v_dual_mul_f32 v43, v40, v39
	s_delay_alu instid0(VALU_DEP_1) | instskip(NEXT) | instid1(VALU_DEP_1)
	v_dual_fma_f32 v42, v40, v38, -v42 :: v_dual_fmac_f32 v43, v41, v38
	v_pk_add_f32 v[36:37], v[36:37], v[42:43] neg_lo:[0,1] neg_hi:[0,1]
.LBB61_290:                             ;   in Loop: Header=BB61_3 Depth=1
	s_or_b32 exec_lo, exec_lo, s8
	s_barrier_signal -1
	s_barrier_wait -1
	s_and_saveexec_b32 s8, s43
; %bb.291:                              ;   in Loop: Header=BB61_3 Depth=1
	v_pk_add_f32 v[38:39], v[36:37], 0 neg_lo:[1,1] neg_hi:[1,1]
	ds_store_b64 v58, v[38:39]
; %bb.292:                              ;   in Loop: Header=BB61_3 Depth=1
	s_or_b32 exec_lo, exec_lo, s8
	s_wait_dscnt 0x0
	s_barrier_signal -1
	s_barrier_wait -1
	s_and_saveexec_b32 s8, s25
	s_cbranch_execz .LBB61_294
; %bb.293:                              ;   in Loop: Header=BB61_3 Depth=1
	ds_load_b64 v[38:39], v57 offset:18688
	ds_load_b64 v[40:41], v58
	s_wait_dscnt 0x0
	v_pk_mul_f32 v[42:43], v[40:41], v[38:39] op_sel:[1,1] op_sel_hi:[0,1]
	s_delay_alu instid0(VALU_DEP_1) | instskip(SKIP_1) | instid1(VALU_DEP_2)
	v_pk_fma_f32 v[78:79], v[40:41], v[38:39], v[42:43] op_sel_hi:[1,0,1]
	v_pk_fma_f32 v[38:39], v[40:41], v[38:39], v[42:43] neg_lo:[0,0,1] neg_hi:[0,0,1]
	v_mov_b32_e32 v39, v79
	s_delay_alu instid0(VALU_DEP_1)
	v_pk_add_f32 v[36:37], v[36:37], v[38:39] neg_lo:[0,1] neg_hi:[0,1]
.LBB61_294:                             ;   in Loop: Header=BB61_3 Depth=1
	s_or_b32 exec_lo, exec_lo, s8
	s_barrier_signal -1
	s_barrier_wait -1
	s_and_saveexec_b32 s8, s27
; %bb.295:                              ;   in Loop: Header=BB61_3 Depth=1
	v_pk_add_f32 v[38:39], v[36:37], 0 neg_lo:[1,1] neg_hi:[1,1]
	ds_store_b64 v58, v[38:39]
; %bb.296:                              ;   in Loop: Header=BB61_3 Depth=1
	s_or_b32 exec_lo, exec_lo, s8
	s_wait_dscnt 0x0
	s_barrier_signal -1
	s_barrier_wait -1
	s_and_saveexec_b32 s8, s29
	s_cbranch_execz .LBB61_298
; %bb.297:                              ;   in Loop: Header=BB61_3 Depth=1
	ds_load_b64 v[38:39], v57 offset:18176
	ds_load_b64 v[40:41], v58
	s_wait_dscnt 0x0
	v_pk_mul_f32 v[42:43], v[40:41], v[38:39] op_sel:[1,1] op_sel_hi:[0,1]
	s_delay_alu instid0(VALU_DEP_1) | instskip(SKIP_1) | instid1(VALU_DEP_2)
	v_pk_fma_f32 v[78:79], v[40:41], v[38:39], v[42:43] op_sel_hi:[1,0,1]
	v_pk_fma_f32 v[38:39], v[40:41], v[38:39], v[42:43] neg_lo:[0,0,1] neg_hi:[0,0,1]
	v_mov_b32_e32 v39, v79
	s_delay_alu instid0(VALU_DEP_1)
	v_pk_add_f32 v[36:37], v[36:37], v[38:39] neg_lo:[0,1] neg_hi:[0,1]
.LBB61_298:                             ;   in Loop: Header=BB61_3 Depth=1
	;; [unrolled: 26-line block ×4, first 2 shown]
	s_or_b32 exec_lo, exec_lo, s8
	s_barrier_signal -1
	s_barrier_wait -1
	s_and_saveexec_b32 s8, s39
; %bb.307:                              ;   in Loop: Header=BB61_3 Depth=1
	v_pk_add_f32 v[38:39], v[36:37], 0 neg_lo:[1,1] neg_hi:[1,1]
	ds_store_b64 v58, v[38:39]
; %bb.308:                              ;   in Loop: Header=BB61_3 Depth=1
	s_or_b32 exec_lo, exec_lo, s8
	s_wait_dscnt 0x0
	s_barrier_signal -1
	s_barrier_wait -1
	s_barrier_signal -1
	s_barrier_wait -1
	s_and_saveexec_b32 s8, s5
; %bb.309:                              ;   in Loop: Header=BB61_3 Depth=1
	ds_store_b64 v61, v[36:37] offset:32512
; %bb.310:                              ;   in Loop: Header=BB61_3 Depth=1
	s_or_b32 exec_lo, exec_lo, s8
	s_wait_dscnt 0x0
	s_barrier_signal -1
	s_barrier_wait -1
	s_barrier_signal -1
	s_barrier_wait -1
	s_and_saveexec_b32 s8, s10
; %bb.311:                              ;   in Loop: Header=BB61_3 Depth=1
	v_add_nc_u32_e64 v36, 0x5800, 0
	ds_store_2addr_b64 v36, v[34:35], v[34:35] offset0:174 offset1:239
; %bb.312:                              ;   in Loop: Header=BB61_3 Depth=1
	s_or_b32 exec_lo, exec_lo, s8
	v_dual_mov_b32 v36, 0 :: v_dual_mov_b32 v37, 0
	s_wait_dscnt 0x0
	s_barrier_signal -1
	s_barrier_wait -1
	global_wb scope:SCOPE_DEV
	s_wait_storecnt 0x0
	global_inv scope:SCOPE_DEV
	s_and_saveexec_b32 s8, s2
	s_cbranch_execz .LBB61_316
; %bb.313:                              ;   in Loop: Header=BB61_3 Depth=1
	ds_load_b64 v[36:37], v5 offset:23904
	ds_load_b64 v[38:39], v45 offset:24432
	s_wait_dscnt 0x0
	v_pk_mul_f32 v[40:41], v[38:39], v[36:37] op_sel:[1,1] op_sel_hi:[0,1]
	s_delay_alu instid0(VALU_DEP_1) | instskip(SKIP_1) | instid1(VALU_DEP_2)
	v_pk_fma_f32 v[42:43], v[38:39], v[36:37], v[40:41] op_sel_hi:[1,0,1]
	v_pk_fma_f32 v[36:37], v[38:39], v[36:37], v[40:41] neg_lo:[0,0,1] neg_hi:[0,0,1]
	v_mov_b32_e32 v37, v43
	s_delay_alu instid0(VALU_DEP_1)
	v_pk_add_f32 v[36:37], v[36:37], 0 op_sel_hi:[1,0]
	s_and_saveexec_b32 s64, s11
	s_cbranch_execz .LBB61_315
; %bb.314:                              ;   in Loop: Header=BB61_3 Depth=1
	ds_load_b64 v[38:39], v46 offset:24416
	ds_load_b64 v[40:41], v7 offset:24440
	s_wait_dscnt 0x0
	v_pk_mul_f32 v[42:43], v[40:41], v[38:39] op_sel:[1,1] op_sel_hi:[0,1]
	s_delay_alu instid0(VALU_DEP_1) | instskip(SKIP_1) | instid1(VALU_DEP_2)
	v_pk_fma_f32 v[78:79], v[40:41], v[38:39], v[42:43] op_sel_hi:[1,0,1]
	v_pk_fma_f32 v[38:39], v[40:41], v[38:39], v[42:43] neg_lo:[0,0,1] neg_hi:[0,0,1]
	v_mov_b32_e32 v39, v79
	s_delay_alu instid0(VALU_DEP_1)
	v_pk_add_f32 v[36:37], v[36:37], v[38:39]
.LBB61_315:                             ;   in Loop: Header=BB61_3 Depth=1
	s_or_b32 exec_lo, exec_lo, s64
.LBB61_316:                             ;   in Loop: Header=BB61_3 Depth=1
	s_delay_alu instid0(SALU_CYCLE_1)
	s_or_b32 exec_lo, exec_lo, s8
	s_and_saveexec_b32 s8, s45
; %bb.317:                              ;   in Loop: Header=BB61_3 Depth=1
	s_delay_alu instid0(VALU_DEP_1)
	v_pk_add_f32 v[38:39], v[36:37], 0 neg_lo:[1,1] neg_hi:[1,1]
	ds_store_b64 v44, v[38:39]
; %bb.318:                              ;   in Loop: Header=BB61_3 Depth=1
	s_or_b32 exec_lo, exec_lo, s8
	s_wait_loadcnt_dscnt 0x0
	s_barrier_signal -1
	s_barrier_wait -1
	s_and_saveexec_b32 s8, s46
	s_cbranch_execz .LBB61_320
; %bb.319:                              ;   in Loop: Header=BB61_3 Depth=1
	ds_load_b64 v[38:39], v7 offset:23392
	ds_load_b64 v[40:41], v44
	s_wait_dscnt 0x0
	v_pk_mul_f32 v[42:43], v[40:41], v[38:39] op_sel_hi:[1,0]
	s_delay_alu instid0(VALU_DEP_1) | instskip(SKIP_1) | instid1(VALU_DEP_2)
	v_pk_fma_f32 v[78:79], v[40:41], v[38:39], v[42:43] op_sel:[1,1,0] op_sel_hi:[0,1,1]
	v_pk_fma_f32 v[38:39], v[40:41], v[38:39], v[42:43] op_sel:[1,1,0] op_sel_hi:[0,1,1] neg_lo:[0,0,1] neg_hi:[0,0,1]
	v_pk_add_f32 v[40:41], v[36:37], v[78:79] neg_lo:[0,1] neg_hi:[0,1]
	s_delay_alu instid0(VALU_DEP_2) | instskip(NEXT) | instid1(VALU_DEP_2)
	v_pk_add_f32 v[36:37], v[36:37], v[38:39]
	v_mov_b32_e32 v37, v41
.LBB61_320:                             ;   in Loop: Header=BB61_3 Depth=1
	s_or_b32 exec_lo, exec_lo, s8
	s_barrier_signal -1
	s_barrier_wait -1
	s_and_saveexec_b32 s8, s46
; %bb.321:                              ;   in Loop: Header=BB61_3 Depth=1
	v_pk_add_f32 v[38:39], v[36:37], 0 neg_lo:[1,1] neg_hi:[1,1]
	ds_store_b64 v44, v[38:39]
; %bb.322:                              ;   in Loop: Header=BB61_3 Depth=1
	s_or_b32 exec_lo, exec_lo, s8
	s_wait_dscnt 0x0
	s_barrier_signal -1
	s_barrier_wait -1
	s_barrier_signal -1
	s_barrier_wait -1
	s_and_saveexec_b32 s8, s2
; %bb.323:                              ;   in Loop: Header=BB61_3 Depth=1
	ds_store_b64 v47, v[36:37] offset:24416
; %bb.324:                              ;   in Loop: Header=BB61_3 Depth=1
	s_or_b32 exec_lo, exec_lo, s8
	s_wait_dscnt 0x0
	s_barrier_signal -1
	s_barrier_wait -1
	s_barrier_signal -1
	s_barrier_wait -1
	s_and_saveexec_b32 s8, s10
; %bb.325:                              ;   in Loop: Header=BB61_3 Depth=1
	v_add_nc_u32_e64 v36, 0x5800, 0
	ds_store_2addr_b64 v36, v[34:35], v[34:35] offset0:44 offset1:109
; %bb.326:                              ;   in Loop: Header=BB61_3 Depth=1
	s_or_b32 exec_lo, exec_lo, s8
	v_mov_b64_e32 v[36:37], 0
	s_wait_dscnt 0x0
	s_barrier_signal -1
	s_barrier_wait -1
	global_wb scope:SCOPE_DEV
	s_wait_storecnt 0x0
	global_inv scope:SCOPE_DEV
	s_and_saveexec_b32 s98, s3
	s_cbranch_execz .LBB61_332
; %bb.327:                              ;   in Loop: Header=BB61_3 Depth=1
	ds_load_b64 v[36:37], v49 offset:22848
	ds_load_b64 v[38:39], v50 offset:24416
	s_wait_dscnt 0x0
	v_dual_mul_f32 v40, v39, v37 :: v_dual_mul_f32 v37, v38, v37
	s_delay_alu instid0(VALU_DEP_1) | instskip(NEXT) | instid1(VALU_DEP_1)
	v_dual_fma_f32 v38, v38, v36, -v40 :: v_dual_fmac_f32 v37, v39, v36
	v_dual_add_f32 v36, 0, v38 :: v_dual_add_f32 v37, 0, v37
	s_and_saveexec_b32 s8, s12
	s_cbranch_execnz .LBB61_1014
; %bb.328:                              ;   in Loop: Header=BB61_3 Depth=1
	s_or_b32 exec_lo, exec_lo, s8
	s_and_saveexec_b32 s8, s13
	s_cbranch_execnz .LBB61_1015
.LBB61_329:                             ;   in Loop: Header=BB61_3 Depth=1
	s_or_b32 exec_lo, exec_lo, s8
	s_and_saveexec_b32 s8, s2
	s_cbranch_execz .LBB61_331
.LBB61_330:                             ;   in Loop: Header=BB61_3 Depth=1
	ds_load_b64 v[38:39], v46 offset:24384
	ds_load_b64 v[40:41], v7 offset:24440
	s_wait_dscnt 0x0
	v_pk_mul_f32 v[42:43], v[40:41], v[38:39] op_sel:[1,1] op_sel_hi:[0,1]
	s_delay_alu instid0(VALU_DEP_1) | instskip(SKIP_1) | instid1(VALU_DEP_2)
	v_pk_fma_f32 v[78:79], v[40:41], v[38:39], v[42:43] op_sel_hi:[1,0,1]
	v_pk_fma_f32 v[38:39], v[40:41], v[38:39], v[42:43] neg_lo:[0,0,1] neg_hi:[0,0,1]
	v_mov_b32_e32 v39, v79
	s_delay_alu instid0(VALU_DEP_1)
	v_pk_add_f32 v[36:37], v[36:37], v[38:39]
.LBB61_331:                             ;   in Loop: Header=BB61_3 Depth=1
	s_or_b32 exec_lo, exec_lo, s8
.LBB61_332:                             ;   in Loop: Header=BB61_3 Depth=1
	s_delay_alu instid0(SALU_CYCLE_1)
	s_or_b32 exec_lo, exec_lo, s98
	s_and_saveexec_b32 s8, s47
; %bb.333:                              ;   in Loop: Header=BB61_3 Depth=1
	s_delay_alu instid0(VALU_DEP_1)
	v_pk_add_f32 v[38:39], v[36:37], 0 neg_lo:[1,1] neg_hi:[1,1]
	ds_store_b64 v48, v[38:39]
; %bb.334:                              ;   in Loop: Header=BB61_3 Depth=1
	s_or_b32 exec_lo, exec_lo, s8
	s_wait_loadcnt_dscnt 0x0
	s_barrier_signal -1
	s_barrier_wait -1
	s_and_saveexec_b32 s8, s48
	s_cbranch_execz .LBB61_336
; %bb.335:                              ;   in Loop: Header=BB61_3 Depth=1
	ds_load_b64 v[38:39], v49 offset:22336
	ds_load_b64 v[40:41], v48
	s_wait_dscnt 0x0
	v_pk_mul_f32 v[42:43], v[40:41], v[38:39] op_sel:[1,1] op_sel_hi:[0,1]
	s_delay_alu instid0(VALU_DEP_1) | instskip(SKIP_1) | instid1(VALU_DEP_2)
	v_pk_fma_f32 v[78:79], v[40:41], v[38:39], v[42:43] op_sel_hi:[1,0,1]
	v_pk_fma_f32 v[38:39], v[40:41], v[38:39], v[42:43] neg_lo:[0,0,1] neg_hi:[0,0,1]
	v_mov_b32_e32 v39, v79
	s_delay_alu instid0(VALU_DEP_1)
	v_pk_add_f32 v[36:37], v[36:37], v[38:39] neg_lo:[0,1] neg_hi:[0,1]
.LBB61_336:                             ;   in Loop: Header=BB61_3 Depth=1
	s_or_b32 exec_lo, exec_lo, s8
	s_barrier_signal -1
	s_barrier_wait -1
	s_and_saveexec_b32 s8, s49
; %bb.337:                              ;   in Loop: Header=BB61_3 Depth=1
	v_pk_add_f32 v[38:39], v[36:37], 0 neg_lo:[1,1] neg_hi:[1,1]
	ds_store_b64 v48, v[38:39]
; %bb.338:                              ;   in Loop: Header=BB61_3 Depth=1
	s_or_b32 exec_lo, exec_lo, s8
	s_wait_dscnt 0x0
	s_barrier_signal -1
	s_barrier_wait -1
	s_and_saveexec_b32 s8, s50
	s_cbranch_execz .LBB61_340
; %bb.339:                              ;   in Loop: Header=BB61_3 Depth=1
	ds_load_b64 v[38:39], v49 offset:21824
	ds_load_b64 v[40:41], v48
	s_wait_dscnt 0x0
	v_pk_mul_f32 v[42:43], v[40:41], v[38:39] op_sel:[1,1] op_sel_hi:[0,1]
	s_delay_alu instid0(VALU_DEP_1) | instskip(SKIP_1) | instid1(VALU_DEP_2)
	v_pk_fma_f32 v[78:79], v[40:41], v[38:39], v[42:43] op_sel_hi:[1,0,1]
	v_pk_fma_f32 v[38:39], v[40:41], v[38:39], v[42:43] neg_lo:[0,0,1] neg_hi:[0,0,1]
	v_mov_b32_e32 v39, v79
	s_delay_alu instid0(VALU_DEP_1)
	v_pk_add_f32 v[36:37], v[36:37], v[38:39] neg_lo:[0,1] neg_hi:[0,1]
.LBB61_340:                             ;   in Loop: Header=BB61_3 Depth=1
	s_or_b32 exec_lo, exec_lo, s8
	s_barrier_signal -1
	s_barrier_wait -1
	s_and_saveexec_b32 s8, s51
; %bb.341:                              ;   in Loop: Header=BB61_3 Depth=1
	v_pk_add_f32 v[38:39], v[36:37], 0 neg_lo:[1,1] neg_hi:[1,1]
	ds_store_b64 v48, v[38:39]
; %bb.342:                              ;   in Loop: Header=BB61_3 Depth=1
	s_or_b32 exec_lo, exec_lo, s8
	s_wait_dscnt 0x0
	;; [unrolled: 26-line block ×3, first 2 shown]
	s_barrier_signal -1
	s_barrier_wait -1
	s_barrier_signal -1
	s_barrier_wait -1
	s_and_saveexec_b32 s8, s3
; %bb.347:                              ;   in Loop: Header=BB61_3 Depth=1
	ds_store_b64 v52, v[36:37] offset:24384
; %bb.348:                              ;   in Loop: Header=BB61_3 Depth=1
	s_or_b32 exec_lo, exec_lo, s8
	s_wait_dscnt 0x0
	s_barrier_signal -1
	s_barrier_wait -1
	s_barrier_signal -1
	s_barrier_wait -1
	s_and_saveexec_b32 s8, s10
; %bb.349:                              ;   in Loop: Header=BB61_3 Depth=1
	v_add_nc_u32_e64 v36, 0x5000, 0
	ds_store_2addr_b64 v36, v[34:35], v[34:35] offset0:170 offset1:235
; %bb.350:                              ;   in Loop: Header=BB61_3 Depth=1
	s_or_b32 exec_lo, exec_lo, s8
	v_dual_mov_b32 v36, 0 :: v_dual_mov_b32 v37, 0
	s_wait_dscnt 0x0
	s_barrier_signal -1
	s_barrier_wait -1
	global_wb scope:SCOPE_DEV
	s_wait_storecnt 0x0
	global_inv scope:SCOPE_DEV
	s_and_saveexec_b32 s8, s2
	s_cbranch_execz .LBB61_354
; %bb.351:                              ;   in Loop: Header=BB61_3 Depth=1
	ds_load_b64 v[36:37], v5 offset:21824
	ds_load_b64 v[38:39], v45 offset:22352
	s_wait_dscnt 0x0
	v_pk_mul_f32 v[40:41], v[38:39], v[36:37] op_sel:[1,1] op_sel_hi:[0,1]
	s_delay_alu instid0(VALU_DEP_1) | instskip(SKIP_1) | instid1(VALU_DEP_2)
	v_pk_fma_f32 v[42:43], v[38:39], v[36:37], v[40:41] op_sel_hi:[1,0,1]
	v_pk_fma_f32 v[36:37], v[38:39], v[36:37], v[40:41] neg_lo:[0,0,1] neg_hi:[0,0,1]
	v_mov_b32_e32 v37, v43
	s_delay_alu instid0(VALU_DEP_1)
	v_pk_add_f32 v[36:37], v[36:37], 0 op_sel_hi:[1,0]
	s_and_saveexec_b32 s64, s11
	s_cbranch_execz .LBB61_353
; %bb.352:                              ;   in Loop: Header=BB61_3 Depth=1
	ds_load_b64 v[38:39], v46 offset:22336
	ds_load_b64 v[40:41], v7 offset:22360
	s_wait_dscnt 0x0
	v_pk_mul_f32 v[42:43], v[40:41], v[38:39] op_sel:[1,1] op_sel_hi:[0,1]
	s_delay_alu instid0(VALU_DEP_1) | instskip(SKIP_1) | instid1(VALU_DEP_2)
	v_pk_fma_f32 v[78:79], v[40:41], v[38:39], v[42:43] op_sel_hi:[1,0,1]
	v_pk_fma_f32 v[38:39], v[40:41], v[38:39], v[42:43] neg_lo:[0,0,1] neg_hi:[0,0,1]
	v_mov_b32_e32 v39, v79
	s_delay_alu instid0(VALU_DEP_1)
	v_pk_add_f32 v[36:37], v[36:37], v[38:39]
.LBB61_353:                             ;   in Loop: Header=BB61_3 Depth=1
	s_or_b32 exec_lo, exec_lo, s64
.LBB61_354:                             ;   in Loop: Header=BB61_3 Depth=1
	s_delay_alu instid0(SALU_CYCLE_1)
	s_or_b32 exec_lo, exec_lo, s8
	s_and_saveexec_b32 s8, s45
; %bb.355:                              ;   in Loop: Header=BB61_3 Depth=1
	s_delay_alu instid0(VALU_DEP_1)
	v_pk_add_f32 v[38:39], v[36:37], 0 neg_lo:[1,1] neg_hi:[1,1]
	ds_store_b64 v44, v[38:39]
; %bb.356:                              ;   in Loop: Header=BB61_3 Depth=1
	s_or_b32 exec_lo, exec_lo, s8
	s_wait_loadcnt_dscnt 0x0
	s_barrier_signal -1
	s_barrier_wait -1
	s_and_saveexec_b32 s8, s46
	s_cbranch_execz .LBB61_358
; %bb.357:                              ;   in Loop: Header=BB61_3 Depth=1
	ds_load_b64 v[38:39], v7 offset:21312
	ds_load_b64 v[40:41], v44
	s_wait_dscnt 0x0
	v_pk_mul_f32 v[42:43], v[40:41], v[38:39] op_sel_hi:[1,0]
	s_delay_alu instid0(VALU_DEP_1) | instskip(SKIP_1) | instid1(VALU_DEP_2)
	v_pk_fma_f32 v[78:79], v[40:41], v[38:39], v[42:43] op_sel:[1,1,0] op_sel_hi:[0,1,1]
	v_pk_fma_f32 v[38:39], v[40:41], v[38:39], v[42:43] op_sel:[1,1,0] op_sel_hi:[0,1,1] neg_lo:[0,0,1] neg_hi:[0,0,1]
	v_pk_add_f32 v[40:41], v[36:37], v[78:79] neg_lo:[0,1] neg_hi:[0,1]
	s_delay_alu instid0(VALU_DEP_2) | instskip(NEXT) | instid1(VALU_DEP_2)
	v_pk_add_f32 v[36:37], v[36:37], v[38:39]
	v_mov_b32_e32 v37, v41
.LBB61_358:                             ;   in Loop: Header=BB61_3 Depth=1
	s_or_b32 exec_lo, exec_lo, s8
	s_barrier_signal -1
	s_barrier_wait -1
	s_and_saveexec_b32 s8, s46
; %bb.359:                              ;   in Loop: Header=BB61_3 Depth=1
	v_pk_add_f32 v[38:39], v[36:37], 0 neg_lo:[1,1] neg_hi:[1,1]
	ds_store_b64 v44, v[38:39]
; %bb.360:                              ;   in Loop: Header=BB61_3 Depth=1
	s_or_b32 exec_lo, exec_lo, s8
	s_wait_dscnt 0x0
	s_barrier_signal -1
	s_barrier_wait -1
	s_barrier_signal -1
	s_barrier_wait -1
	s_and_saveexec_b32 s8, s2
; %bb.361:                              ;   in Loop: Header=BB61_3 Depth=1
	ds_store_b64 v47, v[36:37] offset:22336
; %bb.362:                              ;   in Loop: Header=BB61_3 Depth=1
	s_or_b32 exec_lo, exec_lo, s8
	s_wait_dscnt 0x0
	s_barrier_signal -1
	s_barrier_wait -1
	s_barrier_signal -1
	s_barrier_wait -1
	s_and_saveexec_b32 s8, s10
; %bb.363:                              ;   in Loop: Header=BB61_3 Depth=1
	v_add_nc_u32_e64 v36, 0x5000, 0
	ds_store_2addr_b64 v36, v[34:35], v[34:35] offset0:40 offset1:105
; %bb.364:                              ;   in Loop: Header=BB61_3 Depth=1
	s_or_b32 exec_lo, exec_lo, s8
	v_mov_b64_e32 v[36:37], 0
	s_wait_dscnt 0x0
	s_barrier_signal -1
	s_barrier_wait -1
	global_wb scope:SCOPE_DEV
	s_wait_storecnt 0x0
	global_inv scope:SCOPE_DEV
	s_and_saveexec_b32 s98, s4
	s_cbranch_execz .LBB61_374
; %bb.365:                              ;   in Loop: Header=BB61_3 Depth=1
	ds_load_b64 v[36:37], v51 offset:20736
	ds_load_b64 v[38:39], v54 offset:24384
	s_wait_dscnt 0x0
	v_dual_mul_f32 v40, v39, v37 :: v_dual_mul_f32 v37, v38, v37
	s_delay_alu instid0(VALU_DEP_1) | instskip(NEXT) | instid1(VALU_DEP_1)
	v_dual_fma_f32 v38, v38, v36, -v40 :: v_dual_fmac_f32 v37, v39, v36
	v_dual_add_f32 v36, 0, v38 :: v_dual_add_f32 v37, 0, v37
	s_and_saveexec_b32 s8, s14
	s_cbranch_execnz .LBB61_1016
; %bb.366:                              ;   in Loop: Header=BB61_3 Depth=1
	s_or_b32 exec_lo, exec_lo, s8
	s_and_saveexec_b32 s8, s15
	s_cbranch_execnz .LBB61_1017
.LBB61_367:                             ;   in Loop: Header=BB61_3 Depth=1
	s_or_b32 exec_lo, exec_lo, s8
	s_and_saveexec_b32 s8, s16
	s_cbranch_execnz .LBB61_1018
.LBB61_368:                             ;   in Loop: Header=BB61_3 Depth=1
	s_or_b32 exec_lo, exec_lo, s8
	s_and_saveexec_b32 s8, s17
	s_cbranch_execnz .LBB61_1019
.LBB61_369:                             ;   in Loop: Header=BB61_3 Depth=1
	s_or_b32 exec_lo, exec_lo, s8
	s_and_saveexec_b32 s8, s18
	s_cbranch_execnz .LBB61_1020
.LBB61_370:                             ;   in Loop: Header=BB61_3 Depth=1
	s_or_b32 exec_lo, exec_lo, s8
	s_and_saveexec_b32 s8, s3
	s_cbranch_execnz .LBB61_1021
.LBB61_371:                             ;   in Loop: Header=BB61_3 Depth=1
	s_or_b32 exec_lo, exec_lo, s8
	s_and_saveexec_b32 s8, s13
	s_cbranch_execz .LBB61_373
.LBB61_372:                             ;   in Loop: Header=BB61_3 Depth=1
	ds_load_b64 v[38:39], v46 offset:24320
	ds_load_b64 v[40:41], v7 offset:24440
	s_wait_dscnt 0x0
	v_pk_mul_f32 v[42:43], v[40:41], v[38:39] op_sel:[1,1] op_sel_hi:[0,1]
	s_delay_alu instid0(VALU_DEP_1) | instskip(SKIP_1) | instid1(VALU_DEP_2)
	v_pk_fma_f32 v[78:79], v[40:41], v[38:39], v[42:43] op_sel_hi:[1,0,1]
	v_pk_fma_f32 v[38:39], v[40:41], v[38:39], v[42:43] neg_lo:[0,0,1] neg_hi:[0,0,1]
	v_mov_b32_e32 v39, v79
	s_delay_alu instid0(VALU_DEP_1)
	v_pk_add_f32 v[36:37], v[36:37], v[38:39]
.LBB61_373:                             ;   in Loop: Header=BB61_3 Depth=1
	s_or_b32 exec_lo, exec_lo, s8
.LBB61_374:                             ;   in Loop: Header=BB61_3 Depth=1
	s_delay_alu instid0(SALU_CYCLE_1)
	s_or_b32 exec_lo, exec_lo, s98
	s_and_saveexec_b32 s8, s53
; %bb.375:                              ;   in Loop: Header=BB61_3 Depth=1
	s_delay_alu instid0(VALU_DEP_1)
	v_pk_add_f32 v[38:39], v[36:37], 0 neg_lo:[1,1] neg_hi:[1,1]
	ds_store_b64 v53, v[38:39]
; %bb.376:                              ;   in Loop: Header=BB61_3 Depth=1
	s_or_b32 exec_lo, exec_lo, s8
	s_wait_loadcnt_dscnt 0x0
	s_barrier_signal -1
	s_barrier_wait -1
	s_and_saveexec_b32 s8, s54
	s_cbranch_execz .LBB61_378
; %bb.377:                              ;   in Loop: Header=BB61_3 Depth=1
	ds_load_b64 v[38:39], v51 offset:20224
	ds_load_b64 v[40:41], v53
	s_wait_dscnt 0x0
	v_pk_mul_f32 v[42:43], v[40:41], v[38:39] op_sel:[1,1] op_sel_hi:[0,1]
	s_delay_alu instid0(VALU_DEP_1) | instskip(SKIP_1) | instid1(VALU_DEP_2)
	v_pk_fma_f32 v[78:79], v[40:41], v[38:39], v[42:43] op_sel_hi:[1,0,1]
	v_pk_fma_f32 v[38:39], v[40:41], v[38:39], v[42:43] neg_lo:[0,0,1] neg_hi:[0,0,1]
	v_mov_b32_e32 v39, v79
	s_delay_alu instid0(VALU_DEP_1)
	v_pk_add_f32 v[36:37], v[36:37], v[38:39] neg_lo:[0,1] neg_hi:[0,1]
.LBB61_378:                             ;   in Loop: Header=BB61_3 Depth=1
	s_or_b32 exec_lo, exec_lo, s8
	s_barrier_signal -1
	s_barrier_wait -1
	s_and_saveexec_b32 s8, s55
; %bb.379:                              ;   in Loop: Header=BB61_3 Depth=1
	v_pk_add_f32 v[38:39], v[36:37], 0 neg_lo:[1,1] neg_hi:[1,1]
	ds_store_b64 v53, v[38:39]
; %bb.380:                              ;   in Loop: Header=BB61_3 Depth=1
	s_or_b32 exec_lo, exec_lo, s8
	s_wait_dscnt 0x0
	s_barrier_signal -1
	s_barrier_wait -1
	s_and_saveexec_b32 s8, s56
	s_cbranch_execz .LBB61_382
; %bb.381:                              ;   in Loop: Header=BB61_3 Depth=1
	ds_load_b64 v[38:39], v51 offset:19712
	ds_load_b64 v[40:41], v53
	s_wait_dscnt 0x0
	v_dual_mul_f32 v42, v41, v39 :: v_dual_mul_f32 v39, v40, v39
	s_delay_alu instid0(VALU_DEP_1) | instskip(NEXT) | instid1(VALU_DEP_1)
	v_dual_fma_f32 v40, v40, v38, -v42 :: v_dual_fmac_f32 v39, v41, v38
	v_dual_sub_f32 v36, v36, v40 :: v_dual_sub_f32 v37, v37, v39
.LBB61_382:                             ;   in Loop: Header=BB61_3 Depth=1
	s_or_b32 exec_lo, exec_lo, s8
	s_barrier_signal -1
	s_barrier_wait -1
	s_and_saveexec_b32 s8, s57
; %bb.383:                              ;   in Loop: Header=BB61_3 Depth=1
	v_pk_add_f32 v[38:39], v[36:37], 0 neg_lo:[1,1] neg_hi:[1,1]
	ds_store_b64 v53, v[38:39]
; %bb.384:                              ;   in Loop: Header=BB61_3 Depth=1
	s_or_b32 exec_lo, exec_lo, s8
	s_wait_dscnt 0x0
	s_barrier_signal -1
	s_barrier_wait -1
	s_and_saveexec_b32 s8, s58
	s_cbranch_execz .LBB61_386
; %bb.385:                              ;   in Loop: Header=BB61_3 Depth=1
	ds_load_b64 v[38:39], v51 offset:19200
	ds_load_b64 v[40:41], v53
	s_wait_dscnt 0x0
	v_dual_mul_f32 v42, v41, v39 :: v_dual_mul_f32 v43, v40, v39
	s_delay_alu instid0(VALU_DEP_1) | instskip(NEXT) | instid1(VALU_DEP_1)
	v_dual_fma_f32 v42, v40, v38, -v42 :: v_dual_fmac_f32 v43, v41, v38
	v_pk_add_f32 v[36:37], v[36:37], v[42:43] neg_lo:[0,1] neg_hi:[0,1]
.LBB61_386:                             ;   in Loop: Header=BB61_3 Depth=1
	s_or_b32 exec_lo, exec_lo, s8
	s_barrier_signal -1
	s_barrier_wait -1
	s_and_saveexec_b32 s8, s59
; %bb.387:                              ;   in Loop: Header=BB61_3 Depth=1
	v_pk_add_f32 v[38:39], v[36:37], 0 neg_lo:[1,1] neg_hi:[1,1]
	ds_store_b64 v53, v[38:39]
; %bb.388:                              ;   in Loop: Header=BB61_3 Depth=1
	s_or_b32 exec_lo, exec_lo, s8
	s_wait_dscnt 0x0
	s_barrier_signal -1
	s_barrier_wait -1
	s_and_saveexec_b32 s8, s60
	s_cbranch_execz .LBB61_390
; %bb.389:                              ;   in Loop: Header=BB61_3 Depth=1
	ds_load_b64 v[38:39], v51 offset:18688
	ds_load_b64 v[40:41], v53
	s_wait_dscnt 0x0
	v_pk_mul_f32 v[42:43], v[40:41], v[38:39] op_sel:[1,1] op_sel_hi:[0,1]
	s_delay_alu instid0(VALU_DEP_1) | instskip(SKIP_1) | instid1(VALU_DEP_2)
	v_pk_fma_f32 v[78:79], v[40:41], v[38:39], v[42:43] op_sel_hi:[1,0,1]
	v_pk_fma_f32 v[38:39], v[40:41], v[38:39], v[42:43] neg_lo:[0,0,1] neg_hi:[0,0,1]
	v_mov_b32_e32 v39, v79
	s_delay_alu instid0(VALU_DEP_1)
	v_pk_add_f32 v[36:37], v[36:37], v[38:39] neg_lo:[0,1] neg_hi:[0,1]
.LBB61_390:                             ;   in Loop: Header=BB61_3 Depth=1
	s_or_b32 exec_lo, exec_lo, s8
	s_barrier_signal -1
	s_barrier_wait -1
	s_and_saveexec_b32 s8, s61
; %bb.391:                              ;   in Loop: Header=BB61_3 Depth=1
	v_pk_add_f32 v[38:39], v[36:37], 0 neg_lo:[1,1] neg_hi:[1,1]
	ds_store_b64 v53, v[38:39]
; %bb.392:                              ;   in Loop: Header=BB61_3 Depth=1
	s_or_b32 exec_lo, exec_lo, s8
	s_wait_dscnt 0x0
	s_barrier_signal -1
	s_barrier_wait -1
	s_and_saveexec_b32 s8, s62
	s_cbranch_execz .LBB61_394
; %bb.393:                              ;   in Loop: Header=BB61_3 Depth=1
	ds_load_b64 v[38:39], v51 offset:18176
	ds_load_b64 v[40:41], v53
	s_wait_dscnt 0x0
	v_pk_mul_f32 v[42:43], v[40:41], v[38:39] op_sel:[1,1] op_sel_hi:[0,1]
	s_delay_alu instid0(VALU_DEP_1) | instskip(SKIP_1) | instid1(VALU_DEP_2)
	v_pk_fma_f32 v[78:79], v[40:41], v[38:39], v[42:43] op_sel_hi:[1,0,1]
	v_pk_fma_f32 v[38:39], v[40:41], v[38:39], v[42:43] neg_lo:[0,0,1] neg_hi:[0,0,1]
	v_mov_b32_e32 v39, v79
	s_delay_alu instid0(VALU_DEP_1)
	v_pk_add_f32 v[36:37], v[36:37], v[38:39] neg_lo:[0,1] neg_hi:[0,1]
.LBB61_394:                             ;   in Loop: Header=BB61_3 Depth=1
	;; [unrolled: 26-line block ×4, first 2 shown]
	s_or_b32 exec_lo, exec_lo, s8
	s_barrier_signal -1
	s_barrier_wait -1
	s_and_saveexec_b32 s8, s23
; %bb.403:                              ;   in Loop: Header=BB61_3 Depth=1
	v_pk_add_f32 v[38:39], v[36:37], 0 neg_lo:[1,1] neg_hi:[1,1]
	ds_store_b64 v53, v[38:39]
; %bb.404:                              ;   in Loop: Header=BB61_3 Depth=1
	s_or_b32 exec_lo, exec_lo, s8
	s_wait_dscnt 0x0
	s_barrier_signal -1
	s_barrier_wait -1
	s_barrier_signal -1
	s_barrier_wait -1
	s_and_saveexec_b32 s8, s4
; %bb.405:                              ;   in Loop: Header=BB61_3 Depth=1
	ds_store_b64 v55, v[36:37] offset:24320
; %bb.406:                              ;   in Loop: Header=BB61_3 Depth=1
	s_or_b32 exec_lo, exec_lo, s8
	s_wait_dscnt 0x0
	s_barrier_signal -1
	s_barrier_wait -1
	s_barrier_signal -1
	s_barrier_wait -1
	s_and_saveexec_b32 s8, s10
; %bb.407:                              ;   in Loop: Header=BB61_3 Depth=1
	v_add_nc_u32_e64 v36, 0x4800, 0
	ds_store_2addr_b64 v36, v[34:35], v[34:35] offset0:166 offset1:231
; %bb.408:                              ;   in Loop: Header=BB61_3 Depth=1
	s_or_b32 exec_lo, exec_lo, s8
	v_dual_mov_b32 v36, 0 :: v_dual_mov_b32 v37, 0
	s_wait_dscnt 0x0
	s_barrier_signal -1
	s_barrier_wait -1
	global_wb scope:SCOPE_DEV
	s_wait_storecnt 0x0
	global_inv scope:SCOPE_DEV
	s_and_saveexec_b32 s8, s2
	s_cbranch_execz .LBB61_412
; %bb.409:                              ;   in Loop: Header=BB61_3 Depth=1
	ds_load_b64 v[36:37], v5 offset:19744
	ds_load_b64 v[38:39], v45 offset:20272
	s_wait_dscnt 0x0
	v_pk_mul_f32 v[40:41], v[38:39], v[36:37] op_sel:[1,1] op_sel_hi:[0,1]
	s_delay_alu instid0(VALU_DEP_1) | instskip(SKIP_1) | instid1(VALU_DEP_2)
	v_pk_fma_f32 v[42:43], v[38:39], v[36:37], v[40:41] op_sel_hi:[1,0,1]
	v_pk_fma_f32 v[36:37], v[38:39], v[36:37], v[40:41] neg_lo:[0,0,1] neg_hi:[0,0,1]
	v_mov_b32_e32 v37, v43
	s_delay_alu instid0(VALU_DEP_1)
	v_pk_add_f32 v[36:37], v[36:37], 0 op_sel_hi:[1,0]
	s_and_saveexec_b32 s64, s11
	s_cbranch_execz .LBB61_411
; %bb.410:                              ;   in Loop: Header=BB61_3 Depth=1
	ds_load_b64 v[38:39], v46 offset:20256
	ds_load_b64 v[40:41], v7 offset:20280
	s_wait_dscnt 0x0
	v_pk_mul_f32 v[42:43], v[40:41], v[38:39] op_sel:[1,1] op_sel_hi:[0,1]
	s_delay_alu instid0(VALU_DEP_1) | instskip(SKIP_1) | instid1(VALU_DEP_2)
	v_pk_fma_f32 v[78:79], v[40:41], v[38:39], v[42:43] op_sel_hi:[1,0,1]
	v_pk_fma_f32 v[38:39], v[40:41], v[38:39], v[42:43] neg_lo:[0,0,1] neg_hi:[0,0,1]
	v_mov_b32_e32 v39, v79
	s_delay_alu instid0(VALU_DEP_1)
	v_pk_add_f32 v[36:37], v[36:37], v[38:39]
.LBB61_411:                             ;   in Loop: Header=BB61_3 Depth=1
	s_or_b32 exec_lo, exec_lo, s64
.LBB61_412:                             ;   in Loop: Header=BB61_3 Depth=1
	s_delay_alu instid0(SALU_CYCLE_1)
	s_or_b32 exec_lo, exec_lo, s8
	s_and_saveexec_b32 s8, s45
; %bb.413:                              ;   in Loop: Header=BB61_3 Depth=1
	s_delay_alu instid0(VALU_DEP_1)
	v_pk_add_f32 v[38:39], v[36:37], 0 neg_lo:[1,1] neg_hi:[1,1]
	ds_store_b64 v44, v[38:39]
; %bb.414:                              ;   in Loop: Header=BB61_3 Depth=1
	s_or_b32 exec_lo, exec_lo, s8
	s_wait_loadcnt_dscnt 0x0
	s_barrier_signal -1
	s_barrier_wait -1
	s_and_saveexec_b32 s8, s46
	s_cbranch_execz .LBB61_416
; %bb.415:                              ;   in Loop: Header=BB61_3 Depth=1
	ds_load_b64 v[38:39], v7 offset:19232
	ds_load_b64 v[40:41], v44
	s_wait_dscnt 0x0
	v_pk_mul_f32 v[42:43], v[40:41], v[38:39] op_sel_hi:[1,0]
	s_delay_alu instid0(VALU_DEP_1) | instskip(SKIP_1) | instid1(VALU_DEP_2)
	v_pk_fma_f32 v[78:79], v[40:41], v[38:39], v[42:43] op_sel:[1,1,0] op_sel_hi:[0,1,1]
	v_pk_fma_f32 v[38:39], v[40:41], v[38:39], v[42:43] op_sel:[1,1,0] op_sel_hi:[0,1,1] neg_lo:[0,0,1] neg_hi:[0,0,1]
	v_pk_add_f32 v[40:41], v[36:37], v[78:79] neg_lo:[0,1] neg_hi:[0,1]
	s_delay_alu instid0(VALU_DEP_2) | instskip(NEXT) | instid1(VALU_DEP_2)
	v_pk_add_f32 v[36:37], v[36:37], v[38:39]
	v_mov_b32_e32 v37, v41
.LBB61_416:                             ;   in Loop: Header=BB61_3 Depth=1
	s_or_b32 exec_lo, exec_lo, s8
	s_barrier_signal -1
	s_barrier_wait -1
	s_and_saveexec_b32 s8, s46
; %bb.417:                              ;   in Loop: Header=BB61_3 Depth=1
	v_pk_add_f32 v[38:39], v[36:37], 0 neg_lo:[1,1] neg_hi:[1,1]
	ds_store_b64 v44, v[38:39]
; %bb.418:                              ;   in Loop: Header=BB61_3 Depth=1
	s_or_b32 exec_lo, exec_lo, s8
	s_wait_dscnt 0x0
	s_barrier_signal -1
	s_barrier_wait -1
	s_barrier_signal -1
	s_barrier_wait -1
	s_and_saveexec_b32 s8, s2
; %bb.419:                              ;   in Loop: Header=BB61_3 Depth=1
	ds_store_b64 v47, v[36:37] offset:20256
; %bb.420:                              ;   in Loop: Header=BB61_3 Depth=1
	s_or_b32 exec_lo, exec_lo, s8
	s_wait_dscnt 0x0
	s_barrier_signal -1
	s_barrier_wait -1
	s_barrier_signal -1
	s_barrier_wait -1
	s_and_saveexec_b32 s8, s10
; %bb.421:                              ;   in Loop: Header=BB61_3 Depth=1
	v_add_nc_u32_e64 v36, 0x4800, 0
	ds_store_2addr_b64 v36, v[34:35], v[34:35] offset0:36 offset1:101
; %bb.422:                              ;   in Loop: Header=BB61_3 Depth=1
	s_or_b32 exec_lo, exec_lo, s8
	v_mov_b64_e32 v[36:37], 0
	s_wait_dscnt 0x0
	s_barrier_signal -1
	s_barrier_wait -1
	global_wb scope:SCOPE_DEV
	s_wait_storecnt 0x0
	global_inv scope:SCOPE_DEV
	s_and_saveexec_b32 s98, s3
	s_cbranch_execz .LBB61_428
; %bb.423:                              ;   in Loop: Header=BB61_3 Depth=1
	ds_load_b64 v[36:37], v49 offset:18688
	ds_load_b64 v[38:39], v50 offset:20256
	s_wait_dscnt 0x0
	v_dual_mul_f32 v40, v39, v37 :: v_dual_mul_f32 v37, v38, v37
	s_delay_alu instid0(VALU_DEP_1) | instskip(NEXT) | instid1(VALU_DEP_1)
	v_dual_fma_f32 v38, v38, v36, -v40 :: v_dual_fmac_f32 v37, v39, v36
	v_dual_add_f32 v36, 0, v38 :: v_dual_add_f32 v37, 0, v37
	s_and_saveexec_b32 s8, s12
	s_cbranch_execnz .LBB61_1022
; %bb.424:                              ;   in Loop: Header=BB61_3 Depth=1
	s_or_b32 exec_lo, exec_lo, s8
	s_and_saveexec_b32 s8, s13
	s_cbranch_execnz .LBB61_1023
.LBB61_425:                             ;   in Loop: Header=BB61_3 Depth=1
	s_or_b32 exec_lo, exec_lo, s8
	s_and_saveexec_b32 s8, s2
	s_cbranch_execz .LBB61_427
.LBB61_426:                             ;   in Loop: Header=BB61_3 Depth=1
	ds_load_b64 v[38:39], v46 offset:20224
	ds_load_b64 v[40:41], v7 offset:20280
	s_wait_dscnt 0x0
	v_pk_mul_f32 v[42:43], v[40:41], v[38:39] op_sel:[1,1] op_sel_hi:[0,1]
	s_delay_alu instid0(VALU_DEP_1) | instskip(SKIP_1) | instid1(VALU_DEP_2)
	v_pk_fma_f32 v[78:79], v[40:41], v[38:39], v[42:43] op_sel_hi:[1,0,1]
	v_pk_fma_f32 v[38:39], v[40:41], v[38:39], v[42:43] neg_lo:[0,0,1] neg_hi:[0,0,1]
	v_mov_b32_e32 v39, v79
	s_delay_alu instid0(VALU_DEP_1)
	v_pk_add_f32 v[36:37], v[36:37], v[38:39]
.LBB61_427:                             ;   in Loop: Header=BB61_3 Depth=1
	s_or_b32 exec_lo, exec_lo, s8
.LBB61_428:                             ;   in Loop: Header=BB61_3 Depth=1
	s_delay_alu instid0(SALU_CYCLE_1)
	s_or_b32 exec_lo, exec_lo, s98
	s_and_saveexec_b32 s8, s47
; %bb.429:                              ;   in Loop: Header=BB61_3 Depth=1
	s_delay_alu instid0(VALU_DEP_1)
	v_pk_add_f32 v[38:39], v[36:37], 0 neg_lo:[1,1] neg_hi:[1,1]
	ds_store_b64 v48, v[38:39]
; %bb.430:                              ;   in Loop: Header=BB61_3 Depth=1
	s_or_b32 exec_lo, exec_lo, s8
	s_wait_loadcnt_dscnt 0x0
	s_barrier_signal -1
	s_barrier_wait -1
	s_and_saveexec_b32 s8, s48
	s_cbranch_execz .LBB61_432
; %bb.431:                              ;   in Loop: Header=BB61_3 Depth=1
	ds_load_b64 v[38:39], v49 offset:18176
	ds_load_b64 v[40:41], v48
	s_wait_dscnt 0x0
	v_pk_mul_f32 v[42:43], v[40:41], v[38:39] op_sel:[1,1] op_sel_hi:[0,1]
	s_delay_alu instid0(VALU_DEP_1) | instskip(SKIP_1) | instid1(VALU_DEP_2)
	v_pk_fma_f32 v[78:79], v[40:41], v[38:39], v[42:43] op_sel_hi:[1,0,1]
	v_pk_fma_f32 v[38:39], v[40:41], v[38:39], v[42:43] neg_lo:[0,0,1] neg_hi:[0,0,1]
	v_mov_b32_e32 v39, v79
	s_delay_alu instid0(VALU_DEP_1)
	v_pk_add_f32 v[36:37], v[36:37], v[38:39] neg_lo:[0,1] neg_hi:[0,1]
.LBB61_432:                             ;   in Loop: Header=BB61_3 Depth=1
	s_or_b32 exec_lo, exec_lo, s8
	s_barrier_signal -1
	s_barrier_wait -1
	s_and_saveexec_b32 s8, s49
; %bb.433:                              ;   in Loop: Header=BB61_3 Depth=1
	v_pk_add_f32 v[38:39], v[36:37], 0 neg_lo:[1,1] neg_hi:[1,1]
	ds_store_b64 v48, v[38:39]
; %bb.434:                              ;   in Loop: Header=BB61_3 Depth=1
	s_or_b32 exec_lo, exec_lo, s8
	s_wait_dscnt 0x0
	s_barrier_signal -1
	s_barrier_wait -1
	s_and_saveexec_b32 s8, s50
	s_cbranch_execz .LBB61_436
; %bb.435:                              ;   in Loop: Header=BB61_3 Depth=1
	ds_load_b64 v[38:39], v49 offset:17664
	ds_load_b64 v[40:41], v48
	s_wait_dscnt 0x0
	v_pk_mul_f32 v[42:43], v[40:41], v[38:39] op_sel:[1,1] op_sel_hi:[0,1]
	s_delay_alu instid0(VALU_DEP_1) | instskip(SKIP_1) | instid1(VALU_DEP_2)
	v_pk_fma_f32 v[78:79], v[40:41], v[38:39], v[42:43] op_sel_hi:[1,0,1]
	v_pk_fma_f32 v[38:39], v[40:41], v[38:39], v[42:43] neg_lo:[0,0,1] neg_hi:[0,0,1]
	v_mov_b32_e32 v39, v79
	s_delay_alu instid0(VALU_DEP_1)
	v_pk_add_f32 v[36:37], v[36:37], v[38:39] neg_lo:[0,1] neg_hi:[0,1]
.LBB61_436:                             ;   in Loop: Header=BB61_3 Depth=1
	s_or_b32 exec_lo, exec_lo, s8
	s_barrier_signal -1
	s_barrier_wait -1
	s_and_saveexec_b32 s8, s51
; %bb.437:                              ;   in Loop: Header=BB61_3 Depth=1
	v_pk_add_f32 v[38:39], v[36:37], 0 neg_lo:[1,1] neg_hi:[1,1]
	ds_store_b64 v48, v[38:39]
; %bb.438:                              ;   in Loop: Header=BB61_3 Depth=1
	s_or_b32 exec_lo, exec_lo, s8
	s_wait_dscnt 0x0
	;; [unrolled: 26-line block ×3, first 2 shown]
	s_barrier_signal -1
	s_barrier_wait -1
	s_barrier_signal -1
	s_barrier_wait -1
	s_and_saveexec_b32 s8, s3
; %bb.443:                              ;   in Loop: Header=BB61_3 Depth=1
	ds_store_b64 v52, v[36:37] offset:20224
; %bb.444:                              ;   in Loop: Header=BB61_3 Depth=1
	s_or_b32 exec_lo, exec_lo, s8
	s_wait_dscnt 0x0
	s_barrier_signal -1
	s_barrier_wait -1
	s_barrier_signal -1
	s_barrier_wait -1
	s_and_saveexec_b32 s8, s10
; %bb.445:                              ;   in Loop: Header=BB61_3 Depth=1
	v_add_nc_u32_e64 v36, 0x4000, 0
	ds_store_2addr_b64 v36, v[34:35], v[34:35] offset0:162 offset1:227
; %bb.446:                              ;   in Loop: Header=BB61_3 Depth=1
	s_or_b32 exec_lo, exec_lo, s8
	v_dual_mov_b32 v36, 0 :: v_dual_mov_b32 v37, 0
	s_wait_dscnt 0x0
	s_barrier_signal -1
	s_barrier_wait -1
	global_wb scope:SCOPE_DEV
	s_wait_storecnt 0x0
	global_inv scope:SCOPE_DEV
	s_and_saveexec_b32 s8, s2
	s_cbranch_execz .LBB61_450
; %bb.447:                              ;   in Loop: Header=BB61_3 Depth=1
	ds_load_b64 v[36:37], v5 offset:17664
	ds_load_b64 v[38:39], v45 offset:18192
	s_wait_dscnt 0x0
	v_pk_mul_f32 v[40:41], v[38:39], v[36:37] op_sel:[1,1] op_sel_hi:[0,1]
	s_delay_alu instid0(VALU_DEP_1) | instskip(SKIP_1) | instid1(VALU_DEP_2)
	v_pk_fma_f32 v[42:43], v[38:39], v[36:37], v[40:41] op_sel_hi:[1,0,1]
	v_pk_fma_f32 v[36:37], v[38:39], v[36:37], v[40:41] neg_lo:[0,0,1] neg_hi:[0,0,1]
	v_mov_b32_e32 v37, v43
	s_delay_alu instid0(VALU_DEP_1)
	v_pk_add_f32 v[36:37], v[36:37], 0 op_sel_hi:[1,0]
	s_and_saveexec_b32 s64, s11
	s_cbranch_execz .LBB61_449
; %bb.448:                              ;   in Loop: Header=BB61_3 Depth=1
	ds_load_b64 v[38:39], v46 offset:18176
	ds_load_b64 v[40:41], v7 offset:18200
	s_wait_dscnt 0x0
	v_pk_mul_f32 v[42:43], v[40:41], v[38:39] op_sel:[1,1] op_sel_hi:[0,1]
	s_delay_alu instid0(VALU_DEP_1) | instskip(SKIP_1) | instid1(VALU_DEP_2)
	v_pk_fma_f32 v[78:79], v[40:41], v[38:39], v[42:43] op_sel_hi:[1,0,1]
	v_pk_fma_f32 v[38:39], v[40:41], v[38:39], v[42:43] neg_lo:[0,0,1] neg_hi:[0,0,1]
	v_mov_b32_e32 v39, v79
	s_delay_alu instid0(VALU_DEP_1)
	v_pk_add_f32 v[36:37], v[36:37], v[38:39]
.LBB61_449:                             ;   in Loop: Header=BB61_3 Depth=1
	s_or_b32 exec_lo, exec_lo, s64
.LBB61_450:                             ;   in Loop: Header=BB61_3 Depth=1
	s_delay_alu instid0(SALU_CYCLE_1)
	s_or_b32 exec_lo, exec_lo, s8
	s_and_saveexec_b32 s8, s45
; %bb.451:                              ;   in Loop: Header=BB61_3 Depth=1
	s_delay_alu instid0(VALU_DEP_1)
	v_pk_add_f32 v[38:39], v[36:37], 0 neg_lo:[1,1] neg_hi:[1,1]
	ds_store_b64 v44, v[38:39]
; %bb.452:                              ;   in Loop: Header=BB61_3 Depth=1
	s_or_b32 exec_lo, exec_lo, s8
	s_wait_loadcnt_dscnt 0x0
	s_barrier_signal -1
	s_barrier_wait -1
	s_and_saveexec_b32 s8, s46
	s_cbranch_execz .LBB61_454
; %bb.453:                              ;   in Loop: Header=BB61_3 Depth=1
	ds_load_b64 v[38:39], v7 offset:17152
	ds_load_b64 v[40:41], v44
	s_wait_dscnt 0x0
	v_pk_mul_f32 v[42:43], v[40:41], v[38:39] op_sel_hi:[1,0]
	s_delay_alu instid0(VALU_DEP_1) | instskip(SKIP_1) | instid1(VALU_DEP_2)
	v_pk_fma_f32 v[78:79], v[40:41], v[38:39], v[42:43] op_sel:[1,1,0] op_sel_hi:[0,1,1]
	v_pk_fma_f32 v[38:39], v[40:41], v[38:39], v[42:43] op_sel:[1,1,0] op_sel_hi:[0,1,1] neg_lo:[0,0,1] neg_hi:[0,0,1]
	v_pk_add_f32 v[40:41], v[36:37], v[78:79] neg_lo:[0,1] neg_hi:[0,1]
	s_delay_alu instid0(VALU_DEP_2) | instskip(NEXT) | instid1(VALU_DEP_2)
	v_pk_add_f32 v[36:37], v[36:37], v[38:39]
	v_mov_b32_e32 v37, v41
.LBB61_454:                             ;   in Loop: Header=BB61_3 Depth=1
	s_or_b32 exec_lo, exec_lo, s8
	s_barrier_signal -1
	s_barrier_wait -1
	s_and_saveexec_b32 s8, s46
; %bb.455:                              ;   in Loop: Header=BB61_3 Depth=1
	v_pk_add_f32 v[38:39], v[36:37], 0 neg_lo:[1,1] neg_hi:[1,1]
	ds_store_b64 v44, v[38:39]
; %bb.456:                              ;   in Loop: Header=BB61_3 Depth=1
	s_or_b32 exec_lo, exec_lo, s8
	s_wait_dscnt 0x0
	s_barrier_signal -1
	s_barrier_wait -1
	s_barrier_signal -1
	s_barrier_wait -1
	s_and_saveexec_b32 s8, s2
; %bb.457:                              ;   in Loop: Header=BB61_3 Depth=1
	ds_store_b64 v47, v[36:37] offset:18176
; %bb.458:                              ;   in Loop: Header=BB61_3 Depth=1
	s_or_b32 exec_lo, exec_lo, s8
	s_wait_dscnt 0x0
	s_barrier_signal -1
	s_barrier_wait -1
	s_barrier_signal -1
	s_barrier_wait -1
	s_and_saveexec_b32 s8, s10
; %bb.459:                              ;   in Loop: Header=BB61_3 Depth=1
	v_add_nc_u32_e64 v36, 0x4000, 0
	ds_store_2addr_b64 v36, v[34:35], v[34:35] offset0:32 offset1:97
; %bb.460:                              ;   in Loop: Header=BB61_3 Depth=1
	s_or_b32 exec_lo, exec_lo, s8
	v_mov_b64_e32 v[36:37], 0
	s_wait_dscnt 0x0
	s_barrier_signal -1
	s_barrier_wait -1
	global_wb scope:SCOPE_DEV
	s_wait_storecnt 0x0
	global_inv scope:SCOPE_DEV
	s_and_saveexec_b32 s98, s30
	s_cbranch_execz .LBB61_522
; %bb.461:                              ;   in Loop: Header=BB61_3 Depth=1
	ds_load_b64 v[36:37], v59 offset:16384
	ds_load_b64 v[38:39], v63 offset:32512
	v_readlane_b32 s42, v87, 16
	s_wait_dscnt 0x0
	v_dual_mul_f32 v40, v39, v37 :: v_dual_mul_f32 v37, v38, v37
	s_delay_alu instid0(VALU_DEP_1) | instskip(NEXT) | instid1(VALU_DEP_1)
	v_dual_fma_f32 v38, v38, v36, -v40 :: v_dual_fmac_f32 v37, v39, v36
	v_dual_add_f32 v36, 0, v38 :: v_dual_add_f32 v37, 0, v37
	s_and_saveexec_b32 s8, s42
	s_cbranch_execz .LBB61_463
; %bb.462:                              ;   in Loop: Header=BB61_3 Depth=1
	ds_load_b64 v[38:39], v59 offset:16896
	ds_load_b64 v[40:41], v63 offset:32520
	s_wait_dscnt 0x0
	v_dual_mul_f32 v42, v41, v39 :: v_dual_mul_f32 v39, v40, v39
	s_delay_alu instid0(VALU_DEP_1) | instskip(NEXT) | instid1(VALU_DEP_1)
	v_dual_fma_f32 v40, v40, v38, -v42 :: v_dual_fmac_f32 v39, v41, v38
	v_dual_add_f32 v36, v36, v40 :: v_dual_add_f32 v37, v37, v39
.LBB61_463:                             ;   in Loop: Header=BB61_3 Depth=1
	s_or_b32 exec_lo, exec_lo, s8
	v_readlane_b32 s42, v87, 17
	s_and_saveexec_b32 s8, s42
	s_cbranch_execz .LBB61_465
; %bb.464:                              ;   in Loop: Header=BB61_3 Depth=1
	ds_load_b64 v[38:39], v59 offset:17408
	ds_load_b64 v[40:41], v63 offset:32528
	s_wait_dscnt 0x0
	v_dual_mul_f32 v42, v41, v39 :: v_dual_mul_f32 v39, v40, v39
	s_delay_alu instid0(VALU_DEP_1) | instskip(NEXT) | instid1(VALU_DEP_1)
	v_dual_fma_f32 v40, v40, v38, -v42 :: v_dual_fmac_f32 v39, v41, v38
	v_dual_add_f32 v36, v36, v40 :: v_dual_add_f32 v37, v37, v39
.LBB61_465:                             ;   in Loop: Header=BB61_3 Depth=1
	s_or_b32 exec_lo, exec_lo, s8
	v_readlane_b32 s42, v87, 18
	;; [unrolled: 13-line block ×22, first 2 shown]
	s_and_saveexec_b32 s8, s42
	s_cbranch_execz .LBB61_507
; %bb.506:                              ;   in Loop: Header=BB61_3 Depth=1
	ds_load_b64 v[38:39], v59 offset:28160
	ds_load_b64 v[40:41], v63 offset:32696
	s_wait_dscnt 0x0
	v_dual_mul_f32 v42, v41, v39 :: v_dual_mul_f32 v39, v40, v39
	s_delay_alu instid0(VALU_DEP_1) | instskip(NEXT) | instid1(VALU_DEP_1)
	v_dual_fma_f32 v40, v40, v38, -v42 :: v_dual_fmac_f32 v39, v41, v38
	v_dual_add_f32 v36, v36, v40 :: v_dual_add_f32 v37, v37, v39
.LBB61_507:                             ;   in Loop: Header=BB61_3 Depth=1
	s_or_b32 exec_lo, exec_lo, s8
	s_and_saveexec_b32 s8, s5
	s_cbranch_execz .LBB61_509
; %bb.508:                              ;   in Loop: Header=BB61_3 Depth=1
	ds_load_b64 v[38:39], v59 offset:28672
	ds_load_b64 v[40:41], v63 offset:32704
	s_wait_dscnt 0x0
	v_dual_mul_f32 v42, v41, v39 :: v_dual_mul_f32 v39, v40, v39
	s_delay_alu instid0(VALU_DEP_1) | instskip(NEXT) | instid1(VALU_DEP_1)
	v_dual_fma_f32 v40, v40, v38, -v42 :: v_dual_fmac_f32 v39, v41, v38
	v_dual_add_f32 v36, v36, v40 :: v_dual_add_f32 v37, v37, v39
.LBB61_509:                             ;   in Loop: Header=BB61_3 Depth=1
	s_or_b32 exec_lo, exec_lo, s8
	v_readlane_b32 s42, v88, 29
	s_and_saveexec_b32 s8, s42
	s_cbranch_execz .LBB61_511
; %bb.510:                              ;   in Loop: Header=BB61_3 Depth=1
	ds_load_b64 v[38:39], v59 offset:29184
	ds_load_b64 v[40:41], v63 offset:32712
	s_wait_dscnt 0x0
	v_dual_mul_f32 v42, v41, v39 :: v_dual_mul_f32 v39, v40, v39
	s_delay_alu instid0(VALU_DEP_1) | instskip(NEXT) | instid1(VALU_DEP_1)
	v_dual_fma_f32 v40, v40, v38, -v42 :: v_dual_fmac_f32 v39, v41, v38
	v_dual_add_f32 v36, v36, v40 :: v_dual_add_f32 v37, v37, v39
.LBB61_511:                             ;   in Loop: Header=BB61_3 Depth=1
	s_or_b32 exec_lo, exec_lo, s8
	v_readlane_b32 s42, v88, 31
	s_and_saveexec_b32 s8, s42
	s_cbranch_execz .LBB61_513
; %bb.512:                              ;   in Loop: Header=BB61_3 Depth=1
	ds_load_b64 v[38:39], v59 offset:29696
	ds_load_b64 v[40:41], v63 offset:32720
	s_wait_dscnt 0x0
	v_dual_mul_f32 v42, v41, v39 :: v_dual_mul_f32 v39, v40, v39
	s_delay_alu instid0(VALU_DEP_1) | instskip(NEXT) | instid1(VALU_DEP_1)
	v_dual_fma_f32 v40, v40, v38, -v42 :: v_dual_fmac_f32 v39, v41, v38
	v_dual_add_f32 v36, v36, v40 :: v_dual_add_f32 v37, v37, v39
.LBB61_513:                             ;   in Loop: Header=BB61_3 Depth=1
	s_or_b32 exec_lo, exec_lo, s8
	v_readlane_b32 s42, v87, 1
	s_and_saveexec_b32 s8, s42
	s_cbranch_execz .LBB61_515
; %bb.514:                              ;   in Loop: Header=BB61_3 Depth=1
	ds_load_b64 v[38:39], v59 offset:30208
	ds_load_b64 v[40:41], v63 offset:32728
	s_wait_dscnt 0x0
	v_dual_mul_f32 v42, v41, v39 :: v_dual_mul_f32 v39, v40, v39
	s_delay_alu instid0(VALU_DEP_1) | instskip(NEXT) | instid1(VALU_DEP_1)
	v_dual_fma_f32 v40, v40, v38, -v42 :: v_dual_fmac_f32 v39, v41, v38
	v_dual_add_f32 v36, v36, v40 :: v_dual_add_f32 v37, v37, v39
.LBB61_515:                             ;   in Loop: Header=BB61_3 Depth=1
	s_or_b32 exec_lo, exec_lo, s8
	v_readlane_b32 s42, v87, 3
	s_and_saveexec_b32 s8, s42
	s_cbranch_execz .LBB61_517
; %bb.516:                              ;   in Loop: Header=BB61_3 Depth=1
	ds_load_b64 v[38:39], v59 offset:30720
	ds_load_b64 v[40:41], v63 offset:32736
	s_wait_dscnt 0x0
	v_dual_mul_f32 v42, v41, v39 :: v_dual_mul_f32 v43, v40, v39
	s_delay_alu instid0(VALU_DEP_1) | instskip(NEXT) | instid1(VALU_DEP_1)
	v_dual_fma_f32 v42, v40, v38, -v42 :: v_dual_fmac_f32 v43, v41, v38
	v_pk_add_f32 v[36:37], v[36:37], v[42:43]
.LBB61_517:                             ;   in Loop: Header=BB61_3 Depth=1
	s_or_b32 exec_lo, exec_lo, s8
	v_readlane_b32 s42, v87, 5
	s_and_saveexec_b32 s8, s42
	s_cbranch_execnz .LBB61_1024
; %bb.518:                              ;   in Loop: Header=BB61_3 Depth=1
	s_or_b32 exec_lo, exec_lo, s8
	s_and_saveexec_b32 s8, s4
	s_cbranch_execnz .LBB61_1025
.LBB61_519:                             ;   in Loop: Header=BB61_3 Depth=1
	s_or_b32 exec_lo, exec_lo, s8
	s_and_saveexec_b32 s8, s17
	s_delay_alu instid0(SALU_CYCLE_1)
	s_xor_b32 s8, exec_lo, s8
	s_cbranch_execz .LBB61_521
.LBB61_520:                             ;   in Loop: Header=BB61_3 Depth=1
	ds_load_b64 v[38:39], v59 offset:32256
	ds_load_b64 v[40:41], v63 offset:32760
	s_wait_dscnt 0x0
	v_pk_mul_f32 v[42:43], v[40:41], v[38:39] op_sel:[1,1] op_sel_hi:[0,1]
	s_delay_alu instid0(VALU_DEP_1) | instskip(SKIP_1) | instid1(VALU_DEP_2)
	v_pk_fma_f32 v[78:79], v[40:41], v[38:39], v[42:43] op_sel_hi:[1,0,1]
	v_pk_fma_f32 v[38:39], v[40:41], v[38:39], v[42:43] neg_lo:[0,0,1] neg_hi:[0,0,1]
	v_mov_b32_e32 v39, v79
	s_delay_alu instid0(VALU_DEP_1)
	v_pk_add_f32 v[36:37], v[36:37], v[38:39]
.LBB61_521:                             ;   in Loop: Header=BB61_3 Depth=1
	s_or_b32 exec_lo, exec_lo, s8
.LBB61_522:                             ;   in Loop: Header=BB61_3 Depth=1
	s_delay_alu instid0(SALU_CYCLE_1)
	s_or_b32 exec_lo, exec_lo, s98
	v_dual_mov_b32 v38, v74 :: v_dual_mov_b32 v39, v73
	s_mov_b32 s98, 31
	s_branch .LBB61_524
.LBB61_523:                             ;   in Loop: Header=BB61_524 Depth=2
	s_or_b32 exec_lo, exec_lo, s64
	v_add_nc_u32_e32 v39, 0xfffff800, v39
	v_add_nc_u32_e32 v38, 4, v38
	s_add_co_i32 s98, s98, -4
	s_cmp_eq_u32 s8, 0
	s_barrier_signal -1
	s_barrier_wait -1
	s_cbranch_scc1 .LBB61_540
.LBB61_524:                             ;   Parent Loop BB61_3 Depth=1
                                        ; =>  This Inner Loop Header: Depth=2
	s_delay_alu instid0(VALU_DEP_1) | instskip(SKIP_1) | instid1(SALU_CYCLE_1)
	v_cmp_eq_u32_e32 vcc_lo, 0, v38
	s_and_b32 s64, s7, vcc_lo
	s_and_saveexec_b32 s8, s64
; %bb.525:                              ;   in Loop: Header=BB61_524 Depth=2
	v_pk_add_f32 v[40:41], v[36:37], 0 neg_lo:[1,1] neg_hi:[1,1]
	ds_store_b64 v62, v[40:41]
; %bb.526:                              ;   in Loop: Header=BB61_524 Depth=2
	s_or_b32 exec_lo, exec_lo, s8
	v_cmp_gt_u32_e32 vcc_lo, s98, v56
	s_wait_loadcnt_dscnt 0x0
	s_barrier_signal -1
	s_barrier_wait -1
	s_and_b32 s64, s7, vcc_lo
	s_delay_alu instid0(SALU_CYCLE_1)
	s_and_saveexec_b32 s8, s64
	s_cbranch_execz .LBB61_528
; %bb.527:                              ;   in Loop: Header=BB61_524 Depth=2
	ds_load_b64 v[40:41], v39 offset:1536
	ds_load_b64 v[42:43], v62
	s_wait_dscnt 0x0
	v_pk_mul_f32 v[78:79], v[42:43], v[40:41] op_sel:[1,1] op_sel_hi:[0,1]
	s_delay_alu instid0(VALU_DEP_1) | instskip(SKIP_1) | instid1(VALU_DEP_2)
	v_pk_fma_f32 v[80:81], v[42:43], v[40:41], v[78:79] op_sel_hi:[1,0,1]
	v_pk_fma_f32 v[40:41], v[42:43], v[40:41], v[78:79] neg_lo:[0,0,1] neg_hi:[0,0,1]
	v_mov_b32_e32 v41, v81
	s_delay_alu instid0(VALU_DEP_1)
	v_pk_add_f32 v[36:37], v[36:37], v[40:41] neg_lo:[0,1] neg_hi:[0,1]
.LBB61_528:                             ;   in Loop: Header=BB61_524 Depth=2
	s_or_b32 exec_lo, exec_lo, s8
	s_add_co_i32 s8, s98, -1
	s_delay_alu instid0(SALU_CYCLE_1) | instskip(SKIP_3) | instid1(SALU_CYCLE_1)
	v_cmp_eq_u32_e32 vcc_lo, s8, v56
	s_barrier_signal -1
	s_barrier_wait -1
	s_and_b32 s99, s7, vcc_lo
	s_and_saveexec_b32 s64, s99
; %bb.529:                              ;   in Loop: Header=BB61_524 Depth=2
	v_pk_add_f32 v[40:41], v[36:37], 0 neg_lo:[1,1] neg_hi:[1,1]
	ds_store_b64 v62, v[40:41]
; %bb.530:                              ;   in Loop: Header=BB61_524 Depth=2
	s_or_b32 exec_lo, exec_lo, s64
	v_cmp_gt_u32_e32 vcc_lo, s8, v56
	s_wait_dscnt 0x0
	s_barrier_signal -1
	s_barrier_wait -1
	s_and_b32 s64, s7, vcc_lo
	s_delay_alu instid0(SALU_CYCLE_1)
	s_and_saveexec_b32 s8, s64
	s_cbranch_execz .LBB61_532
; %bb.531:                              ;   in Loop: Header=BB61_524 Depth=2
	ds_load_b64 v[40:41], v39 offset:1024
	ds_load_b64 v[42:43], v62
	s_wait_dscnt 0x0
	v_pk_mul_f32 v[78:79], v[42:43], v[40:41] op_sel:[1,1] op_sel_hi:[0,1]
	s_delay_alu instid0(VALU_DEP_1) | instskip(SKIP_1) | instid1(VALU_DEP_2)
	v_pk_fma_f32 v[80:81], v[42:43], v[40:41], v[78:79] op_sel_hi:[1,0,1]
	v_pk_fma_f32 v[40:41], v[42:43], v[40:41], v[78:79] neg_lo:[0,0,1] neg_hi:[0,0,1]
	v_mov_b32_e32 v41, v81
	s_delay_alu instid0(VALU_DEP_1)
	v_pk_add_f32 v[36:37], v[36:37], v[40:41] neg_lo:[0,1] neg_hi:[0,1]
.LBB61_532:                             ;   in Loop: Header=BB61_524 Depth=2
	s_or_b32 exec_lo, exec_lo, s8
	s_add_co_i32 s8, s98, -2
	s_delay_alu instid0(SALU_CYCLE_1) | instskip(SKIP_3) | instid1(SALU_CYCLE_1)
	v_cmp_eq_u32_e32 vcc_lo, s8, v56
	s_barrier_signal -1
	s_barrier_wait -1
	s_and_b32 s99, s7, vcc_lo
	s_and_saveexec_b32 s64, s99
; %bb.533:                              ;   in Loop: Header=BB61_524 Depth=2
	v_pk_add_f32 v[40:41], v[36:37], 0 neg_lo:[1,1] neg_hi:[1,1]
	ds_store_b64 v62, v[40:41]
; %bb.534:                              ;   in Loop: Header=BB61_524 Depth=2
	s_or_b32 exec_lo, exec_lo, s64
	v_cmp_gt_u32_e32 vcc_lo, s8, v56
	s_wait_dscnt 0x0
	;; [unrolled: 33-line block ×3, first 2 shown]
	s_barrier_signal -1
	s_barrier_wait -1
	s_and_b32 s99, s7, vcc_lo
	s_delay_alu instid0(SALU_CYCLE_1)
	s_and_saveexec_b32 s64, s99
	s_cbranch_execz .LBB61_523
; %bb.539:                              ;   in Loop: Header=BB61_524 Depth=2
	ds_load_b64 v[40:41], v39
	ds_load_b64 v[42:43], v62
	s_wait_dscnt 0x0
	v_pk_mul_f32 v[78:79], v[42:43], v[40:41] op_sel:[1,1] op_sel_hi:[0,1]
	s_delay_alu instid0(VALU_DEP_1) | instskip(SKIP_1) | instid1(VALU_DEP_2)
	v_pk_fma_f32 v[80:81], v[42:43], v[40:41], v[78:79] op_sel_hi:[1,0,1]
	v_pk_fma_f32 v[40:41], v[42:43], v[40:41], v[78:79] neg_lo:[0,0,1] neg_hi:[0,0,1]
	v_mov_b32_e32 v41, v81
	s_delay_alu instid0(VALU_DEP_1)
	v_pk_add_f32 v[36:37], v[36:37], v[40:41] neg_lo:[0,1] neg_hi:[0,1]
	s_branch .LBB61_523
.LBB61_540:                             ;   in Loop: Header=BB61_3 Depth=1
	s_and_saveexec_b32 s8, s30
; %bb.541:                              ;   in Loop: Header=BB61_3 Depth=1
	ds_store_b64 v64, v[36:37] offset:32256
; %bb.542:                              ;   in Loop: Header=BB61_3 Depth=1
	s_or_b32 exec_lo, exec_lo, s8
	s_wait_dscnt 0x0
	s_barrier_signal -1
	s_barrier_wait -1
	s_barrier_signal -1
	s_barrier_wait -1
	s_and_saveexec_b32 s8, s10
; %bb.543:                              ;   in Loop: Header=BB61_3 Depth=1
	v_add_nc_u32_e64 v36, 0x3800, 0
	ds_store_2addr_b64 v36, v[34:35], v[34:35] offset0:158 offset1:223
; %bb.544:                              ;   in Loop: Header=BB61_3 Depth=1
	s_or_b32 exec_lo, exec_lo, s8
	v_dual_mov_b32 v36, 0 :: v_dual_mov_b32 v37, 0
	s_wait_dscnt 0x0
	s_barrier_signal -1
	s_barrier_wait -1
	global_wb scope:SCOPE_DEV
	s_wait_storecnt 0x0
	global_inv scope:SCOPE_DEV
	s_and_saveexec_b32 s8, s2
	s_cbranch_execz .LBB61_548
; %bb.545:                              ;   in Loop: Header=BB61_3 Depth=1
	ds_load_b64 v[36:37], v5 offset:15584
	ds_load_b64 v[38:39], v45 offset:16112
	s_wait_dscnt 0x0
	v_pk_mul_f32 v[40:41], v[38:39], v[36:37] op_sel:[1,1] op_sel_hi:[0,1]
	s_delay_alu instid0(VALU_DEP_1) | instskip(SKIP_1) | instid1(VALU_DEP_2)
	v_pk_fma_f32 v[42:43], v[38:39], v[36:37], v[40:41] op_sel_hi:[1,0,1]
	v_pk_fma_f32 v[36:37], v[38:39], v[36:37], v[40:41] neg_lo:[0,0,1] neg_hi:[0,0,1]
	v_mov_b32_e32 v37, v43
	s_delay_alu instid0(VALU_DEP_1)
	v_pk_add_f32 v[36:37], v[36:37], 0 op_sel_hi:[1,0]
	s_and_saveexec_b32 s64, s11
	s_cbranch_execz .LBB61_547
; %bb.546:                              ;   in Loop: Header=BB61_3 Depth=1
	ds_load_b64 v[38:39], v46 offset:16096
	ds_load_b64 v[40:41], v7 offset:16120
	s_wait_dscnt 0x0
	v_pk_mul_f32 v[42:43], v[40:41], v[38:39] op_sel:[1,1] op_sel_hi:[0,1]
	s_delay_alu instid0(VALU_DEP_1) | instskip(SKIP_1) | instid1(VALU_DEP_2)
	v_pk_fma_f32 v[78:79], v[40:41], v[38:39], v[42:43] op_sel_hi:[1,0,1]
	v_pk_fma_f32 v[38:39], v[40:41], v[38:39], v[42:43] neg_lo:[0,0,1] neg_hi:[0,0,1]
	v_mov_b32_e32 v39, v79
	s_delay_alu instid0(VALU_DEP_1)
	v_pk_add_f32 v[36:37], v[36:37], v[38:39]
.LBB61_547:                             ;   in Loop: Header=BB61_3 Depth=1
	s_or_b32 exec_lo, exec_lo, s64
.LBB61_548:                             ;   in Loop: Header=BB61_3 Depth=1
	s_delay_alu instid0(SALU_CYCLE_1)
	s_or_b32 exec_lo, exec_lo, s8
	s_and_saveexec_b32 s8, s45
; %bb.549:                              ;   in Loop: Header=BB61_3 Depth=1
	s_delay_alu instid0(VALU_DEP_1)
	v_pk_add_f32 v[38:39], v[36:37], 0 neg_lo:[1,1] neg_hi:[1,1]
	ds_store_b64 v44, v[38:39]
; %bb.550:                              ;   in Loop: Header=BB61_3 Depth=1
	s_or_b32 exec_lo, exec_lo, s8
	s_wait_loadcnt_dscnt 0x0
	s_barrier_signal -1
	s_barrier_wait -1
	s_and_saveexec_b32 s8, s46
	s_cbranch_execz .LBB61_552
; %bb.551:                              ;   in Loop: Header=BB61_3 Depth=1
	ds_load_b64 v[38:39], v7 offset:15072
	ds_load_b64 v[40:41], v44
	s_wait_dscnt 0x0
	v_pk_mul_f32 v[42:43], v[40:41], v[38:39] op_sel_hi:[1,0]
	s_delay_alu instid0(VALU_DEP_1) | instskip(SKIP_1) | instid1(VALU_DEP_2)
	v_pk_fma_f32 v[78:79], v[40:41], v[38:39], v[42:43] op_sel:[1,1,0] op_sel_hi:[0,1,1]
	v_pk_fma_f32 v[38:39], v[40:41], v[38:39], v[42:43] op_sel:[1,1,0] op_sel_hi:[0,1,1] neg_lo:[0,0,1] neg_hi:[0,0,1]
	v_pk_add_f32 v[40:41], v[36:37], v[78:79] neg_lo:[0,1] neg_hi:[0,1]
	s_delay_alu instid0(VALU_DEP_2) | instskip(NEXT) | instid1(VALU_DEP_2)
	v_pk_add_f32 v[36:37], v[36:37], v[38:39]
	v_mov_b32_e32 v37, v41
.LBB61_552:                             ;   in Loop: Header=BB61_3 Depth=1
	s_or_b32 exec_lo, exec_lo, s8
	s_barrier_signal -1
	s_barrier_wait -1
	s_and_saveexec_b32 s8, s46
; %bb.553:                              ;   in Loop: Header=BB61_3 Depth=1
	v_pk_add_f32 v[38:39], v[36:37], 0 neg_lo:[1,1] neg_hi:[1,1]
	ds_store_b64 v44, v[38:39]
; %bb.554:                              ;   in Loop: Header=BB61_3 Depth=1
	s_or_b32 exec_lo, exec_lo, s8
	s_wait_dscnt 0x0
	s_barrier_signal -1
	s_barrier_wait -1
	s_barrier_signal -1
	s_barrier_wait -1
	s_and_saveexec_b32 s8, s2
; %bb.555:                              ;   in Loop: Header=BB61_3 Depth=1
	ds_store_b64 v47, v[36:37] offset:16096
; %bb.556:                              ;   in Loop: Header=BB61_3 Depth=1
	s_or_b32 exec_lo, exec_lo, s8
	s_wait_dscnt 0x0
	s_barrier_signal -1
	s_barrier_wait -1
	s_barrier_signal -1
	s_barrier_wait -1
	s_and_saveexec_b32 s8, s10
; %bb.557:                              ;   in Loop: Header=BB61_3 Depth=1
	v_add_nc_u32_e64 v36, 0x3800, 0
	ds_store_2addr_b64 v36, v[34:35], v[34:35] offset0:28 offset1:93
; %bb.558:                              ;   in Loop: Header=BB61_3 Depth=1
	s_or_b32 exec_lo, exec_lo, s8
	v_mov_b64_e32 v[36:37], 0
	s_wait_dscnt 0x0
	s_barrier_signal -1
	s_barrier_wait -1
	global_wb scope:SCOPE_DEV
	s_wait_storecnt 0x0
	global_inv scope:SCOPE_DEV
	s_and_saveexec_b32 s98, s3
	s_cbranch_execz .LBB61_564
; %bb.559:                              ;   in Loop: Header=BB61_3 Depth=1
	ds_load_b64 v[36:37], v49 offset:14528
	ds_load_b64 v[38:39], v50 offset:16096
	s_wait_dscnt 0x0
	v_dual_mul_f32 v40, v39, v37 :: v_dual_mul_f32 v37, v38, v37
	s_delay_alu instid0(VALU_DEP_1) | instskip(NEXT) | instid1(VALU_DEP_1)
	v_dual_fma_f32 v38, v38, v36, -v40 :: v_dual_fmac_f32 v37, v39, v36
	v_dual_add_f32 v36, 0, v38 :: v_dual_add_f32 v37, 0, v37
	s_and_saveexec_b32 s8, s12
	s_cbranch_execnz .LBB61_1026
; %bb.560:                              ;   in Loop: Header=BB61_3 Depth=1
	s_or_b32 exec_lo, exec_lo, s8
	s_and_saveexec_b32 s8, s13
	s_cbranch_execnz .LBB61_1027
.LBB61_561:                             ;   in Loop: Header=BB61_3 Depth=1
	s_or_b32 exec_lo, exec_lo, s8
	s_and_saveexec_b32 s8, s2
	s_cbranch_execz .LBB61_563
.LBB61_562:                             ;   in Loop: Header=BB61_3 Depth=1
	ds_load_b64 v[38:39], v46 offset:16064
	ds_load_b64 v[40:41], v7 offset:16120
	s_wait_dscnt 0x0
	v_pk_mul_f32 v[42:43], v[40:41], v[38:39] op_sel:[1,1] op_sel_hi:[0,1]
	s_delay_alu instid0(VALU_DEP_1) | instskip(SKIP_1) | instid1(VALU_DEP_2)
	v_pk_fma_f32 v[78:79], v[40:41], v[38:39], v[42:43] op_sel_hi:[1,0,1]
	v_pk_fma_f32 v[38:39], v[40:41], v[38:39], v[42:43] neg_lo:[0,0,1] neg_hi:[0,0,1]
	v_mov_b32_e32 v39, v79
	s_delay_alu instid0(VALU_DEP_1)
	v_pk_add_f32 v[36:37], v[36:37], v[38:39]
.LBB61_563:                             ;   in Loop: Header=BB61_3 Depth=1
	s_or_b32 exec_lo, exec_lo, s8
.LBB61_564:                             ;   in Loop: Header=BB61_3 Depth=1
	s_delay_alu instid0(SALU_CYCLE_1)
	s_or_b32 exec_lo, exec_lo, s98
	s_and_saveexec_b32 s8, s47
; %bb.565:                              ;   in Loop: Header=BB61_3 Depth=1
	s_delay_alu instid0(VALU_DEP_1)
	v_pk_add_f32 v[38:39], v[36:37], 0 neg_lo:[1,1] neg_hi:[1,1]
	ds_store_b64 v48, v[38:39]
; %bb.566:                              ;   in Loop: Header=BB61_3 Depth=1
	s_or_b32 exec_lo, exec_lo, s8
	s_wait_loadcnt_dscnt 0x0
	s_barrier_signal -1
	s_barrier_wait -1
	s_and_saveexec_b32 s8, s48
	s_cbranch_execz .LBB61_568
; %bb.567:                              ;   in Loop: Header=BB61_3 Depth=1
	ds_load_b64 v[38:39], v49 offset:14016
	ds_load_b64 v[40:41], v48
	s_wait_dscnt 0x0
	v_pk_mul_f32 v[42:43], v[40:41], v[38:39] op_sel:[1,1] op_sel_hi:[0,1]
	s_delay_alu instid0(VALU_DEP_1) | instskip(SKIP_1) | instid1(VALU_DEP_2)
	v_pk_fma_f32 v[78:79], v[40:41], v[38:39], v[42:43] op_sel_hi:[1,0,1]
	v_pk_fma_f32 v[38:39], v[40:41], v[38:39], v[42:43] neg_lo:[0,0,1] neg_hi:[0,0,1]
	v_mov_b32_e32 v39, v79
	s_delay_alu instid0(VALU_DEP_1)
	v_pk_add_f32 v[36:37], v[36:37], v[38:39] neg_lo:[0,1] neg_hi:[0,1]
.LBB61_568:                             ;   in Loop: Header=BB61_3 Depth=1
	s_or_b32 exec_lo, exec_lo, s8
	s_barrier_signal -1
	s_barrier_wait -1
	s_and_saveexec_b32 s8, s49
; %bb.569:                              ;   in Loop: Header=BB61_3 Depth=1
	v_pk_add_f32 v[38:39], v[36:37], 0 neg_lo:[1,1] neg_hi:[1,1]
	ds_store_b64 v48, v[38:39]
; %bb.570:                              ;   in Loop: Header=BB61_3 Depth=1
	s_or_b32 exec_lo, exec_lo, s8
	s_wait_dscnt 0x0
	s_barrier_signal -1
	s_barrier_wait -1
	s_and_saveexec_b32 s8, s50
	s_cbranch_execz .LBB61_572
; %bb.571:                              ;   in Loop: Header=BB61_3 Depth=1
	ds_load_b64 v[38:39], v49 offset:13504
	ds_load_b64 v[40:41], v48
	s_wait_dscnt 0x0
	v_pk_mul_f32 v[42:43], v[40:41], v[38:39] op_sel:[1,1] op_sel_hi:[0,1]
	s_delay_alu instid0(VALU_DEP_1) | instskip(SKIP_1) | instid1(VALU_DEP_2)
	v_pk_fma_f32 v[78:79], v[40:41], v[38:39], v[42:43] op_sel_hi:[1,0,1]
	v_pk_fma_f32 v[38:39], v[40:41], v[38:39], v[42:43] neg_lo:[0,0,1] neg_hi:[0,0,1]
	v_mov_b32_e32 v39, v79
	s_delay_alu instid0(VALU_DEP_1)
	v_pk_add_f32 v[36:37], v[36:37], v[38:39] neg_lo:[0,1] neg_hi:[0,1]
.LBB61_572:                             ;   in Loop: Header=BB61_3 Depth=1
	s_or_b32 exec_lo, exec_lo, s8
	s_barrier_signal -1
	s_barrier_wait -1
	s_and_saveexec_b32 s8, s51
; %bb.573:                              ;   in Loop: Header=BB61_3 Depth=1
	v_pk_add_f32 v[38:39], v[36:37], 0 neg_lo:[1,1] neg_hi:[1,1]
	ds_store_b64 v48, v[38:39]
; %bb.574:                              ;   in Loop: Header=BB61_3 Depth=1
	s_or_b32 exec_lo, exec_lo, s8
	s_wait_dscnt 0x0
	;; [unrolled: 26-line block ×3, first 2 shown]
	s_barrier_signal -1
	s_barrier_wait -1
	s_barrier_signal -1
	s_barrier_wait -1
	s_and_saveexec_b32 s8, s3
; %bb.579:                              ;   in Loop: Header=BB61_3 Depth=1
	ds_store_b64 v52, v[36:37] offset:16064
; %bb.580:                              ;   in Loop: Header=BB61_3 Depth=1
	s_or_b32 exec_lo, exec_lo, s8
	s_wait_dscnt 0x0
	s_barrier_signal -1
	s_barrier_wait -1
	s_barrier_signal -1
	s_barrier_wait -1
	s_and_saveexec_b32 s8, s10
; %bb.581:                              ;   in Loop: Header=BB61_3 Depth=1
	v_add_nc_u32_e64 v36, 0x3000, 0
	ds_store_2addr_b64 v36, v[34:35], v[34:35] offset0:154 offset1:219
; %bb.582:                              ;   in Loop: Header=BB61_3 Depth=1
	s_or_b32 exec_lo, exec_lo, s8
	v_dual_mov_b32 v36, 0 :: v_dual_mov_b32 v37, 0
	s_wait_dscnt 0x0
	s_barrier_signal -1
	s_barrier_wait -1
	global_wb scope:SCOPE_DEV
	s_wait_storecnt 0x0
	global_inv scope:SCOPE_DEV
	s_and_saveexec_b32 s8, s2
	s_cbranch_execz .LBB61_586
; %bb.583:                              ;   in Loop: Header=BB61_3 Depth=1
	ds_load_b64 v[36:37], v5 offset:13504
	ds_load_b64 v[38:39], v45 offset:14032
	s_wait_dscnt 0x0
	v_pk_mul_f32 v[40:41], v[38:39], v[36:37] op_sel:[1,1] op_sel_hi:[0,1]
	s_delay_alu instid0(VALU_DEP_1) | instskip(SKIP_1) | instid1(VALU_DEP_2)
	v_pk_fma_f32 v[42:43], v[38:39], v[36:37], v[40:41] op_sel_hi:[1,0,1]
	v_pk_fma_f32 v[36:37], v[38:39], v[36:37], v[40:41] neg_lo:[0,0,1] neg_hi:[0,0,1]
	v_mov_b32_e32 v37, v43
	s_delay_alu instid0(VALU_DEP_1)
	v_pk_add_f32 v[36:37], v[36:37], 0 op_sel_hi:[1,0]
	s_and_saveexec_b32 s64, s11
	s_cbranch_execz .LBB61_585
; %bb.584:                              ;   in Loop: Header=BB61_3 Depth=1
	ds_load_b64 v[38:39], v46 offset:14016
	ds_load_b64 v[40:41], v7 offset:14040
	s_wait_dscnt 0x0
	v_pk_mul_f32 v[42:43], v[40:41], v[38:39] op_sel:[1,1] op_sel_hi:[0,1]
	s_delay_alu instid0(VALU_DEP_1) | instskip(SKIP_1) | instid1(VALU_DEP_2)
	v_pk_fma_f32 v[78:79], v[40:41], v[38:39], v[42:43] op_sel_hi:[1,0,1]
	v_pk_fma_f32 v[38:39], v[40:41], v[38:39], v[42:43] neg_lo:[0,0,1] neg_hi:[0,0,1]
	v_mov_b32_e32 v39, v79
	s_delay_alu instid0(VALU_DEP_1)
	v_pk_add_f32 v[36:37], v[36:37], v[38:39]
.LBB61_585:                             ;   in Loop: Header=BB61_3 Depth=1
	s_or_b32 exec_lo, exec_lo, s64
.LBB61_586:                             ;   in Loop: Header=BB61_3 Depth=1
	s_delay_alu instid0(SALU_CYCLE_1)
	s_or_b32 exec_lo, exec_lo, s8
	s_and_saveexec_b32 s8, s45
; %bb.587:                              ;   in Loop: Header=BB61_3 Depth=1
	s_delay_alu instid0(VALU_DEP_1)
	v_pk_add_f32 v[38:39], v[36:37], 0 neg_lo:[1,1] neg_hi:[1,1]
	ds_store_b64 v44, v[38:39]
; %bb.588:                              ;   in Loop: Header=BB61_3 Depth=1
	s_or_b32 exec_lo, exec_lo, s8
	s_wait_loadcnt_dscnt 0x0
	s_barrier_signal -1
	s_barrier_wait -1
	s_and_saveexec_b32 s8, s46
	s_cbranch_execz .LBB61_590
; %bb.589:                              ;   in Loop: Header=BB61_3 Depth=1
	ds_load_b64 v[38:39], v7 offset:12992
	ds_load_b64 v[40:41], v44
	s_wait_dscnt 0x0
	v_pk_mul_f32 v[42:43], v[40:41], v[38:39] op_sel_hi:[1,0]
	s_delay_alu instid0(VALU_DEP_1) | instskip(SKIP_1) | instid1(VALU_DEP_2)
	v_pk_fma_f32 v[78:79], v[40:41], v[38:39], v[42:43] op_sel:[1,1,0] op_sel_hi:[0,1,1]
	v_pk_fma_f32 v[38:39], v[40:41], v[38:39], v[42:43] op_sel:[1,1,0] op_sel_hi:[0,1,1] neg_lo:[0,0,1] neg_hi:[0,0,1]
	v_pk_add_f32 v[40:41], v[36:37], v[78:79] neg_lo:[0,1] neg_hi:[0,1]
	s_delay_alu instid0(VALU_DEP_2) | instskip(NEXT) | instid1(VALU_DEP_2)
	v_pk_add_f32 v[36:37], v[36:37], v[38:39]
	v_mov_b32_e32 v37, v41
.LBB61_590:                             ;   in Loop: Header=BB61_3 Depth=1
	s_or_b32 exec_lo, exec_lo, s8
	s_barrier_signal -1
	s_barrier_wait -1
	s_and_saveexec_b32 s8, s46
; %bb.591:                              ;   in Loop: Header=BB61_3 Depth=1
	v_pk_add_f32 v[38:39], v[36:37], 0 neg_lo:[1,1] neg_hi:[1,1]
	ds_store_b64 v44, v[38:39]
; %bb.592:                              ;   in Loop: Header=BB61_3 Depth=1
	s_or_b32 exec_lo, exec_lo, s8
	s_wait_dscnt 0x0
	s_barrier_signal -1
	s_barrier_wait -1
	s_barrier_signal -1
	s_barrier_wait -1
	s_and_saveexec_b32 s8, s2
; %bb.593:                              ;   in Loop: Header=BB61_3 Depth=1
	ds_store_b64 v47, v[36:37] offset:14016
; %bb.594:                              ;   in Loop: Header=BB61_3 Depth=1
	s_or_b32 exec_lo, exec_lo, s8
	s_wait_dscnt 0x0
	s_barrier_signal -1
	s_barrier_wait -1
	s_barrier_signal -1
	s_barrier_wait -1
	s_and_saveexec_b32 s8, s10
; %bb.595:                              ;   in Loop: Header=BB61_3 Depth=1
	v_add_nc_u32_e64 v36, 0x3000, 0
	ds_store_2addr_b64 v36, v[34:35], v[34:35] offset0:24 offset1:89
; %bb.596:                              ;   in Loop: Header=BB61_3 Depth=1
	s_or_b32 exec_lo, exec_lo, s8
	v_mov_b64_e32 v[36:37], 0
	s_wait_dscnt 0x0
	s_barrier_signal -1
	s_barrier_wait -1
	global_wb scope:SCOPE_DEV
	s_wait_storecnt 0x0
	global_inv scope:SCOPE_DEV
	s_and_saveexec_b32 s98, s4
	s_cbranch_execz .LBB61_606
; %bb.597:                              ;   in Loop: Header=BB61_3 Depth=1
	ds_load_b64 v[36:37], v51 offset:12416
	ds_load_b64 v[38:39], v54 offset:16064
	s_wait_dscnt 0x0
	v_dual_mul_f32 v40, v39, v37 :: v_dual_mul_f32 v37, v38, v37
	s_delay_alu instid0(VALU_DEP_1) | instskip(NEXT) | instid1(VALU_DEP_1)
	v_dual_fma_f32 v38, v38, v36, -v40 :: v_dual_fmac_f32 v37, v39, v36
	v_dual_add_f32 v36, 0, v38 :: v_dual_add_f32 v37, 0, v37
	s_and_saveexec_b32 s8, s14
	s_cbranch_execnz .LBB61_1028
; %bb.598:                              ;   in Loop: Header=BB61_3 Depth=1
	s_or_b32 exec_lo, exec_lo, s8
	s_and_saveexec_b32 s8, s15
	s_cbranch_execnz .LBB61_1029
.LBB61_599:                             ;   in Loop: Header=BB61_3 Depth=1
	s_or_b32 exec_lo, exec_lo, s8
	s_and_saveexec_b32 s8, s16
	s_cbranch_execnz .LBB61_1030
.LBB61_600:                             ;   in Loop: Header=BB61_3 Depth=1
	s_or_b32 exec_lo, exec_lo, s8
	s_and_saveexec_b32 s8, s17
	s_cbranch_execnz .LBB61_1031
.LBB61_601:                             ;   in Loop: Header=BB61_3 Depth=1
	s_or_b32 exec_lo, exec_lo, s8
	s_and_saveexec_b32 s8, s18
	s_cbranch_execnz .LBB61_1032
.LBB61_602:                             ;   in Loop: Header=BB61_3 Depth=1
	s_or_b32 exec_lo, exec_lo, s8
	s_and_saveexec_b32 s8, s3
	s_cbranch_execnz .LBB61_1033
.LBB61_603:                             ;   in Loop: Header=BB61_3 Depth=1
	s_or_b32 exec_lo, exec_lo, s8
	s_and_saveexec_b32 s8, s13
	s_cbranch_execz .LBB61_605
.LBB61_604:                             ;   in Loop: Header=BB61_3 Depth=1
	ds_load_b64 v[38:39], v46 offset:16000
	ds_load_b64 v[40:41], v7 offset:16120
	s_wait_dscnt 0x0
	v_pk_mul_f32 v[42:43], v[40:41], v[38:39] op_sel:[1,1] op_sel_hi:[0,1]
	s_delay_alu instid0(VALU_DEP_1) | instskip(SKIP_1) | instid1(VALU_DEP_2)
	v_pk_fma_f32 v[78:79], v[40:41], v[38:39], v[42:43] op_sel_hi:[1,0,1]
	v_pk_fma_f32 v[38:39], v[40:41], v[38:39], v[42:43] neg_lo:[0,0,1] neg_hi:[0,0,1]
	v_mov_b32_e32 v39, v79
	s_delay_alu instid0(VALU_DEP_1)
	v_pk_add_f32 v[36:37], v[36:37], v[38:39]
.LBB61_605:                             ;   in Loop: Header=BB61_3 Depth=1
	s_or_b32 exec_lo, exec_lo, s8
.LBB61_606:                             ;   in Loop: Header=BB61_3 Depth=1
	s_delay_alu instid0(SALU_CYCLE_1)
	s_or_b32 exec_lo, exec_lo, s98
	s_and_saveexec_b32 s8, s53
; %bb.607:                              ;   in Loop: Header=BB61_3 Depth=1
	s_delay_alu instid0(VALU_DEP_1)
	v_pk_add_f32 v[38:39], v[36:37], 0 neg_lo:[1,1] neg_hi:[1,1]
	ds_store_b64 v53, v[38:39]
; %bb.608:                              ;   in Loop: Header=BB61_3 Depth=1
	s_or_b32 exec_lo, exec_lo, s8
	s_wait_loadcnt_dscnt 0x0
	s_barrier_signal -1
	s_barrier_wait -1
	s_and_saveexec_b32 s8, s54
	s_cbranch_execz .LBB61_610
; %bb.609:                              ;   in Loop: Header=BB61_3 Depth=1
	ds_load_b64 v[38:39], v51 offset:11904
	ds_load_b64 v[40:41], v53
	s_wait_dscnt 0x0
	v_pk_mul_f32 v[42:43], v[40:41], v[38:39] op_sel:[1,1] op_sel_hi:[0,1]
	s_delay_alu instid0(VALU_DEP_1) | instskip(SKIP_1) | instid1(VALU_DEP_2)
	v_pk_fma_f32 v[78:79], v[40:41], v[38:39], v[42:43] op_sel_hi:[1,0,1]
	v_pk_fma_f32 v[38:39], v[40:41], v[38:39], v[42:43] neg_lo:[0,0,1] neg_hi:[0,0,1]
	v_mov_b32_e32 v39, v79
	s_delay_alu instid0(VALU_DEP_1)
	v_pk_add_f32 v[36:37], v[36:37], v[38:39] neg_lo:[0,1] neg_hi:[0,1]
.LBB61_610:                             ;   in Loop: Header=BB61_3 Depth=1
	s_or_b32 exec_lo, exec_lo, s8
	s_barrier_signal -1
	s_barrier_wait -1
	s_and_saveexec_b32 s8, s55
; %bb.611:                              ;   in Loop: Header=BB61_3 Depth=1
	v_pk_add_f32 v[38:39], v[36:37], 0 neg_lo:[1,1] neg_hi:[1,1]
	ds_store_b64 v53, v[38:39]
; %bb.612:                              ;   in Loop: Header=BB61_3 Depth=1
	s_or_b32 exec_lo, exec_lo, s8
	s_wait_dscnt 0x0
	s_barrier_signal -1
	s_barrier_wait -1
	s_and_saveexec_b32 s8, s56
	s_cbranch_execz .LBB61_614
; %bb.613:                              ;   in Loop: Header=BB61_3 Depth=1
	ds_load_b64 v[38:39], v51 offset:11392
	ds_load_b64 v[40:41], v53
	s_wait_dscnt 0x0
	v_dual_mul_f32 v42, v41, v39 :: v_dual_mul_f32 v39, v40, v39
	s_delay_alu instid0(VALU_DEP_1) | instskip(NEXT) | instid1(VALU_DEP_1)
	v_dual_fma_f32 v40, v40, v38, -v42 :: v_dual_fmac_f32 v39, v41, v38
	v_dual_sub_f32 v36, v36, v40 :: v_dual_sub_f32 v37, v37, v39
.LBB61_614:                             ;   in Loop: Header=BB61_3 Depth=1
	s_or_b32 exec_lo, exec_lo, s8
	s_barrier_signal -1
	s_barrier_wait -1
	s_and_saveexec_b32 s8, s57
; %bb.615:                              ;   in Loop: Header=BB61_3 Depth=1
	v_pk_add_f32 v[38:39], v[36:37], 0 neg_lo:[1,1] neg_hi:[1,1]
	ds_store_b64 v53, v[38:39]
; %bb.616:                              ;   in Loop: Header=BB61_3 Depth=1
	s_or_b32 exec_lo, exec_lo, s8
	s_wait_dscnt 0x0
	s_barrier_signal -1
	s_barrier_wait -1
	s_and_saveexec_b32 s8, s58
	s_cbranch_execz .LBB61_618
; %bb.617:                              ;   in Loop: Header=BB61_3 Depth=1
	ds_load_b64 v[38:39], v51 offset:10880
	ds_load_b64 v[40:41], v53
	s_wait_dscnt 0x0
	v_dual_mul_f32 v42, v41, v39 :: v_dual_mul_f32 v43, v40, v39
	s_delay_alu instid0(VALU_DEP_1) | instskip(NEXT) | instid1(VALU_DEP_1)
	v_dual_fma_f32 v42, v40, v38, -v42 :: v_dual_fmac_f32 v43, v41, v38
	v_pk_add_f32 v[36:37], v[36:37], v[42:43] neg_lo:[0,1] neg_hi:[0,1]
.LBB61_618:                             ;   in Loop: Header=BB61_3 Depth=1
	s_or_b32 exec_lo, exec_lo, s8
	s_barrier_signal -1
	s_barrier_wait -1
	s_and_saveexec_b32 s8, s59
; %bb.619:                              ;   in Loop: Header=BB61_3 Depth=1
	v_pk_add_f32 v[38:39], v[36:37], 0 neg_lo:[1,1] neg_hi:[1,1]
	ds_store_b64 v53, v[38:39]
; %bb.620:                              ;   in Loop: Header=BB61_3 Depth=1
	s_or_b32 exec_lo, exec_lo, s8
	s_wait_dscnt 0x0
	s_barrier_signal -1
	s_barrier_wait -1
	s_and_saveexec_b32 s8, s60
	s_cbranch_execz .LBB61_622
; %bb.621:                              ;   in Loop: Header=BB61_3 Depth=1
	ds_load_b64 v[38:39], v51 offset:10368
	ds_load_b64 v[40:41], v53
	s_wait_dscnt 0x0
	v_pk_mul_f32 v[42:43], v[40:41], v[38:39] op_sel:[1,1] op_sel_hi:[0,1]
	s_delay_alu instid0(VALU_DEP_1) | instskip(SKIP_1) | instid1(VALU_DEP_2)
	v_pk_fma_f32 v[78:79], v[40:41], v[38:39], v[42:43] op_sel_hi:[1,0,1]
	v_pk_fma_f32 v[38:39], v[40:41], v[38:39], v[42:43] neg_lo:[0,0,1] neg_hi:[0,0,1]
	v_mov_b32_e32 v39, v79
	s_delay_alu instid0(VALU_DEP_1)
	v_pk_add_f32 v[36:37], v[36:37], v[38:39] neg_lo:[0,1] neg_hi:[0,1]
.LBB61_622:                             ;   in Loop: Header=BB61_3 Depth=1
	s_or_b32 exec_lo, exec_lo, s8
	s_barrier_signal -1
	s_barrier_wait -1
	s_and_saveexec_b32 s8, s61
; %bb.623:                              ;   in Loop: Header=BB61_3 Depth=1
	v_pk_add_f32 v[38:39], v[36:37], 0 neg_lo:[1,1] neg_hi:[1,1]
	ds_store_b64 v53, v[38:39]
; %bb.624:                              ;   in Loop: Header=BB61_3 Depth=1
	s_or_b32 exec_lo, exec_lo, s8
	s_wait_dscnt 0x0
	s_barrier_signal -1
	s_barrier_wait -1
	s_and_saveexec_b32 s8, s62
	s_cbranch_execz .LBB61_626
; %bb.625:                              ;   in Loop: Header=BB61_3 Depth=1
	ds_load_b64 v[38:39], v51 offset:9856
	ds_load_b64 v[40:41], v53
	s_wait_dscnt 0x0
	v_pk_mul_f32 v[42:43], v[40:41], v[38:39] op_sel:[1,1] op_sel_hi:[0,1]
	s_delay_alu instid0(VALU_DEP_1) | instskip(SKIP_1) | instid1(VALU_DEP_2)
	v_pk_fma_f32 v[78:79], v[40:41], v[38:39], v[42:43] op_sel_hi:[1,0,1]
	v_pk_fma_f32 v[38:39], v[40:41], v[38:39], v[42:43] neg_lo:[0,0,1] neg_hi:[0,0,1]
	v_mov_b32_e32 v39, v79
	s_delay_alu instid0(VALU_DEP_1)
	v_pk_add_f32 v[36:37], v[36:37], v[38:39] neg_lo:[0,1] neg_hi:[0,1]
.LBB61_626:                             ;   in Loop: Header=BB61_3 Depth=1
	;; [unrolled: 26-line block ×4, first 2 shown]
	s_or_b32 exec_lo, exec_lo, s8
	s_barrier_signal -1
	s_barrier_wait -1
	s_and_saveexec_b32 s8, s23
; %bb.635:                              ;   in Loop: Header=BB61_3 Depth=1
	v_pk_add_f32 v[38:39], v[36:37], 0 neg_lo:[1,1] neg_hi:[1,1]
	ds_store_b64 v53, v[38:39]
; %bb.636:                              ;   in Loop: Header=BB61_3 Depth=1
	s_or_b32 exec_lo, exec_lo, s8
	s_wait_dscnt 0x0
	s_barrier_signal -1
	s_barrier_wait -1
	s_barrier_signal -1
	s_barrier_wait -1
	s_and_saveexec_b32 s8, s4
; %bb.637:                              ;   in Loop: Header=BB61_3 Depth=1
	ds_store_b64 v55, v[36:37] offset:16000
; %bb.638:                              ;   in Loop: Header=BB61_3 Depth=1
	s_or_b32 exec_lo, exec_lo, s8
	s_wait_dscnt 0x0
	s_barrier_signal -1
	s_barrier_wait -1
	s_barrier_signal -1
	s_barrier_wait -1
	s_and_saveexec_b32 s8, s10
; %bb.639:                              ;   in Loop: Header=BB61_3 Depth=1
	v_add_nc_u32_e64 v36, 0x2800, 0
	ds_store_2addr_b64 v36, v[34:35], v[34:35] offset0:150 offset1:215
; %bb.640:                              ;   in Loop: Header=BB61_3 Depth=1
	s_or_b32 exec_lo, exec_lo, s8
	v_dual_mov_b32 v36, 0 :: v_dual_mov_b32 v37, 0
	s_wait_dscnt 0x0
	s_barrier_signal -1
	s_barrier_wait -1
	global_wb scope:SCOPE_DEV
	s_wait_storecnt 0x0
	global_inv scope:SCOPE_DEV
	s_and_saveexec_b32 s8, s2
	s_cbranch_execz .LBB61_644
; %bb.641:                              ;   in Loop: Header=BB61_3 Depth=1
	ds_load_b64 v[36:37], v5 offset:11424
	ds_load_b64 v[38:39], v45 offset:11952
	s_wait_dscnt 0x0
	v_pk_mul_f32 v[40:41], v[38:39], v[36:37] op_sel:[1,1] op_sel_hi:[0,1]
	s_delay_alu instid0(VALU_DEP_1) | instskip(SKIP_1) | instid1(VALU_DEP_2)
	v_pk_fma_f32 v[42:43], v[38:39], v[36:37], v[40:41] op_sel_hi:[1,0,1]
	v_pk_fma_f32 v[36:37], v[38:39], v[36:37], v[40:41] neg_lo:[0,0,1] neg_hi:[0,0,1]
	v_mov_b32_e32 v37, v43
	s_delay_alu instid0(VALU_DEP_1)
	v_pk_add_f32 v[36:37], v[36:37], 0 op_sel_hi:[1,0]
	s_and_saveexec_b32 s64, s11
	s_cbranch_execz .LBB61_643
; %bb.642:                              ;   in Loop: Header=BB61_3 Depth=1
	ds_load_b64 v[38:39], v46 offset:11936
	ds_load_b64 v[40:41], v7 offset:11960
	s_wait_dscnt 0x0
	v_pk_mul_f32 v[42:43], v[40:41], v[38:39] op_sel:[1,1] op_sel_hi:[0,1]
	s_delay_alu instid0(VALU_DEP_1) | instskip(SKIP_1) | instid1(VALU_DEP_2)
	v_pk_fma_f32 v[78:79], v[40:41], v[38:39], v[42:43] op_sel_hi:[1,0,1]
	v_pk_fma_f32 v[38:39], v[40:41], v[38:39], v[42:43] neg_lo:[0,0,1] neg_hi:[0,0,1]
	v_mov_b32_e32 v39, v79
	s_delay_alu instid0(VALU_DEP_1)
	v_pk_add_f32 v[36:37], v[36:37], v[38:39]
.LBB61_643:                             ;   in Loop: Header=BB61_3 Depth=1
	s_or_b32 exec_lo, exec_lo, s64
.LBB61_644:                             ;   in Loop: Header=BB61_3 Depth=1
	s_delay_alu instid0(SALU_CYCLE_1)
	s_or_b32 exec_lo, exec_lo, s8
	s_and_saveexec_b32 s8, s45
; %bb.645:                              ;   in Loop: Header=BB61_3 Depth=1
	s_delay_alu instid0(VALU_DEP_1)
	v_pk_add_f32 v[38:39], v[36:37], 0 neg_lo:[1,1] neg_hi:[1,1]
	ds_store_b64 v44, v[38:39]
; %bb.646:                              ;   in Loop: Header=BB61_3 Depth=1
	s_or_b32 exec_lo, exec_lo, s8
	s_wait_loadcnt_dscnt 0x0
	s_barrier_signal -1
	s_barrier_wait -1
	s_and_saveexec_b32 s8, s46
	s_cbranch_execz .LBB61_648
; %bb.647:                              ;   in Loop: Header=BB61_3 Depth=1
	ds_load_b64 v[38:39], v7 offset:10912
	ds_load_b64 v[40:41], v44
	s_wait_dscnt 0x0
	v_pk_mul_f32 v[42:43], v[40:41], v[38:39] op_sel_hi:[1,0]
	s_delay_alu instid0(VALU_DEP_1) | instskip(SKIP_1) | instid1(VALU_DEP_2)
	v_pk_fma_f32 v[78:79], v[40:41], v[38:39], v[42:43] op_sel:[1,1,0] op_sel_hi:[0,1,1]
	v_pk_fma_f32 v[38:39], v[40:41], v[38:39], v[42:43] op_sel:[1,1,0] op_sel_hi:[0,1,1] neg_lo:[0,0,1] neg_hi:[0,0,1]
	v_pk_add_f32 v[40:41], v[36:37], v[78:79] neg_lo:[0,1] neg_hi:[0,1]
	s_delay_alu instid0(VALU_DEP_2) | instskip(NEXT) | instid1(VALU_DEP_2)
	v_pk_add_f32 v[36:37], v[36:37], v[38:39]
	v_mov_b32_e32 v37, v41
.LBB61_648:                             ;   in Loop: Header=BB61_3 Depth=1
	s_or_b32 exec_lo, exec_lo, s8
	s_barrier_signal -1
	s_barrier_wait -1
	s_and_saveexec_b32 s8, s46
; %bb.649:                              ;   in Loop: Header=BB61_3 Depth=1
	v_pk_add_f32 v[38:39], v[36:37], 0 neg_lo:[1,1] neg_hi:[1,1]
	ds_store_b64 v44, v[38:39]
; %bb.650:                              ;   in Loop: Header=BB61_3 Depth=1
	s_or_b32 exec_lo, exec_lo, s8
	s_wait_dscnt 0x0
	s_barrier_signal -1
	s_barrier_wait -1
	s_barrier_signal -1
	s_barrier_wait -1
	s_and_saveexec_b32 s8, s2
; %bb.651:                              ;   in Loop: Header=BB61_3 Depth=1
	ds_store_b64 v47, v[36:37] offset:11936
; %bb.652:                              ;   in Loop: Header=BB61_3 Depth=1
	s_or_b32 exec_lo, exec_lo, s8
	s_wait_dscnt 0x0
	s_barrier_signal -1
	s_barrier_wait -1
	s_barrier_signal -1
	s_barrier_wait -1
	s_and_saveexec_b32 s8, s10
; %bb.653:                              ;   in Loop: Header=BB61_3 Depth=1
	v_add_nc_u32_e64 v36, 0x2800, 0
	ds_store_2addr_b64 v36, v[34:35], v[34:35] offset0:20 offset1:85
; %bb.654:                              ;   in Loop: Header=BB61_3 Depth=1
	s_or_b32 exec_lo, exec_lo, s8
	v_mov_b64_e32 v[36:37], 0
	s_wait_dscnt 0x0
	s_barrier_signal -1
	s_barrier_wait -1
	global_wb scope:SCOPE_DEV
	s_wait_storecnt 0x0
	global_inv scope:SCOPE_DEV
	s_and_saveexec_b32 s98, s3
	s_cbranch_execz .LBB61_660
; %bb.655:                              ;   in Loop: Header=BB61_3 Depth=1
	ds_load_b64 v[36:37], v49 offset:10368
	ds_load_b64 v[38:39], v50 offset:11936
	s_wait_dscnt 0x0
	v_dual_mul_f32 v40, v39, v37 :: v_dual_mul_f32 v37, v38, v37
	s_delay_alu instid0(VALU_DEP_1) | instskip(NEXT) | instid1(VALU_DEP_1)
	v_dual_fma_f32 v38, v38, v36, -v40 :: v_dual_fmac_f32 v37, v39, v36
	v_dual_add_f32 v36, 0, v38 :: v_dual_add_f32 v37, 0, v37
	s_and_saveexec_b32 s8, s12
	s_cbranch_execnz .LBB61_1034
; %bb.656:                              ;   in Loop: Header=BB61_3 Depth=1
	s_or_b32 exec_lo, exec_lo, s8
	s_and_saveexec_b32 s8, s13
	s_cbranch_execnz .LBB61_1035
.LBB61_657:                             ;   in Loop: Header=BB61_3 Depth=1
	s_or_b32 exec_lo, exec_lo, s8
	s_and_saveexec_b32 s8, s2
	s_cbranch_execz .LBB61_659
.LBB61_658:                             ;   in Loop: Header=BB61_3 Depth=1
	ds_load_b64 v[38:39], v46 offset:11904
	ds_load_b64 v[40:41], v7 offset:11960
	s_wait_dscnt 0x0
	v_pk_mul_f32 v[42:43], v[40:41], v[38:39] op_sel:[1,1] op_sel_hi:[0,1]
	s_delay_alu instid0(VALU_DEP_1) | instskip(SKIP_1) | instid1(VALU_DEP_2)
	v_pk_fma_f32 v[78:79], v[40:41], v[38:39], v[42:43] op_sel_hi:[1,0,1]
	v_pk_fma_f32 v[38:39], v[40:41], v[38:39], v[42:43] neg_lo:[0,0,1] neg_hi:[0,0,1]
	v_mov_b32_e32 v39, v79
	s_delay_alu instid0(VALU_DEP_1)
	v_pk_add_f32 v[36:37], v[36:37], v[38:39]
.LBB61_659:                             ;   in Loop: Header=BB61_3 Depth=1
	s_or_b32 exec_lo, exec_lo, s8
.LBB61_660:                             ;   in Loop: Header=BB61_3 Depth=1
	s_delay_alu instid0(SALU_CYCLE_1)
	s_or_b32 exec_lo, exec_lo, s98
	s_and_saveexec_b32 s8, s47
; %bb.661:                              ;   in Loop: Header=BB61_3 Depth=1
	s_delay_alu instid0(VALU_DEP_1)
	v_pk_add_f32 v[38:39], v[36:37], 0 neg_lo:[1,1] neg_hi:[1,1]
	ds_store_b64 v48, v[38:39]
; %bb.662:                              ;   in Loop: Header=BB61_3 Depth=1
	s_or_b32 exec_lo, exec_lo, s8
	s_wait_loadcnt_dscnt 0x0
	s_barrier_signal -1
	s_barrier_wait -1
	s_and_saveexec_b32 s8, s48
	s_cbranch_execz .LBB61_664
; %bb.663:                              ;   in Loop: Header=BB61_3 Depth=1
	ds_load_b64 v[38:39], v49 offset:9856
	ds_load_b64 v[40:41], v48
	s_wait_dscnt 0x0
	v_pk_mul_f32 v[42:43], v[40:41], v[38:39] op_sel:[1,1] op_sel_hi:[0,1]
	s_delay_alu instid0(VALU_DEP_1) | instskip(SKIP_1) | instid1(VALU_DEP_2)
	v_pk_fma_f32 v[78:79], v[40:41], v[38:39], v[42:43] op_sel_hi:[1,0,1]
	v_pk_fma_f32 v[38:39], v[40:41], v[38:39], v[42:43] neg_lo:[0,0,1] neg_hi:[0,0,1]
	v_mov_b32_e32 v39, v79
	s_delay_alu instid0(VALU_DEP_1)
	v_pk_add_f32 v[36:37], v[36:37], v[38:39] neg_lo:[0,1] neg_hi:[0,1]
.LBB61_664:                             ;   in Loop: Header=BB61_3 Depth=1
	s_or_b32 exec_lo, exec_lo, s8
	s_barrier_signal -1
	s_barrier_wait -1
	s_and_saveexec_b32 s8, s49
; %bb.665:                              ;   in Loop: Header=BB61_3 Depth=1
	v_pk_add_f32 v[38:39], v[36:37], 0 neg_lo:[1,1] neg_hi:[1,1]
	ds_store_b64 v48, v[38:39]
; %bb.666:                              ;   in Loop: Header=BB61_3 Depth=1
	s_or_b32 exec_lo, exec_lo, s8
	s_wait_dscnt 0x0
	s_barrier_signal -1
	s_barrier_wait -1
	s_and_saveexec_b32 s8, s50
	s_cbranch_execz .LBB61_668
; %bb.667:                              ;   in Loop: Header=BB61_3 Depth=1
	ds_load_b64 v[38:39], v49 offset:9344
	ds_load_b64 v[40:41], v48
	s_wait_dscnt 0x0
	v_pk_mul_f32 v[42:43], v[40:41], v[38:39] op_sel:[1,1] op_sel_hi:[0,1]
	s_delay_alu instid0(VALU_DEP_1) | instskip(SKIP_1) | instid1(VALU_DEP_2)
	v_pk_fma_f32 v[78:79], v[40:41], v[38:39], v[42:43] op_sel_hi:[1,0,1]
	v_pk_fma_f32 v[38:39], v[40:41], v[38:39], v[42:43] neg_lo:[0,0,1] neg_hi:[0,0,1]
	v_mov_b32_e32 v39, v79
	s_delay_alu instid0(VALU_DEP_1)
	v_pk_add_f32 v[36:37], v[36:37], v[38:39] neg_lo:[0,1] neg_hi:[0,1]
.LBB61_668:                             ;   in Loop: Header=BB61_3 Depth=1
	s_or_b32 exec_lo, exec_lo, s8
	s_barrier_signal -1
	s_barrier_wait -1
	s_and_saveexec_b32 s8, s51
; %bb.669:                              ;   in Loop: Header=BB61_3 Depth=1
	v_pk_add_f32 v[38:39], v[36:37], 0 neg_lo:[1,1] neg_hi:[1,1]
	ds_store_b64 v48, v[38:39]
; %bb.670:                              ;   in Loop: Header=BB61_3 Depth=1
	s_or_b32 exec_lo, exec_lo, s8
	s_wait_dscnt 0x0
	;; [unrolled: 26-line block ×3, first 2 shown]
	s_barrier_signal -1
	s_barrier_wait -1
	s_barrier_signal -1
	s_barrier_wait -1
	s_and_saveexec_b32 s8, s3
; %bb.675:                              ;   in Loop: Header=BB61_3 Depth=1
	ds_store_b64 v52, v[36:37] offset:11904
; %bb.676:                              ;   in Loop: Header=BB61_3 Depth=1
	s_or_b32 exec_lo, exec_lo, s8
	s_wait_dscnt 0x0
	s_barrier_signal -1
	s_barrier_wait -1
	s_barrier_signal -1
	s_barrier_wait -1
	s_and_saveexec_b32 s8, s10
; %bb.677:                              ;   in Loop: Header=BB61_3 Depth=1
	v_add_nc_u32_e64 v36, 0x2000, 0
	ds_store_2addr_b64 v36, v[34:35], v[34:35] offset0:146 offset1:211
; %bb.678:                              ;   in Loop: Header=BB61_3 Depth=1
	s_or_b32 exec_lo, exec_lo, s8
	v_dual_mov_b32 v36, 0 :: v_dual_mov_b32 v37, 0
	s_wait_dscnt 0x0
	s_barrier_signal -1
	s_barrier_wait -1
	global_wb scope:SCOPE_DEV
	s_wait_storecnt 0x0
	global_inv scope:SCOPE_DEV
	s_and_saveexec_b32 s8, s2
	s_cbranch_execz .LBB61_682
; %bb.679:                              ;   in Loop: Header=BB61_3 Depth=1
	ds_load_b64 v[36:37], v5 offset:9344
	ds_load_b64 v[38:39], v45 offset:9872
	s_wait_dscnt 0x0
	v_pk_mul_f32 v[40:41], v[38:39], v[36:37] op_sel:[1,1] op_sel_hi:[0,1]
	s_delay_alu instid0(VALU_DEP_1) | instskip(SKIP_1) | instid1(VALU_DEP_2)
	v_pk_fma_f32 v[42:43], v[38:39], v[36:37], v[40:41] op_sel_hi:[1,0,1]
	v_pk_fma_f32 v[36:37], v[38:39], v[36:37], v[40:41] neg_lo:[0,0,1] neg_hi:[0,0,1]
	v_mov_b32_e32 v37, v43
	s_delay_alu instid0(VALU_DEP_1)
	v_pk_add_f32 v[36:37], v[36:37], 0 op_sel_hi:[1,0]
	s_and_saveexec_b32 s64, s11
	s_cbranch_execz .LBB61_681
; %bb.680:                              ;   in Loop: Header=BB61_3 Depth=1
	ds_load_b64 v[38:39], v46 offset:9856
	ds_load_b64 v[40:41], v7 offset:9880
	s_wait_dscnt 0x0
	v_pk_mul_f32 v[42:43], v[40:41], v[38:39] op_sel:[1,1] op_sel_hi:[0,1]
	s_delay_alu instid0(VALU_DEP_1) | instskip(SKIP_1) | instid1(VALU_DEP_2)
	v_pk_fma_f32 v[78:79], v[40:41], v[38:39], v[42:43] op_sel_hi:[1,0,1]
	v_pk_fma_f32 v[38:39], v[40:41], v[38:39], v[42:43] neg_lo:[0,0,1] neg_hi:[0,0,1]
	v_mov_b32_e32 v39, v79
	s_delay_alu instid0(VALU_DEP_1)
	v_pk_add_f32 v[36:37], v[36:37], v[38:39]
.LBB61_681:                             ;   in Loop: Header=BB61_3 Depth=1
	s_or_b32 exec_lo, exec_lo, s64
.LBB61_682:                             ;   in Loop: Header=BB61_3 Depth=1
	s_delay_alu instid0(SALU_CYCLE_1)
	s_or_b32 exec_lo, exec_lo, s8
	s_and_saveexec_b32 s8, s45
; %bb.683:                              ;   in Loop: Header=BB61_3 Depth=1
	s_delay_alu instid0(VALU_DEP_1)
	v_pk_add_f32 v[38:39], v[36:37], 0 neg_lo:[1,1] neg_hi:[1,1]
	ds_store_b64 v44, v[38:39]
; %bb.684:                              ;   in Loop: Header=BB61_3 Depth=1
	s_or_b32 exec_lo, exec_lo, s8
	s_wait_loadcnt_dscnt 0x0
	s_barrier_signal -1
	s_barrier_wait -1
	s_and_saveexec_b32 s8, s46
	s_cbranch_execz .LBB61_686
; %bb.685:                              ;   in Loop: Header=BB61_3 Depth=1
	ds_load_b64 v[38:39], v7 offset:8832
	ds_load_b64 v[40:41], v44
	s_wait_dscnt 0x0
	v_pk_mul_f32 v[42:43], v[40:41], v[38:39] op_sel_hi:[1,0]
	s_delay_alu instid0(VALU_DEP_1) | instskip(SKIP_1) | instid1(VALU_DEP_2)
	v_pk_fma_f32 v[78:79], v[40:41], v[38:39], v[42:43] op_sel:[1,1,0] op_sel_hi:[0,1,1]
	v_pk_fma_f32 v[38:39], v[40:41], v[38:39], v[42:43] op_sel:[1,1,0] op_sel_hi:[0,1,1] neg_lo:[0,0,1] neg_hi:[0,0,1]
	v_pk_add_f32 v[40:41], v[36:37], v[78:79] neg_lo:[0,1] neg_hi:[0,1]
	s_delay_alu instid0(VALU_DEP_2) | instskip(NEXT) | instid1(VALU_DEP_2)
	v_pk_add_f32 v[36:37], v[36:37], v[38:39]
	v_mov_b32_e32 v37, v41
.LBB61_686:                             ;   in Loop: Header=BB61_3 Depth=1
	s_or_b32 exec_lo, exec_lo, s8
	s_barrier_signal -1
	s_barrier_wait -1
	s_and_saveexec_b32 s8, s46
; %bb.687:                              ;   in Loop: Header=BB61_3 Depth=1
	v_pk_add_f32 v[38:39], v[36:37], 0 neg_lo:[1,1] neg_hi:[1,1]
	ds_store_b64 v44, v[38:39]
; %bb.688:                              ;   in Loop: Header=BB61_3 Depth=1
	s_or_b32 exec_lo, exec_lo, s8
	s_wait_dscnt 0x0
	s_barrier_signal -1
	s_barrier_wait -1
	s_barrier_signal -1
	s_barrier_wait -1
	s_and_saveexec_b32 s8, s2
; %bb.689:                              ;   in Loop: Header=BB61_3 Depth=1
	ds_store_b64 v47, v[36:37] offset:9856
; %bb.690:                              ;   in Loop: Header=BB61_3 Depth=1
	s_or_b32 exec_lo, exec_lo, s8
	s_wait_dscnt 0x0
	s_barrier_signal -1
	s_barrier_wait -1
	s_barrier_signal -1
	s_barrier_wait -1
	s_and_saveexec_b32 s8, s10
; %bb.691:                              ;   in Loop: Header=BB61_3 Depth=1
	v_add_nc_u32_e64 v36, 0x2000, 0
	ds_store_2addr_b64 v36, v[34:35], v[34:35] offset0:16 offset1:81
; %bb.692:                              ;   in Loop: Header=BB61_3 Depth=1
	s_or_b32 exec_lo, exec_lo, s8
	v_mov_b64_e32 v[36:37], 0
	s_wait_dscnt 0x0
	s_barrier_signal -1
	s_barrier_wait -1
	global_wb scope:SCOPE_DEV
	s_wait_storecnt 0x0
	global_inv scope:SCOPE_DEV
	s_and_saveexec_b32 s98, s5
	s_cbranch_execz .LBB61_720
; %bb.693:                              ;   in Loop: Header=BB61_3 Depth=1
	ds_load_b64 v[36:37], v57 offset:8192
	ds_load_b64 v[38:39], v60 offset:16000
	v_readlane_b32 s42, v88, 28
	s_wait_dscnt 0x0
	v_dual_mul_f32 v40, v39, v37 :: v_dual_mul_f32 v37, v38, v37
	s_delay_alu instid0(VALU_DEP_1) | instskip(NEXT) | instid1(VALU_DEP_1)
	v_dual_fma_f32 v38, v38, v36, -v40 :: v_dual_fmac_f32 v37, v39, v36
	v_dual_add_f32 v36, 0, v38 :: v_dual_add_f32 v37, 0, v37
	s_and_saveexec_b32 s8, s42
	s_cbranch_execz .LBB61_695
; %bb.694:                              ;   in Loop: Header=BB61_3 Depth=1
	ds_load_b64 v[38:39], v57 offset:8704
	ds_load_b64 v[40:41], v60 offset:16008
	s_wait_dscnt 0x0
	v_dual_mul_f32 v42, v41, v39 :: v_dual_mul_f32 v39, v40, v39
	s_delay_alu instid0(VALU_DEP_1) | instskip(NEXT) | instid1(VALU_DEP_1)
	v_dual_fma_f32 v40, v40, v38, -v42 :: v_dual_fmac_f32 v39, v41, v38
	v_dual_add_f32 v36, v36, v40 :: v_dual_add_f32 v37, v37, v39
.LBB61_695:                             ;   in Loop: Header=BB61_3 Depth=1
	s_or_b32 exec_lo, exec_lo, s8
	v_readlane_b32 s42, v88, 29
	s_and_saveexec_b32 s8, s42
	s_cbranch_execz .LBB61_697
; %bb.696:                              ;   in Loop: Header=BB61_3 Depth=1
	ds_load_b64 v[38:39], v57 offset:9216
	ds_load_b64 v[40:41], v60 offset:16016
	s_wait_dscnt 0x0
	v_dual_mul_f32 v42, v41, v39 :: v_dual_mul_f32 v39, v40, v39
	s_delay_alu instid0(VALU_DEP_1) | instskip(NEXT) | instid1(VALU_DEP_1)
	v_dual_fma_f32 v40, v40, v38, -v42 :: v_dual_fmac_f32 v39, v41, v38
	v_dual_add_f32 v36, v36, v40 :: v_dual_add_f32 v37, v37, v39
.LBB61_697:                             ;   in Loop: Header=BB61_3 Depth=1
	s_or_b32 exec_lo, exec_lo, s8
	v_readlane_b32 s42, v88, 30
	;; [unrolled: 13-line block ×10, first 2 shown]
	s_and_saveexec_b32 s8, s42
	s_cbranch_execnz .LBB61_1036
; %bb.714:                              ;   in Loop: Header=BB61_3 Depth=1
	s_or_b32 exec_lo, exec_lo, s8
	s_and_saveexec_b32 s8, s4
	s_cbranch_execnz .LBB61_1037
.LBB61_715:                             ;   in Loop: Header=BB61_3 Depth=1
	s_or_b32 exec_lo, exec_lo, s8
	s_and_saveexec_b32 s8, s15
	s_cbranch_execnz .LBB61_1038
.LBB61_716:                             ;   in Loop: Header=BB61_3 Depth=1
	s_or_b32 exec_lo, exec_lo, s8
	s_and_saveexec_b32 s8, s17
	s_cbranch_execnz .LBB61_1039
.LBB61_717:                             ;   in Loop: Header=BB61_3 Depth=1
	s_or_b32 exec_lo, exec_lo, s8
	s_and_saveexec_b32 s8, s3
	s_cbranch_execz .LBB61_719
.LBB61_718:                             ;   in Loop: Header=BB61_3 Depth=1
	ds_load_b64 v[38:39], v46 offset:15872
	ds_load_b64 v[40:41], v7 offset:16120
	s_wait_dscnt 0x0
	v_pk_mul_f32 v[42:43], v[40:41], v[38:39] op_sel:[1,1] op_sel_hi:[0,1]
	s_delay_alu instid0(VALU_DEP_1) | instskip(SKIP_1) | instid1(VALU_DEP_2)
	v_pk_fma_f32 v[78:79], v[40:41], v[38:39], v[42:43] op_sel_hi:[1,0,1]
	v_pk_fma_f32 v[38:39], v[40:41], v[38:39], v[42:43] neg_lo:[0,0,1] neg_hi:[0,0,1]
	v_mov_b32_e32 v39, v79
	s_delay_alu instid0(VALU_DEP_1)
	v_pk_add_f32 v[36:37], v[36:37], v[38:39]
.LBB61_719:                             ;   in Loop: Header=BB61_3 Depth=1
	s_or_b32 exec_lo, exec_lo, s8
.LBB61_720:                             ;   in Loop: Header=BB61_3 Depth=1
	s_delay_alu instid0(SALU_CYCLE_1)
	s_or_b32 exec_lo, exec_lo, s98
	v_readlane_b32 s42, v88, 1
	s_and_saveexec_b32 s8, s42
; %bb.721:                              ;   in Loop: Header=BB61_3 Depth=1
	v_pk_add_f32 v[38:39], v[36:37], 0 neg_lo:[1,1] neg_hi:[1,1]
	ds_store_b64 v58, v[38:39]
; %bb.722:                              ;   in Loop: Header=BB61_3 Depth=1
	s_or_b32 exec_lo, exec_lo, s8
	v_readlane_b32 s42, v88, 2
	s_wait_loadcnt_dscnt 0x0
	s_barrier_signal -1
	s_barrier_wait -1
	s_and_saveexec_b32 s8, s42
	s_cbranch_execz .LBB61_724
; %bb.723:                              ;   in Loop: Header=BB61_3 Depth=1
	ds_load_b64 v[38:39], v57 offset:7680
	ds_load_b64 v[40:41], v58
	s_wait_dscnt 0x0
	v_pk_mul_f32 v[42:43], v[40:41], v[38:39] op_sel:[1,1] op_sel_hi:[0,1]
	s_delay_alu instid0(VALU_DEP_1) | instskip(SKIP_1) | instid1(VALU_DEP_2)
	v_pk_fma_f32 v[78:79], v[40:41], v[38:39], v[42:43] op_sel_hi:[1,0,1]
	v_pk_fma_f32 v[38:39], v[40:41], v[38:39], v[42:43] neg_lo:[0,0,1] neg_hi:[0,0,1]
	v_mov_b32_e32 v39, v79
	s_delay_alu instid0(VALU_DEP_1)
	v_pk_add_f32 v[36:37], v[36:37], v[38:39] neg_lo:[0,1] neg_hi:[0,1]
.LBB61_724:                             ;   in Loop: Header=BB61_3 Depth=1
	s_or_b32 exec_lo, exec_lo, s8
	v_readlane_b32 s42, v88, 3
	s_barrier_signal -1
	s_barrier_wait -1
	s_and_saveexec_b32 s8, s42
; %bb.725:                              ;   in Loop: Header=BB61_3 Depth=1
	v_pk_add_f32 v[38:39], v[36:37], 0 neg_lo:[1,1] neg_hi:[1,1]
	ds_store_b64 v58, v[38:39]
; %bb.726:                              ;   in Loop: Header=BB61_3 Depth=1
	s_or_b32 exec_lo, exec_lo, s8
	v_readlane_b32 s42, v88, 4
	s_wait_dscnt 0x0
	s_barrier_signal -1
	s_barrier_wait -1
	s_and_saveexec_b32 s8, s42
	s_cbranch_execz .LBB61_728
; %bb.727:                              ;   in Loop: Header=BB61_3 Depth=1
	ds_load_b64 v[38:39], v57 offset:7168
	ds_load_b64 v[40:41], v58
	s_wait_dscnt 0x0
	v_pk_mul_f32 v[42:43], v[40:41], v[38:39] op_sel:[1,1] op_sel_hi:[0,1]
	s_delay_alu instid0(VALU_DEP_1) | instskip(SKIP_1) | instid1(VALU_DEP_2)
	v_pk_fma_f32 v[78:79], v[40:41], v[38:39], v[42:43] op_sel_hi:[1,0,1]
	v_pk_fma_f32 v[38:39], v[40:41], v[38:39], v[42:43] neg_lo:[0,0,1] neg_hi:[0,0,1]
	v_mov_b32_e32 v39, v79
	s_delay_alu instid0(VALU_DEP_1)
	v_pk_add_f32 v[36:37], v[36:37], v[38:39] neg_lo:[0,1] neg_hi:[0,1]
.LBB61_728:                             ;   in Loop: Header=BB61_3 Depth=1
	s_or_b32 exec_lo, exec_lo, s8
	v_readlane_b32 s42, v88, 5
	s_barrier_signal -1
	s_barrier_wait -1
	s_and_saveexec_b32 s8, s42
; %bb.729:                              ;   in Loop: Header=BB61_3 Depth=1
	v_pk_add_f32 v[38:39], v[36:37], 0 neg_lo:[1,1] neg_hi:[1,1]
	ds_store_b64 v58, v[38:39]
; %bb.730:                              ;   in Loop: Header=BB61_3 Depth=1
	s_or_b32 exec_lo, exec_lo, s8
	v_readlane_b32 s42, v88, 6
	s_wait_dscnt 0x0
	;; [unrolled: 28-line block ×3, first 2 shown]
	s_barrier_signal -1
	s_barrier_wait -1
	s_and_saveexec_b32 s8, s42
	s_cbranch_execz .LBB61_736
; %bb.735:                              ;   in Loop: Header=BB61_3 Depth=1
	ds_load_b64 v[38:39], v57 offset:6144
	ds_load_b64 v[40:41], v58
	s_wait_dscnt 0x0
	v_dual_mul_f32 v42, v41, v39 :: v_dual_mul_f32 v39, v40, v39
	s_delay_alu instid0(VALU_DEP_1) | instskip(NEXT) | instid1(VALU_DEP_1)
	v_dual_fma_f32 v40, v40, v38, -v42 :: v_dual_fmac_f32 v39, v41, v38
	v_dual_sub_f32 v36, v36, v40 :: v_dual_sub_f32 v37, v37, v39
.LBB61_736:                             ;   in Loop: Header=BB61_3 Depth=1
	s_or_b32 exec_lo, exec_lo, s8
	v_readlane_b32 s42, v88, 9
	s_barrier_signal -1
	s_barrier_wait -1
	s_and_saveexec_b32 s8, s42
; %bb.737:                              ;   in Loop: Header=BB61_3 Depth=1
	v_pk_add_f32 v[38:39], v[36:37], 0 neg_lo:[1,1] neg_hi:[1,1]
	ds_store_b64 v58, v[38:39]
; %bb.738:                              ;   in Loop: Header=BB61_3 Depth=1
	s_or_b32 exec_lo, exec_lo, s8
	v_readlane_b32 s42, v88, 10
	s_wait_dscnt 0x0
	s_barrier_signal -1
	s_barrier_wait -1
	s_and_saveexec_b32 s8, s42
	s_cbranch_execz .LBB61_740
; %bb.739:                              ;   in Loop: Header=BB61_3 Depth=1
	ds_load_b64 v[38:39], v57 offset:5632
	ds_load_b64 v[40:41], v58
	s_wait_dscnt 0x0
	v_dual_mul_f32 v42, v41, v39 :: v_dual_mul_f32 v43, v40, v39
	s_delay_alu instid0(VALU_DEP_1) | instskip(NEXT) | instid1(VALU_DEP_1)
	v_dual_fma_f32 v42, v40, v38, -v42 :: v_dual_fmac_f32 v43, v41, v38
	v_pk_add_f32 v[36:37], v[36:37], v[42:43] neg_lo:[0,1] neg_hi:[0,1]
.LBB61_740:                             ;   in Loop: Header=BB61_3 Depth=1
	s_or_b32 exec_lo, exec_lo, s8
	v_readlane_b32 s42, v88, 11
	s_barrier_signal -1
	s_barrier_wait -1
	s_and_saveexec_b32 s8, s42
; %bb.741:                              ;   in Loop: Header=BB61_3 Depth=1
	v_pk_add_f32 v[38:39], v[36:37], 0 neg_lo:[1,1] neg_hi:[1,1]
	ds_store_b64 v58, v[38:39]
; %bb.742:                              ;   in Loop: Header=BB61_3 Depth=1
	s_or_b32 exec_lo, exec_lo, s8
	s_wait_dscnt 0x0
	s_barrier_signal -1
	s_barrier_wait -1
	s_and_saveexec_b32 s8, s9
	s_cbranch_execz .LBB61_744
; %bb.743:                              ;   in Loop: Header=BB61_3 Depth=1
	ds_load_b64 v[38:39], v57 offset:5120
	ds_load_b64 v[40:41], v58
	s_wait_dscnt 0x0
	v_pk_mul_f32 v[42:43], v[40:41], v[38:39] op_sel:[1,1] op_sel_hi:[0,1]
	s_delay_alu instid0(VALU_DEP_1) | instskip(SKIP_1) | instid1(VALU_DEP_2)
	v_pk_fma_f32 v[78:79], v[40:41], v[38:39], v[42:43] op_sel_hi:[1,0,1]
	v_pk_fma_f32 v[38:39], v[40:41], v[38:39], v[42:43] neg_lo:[0,0,1] neg_hi:[0,0,1]
	v_mov_b32_e32 v39, v79
	s_delay_alu instid0(VALU_DEP_1)
	v_pk_add_f32 v[36:37], v[36:37], v[38:39] neg_lo:[0,1] neg_hi:[0,1]
.LBB61_744:                             ;   in Loop: Header=BB61_3 Depth=1
	s_or_b32 exec_lo, exec_lo, s8
	s_barrier_signal -1
	s_barrier_wait -1
	s_and_saveexec_b32 s8, s74
; %bb.745:                              ;   in Loop: Header=BB61_3 Depth=1
	v_pk_add_f32 v[38:39], v[36:37], 0 neg_lo:[1,1] neg_hi:[1,1]
	ds_store_b64 v58, v[38:39]
; %bb.746:                              ;   in Loop: Header=BB61_3 Depth=1
	s_or_b32 exec_lo, exec_lo, s8
	s_wait_dscnt 0x0
	s_barrier_signal -1
	s_barrier_wait -1
	s_and_saveexec_b32 s8, s75
	s_cbranch_execz .LBB61_748
; %bb.747:                              ;   in Loop: Header=BB61_3 Depth=1
	ds_load_b64 v[38:39], v57 offset:4608
	ds_load_b64 v[40:41], v58
	s_wait_dscnt 0x0
	v_pk_mul_f32 v[42:43], v[40:41], v[38:39] op_sel:[1,1] op_sel_hi:[0,1]
	s_delay_alu instid0(VALU_DEP_1) | instskip(SKIP_1) | instid1(VALU_DEP_2)
	v_pk_fma_f32 v[78:79], v[40:41], v[38:39], v[42:43] op_sel_hi:[1,0,1]
	v_pk_fma_f32 v[38:39], v[40:41], v[38:39], v[42:43] neg_lo:[0,0,1] neg_hi:[0,0,1]
	v_mov_b32_e32 v39, v79
	s_delay_alu instid0(VALU_DEP_1)
	v_pk_add_f32 v[36:37], v[36:37], v[38:39] neg_lo:[0,1] neg_hi:[0,1]
.LBB61_748:                             ;   in Loop: Header=BB61_3 Depth=1
	s_or_b32 exec_lo, exec_lo, s8
	;; [unrolled: 26-line block ×4, first 2 shown]
	s_barrier_signal -1
	s_barrier_wait -1
	s_and_saveexec_b32 s8, s22
; %bb.757:                              ;   in Loop: Header=BB61_3 Depth=1
	v_pk_add_f32 v[38:39], v[36:37], 0 neg_lo:[1,1] neg_hi:[1,1]
	ds_store_b64 v58, v[38:39]
; %bb.758:                              ;   in Loop: Header=BB61_3 Depth=1
	s_or_b32 exec_lo, exec_lo, s8
	s_wait_dscnt 0x0
	s_barrier_signal -1
	s_barrier_wait -1
	s_and_saveexec_b32 s8, s24
	s_cbranch_execz .LBB61_760
; %bb.759:                              ;   in Loop: Header=BB61_3 Depth=1
	ds_load_b64 v[38:39], v57 offset:3072
	ds_load_b64 v[40:41], v58
	s_wait_dscnt 0x0
	v_dual_mul_f32 v42, v41, v39 :: v_dual_mul_f32 v39, v40, v39
	s_delay_alu instid0(VALU_DEP_1) | instskip(NEXT) | instid1(VALU_DEP_1)
	v_dual_fma_f32 v40, v40, v38, -v42 :: v_dual_fmac_f32 v39, v41, v38
	v_dual_sub_f32 v36, v36, v40 :: v_dual_sub_f32 v37, v37, v39
.LBB61_760:                             ;   in Loop: Header=BB61_3 Depth=1
	s_or_b32 exec_lo, exec_lo, s8
	s_barrier_signal -1
	s_barrier_wait -1
	s_and_saveexec_b32 s8, s26
; %bb.761:                              ;   in Loop: Header=BB61_3 Depth=1
	v_pk_add_f32 v[38:39], v[36:37], 0 neg_lo:[1,1] neg_hi:[1,1]
	ds_store_b64 v58, v[38:39]
; %bb.762:                              ;   in Loop: Header=BB61_3 Depth=1
	s_or_b32 exec_lo, exec_lo, s8
	s_wait_dscnt 0x0
	s_barrier_signal -1
	s_barrier_wait -1
	s_and_saveexec_b32 s8, s28
	s_cbranch_execz .LBB61_764
; %bb.763:                              ;   in Loop: Header=BB61_3 Depth=1
	ds_load_b64 v[38:39], v57 offset:2560
	ds_load_b64 v[40:41], v58
	s_wait_dscnt 0x0
	v_dual_mul_f32 v42, v41, v39 :: v_dual_mul_f32 v43, v40, v39
	s_delay_alu instid0(VALU_DEP_1) | instskip(NEXT) | instid1(VALU_DEP_1)
	v_dual_fma_f32 v42, v40, v38, -v42 :: v_dual_fmac_f32 v43, v41, v38
	v_pk_add_f32 v[36:37], v[36:37], v[42:43] neg_lo:[0,1] neg_hi:[0,1]
.LBB61_764:                             ;   in Loop: Header=BB61_3 Depth=1
	s_or_b32 exec_lo, exec_lo, s8
	s_barrier_signal -1
	s_barrier_wait -1
	s_and_saveexec_b32 s8, s43
; %bb.765:                              ;   in Loop: Header=BB61_3 Depth=1
	v_pk_add_f32 v[38:39], v[36:37], 0 neg_lo:[1,1] neg_hi:[1,1]
	ds_store_b64 v58, v[38:39]
; %bb.766:                              ;   in Loop: Header=BB61_3 Depth=1
	s_or_b32 exec_lo, exec_lo, s8
	s_wait_dscnt 0x0
	s_barrier_signal -1
	s_barrier_wait -1
	s_and_saveexec_b32 s8, s25
	s_cbranch_execz .LBB61_768
; %bb.767:                              ;   in Loop: Header=BB61_3 Depth=1
	ds_load_b64 v[38:39], v57 offset:2048
	ds_load_b64 v[40:41], v58
	s_wait_dscnt 0x0
	v_pk_mul_f32 v[42:43], v[40:41], v[38:39] op_sel:[1,1] op_sel_hi:[0,1]
	s_delay_alu instid0(VALU_DEP_1) | instskip(SKIP_1) | instid1(VALU_DEP_2)
	v_pk_fma_f32 v[78:79], v[40:41], v[38:39], v[42:43] op_sel_hi:[1,0,1]
	v_pk_fma_f32 v[38:39], v[40:41], v[38:39], v[42:43] neg_lo:[0,0,1] neg_hi:[0,0,1]
	v_mov_b32_e32 v39, v79
	s_delay_alu instid0(VALU_DEP_1)
	v_pk_add_f32 v[36:37], v[36:37], v[38:39] neg_lo:[0,1] neg_hi:[0,1]
.LBB61_768:                             ;   in Loop: Header=BB61_3 Depth=1
	s_or_b32 exec_lo, exec_lo, s8
	s_barrier_signal -1
	s_barrier_wait -1
	s_and_saveexec_b32 s8, s27
; %bb.769:                              ;   in Loop: Header=BB61_3 Depth=1
	v_pk_add_f32 v[38:39], v[36:37], 0 neg_lo:[1,1] neg_hi:[1,1]
	ds_store_b64 v58, v[38:39]
; %bb.770:                              ;   in Loop: Header=BB61_3 Depth=1
	s_or_b32 exec_lo, exec_lo, s8
	s_wait_dscnt 0x0
	s_barrier_signal -1
	s_barrier_wait -1
	s_and_saveexec_b32 s8, s29
	s_cbranch_execz .LBB61_772
; %bb.771:                              ;   in Loop: Header=BB61_3 Depth=1
	ds_load_b64 v[38:39], v57 offset:1536
	ds_load_b64 v[40:41], v58
	s_wait_dscnt 0x0
	v_pk_mul_f32 v[42:43], v[40:41], v[38:39] op_sel:[1,1] op_sel_hi:[0,1]
	s_delay_alu instid0(VALU_DEP_1) | instskip(SKIP_1) | instid1(VALU_DEP_2)
	v_pk_fma_f32 v[78:79], v[40:41], v[38:39], v[42:43] op_sel_hi:[1,0,1]
	v_pk_fma_f32 v[38:39], v[40:41], v[38:39], v[42:43] neg_lo:[0,0,1] neg_hi:[0,0,1]
	v_mov_b32_e32 v39, v79
	s_delay_alu instid0(VALU_DEP_1)
	v_pk_add_f32 v[36:37], v[36:37], v[38:39] neg_lo:[0,1] neg_hi:[0,1]
.LBB61_772:                             ;   in Loop: Header=BB61_3 Depth=1
	;; [unrolled: 26-line block ×4, first 2 shown]
	s_or_b32 exec_lo, exec_lo, s8
	s_barrier_signal -1
	s_barrier_wait -1
	s_and_saveexec_b32 s8, s39
; %bb.781:                              ;   in Loop: Header=BB61_3 Depth=1
	v_pk_add_f32 v[38:39], v[36:37], 0 neg_lo:[1,1] neg_hi:[1,1]
	ds_store_b64 v58, v[38:39]
; %bb.782:                              ;   in Loop: Header=BB61_3 Depth=1
	s_or_b32 exec_lo, exec_lo, s8
	s_wait_dscnt 0x0
	s_barrier_signal -1
	s_barrier_wait -1
	s_barrier_signal -1
	s_barrier_wait -1
	s_and_saveexec_b32 s8, s5
; %bb.783:                              ;   in Loop: Header=BB61_3 Depth=1
	ds_store_b64 v61, v[36:37] offset:15872
; %bb.784:                              ;   in Loop: Header=BB61_3 Depth=1
	s_or_b32 exec_lo, exec_lo, s8
	s_wait_dscnt 0x0
	s_barrier_signal -1
	s_barrier_wait -1
	s_barrier_signal -1
	s_barrier_wait -1
	s_and_saveexec_b32 s8, s10
; %bb.785:                              ;   in Loop: Header=BB61_3 Depth=1
	v_add_nc_u32_e64 v36, 0x1800, 0
	ds_store_2addr_b64 v36, v[34:35], v[34:35] offset0:142 offset1:207
; %bb.786:                              ;   in Loop: Header=BB61_3 Depth=1
	s_or_b32 exec_lo, exec_lo, s8
	v_dual_mov_b32 v36, 0 :: v_dual_mov_b32 v37, 0
	s_wait_dscnt 0x0
	s_barrier_signal -1
	s_barrier_wait -1
	global_wb scope:SCOPE_DEV
	s_wait_storecnt 0x0
	global_inv scope:SCOPE_DEV
	s_and_saveexec_b32 s8, s2
	s_cbranch_execz .LBB61_790
; %bb.787:                              ;   in Loop: Header=BB61_3 Depth=1
	ds_load_b64 v[36:37], v5 offset:7264
	ds_load_b64 v[38:39], v45 offset:7792
	s_wait_dscnt 0x0
	v_pk_mul_f32 v[40:41], v[38:39], v[36:37] op_sel:[1,1] op_sel_hi:[0,1]
	s_delay_alu instid0(VALU_DEP_1) | instskip(SKIP_1) | instid1(VALU_DEP_2)
	v_pk_fma_f32 v[42:43], v[38:39], v[36:37], v[40:41] op_sel_hi:[1,0,1]
	v_pk_fma_f32 v[36:37], v[38:39], v[36:37], v[40:41] neg_lo:[0,0,1] neg_hi:[0,0,1]
	v_mov_b32_e32 v37, v43
	s_delay_alu instid0(VALU_DEP_1)
	v_pk_add_f32 v[36:37], v[36:37], 0 op_sel_hi:[1,0]
	s_and_saveexec_b32 s64, s11
	s_cbranch_execz .LBB61_789
; %bb.788:                              ;   in Loop: Header=BB61_3 Depth=1
	ds_load_b64 v[38:39], v46 offset:7776
	ds_load_b64 v[40:41], v7 offset:7800
	s_wait_dscnt 0x0
	v_pk_mul_f32 v[42:43], v[40:41], v[38:39] op_sel:[1,1] op_sel_hi:[0,1]
	s_delay_alu instid0(VALU_DEP_1) | instskip(SKIP_1) | instid1(VALU_DEP_2)
	v_pk_fma_f32 v[78:79], v[40:41], v[38:39], v[42:43] op_sel_hi:[1,0,1]
	v_pk_fma_f32 v[38:39], v[40:41], v[38:39], v[42:43] neg_lo:[0,0,1] neg_hi:[0,0,1]
	v_mov_b32_e32 v39, v79
	s_delay_alu instid0(VALU_DEP_1)
	v_pk_add_f32 v[36:37], v[36:37], v[38:39]
.LBB61_789:                             ;   in Loop: Header=BB61_3 Depth=1
	s_or_b32 exec_lo, exec_lo, s64
.LBB61_790:                             ;   in Loop: Header=BB61_3 Depth=1
	s_delay_alu instid0(SALU_CYCLE_1)
	s_or_b32 exec_lo, exec_lo, s8
	s_and_saveexec_b32 s8, s45
; %bb.791:                              ;   in Loop: Header=BB61_3 Depth=1
	s_delay_alu instid0(VALU_DEP_1)
	v_pk_add_f32 v[38:39], v[36:37], 0 neg_lo:[1,1] neg_hi:[1,1]
	ds_store_b64 v44, v[38:39]
; %bb.792:                              ;   in Loop: Header=BB61_3 Depth=1
	s_or_b32 exec_lo, exec_lo, s8
	s_wait_loadcnt_dscnt 0x0
	s_barrier_signal -1
	s_barrier_wait -1
	s_and_saveexec_b32 s8, s46
	s_cbranch_execz .LBB61_794
; %bb.793:                              ;   in Loop: Header=BB61_3 Depth=1
	ds_load_b64 v[38:39], v7 offset:6752
	ds_load_b64 v[40:41], v44
	s_wait_dscnt 0x0
	v_pk_mul_f32 v[42:43], v[40:41], v[38:39] op_sel_hi:[1,0]
	s_delay_alu instid0(VALU_DEP_1) | instskip(SKIP_1) | instid1(VALU_DEP_2)
	v_pk_fma_f32 v[78:79], v[40:41], v[38:39], v[42:43] op_sel:[1,1,0] op_sel_hi:[0,1,1]
	v_pk_fma_f32 v[38:39], v[40:41], v[38:39], v[42:43] op_sel:[1,1,0] op_sel_hi:[0,1,1] neg_lo:[0,0,1] neg_hi:[0,0,1]
	v_pk_add_f32 v[40:41], v[36:37], v[78:79] neg_lo:[0,1] neg_hi:[0,1]
	s_delay_alu instid0(VALU_DEP_2) | instskip(NEXT) | instid1(VALU_DEP_2)
	v_pk_add_f32 v[36:37], v[36:37], v[38:39]
	v_mov_b32_e32 v37, v41
.LBB61_794:                             ;   in Loop: Header=BB61_3 Depth=1
	s_or_b32 exec_lo, exec_lo, s8
	s_barrier_signal -1
	s_barrier_wait -1
	s_and_saveexec_b32 s8, s46
; %bb.795:                              ;   in Loop: Header=BB61_3 Depth=1
	v_pk_add_f32 v[38:39], v[36:37], 0 neg_lo:[1,1] neg_hi:[1,1]
	ds_store_b64 v44, v[38:39]
; %bb.796:                              ;   in Loop: Header=BB61_3 Depth=1
	s_or_b32 exec_lo, exec_lo, s8
	s_wait_dscnt 0x0
	s_barrier_signal -1
	s_barrier_wait -1
	s_barrier_signal -1
	s_barrier_wait -1
	s_and_saveexec_b32 s8, s2
; %bb.797:                              ;   in Loop: Header=BB61_3 Depth=1
	ds_store_b64 v47, v[36:37] offset:7776
; %bb.798:                              ;   in Loop: Header=BB61_3 Depth=1
	s_or_b32 exec_lo, exec_lo, s8
	s_wait_dscnt 0x0
	s_barrier_signal -1
	s_barrier_wait -1
	s_barrier_signal -1
	s_barrier_wait -1
	s_and_saveexec_b32 s8, s10
; %bb.799:                              ;   in Loop: Header=BB61_3 Depth=1
	v_add_nc_u32_e64 v36, 0x1800, 0
	ds_store_2addr_b64 v36, v[34:35], v[34:35] offset0:12 offset1:77
; %bb.800:                              ;   in Loop: Header=BB61_3 Depth=1
	s_or_b32 exec_lo, exec_lo, s8
	v_mov_b64_e32 v[36:37], 0
	s_wait_dscnt 0x0
	s_barrier_signal -1
	s_barrier_wait -1
	global_wb scope:SCOPE_DEV
	s_wait_storecnt 0x0
	global_inv scope:SCOPE_DEV
	s_and_saveexec_b32 s98, s3
	s_cbranch_execz .LBB61_806
; %bb.801:                              ;   in Loop: Header=BB61_3 Depth=1
	ds_load_b64 v[36:37], v49 offset:6208
	ds_load_b64 v[38:39], v50 offset:7776
	s_wait_dscnt 0x0
	v_dual_mul_f32 v40, v39, v37 :: v_dual_mul_f32 v37, v38, v37
	s_delay_alu instid0(VALU_DEP_1) | instskip(NEXT) | instid1(VALU_DEP_1)
	v_dual_fma_f32 v38, v38, v36, -v40 :: v_dual_fmac_f32 v37, v39, v36
	v_dual_add_f32 v36, 0, v38 :: v_dual_add_f32 v37, 0, v37
	s_and_saveexec_b32 s8, s12
	s_cbranch_execnz .LBB61_1040
; %bb.802:                              ;   in Loop: Header=BB61_3 Depth=1
	s_or_b32 exec_lo, exec_lo, s8
	s_and_saveexec_b32 s8, s13
	s_cbranch_execnz .LBB61_1041
.LBB61_803:                             ;   in Loop: Header=BB61_3 Depth=1
	s_or_b32 exec_lo, exec_lo, s8
	s_and_saveexec_b32 s8, s2
	s_cbranch_execz .LBB61_805
.LBB61_804:                             ;   in Loop: Header=BB61_3 Depth=1
	ds_load_b64 v[38:39], v46 offset:7744
	ds_load_b64 v[40:41], v7 offset:7800
	s_wait_dscnt 0x0
	v_pk_mul_f32 v[42:43], v[40:41], v[38:39] op_sel:[1,1] op_sel_hi:[0,1]
	s_delay_alu instid0(VALU_DEP_1) | instskip(SKIP_1) | instid1(VALU_DEP_2)
	v_pk_fma_f32 v[78:79], v[40:41], v[38:39], v[42:43] op_sel_hi:[1,0,1]
	v_pk_fma_f32 v[38:39], v[40:41], v[38:39], v[42:43] neg_lo:[0,0,1] neg_hi:[0,0,1]
	v_mov_b32_e32 v39, v79
	s_delay_alu instid0(VALU_DEP_1)
	v_pk_add_f32 v[36:37], v[36:37], v[38:39]
.LBB61_805:                             ;   in Loop: Header=BB61_3 Depth=1
	s_or_b32 exec_lo, exec_lo, s8
.LBB61_806:                             ;   in Loop: Header=BB61_3 Depth=1
	s_delay_alu instid0(SALU_CYCLE_1)
	s_or_b32 exec_lo, exec_lo, s98
	s_and_saveexec_b32 s8, s47
; %bb.807:                              ;   in Loop: Header=BB61_3 Depth=1
	s_delay_alu instid0(VALU_DEP_1)
	v_pk_add_f32 v[38:39], v[36:37], 0 neg_lo:[1,1] neg_hi:[1,1]
	ds_store_b64 v48, v[38:39]
; %bb.808:                              ;   in Loop: Header=BB61_3 Depth=1
	s_or_b32 exec_lo, exec_lo, s8
	s_wait_loadcnt_dscnt 0x0
	s_barrier_signal -1
	s_barrier_wait -1
	s_and_saveexec_b32 s8, s48
	s_cbranch_execz .LBB61_810
; %bb.809:                              ;   in Loop: Header=BB61_3 Depth=1
	ds_load_b64 v[38:39], v49 offset:5696
	ds_load_b64 v[40:41], v48
	s_wait_dscnt 0x0
	v_pk_mul_f32 v[42:43], v[40:41], v[38:39] op_sel:[1,1] op_sel_hi:[0,1]
	s_delay_alu instid0(VALU_DEP_1) | instskip(SKIP_1) | instid1(VALU_DEP_2)
	v_pk_fma_f32 v[78:79], v[40:41], v[38:39], v[42:43] op_sel_hi:[1,0,1]
	v_pk_fma_f32 v[38:39], v[40:41], v[38:39], v[42:43] neg_lo:[0,0,1] neg_hi:[0,0,1]
	v_mov_b32_e32 v39, v79
	s_delay_alu instid0(VALU_DEP_1)
	v_pk_add_f32 v[36:37], v[36:37], v[38:39] neg_lo:[0,1] neg_hi:[0,1]
.LBB61_810:                             ;   in Loop: Header=BB61_3 Depth=1
	s_or_b32 exec_lo, exec_lo, s8
	s_barrier_signal -1
	s_barrier_wait -1
	s_and_saveexec_b32 s8, s49
; %bb.811:                              ;   in Loop: Header=BB61_3 Depth=1
	v_pk_add_f32 v[38:39], v[36:37], 0 neg_lo:[1,1] neg_hi:[1,1]
	ds_store_b64 v48, v[38:39]
; %bb.812:                              ;   in Loop: Header=BB61_3 Depth=1
	s_or_b32 exec_lo, exec_lo, s8
	s_wait_dscnt 0x0
	s_barrier_signal -1
	s_barrier_wait -1
	s_and_saveexec_b32 s8, s50
	s_cbranch_execz .LBB61_814
; %bb.813:                              ;   in Loop: Header=BB61_3 Depth=1
	ds_load_b64 v[38:39], v49 offset:5184
	ds_load_b64 v[40:41], v48
	s_wait_dscnt 0x0
	v_pk_mul_f32 v[42:43], v[40:41], v[38:39] op_sel:[1,1] op_sel_hi:[0,1]
	s_delay_alu instid0(VALU_DEP_1) | instskip(SKIP_1) | instid1(VALU_DEP_2)
	v_pk_fma_f32 v[78:79], v[40:41], v[38:39], v[42:43] op_sel_hi:[1,0,1]
	v_pk_fma_f32 v[38:39], v[40:41], v[38:39], v[42:43] neg_lo:[0,0,1] neg_hi:[0,0,1]
	v_mov_b32_e32 v39, v79
	s_delay_alu instid0(VALU_DEP_1)
	v_pk_add_f32 v[36:37], v[36:37], v[38:39] neg_lo:[0,1] neg_hi:[0,1]
.LBB61_814:                             ;   in Loop: Header=BB61_3 Depth=1
	s_or_b32 exec_lo, exec_lo, s8
	s_barrier_signal -1
	s_barrier_wait -1
	s_and_saveexec_b32 s8, s51
; %bb.815:                              ;   in Loop: Header=BB61_3 Depth=1
	v_pk_add_f32 v[38:39], v[36:37], 0 neg_lo:[1,1] neg_hi:[1,1]
	ds_store_b64 v48, v[38:39]
; %bb.816:                              ;   in Loop: Header=BB61_3 Depth=1
	s_or_b32 exec_lo, exec_lo, s8
	s_wait_dscnt 0x0
	s_barrier_signal -1
	s_barrier_wait -1
	s_and_saveexec_b32 s8, s52
	s_cbranch_execz .LBB61_818
; %bb.817:                              ;   in Loop: Header=BB61_3 Depth=1
	ds_load_b64 v[38:39], v7 offset:4672
	ds_load_b64 v[40:41], v48
	s_wait_dscnt 0x0
	v_pk_mul_f32 v[42:43], v[40:41], v[38:39] op_sel:[1,1] op_sel_hi:[0,1]
	s_delay_alu instid0(VALU_DEP_1) | instskip(SKIP_1) | instid1(VALU_DEP_2)
	v_pk_fma_f32 v[78:79], v[40:41], v[38:39], v[42:43] op_sel_hi:[1,0,1]
	v_pk_fma_f32 v[38:39], v[40:41], v[38:39], v[42:43] neg_lo:[0,0,1] neg_hi:[0,0,1]
	v_mov_b32_e32 v39, v79
	s_delay_alu instid0(VALU_DEP_1)
	v_pk_add_f32 v[36:37], v[36:37], v[38:39] neg_lo:[0,1] neg_hi:[0,1]
.LBB61_818:                             ;   in Loop: Header=BB61_3 Depth=1
	s_or_b32 exec_lo, exec_lo, s8
	s_barrier_signal -1
	s_barrier_wait -1
	s_and_saveexec_b32 s8, s52
; %bb.819:                              ;   in Loop: Header=BB61_3 Depth=1
	v_pk_add_f32 v[38:39], v[36:37], 0 neg_lo:[1,1] neg_hi:[1,1]
	ds_store_b64 v48, v[38:39]
; %bb.820:                              ;   in Loop: Header=BB61_3 Depth=1
	s_or_b32 exec_lo, exec_lo, s8
	s_wait_dscnt 0x0
	s_barrier_signal -1
	s_barrier_wait -1
	s_barrier_signal -1
	s_barrier_wait -1
	s_and_saveexec_b32 s8, s3
; %bb.821:                              ;   in Loop: Header=BB61_3 Depth=1
	ds_store_b64 v52, v[36:37] offset:7744
; %bb.822:                              ;   in Loop: Header=BB61_3 Depth=1
	s_or_b32 exec_lo, exec_lo, s8
	s_wait_dscnt 0x0
	s_barrier_signal -1
	s_barrier_wait -1
	s_barrier_signal -1
	s_barrier_wait -1
	s_and_saveexec_b32 s8, s10
; %bb.823:                              ;   in Loop: Header=BB61_3 Depth=1
	v_add_nc_u32_e64 v36, 0x1000, 0
	ds_store_2addr_b64 v36, v[34:35], v[34:35] offset0:138 offset1:203
; %bb.824:                              ;   in Loop: Header=BB61_3 Depth=1
	s_or_b32 exec_lo, exec_lo, s8
	v_dual_mov_b32 v36, 0 :: v_dual_mov_b32 v37, 0
	s_wait_dscnt 0x0
	s_barrier_signal -1
	s_barrier_wait -1
	global_wb scope:SCOPE_DEV
	s_wait_storecnt 0x0
	global_inv scope:SCOPE_DEV
	s_and_saveexec_b32 s8, s2
	s_cbranch_execz .LBB61_828
; %bb.825:                              ;   in Loop: Header=BB61_3 Depth=1
	ds_load_b64 v[36:37], v5 offset:5184
	ds_load_b64 v[38:39], v45 offset:5712
	s_wait_dscnt 0x0
	v_pk_mul_f32 v[40:41], v[38:39], v[36:37] op_sel:[1,1] op_sel_hi:[0,1]
	s_delay_alu instid0(VALU_DEP_1) | instskip(SKIP_1) | instid1(VALU_DEP_2)
	v_pk_fma_f32 v[42:43], v[38:39], v[36:37], v[40:41] op_sel_hi:[1,0,1]
	v_pk_fma_f32 v[36:37], v[38:39], v[36:37], v[40:41] neg_lo:[0,0,1] neg_hi:[0,0,1]
	v_mov_b32_e32 v37, v43
	s_delay_alu instid0(VALU_DEP_1)
	v_pk_add_f32 v[36:37], v[36:37], 0 op_sel_hi:[1,0]
	s_and_saveexec_b32 s64, s11
	s_cbranch_execz .LBB61_827
; %bb.826:                              ;   in Loop: Header=BB61_3 Depth=1
	ds_load_b64 v[38:39], v46 offset:5696
	ds_load_b64 v[40:41], v7 offset:5720
	s_wait_dscnt 0x0
	v_pk_mul_f32 v[42:43], v[40:41], v[38:39] op_sel:[1,1] op_sel_hi:[0,1]
	s_delay_alu instid0(VALU_DEP_1) | instskip(SKIP_1) | instid1(VALU_DEP_2)
	v_pk_fma_f32 v[78:79], v[40:41], v[38:39], v[42:43] op_sel_hi:[1,0,1]
	v_pk_fma_f32 v[38:39], v[40:41], v[38:39], v[42:43] neg_lo:[0,0,1] neg_hi:[0,0,1]
	v_mov_b32_e32 v39, v79
	s_delay_alu instid0(VALU_DEP_1)
	v_pk_add_f32 v[36:37], v[36:37], v[38:39]
.LBB61_827:                             ;   in Loop: Header=BB61_3 Depth=1
	s_or_b32 exec_lo, exec_lo, s64
.LBB61_828:                             ;   in Loop: Header=BB61_3 Depth=1
	s_delay_alu instid0(SALU_CYCLE_1)
	s_or_b32 exec_lo, exec_lo, s8
	s_and_saveexec_b32 s8, s45
; %bb.829:                              ;   in Loop: Header=BB61_3 Depth=1
	s_delay_alu instid0(VALU_DEP_1)
	v_pk_add_f32 v[38:39], v[36:37], 0 neg_lo:[1,1] neg_hi:[1,1]
	ds_store_b64 v44, v[38:39]
; %bb.830:                              ;   in Loop: Header=BB61_3 Depth=1
	s_or_b32 exec_lo, exec_lo, s8
	s_wait_loadcnt_dscnt 0x0
	s_barrier_signal -1
	s_barrier_wait -1
	s_and_saveexec_b32 s8, s46
	s_cbranch_execz .LBB61_832
; %bb.831:                              ;   in Loop: Header=BB61_3 Depth=1
	ds_load_b64 v[38:39], v7 offset:4672
	ds_load_b64 v[40:41], v44
	s_wait_dscnt 0x0
	v_pk_mul_f32 v[42:43], v[40:41], v[38:39] op_sel_hi:[1,0]
	s_delay_alu instid0(VALU_DEP_1) | instskip(SKIP_1) | instid1(VALU_DEP_2)
	v_pk_fma_f32 v[78:79], v[40:41], v[38:39], v[42:43] op_sel:[1,1,0] op_sel_hi:[0,1,1]
	v_pk_fma_f32 v[38:39], v[40:41], v[38:39], v[42:43] op_sel:[1,1,0] op_sel_hi:[0,1,1] neg_lo:[0,0,1] neg_hi:[0,0,1]
	v_pk_add_f32 v[40:41], v[36:37], v[78:79] neg_lo:[0,1] neg_hi:[0,1]
	s_delay_alu instid0(VALU_DEP_2) | instskip(NEXT) | instid1(VALU_DEP_2)
	v_pk_add_f32 v[36:37], v[36:37], v[38:39]
	v_mov_b32_e32 v37, v41
.LBB61_832:                             ;   in Loop: Header=BB61_3 Depth=1
	s_or_b32 exec_lo, exec_lo, s8
	s_barrier_signal -1
	s_barrier_wait -1
	s_and_saveexec_b32 s8, s46
; %bb.833:                              ;   in Loop: Header=BB61_3 Depth=1
	v_pk_add_f32 v[38:39], v[36:37], 0 neg_lo:[1,1] neg_hi:[1,1]
	ds_store_b64 v44, v[38:39]
; %bb.834:                              ;   in Loop: Header=BB61_3 Depth=1
	s_or_b32 exec_lo, exec_lo, s8
	s_wait_dscnt 0x0
	s_barrier_signal -1
	s_barrier_wait -1
	s_barrier_signal -1
	s_barrier_wait -1
	s_and_saveexec_b32 s8, s2
; %bb.835:                              ;   in Loop: Header=BB61_3 Depth=1
	ds_store_b64 v47, v[36:37] offset:5696
; %bb.836:                              ;   in Loop: Header=BB61_3 Depth=1
	s_or_b32 exec_lo, exec_lo, s8
	s_wait_dscnt 0x0
	s_barrier_signal -1
	s_barrier_wait -1
	s_barrier_signal -1
	s_barrier_wait -1
	s_and_saveexec_b32 s8, s10
; %bb.837:                              ;   in Loop: Header=BB61_3 Depth=1
	v_add_nc_u32_e64 v36, 0x1000, 0
	ds_store_2addr_b64 v36, v[34:35], v[34:35] offset0:8 offset1:73
; %bb.838:                              ;   in Loop: Header=BB61_3 Depth=1
	s_or_b32 exec_lo, exec_lo, s8
	v_mov_b64_e32 v[36:37], 0
	s_wait_dscnt 0x0
	s_barrier_signal -1
	s_barrier_wait -1
	global_wb scope:SCOPE_DEV
	s_wait_storecnt 0x0
	global_inv scope:SCOPE_DEV
	s_and_saveexec_b32 s98, s4
	s_cbranch_execz .LBB61_848
; %bb.839:                              ;   in Loop: Header=BB61_3 Depth=1
	ds_load_b64 v[36:37], v51 offset:4096
	ds_load_b64 v[38:39], v54 offset:7744
	s_wait_dscnt 0x0
	v_dual_mul_f32 v40, v39, v37 :: v_dual_mul_f32 v37, v38, v37
	s_delay_alu instid0(VALU_DEP_1) | instskip(NEXT) | instid1(VALU_DEP_1)
	v_dual_fma_f32 v38, v38, v36, -v40 :: v_dual_fmac_f32 v37, v39, v36
	v_dual_add_f32 v36, 0, v38 :: v_dual_add_f32 v37, 0, v37
	s_and_saveexec_b32 s8, s14
	s_cbranch_execnz .LBB61_1042
; %bb.840:                              ;   in Loop: Header=BB61_3 Depth=1
	s_or_b32 exec_lo, exec_lo, s8
	s_and_saveexec_b32 s8, s15
	s_cbranch_execnz .LBB61_1043
.LBB61_841:                             ;   in Loop: Header=BB61_3 Depth=1
	s_or_b32 exec_lo, exec_lo, s8
	s_and_saveexec_b32 s8, s16
	s_cbranch_execnz .LBB61_1044
.LBB61_842:                             ;   in Loop: Header=BB61_3 Depth=1
	s_or_b32 exec_lo, exec_lo, s8
	s_and_saveexec_b32 s8, s17
	s_cbranch_execnz .LBB61_1045
.LBB61_843:                             ;   in Loop: Header=BB61_3 Depth=1
	s_or_b32 exec_lo, exec_lo, s8
	s_and_saveexec_b32 s8, s18
	s_cbranch_execnz .LBB61_1046
.LBB61_844:                             ;   in Loop: Header=BB61_3 Depth=1
	s_or_b32 exec_lo, exec_lo, s8
	s_and_saveexec_b32 s8, s3
	s_cbranch_execnz .LBB61_1047
.LBB61_845:                             ;   in Loop: Header=BB61_3 Depth=1
	s_or_b32 exec_lo, exec_lo, s8
	s_and_saveexec_b32 s8, s13
	s_cbranch_execz .LBB61_847
.LBB61_846:                             ;   in Loop: Header=BB61_3 Depth=1
	ds_load_b64 v[38:39], v46 offset:7680
	ds_load_b64 v[40:41], v7 offset:7800
	s_wait_dscnt 0x0
	v_pk_mul_f32 v[42:43], v[40:41], v[38:39] op_sel:[1,1] op_sel_hi:[0,1]
	s_delay_alu instid0(VALU_DEP_1) | instskip(SKIP_1) | instid1(VALU_DEP_2)
	v_pk_fma_f32 v[78:79], v[40:41], v[38:39], v[42:43] op_sel_hi:[1,0,1]
	v_pk_fma_f32 v[38:39], v[40:41], v[38:39], v[42:43] neg_lo:[0,0,1] neg_hi:[0,0,1]
	v_mov_b32_e32 v39, v79
	s_delay_alu instid0(VALU_DEP_1)
	v_pk_add_f32 v[36:37], v[36:37], v[38:39]
.LBB61_847:                             ;   in Loop: Header=BB61_3 Depth=1
	s_or_b32 exec_lo, exec_lo, s8
.LBB61_848:                             ;   in Loop: Header=BB61_3 Depth=1
	s_delay_alu instid0(SALU_CYCLE_1)
	s_or_b32 exec_lo, exec_lo, s98
	s_and_saveexec_b32 s8, s53
; %bb.849:                              ;   in Loop: Header=BB61_3 Depth=1
	s_delay_alu instid0(VALU_DEP_1)
	v_pk_add_f32 v[38:39], v[36:37], 0 neg_lo:[1,1] neg_hi:[1,1]
	ds_store_b64 v53, v[38:39]
; %bb.850:                              ;   in Loop: Header=BB61_3 Depth=1
	s_or_b32 exec_lo, exec_lo, s8
	s_wait_loadcnt_dscnt 0x0
	s_barrier_signal -1
	s_barrier_wait -1
	s_and_saveexec_b32 s8, s54
	s_cbranch_execz .LBB61_852
; %bb.851:                              ;   in Loop: Header=BB61_3 Depth=1
	ds_load_b64 v[38:39], v51 offset:3584
	ds_load_b64 v[40:41], v53
	s_wait_dscnt 0x0
	v_pk_mul_f32 v[42:43], v[40:41], v[38:39] op_sel:[1,1] op_sel_hi:[0,1]
	s_delay_alu instid0(VALU_DEP_1) | instskip(SKIP_1) | instid1(VALU_DEP_2)
	v_pk_fma_f32 v[78:79], v[40:41], v[38:39], v[42:43] op_sel_hi:[1,0,1]
	v_pk_fma_f32 v[38:39], v[40:41], v[38:39], v[42:43] neg_lo:[0,0,1] neg_hi:[0,0,1]
	v_mov_b32_e32 v39, v79
	s_delay_alu instid0(VALU_DEP_1)
	v_pk_add_f32 v[36:37], v[36:37], v[38:39] neg_lo:[0,1] neg_hi:[0,1]
.LBB61_852:                             ;   in Loop: Header=BB61_3 Depth=1
	s_or_b32 exec_lo, exec_lo, s8
	s_barrier_signal -1
	s_barrier_wait -1
	s_and_saveexec_b32 s8, s55
; %bb.853:                              ;   in Loop: Header=BB61_3 Depth=1
	v_pk_add_f32 v[38:39], v[36:37], 0 neg_lo:[1,1] neg_hi:[1,1]
	ds_store_b64 v53, v[38:39]
; %bb.854:                              ;   in Loop: Header=BB61_3 Depth=1
	s_or_b32 exec_lo, exec_lo, s8
	s_wait_dscnt 0x0
	s_barrier_signal -1
	s_barrier_wait -1
	s_and_saveexec_b32 s8, s56
	s_cbranch_execz .LBB61_856
; %bb.855:                              ;   in Loop: Header=BB61_3 Depth=1
	ds_load_b64 v[38:39], v51 offset:3072
	ds_load_b64 v[40:41], v53
	s_wait_dscnt 0x0
	v_dual_mul_f32 v42, v41, v39 :: v_dual_mul_f32 v39, v40, v39
	s_delay_alu instid0(VALU_DEP_1) | instskip(NEXT) | instid1(VALU_DEP_1)
	v_dual_fma_f32 v40, v40, v38, -v42 :: v_dual_fmac_f32 v39, v41, v38
	v_dual_sub_f32 v36, v36, v40 :: v_dual_sub_f32 v37, v37, v39
.LBB61_856:                             ;   in Loop: Header=BB61_3 Depth=1
	s_or_b32 exec_lo, exec_lo, s8
	s_barrier_signal -1
	s_barrier_wait -1
	s_and_saveexec_b32 s8, s57
; %bb.857:                              ;   in Loop: Header=BB61_3 Depth=1
	v_pk_add_f32 v[38:39], v[36:37], 0 neg_lo:[1,1] neg_hi:[1,1]
	ds_store_b64 v53, v[38:39]
; %bb.858:                              ;   in Loop: Header=BB61_3 Depth=1
	s_or_b32 exec_lo, exec_lo, s8
	s_wait_dscnt 0x0
	s_barrier_signal -1
	s_barrier_wait -1
	s_and_saveexec_b32 s8, s58
	s_cbranch_execz .LBB61_860
; %bb.859:                              ;   in Loop: Header=BB61_3 Depth=1
	ds_load_b64 v[38:39], v51 offset:2560
	ds_load_b64 v[40:41], v53
	s_wait_dscnt 0x0
	v_dual_mul_f32 v42, v41, v39 :: v_dual_mul_f32 v43, v40, v39
	s_delay_alu instid0(VALU_DEP_1) | instskip(NEXT) | instid1(VALU_DEP_1)
	v_dual_fma_f32 v42, v40, v38, -v42 :: v_dual_fmac_f32 v43, v41, v38
	v_pk_add_f32 v[36:37], v[36:37], v[42:43] neg_lo:[0,1] neg_hi:[0,1]
.LBB61_860:                             ;   in Loop: Header=BB61_3 Depth=1
	s_or_b32 exec_lo, exec_lo, s8
	s_barrier_signal -1
	s_barrier_wait -1
	s_and_saveexec_b32 s8, s59
; %bb.861:                              ;   in Loop: Header=BB61_3 Depth=1
	v_pk_add_f32 v[38:39], v[36:37], 0 neg_lo:[1,1] neg_hi:[1,1]
	ds_store_b64 v53, v[38:39]
; %bb.862:                              ;   in Loop: Header=BB61_3 Depth=1
	s_or_b32 exec_lo, exec_lo, s8
	s_wait_dscnt 0x0
	s_barrier_signal -1
	s_barrier_wait -1
	s_and_saveexec_b32 s8, s60
	s_cbranch_execz .LBB61_864
; %bb.863:                              ;   in Loop: Header=BB61_3 Depth=1
	ds_load_b64 v[38:39], v51 offset:2048
	ds_load_b64 v[40:41], v53
	s_wait_dscnt 0x0
	v_pk_mul_f32 v[42:43], v[40:41], v[38:39] op_sel:[1,1] op_sel_hi:[0,1]
	s_delay_alu instid0(VALU_DEP_1) | instskip(SKIP_1) | instid1(VALU_DEP_2)
	v_pk_fma_f32 v[78:79], v[40:41], v[38:39], v[42:43] op_sel_hi:[1,0,1]
	v_pk_fma_f32 v[38:39], v[40:41], v[38:39], v[42:43] neg_lo:[0,0,1] neg_hi:[0,0,1]
	v_mov_b32_e32 v39, v79
	s_delay_alu instid0(VALU_DEP_1)
	v_pk_add_f32 v[36:37], v[36:37], v[38:39] neg_lo:[0,1] neg_hi:[0,1]
.LBB61_864:                             ;   in Loop: Header=BB61_3 Depth=1
	s_or_b32 exec_lo, exec_lo, s8
	s_barrier_signal -1
	s_barrier_wait -1
	s_and_saveexec_b32 s8, s61
; %bb.865:                              ;   in Loop: Header=BB61_3 Depth=1
	v_pk_add_f32 v[38:39], v[36:37], 0 neg_lo:[1,1] neg_hi:[1,1]
	ds_store_b64 v53, v[38:39]
; %bb.866:                              ;   in Loop: Header=BB61_3 Depth=1
	s_or_b32 exec_lo, exec_lo, s8
	s_wait_dscnt 0x0
	s_barrier_signal -1
	s_barrier_wait -1
	s_and_saveexec_b32 s8, s62
	s_cbranch_execz .LBB61_868
; %bb.867:                              ;   in Loop: Header=BB61_3 Depth=1
	ds_load_b64 v[38:39], v51 offset:1536
	ds_load_b64 v[40:41], v53
	s_wait_dscnt 0x0
	v_pk_mul_f32 v[42:43], v[40:41], v[38:39] op_sel:[1,1] op_sel_hi:[0,1]
	s_delay_alu instid0(VALU_DEP_1) | instskip(SKIP_1) | instid1(VALU_DEP_2)
	v_pk_fma_f32 v[78:79], v[40:41], v[38:39], v[42:43] op_sel_hi:[1,0,1]
	v_pk_fma_f32 v[38:39], v[40:41], v[38:39], v[42:43] neg_lo:[0,0,1] neg_hi:[0,0,1]
	v_mov_b32_e32 v39, v79
	s_delay_alu instid0(VALU_DEP_1)
	v_pk_add_f32 v[36:37], v[36:37], v[38:39] neg_lo:[0,1] neg_hi:[0,1]
.LBB61_868:                             ;   in Loop: Header=BB61_3 Depth=1
	;; [unrolled: 26-line block ×4, first 2 shown]
	s_or_b32 exec_lo, exec_lo, s8
	s_barrier_signal -1
	s_barrier_wait -1
	s_and_saveexec_b32 s8, s23
; %bb.877:                              ;   in Loop: Header=BB61_3 Depth=1
	v_pk_add_f32 v[38:39], v[36:37], 0 neg_lo:[1,1] neg_hi:[1,1]
	ds_store_b64 v53, v[38:39]
; %bb.878:                              ;   in Loop: Header=BB61_3 Depth=1
	s_or_b32 exec_lo, exec_lo, s8
	s_wait_dscnt 0x0
	s_barrier_signal -1
	s_barrier_wait -1
	s_barrier_signal -1
	s_barrier_wait -1
	s_and_saveexec_b32 s8, s4
; %bb.879:                              ;   in Loop: Header=BB61_3 Depth=1
	ds_store_b64 v55, v[36:37] offset:7680
; %bb.880:                              ;   in Loop: Header=BB61_3 Depth=1
	s_or_b32 exec_lo, exec_lo, s8
	s_wait_dscnt 0x0
	s_barrier_signal -1
	s_barrier_wait -1
	s_barrier_signal -1
	s_barrier_wait -1
	s_and_saveexec_b32 s8, s10
; %bb.881:                              ;   in Loop: Header=BB61_3 Depth=1
	v_add_nc_u32_e64 v36, 0x800, 0
	ds_store_2addr_b64 v36, v[34:35], v[34:35] offset0:134 offset1:199
; %bb.882:                              ;   in Loop: Header=BB61_3 Depth=1
	s_or_b32 exec_lo, exec_lo, s8
	v_dual_mov_b32 v36, 0 :: v_dual_mov_b32 v37, 0
	s_wait_dscnt 0x0
	s_barrier_signal -1
	s_barrier_wait -1
	global_wb scope:SCOPE_DEV
	s_wait_storecnt 0x0
	global_inv scope:SCOPE_DEV
	s_and_saveexec_b32 s8, s2
	s_cbranch_execz .LBB61_886
; %bb.883:                              ;   in Loop: Header=BB61_3 Depth=1
	ds_load_b64 v[36:37], v5 offset:3104
	ds_load_b64 v[38:39], v45 offset:3632
	s_wait_dscnt 0x0
	v_pk_mul_f32 v[40:41], v[38:39], v[36:37] op_sel:[1,1] op_sel_hi:[0,1]
	s_delay_alu instid0(VALU_DEP_1) | instskip(SKIP_1) | instid1(VALU_DEP_2)
	v_pk_fma_f32 v[42:43], v[38:39], v[36:37], v[40:41] op_sel_hi:[1,0,1]
	v_pk_fma_f32 v[36:37], v[38:39], v[36:37], v[40:41] neg_lo:[0,0,1] neg_hi:[0,0,1]
	v_mov_b32_e32 v37, v43
	s_delay_alu instid0(VALU_DEP_1)
	v_pk_add_f32 v[36:37], v[36:37], 0 op_sel_hi:[1,0]
	s_and_saveexec_b32 s64, s11
	s_cbranch_execz .LBB61_885
; %bb.884:                              ;   in Loop: Header=BB61_3 Depth=1
	ds_load_b64 v[38:39], v46 offset:3616
	ds_load_b64 v[40:41], v7 offset:3640
	s_wait_dscnt 0x0
	v_pk_mul_f32 v[42:43], v[40:41], v[38:39] op_sel:[1,1] op_sel_hi:[0,1]
	s_delay_alu instid0(VALU_DEP_1) | instskip(SKIP_1) | instid1(VALU_DEP_2)
	v_pk_fma_f32 v[78:79], v[40:41], v[38:39], v[42:43] op_sel_hi:[1,0,1]
	v_pk_fma_f32 v[38:39], v[40:41], v[38:39], v[42:43] neg_lo:[0,0,1] neg_hi:[0,0,1]
	v_mov_b32_e32 v39, v79
	s_delay_alu instid0(VALU_DEP_1)
	v_pk_add_f32 v[36:37], v[36:37], v[38:39]
.LBB61_885:                             ;   in Loop: Header=BB61_3 Depth=1
	s_or_b32 exec_lo, exec_lo, s64
.LBB61_886:                             ;   in Loop: Header=BB61_3 Depth=1
	s_delay_alu instid0(SALU_CYCLE_1)
	s_or_b32 exec_lo, exec_lo, s8
	s_and_saveexec_b32 s8, s45
; %bb.887:                              ;   in Loop: Header=BB61_3 Depth=1
	s_delay_alu instid0(VALU_DEP_1)
	v_pk_add_f32 v[38:39], v[36:37], 0 neg_lo:[1,1] neg_hi:[1,1]
	ds_store_b64 v44, v[38:39]
; %bb.888:                              ;   in Loop: Header=BB61_3 Depth=1
	s_or_b32 exec_lo, exec_lo, s8
	s_wait_loadcnt_dscnt 0x0
	s_barrier_signal -1
	s_barrier_wait -1
	s_and_saveexec_b32 s8, s46
	s_cbranch_execz .LBB61_890
; %bb.889:                              ;   in Loop: Header=BB61_3 Depth=1
	ds_load_b64 v[38:39], v7 offset:2592
	ds_load_b64 v[40:41], v44
	s_wait_dscnt 0x0
	v_pk_mul_f32 v[42:43], v[40:41], v[38:39] op_sel_hi:[1,0]
	s_delay_alu instid0(VALU_DEP_1) | instskip(SKIP_1) | instid1(VALU_DEP_2)
	v_pk_fma_f32 v[78:79], v[40:41], v[38:39], v[42:43] op_sel:[1,1,0] op_sel_hi:[0,1,1]
	v_pk_fma_f32 v[38:39], v[40:41], v[38:39], v[42:43] op_sel:[1,1,0] op_sel_hi:[0,1,1] neg_lo:[0,0,1] neg_hi:[0,0,1]
	v_pk_add_f32 v[40:41], v[36:37], v[78:79] neg_lo:[0,1] neg_hi:[0,1]
	s_delay_alu instid0(VALU_DEP_2) | instskip(NEXT) | instid1(VALU_DEP_2)
	v_pk_add_f32 v[36:37], v[36:37], v[38:39]
	v_mov_b32_e32 v37, v41
.LBB61_890:                             ;   in Loop: Header=BB61_3 Depth=1
	s_or_b32 exec_lo, exec_lo, s8
	s_barrier_signal -1
	s_barrier_wait -1
	s_and_saveexec_b32 s8, s46
; %bb.891:                              ;   in Loop: Header=BB61_3 Depth=1
	v_pk_add_f32 v[38:39], v[36:37], 0 neg_lo:[1,1] neg_hi:[1,1]
	ds_store_b64 v44, v[38:39]
; %bb.892:                              ;   in Loop: Header=BB61_3 Depth=1
	s_or_b32 exec_lo, exec_lo, s8
	s_wait_dscnt 0x0
	s_barrier_signal -1
	s_barrier_wait -1
	s_barrier_signal -1
	s_barrier_wait -1
	s_and_saveexec_b32 s8, s2
; %bb.893:                              ;   in Loop: Header=BB61_3 Depth=1
	ds_store_b64 v47, v[36:37] offset:3616
; %bb.894:                              ;   in Loop: Header=BB61_3 Depth=1
	s_or_b32 exec_lo, exec_lo, s8
	s_wait_dscnt 0x0
	s_barrier_signal -1
	s_barrier_wait -1
	s_barrier_signal -1
	s_barrier_wait -1
	s_and_saveexec_b32 s8, s10
; %bb.895:                              ;   in Loop: Header=BB61_3 Depth=1
	v_add_nc_u32_e64 v36, 0x800, 0
	ds_store_2addr_b64 v36, v[34:35], v[34:35] offset0:4 offset1:69
; %bb.896:                              ;   in Loop: Header=BB61_3 Depth=1
	s_or_b32 exec_lo, exec_lo, s8
	v_mov_b64_e32 v[36:37], 0
	s_wait_dscnt 0x0
	s_barrier_signal -1
	s_barrier_wait -1
	global_wb scope:SCOPE_DEV
	s_wait_storecnt 0x0
	global_inv scope:SCOPE_DEV
	s_and_saveexec_b32 s98, s3
	s_cbranch_execz .LBB61_902
; %bb.897:                              ;   in Loop: Header=BB61_3 Depth=1
	ds_load_b64 v[36:37], v49 offset:2048
	ds_load_b64 v[38:39], v50 offset:3616
	s_wait_dscnt 0x0
	v_dual_mul_f32 v40, v39, v37 :: v_dual_mul_f32 v37, v38, v37
	s_delay_alu instid0(VALU_DEP_1) | instskip(NEXT) | instid1(VALU_DEP_1)
	v_dual_fma_f32 v38, v38, v36, -v40 :: v_dual_fmac_f32 v37, v39, v36
	v_dual_add_f32 v36, 0, v38 :: v_dual_add_f32 v37, 0, v37
	s_and_saveexec_b32 s8, s12
	s_cbranch_execnz .LBB61_1048
; %bb.898:                              ;   in Loop: Header=BB61_3 Depth=1
	s_or_b32 exec_lo, exec_lo, s8
	s_and_saveexec_b32 s8, s13
	s_cbranch_execnz .LBB61_1049
.LBB61_899:                             ;   in Loop: Header=BB61_3 Depth=1
	s_or_b32 exec_lo, exec_lo, s8
	s_and_saveexec_b32 s8, s2
	s_cbranch_execz .LBB61_901
.LBB61_900:                             ;   in Loop: Header=BB61_3 Depth=1
	ds_load_b64 v[38:39], v46 offset:3584
	ds_load_b64 v[40:41], v7 offset:3640
	s_wait_dscnt 0x0
	v_pk_mul_f32 v[42:43], v[40:41], v[38:39] op_sel:[1,1] op_sel_hi:[0,1]
	s_delay_alu instid0(VALU_DEP_1) | instskip(SKIP_1) | instid1(VALU_DEP_2)
	v_pk_fma_f32 v[78:79], v[40:41], v[38:39], v[42:43] op_sel_hi:[1,0,1]
	v_pk_fma_f32 v[38:39], v[40:41], v[38:39], v[42:43] neg_lo:[0,0,1] neg_hi:[0,0,1]
	v_mov_b32_e32 v39, v79
	s_delay_alu instid0(VALU_DEP_1)
	v_pk_add_f32 v[36:37], v[36:37], v[38:39]
.LBB61_901:                             ;   in Loop: Header=BB61_3 Depth=1
	s_or_b32 exec_lo, exec_lo, s8
.LBB61_902:                             ;   in Loop: Header=BB61_3 Depth=1
	s_delay_alu instid0(SALU_CYCLE_1)
	s_or_b32 exec_lo, exec_lo, s98
	s_and_saveexec_b32 s8, s47
; %bb.903:                              ;   in Loop: Header=BB61_3 Depth=1
	s_delay_alu instid0(VALU_DEP_1)
	v_pk_add_f32 v[38:39], v[36:37], 0 neg_lo:[1,1] neg_hi:[1,1]
	ds_store_b64 v48, v[38:39]
; %bb.904:                              ;   in Loop: Header=BB61_3 Depth=1
	s_or_b32 exec_lo, exec_lo, s8
	s_wait_loadcnt_dscnt 0x0
	s_barrier_signal -1
	s_barrier_wait -1
	s_and_saveexec_b32 s8, s48
	s_cbranch_execz .LBB61_906
; %bb.905:                              ;   in Loop: Header=BB61_3 Depth=1
	ds_load_b64 v[38:39], v49 offset:1536
	ds_load_b64 v[40:41], v48
	s_wait_dscnt 0x0
	v_pk_mul_f32 v[42:43], v[40:41], v[38:39] op_sel:[1,1] op_sel_hi:[0,1]
	s_delay_alu instid0(VALU_DEP_1) | instskip(SKIP_1) | instid1(VALU_DEP_2)
	v_pk_fma_f32 v[78:79], v[40:41], v[38:39], v[42:43] op_sel_hi:[1,0,1]
	v_pk_fma_f32 v[38:39], v[40:41], v[38:39], v[42:43] neg_lo:[0,0,1] neg_hi:[0,0,1]
	v_mov_b32_e32 v39, v79
	s_delay_alu instid0(VALU_DEP_1)
	v_pk_add_f32 v[36:37], v[36:37], v[38:39] neg_lo:[0,1] neg_hi:[0,1]
.LBB61_906:                             ;   in Loop: Header=BB61_3 Depth=1
	s_or_b32 exec_lo, exec_lo, s8
	s_barrier_signal -1
	s_barrier_wait -1
	s_and_saveexec_b32 s8, s49
; %bb.907:                              ;   in Loop: Header=BB61_3 Depth=1
	v_pk_add_f32 v[38:39], v[36:37], 0 neg_lo:[1,1] neg_hi:[1,1]
	ds_store_b64 v48, v[38:39]
; %bb.908:                              ;   in Loop: Header=BB61_3 Depth=1
	s_or_b32 exec_lo, exec_lo, s8
	s_wait_dscnt 0x0
	s_barrier_signal -1
	s_barrier_wait -1
	s_and_saveexec_b32 s8, s50
	s_cbranch_execz .LBB61_910
; %bb.909:                              ;   in Loop: Header=BB61_3 Depth=1
	ds_load_b64 v[38:39], v49 offset:1024
	ds_load_b64 v[40:41], v48
	s_wait_dscnt 0x0
	v_pk_mul_f32 v[42:43], v[40:41], v[38:39] op_sel:[1,1] op_sel_hi:[0,1]
	s_delay_alu instid0(VALU_DEP_1) | instskip(SKIP_1) | instid1(VALU_DEP_2)
	v_pk_fma_f32 v[78:79], v[40:41], v[38:39], v[42:43] op_sel_hi:[1,0,1]
	v_pk_fma_f32 v[38:39], v[40:41], v[38:39], v[42:43] neg_lo:[0,0,1] neg_hi:[0,0,1]
	v_mov_b32_e32 v39, v79
	s_delay_alu instid0(VALU_DEP_1)
	v_pk_add_f32 v[36:37], v[36:37], v[38:39] neg_lo:[0,1] neg_hi:[0,1]
.LBB61_910:                             ;   in Loop: Header=BB61_3 Depth=1
	s_or_b32 exec_lo, exec_lo, s8
	s_barrier_signal -1
	s_barrier_wait -1
	s_and_saveexec_b32 s8, s51
; %bb.911:                              ;   in Loop: Header=BB61_3 Depth=1
	v_pk_add_f32 v[38:39], v[36:37], 0 neg_lo:[1,1] neg_hi:[1,1]
	ds_store_b64 v48, v[38:39]
; %bb.912:                              ;   in Loop: Header=BB61_3 Depth=1
	s_or_b32 exec_lo, exec_lo, s8
	s_wait_dscnt 0x0
	;; [unrolled: 26-line block ×3, first 2 shown]
	s_barrier_signal -1
	s_barrier_wait -1
	s_barrier_signal -1
	s_barrier_wait -1
	s_and_saveexec_b32 s8, s3
; %bb.917:                              ;   in Loop: Header=BB61_3 Depth=1
	ds_store_b64 v52, v[36:37] offset:3584
; %bb.918:                              ;   in Loop: Header=BB61_3 Depth=1
	s_or_b32 exec_lo, exec_lo, s8
	s_wait_dscnt 0x0
	s_barrier_signal -1
	s_barrier_wait -1
	s_barrier_signal -1
	s_barrier_wait -1
	s_and_saveexec_b32 s8, s10
; %bb.919:                              ;   in Loop: Header=BB61_3 Depth=1
	ds_store_2addr_b64 v7, v[34:35], v[34:35] offset0:130 offset1:195
; %bb.920:                              ;   in Loop: Header=BB61_3 Depth=1
	s_or_b32 exec_lo, exec_lo, s8
	v_dual_mov_b32 v36, 0 :: v_dual_mov_b32 v37, 0
	s_wait_dscnt 0x0
	s_barrier_signal -1
	s_barrier_wait -1
	global_wb scope:SCOPE_DEV
	s_wait_storecnt 0x0
	global_inv scope:SCOPE_DEV
	s_and_saveexec_b32 s8, s2
	s_cbranch_execz .LBB61_924
; %bb.921:                              ;   in Loop: Header=BB61_3 Depth=1
	ds_load_b64 v[36:37], v5 offset:1024
	ds_load_b64 v[38:39], v45 offset:1552
	s_wait_dscnt 0x0
	v_pk_mul_f32 v[40:41], v[38:39], v[36:37] op_sel:[1,1] op_sel_hi:[0,1]
	s_delay_alu instid0(VALU_DEP_1) | instskip(SKIP_1) | instid1(VALU_DEP_2)
	v_pk_fma_f32 v[42:43], v[38:39], v[36:37], v[40:41] op_sel_hi:[1,0,1]
	v_pk_fma_f32 v[36:37], v[38:39], v[36:37], v[40:41] neg_lo:[0,0,1] neg_hi:[0,0,1]
	v_mov_b32_e32 v37, v43
	s_delay_alu instid0(VALU_DEP_1)
	v_pk_add_f32 v[36:37], v[36:37], 0 op_sel_hi:[1,0]
	s_and_saveexec_b32 s64, s11
	s_cbranch_execz .LBB61_923
; %bb.922:                              ;   in Loop: Header=BB61_3 Depth=1
	ds_load_b64 v[38:39], v46 offset:1536
	ds_load_b64 v[40:41], v7 offset:1560
	s_wait_dscnt 0x0
	v_pk_mul_f32 v[42:43], v[40:41], v[38:39] op_sel:[1,1] op_sel_hi:[0,1]
	s_delay_alu instid0(VALU_DEP_1) | instskip(SKIP_1) | instid1(VALU_DEP_2)
	v_pk_fma_f32 v[78:79], v[40:41], v[38:39], v[42:43] op_sel_hi:[1,0,1]
	v_pk_fma_f32 v[38:39], v[40:41], v[38:39], v[42:43] neg_lo:[0,0,1] neg_hi:[0,0,1]
	v_mov_b32_e32 v39, v79
	s_delay_alu instid0(VALU_DEP_1)
	v_pk_add_f32 v[36:37], v[36:37], v[38:39]
.LBB61_923:                             ;   in Loop: Header=BB61_3 Depth=1
	s_or_b32 exec_lo, exec_lo, s64
.LBB61_924:                             ;   in Loop: Header=BB61_3 Depth=1
	s_delay_alu instid0(SALU_CYCLE_1)
	s_or_b32 exec_lo, exec_lo, s8
	s_and_saveexec_b32 s8, s45
; %bb.925:                              ;   in Loop: Header=BB61_3 Depth=1
	s_delay_alu instid0(VALU_DEP_1)
	v_pk_add_f32 v[38:39], v[36:37], 0 neg_lo:[1,1] neg_hi:[1,1]
	ds_store_b64 v44, v[38:39]
; %bb.926:                              ;   in Loop: Header=BB61_3 Depth=1
	s_or_b32 exec_lo, exec_lo, s8
	s_wait_loadcnt_dscnt 0x0
	s_barrier_signal -1
	s_barrier_wait -1
	s_and_saveexec_b32 s8, s46
	s_cbranch_execz .LBB61_928
; %bb.927:                              ;   in Loop: Header=BB61_3 Depth=1
	ds_load_b64 v[38:39], v7 offset:512
	ds_load_b64 v[40:41], v44
	s_wait_dscnt 0x0
	v_pk_mul_f32 v[42:43], v[40:41], v[38:39] op_sel_hi:[1,0]
	s_delay_alu instid0(VALU_DEP_1) | instskip(SKIP_1) | instid1(VALU_DEP_2)
	v_pk_fma_f32 v[78:79], v[40:41], v[38:39], v[42:43] op_sel:[1,1,0] op_sel_hi:[0,1,1]
	v_pk_fma_f32 v[38:39], v[40:41], v[38:39], v[42:43] op_sel:[1,1,0] op_sel_hi:[0,1,1] neg_lo:[0,0,1] neg_hi:[0,0,1]
	v_pk_add_f32 v[40:41], v[36:37], v[78:79] neg_lo:[0,1] neg_hi:[0,1]
	s_delay_alu instid0(VALU_DEP_2) | instskip(NEXT) | instid1(VALU_DEP_2)
	v_pk_add_f32 v[36:37], v[36:37], v[38:39]
	v_mov_b32_e32 v37, v41
.LBB61_928:                             ;   in Loop: Header=BB61_3 Depth=1
	s_or_b32 exec_lo, exec_lo, s8
	s_barrier_signal -1
	s_barrier_wait -1
	s_and_saveexec_b32 s8, s46
; %bb.929:                              ;   in Loop: Header=BB61_3 Depth=1
	v_pk_add_f32 v[38:39], v[36:37], 0 neg_lo:[1,1] neg_hi:[1,1]
	ds_store_b64 v44, v[38:39]
; %bb.930:                              ;   in Loop: Header=BB61_3 Depth=1
	s_or_b32 exec_lo, exec_lo, s8
	s_wait_dscnt 0x0
	s_barrier_signal -1
	s_barrier_wait -1
	s_barrier_signal -1
	s_barrier_wait -1
	s_and_saveexec_b32 s8, s2
; %bb.931:                              ;   in Loop: Header=BB61_3 Depth=1
	ds_store_b64 v47, v[36:37] offset:1536
; %bb.932:                              ;   in Loop: Header=BB61_3 Depth=1
	s_or_b32 exec_lo, exec_lo, s8
	s_wait_dscnt 0x0
	s_barrier_signal -1
	s_barrier_wait -1
	s_barrier_signal -1
	s_barrier_wait -1
	s_and_saveexec_b32 s8, s10
; %bb.933:                              ;   in Loop: Header=BB61_3 Depth=1
	ds_store_2addr_b64 v7, v[34:35], v[34:35] offset1:65
; %bb.934:                              ;   in Loop: Header=BB61_3 Depth=1
	s_or_b32 exec_lo, exec_lo, s8
.LBB61_935:                             ;   in Loop: Header=BB61_3 Depth=1
	v_mov_b64_e32 v[36:37], 0
	s_mul_u64 s[98:99], s[78:79], s[80:81]
	s_wait_dscnt 0x0
	s_lshl_b64 s[98:99], s[98:99], 3
	s_barrier_signal -1
	s_add_nc_u64 s[98:99], s[72:73], s[98:99]
	s_barrier_wait -1
	s_and_saveexec_b32 s8, s40
	s_cbranch_execz .LBB61_937
; %bb.936:                              ;   in Loop: Header=BB61_3 Depth=1
	v_lshl_add_u64 v[36:37], v[0:1], 3, s[98:99]
	v_readlane_b32 s64, v88, 24
	v_readlane_b32 s65, v88, 25
	global_load_b64 v[36:37], v[36:37], off
	v_mov_b64_e32 v[38:39], s[64:65]
	v_readlane_b32 s64, v88, 26
	v_readlane_b32 s65, v88, 27
	s_delay_alu instid0(VALU_DEP_1) | instskip(SKIP_1) | instid1(VALU_DEP_4)
	v_mov_b64_e32 v[40:41], s[64:65]
	s_wait_loadcnt 0x0
	v_pk_mul_f32 v[38:39], v[38:39], v[36:37]
	s_wait_xcnt 0x0
	s_delay_alu instid0(VALU_DEP_1)
	v_pk_fma_f32 v[36:37], v[40:41], v[36:37], v[38:39] op_sel:[0,0,1] op_sel_hi:[1,1,0] neg_lo:[1,0,0] neg_hi:[1,0,0]
.LBB61_937:                             ;   in Loop: Header=BB61_3 Depth=1
	s_or_b32 exec_lo, exec_lo, s8
	s_delay_alu instid0(SALU_CYCLE_1)
	s_and_not1_b32 vcc_lo, exec_lo, s41
	s_cbranch_vccnz .LBB61_956
; %bb.938:                              ;   in Loop: Header=BB61_3 Depth=1
	v_lshl_add_u64 v[38:39], v[8:9], 3, s[66:67]
	v_mov_b32_e32 v78, -1
	s_lshl_b64 s[100:101], s[80:81], 2
	s_mov_b32 s67, 0
	s_add_nc_u64 s[100:101], s[86:87], s[100:101]
	s_branch .LBB61_940
.LBB61_939:                             ;   in Loop: Header=BB61_940 Depth=2
	s_or_b32 exec_lo, exec_lo, s8
	s_add_co_i32 s67, s67, 1
	s_delay_alu instid0(SALU_CYCLE_1)
	s_cmp_eq_u32 s67, s103
	s_cbranch_scc1 .LBB61_956
.LBB61_940:                             ;   Parent Loop BB61_3 Depth=1
                                        ; =>  This Loop Header: Depth=2
                                        ;       Child Loop BB61_942 Depth 3
	v_cmp_gt_i32_e32 vcc_lo, s67, v78
	s_and_b32 s64, s31, vcc_lo
	s_delay_alu instid0(SALU_CYCLE_1)
	s_and_saveexec_b32 s8, s64
	s_cbranch_execz .LBB61_943
; %bb.941:                              ;   in Loop: Header=BB61_940 Depth=2
	global_load_b32 v78, v7, s[100:101]
	s_wait_loadcnt 0x0
	v_cmp_le_i32_e32 vcc_lo, s67, v78
	s_cbranch_vccnz .LBB61_943
.LBB61_942:                             ;   Parent Loop BB61_3 Depth=1
                                        ;     Parent Loop BB61_940 Depth=2
                                        ; =>    This Inner Loop Header: Depth=3
	global_wb scope:SCOPE_DEV
	s_wait_storecnt 0x0
	global_inv scope:SCOPE_DEV
	global_load_b32 v78, v7, s[100:101]
	s_wait_loadcnt 0x0
	v_cmp_gt_i32_e32 vcc_lo, s67, v78
	s_cbranch_vccnz .LBB61_942
.LBB61_943:                             ;   in Loop: Header=BB61_940 Depth=2
	s_wait_xcnt 0x0
	s_or_b32 exec_lo, exec_lo, s8
	s_sub_co_i32 s8, s104, s67
	global_wb scope:SCOPE_DEV
	s_wait_storecnt 0x0
	global_inv scope:SCOPE_DEV
	s_lshl_b32 s66, s8, 6
	s_wait_loadcnt 0x0
	s_barrier_signal -1
	s_barrier_wait -1
	s_and_saveexec_b32 s64, s33
	s_cbranch_execz .LBB61_948
; %bb.944:                              ;   in Loop: Header=BB61_940 Depth=2
	s_ashr_i32 vcc_lo, s66, 31
	s_delay_alu instid0(SALU_CYCLE_1) | instskip(NEXT) | instid1(VALU_DEP_1)
	v_dual_mov_b32 v41, vcc_lo :: v_dual_bitop2_b32 v40, s66, v6 bitop3:0x54
	v_cmp_le_i64_e32 vcc_lo, s[82:83], v[40:41]
	s_and_saveexec_b32 s65, vcc_lo
	s_delay_alu instid0(SALU_CYCLE_1)
	s_xor_b32 vcc_lo, exec_lo, s65
; %bb.945:                              ;   in Loop: Header=BB61_940 Depth=2
	ds_store_b64 v65, v[32:33]
                                        ; implicit-def: $vgpr40_vgpr41
; %bb.946:                              ;   in Loop: Header=BB61_940 Depth=2
	s_and_not1_saveexec_b32 s42, vcc_lo
	s_cbranch_execz .LBB61_948
; %bb.947:                              ;   in Loop: Header=BB61_940 Depth=2
	v_mul_u64_e32 v[40:41], s[76:77], v[40:41]
	s_delay_alu instid0(VALU_DEP_1)
	v_lshl_add_u64 v[40:41], v[40:41], 3, s[98:99]
	global_load_b64 v[40:41], v[40:41], off
	s_wait_loadcnt 0x0
	ds_store_b64 v65, v[40:41]
.LBB61_948:                             ;   in Loop: Header=BB61_940 Depth=2
	s_or_b32 exec_lo, exec_lo, s64
	v_add_nc_u32_e32 v40, s66, v2
	s_cmp_eq_u32 s8, s1
	s_wait_dscnt 0x0
	s_cselect_b32 vcc_lo, -1, 0
	s_barrier_signal -1
	v_ashrrev_i32_e32 v41, 31, v40
	v_cmp_gt_i32_e64 s66, s82, v40
	s_barrier_wait -1
	s_delay_alu instid0(VALU_DEP_2) | instskip(SKIP_1) | instid1(VALU_DEP_1)
	v_mul_u64_e32 v[42:43], s[68:69], v[40:41]
	s_and_b32 s42, s0, s66
	v_lshl_add_u64 v[42:43], v[42:43], 3, v[38:39]
	s_and_saveexec_b32 s8, s42
	s_cbranch_execz .LBB61_950
; %bb.949:                              ;   in Loop: Header=BB61_940 Depth=2
	s_delay_alu instid0(VALU_DEP_1) | instskip(SKIP_4) | instid1(VALU_DEP_1)
	v_dual_cndmask_b32 v81, v43, v23 :: v_dual_cndmask_b32 v80, v42, v22
	ds_load_b64 v[82:83], v66
	flat_load_b64 v[80:81], v[80:81]
	s_wait_loadcnt_dscnt 0x0
	v_dual_mul_f32 v41, v83, v81 :: v_dual_mul_f32 v79, v82, v81
	v_dual_fma_f32 v41, v82, v80, -v41 :: v_dual_fmac_f32 v79, v83, v80
	s_delay_alu instid0(VALU_DEP_1)
	v_dual_add_f32 v36, v36, v41 :: v_dual_add_f32 v37, v37, v79
.LBB61_950:                             ;   in Loop: Header=BB61_940 Depth=2
	s_or_b32 exec_lo, exec_lo, s8
	v_add_nc_u32_e32 v41, 16, v40
	s_delay_alu instid0(VALU_DEP_1) | instskip(SKIP_1) | instid1(SALU_CYCLE_1)
	v_cmp_gt_i32_e64 s66, s82, v41
	s_and_b32 s42, s0, s66
	s_and_saveexec_b32 s8, s42
	s_cbranch_execz .LBB61_952
; %bb.951:                              ;   in Loop: Header=BB61_940 Depth=2
	v_add_nc_u64_e32 v[80:81], s[92:93], v[42:43]
	ds_load_b64 v[82:83], v66 offset:128
	v_dual_cndmask_b32 v81, v81, v25 :: v_dual_cndmask_b32 v80, v80, v24
	flat_load_b64 v[80:81], v[80:81]
	s_wait_loadcnt_dscnt 0x0
	v_dual_mul_f32 v41, v83, v81 :: v_dual_mul_f32 v79, v82, v81
	s_delay_alu instid0(VALU_DEP_1) | instskip(NEXT) | instid1(VALU_DEP_1)
	v_dual_fma_f32 v41, v82, v80, -v41 :: v_dual_fmac_f32 v79, v83, v80
	v_dual_add_f32 v36, v36, v41 :: v_dual_add_f32 v37, v37, v79
.LBB61_952:                             ;   in Loop: Header=BB61_940 Depth=2
	s_or_b32 exec_lo, exec_lo, s8
	v_add_nc_u32_e32 v41, 32, v40
	s_delay_alu instid0(VALU_DEP_1) | instskip(SKIP_1) | instid1(SALU_CYCLE_1)
	v_cmp_gt_i32_e64 s66, s82, v41
	s_and_b32 s42, s0, s66
	s_and_saveexec_b32 s8, s42
	s_cbranch_execz .LBB61_954
; %bb.953:                              ;   in Loop: Header=BB61_940 Depth=2
	v_add_nc_u64_e32 v[80:81], s[94:95], v[42:43]
	ds_load_b64 v[82:83], v66 offset:256
	v_dual_cndmask_b32 v81, v81, v27 :: v_dual_cndmask_b32 v80, v80, v26
	flat_load_b64 v[80:81], v[80:81]
	s_wait_loadcnt_dscnt 0x0
	v_dual_mul_f32 v41, v83, v81 :: v_dual_mul_f32 v85, v82, v81
	s_delay_alu instid0(VALU_DEP_1) | instskip(NEXT) | instid1(VALU_DEP_2)
	v_fma_f32 v84, v82, v80, -v41
	v_fmac_f32_e32 v85, v83, v80
	s_delay_alu instid0(VALU_DEP_1)
	v_pk_add_f32 v[36:37], v[36:37], v[84:85]
.LBB61_954:                             ;   in Loop: Header=BB61_940 Depth=2
	s_or_b32 exec_lo, exec_lo, s8
	v_add_nc_u32_e32 v40, 48, v40
	s_delay_alu instid0(VALU_DEP_1) | instskip(SKIP_1) | instid1(SALU_CYCLE_1)
	v_cmp_gt_i32_e64 s66, s82, v40
	s_and_b32 s42, s0, s66
	s_and_saveexec_b32 s8, s42
	s_cbranch_execz .LBB61_939
; %bb.955:                              ;   in Loop: Header=BB61_940 Depth=2
	v_add_nc_u64_e32 v[40:41], s[96:97], v[42:43]
	ds_load_b64 v[42:43], v66 offset:384
	v_dual_cndmask_b32 v41, v41, v29 :: v_dual_cndmask_b32 v40, v40, v28
	flat_load_b64 v[40:41], v[40:41]
	s_wait_loadcnt_dscnt 0x0
	v_pk_mul_f32 v[80:81], v[42:43], v[40:41] op_sel:[1,1] op_sel_hi:[0,1]
	s_delay_alu instid0(VALU_DEP_1) | instskip(SKIP_1) | instid1(VALU_DEP_2)
	v_pk_fma_f32 v[82:83], v[42:43], v[40:41], v[80:81] op_sel_hi:[1,0,1]
	v_pk_fma_f32 v[40:41], v[42:43], v[40:41], v[80:81] neg_lo:[0,0,1] neg_hi:[0,0,1]
	v_mov_b32_e32 v41, v83
	s_delay_alu instid0(VALU_DEP_1)
	v_pk_add_f32 v[36:37], v[36:37], v[40:41]
	s_branch .LBB61_939
.LBB61_956:                             ;   in Loop: Header=BB61_3 Depth=1
	ds_store_b64 v67, v[36:37]
	s_wait_dscnt 0x0
	s_barrier_signal -1
	s_barrier_wait -1
	s_and_saveexec_b32 s8, s6
	s_cbranch_execz .LBB61_958
; %bb.957:                              ;   in Loop: Header=BB61_3 Depth=1
	ds_load_2addr_stride64_b64 v[38:41], v68 offset0:1 offset1:2
	ds_load_2addr_stride64_b64 v[78:81], v68 offset0:3 offset1:4
	;; [unrolled: 1-line block ×3, first 2 shown]
	s_wait_dscnt 0x2
	v_pk_add_f32 v[36:37], v[36:37], v[38:39]
	s_delay_alu instid0(VALU_DEP_1) | instskip(SKIP_3) | instid1(VALU_DEP_1)
	v_pk_add_f32 v[40:41], v[36:37], v[40:41]
	ds_load_2addr_stride64_b64 v[36:39], v68 offset0:7 offset1:8
	s_wait_dscnt 0x2
	v_pk_add_f32 v[40:41], v[40:41], v[78:79]
	v_pk_add_f32 v[78:79], v[40:41], v[80:81]
	ds_load_2addr_stride64_b64 v[40:43], v68 offset0:9 offset1:10
	s_wait_dscnt 0x2
	v_pk_add_f32 v[78:79], v[78:79], v[82:83]
	s_delay_alu instid0(VALU_DEP_1) | instskip(SKIP_3) | instid1(VALU_DEP_1)
	v_pk_add_f32 v[82:83], v[78:79], v[84:85]
	ds_load_2addr_stride64_b64 v[78:81], v68 offset0:11 offset1:12
	s_wait_dscnt 0x2
	v_pk_add_f32 v[36:37], v[82:83], v[36:37]
	v_pk_add_f32 v[82:83], v[36:37], v[38:39]
	ds_load_2addr_stride64_b64 v[36:39], v68 offset0:13 offset1:14
	s_wait_dscnt 0x2
	v_pk_add_f32 v[40:41], v[82:83], v[40:41]
	s_delay_alu instid0(VALU_DEP_1) | instskip(SKIP_3) | instid1(VALU_DEP_1)
	v_pk_add_f32 v[40:41], v[40:41], v[42:43]
	ds_load_b64 v[42:43], v68 offset:7680
	s_wait_dscnt 0x2
	v_pk_add_f32 v[40:41], v[40:41], v[78:79]
	v_pk_add_f32 v[40:41], v[40:41], v[80:81]
	s_wait_dscnt 0x1
	s_delay_alu instid0(VALU_DEP_1) | instskip(NEXT) | instid1(VALU_DEP_1)
	v_pk_add_f32 v[36:37], v[40:41], v[36:37]
	v_pk_add_f32 v[36:37], v[36:37], v[38:39]
	s_wait_dscnt 0x0
	s_delay_alu instid0(VALU_DEP_1) | instskip(NEXT) | instid1(VALU_DEP_1)
	v_pk_add_f32 v[36:37], v[36:37], v[42:43]
	v_cndmask_b32_e64 v37, -v37, 0, s36
	s_delay_alu instid0(VALU_DEP_2)
	v_cndmask_b32_e64 v36, -v36, 0, s36
.LBB61_958:                             ;   in Loop: Header=BB61_3 Depth=1
	s_or_b32 exec_lo, exec_lo, s8
	s_delay_alu instid0(SALU_CYCLE_1)
	s_and_not1_b32 vcc_lo, exec_lo, s44
	s_cbranch_vccnz .LBB61_971
; %bb.959:                              ;   in Loop: Header=BB61_3 Depth=1
	s_and_saveexec_b32 s8, s6
; %bb.960:                              ;   in Loop: Header=BB61_3 Depth=1
	ds_store_b64 v70, v[36:37]
; %bb.961:                              ;   in Loop: Header=BB61_3 Depth=1
	s_or_b32 exec_lo, exec_lo, s8
	v_mov_b64_e32 v[38:39], 0
	s_wait_dscnt 0x0
	s_barrier_signal -1
	s_barrier_wait -1
	s_mov_b32 s8, exec_lo
	v_readlane_b32 s42, v87, 7
	s_and_b32 s42, s8, s42
	s_delay_alu instid0(SALU_CYCLE_1)
	s_mov_b32 exec_lo, s42
	s_cbranch_execz .LBB61_963
; %bb.962:                              ;   in Loop: Header=BB61_3 Depth=1
	ds_load_b64 v[38:39], v69
	ds_load_b64 v[40:41], v66
	s_wait_dscnt 0x0
	v_dual_mul_f32 v42, v41, v39 :: v_dual_mul_f32 v39, v40, v39
	s_delay_alu instid0(VALU_DEP_1) | instskip(NEXT) | instid1(VALU_DEP_1)
	v_dual_fma_f32 v40, v40, v38, -v42 :: v_dual_fmac_f32 v39, v41, v38
	v_dual_add_f32 v38, 0, v40 :: v_dual_add_f32 v39, 0, v39
.LBB61_963:                             ;   in Loop: Header=BB61_3 Depth=1
	s_or_b32 exec_lo, exec_lo, s8
	s_delay_alu instid0(SALU_CYCLE_1) | instskip(SKIP_2) | instid1(SALU_CYCLE_1)
	s_mov_b32 s8, exec_lo
	v_readlane_b32 s42, v87, 8
	s_and_b32 s42, s8, s42
	s_mov_b32 exec_lo, s42
	s_cbranch_execz .LBB61_965
; %bb.964:                              ;   in Loop: Header=BB61_3 Depth=1
	ds_load_b64 v[40:41], v69 offset:8192
	ds_load_b64 v[42:43], v66 offset:128
	s_wait_dscnt 0x0
	v_dual_mul_f32 v78, v43, v41 :: v_dual_mul_f32 v79, v42, v41
	s_delay_alu instid0(VALU_DEP_1) | instskip(NEXT) | instid1(VALU_DEP_1)
	v_dual_fma_f32 v78, v42, v40, -v78 :: v_dual_fmac_f32 v79, v43, v40
	v_pk_add_f32 v[38:39], v[38:39], v[78:79]
.LBB61_965:                             ;   in Loop: Header=BB61_3 Depth=1
	s_or_b32 exec_lo, exec_lo, s8
	s_delay_alu instid0(SALU_CYCLE_1) | instskip(SKIP_2) | instid1(SALU_CYCLE_1)
	s_mov_b32 s8, exec_lo
	v_readlane_b32 s42, v87, 9
	s_and_b32 s42, s8, s42
	s_mov_b32 exec_lo, s42
	s_cbranch_execz .LBB61_967
; %bb.966:                              ;   in Loop: Header=BB61_3 Depth=1
	ds_load_b64 v[40:41], v69 offset:16384
	ds_load_b64 v[42:43], v66 offset:256
	s_wait_dscnt 0x0
	v_pk_mul_f32 v[78:79], v[42:43], v[40:41] op_sel:[1,1] op_sel_hi:[0,1]
	s_delay_alu instid0(VALU_DEP_1) | instskip(SKIP_1) | instid1(VALU_DEP_2)
	v_pk_fma_f32 v[80:81], v[42:43], v[40:41], v[78:79] op_sel_hi:[1,0,1]
	v_pk_fma_f32 v[40:41], v[42:43], v[40:41], v[78:79] neg_lo:[0,0,1] neg_hi:[0,0,1]
	v_mov_b32_e32 v41, v81
	s_delay_alu instid0(VALU_DEP_1)
	v_pk_add_f32 v[38:39], v[38:39], v[40:41]
.LBB61_967:                             ;   in Loop: Header=BB61_3 Depth=1
	s_or_b32 exec_lo, exec_lo, s8
	s_delay_alu instid0(SALU_CYCLE_1) | instskip(SKIP_2) | instid1(SALU_CYCLE_1)
	s_mov_b32 s8, exec_lo
	v_readlane_b32 s42, v87, 10
	s_and_b32 s42, s8, s42
	s_mov_b32 exec_lo, s42
	s_cbranch_execz .LBB61_969
; %bb.968:                              ;   in Loop: Header=BB61_3 Depth=1
	ds_load_b64 v[40:41], v69 offset:24576
	ds_load_b64 v[42:43], v66 offset:384
	s_wait_dscnt 0x0
	v_pk_mul_f32 v[78:79], v[42:43], v[40:41] op_sel:[1,1] op_sel_hi:[0,1]
	s_delay_alu instid0(VALU_DEP_1) | instskip(SKIP_1) | instid1(VALU_DEP_2)
	v_pk_fma_f32 v[80:81], v[42:43], v[40:41], v[78:79] op_sel_hi:[1,0,1]
	v_pk_fma_f32 v[40:41], v[42:43], v[40:41], v[78:79] neg_lo:[0,0,1] neg_hi:[0,0,1]
	v_mov_b32_e32 v41, v81
	s_delay_alu instid0(VALU_DEP_1)
	v_pk_add_f32 v[38:39], v[38:39], v[40:41]
.LBB61_969:                             ;   in Loop: Header=BB61_3 Depth=1
	s_or_b32 exec_lo, exec_lo, s8
	s_mov_b32 s67, 0
	s_mov_b32 s66, 0
	ds_store_b64 v67, v[38:39]
	s_wait_dscnt 0x0
	s_barrier_signal -1
	s_barrier_wait -1
                                        ; implicit-def: $vgpr40_vgpr41
	s_and_saveexec_b32 s8, s6
	s_cbranch_execz .LBB61_996
; %bb.970:                              ;   in Loop: Header=BB61_3 Depth=1
	ds_load_2addr_stride64_b64 v[40:43], v68 offset0:1 offset1:2
	ds_load_2addr_stride64_b64 v[78:81], v68 offset0:3 offset1:4
	ds_load_2addr_stride64_b64 v[82:85], v68 offset0:5 offset1:6
	s_mov_b32 s66, exec_lo
	s_wait_dscnt 0x2
	v_pk_add_f32 v[38:39], v[38:39], v[40:41]
	s_delay_alu instid0(VALU_DEP_1) | instskip(SKIP_3) | instid1(VALU_DEP_1)
	v_pk_add_f32 v[42:43], v[38:39], v[42:43]
	ds_load_2addr_stride64_b64 v[38:41], v68 offset0:7 offset1:8
	s_wait_dscnt 0x2
	v_pk_add_f32 v[42:43], v[42:43], v[78:79]
	v_pk_add_f32 v[42:43], v[42:43], v[80:81]
	ds_load_2addr_stride64_b64 v[78:81], v68 offset0:9 offset1:10
	s_wait_dscnt 0x2
	v_pk_add_f32 v[42:43], v[42:43], v[82:83]
	s_delay_alu instid0(VALU_DEP_1) | instskip(SKIP_3) | instid1(VALU_DEP_1)
	v_pk_add_f32 v[42:43], v[42:43], v[84:85]
	ds_load_2addr_stride64_b64 v[82:85], v68 offset0:11 offset1:12
	s_wait_dscnt 0x2
	v_pk_add_f32 v[38:39], v[42:43], v[38:39]
	v_pk_add_f32 v[38:39], v[38:39], v[40:41]
	s_wait_dscnt 0x1
	s_delay_alu instid0(VALU_DEP_1) | instskip(SKIP_4) | instid1(VALU_DEP_1)
	v_pk_add_f32 v[42:43], v[38:39], v[78:79]
	ds_load_2addr_stride64_b64 v[38:41], v68 offset0:13 offset1:14
	ds_load_b64 v[78:79], v68 offset:7680
	v_pk_add_f32 v[42:43], v[42:43], v[80:81]
	s_wait_dscnt 0x2
	v_pk_add_f32 v[42:43], v[42:43], v[82:83]
	s_delay_alu instid0(VALU_DEP_1) | instskip(SKIP_1) | instid1(VALU_DEP_1)
	v_pk_add_f32 v[42:43], v[42:43], v[84:85]
	s_wait_dscnt 0x1
	v_pk_add_f32 v[38:39], v[42:43], v[38:39]
	s_delay_alu instid0(VALU_DEP_1) | instskip(SKIP_1) | instid1(VALU_DEP_1)
	v_pk_add_f32 v[38:39], v[38:39], v[40:41]
	s_wait_dscnt 0x0
	v_pk_add_f32 v[40:41], v[38:39], v[78:79]
	s_or_b32 exec_lo, exec_lo, s8
	s_delay_alu instid0(SALU_CYCLE_1)
	s_and_b32 vcc_lo, exec_lo, s67
	s_cbranch_vccnz .LBB61_972
	s_branch .LBB61_997
.LBB61_971:                             ;   in Loop: Header=BB61_3 Depth=1
	s_mov_b32 s66, 0
                                        ; implicit-def: $vgpr40_vgpr41
	s_cbranch_execz .LBB61_997
.LBB61_972:                             ;   in Loop: Header=BB61_3 Depth=1
	v_dual_mov_b32 v38, v76 :: v_dual_mov_b32 v39, v75
	s_mov_b32 s67, 63
	s_branch .LBB61_974
.LBB61_973:                             ;   in Loop: Header=BB61_974 Depth=2
	s_or_b32 exec_lo, exec_lo, s64
	v_add_nc_u32_e32 v39, 0xfffff800, v39
	v_add_nc_u32_e32 v38, 4, v38
	s_add_co_i32 s67, s67, -4
	s_cmp_lg_u32 s8, 0
	s_barrier_signal -1
	s_barrier_wait -1
	s_cbranch_scc0 .LBB61_990
.LBB61_974:                             ;   Parent Loop BB61_3 Depth=1
                                        ; =>  This Inner Loop Header: Depth=2
	s_delay_alu instid0(VALU_DEP_1) | instskip(SKIP_1) | instid1(SALU_CYCLE_1)
	v_cmp_eq_u32_e32 vcc_lo, 0, v38
	s_and_b32 s42, s6, vcc_lo
	s_and_saveexec_b32 s8, s42
; %bb.975:                              ;   in Loop: Header=BB61_974 Depth=2
	ds_store_b64 v7, v[36:37] offset:41472
; %bb.976:                              ;   in Loop: Header=BB61_974 Depth=2
	s_or_b32 exec_lo, exec_lo, s8
	v_cmp_gt_u32_e32 vcc_lo, s67, v4
	s_wait_dscnt 0x0
	s_barrier_signal -1
	s_barrier_wait -1
	s_and_b32 s42, s6, vcc_lo
	s_delay_alu instid0(SALU_CYCLE_1)
	s_and_saveexec_b32 s8, s42
	s_cbranch_execz .LBB61_978
; %bb.977:                              ;   in Loop: Header=BB61_974 Depth=2
	ds_load_b64 v[40:41], v39 offset:1536
	ds_load_b64 v[42:43], v7 offset:41472
	s_wait_dscnt 0x0
	v_pk_mul_f32 v[78:79], v[42:43], v[40:41] op_sel:[1,1] op_sel_hi:[0,1]
	s_delay_alu instid0(VALU_DEP_1) | instskip(SKIP_1) | instid1(VALU_DEP_2)
	v_pk_fma_f32 v[80:81], v[42:43], v[40:41], v[78:79] op_sel_hi:[1,0,1]
	v_pk_fma_f32 v[40:41], v[42:43], v[40:41], v[78:79] neg_lo:[0,0,1] neg_hi:[0,0,1]
	v_mov_b32_e32 v41, v81
	s_delay_alu instid0(VALU_DEP_1)
	v_pk_add_f32 v[36:37], v[36:37], v[40:41]
.LBB61_978:                             ;   in Loop: Header=BB61_974 Depth=2
	s_or_b32 exec_lo, exec_lo, s8
	s_add_co_i32 s8, s67, -1
	s_delay_alu instid0(SALU_CYCLE_1) | instskip(SKIP_3) | instid1(SALU_CYCLE_1)
	v_cmp_eq_u32_e32 vcc_lo, s8, v4
	s_barrier_signal -1
	s_barrier_wait -1
	s_and_b32 s42, s6, vcc_lo
	s_and_saveexec_b32 s64, s42
; %bb.979:                              ;   in Loop: Header=BB61_974 Depth=2
	ds_store_b64 v7, v[36:37] offset:41472
; %bb.980:                              ;   in Loop: Header=BB61_974 Depth=2
	s_or_b32 exec_lo, exec_lo, s64
	v_cmp_gt_u32_e32 vcc_lo, s8, v4
	s_wait_dscnt 0x0
	s_barrier_signal -1
	s_barrier_wait -1
	s_and_b32 s42, s6, vcc_lo
	s_delay_alu instid0(SALU_CYCLE_1)
	s_and_saveexec_b32 s8, s42
	s_cbranch_execz .LBB61_982
; %bb.981:                              ;   in Loop: Header=BB61_974 Depth=2
	ds_load_b64 v[40:41], v39 offset:1024
	ds_load_b64 v[42:43], v7 offset:41472
	s_wait_dscnt 0x0
	v_pk_mul_f32 v[78:79], v[42:43], v[40:41] op_sel:[1,1] op_sel_hi:[0,1]
	s_delay_alu instid0(VALU_DEP_1) | instskip(SKIP_1) | instid1(VALU_DEP_2)
	v_pk_fma_f32 v[80:81], v[42:43], v[40:41], v[78:79] op_sel_hi:[1,0,1]
	v_pk_fma_f32 v[40:41], v[42:43], v[40:41], v[78:79] neg_lo:[0,0,1] neg_hi:[0,0,1]
	v_mov_b32_e32 v41, v81
	s_delay_alu instid0(VALU_DEP_1)
	v_pk_add_f32 v[36:37], v[36:37], v[40:41]
.LBB61_982:                             ;   in Loop: Header=BB61_974 Depth=2
	s_or_b32 exec_lo, exec_lo, s8
	s_add_co_i32 s8, s67, -2
	s_delay_alu instid0(SALU_CYCLE_1) | instskip(SKIP_3) | instid1(SALU_CYCLE_1)
	v_cmp_eq_u32_e32 vcc_lo, s8, v4
	s_barrier_signal -1
	s_barrier_wait -1
	;; [unrolled: 32-line block ×3, first 2 shown]
	s_and_b32 s42, s6, vcc_lo
	s_and_saveexec_b32 s64, s42
; %bb.987:                              ;   in Loop: Header=BB61_974 Depth=2
	ds_store_b64 v7, v[36:37] offset:41472
; %bb.988:                              ;   in Loop: Header=BB61_974 Depth=2
	s_or_b32 exec_lo, exec_lo, s64
	v_cmp_gt_u32_e32 vcc_lo, s8, v4
	s_wait_dscnt 0x0
	s_barrier_signal -1
	s_barrier_wait -1
	s_and_b32 s42, s6, vcc_lo
	s_delay_alu instid0(SALU_CYCLE_1)
	s_and_saveexec_b32 s64, s42
	s_cbranch_execz .LBB61_973
; %bb.989:                              ;   in Loop: Header=BB61_974 Depth=2
	ds_load_b64 v[40:41], v39
	ds_load_b64 v[42:43], v7 offset:41472
	s_wait_dscnt 0x0
	v_pk_mul_f32 v[78:79], v[42:43], v[40:41] op_sel:[1,1] op_sel_hi:[0,1]
	s_delay_alu instid0(VALU_DEP_1) | instskip(SKIP_1) | instid1(VALU_DEP_2)
	v_pk_fma_f32 v[80:81], v[42:43], v[40:41], v[78:79] op_sel_hi:[1,0,1]
	v_pk_fma_f32 v[40:41], v[42:43], v[40:41], v[78:79] neg_lo:[0,0,1] neg_hi:[0,0,1]
	v_mov_b32_e32 v41, v81
	s_delay_alu instid0(VALU_DEP_1)
	v_pk_add_f32 v[36:37], v[36:37], v[40:41]
	s_branch .LBB61_973
.LBB61_990:                             ;   in Loop: Header=BB61_3 Depth=1
	s_and_b32 vcc_lo, exec_lo, vcc_hi
	s_mov_b32 s8, -1
	s_cbranch_vccnz .LBB61_998
; %bb.991:                              ;   in Loop: Header=BB61_3 Depth=1
	s_and_not1_b32 vcc_lo, exec_lo, s8
	s_cbranch_vccz .LBB61_999
.LBB61_992:                             ;   in Loop: Header=BB61_3 Depth=1
	s_and_saveexec_b32 s8, s66
	s_cbranch_execz .LBB61_994
.LBB61_993:                             ;   in Loop: Header=BB61_3 Depth=1
	v_lshl_add_u64 v[38:39], v[12:13], 3, s[98:99]
	global_store_b64 v[38:39], v[36:37], off
.LBB61_994:                             ;   in Loop: Header=BB61_3 Depth=1
	s_wait_xcnt 0x0
	s_or_b32 exec_lo, exec_lo, s8
	global_wb scope:SCOPE_DEV
	s_wait_storecnt 0x0
	global_inv scope:SCOPE_DEV
	s_wait_loadcnt 0x0
	s_barrier_signal -1
	s_barrier_wait -1
	s_and_saveexec_b32 s8, s31
	s_cbranch_execz .LBB61_2
; %bb.995:                              ;   in Loop: Header=BB61_3 Depth=1
	s_lshl_b64 s[66:67], s[80:81], 2
	s_delay_alu instid0(SALU_CYCLE_1)
	s_add_nc_u64 s[66:67], s[86:87], s[66:67]
	global_load_b32 v36, v7, s[66:67]
	s_wait_loadcnt 0x0
	v_add_nc_u32_e32 v36, 1, v36
	global_store_b32 v7, v36, s[66:67]
	s_branch .LBB61_2
.LBB61_996:                             ;   in Loop: Header=BB61_3 Depth=1
	s_or_b32 exec_lo, exec_lo, s8
	s_delay_alu instid0(SALU_CYCLE_1)
	s_and_b32 vcc_lo, exec_lo, s67
	s_cbranch_vccnz .LBB61_972
.LBB61_997:                             ;   in Loop: Header=BB61_3 Depth=1
	v_mov_b64_e32 v[36:37], v[40:41]
	s_and_saveexec_b32 s8, s66
	s_cbranch_execnz .LBB61_993
	s_branch .LBB61_994
.LBB61_998:                             ;   in Loop: Header=BB61_3 Depth=1
	s_and_not1_b32 s42, s66, exec_lo
	s_and_b32 s64, s6, exec_lo
	s_delay_alu instid0(SALU_CYCLE_1)
	s_or_b32 s66, s42, s64
	s_cbranch_execnz .LBB61_992
.LBB61_999:                             ;   in Loop: Header=BB61_3 Depth=1
	v_readlane_b32 s42, v88, 12
	s_and_not1_b32 s8, s66, exec_lo
	s_and_b32 s42, s42, exec_lo
	s_delay_alu instid0(SALU_CYCLE_1) | instskip(NEXT) | instid1(SALU_CYCLE_1)
	s_or_b32 s66, s8, s42
	s_and_saveexec_b32 s8, s66
	s_cbranch_execnz .LBB61_993
	s_branch .LBB61_994
.LBB61_1000:                            ;   in Loop: Header=BB61_3 Depth=1
	ds_load_b64 v[38:39], v49 offset:31680
	ds_load_b64 v[40:41], v50 offset:32744
	s_wait_dscnt 0x0
	v_dual_mul_f32 v42, v41, v39 :: v_dual_mul_f32 v39, v40, v39
	s_delay_alu instid0(VALU_DEP_1) | instskip(NEXT) | instid1(VALU_DEP_1)
	v_dual_fma_f32 v40, v40, v38, -v42 :: v_dual_fmac_f32 v39, v41, v38
	v_dual_add_f32 v36, v36, v40 :: v_dual_add_f32 v37, v37, v39
	s_or_b32 exec_lo, exec_lo, s8
	s_and_saveexec_b32 s8, s13
	s_cbranch_execz .LBB61_87
.LBB61_1001:                            ;   in Loop: Header=BB61_3 Depth=1
	ds_load_b64 v[38:39], v49 offset:32192
	ds_load_b64 v[40:41], v50 offset:32752
	s_wait_dscnt 0x0
	v_dual_mul_f32 v42, v41, v39 :: v_dual_mul_f32 v43, v40, v39
	s_delay_alu instid0(VALU_DEP_1) | instskip(NEXT) | instid1(VALU_DEP_1)
	v_dual_fma_f32 v42, v40, v38, -v42 :: v_dual_fmac_f32 v43, v41, v38
	v_pk_add_f32 v[36:37], v[36:37], v[42:43]
	s_or_b32 exec_lo, exec_lo, s8
	s_and_saveexec_b32 s8, s2
	s_cbranch_execnz .LBB61_88
	s_branch .LBB61_89
.LBB61_1002:                            ;   in Loop: Header=BB61_3 Depth=1
	ds_load_b64 v[38:39], v51 offset:29568
	ds_load_b64 v[40:41], v54 offset:32712
	s_wait_dscnt 0x0
	v_dual_mul_f32 v42, v41, v39 :: v_dual_mul_f32 v39, v40, v39
	s_delay_alu instid0(VALU_DEP_1) | instskip(NEXT) | instid1(VALU_DEP_1)
	v_dual_fma_f32 v40, v40, v38, -v42 :: v_dual_fmac_f32 v39, v41, v38
	v_dual_add_f32 v36, v36, v40 :: v_dual_add_f32 v37, v37, v39
	s_or_b32 exec_lo, exec_lo, s8
	s_and_saveexec_b32 s8, s15
	s_cbranch_execz .LBB61_125
.LBB61_1003:                            ;   in Loop: Header=BB61_3 Depth=1
	ds_load_b64 v[38:39], v51 offset:30080
	ds_load_b64 v[40:41], v54 offset:32720
	s_wait_dscnt 0x0
	v_dual_mul_f32 v42, v41, v39 :: v_dual_mul_f32 v39, v40, v39
	s_delay_alu instid0(VALU_DEP_1) | instskip(NEXT) | instid1(VALU_DEP_1)
	v_dual_fma_f32 v40, v40, v38, -v42 :: v_dual_fmac_f32 v39, v41, v38
	v_dual_add_f32 v36, v36, v40 :: v_dual_add_f32 v37, v37, v39
	s_or_b32 exec_lo, exec_lo, s8
	s_and_saveexec_b32 s8, s16
	s_cbranch_execz .LBB61_126
.LBB61_1004:                            ;   in Loop: Header=BB61_3 Depth=1
	ds_load_b64 v[38:39], v51 offset:30592
	ds_load_b64 v[40:41], v54 offset:32728
	s_wait_dscnt 0x0
	v_dual_mul_f32 v42, v41, v39 :: v_dual_mul_f32 v39, v40, v39
	s_delay_alu instid0(VALU_DEP_1) | instskip(NEXT) | instid1(VALU_DEP_1)
	v_dual_fma_f32 v40, v40, v38, -v42 :: v_dual_fmac_f32 v39, v41, v38
	v_dual_add_f32 v36, v36, v40 :: v_dual_add_f32 v37, v37, v39
	s_or_b32 exec_lo, exec_lo, s8
	s_and_saveexec_b32 s8, s17
	s_cbranch_execz .LBB61_127
.LBB61_1005:                            ;   in Loop: Header=BB61_3 Depth=1
	ds_load_b64 v[38:39], v51 offset:31104
	ds_load_b64 v[40:41], v54 offset:32736
	s_wait_dscnt 0x0
	v_dual_mul_f32 v42, v41, v39 :: v_dual_mul_f32 v43, v40, v39
	s_delay_alu instid0(VALU_DEP_1) | instskip(NEXT) | instid1(VALU_DEP_1)
	v_dual_fma_f32 v42, v40, v38, -v42 :: v_dual_fmac_f32 v43, v41, v38
	v_pk_add_f32 v[36:37], v[36:37], v[42:43]
	s_or_b32 exec_lo, exec_lo, s8
	s_and_saveexec_b32 s8, s18
	s_cbranch_execz .LBB61_128
.LBB61_1006:                            ;   in Loop: Header=BB61_3 Depth=1
	ds_load_b64 v[38:39], v51 offset:31616
	ds_load_b64 v[40:41], v54 offset:32744
	s_wait_dscnt 0x0
	v_pk_mul_f32 v[42:43], v[40:41], v[38:39] op_sel:[1,1] op_sel_hi:[0,1]
	s_delay_alu instid0(VALU_DEP_1) | instskip(SKIP_1) | instid1(VALU_DEP_2)
	v_pk_fma_f32 v[78:79], v[40:41], v[38:39], v[42:43] op_sel_hi:[1,0,1]
	v_pk_fma_f32 v[38:39], v[40:41], v[38:39], v[42:43] neg_lo:[0,0,1] neg_hi:[0,0,1]
	v_mov_b32_e32 v39, v79
	s_delay_alu instid0(VALU_DEP_1)
	v_pk_add_f32 v[36:37], v[36:37], v[38:39]
	s_or_b32 exec_lo, exec_lo, s8
	s_and_saveexec_b32 s8, s3
	s_cbranch_execz .LBB61_129
.LBB61_1007:                            ;   in Loop: Header=BB61_3 Depth=1
	ds_load_b64 v[38:39], v51 offset:32128
	ds_load_b64 v[40:41], v54 offset:32752
	s_wait_dscnt 0x0
	v_pk_mul_f32 v[42:43], v[40:41], v[38:39] op_sel:[1,1] op_sel_hi:[0,1]
	s_delay_alu instid0(VALU_DEP_1) | instskip(SKIP_1) | instid1(VALU_DEP_2)
	v_pk_fma_f32 v[78:79], v[40:41], v[38:39], v[42:43] op_sel_hi:[1,0,1]
	v_pk_fma_f32 v[38:39], v[40:41], v[38:39], v[42:43] neg_lo:[0,0,1] neg_hi:[0,0,1]
	v_mov_b32_e32 v39, v79
	s_delay_alu instid0(VALU_DEP_1)
	v_pk_add_f32 v[36:37], v[36:37], v[38:39]
	s_or_b32 exec_lo, exec_lo, s8
	s_and_saveexec_b32 s8, s13
	s_cbranch_execnz .LBB61_130
	s_branch .LBB61_131
.LBB61_1008:                            ;   in Loop: Header=BB61_3 Depth=1
	ds_load_b64 v[38:39], v49 offset:27520
	ds_load_b64 v[40:41], v50 offset:28584
	s_wait_dscnt 0x0
	v_dual_mul_f32 v42, v41, v39 :: v_dual_mul_f32 v39, v40, v39
	s_delay_alu instid0(VALU_DEP_1) | instskip(NEXT) | instid1(VALU_DEP_1)
	v_dual_fma_f32 v40, v40, v38, -v42 :: v_dual_fmac_f32 v39, v41, v38
	v_dual_add_f32 v36, v36, v40 :: v_dual_add_f32 v37, v37, v39
	s_or_b32 exec_lo, exec_lo, s8
	s_and_saveexec_b32 s8, s13
	s_cbranch_execz .LBB61_183
.LBB61_1009:                            ;   in Loop: Header=BB61_3 Depth=1
	ds_load_b64 v[38:39], v49 offset:28032
	ds_load_b64 v[40:41], v50 offset:28592
	s_wait_dscnt 0x0
	v_dual_mul_f32 v42, v41, v39 :: v_dual_mul_f32 v43, v40, v39
	s_delay_alu instid0(VALU_DEP_1) | instskip(NEXT) | instid1(VALU_DEP_1)
	v_dual_fma_f32 v42, v40, v38, -v42 :: v_dual_fmac_f32 v43, v41, v38
	v_pk_add_f32 v[36:37], v[36:37], v[42:43]
	s_or_b32 exec_lo, exec_lo, s8
	s_and_saveexec_b32 s8, s2
	s_cbranch_execnz .LBB61_184
	s_branch .LBB61_185
.LBB61_1010:                            ;   in Loop: Header=BB61_3 Depth=1
	ds_load_b64 v[38:39], v57 offset:30464
	ds_load_b64 v[40:41], v60 offset:32728
	s_wait_dscnt 0x0
	v_dual_mul_f32 v42, v41, v39 :: v_dual_mul_f32 v39, v40, v39
	s_delay_alu instid0(VALU_DEP_1) | instskip(NEXT) | instid1(VALU_DEP_1)
	v_dual_fma_f32 v40, v40, v38, -v42 :: v_dual_fmac_f32 v39, v41, v38
	v_dual_add_f32 v36, v36, v40 :: v_dual_add_f32 v37, v37, v39
	s_or_b32 exec_lo, exec_lo, s8
	s_and_saveexec_b32 s8, s4
	s_cbranch_execz .LBB61_241
.LBB61_1011:                            ;   in Loop: Header=BB61_3 Depth=1
	ds_load_b64 v[38:39], v57 offset:30976
	ds_load_b64 v[40:41], v60 offset:32736
	s_wait_dscnt 0x0
	v_dual_mul_f32 v42, v41, v39 :: v_dual_mul_f32 v39, v40, v39
	s_delay_alu instid0(VALU_DEP_1) | instskip(NEXT) | instid1(VALU_DEP_1)
	v_dual_fma_f32 v40, v40, v38, -v42 :: v_dual_fmac_f32 v39, v41, v38
	v_dual_add_f32 v36, v36, v40 :: v_dual_add_f32 v37, v37, v39
	s_or_b32 exec_lo, exec_lo, s8
	s_and_saveexec_b32 s8, s15
	s_cbranch_execz .LBB61_242
.LBB61_1012:                            ;   in Loop: Header=BB61_3 Depth=1
	ds_load_b64 v[38:39], v57 offset:31488
	ds_load_b64 v[40:41], v60 offset:32744
	s_wait_dscnt 0x0
	v_dual_mul_f32 v42, v41, v39 :: v_dual_mul_f32 v39, v40, v39
	s_delay_alu instid0(VALU_DEP_1) | instskip(NEXT) | instid1(VALU_DEP_1)
	v_dual_fma_f32 v40, v40, v38, -v42 :: v_dual_fmac_f32 v39, v41, v38
	v_dual_add_f32 v36, v36, v40 :: v_dual_add_f32 v37, v37, v39
	s_or_b32 exec_lo, exec_lo, s8
	s_and_saveexec_b32 s8, s17
	s_cbranch_execz .LBB61_243
.LBB61_1013:                            ;   in Loop: Header=BB61_3 Depth=1
	ds_load_b64 v[38:39], v57 offset:32000
	ds_load_b64 v[40:41], v60 offset:32752
	s_wait_dscnt 0x0
	v_dual_mul_f32 v42, v41, v39 :: v_dual_mul_f32 v43, v40, v39
	s_delay_alu instid0(VALU_DEP_1) | instskip(NEXT) | instid1(VALU_DEP_1)
	v_dual_fma_f32 v42, v40, v38, -v42 :: v_dual_fmac_f32 v43, v41, v38
	v_pk_add_f32 v[36:37], v[36:37], v[42:43]
	s_or_b32 exec_lo, exec_lo, s8
	s_and_saveexec_b32 s8, s3
	s_cbranch_execnz .LBB61_244
	s_branch .LBB61_245
.LBB61_1014:                            ;   in Loop: Header=BB61_3 Depth=1
	ds_load_b64 v[38:39], v49 offset:23360
	ds_load_b64 v[40:41], v50 offset:24424
	s_wait_dscnt 0x0
	v_dual_mul_f32 v42, v41, v39 :: v_dual_mul_f32 v39, v40, v39
	s_delay_alu instid0(VALU_DEP_1) | instskip(NEXT) | instid1(VALU_DEP_1)
	v_dual_fma_f32 v40, v40, v38, -v42 :: v_dual_fmac_f32 v39, v41, v38
	v_dual_add_f32 v36, v36, v40 :: v_dual_add_f32 v37, v37, v39
	s_or_b32 exec_lo, exec_lo, s8
	s_and_saveexec_b32 s8, s13
	s_cbranch_execz .LBB61_329
.LBB61_1015:                            ;   in Loop: Header=BB61_3 Depth=1
	ds_load_b64 v[38:39], v49 offset:23872
	ds_load_b64 v[40:41], v50 offset:24432
	s_wait_dscnt 0x0
	v_dual_mul_f32 v42, v41, v39 :: v_dual_mul_f32 v43, v40, v39
	s_delay_alu instid0(VALU_DEP_1) | instskip(NEXT) | instid1(VALU_DEP_1)
	v_dual_fma_f32 v42, v40, v38, -v42 :: v_dual_fmac_f32 v43, v41, v38
	v_pk_add_f32 v[36:37], v[36:37], v[42:43]
	s_or_b32 exec_lo, exec_lo, s8
	s_and_saveexec_b32 s8, s2
	s_cbranch_execnz .LBB61_330
	s_branch .LBB61_331
.LBB61_1016:                            ;   in Loop: Header=BB61_3 Depth=1
	ds_load_b64 v[38:39], v51 offset:21248
	ds_load_b64 v[40:41], v54 offset:24392
	s_wait_dscnt 0x0
	v_dual_mul_f32 v42, v41, v39 :: v_dual_mul_f32 v39, v40, v39
	s_delay_alu instid0(VALU_DEP_1) | instskip(NEXT) | instid1(VALU_DEP_1)
	v_dual_fma_f32 v40, v40, v38, -v42 :: v_dual_fmac_f32 v39, v41, v38
	v_dual_add_f32 v36, v36, v40 :: v_dual_add_f32 v37, v37, v39
	s_or_b32 exec_lo, exec_lo, s8
	s_and_saveexec_b32 s8, s15
	s_cbranch_execz .LBB61_367
.LBB61_1017:                            ;   in Loop: Header=BB61_3 Depth=1
	ds_load_b64 v[38:39], v51 offset:21760
	ds_load_b64 v[40:41], v54 offset:24400
	s_wait_dscnt 0x0
	v_dual_mul_f32 v42, v41, v39 :: v_dual_mul_f32 v39, v40, v39
	s_delay_alu instid0(VALU_DEP_1) | instskip(NEXT) | instid1(VALU_DEP_1)
	v_dual_fma_f32 v40, v40, v38, -v42 :: v_dual_fmac_f32 v39, v41, v38
	v_dual_add_f32 v36, v36, v40 :: v_dual_add_f32 v37, v37, v39
	s_or_b32 exec_lo, exec_lo, s8
	s_and_saveexec_b32 s8, s16
	s_cbranch_execz .LBB61_368
.LBB61_1018:                            ;   in Loop: Header=BB61_3 Depth=1
	ds_load_b64 v[38:39], v51 offset:22272
	ds_load_b64 v[40:41], v54 offset:24408
	s_wait_dscnt 0x0
	v_dual_mul_f32 v42, v41, v39 :: v_dual_mul_f32 v39, v40, v39
	s_delay_alu instid0(VALU_DEP_1) | instskip(NEXT) | instid1(VALU_DEP_1)
	v_dual_fma_f32 v40, v40, v38, -v42 :: v_dual_fmac_f32 v39, v41, v38
	v_dual_add_f32 v36, v36, v40 :: v_dual_add_f32 v37, v37, v39
	s_or_b32 exec_lo, exec_lo, s8
	s_and_saveexec_b32 s8, s17
	s_cbranch_execz .LBB61_369
.LBB61_1019:                            ;   in Loop: Header=BB61_3 Depth=1
	ds_load_b64 v[38:39], v51 offset:22784
	ds_load_b64 v[40:41], v54 offset:24416
	s_wait_dscnt 0x0
	v_dual_mul_f32 v42, v41, v39 :: v_dual_mul_f32 v43, v40, v39
	s_delay_alu instid0(VALU_DEP_1) | instskip(NEXT) | instid1(VALU_DEP_1)
	v_dual_fma_f32 v42, v40, v38, -v42 :: v_dual_fmac_f32 v43, v41, v38
	v_pk_add_f32 v[36:37], v[36:37], v[42:43]
	s_or_b32 exec_lo, exec_lo, s8
	s_and_saveexec_b32 s8, s18
	s_cbranch_execz .LBB61_370
.LBB61_1020:                            ;   in Loop: Header=BB61_3 Depth=1
	ds_load_b64 v[38:39], v51 offset:23296
	ds_load_b64 v[40:41], v54 offset:24424
	s_wait_dscnt 0x0
	v_pk_mul_f32 v[42:43], v[40:41], v[38:39] op_sel:[1,1] op_sel_hi:[0,1]
	s_delay_alu instid0(VALU_DEP_1) | instskip(SKIP_1) | instid1(VALU_DEP_2)
	v_pk_fma_f32 v[78:79], v[40:41], v[38:39], v[42:43] op_sel_hi:[1,0,1]
	v_pk_fma_f32 v[38:39], v[40:41], v[38:39], v[42:43] neg_lo:[0,0,1] neg_hi:[0,0,1]
	v_mov_b32_e32 v39, v79
	s_delay_alu instid0(VALU_DEP_1)
	v_pk_add_f32 v[36:37], v[36:37], v[38:39]
	s_or_b32 exec_lo, exec_lo, s8
	s_and_saveexec_b32 s8, s3
	s_cbranch_execz .LBB61_371
.LBB61_1021:                            ;   in Loop: Header=BB61_3 Depth=1
	ds_load_b64 v[38:39], v51 offset:23808
	ds_load_b64 v[40:41], v54 offset:24432
	s_wait_dscnt 0x0
	v_pk_mul_f32 v[42:43], v[40:41], v[38:39] op_sel:[1,1] op_sel_hi:[0,1]
	s_delay_alu instid0(VALU_DEP_1) | instskip(SKIP_1) | instid1(VALU_DEP_2)
	v_pk_fma_f32 v[78:79], v[40:41], v[38:39], v[42:43] op_sel_hi:[1,0,1]
	v_pk_fma_f32 v[38:39], v[40:41], v[38:39], v[42:43] neg_lo:[0,0,1] neg_hi:[0,0,1]
	v_mov_b32_e32 v39, v79
	s_delay_alu instid0(VALU_DEP_1)
	v_pk_add_f32 v[36:37], v[36:37], v[38:39]
	s_or_b32 exec_lo, exec_lo, s8
	s_and_saveexec_b32 s8, s13
	s_cbranch_execnz .LBB61_372
	s_branch .LBB61_373
.LBB61_1022:                            ;   in Loop: Header=BB61_3 Depth=1
	ds_load_b64 v[38:39], v49 offset:19200
	ds_load_b64 v[40:41], v50 offset:20264
	s_wait_dscnt 0x0
	v_dual_mul_f32 v42, v41, v39 :: v_dual_mul_f32 v39, v40, v39
	s_delay_alu instid0(VALU_DEP_1) | instskip(NEXT) | instid1(VALU_DEP_1)
	v_dual_fma_f32 v40, v40, v38, -v42 :: v_dual_fmac_f32 v39, v41, v38
	v_dual_add_f32 v36, v36, v40 :: v_dual_add_f32 v37, v37, v39
	s_or_b32 exec_lo, exec_lo, s8
	s_and_saveexec_b32 s8, s13
	s_cbranch_execz .LBB61_425
.LBB61_1023:                            ;   in Loop: Header=BB61_3 Depth=1
	ds_load_b64 v[38:39], v49 offset:19712
	ds_load_b64 v[40:41], v50 offset:20272
	s_wait_dscnt 0x0
	v_dual_mul_f32 v42, v41, v39 :: v_dual_mul_f32 v43, v40, v39
	s_delay_alu instid0(VALU_DEP_1) | instskip(NEXT) | instid1(VALU_DEP_1)
	v_dual_fma_f32 v42, v40, v38, -v42 :: v_dual_fmac_f32 v43, v41, v38
	v_pk_add_f32 v[36:37], v[36:37], v[42:43]
	s_or_b32 exec_lo, exec_lo, s8
	s_and_saveexec_b32 s8, s2
	s_cbranch_execnz .LBB61_426
	s_branch .LBB61_427
.LBB61_1024:                            ;   in Loop: Header=BB61_3 Depth=1
	ds_load_b64 v[38:39], v59 offset:31232
	ds_load_b64 v[40:41], v63 offset:32744
	s_wait_dscnt 0x0
	v_pk_mul_f32 v[42:43], v[40:41], v[38:39] op_sel:[1,1] op_sel_hi:[0,1]
	s_delay_alu instid0(VALU_DEP_1) | instskip(SKIP_1) | instid1(VALU_DEP_2)
	v_pk_fma_f32 v[78:79], v[40:41], v[38:39], v[42:43] op_sel_hi:[1,0,1]
	v_pk_fma_f32 v[38:39], v[40:41], v[38:39], v[42:43] neg_lo:[0,0,1] neg_hi:[0,0,1]
	v_mov_b32_e32 v39, v79
	s_delay_alu instid0(VALU_DEP_1)
	v_pk_add_f32 v[36:37], v[36:37], v[38:39]
	s_or_b32 exec_lo, exec_lo, s8
	s_and_saveexec_b32 s8, s4
	s_cbranch_execz .LBB61_519
.LBB61_1025:                            ;   in Loop: Header=BB61_3 Depth=1
	ds_load_b64 v[38:39], v59 offset:31744
	ds_load_b64 v[40:41], v63 offset:32752
	s_wait_dscnt 0x0
	v_pk_mul_f32 v[42:43], v[40:41], v[38:39] op_sel:[1,1] op_sel_hi:[0,1]
	s_delay_alu instid0(VALU_DEP_1) | instskip(SKIP_1) | instid1(VALU_DEP_2)
	v_pk_fma_f32 v[78:79], v[40:41], v[38:39], v[42:43] op_sel_hi:[1,0,1]
	v_pk_fma_f32 v[38:39], v[40:41], v[38:39], v[42:43] neg_lo:[0,0,1] neg_hi:[0,0,1]
	v_mov_b32_e32 v39, v79
	s_delay_alu instid0(VALU_DEP_1) | instskip(SKIP_2) | instid1(SALU_CYCLE_1)
	v_pk_add_f32 v[36:37], v[36:37], v[38:39]
	s_or_b32 exec_lo, exec_lo, s8
	s_and_saveexec_b32 s8, s17
	s_xor_b32 s8, exec_lo, s8
	s_cbranch_execnz .LBB61_520
	s_branch .LBB61_521
.LBB61_1026:                            ;   in Loop: Header=BB61_3 Depth=1
	ds_load_b64 v[38:39], v49 offset:15040
	ds_load_b64 v[40:41], v50 offset:16104
	s_wait_dscnt 0x0
	v_dual_mul_f32 v42, v41, v39 :: v_dual_mul_f32 v39, v40, v39
	s_delay_alu instid0(VALU_DEP_1) | instskip(NEXT) | instid1(VALU_DEP_1)
	v_dual_fma_f32 v40, v40, v38, -v42 :: v_dual_fmac_f32 v39, v41, v38
	v_dual_add_f32 v36, v36, v40 :: v_dual_add_f32 v37, v37, v39
	s_or_b32 exec_lo, exec_lo, s8
	s_and_saveexec_b32 s8, s13
	s_cbranch_execz .LBB61_561
.LBB61_1027:                            ;   in Loop: Header=BB61_3 Depth=1
	ds_load_b64 v[38:39], v49 offset:15552
	ds_load_b64 v[40:41], v50 offset:16112
	s_wait_dscnt 0x0
	v_dual_mul_f32 v42, v41, v39 :: v_dual_mul_f32 v43, v40, v39
	s_delay_alu instid0(VALU_DEP_1) | instskip(NEXT) | instid1(VALU_DEP_1)
	v_dual_fma_f32 v42, v40, v38, -v42 :: v_dual_fmac_f32 v43, v41, v38
	v_pk_add_f32 v[36:37], v[36:37], v[42:43]
	s_or_b32 exec_lo, exec_lo, s8
	s_and_saveexec_b32 s8, s2
	s_cbranch_execnz .LBB61_562
	s_branch .LBB61_563
.LBB61_1028:                            ;   in Loop: Header=BB61_3 Depth=1
	ds_load_b64 v[38:39], v51 offset:12928
	ds_load_b64 v[40:41], v54 offset:16072
	s_wait_dscnt 0x0
	v_dual_mul_f32 v42, v41, v39 :: v_dual_mul_f32 v39, v40, v39
	s_delay_alu instid0(VALU_DEP_1) | instskip(NEXT) | instid1(VALU_DEP_1)
	v_dual_fma_f32 v40, v40, v38, -v42 :: v_dual_fmac_f32 v39, v41, v38
	v_dual_add_f32 v36, v36, v40 :: v_dual_add_f32 v37, v37, v39
	s_or_b32 exec_lo, exec_lo, s8
	s_and_saveexec_b32 s8, s15
	s_cbranch_execz .LBB61_599
.LBB61_1029:                            ;   in Loop: Header=BB61_3 Depth=1
	ds_load_b64 v[38:39], v51 offset:13440
	ds_load_b64 v[40:41], v54 offset:16080
	s_wait_dscnt 0x0
	v_dual_mul_f32 v42, v41, v39 :: v_dual_mul_f32 v39, v40, v39
	s_delay_alu instid0(VALU_DEP_1) | instskip(NEXT) | instid1(VALU_DEP_1)
	v_dual_fma_f32 v40, v40, v38, -v42 :: v_dual_fmac_f32 v39, v41, v38
	v_dual_add_f32 v36, v36, v40 :: v_dual_add_f32 v37, v37, v39
	s_or_b32 exec_lo, exec_lo, s8
	s_and_saveexec_b32 s8, s16
	s_cbranch_execz .LBB61_600
.LBB61_1030:                            ;   in Loop: Header=BB61_3 Depth=1
	ds_load_b64 v[38:39], v51 offset:13952
	ds_load_b64 v[40:41], v54 offset:16088
	s_wait_dscnt 0x0
	v_dual_mul_f32 v42, v41, v39 :: v_dual_mul_f32 v39, v40, v39
	s_delay_alu instid0(VALU_DEP_1) | instskip(NEXT) | instid1(VALU_DEP_1)
	v_dual_fma_f32 v40, v40, v38, -v42 :: v_dual_fmac_f32 v39, v41, v38
	v_dual_add_f32 v36, v36, v40 :: v_dual_add_f32 v37, v37, v39
	s_or_b32 exec_lo, exec_lo, s8
	s_and_saveexec_b32 s8, s17
	s_cbranch_execz .LBB61_601
.LBB61_1031:                            ;   in Loop: Header=BB61_3 Depth=1
	ds_load_b64 v[38:39], v51 offset:14464
	ds_load_b64 v[40:41], v54 offset:16096
	s_wait_dscnt 0x0
	v_dual_mul_f32 v42, v41, v39 :: v_dual_mul_f32 v43, v40, v39
	s_delay_alu instid0(VALU_DEP_1) | instskip(NEXT) | instid1(VALU_DEP_1)
	v_dual_fma_f32 v42, v40, v38, -v42 :: v_dual_fmac_f32 v43, v41, v38
	v_pk_add_f32 v[36:37], v[36:37], v[42:43]
	s_or_b32 exec_lo, exec_lo, s8
	s_and_saveexec_b32 s8, s18
	s_cbranch_execz .LBB61_602
.LBB61_1032:                            ;   in Loop: Header=BB61_3 Depth=1
	ds_load_b64 v[38:39], v51 offset:14976
	ds_load_b64 v[40:41], v54 offset:16104
	s_wait_dscnt 0x0
	v_pk_mul_f32 v[42:43], v[40:41], v[38:39] op_sel:[1,1] op_sel_hi:[0,1]
	s_delay_alu instid0(VALU_DEP_1) | instskip(SKIP_1) | instid1(VALU_DEP_2)
	v_pk_fma_f32 v[78:79], v[40:41], v[38:39], v[42:43] op_sel_hi:[1,0,1]
	v_pk_fma_f32 v[38:39], v[40:41], v[38:39], v[42:43] neg_lo:[0,0,1] neg_hi:[0,0,1]
	v_mov_b32_e32 v39, v79
	s_delay_alu instid0(VALU_DEP_1)
	v_pk_add_f32 v[36:37], v[36:37], v[38:39]
	s_or_b32 exec_lo, exec_lo, s8
	s_and_saveexec_b32 s8, s3
	s_cbranch_execz .LBB61_603
.LBB61_1033:                            ;   in Loop: Header=BB61_3 Depth=1
	ds_load_b64 v[38:39], v51 offset:15488
	ds_load_b64 v[40:41], v54 offset:16112
	s_wait_dscnt 0x0
	v_pk_mul_f32 v[42:43], v[40:41], v[38:39] op_sel:[1,1] op_sel_hi:[0,1]
	s_delay_alu instid0(VALU_DEP_1) | instskip(SKIP_1) | instid1(VALU_DEP_2)
	v_pk_fma_f32 v[78:79], v[40:41], v[38:39], v[42:43] op_sel_hi:[1,0,1]
	v_pk_fma_f32 v[38:39], v[40:41], v[38:39], v[42:43] neg_lo:[0,0,1] neg_hi:[0,0,1]
	v_mov_b32_e32 v39, v79
	s_delay_alu instid0(VALU_DEP_1)
	v_pk_add_f32 v[36:37], v[36:37], v[38:39]
	s_or_b32 exec_lo, exec_lo, s8
	s_and_saveexec_b32 s8, s13
	s_cbranch_execnz .LBB61_604
	s_branch .LBB61_605
.LBB61_1034:                            ;   in Loop: Header=BB61_3 Depth=1
	ds_load_b64 v[38:39], v49 offset:10880
	ds_load_b64 v[40:41], v50 offset:11944
	s_wait_dscnt 0x0
	v_dual_mul_f32 v42, v41, v39 :: v_dual_mul_f32 v39, v40, v39
	s_delay_alu instid0(VALU_DEP_1) | instskip(NEXT) | instid1(VALU_DEP_1)
	v_dual_fma_f32 v40, v40, v38, -v42 :: v_dual_fmac_f32 v39, v41, v38
	v_dual_add_f32 v36, v36, v40 :: v_dual_add_f32 v37, v37, v39
	s_or_b32 exec_lo, exec_lo, s8
	s_and_saveexec_b32 s8, s13
	s_cbranch_execz .LBB61_657
.LBB61_1035:                            ;   in Loop: Header=BB61_3 Depth=1
	ds_load_b64 v[38:39], v49 offset:11392
	ds_load_b64 v[40:41], v50 offset:11952
	s_wait_dscnt 0x0
	v_dual_mul_f32 v42, v41, v39 :: v_dual_mul_f32 v43, v40, v39
	s_delay_alu instid0(VALU_DEP_1) | instskip(NEXT) | instid1(VALU_DEP_1)
	v_dual_fma_f32 v42, v40, v38, -v42 :: v_dual_fmac_f32 v43, v41, v38
	v_pk_add_f32 v[36:37], v[36:37], v[42:43]
	s_or_b32 exec_lo, exec_lo, s8
	s_and_saveexec_b32 s8, s2
	s_cbranch_execnz .LBB61_658
	s_branch .LBB61_659
.LBB61_1036:                            ;   in Loop: Header=BB61_3 Depth=1
	ds_load_b64 v[38:39], v57 offset:13824
	ds_load_b64 v[40:41], v60 offset:16088
	s_wait_dscnt 0x0
	v_dual_mul_f32 v42, v41, v39 :: v_dual_mul_f32 v39, v40, v39
	s_delay_alu instid0(VALU_DEP_1) | instskip(NEXT) | instid1(VALU_DEP_1)
	v_dual_fma_f32 v40, v40, v38, -v42 :: v_dual_fmac_f32 v39, v41, v38
	v_dual_add_f32 v36, v36, v40 :: v_dual_add_f32 v37, v37, v39
	s_or_b32 exec_lo, exec_lo, s8
	s_and_saveexec_b32 s8, s4
	s_cbranch_execz .LBB61_715
.LBB61_1037:                            ;   in Loop: Header=BB61_3 Depth=1
	ds_load_b64 v[38:39], v57 offset:14336
	ds_load_b64 v[40:41], v60 offset:16096
	s_wait_dscnt 0x0
	v_dual_mul_f32 v42, v41, v39 :: v_dual_mul_f32 v39, v40, v39
	s_delay_alu instid0(VALU_DEP_1) | instskip(NEXT) | instid1(VALU_DEP_1)
	v_dual_fma_f32 v40, v40, v38, -v42 :: v_dual_fmac_f32 v39, v41, v38
	v_dual_add_f32 v36, v36, v40 :: v_dual_add_f32 v37, v37, v39
	s_or_b32 exec_lo, exec_lo, s8
	s_and_saveexec_b32 s8, s15
	s_cbranch_execz .LBB61_716
.LBB61_1038:                            ;   in Loop: Header=BB61_3 Depth=1
	ds_load_b64 v[38:39], v57 offset:14848
	ds_load_b64 v[40:41], v60 offset:16104
	s_wait_dscnt 0x0
	v_dual_mul_f32 v42, v41, v39 :: v_dual_mul_f32 v39, v40, v39
	s_delay_alu instid0(VALU_DEP_1) | instskip(NEXT) | instid1(VALU_DEP_1)
	v_dual_fma_f32 v40, v40, v38, -v42 :: v_dual_fmac_f32 v39, v41, v38
	v_dual_add_f32 v36, v36, v40 :: v_dual_add_f32 v37, v37, v39
	s_or_b32 exec_lo, exec_lo, s8
	s_and_saveexec_b32 s8, s17
	s_cbranch_execz .LBB61_717
.LBB61_1039:                            ;   in Loop: Header=BB61_3 Depth=1
	ds_load_b64 v[38:39], v57 offset:15360
	ds_load_b64 v[40:41], v60 offset:16112
	s_wait_dscnt 0x0
	v_dual_mul_f32 v42, v41, v39 :: v_dual_mul_f32 v43, v40, v39
	s_delay_alu instid0(VALU_DEP_1) | instskip(NEXT) | instid1(VALU_DEP_1)
	v_dual_fma_f32 v42, v40, v38, -v42 :: v_dual_fmac_f32 v43, v41, v38
	v_pk_add_f32 v[36:37], v[36:37], v[42:43]
	s_or_b32 exec_lo, exec_lo, s8
	s_and_saveexec_b32 s8, s3
	s_cbranch_execnz .LBB61_718
	s_branch .LBB61_719
.LBB61_1040:                            ;   in Loop: Header=BB61_3 Depth=1
	ds_load_b64 v[38:39], v49 offset:6720
	ds_load_b64 v[40:41], v50 offset:7784
	s_wait_dscnt 0x0
	v_dual_mul_f32 v42, v41, v39 :: v_dual_mul_f32 v39, v40, v39
	s_delay_alu instid0(VALU_DEP_1) | instskip(NEXT) | instid1(VALU_DEP_1)
	v_dual_fma_f32 v40, v40, v38, -v42 :: v_dual_fmac_f32 v39, v41, v38
	v_dual_add_f32 v36, v36, v40 :: v_dual_add_f32 v37, v37, v39
	s_or_b32 exec_lo, exec_lo, s8
	s_and_saveexec_b32 s8, s13
	s_cbranch_execz .LBB61_803
.LBB61_1041:                            ;   in Loop: Header=BB61_3 Depth=1
	ds_load_b64 v[38:39], v49 offset:7232
	ds_load_b64 v[40:41], v50 offset:7792
	s_wait_dscnt 0x0
	v_dual_mul_f32 v42, v41, v39 :: v_dual_mul_f32 v43, v40, v39
	s_delay_alu instid0(VALU_DEP_1) | instskip(NEXT) | instid1(VALU_DEP_1)
	v_dual_fma_f32 v42, v40, v38, -v42 :: v_dual_fmac_f32 v43, v41, v38
	v_pk_add_f32 v[36:37], v[36:37], v[42:43]
	s_or_b32 exec_lo, exec_lo, s8
	s_and_saveexec_b32 s8, s2
	s_cbranch_execnz .LBB61_804
	s_branch .LBB61_805
.LBB61_1042:                            ;   in Loop: Header=BB61_3 Depth=1
	ds_load_b64 v[38:39], v51 offset:4608
	ds_load_b64 v[40:41], v54 offset:7752
	s_wait_dscnt 0x0
	v_dual_mul_f32 v42, v41, v39 :: v_dual_mul_f32 v39, v40, v39
	s_delay_alu instid0(VALU_DEP_1) | instskip(NEXT) | instid1(VALU_DEP_1)
	v_dual_fma_f32 v40, v40, v38, -v42 :: v_dual_fmac_f32 v39, v41, v38
	v_dual_add_f32 v36, v36, v40 :: v_dual_add_f32 v37, v37, v39
	s_or_b32 exec_lo, exec_lo, s8
	s_and_saveexec_b32 s8, s15
	s_cbranch_execz .LBB61_841
.LBB61_1043:                            ;   in Loop: Header=BB61_3 Depth=1
	ds_load_b64 v[38:39], v51 offset:5120
	ds_load_b64 v[40:41], v54 offset:7760
	s_wait_dscnt 0x0
	v_dual_mul_f32 v42, v41, v39 :: v_dual_mul_f32 v39, v40, v39
	s_delay_alu instid0(VALU_DEP_1) | instskip(NEXT) | instid1(VALU_DEP_1)
	v_dual_fma_f32 v40, v40, v38, -v42 :: v_dual_fmac_f32 v39, v41, v38
	v_dual_add_f32 v36, v36, v40 :: v_dual_add_f32 v37, v37, v39
	s_or_b32 exec_lo, exec_lo, s8
	s_and_saveexec_b32 s8, s16
	s_cbranch_execz .LBB61_842
.LBB61_1044:                            ;   in Loop: Header=BB61_3 Depth=1
	ds_load_b64 v[38:39], v51 offset:5632
	ds_load_b64 v[40:41], v54 offset:7768
	s_wait_dscnt 0x0
	v_dual_mul_f32 v42, v41, v39 :: v_dual_mul_f32 v39, v40, v39
	s_delay_alu instid0(VALU_DEP_1) | instskip(NEXT) | instid1(VALU_DEP_1)
	v_dual_fma_f32 v40, v40, v38, -v42 :: v_dual_fmac_f32 v39, v41, v38
	v_dual_add_f32 v36, v36, v40 :: v_dual_add_f32 v37, v37, v39
	s_or_b32 exec_lo, exec_lo, s8
	s_and_saveexec_b32 s8, s17
	s_cbranch_execz .LBB61_843
.LBB61_1045:                            ;   in Loop: Header=BB61_3 Depth=1
	ds_load_b64 v[38:39], v51 offset:6144
	ds_load_b64 v[40:41], v54 offset:7776
	s_wait_dscnt 0x0
	v_dual_mul_f32 v42, v41, v39 :: v_dual_mul_f32 v43, v40, v39
	s_delay_alu instid0(VALU_DEP_1) | instskip(NEXT) | instid1(VALU_DEP_1)
	v_dual_fma_f32 v42, v40, v38, -v42 :: v_dual_fmac_f32 v43, v41, v38
	v_pk_add_f32 v[36:37], v[36:37], v[42:43]
	s_or_b32 exec_lo, exec_lo, s8
	s_and_saveexec_b32 s8, s18
	s_cbranch_execz .LBB61_844
.LBB61_1046:                            ;   in Loop: Header=BB61_3 Depth=1
	ds_load_b64 v[38:39], v51 offset:6656
	ds_load_b64 v[40:41], v54 offset:7784
	s_wait_dscnt 0x0
	v_pk_mul_f32 v[42:43], v[40:41], v[38:39] op_sel:[1,1] op_sel_hi:[0,1]
	s_delay_alu instid0(VALU_DEP_1) | instskip(SKIP_1) | instid1(VALU_DEP_2)
	v_pk_fma_f32 v[78:79], v[40:41], v[38:39], v[42:43] op_sel_hi:[1,0,1]
	v_pk_fma_f32 v[38:39], v[40:41], v[38:39], v[42:43] neg_lo:[0,0,1] neg_hi:[0,0,1]
	v_mov_b32_e32 v39, v79
	s_delay_alu instid0(VALU_DEP_1)
	v_pk_add_f32 v[36:37], v[36:37], v[38:39]
	s_or_b32 exec_lo, exec_lo, s8
	s_and_saveexec_b32 s8, s3
	s_cbranch_execz .LBB61_845
.LBB61_1047:                            ;   in Loop: Header=BB61_3 Depth=1
	ds_load_b64 v[38:39], v51 offset:7168
	ds_load_b64 v[40:41], v54 offset:7792
	s_wait_dscnt 0x0
	v_pk_mul_f32 v[42:43], v[40:41], v[38:39] op_sel:[1,1] op_sel_hi:[0,1]
	s_delay_alu instid0(VALU_DEP_1) | instskip(SKIP_1) | instid1(VALU_DEP_2)
	v_pk_fma_f32 v[78:79], v[40:41], v[38:39], v[42:43] op_sel_hi:[1,0,1]
	v_pk_fma_f32 v[38:39], v[40:41], v[38:39], v[42:43] neg_lo:[0,0,1] neg_hi:[0,0,1]
	v_mov_b32_e32 v39, v79
	s_delay_alu instid0(VALU_DEP_1)
	v_pk_add_f32 v[36:37], v[36:37], v[38:39]
	s_or_b32 exec_lo, exec_lo, s8
	s_and_saveexec_b32 s8, s13
	s_cbranch_execnz .LBB61_846
	s_branch .LBB61_847
.LBB61_1048:                            ;   in Loop: Header=BB61_3 Depth=1
	ds_load_b64 v[38:39], v49 offset:2560
	ds_load_b64 v[40:41], v50 offset:3624
	s_wait_dscnt 0x0
	v_dual_mul_f32 v42, v41, v39 :: v_dual_mul_f32 v39, v40, v39
	s_delay_alu instid0(VALU_DEP_1) | instskip(NEXT) | instid1(VALU_DEP_1)
	v_dual_fma_f32 v40, v40, v38, -v42 :: v_dual_fmac_f32 v39, v41, v38
	v_dual_add_f32 v36, v36, v40 :: v_dual_add_f32 v37, v37, v39
	s_or_b32 exec_lo, exec_lo, s8
	s_and_saveexec_b32 s8, s13
	s_cbranch_execz .LBB61_899
.LBB61_1049:                            ;   in Loop: Header=BB61_3 Depth=1
	ds_load_b64 v[38:39], v49 offset:3072
	ds_load_b64 v[40:41], v50 offset:3632
	s_wait_dscnt 0x0
	v_dual_mul_f32 v42, v41, v39 :: v_dual_mul_f32 v43, v40, v39
	s_delay_alu instid0(VALU_DEP_1) | instskip(NEXT) | instid1(VALU_DEP_1)
	v_dual_fma_f32 v42, v40, v38, -v42 :: v_dual_fmac_f32 v43, v41, v38
	v_pk_add_f32 v[36:37], v[36:37], v[42:43]
	s_or_b32 exec_lo, exec_lo, s8
	s_and_saveexec_b32 s8, s2
	s_cbranch_execnz .LBB61_900
	s_branch .LBB61_901
.LBB61_1050:
	s_endpgm
	.section	.rodata,"a",@progbits
	.p2align	6, 0x0
	.amdhsa_kernel _ZL19rocblas_trsv_deviceILi64ELi16ELb0ELb0ELb0ELb1E19rocblas_complex_numIfES1_PKS1_PS1_EviT7_lllT6_T8_lllPii
		.amdhsa_group_segment_fixed_size 41480
		.amdhsa_private_segment_fixed_size 48
		.amdhsa_kernarg_size 352
		.amdhsa_user_sgpr_count 2
		.amdhsa_user_sgpr_dispatch_ptr 0
		.amdhsa_user_sgpr_queue_ptr 0
		.amdhsa_user_sgpr_kernarg_segment_ptr 1
		.amdhsa_user_sgpr_dispatch_id 0
		.amdhsa_user_sgpr_kernarg_preload_length 0
		.amdhsa_user_sgpr_kernarg_preload_offset 0
		.amdhsa_user_sgpr_private_segment_size 0
		.amdhsa_wavefront_size32 1
		.amdhsa_uses_dynamic_stack 0
		.amdhsa_enable_private_segment 1
		.amdhsa_system_sgpr_workgroup_id_x 1
		.amdhsa_system_sgpr_workgroup_id_y 0
		.amdhsa_system_sgpr_workgroup_id_z 1
		.amdhsa_system_sgpr_workgroup_info 0
		.amdhsa_system_vgpr_workitem_id 1
		.amdhsa_next_free_vgpr 89
		.amdhsa_next_free_sgpr 105
		.amdhsa_named_barrier_count 0
		.amdhsa_reserve_vcc 1
		.amdhsa_float_round_mode_32 0
		.amdhsa_float_round_mode_16_64 0
		.amdhsa_float_denorm_mode_32 3
		.amdhsa_float_denorm_mode_16_64 3
		.amdhsa_fp16_overflow 0
		.amdhsa_memory_ordered 1
		.amdhsa_forward_progress 1
		.amdhsa_inst_pref_size 255
		.amdhsa_round_robin_scheduling 0
		.amdhsa_exception_fp_ieee_invalid_op 0
		.amdhsa_exception_fp_denorm_src 0
		.amdhsa_exception_fp_ieee_div_zero 0
		.amdhsa_exception_fp_ieee_overflow 0
		.amdhsa_exception_fp_ieee_underflow 0
		.amdhsa_exception_fp_ieee_inexact 0
		.amdhsa_exception_int_div_zero 0
	.end_amdhsa_kernel
	.section	.text._ZL19rocblas_trsv_deviceILi64ELi16ELb0ELb0ELb0ELb1E19rocblas_complex_numIfES1_PKS1_PS1_EviT7_lllT6_T8_lllPii,"axG",@progbits,_ZL19rocblas_trsv_deviceILi64ELi16ELb0ELb0ELb0ELb1E19rocblas_complex_numIfES1_PKS1_PS1_EviT7_lllT6_T8_lllPii,comdat
.Lfunc_end61:
	.size	_ZL19rocblas_trsv_deviceILi64ELi16ELb0ELb0ELb0ELb1E19rocblas_complex_numIfES1_PKS1_PS1_EviT7_lllT6_T8_lllPii, .Lfunc_end61-_ZL19rocblas_trsv_deviceILi64ELi16ELb0ELb0ELb0ELb1E19rocblas_complex_numIfES1_PKS1_PS1_EviT7_lllT6_T8_lllPii
                                        ; -- End function
	.set _ZL19rocblas_trsv_deviceILi64ELi16ELb0ELb0ELb0ELb1E19rocblas_complex_numIfES1_PKS1_PS1_EviT7_lllT6_T8_lllPii.num_vgpr, 89
	.set _ZL19rocblas_trsv_deviceILi64ELi16ELb0ELb0ELb0ELb1E19rocblas_complex_numIfES1_PKS1_PS1_EviT7_lllT6_T8_lllPii.num_agpr, 0
	.set _ZL19rocblas_trsv_deviceILi64ELi16ELb0ELb0ELb0ELb1E19rocblas_complex_numIfES1_PKS1_PS1_EviT7_lllT6_T8_lllPii.numbered_sgpr, 105
	.set _ZL19rocblas_trsv_deviceILi64ELi16ELb0ELb0ELb0ELb1E19rocblas_complex_numIfES1_PKS1_PS1_EviT7_lllT6_T8_lllPii.num_named_barrier, 0
	.set _ZL19rocblas_trsv_deviceILi64ELi16ELb0ELb0ELb0ELb1E19rocblas_complex_numIfES1_PKS1_PS1_EviT7_lllT6_T8_lllPii.private_seg_size, 48
	.set _ZL19rocblas_trsv_deviceILi64ELi16ELb0ELb0ELb0ELb1E19rocblas_complex_numIfES1_PKS1_PS1_EviT7_lllT6_T8_lllPii.uses_vcc, 1
	.set _ZL19rocblas_trsv_deviceILi64ELi16ELb0ELb0ELb0ELb1E19rocblas_complex_numIfES1_PKS1_PS1_EviT7_lllT6_T8_lllPii.uses_flat_scratch, 0
	.set _ZL19rocblas_trsv_deviceILi64ELi16ELb0ELb0ELb0ELb1E19rocblas_complex_numIfES1_PKS1_PS1_EviT7_lllT6_T8_lllPii.has_dyn_sized_stack, 0
	.set _ZL19rocblas_trsv_deviceILi64ELi16ELb0ELb0ELb0ELb1E19rocblas_complex_numIfES1_PKS1_PS1_EviT7_lllT6_T8_lllPii.has_recursion, 0
	.set _ZL19rocblas_trsv_deviceILi64ELi16ELb0ELb0ELb0ELb1E19rocblas_complex_numIfES1_PKS1_PS1_EviT7_lllT6_T8_lllPii.has_indirect_call, 0
	.section	.AMDGPU.csdata,"",@progbits
; Kernel info:
; codeLenInByte = 36540
; TotalNumSgprs: 107
; NumVgprs: 89
; ScratchSize: 48
; MemoryBound: 0
; FloatMode: 240
; IeeeMode: 1
; LDSByteSize: 41480 bytes/workgroup (compile time only)
; SGPRBlocks: 0
; VGPRBlocks: 5
; NumSGPRsForWavesPerEU: 107
; NumVGPRsForWavesPerEU: 89
; NamedBarCnt: 0
; Occupancy: 10
; WaveLimiterHint : 0
; COMPUTE_PGM_RSRC2:SCRATCH_EN: 1
; COMPUTE_PGM_RSRC2:USER_SGPR: 2
; COMPUTE_PGM_RSRC2:TRAP_HANDLER: 0
; COMPUTE_PGM_RSRC2:TGID_X_EN: 1
; COMPUTE_PGM_RSRC2:TGID_Y_EN: 0
; COMPUTE_PGM_RSRC2:TGID_Z_EN: 1
; COMPUTE_PGM_RSRC2:TIDIG_COMP_CNT: 1
	.section	.text._ZL19rocblas_trsv_deviceILi64ELi16ELb0ELb1ELb0ELb1E19rocblas_complex_numIfES1_PKS1_PS1_EviT7_lllT6_T8_lllPii,"axG",@progbits,_ZL19rocblas_trsv_deviceILi64ELi16ELb0ELb1ELb0ELb1E19rocblas_complex_numIfES1_PKS1_PS1_EviT7_lllT6_T8_lllPii,comdat
	.globl	_ZL19rocblas_trsv_deviceILi64ELi16ELb0ELb1ELb0ELb1E19rocblas_complex_numIfES1_PKS1_PS1_EviT7_lllT6_T8_lllPii ; -- Begin function _ZL19rocblas_trsv_deviceILi64ELi16ELb0ELb1ELb0ELb1E19rocblas_complex_numIfES1_PKS1_PS1_EviT7_lllT6_T8_lllPii
	.p2align	8
	.type	_ZL19rocblas_trsv_deviceILi64ELi16ELb0ELb1ELb0ELb1E19rocblas_complex_numIfES1_PKS1_PS1_EviT7_lllT6_T8_lllPii,@function
_ZL19rocblas_trsv_deviceILi64ELi16ELb0ELb1ELb0ELb1E19rocblas_complex_numIfES1_PKS1_PS1_EviT7_lllT6_T8_lllPii: ; @_ZL19rocblas_trsv_deviceILi64ELi16ELb0ELb1ELb0ELb1E19rocblas_complex_numIfES1_PKS1_PS1_EviT7_lllT6_T8_lllPii
; %bb.0:
	s_load_b32 s88, s[0:1], 0x58
	s_bfe_u32 s2, ttmp6, 0x40014
	s_lshr_b32 s3, ttmp7, 16
	s_add_co_i32 s2, s2, 1
	s_bfe_u32 s5, ttmp6, 0x40008
	s_mul_i32 s4, s3, s2
	s_getreg_b32 s2, hwreg(HW_REG_IB_STS2, 6, 4)
	s_add_co_i32 s5, s5, s4
	s_cmp_eq_u32 s2, 0
	s_mov_b32 s77, 0
	s_cselect_b32 s76, s3, s5
	s_wait_kmcnt 0x0
	s_cmp_ge_u32 s76, s88
	s_cbranch_scc1 .LBB62_1112
; %bb.1:
	s_clause 0x3
	s_load_b256 s[60:67], s[0:1], 0x8
	s_load_b256 s[68:75], s[0:1], 0x30
	s_load_b32 s3, s[0:1], 0x6c
	s_load_b32 s89, s[0:1], 0x0
	s_bfe_u32 s5, ttmp6, 0x4000c
	s_and_b32 s4, ttmp6, 15
	s_add_co_i32 s5, s5, 1
	v_bfe_u32 v4, v0, 10, 10
	s_mul_i32 s5, ttmp9, s5
	v_and_b32_e32 v6, 0x3ff, v0
	s_add_co_i32 s4, s4, s5
	v_mov_b32_e32 v3, 0
                                        ; implicit-def: $vgpr106 : SGPR spill to VGPR lane
	v_dual_add_nc_u32 v24, 32, v4 :: v_dual_add_nc_u32 v28, 48, v4
	s_delay_alu instid0(VALU_DEP_3) | instskip(SKIP_3) | instid1(VALU_DEP_4)
	v_lshlrev_b32_e32 v1, 6, v6
	v_lshl_add_u32 v35, v4, 6, v6
	v_and_b32_e32 v14, 1, v0
	v_cmp_gt_u32_e64 s6, 2, v6
	v_dual_add_nc_u32 v2, v4, v1 :: v_dual_bitop2_b32 v21, 7, v0 bitop3:0x40
	s_wait_kmcnt 0x0
	s_lshl_b64 s[12:13], s[62:63], 3
	s_lshl_b64 s[14:15], s[70:71], 3
	s_cmp_eq_u32 s2, 0
	v_and_b32_e32 v22, 15, v0
	s_cselect_b32 s90, ttmp9, s4
	s_and_b32 s2, s3, 0xffff
	s_add_co_i32 s3, s89, -1
	s_ashr_i32 s4, s89, 31
	s_ashr_i32 s5, s3, 31
	s_lshr_b32 s4, s4, 26
	s_lshr_b32 s5, s5, 26
	s_add_co_i32 s4, s89, s4
	s_add_co_i32 s3, s3, s5
	s_and_not1_b32 s4, s4, 63
	s_ashr_i32 s3, s3, 6
	s_sub_co_i32 s18, s89, s4
	s_cmp_eq_u32 s3, s90
	v_mad_u32_u24 v8, v4, s2, v6
	s_cselect_b32 s2, -1, 0
	s_cmp_lg_u32 s18, 0
	v_sub_co_u32 v7, s3, s90, 1
	s_cselect_b32 s4, -1, 0
	s_lshl_b32 s16, s90, 6
	s_and_b32 s19, s4, s2
	v_dual_add_nc_u32 v5, s16, v4 :: v_dual_add_nc_u32 v20, 16, v4
	s_xor_b32 s3, s3, -1
	s_xor_b32 s92, s19, -1
	s_cmp_lt_i32 s90, 5
	v_writelane_b32 v106, s3, 0
	s_cselect_b32 vcc_lo, -1, 0
	s_delay_alu instid0(SALU_CYCLE_1)
	v_dual_add_nc_u32 v10, v20, v1 :: v_dual_cndmask_b32 v18, v35, v2, vcc_lo
	v_lshl_add_u32 v11, v20, 6, v6
	s_add_nc_u64 s[2:3], s[64:65], 1
	s_ashr_i32 s17, s16, 31
	s_or_b32 vcc_lo, vcc_lo, s19
	s_mul_u64 s[10:11], s[2:3], s[16:17]
	v_dual_cndmask_b32 v19, v11, v10, vcc_lo :: v_dual_bitop2_b32 v15, 3, v0 bitop3:0x40
	v_cmp_gt_u32_e64 s2, 4, v35
	v_cmp_eq_u32_e64 s4, 1, v14
	v_cmp_eq_u32_e64 s5, 0, v14
	;; [unrolled: 1-line block ×4, first 2 shown]
	v_add_nc_u32_e32 v10, v24, v1
	s_and_b32 s94, s4, s2
	s_and_b32 s95, s5, s2
	v_cmp_gt_u32_e64 s4, 16, v35
	v_cmp_eq_u32_e64 s5, 3, v15
	s_and_b32 s96, s3, s6
	v_cmp_ne_u32_e64 s6, 3, v15
	v_cmp_gt_u32_e64 s8, 2, v15
	s_and_b32 s99, s7, s4
	s_and_b32 s97, s5, s4
	v_cmp_eq_u32_e64 s5, 1, v15
	s_and_b32 s98, s6, s4
	v_cmp_eq_u32_e64 s6, 0, v15
	v_cmp_gt_u32_e64 s7, 4, v6
	v_cmp_ne_u32_e64 s9, 7, v21
	s_and_b32 s101, s5, s4
	v_cmp_gt_u32_e64 s5, 64, v35
	s_and_b32 s102, s6, s4
	v_cmp_eq_u32_e64 s6, 6, v21
	s_and_b32 s103, s3, s7
	v_cmp_gt_u32_e64 s7, 6, v21
	s_and_b32 s100, s8, s4
	v_cmp_eq_u32_e64 s8, 7, v21
	s_and_b32 s39, s6, s5
	v_cmp_gt_u32_e64 s6, 5, v21
	s_and_b32 vcc_hi, s9, s5
	v_cmp_eq_u32_e64 s9, 4, v21
	s_and_b32 s40, s7, s5
	v_cmp_gt_u32_e64 s7, 4, v21
	s_and_b32 s42, s6, s5
	v_cmp_eq_u32_e64 s6, 3, v21
	s_and_b32 s104, s8, s5
	v_cmp_eq_u32_e64 s8, 5, v21
	s_and_b32 s43, s9, s5
	s_and_b32 s44, s7, s5
	v_cmp_eq_u32_e64 s7, 2, v21
	v_cmp_gt_u32_e64 s9, 2, v21
	s_and_b32 s45, s6, s5
	v_cmp_eq_u32_e64 s6, 1, v21
	s_and_b32 s41, s8, s5
	v_cmp_gt_u32_e64 s8, 3, v21
	s_and_b32 s47, s7, s5
	s_and_b32 s48, s9, s5
	v_cmp_eq_u32_e64 s7, 0, v21
	s_and_b32 s49, s6, s5
	v_cmp_gt_u32_e64 s6, 0x100, v35
	v_add_nc_u32_e32 v1, v28, v1
	v_cmp_eq_u32_e64 s9, 15, v22
	s_and_b32 s46, s8, s5
	v_cmp_gt_u32_e64 s8, 8, v6
	s_and_b32 s50, s7, s5
	v_cmp_ne_u32_e64 s7, 15, v22
	s_and_b32 s9, s9, s6
	s_clause 0x1
	s_load_b64 s[78:79], s[0:1], 0x50
	s_load_b64 s[34:35], s[0:1], 0x28
	v_writelane_b32 v106, s9, 1
	s_and_b32 s51, s3, s8
	v_cmp_eq_u32_e64 s8, 14, v22
	s_and_b32 s7, s7, s6
	v_cmp_gt_u32_e64 s9, 14, v22
	v_writelane_b32 v106, s7, 2
	v_cmp_eq_u32_e64 s7, 13, v22
	s_and_b32 s8, s8, s6
	v_lshl_add_u32 v11, v24, 6, v6
	s_and_b32 s9, s9, s6
	v_writelane_b32 v106, s8, 3
	v_cmp_gt_u32_e64 s8, 13, v22
	s_and_b32 s7, s7, s6
	v_lshl_add_u32 v17, v28, 6, v6
	s_xor_b32 s93, vcc_lo, -1
	v_writelane_b32 v106, s9, 4
	v_cmp_eq_u32_e64 s9, 12, v22
	s_and_b32 s8, s8, s6
	v_dual_cndmask_b32 v23, v11, v10 :: v_dual_add_nc_u32 v2, s16, v8
	v_writelane_b32 v106, s7, 5
	v_cmp_gt_u32_e64 s7, 12, v22
	s_and_b32 s9, s9, s6
	v_cndmask_b32_e32 v26, v17, v1, vcc_lo
	v_cmp_le_i32_e32 vcc_lo, s18, v6
	v_writelane_b32 v106, s8, 6
	s_and_b32 s59, s7, s6
	v_cmp_eq_u32_e64 s7, 10, v22
	v_cmp_eq_u32_e64 s8, 11, v22
	s_wait_xcnt 0x0
	v_cmp_eq_u32_e64 s0, 0, v22
	v_writelane_b32 v106, s9, 7
	v_cmp_gt_u32_e64 s9, 11, v22
	s_and_b32 s25, s7, s6
	v_cmp_gt_u32_e64 s7, 9, v22
	s_and_b32 s21, s8, s6
	;; [unrolled: 2-line block ×3, first 2 shown]
	v_cmp_eq_u32_e64 s9, 9, v22
	s_and_b32 s31, s7, s6
	v_cmp_eq_u32_e64 s7, 7, v22
	s_and_b32 s27, s8, s6
	;; [unrolled: 2-line block ×3, first 2 shown]
	v_cmp_gt_u32_e64 s9, 8, v22
	s_and_b32 s38, s7, s6
	v_cmp_gt_u32_e64 s7, 6, v22
	s_and_b32 s36, s8, s6
	;; [unrolled: 2-line block ×3, first 2 shown]
	v_cmp_eq_u32_e64 s9, 6, v22
	s_and_b32 s70, s7, s6
	v_cmp_eq_u32_e64 s7, 4, v22
	s_and_b32 s80, s8, s6
	;; [unrolled: 2-line block ×3, first 2 shown]
	v_cmp_gt_u32_e64 s9, 5, v22
	s_and_b32 s24, s7, s6
	v_cmp_gt_u32_e64 s7, 3, v22
	s_and_b32 s71, s8, s6
	;; [unrolled: 2-line block ×3, first 2 shown]
	v_cmp_eq_u32_e64 s9, 3, v22
	s_and_b32 s30, s7, s6
	v_cmp_eq_u32_e64 s7, 1, v22
	s_and_b32 s55, vcc_lo, s19
	s_and_b32 s26, s8, s6
	v_cmp_eq_u32_e64 s8, 2, v22
	s_and_b32 s28, s9, s6
	v_cmp_gt_u32_e64 s9, 2, v22
	v_cmp_gt_u32_e64 s1, 16, v6
	s_and_b32 s53, s7, s6
	v_cmp_gt_u32_e64 s7, 32, v6
	s_and_b32 s54, s0, s6
	s_xor_b32 s0, s55, -1
	s_and_b32 s91, s8, s6
	s_and_b32 s57, s3, s0
	v_cmp_le_i32_e64 s0, s18, v4
	s_and_b32 s52, s9, s6
	s_and_b32 s56, s3, s1
	;; [unrolled: 1-line block ×3, first 2 shown]
	s_wait_kmcnt 0x0
	s_xor_b32 s62, s35, 0x80000000
	s_cmp_gt_i32 s90, 0
	v_dual_mov_b32 v9, v3 :: v_dual_add_nc_u32 v16, s16, v6
	s_cselect_b32 s58, -1, 0
	s_or_b32 s7, s0, vcc_lo
	v_cmp_le_i32_e64 s0, s18, v20
	s_delay_alu instid0(VALU_DEP_2)
	v_add_nc_u64_e32 v[12:13], s[16:17], v[8:9]
	v_writelane_b32 v106, s1, 8
	v_subrev_nc_u32_e32 v10, 64, v5
	v_subrev_nc_u32_e32 v37, 48, v5
	s_or_b32 s8, s0, vcc_lo
	v_cmp_le_i32_e64 s0, s18, v24
	v_add_max_i32_e64 v40, v5, -16, v16
	v_subrev_nc_u32_e32 v5, 32, v5
	s_add_nc_u64 s[82:83], s[60:61], s[12:13]
	s_mov_b32 s63, s35
	s_or_b32 s9, s0, vcc_lo
	v_cmp_le_i32_e64 s0, s18, v28
	v_dual_lshlrev_b32 v9, 3, v6 :: v_dual_lshrrev_b32 v1, 1, v35
	v_lshrrev_b32_e32 v25, 2, v35
	s_mov_b32 s35, s34
	s_or_b32 s16, s0, vcc_lo
	v_cmp_gt_i32_e32 vcc_lo, s18, v6
	v_mad_u32_u24 v48, 0x1f8, v6, v9
	v_dual_lshlrev_b32 v27, 9, v1 :: v_dual_lshrrev_b32 v11, 10, v0
	s_lshl_b64 s[84:85], s[10:11], 3
	s_and_b32 s0, s3, vcc_lo
	v_cmp_gt_i32_e32 vcc_lo, s89, v10
	v_writelane_b32 v106, s0, 9
	v_cmp_gt_i32_e64 s0, s89, v16
	v_mad_i32_i24 v49, 0xfffffe08, v6, v48
	v_bitop3_b32 v41, v0, v11, 0x3ff bitop3:0xa8
	v_cmp_le_i32_e64 s11, s89, v40
	v_dual_lshlrev_b32 v29, 9, v25 :: v_dual_sub_nc_u32 v54, 0, v27
	s_and_b32 s1, vcc_lo, s0
	v_cmp_gt_i32_e32 vcc_lo, s89, v37
	v_writelane_b32 v106, s1, 10
	v_mad_u32_u24 v50, 0x1f8, v6, v49
	v_dual_sub_nc_u32 v55, 0, v29 :: v_dual_lshlrev_b32 v17, 6, v35
	s_and_b32 s1, vcc_lo, s0
	v_cmp_gt_i32_e32 vcc_lo, s89, v5
	v_writelane_b32 v106, s1, 11
	v_mad_i32_i24 v51, 0xfffffe08, v6, v50
	v_and_b32_e32 v33, 0xfffffe00, v17
	v_dual_ashrrev_i32 v11, 31, v10 :: v_dual_ashrrev_i32 v17, 31, v16
	s_and_b32 s1, vcc_lo, s0
	s_delay_alu instid0(VALU_DEP_3) | instskip(SKIP_3) | instid1(VALU_DEP_4)
	v_mad_u32_u24 v52, 0x1f8, v6, v51
	v_writelane_b32 v106, s1, 12
	v_cmp_ge_u32_e64 s1, v6, v4
	v_dual_lshrrev_b32 v30, 4, v35 :: v_dual_bitop2_b32 v31, -8, v35 bitop3:0x40
	v_mad_i32_i24 v53, 0xfffffe08, v6, v52
	v_dual_sub_nc_u32 v59, 0, v33 :: v_dual_bitop2_b32 v58, 31, v0 bitop3:0x40
	s_or_b32 s7, s7, s1
	v_dual_lshlrev_b32 v64, 3, v14 :: v_dual_lshlrev_b32 v66, 3, v15
	v_writelane_b32 v106, s7, 13
	v_cmp_ge_u32_e64 s7, v6, v20
	v_mad_u32_u24 v56, 0x1f8, v6, v53
	v_lshl_add_u32 v65, v1, 3, 0x8000
	v_mul_u64_e32 v[0:1], s[72:73], v[12:13]
	v_mul_u64_e32 v[12:13], s[64:65], v[16:17]
	s_or_b32 s8, s8, s7
	v_mad_i32_i24 v57, 0xfffffe08, v6, v56
	v_writelane_b32 v106, s8, 14
	v_cmp_ge_u32_e64 s8, v6, v24
	v_mul_u64_e32 v[14:15], s[72:73], v[16:17]
	v_mbcnt_lo_u32_b32 v16, -1, 0
	v_mad_u32_u24 v60, 0x1f8, v6, v57
	v_dual_lshrrev_b32 v32, 5, v35 :: v_dual_lshlrev_b32 v34, 9, v30
	s_or_b32 s9, s9, s8
	v_dual_mov_b32 v5, v3 :: v_dual_add_nc_u32 v72, 0x8000, v31
	v_writelane_b32 v106, s9, 15
	v_cmp_ge_u32_e64 s9, v6, v28
	v_mad_i32_i24 v78, 0xfffffe08, v6, v60
	v_lshl_add_u32 v74, v30, 3, 0x8000
	v_dual_mov_b32 v30, 0 :: v_dual_lshlrev_b32 v31, 20, v16
	s_or_b32 s12, s16, s9
	s_delay_alu instid0(VALU_DEP_3)
	v_mad_u32_u24 v79, 0x1f8, v6, v78
	v_writelane_b32 v106, s12, 16
	v_cmp_gt_u32_e64 s12, 64, v41
	v_lshlrev_b32_e32 v16, 3, v4
                                        ; implicit-def: $vgpr97 : SGPR spill to VGPR lane
	v_dual_lshlrev_b32 v36, 9, v32 :: v_dual_sub_nc_u32 v61, 0, v34
	v_writelane_b32 v106, s62, 17
	v_mad_i32_i24 v80, 0xfffffe08, v6, v79
	s_delay_alu instid0(VALU_DEP_3) | instskip(SKIP_2) | instid1(VALU_DEP_4)
	v_dual_lshlrev_b32 v62, 3, v58 :: v_dual_sub_nc_u32 v63, 0, v36
	v_dual_sub_nc_u32 v67, v64, v27 :: v_dual_lshlrev_b32 v68, 3, v21
	v_writelane_b32 v106, s63, 18
	v_mad_u32_u24 v85, 0x1f8, v6, v80
	v_dual_mov_b32 v21, v3 :: v_dual_lshlrev_b32 v82, 3, v19
	v_or_b32_e32 v86, 0xa000, v16
	v_writelane_b32 v106, s34, 19
	s_delay_alu instid0(VALU_DEP_4)
	v_dual_add_nc_u32 v87, v85, v16 :: v_dual_bitop2_b32 v42, v20, v6 bitop3:0x54
	v_add_nc_u64_e32 v[16:17], src_flat_scratch_base_lo, v[30:31]
	v_mov_b32_e32 v30, 8
	v_writelane_b32 v106, s35, 20
	v_lshl_add_u32 v69, v25, 3, 0x8000
	v_dual_sub_nc_u32 v77, v62, v36 :: v_dual_lshlrev_b32 v81, 3, v18
	v_dual_lshlrev_b32 v83, 3, v23 :: v_dual_mov_b32 v25, v3
	v_writelane_b32 v106, s11, 21
	v_mul_u64_e32 v[18:19], s[64:65], v[20:21]
	v_add_nc_u64_e32 v[20:21], src_flat_scratch_base_lo, v[30:31]
	v_dual_mov_b32 v30, 16 :: v_dual_bitop2_b32 v43, v24, v6 bitop3:0x54
	v_writelane_b32 v106, s12, 22
	v_cmp_gt_u32_e64 s12, 0xf0, v35
	v_dual_lshlrev_b32 v70, 3, v22 :: v_dual_sub_nc_u32 v71, v66, v29
	v_mul_u64_e32 v[22:23], s[64:65], v[24:25]
	v_add_nc_u64_e32 v[24:25], src_flat_scratch_base_lo, v[30:31]
	s_delay_alu instid0(VALU_DEP_4) | instskip(SKIP_4) | instid1(VALU_DEP_4)
	v_writelane_b32 v106, s12, 23
	v_cmp_gt_u32_e64 s12, 0xe0, v35
	v_dual_mov_b32 v30, 24 :: v_dual_bitop2_b32 v44, v28, v6 bitop3:0x54
	v_mul_i32_i24_e32 v88, 0xfffffe08, v6
	v_lshl_add_u32 v76, v32, 3, 0x8000
	v_writelane_b32 v106, s12, 24
	v_cmp_gt_u32_e64 s12, 0xd0, v35
	v_dual_mov_b32 v29, v3 :: v_dual_lshlrev_b32 v84, 3, v26
	v_mad_u32_u24 v32, 0x1f8, v6, v88
	v_dual_sub_nc_u32 v73, v68, v33 :: v_dual_sub_nc_u32 v75, v70, v34
	s_delay_alu instid0(VALU_DEP_4)
	v_writelane_b32 v106, s12, 25
	v_cmp_gt_u32_e64 s12, 0xc0, v35
	v_mul_u64_e32 v[26:27], s[64:65], v[28:29]
	v_add_nc_u64_e32 v[28:29], src_flat_scratch_base_lo, v[30:31]
	v_mad_u32 v89, v32, 7, v9
	v_mul_u64_e32 v[30:31], s[72:73], v[2:3]
	v_writelane_b32 v106, s12, 26
	v_cmp_gt_u32_e64 s12, 0xb0, v35
	v_mul_u64_e32 v[32:33], s[64:65], v[4:5]
	v_cmp_lt_u32_e32 vcc_lo, 0x3ff, v35
	v_mov_b64_e32 v[36:37], 0
	v_mov_b64_e32 v[38:39], 0x3f800000
	v_writelane_b32 v106, s12, 27
	v_cmp_gt_u32_e64 s12, 0xa0, v35
	s_add_nc_u64 s[68:69], s[68:69], s[14:15]
	v_lshl_add_u32 v90, v8, 3, 0xa000
	v_lshl_add_u32 v91, v35, 3, 0x8000
	v_add_nc_u32_e32 v92, 0x8000, v9
	v_writelane_b32 v106, s12, 28
	v_cmp_gt_u32_e64 s12, 0x90, v35
	v_lshl_add_u32 v93, v4, 9, v78
	v_dual_add_nc_u32 v94, v86, v9 :: v_dual_lshlrev_b32 v34, 3, v6
	v_or_b32_e32 v95, 0x3800, v62
	s_delay_alu instid0(VALU_DEP_4)
	v_writelane_b32 v106, s12, 29
	v_cmp_gt_u32_e64 s12, 0x80, v35
	v_subrev_nc_u32_e32 v96, 31, v58
	v_cmp_eq_u32_e64 s11, 0, v41
	v_cmp_gt_u32_e64 s13, 2, v35
	v_cmp_gt_u32_e64 s14, 12, v35
	v_writelane_b32 v106, s12, 30
	v_cmp_gt_u32_e64 s12, 0x70, v35
	v_cmp_gt_u32_e64 s15, 8, v35
	;; [unrolled: 1-line block ×5, first 2 shown]
	v_writelane_b32 v106, s12, 31
	v_cmp_gt_u32_e64 s12, 0x60, v35
	v_cmp_gt_u32_e64 s19, 32, v35
	;; [unrolled: 1-line block ×4, first 2 shown]
	v_cmp_eq_u32_e64 s34, 0, v8
	v_writelane_b32 v97, s12, 0
	v_cmp_gt_u32_e64 s12, 0x50, v35
	v_cmp_gt_u32_e64 s35, 64, v8
	s_xor_b32 s10, vcc_lo, -1
	v_writelane_b32 v97, s12, 1
	v_cmp_gt_u32_e64 s12, 64, v42
	s_delay_alu instid0(VALU_DEP_1) | instskip(SKIP_1) | instid1(VALU_DEP_1)
	v_writelane_b32 v97, s12, 2
	v_cmp_gt_u32_e64 s12, 64, v43
	v_writelane_b32 v97, s12, 3
	v_cmp_gt_u32_e64 s12, 64, v44
	s_delay_alu instid0(VALU_DEP_1) | instskip(SKIP_1) | instid1(VALU_DEP_1)
	v_writelane_b32 v97, s12, 4
	v_cmp_gt_u32_e64 s12, 0x3e0, v35
	;; [unrolled: 5-line block ×13, first 2 shown]
	v_writelane_b32 v97, s12, 27
	s_branch .LBB62_3
.LBB62_2:                               ;   in Loop: Header=BB62_3 Depth=1
	s_wait_xcnt 0x0
	s_or_b32 exec_lo, exec_lo, s12
	s_add_co_i32 s76, s76, 0x10000
	global_wb scope:SCOPE_DEV
	s_wait_storecnt 0x0
	global_inv scope:SCOPE_DEV
	s_cmp_lt_u32 s76, s88
	s_cbranch_scc0 .LBB62_1112
.LBB62_3:                               ; =>This Loop Header: Depth=1
                                        ;     Child Loop BB62_539 Depth 2
                                        ;     Child Loop BB62_987 Depth 2
                                        ;       Child Loop BB62_989 Depth 3
                                        ;     Child Loop BB62_1018 Depth 2
	s_mul_u64 s[62:63], s[66:67], s[76:77]
	v_readlane_b32 s12, v106, 0
	s_lshl_b64 s[62:63], s[62:63], 3
	s_delay_alu instid0(SALU_CYCLE_1)
	s_add_nc_u64 s[62:63], s[82:83], s[62:63]
	s_and_not1_b32 vcc_lo, exec_lo, s12
	v_lshl_add_u64 v[40:41], v[12:13], 3, s[62:63]
	s_cbranch_vccnz .LBB62_15
; %bb.4:                                ;   in Loop: Header=BB62_3 Depth=1
	s_delay_alu instid0(VALU_DEP_1)
	v_lshl_add_u64 v[42:43], v[10:11], 3, v[40:41]
	v_dual_mov_b32 v44, 0 :: v_dual_mov_b32 v46, 0
	v_mov_b32_e32 v47, 0
	v_readlane_b32 s60, v106, 10
	s_barrier_signal -1
	s_barrier_wait -1
	s_and_saveexec_b32 s12, s60
	s_cbranch_execz .LBB62_6
; %bb.5:                                ;   in Loop: Header=BB62_3 Depth=1
	global_load_b64 v[46:47], v[42:43], off
.LBB62_6:                               ;   in Loop: Header=BB62_3 Depth=1
	s_wait_xcnt 0x0
	s_or_b32 exec_lo, exec_lo, s12
	v_mov_b32_e32 v45, 0
	v_readlane_b32 s60, v106, 11
	s_wait_loadcnt 0x0
	scratch_store_b64 off, v[46:47], off
	s_wait_storecnt 0x0
	s_barrier_signal -1
	s_barrier_wait -1
	s_wait_xcnt 0x0
	s_and_saveexec_b32 s12, s60
	s_cbranch_execz .LBB62_8
; %bb.7:                                ;   in Loop: Header=BB62_3 Depth=1
	global_load_b64 v[44:45], v[42:43], off offset:128
.LBB62_8:                               ;   in Loop: Header=BB62_3 Depth=1
	s_wait_xcnt 0x0
	s_or_b32 exec_lo, exec_lo, s12
	s_wait_loadcnt 0x0
	scratch_store_b64 off, v[44:45], off offset:8
	s_wait_xcnt 0x0
	v_dual_mov_b32 v44, 0 :: v_dual_mov_b32 v45, 0
	v_readlane_b32 s60, v106, 12
	s_wait_storecnt 0x0
	s_barrier_signal -1
	s_barrier_wait -1
	s_and_saveexec_b32 s12, s60
	s_cbranch_execz .LBB62_10
; %bb.9:                                ;   in Loop: Header=BB62_3 Depth=1
	global_load_b64 v[44:45], v[42:43], off offset:256
.LBB62_10:                              ;   in Loop: Header=BB62_3 Depth=1
	s_wait_xcnt 0x0
	s_or_b32 exec_lo, exec_lo, s12
	v_readlane_b32 s60, v106, 21
	s_wait_loadcnt 0x0
	scratch_store_b64 off, v[44:45], off offset:16
	s_wait_storecnt 0x0
	s_barrier_signal -1
	s_barrier_wait -1
	s_wait_xcnt 0x0
	s_and_saveexec_b32 s12, s60
	s_delay_alu instid0(SALU_CYCLE_1)
	s_xor_b32 s12, exec_lo, s12
	s_cbranch_execz .LBB62_12
; %bb.11:                               ;   in Loop: Header=BB62_3 Depth=1
	scratch_store_b64 off, v[36:37], off offset:24
                                        ; implicit-def: $vgpr42_vgpr43
.LBB62_12:                              ;   in Loop: Header=BB62_3 Depth=1
	s_wait_xcnt 0x0
	s_and_not1_saveexec_b32 s12, s12
	s_cbranch_execz .LBB62_14
; %bb.13:                               ;   in Loop: Header=BB62_3 Depth=1
	global_load_b64 v[42:43], v[42:43], off offset:384
	s_wait_loadcnt 0x0
	scratch_store_b64 off, v[42:43], off offset:24
.LBB62_14:                              ;   in Loop: Header=BB62_3 Depth=1
	s_wait_xcnt 0x0
	s_or_b32 exec_lo, exec_lo, s12
.LBB62_15:                              ;   in Loop: Header=BB62_3 Depth=1
	v_mov_b32_e32 v35, v3
	s_add_nc_u64 s[62:63], s[62:63], s[84:85]
	s_and_not1_b32 vcc_lo, exec_lo, s92
	s_mov_b32 s12, -1
	s_delay_alu instid0(VALU_DEP_1)
	v_add_nc_u64_e32 v[42:43], s[62:63], v[34:35]
	s_cbranch_vccnz .LBB62_26
; %bb.16:                               ;   in Loop: Header=BB62_3 Depth=1
	s_and_saveexec_b32 s12, s1
	s_delay_alu instid0(SALU_CYCLE_1)
	s_xor_b32 s12, exec_lo, s12
	s_cbranch_execnz .LBB62_1039
; %bb.17:                               ;   in Loop: Header=BB62_3 Depth=1
	s_and_not1_saveexec_b32 s12, s12
	s_cbranch_execnz .LBB62_1042
.LBB62_18:                              ;   in Loop: Header=BB62_3 Depth=1
	s_or_b32 exec_lo, exec_lo, s12
	s_and_saveexec_b32 s12, s7
	s_delay_alu instid0(SALU_CYCLE_1)
	s_xor_b32 s12, exec_lo, s12
	s_cbranch_execnz .LBB62_1043
.LBB62_19:                              ;   in Loop: Header=BB62_3 Depth=1
	s_and_not1_saveexec_b32 s12, s12
	s_cbranch_execnz .LBB62_1046
.LBB62_20:                              ;   in Loop: Header=BB62_3 Depth=1
	s_or_b32 exec_lo, exec_lo, s12
	s_and_saveexec_b32 s12, s8
	s_delay_alu instid0(SALU_CYCLE_1)
	s_xor_b32 s12, exec_lo, s12
	s_cbranch_execnz .LBB62_1047
.LBB62_21:                              ;   in Loop: Header=BB62_3 Depth=1
	s_and_not1_saveexec_b32 s12, s12
	s_cbranch_execnz .LBB62_1050
.LBB62_22:                              ;   in Loop: Header=BB62_3 Depth=1
	s_or_b32 exec_lo, exec_lo, s12
	s_and_saveexec_b32 s12, s9
	s_delay_alu instid0(SALU_CYCLE_1)
	s_xor_b32 s12, exec_lo, s12
	s_cbranch_execnz .LBB62_1051
.LBB62_23:                              ;   in Loop: Header=BB62_3 Depth=1
	s_and_not1_saveexec_b32 s12, s12
	s_cbranch_execz .LBB62_25
.LBB62_24:                              ;   in Loop: Header=BB62_3 Depth=1
	v_lshl_add_u64 v[44:45], v[26:27], 3, v[42:43]
	global_load_b64 v[44:45], v[44:45], off
	s_wait_loadcnt 0x0
	s_wait_xcnt 0x0
	v_pk_add_f32 v[44:45], v[44:45], 0 neg_lo:[1,1] neg_hi:[1,1]
	ds_store_b64 v84, v[44:45]
.LBB62_25:                              ;   in Loop: Header=BB62_3 Depth=1
	s_or_b32 exec_lo, exec_lo, s12
	s_mov_b32 s12, 0
.LBB62_26:                              ;   in Loop: Header=BB62_3 Depth=1
	s_delay_alu instid0(SALU_CYCLE_1)
	s_and_b32 vcc_lo, exec_lo, s12
	s_cbranch_vccz .LBB62_52
; %bb.27:                               ;   in Loop: Header=BB62_3 Depth=1
	v_readlane_b32 s60, v106, 13
	s_and_saveexec_b32 s12, s60
	s_delay_alu instid0(SALU_CYCLE_1)
	s_xor_b32 s12, exec_lo, s12
	s_cbranch_execz .LBB62_31
; %bb.28:                               ;   in Loop: Header=BB62_3 Depth=1
	v_readlane_b32 s60, v106, 22
	s_and_saveexec_b32 s62, s60
; %bb.29:                               ;   in Loop: Header=BB62_3 Depth=1
	ds_store_b64 v87, v[36:37]
; %bb.30:                               ;   in Loop: Header=BB62_3 Depth=1
	s_or_b32 exec_lo, exec_lo, s62
.LBB62_31:                              ;   in Loop: Header=BB62_3 Depth=1
	s_and_not1_saveexec_b32 s12, s12
	s_cbranch_execz .LBB62_33
; %bb.32:                               ;   in Loop: Header=BB62_3 Depth=1
	v_lshl_add_u64 v[44:45], v[32:33], 3, v[42:43]
	global_load_b64 v[44:45], v[44:45], off
	s_wait_loadcnt 0x0
	s_wait_xcnt 0x0
	v_pk_add_f32 v[44:45], v[44:45], 0 neg_lo:[1,1] neg_hi:[1,1]
	ds_store_b64 v87, v[44:45]
.LBB62_33:                              ;   in Loop: Header=BB62_3 Depth=1
	s_or_b32 exec_lo, exec_lo, s12
	v_readlane_b32 s60, v106, 14
	s_and_saveexec_b32 s12, s60
	s_delay_alu instid0(SALU_CYCLE_1)
	s_xor_b32 s12, exec_lo, s12
	s_cbranch_execz .LBB62_37
; %bb.34:                               ;   in Loop: Header=BB62_3 Depth=1
	v_readlane_b32 s60, v97, 2
	s_and_saveexec_b32 s62, s60
; %bb.35:                               ;   in Loop: Header=BB62_3 Depth=1
	ds_store_b64 v82, v[36:37]
; %bb.36:                               ;   in Loop: Header=BB62_3 Depth=1
	s_or_b32 exec_lo, exec_lo, s62
.LBB62_37:                              ;   in Loop: Header=BB62_3 Depth=1
	s_and_not1_saveexec_b32 s12, s12
	s_cbranch_execz .LBB62_39
; %bb.38:                               ;   in Loop: Header=BB62_3 Depth=1
	v_lshl_add_u64 v[44:45], v[18:19], 3, v[42:43]
	global_load_b64 v[44:45], v[44:45], off
	s_wait_loadcnt 0x0
	s_wait_xcnt 0x0
	v_pk_add_f32 v[44:45], v[44:45], 0 neg_lo:[1,1] neg_hi:[1,1]
	ds_store_b64 v82, v[44:45]
.LBB62_39:                              ;   in Loop: Header=BB62_3 Depth=1
	s_or_b32 exec_lo, exec_lo, s12
	;; [unrolled: 24-line block ×3, first 2 shown]
	v_readlane_b32 s60, v106, 16
	s_and_saveexec_b32 s12, s60
	s_delay_alu instid0(SALU_CYCLE_1)
	s_xor_b32 s12, exec_lo, s12
	s_cbranch_execz .LBB62_49
; %bb.46:                               ;   in Loop: Header=BB62_3 Depth=1
	v_readlane_b32 s60, v97, 4
	s_and_saveexec_b32 s62, s60
; %bb.47:                               ;   in Loop: Header=BB62_3 Depth=1
	ds_store_b64 v84, v[36:37]
; %bb.48:                               ;   in Loop: Header=BB62_3 Depth=1
	s_or_b32 exec_lo, exec_lo, s62
                                        ; implicit-def: $vgpr42_vgpr43
.LBB62_49:                              ;   in Loop: Header=BB62_3 Depth=1
	s_and_not1_saveexec_b32 s12, s12
	s_cbranch_execz .LBB62_51
; %bb.50:                               ;   in Loop: Header=BB62_3 Depth=1
	v_lshl_add_u64 v[42:43], v[26:27], 3, v[42:43]
	global_load_b64 v[42:43], v[42:43], off
	s_wait_loadcnt 0x0
	s_wait_xcnt 0x0
	v_pk_add_f32 v[42:43], v[42:43], 0 neg_lo:[1,1] neg_hi:[1,1]
	ds_store_b64 v84, v[42:43]
.LBB62_51:                              ;   in Loop: Header=BB62_3 Depth=1
	s_or_b32 exec_lo, exec_lo, s12
.LBB62_52:                              ;   in Loop: Header=BB62_3 Depth=1
	s_delay_alu instid0(SALU_CYCLE_1)
	s_and_not1_b32 vcc_lo, exec_lo, s93
	s_wait_storecnt_dscnt 0x0
	s_barrier_signal -1
	s_barrier_wait -1
	s_cbranch_vccnz .LBB62_982
; %bb.53:                               ;   in Loop: Header=BB62_3 Depth=1
	s_and_saveexec_b32 s12, s11
	s_cbranch_execz .LBB62_55
; %bb.54:                               ;   in Loop: Header=BB62_3 Depth=1
	ds_load_b64 v[42:43], v3 offset:32752
	v_add_nc_u32_e64 v2, 0x7800, 0
	ds_store_b64 v3, v[38:39] offset:32760
	s_wait_dscnt 0x1
	ds_store_2addr_b64 v2, v[38:39], v[42:43] offset0:190 offset1:191
.LBB62_55:                              ;   in Loop: Header=BB62_3 Depth=1
	s_or_b32 exec_lo, exec_lo, s12
	v_dual_mov_b32 v42, 0 :: v_dual_mov_b32 v43, 0
	s_wait_dscnt 0x0
	s_barrier_signal -1
	s_barrier_wait -1
	global_wb scope:SCOPE_DEV
	s_wait_storecnt 0x0
	global_inv scope:SCOPE_DEV
	s_and_saveexec_b32 s62, s2
	s_cbranch_execz .LBB62_59
; %bb.56:                               ;   in Loop: Header=BB62_3 Depth=1
	ds_load_b64 v[42:43], v64 offset:32224
	ds_load_b64 v[44:45], v54 offset:32752
	s_wait_dscnt 0x0
	v_pk_mul_f32 v[46:47], v[44:45], v[42:43] op_sel:[1,1] op_sel_hi:[0,1]
	s_delay_alu instid0(VALU_DEP_1) | instskip(SKIP_1) | instid1(VALU_DEP_2)
	v_pk_fma_f32 v[98:99], v[44:45], v[42:43], v[46:47] op_sel_hi:[1,0,1]
	v_pk_fma_f32 v[42:43], v[44:45], v[42:43], v[46:47] neg_lo:[0,0,1] neg_hi:[0,0,1]
	v_mov_b32_e32 v43, v99
	s_delay_alu instid0(VALU_DEP_1)
	v_pk_add_f32 v[42:43], v[42:43], 0 op_sel_hi:[1,0]
	s_and_saveexec_b32 s12, s13
	s_cbranch_execz .LBB62_58
; %bb.57:                               ;   in Loop: Header=BB62_3 Depth=1
	ds_load_b64 v[44:45], v9 offset:32736
	ds_load_b64 v[46:47], v3 offset:32760
	s_wait_dscnt 0x0
	v_pk_mul_f32 v[98:99], v[46:47], v[44:45] op_sel:[1,1] op_sel_hi:[0,1]
	s_delay_alu instid0(VALU_DEP_1) | instskip(SKIP_1) | instid1(VALU_DEP_2)
	v_pk_fma_f32 v[100:101], v[46:47], v[44:45], v[98:99] op_sel_hi:[1,0,1]
	v_pk_fma_f32 v[44:45], v[46:47], v[44:45], v[98:99] neg_lo:[0,0,1] neg_hi:[0,0,1]
	v_mov_b32_e32 v45, v101
	s_delay_alu instid0(VALU_DEP_1)
	v_pk_add_f32 v[42:43], v[42:43], v[44:45]
.LBB62_58:                              ;   in Loop: Header=BB62_3 Depth=1
	s_or_b32 exec_lo, exec_lo, s12
.LBB62_59:                              ;   in Loop: Header=BB62_3 Depth=1
	s_delay_alu instid0(SALU_CYCLE_1)
	s_or_b32 exec_lo, exec_lo, s62
	s_and_saveexec_b32 s12, s94
; %bb.60:                               ;   in Loop: Header=BB62_3 Depth=1
	s_delay_alu instid0(VALU_DEP_1)
	v_pk_add_f32 v[44:45], v[42:43], 0 neg_lo:[1,1] neg_hi:[1,1]
	ds_store_b64 v65, v[44:45]
; %bb.61:                               ;   in Loop: Header=BB62_3 Depth=1
	s_or_b32 exec_lo, exec_lo, s12
	s_wait_loadcnt_dscnt 0x0
	s_barrier_signal -1
	s_barrier_wait -1
	s_and_saveexec_b32 s12, s95
	s_cbranch_execz .LBB62_63
; %bb.62:                               ;   in Loop: Header=BB62_3 Depth=1
	ds_load_b64 v[44:45], v3 offset:31712
	ds_load_b64 v[46:47], v65
	s_wait_dscnt 0x0
	v_pk_mul_f32 v[98:99], v[46:47], v[44:45] op_sel_hi:[1,0]
	s_delay_alu instid0(VALU_DEP_1) | instskip(SKIP_1) | instid1(VALU_DEP_2)
	v_pk_fma_f32 v[100:101], v[46:47], v[44:45], v[98:99] op_sel:[1,1,0] op_sel_hi:[0,1,1]
	v_pk_fma_f32 v[44:45], v[46:47], v[44:45], v[98:99] op_sel:[1,1,0] op_sel_hi:[0,1,1] neg_lo:[0,0,1] neg_hi:[0,0,1]
	v_pk_add_f32 v[46:47], v[42:43], v[100:101] neg_lo:[0,1] neg_hi:[0,1]
	s_delay_alu instid0(VALU_DEP_2) | instskip(NEXT) | instid1(VALU_DEP_2)
	v_pk_add_f32 v[42:43], v[42:43], v[44:45]
	v_mov_b32_e32 v43, v47
.LBB62_63:                              ;   in Loop: Header=BB62_3 Depth=1
	s_or_b32 exec_lo, exec_lo, s12
	s_barrier_signal -1
	s_barrier_wait -1
	s_and_saveexec_b32 s12, s95
; %bb.64:                               ;   in Loop: Header=BB62_3 Depth=1
	v_pk_add_f32 v[44:45], v[42:43], 0 neg_lo:[1,1] neg_hi:[1,1]
	ds_store_b64 v65, v[44:45]
; %bb.65:                               ;   in Loop: Header=BB62_3 Depth=1
	s_or_b32 exec_lo, exec_lo, s12
	s_wait_dscnt 0x0
	s_barrier_signal -1
	s_barrier_wait -1
	s_barrier_signal -1
	s_barrier_wait -1
	s_and_saveexec_b32 s12, s2
; %bb.66:                               ;   in Loop: Header=BB62_3 Depth=1
	ds_store_b64 v67, v[42:43] offset:32736
; %bb.67:                               ;   in Loop: Header=BB62_3 Depth=1
	s_or_b32 exec_lo, exec_lo, s12
	s_wait_dscnt 0x0
	s_barrier_signal -1
	s_barrier_wait -1
	s_barrier_signal -1
	s_barrier_wait -1
	s_and_saveexec_b32 s12, s96
	s_cbranch_execz .LBB62_69
; %bb.68:                               ;   in Loop: Header=BB62_3 Depth=1
	ds_load_b64 v[42:43], v48 offset:32224
	s_wait_dscnt 0x0
	ds_store_b64 v9, v[42:43] offset:31216
	ds_load_b64 v[42:43], v48 offset:32232
	s_wait_dscnt 0x0
	ds_store_b64 v9, v[42:43] offset:31728
.LBB62_69:                              ;   in Loop: Header=BB62_3 Depth=1
	s_or_b32 exec_lo, exec_lo, s12
	s_wait_dscnt 0x0
	s_barrier_signal -1
	s_barrier_wait -1
	s_and_saveexec_b32 s12, s11
	s_cbranch_execz .LBB62_71
; %bb.70:                               ;   in Loop: Header=BB62_3 Depth=1
	ds_load_b64 v[42:43], v3 offset:31712
	v_add_nc_u32_e64 v2, 0x7800, 0
	ds_store_b64 v3, v[38:39] offset:31720
	s_wait_dscnt 0x1
	ds_store_2addr_b64 v2, v[38:39], v[42:43] offset0:60 offset1:61
.LBB62_71:                              ;   in Loop: Header=BB62_3 Depth=1
	s_or_b32 exec_lo, exec_lo, s12
	v_mov_b64_e32 v[42:43], 0
	s_wait_dscnt 0x0
	s_barrier_signal -1
	s_barrier_wait -1
	global_wb scope:SCOPE_DEV
	s_wait_storecnt 0x0
	global_inv scope:SCOPE_DEV
	s_and_saveexec_b32 s62, s4
	s_cbranch_execz .LBB62_77
; %bb.72:                               ;   in Loop: Header=BB62_3 Depth=1
	ds_load_b64 v[42:43], v66 offset:31168
	ds_load_b64 v[44:45], v55 offset:32736
	s_wait_dscnt 0x0
	v_dual_mul_f32 v2, v45, v43 :: v_dual_mul_f32 v5, v44, v43
	s_delay_alu instid0(VALU_DEP_1) | instskip(NEXT) | instid1(VALU_DEP_1)
	v_dual_fma_f32 v2, v44, v42, -v2 :: v_dual_fmac_f32 v5, v45, v42
	v_dual_add_f32 v42, 0, v2 :: v_dual_add_f32 v43, 0, v5
	s_and_saveexec_b32 s12, s14
	s_cbranch_execnz .LBB62_1062
; %bb.73:                               ;   in Loop: Header=BB62_3 Depth=1
	s_or_b32 exec_lo, exec_lo, s12
	s_and_saveexec_b32 s12, s15
	s_cbranch_execnz .LBB62_1063
.LBB62_74:                              ;   in Loop: Header=BB62_3 Depth=1
	s_or_b32 exec_lo, exec_lo, s12
	s_and_saveexec_b32 s12, s2
	s_cbranch_execz .LBB62_76
.LBB62_75:                              ;   in Loop: Header=BB62_3 Depth=1
	ds_load_b64 v[44:45], v49 offset:32704
	ds_load_b64 v[46:47], v3 offset:32760
	s_wait_dscnt 0x0
	v_pk_mul_f32 v[98:99], v[46:47], v[44:45] op_sel:[1,1] op_sel_hi:[0,1]
	s_delay_alu instid0(VALU_DEP_1) | instskip(SKIP_1) | instid1(VALU_DEP_2)
	v_pk_fma_f32 v[100:101], v[46:47], v[44:45], v[98:99] op_sel_hi:[1,0,1]
	v_pk_fma_f32 v[44:45], v[46:47], v[44:45], v[98:99] neg_lo:[0,0,1] neg_hi:[0,0,1]
	v_mov_b32_e32 v45, v101
	s_delay_alu instid0(VALU_DEP_1)
	v_pk_add_f32 v[42:43], v[42:43], v[44:45]
.LBB62_76:                              ;   in Loop: Header=BB62_3 Depth=1
	s_or_b32 exec_lo, exec_lo, s12
.LBB62_77:                              ;   in Loop: Header=BB62_3 Depth=1
	s_delay_alu instid0(SALU_CYCLE_1)
	s_or_b32 exec_lo, exec_lo, s62
	s_and_saveexec_b32 s12, s97
; %bb.78:                               ;   in Loop: Header=BB62_3 Depth=1
	s_delay_alu instid0(VALU_DEP_1)
	v_pk_add_f32 v[44:45], v[42:43], 0 neg_lo:[1,1] neg_hi:[1,1]
	ds_store_b64 v69, v[44:45]
; %bb.79:                               ;   in Loop: Header=BB62_3 Depth=1
	s_or_b32 exec_lo, exec_lo, s12
	s_wait_loadcnt_dscnt 0x0
	s_barrier_signal -1
	s_barrier_wait -1
	s_and_saveexec_b32 s12, s98
	s_cbranch_execz .LBB62_81
; %bb.80:                               ;   in Loop: Header=BB62_3 Depth=1
	ds_load_b64 v[44:45], v66 offset:30656
	ds_load_b64 v[46:47], v69
	s_wait_dscnt 0x0
	v_pk_mul_f32 v[98:99], v[46:47], v[44:45] op_sel:[1,1] op_sel_hi:[0,1]
	s_delay_alu instid0(VALU_DEP_1) | instskip(SKIP_1) | instid1(VALU_DEP_2)
	v_pk_fma_f32 v[100:101], v[46:47], v[44:45], v[98:99] op_sel_hi:[1,0,1]
	v_pk_fma_f32 v[44:45], v[46:47], v[44:45], v[98:99] neg_lo:[0,0,1] neg_hi:[0,0,1]
	v_mov_b32_e32 v45, v101
	s_delay_alu instid0(VALU_DEP_1)
	v_pk_add_f32 v[42:43], v[42:43], v[44:45] neg_lo:[0,1] neg_hi:[0,1]
.LBB62_81:                              ;   in Loop: Header=BB62_3 Depth=1
	s_or_b32 exec_lo, exec_lo, s12
	s_barrier_signal -1
	s_barrier_wait -1
	s_and_saveexec_b32 s12, s99
; %bb.82:                               ;   in Loop: Header=BB62_3 Depth=1
	v_pk_add_f32 v[44:45], v[42:43], 0 neg_lo:[1,1] neg_hi:[1,1]
	ds_store_b64 v69, v[44:45]
; %bb.83:                               ;   in Loop: Header=BB62_3 Depth=1
	s_or_b32 exec_lo, exec_lo, s12
	s_wait_dscnt 0x0
	s_barrier_signal -1
	s_barrier_wait -1
	s_and_saveexec_b32 s12, s100
	s_cbranch_execz .LBB62_85
; %bb.84:                               ;   in Loop: Header=BB62_3 Depth=1
	ds_load_b64 v[44:45], v66 offset:30144
	ds_load_b64 v[46:47], v69
	s_wait_dscnt 0x0
	v_pk_mul_f32 v[98:99], v[46:47], v[44:45] op_sel:[1,1] op_sel_hi:[0,1]
	s_delay_alu instid0(VALU_DEP_1) | instskip(SKIP_1) | instid1(VALU_DEP_2)
	v_pk_fma_f32 v[100:101], v[46:47], v[44:45], v[98:99] op_sel_hi:[1,0,1]
	v_pk_fma_f32 v[44:45], v[46:47], v[44:45], v[98:99] neg_lo:[0,0,1] neg_hi:[0,0,1]
	v_mov_b32_e32 v45, v101
	s_delay_alu instid0(VALU_DEP_1)
	v_pk_add_f32 v[42:43], v[42:43], v[44:45] neg_lo:[0,1] neg_hi:[0,1]
.LBB62_85:                              ;   in Loop: Header=BB62_3 Depth=1
	s_or_b32 exec_lo, exec_lo, s12
	s_barrier_signal -1
	s_barrier_wait -1
	s_and_saveexec_b32 s12, s101
; %bb.86:                               ;   in Loop: Header=BB62_3 Depth=1
	v_pk_add_f32 v[44:45], v[42:43], 0 neg_lo:[1,1] neg_hi:[1,1]
	ds_store_b64 v69, v[44:45]
; %bb.87:                               ;   in Loop: Header=BB62_3 Depth=1
	s_or_b32 exec_lo, exec_lo, s12
	s_wait_dscnt 0x0
	;; [unrolled: 26-line block ×3, first 2 shown]
	s_barrier_signal -1
	s_barrier_wait -1
	s_barrier_signal -1
	s_barrier_wait -1
	s_and_saveexec_b32 s12, s4
; %bb.92:                               ;   in Loop: Header=BB62_3 Depth=1
	ds_store_b64 v71, v[42:43] offset:32704
; %bb.93:                               ;   in Loop: Header=BB62_3 Depth=1
	s_or_b32 exec_lo, exec_lo, s12
	s_wait_dscnt 0x0
	s_barrier_signal -1
	s_barrier_wait -1
	s_barrier_signal -1
	s_barrier_wait -1
	s_and_saveexec_b32 s12, s103
	s_cbranch_execz .LBB62_95
; %bb.94:                               ;   in Loop: Header=BB62_3 Depth=1
	ds_load_b64 v[42:43], v50 offset:31168
	s_wait_dscnt 0x0
	ds_store_b64 v51, v[42:43] offset:29152
	ds_load_b64 v[42:43], v50 offset:31176
	s_wait_dscnt 0x0
	ds_store_b64 v51, v[42:43] offset:29664
	;; [unrolled: 3-line block ×4, first 2 shown]
.LBB62_95:                              ;   in Loop: Header=BB62_3 Depth=1
	s_or_b32 exec_lo, exec_lo, s12
	s_wait_dscnt 0x0
	s_barrier_signal -1
	s_barrier_wait -1
	s_and_saveexec_b32 s12, s11
	s_cbranch_execz .LBB62_97
; %bb.96:                               ;   in Loop: Header=BB62_3 Depth=1
	ds_load_b64 v[42:43], v3 offset:30672
	v_add_nc_u32_e64 v2, 0x7000, 0
	ds_store_b64 v3, v[38:39] offset:30680
	s_wait_dscnt 0x1
	ds_store_2addr_b64 v2, v[38:39], v[42:43] offset0:186 offset1:187
.LBB62_97:                              ;   in Loop: Header=BB62_3 Depth=1
	s_or_b32 exec_lo, exec_lo, s12
	v_dual_mov_b32 v42, 0 :: v_dual_mov_b32 v43, 0
	s_wait_dscnt 0x0
	s_barrier_signal -1
	s_barrier_wait -1
	global_wb scope:SCOPE_DEV
	s_wait_storecnt 0x0
	global_inv scope:SCOPE_DEV
	s_and_saveexec_b32 s62, s2
	s_cbranch_execz .LBB62_101
; %bb.98:                               ;   in Loop: Header=BB62_3 Depth=1
	ds_load_b64 v[42:43], v64 offset:30144
	ds_load_b64 v[44:45], v54 offset:30672
	s_wait_dscnt 0x0
	v_pk_mul_f32 v[46:47], v[44:45], v[42:43] op_sel:[1,1] op_sel_hi:[0,1]
	s_delay_alu instid0(VALU_DEP_1) | instskip(SKIP_1) | instid1(VALU_DEP_2)
	v_pk_fma_f32 v[98:99], v[44:45], v[42:43], v[46:47] op_sel_hi:[1,0,1]
	v_pk_fma_f32 v[42:43], v[44:45], v[42:43], v[46:47] neg_lo:[0,0,1] neg_hi:[0,0,1]
	v_mov_b32_e32 v43, v99
	s_delay_alu instid0(VALU_DEP_1)
	v_pk_add_f32 v[42:43], v[42:43], 0 op_sel_hi:[1,0]
	s_and_saveexec_b32 s12, s13
	s_cbranch_execz .LBB62_100
; %bb.99:                               ;   in Loop: Header=BB62_3 Depth=1
	ds_load_b64 v[44:45], v51 offset:30656
	ds_load_b64 v[46:47], v3 offset:30680
	s_wait_dscnt 0x0
	v_pk_mul_f32 v[98:99], v[46:47], v[44:45] op_sel:[1,1] op_sel_hi:[0,1]
	s_delay_alu instid0(VALU_DEP_1) | instskip(SKIP_1) | instid1(VALU_DEP_2)
	v_pk_fma_f32 v[100:101], v[46:47], v[44:45], v[98:99] op_sel_hi:[1,0,1]
	v_pk_fma_f32 v[44:45], v[46:47], v[44:45], v[98:99] neg_lo:[0,0,1] neg_hi:[0,0,1]
	v_mov_b32_e32 v45, v101
	s_delay_alu instid0(VALU_DEP_1)
	v_pk_add_f32 v[42:43], v[42:43], v[44:45]
.LBB62_100:                             ;   in Loop: Header=BB62_3 Depth=1
	s_or_b32 exec_lo, exec_lo, s12
.LBB62_101:                             ;   in Loop: Header=BB62_3 Depth=1
	s_delay_alu instid0(SALU_CYCLE_1)
	s_or_b32 exec_lo, exec_lo, s62
	s_and_saveexec_b32 s12, s94
; %bb.102:                              ;   in Loop: Header=BB62_3 Depth=1
	s_delay_alu instid0(VALU_DEP_1)
	v_pk_add_f32 v[44:45], v[42:43], 0 neg_lo:[1,1] neg_hi:[1,1]
	ds_store_b64 v65, v[44:45]
; %bb.103:                              ;   in Loop: Header=BB62_3 Depth=1
	s_or_b32 exec_lo, exec_lo, s12
	s_wait_loadcnt_dscnt 0x0
	s_barrier_signal -1
	s_barrier_wait -1
	s_and_saveexec_b32 s12, s95
	s_cbranch_execz .LBB62_105
; %bb.104:                              ;   in Loop: Header=BB62_3 Depth=1
	ds_load_b64 v[44:45], v3 offset:29632
	ds_load_b64 v[46:47], v65
	s_wait_dscnt 0x0
	v_pk_mul_f32 v[98:99], v[46:47], v[44:45] op_sel_hi:[1,0]
	s_delay_alu instid0(VALU_DEP_1) | instskip(SKIP_1) | instid1(VALU_DEP_2)
	v_pk_fma_f32 v[100:101], v[46:47], v[44:45], v[98:99] op_sel:[1,1,0] op_sel_hi:[0,1,1]
	v_pk_fma_f32 v[44:45], v[46:47], v[44:45], v[98:99] op_sel:[1,1,0] op_sel_hi:[0,1,1] neg_lo:[0,0,1] neg_hi:[0,0,1]
	v_pk_add_f32 v[46:47], v[42:43], v[100:101] neg_lo:[0,1] neg_hi:[0,1]
	s_delay_alu instid0(VALU_DEP_2) | instskip(NEXT) | instid1(VALU_DEP_2)
	v_pk_add_f32 v[42:43], v[42:43], v[44:45]
	v_mov_b32_e32 v43, v47
.LBB62_105:                             ;   in Loop: Header=BB62_3 Depth=1
	s_or_b32 exec_lo, exec_lo, s12
	s_barrier_signal -1
	s_barrier_wait -1
	s_and_saveexec_b32 s12, s95
; %bb.106:                              ;   in Loop: Header=BB62_3 Depth=1
	v_pk_add_f32 v[44:45], v[42:43], 0 neg_lo:[1,1] neg_hi:[1,1]
	ds_store_b64 v65, v[44:45]
; %bb.107:                              ;   in Loop: Header=BB62_3 Depth=1
	s_or_b32 exec_lo, exec_lo, s12
	s_wait_dscnt 0x0
	s_barrier_signal -1
	s_barrier_wait -1
	s_barrier_signal -1
	s_barrier_wait -1
	s_and_saveexec_b32 s12, s2
; %bb.108:                              ;   in Loop: Header=BB62_3 Depth=1
	ds_store_b64 v67, v[42:43] offset:30656
; %bb.109:                              ;   in Loop: Header=BB62_3 Depth=1
	s_or_b32 exec_lo, exec_lo, s12
	s_wait_dscnt 0x0
	s_barrier_signal -1
	s_barrier_wait -1
	s_barrier_signal -1
	s_barrier_wait -1
	s_and_saveexec_b32 s12, s96
	s_cbranch_execz .LBB62_111
; %bb.110:                              ;   in Loop: Header=BB62_3 Depth=1
	ds_load_b64 v[42:43], v52 offset:30144
	s_wait_dscnt 0x0
	ds_store_b64 v51, v[42:43] offset:29136
	ds_load_b64 v[42:43], v52 offset:30152
	s_wait_dscnt 0x0
	ds_store_b64 v51, v[42:43] offset:29648
.LBB62_111:                             ;   in Loop: Header=BB62_3 Depth=1
	s_or_b32 exec_lo, exec_lo, s12
	s_wait_dscnt 0x0
	s_barrier_signal -1
	s_barrier_wait -1
	s_and_saveexec_b32 s12, s11
	s_cbranch_execz .LBB62_113
; %bb.112:                              ;   in Loop: Header=BB62_3 Depth=1
	ds_load_b64 v[42:43], v3 offset:29632
	v_add_nc_u32_e64 v2, 0x7000, 0
	ds_store_b64 v3, v[38:39] offset:29640
	s_wait_dscnt 0x1
	ds_store_2addr_b64 v2, v[38:39], v[42:43] offset0:56 offset1:57
.LBB62_113:                             ;   in Loop: Header=BB62_3 Depth=1
	s_or_b32 exec_lo, exec_lo, s12
	v_mov_b64_e32 v[42:43], 0
	s_wait_dscnt 0x0
	s_barrier_signal -1
	s_barrier_wait -1
	global_wb scope:SCOPE_DEV
	s_wait_storecnt 0x0
	global_inv scope:SCOPE_DEV
	s_and_saveexec_b32 s62, s5
	s_cbranch_execz .LBB62_123
; %bb.114:                              ;   in Loop: Header=BB62_3 Depth=1
	ds_load_b64 v[42:43], v68 offset:29056
	ds_load_b64 v[44:45], v59 offset:32704
	s_wait_dscnt 0x0
	v_dual_mul_f32 v2, v45, v43 :: v_dual_mul_f32 v5, v44, v43
	s_delay_alu instid0(VALU_DEP_1) | instskip(NEXT) | instid1(VALU_DEP_1)
	v_dual_fma_f32 v2, v44, v42, -v2 :: v_dual_fmac_f32 v5, v45, v42
	v_dual_add_f32 v42, 0, v2 :: v_dual_add_f32 v43, 0, v5
	s_and_saveexec_b32 s12, s16
	s_cbranch_execnz .LBB62_1064
; %bb.115:                              ;   in Loop: Header=BB62_3 Depth=1
	s_or_b32 exec_lo, exec_lo, s12
	s_and_saveexec_b32 s12, s17
	s_cbranch_execnz .LBB62_1065
.LBB62_116:                             ;   in Loop: Header=BB62_3 Depth=1
	s_or_b32 exec_lo, exec_lo, s12
	s_and_saveexec_b32 s12, s18
	s_cbranch_execnz .LBB62_1066
.LBB62_117:                             ;   in Loop: Header=BB62_3 Depth=1
	s_or_b32 exec_lo, exec_lo, s12
	s_and_saveexec_b32 s12, s19
	s_cbranch_execnz .LBB62_1067
.LBB62_118:                             ;   in Loop: Header=BB62_3 Depth=1
	s_or_b32 exec_lo, exec_lo, s12
	s_and_saveexec_b32 s12, s20
	s_cbranch_execnz .LBB62_1068
.LBB62_119:                             ;   in Loop: Header=BB62_3 Depth=1
	s_or_b32 exec_lo, exec_lo, s12
	s_and_saveexec_b32 s12, s4
	s_cbranch_execnz .LBB62_1069
.LBB62_120:                             ;   in Loop: Header=BB62_3 Depth=1
	s_or_b32 exec_lo, exec_lo, s12
	s_and_saveexec_b32 s12, s15
	s_cbranch_execz .LBB62_122
.LBB62_121:                             ;   in Loop: Header=BB62_3 Depth=1
	ds_load_b64 v[44:45], v53 offset:32640
	ds_load_b64 v[46:47], v3 offset:32760
	s_wait_dscnt 0x0
	v_pk_mul_f32 v[98:99], v[46:47], v[44:45] op_sel:[1,1] op_sel_hi:[0,1]
	s_delay_alu instid0(VALU_DEP_1) | instskip(SKIP_1) | instid1(VALU_DEP_2)
	v_pk_fma_f32 v[100:101], v[46:47], v[44:45], v[98:99] op_sel_hi:[1,0,1]
	v_pk_fma_f32 v[44:45], v[46:47], v[44:45], v[98:99] neg_lo:[0,0,1] neg_hi:[0,0,1]
	v_mov_b32_e32 v45, v101
	s_delay_alu instid0(VALU_DEP_1)
	v_pk_add_f32 v[42:43], v[42:43], v[44:45]
.LBB62_122:                             ;   in Loop: Header=BB62_3 Depth=1
	s_or_b32 exec_lo, exec_lo, s12
.LBB62_123:                             ;   in Loop: Header=BB62_3 Depth=1
	s_delay_alu instid0(SALU_CYCLE_1)
	s_or_b32 exec_lo, exec_lo, s62
	s_and_saveexec_b32 s12, s104
; %bb.124:                              ;   in Loop: Header=BB62_3 Depth=1
	s_delay_alu instid0(VALU_DEP_1)
	v_pk_add_f32 v[44:45], v[42:43], 0 neg_lo:[1,1] neg_hi:[1,1]
	ds_store_b64 v72, v[44:45]
; %bb.125:                              ;   in Loop: Header=BB62_3 Depth=1
	s_or_b32 exec_lo, exec_lo, s12
	s_wait_loadcnt_dscnt 0x0
	s_barrier_signal -1
	s_barrier_wait -1
	s_and_saveexec_b32 s12, vcc_hi
	s_cbranch_execz .LBB62_127
; %bb.126:                              ;   in Loop: Header=BB62_3 Depth=1
	ds_load_b64 v[44:45], v68 offset:28544
	ds_load_b64 v[46:47], v72
	s_wait_dscnt 0x0
	v_pk_mul_f32 v[98:99], v[46:47], v[44:45] op_sel:[1,1] op_sel_hi:[0,1]
	s_delay_alu instid0(VALU_DEP_1) | instskip(SKIP_1) | instid1(VALU_DEP_2)
	v_pk_fma_f32 v[100:101], v[46:47], v[44:45], v[98:99] op_sel_hi:[1,0,1]
	v_pk_fma_f32 v[44:45], v[46:47], v[44:45], v[98:99] neg_lo:[0,0,1] neg_hi:[0,0,1]
	v_mov_b32_e32 v45, v101
	s_delay_alu instid0(VALU_DEP_1)
	v_pk_add_f32 v[42:43], v[42:43], v[44:45] neg_lo:[0,1] neg_hi:[0,1]
.LBB62_127:                             ;   in Loop: Header=BB62_3 Depth=1
	s_or_b32 exec_lo, exec_lo, s12
	s_barrier_signal -1
	s_barrier_wait -1
	s_and_saveexec_b32 s12, s39
; %bb.128:                              ;   in Loop: Header=BB62_3 Depth=1
	v_pk_add_f32 v[44:45], v[42:43], 0 neg_lo:[1,1] neg_hi:[1,1]
	ds_store_b64 v72, v[44:45]
; %bb.129:                              ;   in Loop: Header=BB62_3 Depth=1
	s_or_b32 exec_lo, exec_lo, s12
	s_wait_dscnt 0x0
	s_barrier_signal -1
	s_barrier_wait -1
	s_and_saveexec_b32 s12, s40
	s_cbranch_execz .LBB62_131
; %bb.130:                              ;   in Loop: Header=BB62_3 Depth=1
	ds_load_b64 v[44:45], v68 offset:28032
	ds_load_b64 v[46:47], v72
	s_wait_dscnt 0x0
	v_dual_mul_f32 v2, v47, v45 :: v_dual_mul_f32 v5, v46, v45
	s_delay_alu instid0(VALU_DEP_1) | instskip(NEXT) | instid1(VALU_DEP_1)
	v_dual_fma_f32 v2, v46, v44, -v2 :: v_dual_fmac_f32 v5, v47, v44
	v_dual_sub_f32 v42, v42, v2 :: v_dual_sub_f32 v43, v43, v5
.LBB62_131:                             ;   in Loop: Header=BB62_3 Depth=1
	s_or_b32 exec_lo, exec_lo, s12
	s_barrier_signal -1
	s_barrier_wait -1
	s_and_saveexec_b32 s12, s41
; %bb.132:                              ;   in Loop: Header=BB62_3 Depth=1
	v_pk_add_f32 v[44:45], v[42:43], 0 neg_lo:[1,1] neg_hi:[1,1]
	ds_store_b64 v72, v[44:45]
; %bb.133:                              ;   in Loop: Header=BB62_3 Depth=1
	s_or_b32 exec_lo, exec_lo, s12
	s_wait_dscnt 0x0
	s_barrier_signal -1
	s_barrier_wait -1
	s_and_saveexec_b32 s12, s42
	s_cbranch_execz .LBB62_135
; %bb.134:                              ;   in Loop: Header=BB62_3 Depth=1
	ds_load_b64 v[44:45], v68 offset:27520
	ds_load_b64 v[46:47], v72
	s_wait_dscnt 0x0
	v_dual_mul_f32 v2, v47, v45 :: v_dual_mul_f32 v99, v46, v45
	s_delay_alu instid0(VALU_DEP_1) | instskip(NEXT) | instid1(VALU_DEP_1)
	v_dual_fma_f32 v98, v46, v44, -v2 :: v_dual_fmac_f32 v99, v47, v44
	v_pk_add_f32 v[42:43], v[42:43], v[98:99] neg_lo:[0,1] neg_hi:[0,1]
.LBB62_135:                             ;   in Loop: Header=BB62_3 Depth=1
	s_or_b32 exec_lo, exec_lo, s12
	s_barrier_signal -1
	s_barrier_wait -1
	s_and_saveexec_b32 s12, s43
; %bb.136:                              ;   in Loop: Header=BB62_3 Depth=1
	v_pk_add_f32 v[44:45], v[42:43], 0 neg_lo:[1,1] neg_hi:[1,1]
	ds_store_b64 v72, v[44:45]
; %bb.137:                              ;   in Loop: Header=BB62_3 Depth=1
	s_or_b32 exec_lo, exec_lo, s12
	s_wait_dscnt 0x0
	s_barrier_signal -1
	s_barrier_wait -1
	s_and_saveexec_b32 s12, s44
	s_cbranch_execz .LBB62_139
; %bb.138:                              ;   in Loop: Header=BB62_3 Depth=1
	ds_load_b64 v[44:45], v68 offset:27008
	ds_load_b64 v[46:47], v72
	s_wait_dscnt 0x0
	v_pk_mul_f32 v[98:99], v[46:47], v[44:45] op_sel:[1,1] op_sel_hi:[0,1]
	s_delay_alu instid0(VALU_DEP_1) | instskip(SKIP_1) | instid1(VALU_DEP_2)
	v_pk_fma_f32 v[100:101], v[46:47], v[44:45], v[98:99] op_sel_hi:[1,0,1]
	v_pk_fma_f32 v[44:45], v[46:47], v[44:45], v[98:99] neg_lo:[0,0,1] neg_hi:[0,0,1]
	v_mov_b32_e32 v45, v101
	s_delay_alu instid0(VALU_DEP_1)
	v_pk_add_f32 v[42:43], v[42:43], v[44:45] neg_lo:[0,1] neg_hi:[0,1]
.LBB62_139:                             ;   in Loop: Header=BB62_3 Depth=1
	s_or_b32 exec_lo, exec_lo, s12
	s_barrier_signal -1
	s_barrier_wait -1
	s_and_saveexec_b32 s12, s45
; %bb.140:                              ;   in Loop: Header=BB62_3 Depth=1
	v_pk_add_f32 v[44:45], v[42:43], 0 neg_lo:[1,1] neg_hi:[1,1]
	ds_store_b64 v72, v[44:45]
; %bb.141:                              ;   in Loop: Header=BB62_3 Depth=1
	s_or_b32 exec_lo, exec_lo, s12
	s_wait_dscnt 0x0
	s_barrier_signal -1
	s_barrier_wait -1
	s_and_saveexec_b32 s12, s46
	s_cbranch_execz .LBB62_143
; %bb.142:                              ;   in Loop: Header=BB62_3 Depth=1
	ds_load_b64 v[44:45], v68 offset:26496
	ds_load_b64 v[46:47], v72
	s_wait_dscnt 0x0
	v_pk_mul_f32 v[98:99], v[46:47], v[44:45] op_sel:[1,1] op_sel_hi:[0,1]
	s_delay_alu instid0(VALU_DEP_1) | instskip(SKIP_1) | instid1(VALU_DEP_2)
	v_pk_fma_f32 v[100:101], v[46:47], v[44:45], v[98:99] op_sel_hi:[1,0,1]
	v_pk_fma_f32 v[44:45], v[46:47], v[44:45], v[98:99] neg_lo:[0,0,1] neg_hi:[0,0,1]
	v_mov_b32_e32 v45, v101
	s_delay_alu instid0(VALU_DEP_1)
	v_pk_add_f32 v[42:43], v[42:43], v[44:45] neg_lo:[0,1] neg_hi:[0,1]
.LBB62_143:                             ;   in Loop: Header=BB62_3 Depth=1
	s_or_b32 exec_lo, exec_lo, s12
	s_barrier_signal -1
	s_barrier_wait -1
	s_and_saveexec_b32 s12, s47
; %bb.144:                              ;   in Loop: Header=BB62_3 Depth=1
	v_pk_add_f32 v[44:45], v[42:43], 0 neg_lo:[1,1] neg_hi:[1,1]
	ds_store_b64 v72, v[44:45]
; %bb.145:                              ;   in Loop: Header=BB62_3 Depth=1
	s_or_b32 exec_lo, exec_lo, s12
	s_wait_dscnt 0x0
	s_barrier_signal -1
	s_barrier_wait -1
	s_and_saveexec_b32 s12, s48
	s_cbranch_execz .LBB62_147
; %bb.146:                              ;   in Loop: Header=BB62_3 Depth=1
	ds_load_b64 v[44:45], v68 offset:25984
	ds_load_b64 v[46:47], v72
	s_wait_dscnt 0x0
	v_pk_mul_f32 v[98:99], v[46:47], v[44:45] op_sel:[1,1] op_sel_hi:[0,1]
	s_delay_alu instid0(VALU_DEP_1) | instskip(SKIP_1) | instid1(VALU_DEP_2)
	v_pk_fma_f32 v[100:101], v[46:47], v[44:45], v[98:99] op_sel_hi:[1,0,1]
	v_pk_fma_f32 v[44:45], v[46:47], v[44:45], v[98:99] neg_lo:[0,0,1] neg_hi:[0,0,1]
	v_mov_b32_e32 v45, v101
	s_delay_alu instid0(VALU_DEP_1)
	v_pk_add_f32 v[42:43], v[42:43], v[44:45] neg_lo:[0,1] neg_hi:[0,1]
.LBB62_147:                             ;   in Loop: Header=BB62_3 Depth=1
	s_or_b32 exec_lo, exec_lo, s12
	s_barrier_signal -1
	s_barrier_wait -1
	s_and_saveexec_b32 s12, s49
; %bb.148:                              ;   in Loop: Header=BB62_3 Depth=1
	v_pk_add_f32 v[44:45], v[42:43], 0 neg_lo:[1,1] neg_hi:[1,1]
	ds_store_b64 v72, v[44:45]
; %bb.149:                              ;   in Loop: Header=BB62_3 Depth=1
	s_or_b32 exec_lo, exec_lo, s12
	s_wait_dscnt 0x0
	s_barrier_signal -1
	s_barrier_wait -1
	s_and_saveexec_b32 s12, s50
	s_cbranch_execz .LBB62_151
; %bb.150:                              ;   in Loop: Header=BB62_3 Depth=1
	ds_load_b64 v[44:45], v3 offset:25472
	ds_load_b64 v[46:47], v72
	s_wait_dscnt 0x0
	v_pk_mul_f32 v[98:99], v[46:47], v[44:45] op_sel:[1,1] op_sel_hi:[0,1]
	s_delay_alu instid0(VALU_DEP_1) | instskip(SKIP_1) | instid1(VALU_DEP_2)
	v_pk_fma_f32 v[100:101], v[46:47], v[44:45], v[98:99] op_sel_hi:[1,0,1]
	v_pk_fma_f32 v[44:45], v[46:47], v[44:45], v[98:99] neg_lo:[0,0,1] neg_hi:[0,0,1]
	v_mov_b32_e32 v45, v101
	s_delay_alu instid0(VALU_DEP_1)
	v_pk_add_f32 v[42:43], v[42:43], v[44:45] neg_lo:[0,1] neg_hi:[0,1]
.LBB62_151:                             ;   in Loop: Header=BB62_3 Depth=1
	s_or_b32 exec_lo, exec_lo, s12
	s_barrier_signal -1
	s_barrier_wait -1
	s_and_saveexec_b32 s12, s50
; %bb.152:                              ;   in Loop: Header=BB62_3 Depth=1
	v_pk_add_f32 v[44:45], v[42:43], 0 neg_lo:[1,1] neg_hi:[1,1]
	ds_store_b64 v72, v[44:45]
; %bb.153:                              ;   in Loop: Header=BB62_3 Depth=1
	s_or_b32 exec_lo, exec_lo, s12
	s_wait_dscnt 0x0
	s_barrier_signal -1
	s_barrier_wait -1
	s_barrier_signal -1
	s_barrier_wait -1
	s_and_saveexec_b32 s12, s5
; %bb.154:                              ;   in Loop: Header=BB62_3 Depth=1
	ds_store_b64 v73, v[42:43] offset:32640
; %bb.155:                              ;   in Loop: Header=BB62_3 Depth=1
	s_or_b32 exec_lo, exec_lo, s12
	s_wait_dscnt 0x0
	s_barrier_signal -1
	s_barrier_wait -1
	s_barrier_signal -1
	s_barrier_wait -1
	s_and_saveexec_b32 s12, s51
	s_cbranch_execz .LBB62_157
; %bb.156:                              ;   in Loop: Header=BB62_3 Depth=1
	ds_load_b64 v[42:43], v56 offset:29056
	s_wait_dscnt 0x0
	ds_store_b64 v57, v[42:43] offset:25024
	ds_load_b64 v[42:43], v56 offset:29064
	s_wait_dscnt 0x0
	ds_store_b64 v57, v[42:43] offset:25536
	ds_load_b64 v[42:43], v56 offset:29072
	s_wait_dscnt 0x0
	ds_store_b64 v57, v[42:43] offset:26048
	ds_load_b64 v[42:43], v56 offset:29080
	s_wait_dscnt 0x0
	ds_store_b64 v57, v[42:43] offset:26560
	ds_load_b64 v[42:43], v56 offset:29088
	s_wait_dscnt 0x0
	ds_store_b64 v57, v[42:43] offset:27072
	ds_load_b64 v[42:43], v56 offset:29096
	s_wait_dscnt 0x0
	ds_store_b64 v57, v[42:43] offset:27584
	ds_load_b64 v[42:43], v56 offset:29104
	s_wait_dscnt 0x0
	ds_store_b64 v57, v[42:43] offset:28096
	ds_load_b64 v[42:43], v56 offset:29112
	s_wait_dscnt 0x0
	ds_store_b64 v57, v[42:43] offset:28608
.LBB62_157:                             ;   in Loop: Header=BB62_3 Depth=1
	s_or_b32 exec_lo, exec_lo, s12
	s_wait_dscnt 0x0
	s_barrier_signal -1
	s_barrier_wait -1
	s_and_saveexec_b32 s12, s11
	s_cbranch_execz .LBB62_159
; %bb.158:                              ;   in Loop: Header=BB62_3 Depth=1
	ds_load_b64 v[42:43], v3 offset:28592
	v_add_nc_u32_e64 v2, 0x6800, 0
	ds_store_b64 v3, v[38:39] offset:28600
	s_wait_dscnt 0x1
	ds_store_2addr_b64 v2, v[38:39], v[42:43] offset0:182 offset1:183
.LBB62_159:                             ;   in Loop: Header=BB62_3 Depth=1
	s_or_b32 exec_lo, exec_lo, s12
	v_dual_mov_b32 v42, 0 :: v_dual_mov_b32 v43, 0
	s_wait_dscnt 0x0
	s_barrier_signal -1
	s_barrier_wait -1
	global_wb scope:SCOPE_DEV
	s_wait_storecnt 0x0
	global_inv scope:SCOPE_DEV
	s_and_saveexec_b32 s62, s2
	s_cbranch_execz .LBB62_163
; %bb.160:                              ;   in Loop: Header=BB62_3 Depth=1
	ds_load_b64 v[42:43], v64 offset:28064
	ds_load_b64 v[44:45], v54 offset:28592
	s_wait_dscnt 0x0
	v_pk_mul_f32 v[46:47], v[44:45], v[42:43] op_sel:[1,1] op_sel_hi:[0,1]
	s_delay_alu instid0(VALU_DEP_1) | instskip(SKIP_1) | instid1(VALU_DEP_2)
	v_pk_fma_f32 v[98:99], v[44:45], v[42:43], v[46:47] op_sel_hi:[1,0,1]
	v_pk_fma_f32 v[42:43], v[44:45], v[42:43], v[46:47] neg_lo:[0,0,1] neg_hi:[0,0,1]
	v_mov_b32_e32 v43, v99
	s_delay_alu instid0(VALU_DEP_1)
	v_pk_add_f32 v[42:43], v[42:43], 0 op_sel_hi:[1,0]
	s_and_saveexec_b32 s12, s13
	s_cbranch_execz .LBB62_162
; %bb.161:                              ;   in Loop: Header=BB62_3 Depth=1
	ds_load_b64 v[44:45], v57 offset:28576
	ds_load_b64 v[46:47], v3 offset:28600
	s_wait_dscnt 0x0
	v_pk_mul_f32 v[98:99], v[46:47], v[44:45] op_sel:[1,1] op_sel_hi:[0,1]
	s_delay_alu instid0(VALU_DEP_1) | instskip(SKIP_1) | instid1(VALU_DEP_2)
	v_pk_fma_f32 v[100:101], v[46:47], v[44:45], v[98:99] op_sel_hi:[1,0,1]
	v_pk_fma_f32 v[44:45], v[46:47], v[44:45], v[98:99] neg_lo:[0,0,1] neg_hi:[0,0,1]
	v_mov_b32_e32 v45, v101
	s_delay_alu instid0(VALU_DEP_1)
	v_pk_add_f32 v[42:43], v[42:43], v[44:45]
.LBB62_162:                             ;   in Loop: Header=BB62_3 Depth=1
	s_or_b32 exec_lo, exec_lo, s12
.LBB62_163:                             ;   in Loop: Header=BB62_3 Depth=1
	s_delay_alu instid0(SALU_CYCLE_1)
	s_or_b32 exec_lo, exec_lo, s62
	s_and_saveexec_b32 s12, s94
; %bb.164:                              ;   in Loop: Header=BB62_3 Depth=1
	s_delay_alu instid0(VALU_DEP_1)
	v_pk_add_f32 v[44:45], v[42:43], 0 neg_lo:[1,1] neg_hi:[1,1]
	ds_store_b64 v65, v[44:45]
; %bb.165:                              ;   in Loop: Header=BB62_3 Depth=1
	s_or_b32 exec_lo, exec_lo, s12
	s_wait_loadcnt_dscnt 0x0
	s_barrier_signal -1
	s_barrier_wait -1
	s_and_saveexec_b32 s12, s95
	s_cbranch_execz .LBB62_167
; %bb.166:                              ;   in Loop: Header=BB62_3 Depth=1
	ds_load_b64 v[44:45], v3 offset:27552
	ds_load_b64 v[46:47], v65
	s_wait_dscnt 0x0
	v_pk_mul_f32 v[98:99], v[46:47], v[44:45] op_sel_hi:[1,0]
	s_delay_alu instid0(VALU_DEP_1) | instskip(SKIP_1) | instid1(VALU_DEP_2)
	v_pk_fma_f32 v[100:101], v[46:47], v[44:45], v[98:99] op_sel:[1,1,0] op_sel_hi:[0,1,1]
	v_pk_fma_f32 v[44:45], v[46:47], v[44:45], v[98:99] op_sel:[1,1,0] op_sel_hi:[0,1,1] neg_lo:[0,0,1] neg_hi:[0,0,1]
	v_pk_add_f32 v[46:47], v[42:43], v[100:101] neg_lo:[0,1] neg_hi:[0,1]
	s_delay_alu instid0(VALU_DEP_2) | instskip(NEXT) | instid1(VALU_DEP_2)
	v_pk_add_f32 v[42:43], v[42:43], v[44:45]
	v_mov_b32_e32 v43, v47
.LBB62_167:                             ;   in Loop: Header=BB62_3 Depth=1
	s_or_b32 exec_lo, exec_lo, s12
	s_barrier_signal -1
	s_barrier_wait -1
	s_and_saveexec_b32 s12, s95
; %bb.168:                              ;   in Loop: Header=BB62_3 Depth=1
	v_pk_add_f32 v[44:45], v[42:43], 0 neg_lo:[1,1] neg_hi:[1,1]
	ds_store_b64 v65, v[44:45]
; %bb.169:                              ;   in Loop: Header=BB62_3 Depth=1
	s_or_b32 exec_lo, exec_lo, s12
	s_wait_dscnt 0x0
	s_barrier_signal -1
	s_barrier_wait -1
	s_barrier_signal -1
	s_barrier_wait -1
	s_and_saveexec_b32 s12, s2
; %bb.170:                              ;   in Loop: Header=BB62_3 Depth=1
	ds_store_b64 v67, v[42:43] offset:28576
; %bb.171:                              ;   in Loop: Header=BB62_3 Depth=1
	s_or_b32 exec_lo, exec_lo, s12
	s_wait_dscnt 0x0
	s_barrier_signal -1
	s_barrier_wait -1
	s_barrier_signal -1
	s_barrier_wait -1
	s_and_saveexec_b32 s12, s96
	s_cbranch_execz .LBB62_173
; %bb.172:                              ;   in Loop: Header=BB62_3 Depth=1
	ds_load_b64 v[42:43], v60 offset:28064
	s_wait_dscnt 0x0
	ds_store_b64 v57, v[42:43] offset:27056
	ds_load_b64 v[42:43], v60 offset:28072
	s_wait_dscnt 0x0
	ds_store_b64 v57, v[42:43] offset:27568
.LBB62_173:                             ;   in Loop: Header=BB62_3 Depth=1
	s_or_b32 exec_lo, exec_lo, s12
	s_wait_dscnt 0x0
	s_barrier_signal -1
	s_barrier_wait -1
	s_and_saveexec_b32 s12, s11
	s_cbranch_execz .LBB62_175
; %bb.174:                              ;   in Loop: Header=BB62_3 Depth=1
	ds_load_b64 v[42:43], v3 offset:27552
	v_add_nc_u32_e64 v2, 0x6800, 0
	ds_store_b64 v3, v[38:39] offset:27560
	s_wait_dscnt 0x1
	ds_store_2addr_b64 v2, v[38:39], v[42:43] offset0:52 offset1:53
.LBB62_175:                             ;   in Loop: Header=BB62_3 Depth=1
	s_or_b32 exec_lo, exec_lo, s12
	v_mov_b64_e32 v[42:43], 0
	s_wait_dscnt 0x0
	s_barrier_signal -1
	s_barrier_wait -1
	global_wb scope:SCOPE_DEV
	s_wait_storecnt 0x0
	global_inv scope:SCOPE_DEV
	s_and_saveexec_b32 s62, s4
	s_cbranch_execz .LBB62_181
; %bb.176:                              ;   in Loop: Header=BB62_3 Depth=1
	ds_load_b64 v[42:43], v66 offset:27008
	ds_load_b64 v[44:45], v55 offset:28576
	s_wait_dscnt 0x0
	v_dual_mul_f32 v2, v45, v43 :: v_dual_mul_f32 v5, v44, v43
	s_delay_alu instid0(VALU_DEP_1) | instskip(NEXT) | instid1(VALU_DEP_1)
	v_dual_fma_f32 v2, v44, v42, -v2 :: v_dual_fmac_f32 v5, v45, v42
	v_dual_add_f32 v42, 0, v2 :: v_dual_add_f32 v43, 0, v5
	s_and_saveexec_b32 s12, s14
	s_cbranch_execnz .LBB62_1070
; %bb.177:                              ;   in Loop: Header=BB62_3 Depth=1
	s_or_b32 exec_lo, exec_lo, s12
	s_and_saveexec_b32 s12, s15
	s_cbranch_execnz .LBB62_1071
.LBB62_178:                             ;   in Loop: Header=BB62_3 Depth=1
	s_or_b32 exec_lo, exec_lo, s12
	s_and_saveexec_b32 s12, s2
	s_cbranch_execz .LBB62_180
.LBB62_179:                             ;   in Loop: Header=BB62_3 Depth=1
	ds_load_b64 v[44:45], v78 offset:28544
	ds_load_b64 v[46:47], v3 offset:28600
	s_wait_dscnt 0x0
	v_pk_mul_f32 v[98:99], v[46:47], v[44:45] op_sel:[1,1] op_sel_hi:[0,1]
	s_delay_alu instid0(VALU_DEP_1) | instskip(SKIP_1) | instid1(VALU_DEP_2)
	v_pk_fma_f32 v[100:101], v[46:47], v[44:45], v[98:99] op_sel_hi:[1,0,1]
	v_pk_fma_f32 v[44:45], v[46:47], v[44:45], v[98:99] neg_lo:[0,0,1] neg_hi:[0,0,1]
	v_mov_b32_e32 v45, v101
	s_delay_alu instid0(VALU_DEP_1)
	v_pk_add_f32 v[42:43], v[42:43], v[44:45]
.LBB62_180:                             ;   in Loop: Header=BB62_3 Depth=1
	s_or_b32 exec_lo, exec_lo, s12
.LBB62_181:                             ;   in Loop: Header=BB62_3 Depth=1
	s_delay_alu instid0(SALU_CYCLE_1)
	s_or_b32 exec_lo, exec_lo, s62
	s_and_saveexec_b32 s12, s97
; %bb.182:                              ;   in Loop: Header=BB62_3 Depth=1
	s_delay_alu instid0(VALU_DEP_1)
	v_pk_add_f32 v[44:45], v[42:43], 0 neg_lo:[1,1] neg_hi:[1,1]
	ds_store_b64 v69, v[44:45]
; %bb.183:                              ;   in Loop: Header=BB62_3 Depth=1
	s_or_b32 exec_lo, exec_lo, s12
	s_wait_loadcnt_dscnt 0x0
	s_barrier_signal -1
	s_barrier_wait -1
	s_and_saveexec_b32 s12, s98
	s_cbranch_execz .LBB62_185
; %bb.184:                              ;   in Loop: Header=BB62_3 Depth=1
	ds_load_b64 v[44:45], v66 offset:26496
	ds_load_b64 v[46:47], v69
	s_wait_dscnt 0x0
	v_pk_mul_f32 v[98:99], v[46:47], v[44:45] op_sel:[1,1] op_sel_hi:[0,1]
	s_delay_alu instid0(VALU_DEP_1) | instskip(SKIP_1) | instid1(VALU_DEP_2)
	v_pk_fma_f32 v[100:101], v[46:47], v[44:45], v[98:99] op_sel_hi:[1,0,1]
	v_pk_fma_f32 v[44:45], v[46:47], v[44:45], v[98:99] neg_lo:[0,0,1] neg_hi:[0,0,1]
	v_mov_b32_e32 v45, v101
	s_delay_alu instid0(VALU_DEP_1)
	v_pk_add_f32 v[42:43], v[42:43], v[44:45] neg_lo:[0,1] neg_hi:[0,1]
.LBB62_185:                             ;   in Loop: Header=BB62_3 Depth=1
	s_or_b32 exec_lo, exec_lo, s12
	s_barrier_signal -1
	s_barrier_wait -1
	s_and_saveexec_b32 s12, s99
; %bb.186:                              ;   in Loop: Header=BB62_3 Depth=1
	v_pk_add_f32 v[44:45], v[42:43], 0 neg_lo:[1,1] neg_hi:[1,1]
	ds_store_b64 v69, v[44:45]
; %bb.187:                              ;   in Loop: Header=BB62_3 Depth=1
	s_or_b32 exec_lo, exec_lo, s12
	s_wait_dscnt 0x0
	s_barrier_signal -1
	s_barrier_wait -1
	s_and_saveexec_b32 s12, s100
	s_cbranch_execz .LBB62_189
; %bb.188:                              ;   in Loop: Header=BB62_3 Depth=1
	ds_load_b64 v[44:45], v66 offset:25984
	ds_load_b64 v[46:47], v69
	s_wait_dscnt 0x0
	v_pk_mul_f32 v[98:99], v[46:47], v[44:45] op_sel:[1,1] op_sel_hi:[0,1]
	s_delay_alu instid0(VALU_DEP_1) | instskip(SKIP_1) | instid1(VALU_DEP_2)
	v_pk_fma_f32 v[100:101], v[46:47], v[44:45], v[98:99] op_sel_hi:[1,0,1]
	v_pk_fma_f32 v[44:45], v[46:47], v[44:45], v[98:99] neg_lo:[0,0,1] neg_hi:[0,0,1]
	v_mov_b32_e32 v45, v101
	s_delay_alu instid0(VALU_DEP_1)
	v_pk_add_f32 v[42:43], v[42:43], v[44:45] neg_lo:[0,1] neg_hi:[0,1]
.LBB62_189:                             ;   in Loop: Header=BB62_3 Depth=1
	s_or_b32 exec_lo, exec_lo, s12
	s_barrier_signal -1
	s_barrier_wait -1
	s_and_saveexec_b32 s12, s101
; %bb.190:                              ;   in Loop: Header=BB62_3 Depth=1
	v_pk_add_f32 v[44:45], v[42:43], 0 neg_lo:[1,1] neg_hi:[1,1]
	ds_store_b64 v69, v[44:45]
; %bb.191:                              ;   in Loop: Header=BB62_3 Depth=1
	s_or_b32 exec_lo, exec_lo, s12
	s_wait_dscnt 0x0
	;; [unrolled: 26-line block ×3, first 2 shown]
	s_barrier_signal -1
	s_barrier_wait -1
	s_barrier_signal -1
	s_barrier_wait -1
	s_and_saveexec_b32 s12, s4
; %bb.196:                              ;   in Loop: Header=BB62_3 Depth=1
	ds_store_b64 v71, v[42:43] offset:28544
; %bb.197:                              ;   in Loop: Header=BB62_3 Depth=1
	s_or_b32 exec_lo, exec_lo, s12
	s_wait_dscnt 0x0
	s_barrier_signal -1
	s_barrier_wait -1
	s_barrier_signal -1
	s_barrier_wait -1
	s_and_saveexec_b32 s12, s103
	s_cbranch_execz .LBB62_199
; %bb.198:                              ;   in Loop: Header=BB62_3 Depth=1
	ds_load_b64 v[42:43], v79 offset:27008
	s_wait_dscnt 0x0
	ds_store_b64 v80, v[42:43] offset:24992
	ds_load_b64 v[42:43], v79 offset:27016
	s_wait_dscnt 0x0
	ds_store_b64 v80, v[42:43] offset:25504
	;; [unrolled: 3-line block ×4, first 2 shown]
.LBB62_199:                             ;   in Loop: Header=BB62_3 Depth=1
	s_or_b32 exec_lo, exec_lo, s12
	s_wait_dscnt 0x0
	s_barrier_signal -1
	s_barrier_wait -1
	s_and_saveexec_b32 s12, s11
	s_cbranch_execz .LBB62_201
; %bb.200:                              ;   in Loop: Header=BB62_3 Depth=1
	ds_load_b64 v[42:43], v3 offset:26512
	v_add_nc_u32_e64 v2, 0x6000, 0
	ds_store_b64 v3, v[38:39] offset:26520
	s_wait_dscnt 0x1
	ds_store_2addr_b64 v2, v[38:39], v[42:43] offset0:178 offset1:179
.LBB62_201:                             ;   in Loop: Header=BB62_3 Depth=1
	s_or_b32 exec_lo, exec_lo, s12
	v_dual_mov_b32 v42, 0 :: v_dual_mov_b32 v43, 0
	s_wait_dscnt 0x0
	s_barrier_signal -1
	s_barrier_wait -1
	global_wb scope:SCOPE_DEV
	s_wait_storecnt 0x0
	global_inv scope:SCOPE_DEV
	s_and_saveexec_b32 s62, s2
	s_cbranch_execz .LBB62_205
; %bb.202:                              ;   in Loop: Header=BB62_3 Depth=1
	ds_load_b64 v[42:43], v64 offset:25984
	ds_load_b64 v[44:45], v54 offset:26512
	s_wait_dscnt 0x0
	v_pk_mul_f32 v[46:47], v[44:45], v[42:43] op_sel:[1,1] op_sel_hi:[0,1]
	s_delay_alu instid0(VALU_DEP_1) | instskip(SKIP_1) | instid1(VALU_DEP_2)
	v_pk_fma_f32 v[98:99], v[44:45], v[42:43], v[46:47] op_sel_hi:[1,0,1]
	v_pk_fma_f32 v[42:43], v[44:45], v[42:43], v[46:47] neg_lo:[0,0,1] neg_hi:[0,0,1]
	v_mov_b32_e32 v43, v99
	s_delay_alu instid0(VALU_DEP_1)
	v_pk_add_f32 v[42:43], v[42:43], 0 op_sel_hi:[1,0]
	s_and_saveexec_b32 s12, s13
	s_cbranch_execz .LBB62_204
; %bb.203:                              ;   in Loop: Header=BB62_3 Depth=1
	ds_load_b64 v[44:45], v80 offset:26496
	ds_load_b64 v[46:47], v3 offset:26520
	s_wait_dscnt 0x0
	v_pk_mul_f32 v[98:99], v[46:47], v[44:45] op_sel:[1,1] op_sel_hi:[0,1]
	s_delay_alu instid0(VALU_DEP_1) | instskip(SKIP_1) | instid1(VALU_DEP_2)
	v_pk_fma_f32 v[100:101], v[46:47], v[44:45], v[98:99] op_sel_hi:[1,0,1]
	v_pk_fma_f32 v[44:45], v[46:47], v[44:45], v[98:99] neg_lo:[0,0,1] neg_hi:[0,0,1]
	v_mov_b32_e32 v45, v101
	s_delay_alu instid0(VALU_DEP_1)
	v_pk_add_f32 v[42:43], v[42:43], v[44:45]
.LBB62_204:                             ;   in Loop: Header=BB62_3 Depth=1
	s_or_b32 exec_lo, exec_lo, s12
.LBB62_205:                             ;   in Loop: Header=BB62_3 Depth=1
	s_delay_alu instid0(SALU_CYCLE_1)
	s_or_b32 exec_lo, exec_lo, s62
	s_and_saveexec_b32 s12, s94
; %bb.206:                              ;   in Loop: Header=BB62_3 Depth=1
	s_delay_alu instid0(VALU_DEP_1)
	v_pk_add_f32 v[44:45], v[42:43], 0 neg_lo:[1,1] neg_hi:[1,1]
	ds_store_b64 v65, v[44:45]
; %bb.207:                              ;   in Loop: Header=BB62_3 Depth=1
	s_or_b32 exec_lo, exec_lo, s12
	s_wait_loadcnt_dscnt 0x0
	s_barrier_signal -1
	s_barrier_wait -1
	s_and_saveexec_b32 s12, s95
	s_cbranch_execz .LBB62_209
; %bb.208:                              ;   in Loop: Header=BB62_3 Depth=1
	ds_load_b64 v[44:45], v3 offset:25472
	ds_load_b64 v[46:47], v65
	s_wait_dscnt 0x0
	v_pk_mul_f32 v[98:99], v[46:47], v[44:45] op_sel_hi:[1,0]
	s_delay_alu instid0(VALU_DEP_1) | instskip(SKIP_1) | instid1(VALU_DEP_2)
	v_pk_fma_f32 v[100:101], v[46:47], v[44:45], v[98:99] op_sel:[1,1,0] op_sel_hi:[0,1,1]
	v_pk_fma_f32 v[44:45], v[46:47], v[44:45], v[98:99] op_sel:[1,1,0] op_sel_hi:[0,1,1] neg_lo:[0,0,1] neg_hi:[0,0,1]
	v_pk_add_f32 v[46:47], v[42:43], v[100:101] neg_lo:[0,1] neg_hi:[0,1]
	s_delay_alu instid0(VALU_DEP_2) | instskip(NEXT) | instid1(VALU_DEP_2)
	v_pk_add_f32 v[42:43], v[42:43], v[44:45]
	v_mov_b32_e32 v43, v47
.LBB62_209:                             ;   in Loop: Header=BB62_3 Depth=1
	s_or_b32 exec_lo, exec_lo, s12
	s_barrier_signal -1
	s_barrier_wait -1
	s_and_saveexec_b32 s12, s95
; %bb.210:                              ;   in Loop: Header=BB62_3 Depth=1
	v_pk_add_f32 v[44:45], v[42:43], 0 neg_lo:[1,1] neg_hi:[1,1]
	ds_store_b64 v65, v[44:45]
; %bb.211:                              ;   in Loop: Header=BB62_3 Depth=1
	s_or_b32 exec_lo, exec_lo, s12
	s_wait_dscnt 0x0
	s_barrier_signal -1
	s_barrier_wait -1
	s_barrier_signal -1
	s_barrier_wait -1
	s_and_saveexec_b32 s12, s2
; %bb.212:                              ;   in Loop: Header=BB62_3 Depth=1
	ds_store_b64 v67, v[42:43] offset:26496
; %bb.213:                              ;   in Loop: Header=BB62_3 Depth=1
	s_or_b32 exec_lo, exec_lo, s12
	s_wait_dscnt 0x0
	s_barrier_signal -1
	s_barrier_wait -1
	s_barrier_signal -1
	s_barrier_wait -1
	s_and_saveexec_b32 s12, s96
	s_cbranch_execz .LBB62_215
; %bb.214:                              ;   in Loop: Header=BB62_3 Depth=1
	ds_load_b64 v[42:43], v85 offset:25984
	s_wait_dscnt 0x0
	ds_store_b64 v80, v[42:43] offset:24976
	ds_load_b64 v[42:43], v85 offset:25992
	s_wait_dscnt 0x0
	ds_store_b64 v80, v[42:43] offset:25488
.LBB62_215:                             ;   in Loop: Header=BB62_3 Depth=1
	s_or_b32 exec_lo, exec_lo, s12
	s_wait_dscnt 0x0
	s_barrier_signal -1
	s_barrier_wait -1
	s_and_saveexec_b32 s12, s11
	s_cbranch_execz .LBB62_217
; %bb.216:                              ;   in Loop: Header=BB62_3 Depth=1
	ds_load_b64 v[42:43], v3 offset:25472
	v_add_nc_u32_e64 v2, 0x6000, 0
	ds_store_b64 v3, v[38:39] offset:25480
	s_wait_dscnt 0x1
	ds_store_2addr_b64 v2, v[38:39], v[42:43] offset0:48 offset1:49
.LBB62_217:                             ;   in Loop: Header=BB62_3 Depth=1
	s_or_b32 exec_lo, exec_lo, s12
	v_mov_b64_e32 v[42:43], 0
	s_wait_dscnt 0x0
	s_barrier_signal -1
	s_barrier_wait -1
	global_wb scope:SCOPE_DEV
	s_wait_storecnt 0x0
	global_inv scope:SCOPE_DEV
	s_and_saveexec_b32 s62, s6
	s_cbranch_execz .LBB62_245
; %bb.218:                              ;   in Loop: Header=BB62_3 Depth=1
	ds_load_b64 v[42:43], v70 offset:24832
	ds_load_b64 v[44:45], v61 offset:32640
	v_readlane_b32 s60, v106, 23
	s_wait_dscnt 0x0
	v_dual_mul_f32 v2, v45, v43 :: v_dual_mul_f32 v5, v44, v43
	s_delay_alu instid0(VALU_DEP_1) | instskip(NEXT) | instid1(VALU_DEP_1)
	v_dual_fma_f32 v2, v44, v42, -v2 :: v_dual_fmac_f32 v5, v45, v42
	v_dual_add_f32 v42, 0, v2 :: v_dual_add_f32 v43, 0, v5
	s_and_saveexec_b32 s12, s60
	s_cbranch_execz .LBB62_220
; %bb.219:                              ;   in Loop: Header=BB62_3 Depth=1
	ds_load_b64 v[44:45], v70 offset:25344
	ds_load_b64 v[46:47], v61 offset:32648
	s_wait_dscnt 0x0
	v_dual_mul_f32 v2, v47, v45 :: v_dual_mul_f32 v5, v46, v45
	s_delay_alu instid0(VALU_DEP_1) | instskip(NEXT) | instid1(VALU_DEP_1)
	v_dual_fma_f32 v2, v46, v44, -v2 :: v_dual_fmac_f32 v5, v47, v44
	v_dual_add_f32 v42, v42, v2 :: v_dual_add_f32 v43, v43, v5
.LBB62_220:                             ;   in Loop: Header=BB62_3 Depth=1
	s_or_b32 exec_lo, exec_lo, s12
	v_readlane_b32 s60, v106, 24
	s_and_saveexec_b32 s12, s60
	s_cbranch_execz .LBB62_222
; %bb.221:                              ;   in Loop: Header=BB62_3 Depth=1
	ds_load_b64 v[44:45], v70 offset:25856
	ds_load_b64 v[46:47], v61 offset:32656
	s_wait_dscnt 0x0
	v_dual_mul_f32 v2, v47, v45 :: v_dual_mul_f32 v5, v46, v45
	s_delay_alu instid0(VALU_DEP_1) | instskip(NEXT) | instid1(VALU_DEP_1)
	v_dual_fma_f32 v2, v46, v44, -v2 :: v_dual_fmac_f32 v5, v47, v44
	v_dual_add_f32 v42, v42, v2 :: v_dual_add_f32 v43, v43, v5
.LBB62_222:                             ;   in Loop: Header=BB62_3 Depth=1
	s_or_b32 exec_lo, exec_lo, s12
	v_readlane_b32 s60, v106, 25
	s_and_saveexec_b32 s12, s60
	s_cbranch_execz .LBB62_224
; %bb.223:                              ;   in Loop: Header=BB62_3 Depth=1
	ds_load_b64 v[44:45], v70 offset:26368
	ds_load_b64 v[46:47], v61 offset:32664
	s_wait_dscnt 0x0
	v_dual_mul_f32 v2, v47, v45 :: v_dual_mul_f32 v5, v46, v45
	s_delay_alu instid0(VALU_DEP_1) | instskip(NEXT) | instid1(VALU_DEP_1)
	v_dual_fma_f32 v2, v46, v44, -v2 :: v_dual_fmac_f32 v5, v47, v44
	v_dual_add_f32 v42, v42, v2 :: v_dual_add_f32 v43, v43, v5
.LBB62_224:                             ;   in Loop: Header=BB62_3 Depth=1
	s_or_b32 exec_lo, exec_lo, s12
	v_readlane_b32 s60, v106, 26
	s_and_saveexec_b32 s12, s60
	s_cbranch_execz .LBB62_226
; %bb.225:                              ;   in Loop: Header=BB62_3 Depth=1
	ds_load_b64 v[44:45], v70 offset:26880
	ds_load_b64 v[46:47], v61 offset:32672
	s_wait_dscnt 0x0
	v_dual_mul_f32 v2, v47, v45 :: v_dual_mul_f32 v5, v46, v45
	s_delay_alu instid0(VALU_DEP_1) | instskip(NEXT) | instid1(VALU_DEP_1)
	v_dual_fma_f32 v2, v46, v44, -v2 :: v_dual_fmac_f32 v5, v47, v44
	v_dual_add_f32 v42, v42, v2 :: v_dual_add_f32 v43, v43, v5
.LBB62_226:                             ;   in Loop: Header=BB62_3 Depth=1
	s_or_b32 exec_lo, exec_lo, s12
	v_readlane_b32 s60, v106, 27
	s_and_saveexec_b32 s12, s60
	s_cbranch_execz .LBB62_228
; %bb.227:                              ;   in Loop: Header=BB62_3 Depth=1
	ds_load_b64 v[44:45], v70 offset:27392
	ds_load_b64 v[46:47], v61 offset:32680
	s_wait_dscnt 0x0
	v_dual_mul_f32 v2, v47, v45 :: v_dual_mul_f32 v5, v46, v45
	s_delay_alu instid0(VALU_DEP_1) | instskip(NEXT) | instid1(VALU_DEP_1)
	v_dual_fma_f32 v2, v46, v44, -v2 :: v_dual_fmac_f32 v5, v47, v44
	v_dual_add_f32 v42, v42, v2 :: v_dual_add_f32 v43, v43, v5
.LBB62_228:                             ;   in Loop: Header=BB62_3 Depth=1
	s_or_b32 exec_lo, exec_lo, s12
	v_readlane_b32 s60, v106, 28
	s_and_saveexec_b32 s12, s60
	s_cbranch_execz .LBB62_230
; %bb.229:                              ;   in Loop: Header=BB62_3 Depth=1
	ds_load_b64 v[44:45], v70 offset:27904
	ds_load_b64 v[46:47], v61 offset:32688
	s_wait_dscnt 0x0
	v_dual_mul_f32 v2, v47, v45 :: v_dual_mul_f32 v5, v46, v45
	s_delay_alu instid0(VALU_DEP_1) | instskip(NEXT) | instid1(VALU_DEP_1)
	v_dual_fma_f32 v2, v46, v44, -v2 :: v_dual_fmac_f32 v5, v47, v44
	v_dual_add_f32 v42, v42, v2 :: v_dual_add_f32 v43, v43, v5
.LBB62_230:                             ;   in Loop: Header=BB62_3 Depth=1
	s_or_b32 exec_lo, exec_lo, s12
	v_readlane_b32 s60, v106, 29
	s_and_saveexec_b32 s12, s60
	s_cbranch_execz .LBB62_232
; %bb.231:                              ;   in Loop: Header=BB62_3 Depth=1
	ds_load_b64 v[44:45], v70 offset:28416
	ds_load_b64 v[46:47], v61 offset:32696
	s_wait_dscnt 0x0
	v_dual_mul_f32 v2, v47, v45 :: v_dual_mul_f32 v5, v46, v45
	s_delay_alu instid0(VALU_DEP_1) | instskip(NEXT) | instid1(VALU_DEP_1)
	v_dual_fma_f32 v2, v46, v44, -v2 :: v_dual_fmac_f32 v5, v47, v44
	v_dual_add_f32 v42, v42, v2 :: v_dual_add_f32 v43, v43, v5
.LBB62_232:                             ;   in Loop: Header=BB62_3 Depth=1
	s_or_b32 exec_lo, exec_lo, s12
	v_readlane_b32 s60, v106, 30
	s_and_saveexec_b32 s12, s60
	s_cbranch_execz .LBB62_234
; %bb.233:                              ;   in Loop: Header=BB62_3 Depth=1
	ds_load_b64 v[44:45], v70 offset:28928
	ds_load_b64 v[46:47], v61 offset:32704
	s_wait_dscnt 0x0
	v_dual_mul_f32 v2, v47, v45 :: v_dual_mul_f32 v5, v46, v45
	s_delay_alu instid0(VALU_DEP_1) | instskip(NEXT) | instid1(VALU_DEP_1)
	v_dual_fma_f32 v2, v46, v44, -v2 :: v_dual_fmac_f32 v5, v47, v44
	v_dual_add_f32 v42, v42, v2 :: v_dual_add_f32 v43, v43, v5
.LBB62_234:                             ;   in Loop: Header=BB62_3 Depth=1
	s_or_b32 exec_lo, exec_lo, s12
	v_readlane_b32 s60, v106, 31
	s_and_saveexec_b32 s12, s60
	s_cbranch_execz .LBB62_236
; %bb.235:                              ;   in Loop: Header=BB62_3 Depth=1
	ds_load_b64 v[44:45], v70 offset:29440
	ds_load_b64 v[46:47], v61 offset:32712
	s_wait_dscnt 0x0
	v_dual_mul_f32 v2, v47, v45 :: v_dual_mul_f32 v5, v46, v45
	s_delay_alu instid0(VALU_DEP_1) | instskip(NEXT) | instid1(VALU_DEP_1)
	v_dual_fma_f32 v2, v46, v44, -v2 :: v_dual_fmac_f32 v5, v47, v44
	v_dual_add_f32 v42, v42, v2 :: v_dual_add_f32 v43, v43, v5
.LBB62_236:                             ;   in Loop: Header=BB62_3 Depth=1
	s_or_b32 exec_lo, exec_lo, s12
	v_readlane_b32 s60, v97, 0
	s_and_saveexec_b32 s12, s60
	s_cbranch_execz .LBB62_238
; %bb.237:                              ;   in Loop: Header=BB62_3 Depth=1
	ds_load_b64 v[44:45], v70 offset:29952
	ds_load_b64 v[46:47], v61 offset:32720
	s_wait_dscnt 0x0
	v_dual_mul_f32 v2, v47, v45 :: v_dual_mul_f32 v5, v46, v45
	s_delay_alu instid0(VALU_DEP_1) | instskip(NEXT) | instid1(VALU_DEP_1)
	v_dual_fma_f32 v2, v46, v44, -v2 :: v_dual_fmac_f32 v5, v47, v44
	v_dual_add_f32 v42, v42, v2 :: v_dual_add_f32 v43, v43, v5
.LBB62_238:                             ;   in Loop: Header=BB62_3 Depth=1
	s_or_b32 exec_lo, exec_lo, s12
	v_readlane_b32 s60, v97, 1
	s_and_saveexec_b32 s12, s60
	s_cbranch_execnz .LBB62_1072
; %bb.239:                              ;   in Loop: Header=BB62_3 Depth=1
	s_or_b32 exec_lo, exec_lo, s12
	s_and_saveexec_b32 s12, s5
	s_cbranch_execnz .LBB62_1073
.LBB62_240:                             ;   in Loop: Header=BB62_3 Depth=1
	s_or_b32 exec_lo, exec_lo, s12
	s_and_saveexec_b32 s12, s17
	s_cbranch_execnz .LBB62_1074
.LBB62_241:                             ;   in Loop: Header=BB62_3 Depth=1
	s_or_b32 exec_lo, exec_lo, s12
	s_and_saveexec_b32 s12, s19
	s_cbranch_execnz .LBB62_1075
.LBB62_242:                             ;   in Loop: Header=BB62_3 Depth=1
	s_or_b32 exec_lo, exec_lo, s12
	s_and_saveexec_b32 s12, s4
	s_cbranch_execz .LBB62_244
.LBB62_243:                             ;   in Loop: Header=BB62_3 Depth=1
	ds_load_b64 v[44:45], v9 offset:32512
	ds_load_b64 v[46:47], v3 offset:32760
	s_wait_dscnt 0x0
	v_pk_mul_f32 v[98:99], v[46:47], v[44:45] op_sel:[1,1] op_sel_hi:[0,1]
	s_delay_alu instid0(VALU_DEP_1) | instskip(SKIP_1) | instid1(VALU_DEP_2)
	v_pk_fma_f32 v[100:101], v[46:47], v[44:45], v[98:99] op_sel_hi:[1,0,1]
	v_pk_fma_f32 v[44:45], v[46:47], v[44:45], v[98:99] neg_lo:[0,0,1] neg_hi:[0,0,1]
	v_mov_b32_e32 v45, v101
	s_delay_alu instid0(VALU_DEP_1)
	v_pk_add_f32 v[42:43], v[42:43], v[44:45]
.LBB62_244:                             ;   in Loop: Header=BB62_3 Depth=1
	s_or_b32 exec_lo, exec_lo, s12
.LBB62_245:                             ;   in Loop: Header=BB62_3 Depth=1
	s_delay_alu instid0(SALU_CYCLE_1)
	s_or_b32 exec_lo, exec_lo, s62
	v_readlane_b32 s60, v106, 1
	s_and_saveexec_b32 s12, s60
; %bb.246:                              ;   in Loop: Header=BB62_3 Depth=1
	v_pk_add_f32 v[44:45], v[42:43], 0 neg_lo:[1,1] neg_hi:[1,1]
	ds_store_b64 v74, v[44:45]
; %bb.247:                              ;   in Loop: Header=BB62_3 Depth=1
	s_or_b32 exec_lo, exec_lo, s12
	v_readlane_b32 s60, v106, 2
	s_wait_loadcnt_dscnt 0x0
	s_barrier_signal -1
	s_barrier_wait -1
	s_and_saveexec_b32 s12, s60
	s_cbranch_execz .LBB62_249
; %bb.248:                              ;   in Loop: Header=BB62_3 Depth=1
	ds_load_b64 v[44:45], v70 offset:24320
	ds_load_b64 v[46:47], v74
	s_wait_dscnt 0x0
	v_pk_mul_f32 v[98:99], v[46:47], v[44:45] op_sel:[1,1] op_sel_hi:[0,1]
	s_delay_alu instid0(VALU_DEP_1) | instskip(SKIP_1) | instid1(VALU_DEP_2)
	v_pk_fma_f32 v[100:101], v[46:47], v[44:45], v[98:99] op_sel_hi:[1,0,1]
	v_pk_fma_f32 v[44:45], v[46:47], v[44:45], v[98:99] neg_lo:[0,0,1] neg_hi:[0,0,1]
	v_mov_b32_e32 v45, v101
	s_delay_alu instid0(VALU_DEP_1)
	v_pk_add_f32 v[42:43], v[42:43], v[44:45] neg_lo:[0,1] neg_hi:[0,1]
.LBB62_249:                             ;   in Loop: Header=BB62_3 Depth=1
	s_or_b32 exec_lo, exec_lo, s12
	v_readlane_b32 s60, v106, 3
	s_barrier_signal -1
	s_barrier_wait -1
	s_and_saveexec_b32 s12, s60
; %bb.250:                              ;   in Loop: Header=BB62_3 Depth=1
	v_pk_add_f32 v[44:45], v[42:43], 0 neg_lo:[1,1] neg_hi:[1,1]
	ds_store_b64 v74, v[44:45]
; %bb.251:                              ;   in Loop: Header=BB62_3 Depth=1
	s_or_b32 exec_lo, exec_lo, s12
	v_readlane_b32 s60, v106, 4
	s_wait_dscnt 0x0
	s_barrier_signal -1
	s_barrier_wait -1
	s_and_saveexec_b32 s12, s60
	s_cbranch_execz .LBB62_253
; %bb.252:                              ;   in Loop: Header=BB62_3 Depth=1
	ds_load_b64 v[44:45], v70 offset:23808
	ds_load_b64 v[46:47], v74
	s_wait_dscnt 0x0
	v_pk_mul_f32 v[98:99], v[46:47], v[44:45] op_sel:[1,1] op_sel_hi:[0,1]
	s_delay_alu instid0(VALU_DEP_1) | instskip(SKIP_1) | instid1(VALU_DEP_2)
	v_pk_fma_f32 v[100:101], v[46:47], v[44:45], v[98:99] op_sel_hi:[1,0,1]
	v_pk_fma_f32 v[44:45], v[46:47], v[44:45], v[98:99] neg_lo:[0,0,1] neg_hi:[0,0,1]
	v_mov_b32_e32 v45, v101
	s_delay_alu instid0(VALU_DEP_1)
	v_pk_add_f32 v[42:43], v[42:43], v[44:45] neg_lo:[0,1] neg_hi:[0,1]
.LBB62_253:                             ;   in Loop: Header=BB62_3 Depth=1
	s_or_b32 exec_lo, exec_lo, s12
	v_readlane_b32 s60, v106, 5
	s_barrier_signal -1
	s_barrier_wait -1
	s_and_saveexec_b32 s12, s60
; %bb.254:                              ;   in Loop: Header=BB62_3 Depth=1
	v_pk_add_f32 v[44:45], v[42:43], 0 neg_lo:[1,1] neg_hi:[1,1]
	ds_store_b64 v74, v[44:45]
; %bb.255:                              ;   in Loop: Header=BB62_3 Depth=1
	s_or_b32 exec_lo, exec_lo, s12
	v_readlane_b32 s60, v106, 6
	s_wait_dscnt 0x0
	s_barrier_signal -1
	s_barrier_wait -1
	s_and_saveexec_b32 s12, s60
	s_cbranch_execz .LBB62_257
; %bb.256:                              ;   in Loop: Header=BB62_3 Depth=1
	ds_load_b64 v[44:45], v70 offset:23296
	ds_load_b64 v[46:47], v74
	s_wait_dscnt 0x0
	v_pk_mul_f32 v[98:99], v[46:47], v[44:45] op_sel:[1,1] op_sel_hi:[0,1]
	s_delay_alu instid0(VALU_DEP_1) | instskip(SKIP_1) | instid1(VALU_DEP_2)
	v_pk_fma_f32 v[100:101], v[46:47], v[44:45], v[98:99] op_sel_hi:[1,0,1]
	v_pk_fma_f32 v[44:45], v[46:47], v[44:45], v[98:99] neg_lo:[0,0,1] neg_hi:[0,0,1]
	v_mov_b32_e32 v45, v101
	s_delay_alu instid0(VALU_DEP_1)
	v_pk_add_f32 v[42:43], v[42:43], v[44:45] neg_lo:[0,1] neg_hi:[0,1]
.LBB62_257:                             ;   in Loop: Header=BB62_3 Depth=1
	s_or_b32 exec_lo, exec_lo, s12
	v_readlane_b32 s60, v106, 7
	s_barrier_signal -1
	s_barrier_wait -1
	s_and_saveexec_b32 s12, s60
; %bb.258:                              ;   in Loop: Header=BB62_3 Depth=1
	v_pk_add_f32 v[44:45], v[42:43], 0 neg_lo:[1,1] neg_hi:[1,1]
	ds_store_b64 v74, v[44:45]
; %bb.259:                              ;   in Loop: Header=BB62_3 Depth=1
	s_or_b32 exec_lo, exec_lo, s12
	s_wait_dscnt 0x0
	s_barrier_signal -1
	s_barrier_wait -1
	s_and_saveexec_b32 s12, s59
	s_cbranch_execz .LBB62_261
; %bb.260:                              ;   in Loop: Header=BB62_3 Depth=1
	ds_load_b64 v[44:45], v70 offset:22784
	ds_load_b64 v[46:47], v74
	s_wait_dscnt 0x0
	v_dual_mul_f32 v2, v47, v45 :: v_dual_mul_f32 v5, v46, v45
	s_delay_alu instid0(VALU_DEP_1) | instskip(NEXT) | instid1(VALU_DEP_1)
	v_dual_fma_f32 v2, v46, v44, -v2 :: v_dual_fmac_f32 v5, v47, v44
	v_dual_sub_f32 v42, v42, v2 :: v_dual_sub_f32 v43, v43, v5
.LBB62_261:                             ;   in Loop: Header=BB62_3 Depth=1
	s_or_b32 exec_lo, exec_lo, s12
	s_barrier_signal -1
	s_barrier_wait -1
	s_and_saveexec_b32 s12, s21
; %bb.262:                              ;   in Loop: Header=BB62_3 Depth=1
	v_pk_add_f32 v[44:45], v[42:43], 0 neg_lo:[1,1] neg_hi:[1,1]
	ds_store_b64 v74, v[44:45]
; %bb.263:                              ;   in Loop: Header=BB62_3 Depth=1
	s_or_b32 exec_lo, exec_lo, s12
	s_wait_dscnt 0x0
	s_barrier_signal -1
	s_barrier_wait -1
	s_and_saveexec_b32 s12, s23
	s_cbranch_execz .LBB62_265
; %bb.264:                              ;   in Loop: Header=BB62_3 Depth=1
	ds_load_b64 v[44:45], v70 offset:22272
	ds_load_b64 v[46:47], v74
	s_wait_dscnt 0x0
	v_dual_mul_f32 v2, v47, v45 :: v_dual_mul_f32 v99, v46, v45
	s_delay_alu instid0(VALU_DEP_1) | instskip(NEXT) | instid1(VALU_DEP_1)
	v_dual_fma_f32 v98, v46, v44, -v2 :: v_dual_fmac_f32 v99, v47, v44
	v_pk_add_f32 v[42:43], v[42:43], v[98:99] neg_lo:[0,1] neg_hi:[0,1]
.LBB62_265:                             ;   in Loop: Header=BB62_3 Depth=1
	s_or_b32 exec_lo, exec_lo, s12
	s_barrier_signal -1
	s_barrier_wait -1
	s_and_saveexec_b32 s12, s25
; %bb.266:                              ;   in Loop: Header=BB62_3 Depth=1
	v_pk_add_f32 v[44:45], v[42:43], 0 neg_lo:[1,1] neg_hi:[1,1]
	ds_store_b64 v74, v[44:45]
; %bb.267:                              ;   in Loop: Header=BB62_3 Depth=1
	s_or_b32 exec_lo, exec_lo, s12
	s_wait_dscnt 0x0
	s_barrier_signal -1
	s_barrier_wait -1
	s_and_saveexec_b32 s12, s27
	s_cbranch_execz .LBB62_269
; %bb.268:                              ;   in Loop: Header=BB62_3 Depth=1
	ds_load_b64 v[44:45], v70 offset:21760
	ds_load_b64 v[46:47], v74
	s_wait_dscnt 0x0
	v_pk_mul_f32 v[98:99], v[46:47], v[44:45] op_sel:[1,1] op_sel_hi:[0,1]
	s_delay_alu instid0(VALU_DEP_1) | instskip(SKIP_1) | instid1(VALU_DEP_2)
	v_pk_fma_f32 v[100:101], v[46:47], v[44:45], v[98:99] op_sel_hi:[1,0,1]
	v_pk_fma_f32 v[44:45], v[46:47], v[44:45], v[98:99] neg_lo:[0,0,1] neg_hi:[0,0,1]
	v_mov_b32_e32 v45, v101
	s_delay_alu instid0(VALU_DEP_1)
	v_pk_add_f32 v[42:43], v[42:43], v[44:45] neg_lo:[0,1] neg_hi:[0,1]
.LBB62_269:                             ;   in Loop: Header=BB62_3 Depth=1
	s_or_b32 exec_lo, exec_lo, s12
	s_barrier_signal -1
	s_barrier_wait -1
	s_and_saveexec_b32 s12, s29
; %bb.270:                              ;   in Loop: Header=BB62_3 Depth=1
	v_pk_add_f32 v[44:45], v[42:43], 0 neg_lo:[1,1] neg_hi:[1,1]
	ds_store_b64 v74, v[44:45]
; %bb.271:                              ;   in Loop: Header=BB62_3 Depth=1
	s_or_b32 exec_lo, exec_lo, s12
	s_wait_dscnt 0x0
	s_barrier_signal -1
	s_barrier_wait -1
	s_and_saveexec_b32 s12, s31
	s_cbranch_execz .LBB62_273
; %bb.272:                              ;   in Loop: Header=BB62_3 Depth=1
	ds_load_b64 v[44:45], v70 offset:21248
	ds_load_b64 v[46:47], v74
	s_wait_dscnt 0x0
	v_pk_mul_f32 v[98:99], v[46:47], v[44:45] op_sel:[1,1] op_sel_hi:[0,1]
	s_delay_alu instid0(VALU_DEP_1) | instskip(SKIP_1) | instid1(VALU_DEP_2)
	v_pk_fma_f32 v[100:101], v[46:47], v[44:45], v[98:99] op_sel_hi:[1,0,1]
	v_pk_fma_f32 v[44:45], v[46:47], v[44:45], v[98:99] neg_lo:[0,0,1] neg_hi:[0,0,1]
	v_mov_b32_e32 v45, v101
	s_delay_alu instid0(VALU_DEP_1)
	v_pk_add_f32 v[42:43], v[42:43], v[44:45] neg_lo:[0,1] neg_hi:[0,1]
.LBB62_273:                             ;   in Loop: Header=BB62_3 Depth=1
	;; [unrolled: 26-line block ×4, first 2 shown]
	s_or_b32 exec_lo, exec_lo, s12
	s_barrier_signal -1
	s_barrier_wait -1
	s_and_saveexec_b32 s12, s81
; %bb.282:                              ;   in Loop: Header=BB62_3 Depth=1
	v_pk_add_f32 v[44:45], v[42:43], 0 neg_lo:[1,1] neg_hi:[1,1]
	ds_store_b64 v74, v[44:45]
; %bb.283:                              ;   in Loop: Header=BB62_3 Depth=1
	s_or_b32 exec_lo, exec_lo, s12
	s_wait_dscnt 0x0
	s_barrier_signal -1
	s_barrier_wait -1
	s_and_saveexec_b32 s12, s70
	s_cbranch_execz .LBB62_285
; %bb.284:                              ;   in Loop: Header=BB62_3 Depth=1
	ds_load_b64 v[44:45], v70 offset:19712
	ds_load_b64 v[46:47], v74
	s_wait_dscnt 0x0
	v_dual_mul_f32 v2, v47, v45 :: v_dual_mul_f32 v5, v46, v45
	s_delay_alu instid0(VALU_DEP_1) | instskip(NEXT) | instid1(VALU_DEP_1)
	v_dual_fma_f32 v2, v46, v44, -v2 :: v_dual_fmac_f32 v5, v47, v44
	v_dual_sub_f32 v42, v42, v2 :: v_dual_sub_f32 v43, v43, v5
.LBB62_285:                             ;   in Loop: Header=BB62_3 Depth=1
	s_or_b32 exec_lo, exec_lo, s12
	s_barrier_signal -1
	s_barrier_wait -1
	s_and_saveexec_b32 s12, s71
; %bb.286:                              ;   in Loop: Header=BB62_3 Depth=1
	v_pk_add_f32 v[44:45], v[42:43], 0 neg_lo:[1,1] neg_hi:[1,1]
	ds_store_b64 v74, v[44:45]
; %bb.287:                              ;   in Loop: Header=BB62_3 Depth=1
	s_or_b32 exec_lo, exec_lo, s12
	s_wait_dscnt 0x0
	s_barrier_signal -1
	s_barrier_wait -1
	s_and_saveexec_b32 s12, s22
	s_cbranch_execz .LBB62_289
; %bb.288:                              ;   in Loop: Header=BB62_3 Depth=1
	ds_load_b64 v[44:45], v70 offset:19200
	ds_load_b64 v[46:47], v74
	s_wait_dscnt 0x0
	v_dual_mul_f32 v2, v47, v45 :: v_dual_mul_f32 v99, v46, v45
	s_delay_alu instid0(VALU_DEP_1) | instskip(NEXT) | instid1(VALU_DEP_1)
	v_dual_fma_f32 v98, v46, v44, -v2 :: v_dual_fmac_f32 v99, v47, v44
	v_pk_add_f32 v[42:43], v[42:43], v[98:99] neg_lo:[0,1] neg_hi:[0,1]
.LBB62_289:                             ;   in Loop: Header=BB62_3 Depth=1
	s_or_b32 exec_lo, exec_lo, s12
	s_barrier_signal -1
	s_barrier_wait -1
	s_and_saveexec_b32 s12, s24
; %bb.290:                              ;   in Loop: Header=BB62_3 Depth=1
	v_pk_add_f32 v[44:45], v[42:43], 0 neg_lo:[1,1] neg_hi:[1,1]
	ds_store_b64 v74, v[44:45]
; %bb.291:                              ;   in Loop: Header=BB62_3 Depth=1
	s_or_b32 exec_lo, exec_lo, s12
	s_wait_dscnt 0x0
	s_barrier_signal -1
	s_barrier_wait -1
	s_and_saveexec_b32 s12, s26
	s_cbranch_execz .LBB62_293
; %bb.292:                              ;   in Loop: Header=BB62_3 Depth=1
	ds_load_b64 v[44:45], v70 offset:18688
	ds_load_b64 v[46:47], v74
	s_wait_dscnt 0x0
	v_pk_mul_f32 v[98:99], v[46:47], v[44:45] op_sel:[1,1] op_sel_hi:[0,1]
	s_delay_alu instid0(VALU_DEP_1) | instskip(SKIP_1) | instid1(VALU_DEP_2)
	v_pk_fma_f32 v[100:101], v[46:47], v[44:45], v[98:99] op_sel_hi:[1,0,1]
	v_pk_fma_f32 v[44:45], v[46:47], v[44:45], v[98:99] neg_lo:[0,0,1] neg_hi:[0,0,1]
	v_mov_b32_e32 v45, v101
	s_delay_alu instid0(VALU_DEP_1)
	v_pk_add_f32 v[42:43], v[42:43], v[44:45] neg_lo:[0,1] neg_hi:[0,1]
.LBB62_293:                             ;   in Loop: Header=BB62_3 Depth=1
	s_or_b32 exec_lo, exec_lo, s12
	s_barrier_signal -1
	s_barrier_wait -1
	s_and_saveexec_b32 s12, s28
; %bb.294:                              ;   in Loop: Header=BB62_3 Depth=1
	v_pk_add_f32 v[44:45], v[42:43], 0 neg_lo:[1,1] neg_hi:[1,1]
	ds_store_b64 v74, v[44:45]
; %bb.295:                              ;   in Loop: Header=BB62_3 Depth=1
	s_or_b32 exec_lo, exec_lo, s12
	s_wait_dscnt 0x0
	s_barrier_signal -1
	s_barrier_wait -1
	s_and_saveexec_b32 s12, s30
	s_cbranch_execz .LBB62_297
; %bb.296:                              ;   in Loop: Header=BB62_3 Depth=1
	ds_load_b64 v[44:45], v70 offset:18176
	ds_load_b64 v[46:47], v74
	s_wait_dscnt 0x0
	v_pk_mul_f32 v[98:99], v[46:47], v[44:45] op_sel:[1,1] op_sel_hi:[0,1]
	s_delay_alu instid0(VALU_DEP_1) | instskip(SKIP_1) | instid1(VALU_DEP_2)
	v_pk_fma_f32 v[100:101], v[46:47], v[44:45], v[98:99] op_sel_hi:[1,0,1]
	v_pk_fma_f32 v[44:45], v[46:47], v[44:45], v[98:99] neg_lo:[0,0,1] neg_hi:[0,0,1]
	v_mov_b32_e32 v45, v101
	s_delay_alu instid0(VALU_DEP_1)
	v_pk_add_f32 v[42:43], v[42:43], v[44:45] neg_lo:[0,1] neg_hi:[0,1]
.LBB62_297:                             ;   in Loop: Header=BB62_3 Depth=1
	;; [unrolled: 26-line block ×4, first 2 shown]
	s_or_b32 exec_lo, exec_lo, s12
	s_barrier_signal -1
	s_barrier_wait -1
	s_and_saveexec_b32 s12, s54
; %bb.306:                              ;   in Loop: Header=BB62_3 Depth=1
	v_pk_add_f32 v[44:45], v[42:43], 0 neg_lo:[1,1] neg_hi:[1,1]
	ds_store_b64 v74, v[44:45]
; %bb.307:                              ;   in Loop: Header=BB62_3 Depth=1
	s_or_b32 exec_lo, exec_lo, s12
	s_wait_dscnt 0x0
	s_barrier_signal -1
	s_barrier_wait -1
	s_barrier_signal -1
	s_barrier_wait -1
	s_and_saveexec_b32 s12, s6
; %bb.308:                              ;   in Loop: Header=BB62_3 Depth=1
	ds_store_b64 v75, v[42:43] offset:32512
; %bb.309:                              ;   in Loop: Header=BB62_3 Depth=1
	s_or_b32 exec_lo, exec_lo, s12
	s_wait_dscnt 0x0
	s_barrier_signal -1
	s_barrier_wait -1
	s_barrier_signal -1
	s_barrier_wait -1
	s_and_saveexec_b32 s62, s56
	s_cbranch_execz .LBB62_311
; %bb.310:                              ;   in Loop: Header=BB62_3 Depth=1
	ds_load_b64 v[42:43], v48 offset:24832
	s_wait_dscnt 0x0
	ds_store_b64 v49, v[42:43] offset:16768
	ds_load_b64 v[42:43], v48 offset:24840
	s_wait_dscnt 0x0
	ds_store_b64 v49, v[42:43] offset:17280
	;; [unrolled: 3-line block ×16, first 2 shown]
.LBB62_311:                             ;   in Loop: Header=BB62_3 Depth=1
	s_or_b32 exec_lo, exec_lo, s62
	s_wait_dscnt 0x0
	s_barrier_signal -1
	s_barrier_wait -1
	s_and_saveexec_b32 s12, s11
	s_cbranch_execz .LBB62_313
; %bb.312:                              ;   in Loop: Header=BB62_3 Depth=1
	ds_load_b64 v[42:43], v3 offset:24432
	v_add_nc_u32_e64 v2, 0x5800, 0
	ds_store_b64 v3, v[38:39] offset:24440
	s_wait_dscnt 0x1
	ds_store_2addr_b64 v2, v[38:39], v[42:43] offset0:174 offset1:175
.LBB62_313:                             ;   in Loop: Header=BB62_3 Depth=1
	s_or_b32 exec_lo, exec_lo, s12
	v_dual_mov_b32 v42, 0 :: v_dual_mov_b32 v43, 0
	s_wait_dscnt 0x0
	s_barrier_signal -1
	s_barrier_wait -1
	global_wb scope:SCOPE_DEV
	s_wait_storecnt 0x0
	global_inv scope:SCOPE_DEV
	s_and_saveexec_b32 s62, s2
	s_cbranch_execz .LBB62_317
; %bb.314:                              ;   in Loop: Header=BB62_3 Depth=1
	ds_load_b64 v[42:43], v64 offset:23904
	ds_load_b64 v[44:45], v54 offset:24432
	s_wait_dscnt 0x0
	v_pk_mul_f32 v[46:47], v[44:45], v[42:43] op_sel:[1,1] op_sel_hi:[0,1]
	s_delay_alu instid0(VALU_DEP_1) | instskip(SKIP_1) | instid1(VALU_DEP_2)
	v_pk_fma_f32 v[98:99], v[44:45], v[42:43], v[46:47] op_sel_hi:[1,0,1]
	v_pk_fma_f32 v[42:43], v[44:45], v[42:43], v[46:47] neg_lo:[0,0,1] neg_hi:[0,0,1]
	v_mov_b32_e32 v43, v99
	s_delay_alu instid0(VALU_DEP_1)
	v_pk_add_f32 v[42:43], v[42:43], 0 op_sel_hi:[1,0]
	s_and_saveexec_b32 s12, s13
	s_cbranch_execz .LBB62_316
; %bb.315:                              ;   in Loop: Header=BB62_3 Depth=1
	ds_load_b64 v[44:45], v9 offset:24416
	ds_load_b64 v[46:47], v3 offset:24440
	s_wait_dscnt 0x0
	v_pk_mul_f32 v[98:99], v[46:47], v[44:45] op_sel:[1,1] op_sel_hi:[0,1]
	s_delay_alu instid0(VALU_DEP_1) | instskip(SKIP_1) | instid1(VALU_DEP_2)
	v_pk_fma_f32 v[100:101], v[46:47], v[44:45], v[98:99] op_sel_hi:[1,0,1]
	v_pk_fma_f32 v[44:45], v[46:47], v[44:45], v[98:99] neg_lo:[0,0,1] neg_hi:[0,0,1]
	v_mov_b32_e32 v45, v101
	s_delay_alu instid0(VALU_DEP_1)
	v_pk_add_f32 v[42:43], v[42:43], v[44:45]
.LBB62_316:                             ;   in Loop: Header=BB62_3 Depth=1
	s_or_b32 exec_lo, exec_lo, s12
.LBB62_317:                             ;   in Loop: Header=BB62_3 Depth=1
	s_delay_alu instid0(SALU_CYCLE_1)
	s_or_b32 exec_lo, exec_lo, s62
	s_and_saveexec_b32 s12, s94
; %bb.318:                              ;   in Loop: Header=BB62_3 Depth=1
	s_delay_alu instid0(VALU_DEP_1)
	v_pk_add_f32 v[44:45], v[42:43], 0 neg_lo:[1,1] neg_hi:[1,1]
	ds_store_b64 v65, v[44:45]
; %bb.319:                              ;   in Loop: Header=BB62_3 Depth=1
	s_or_b32 exec_lo, exec_lo, s12
	s_wait_loadcnt_dscnt 0x0
	s_barrier_signal -1
	s_barrier_wait -1
	s_and_saveexec_b32 s12, s95
	s_cbranch_execz .LBB62_321
; %bb.320:                              ;   in Loop: Header=BB62_3 Depth=1
	ds_load_b64 v[44:45], v3 offset:23392
	ds_load_b64 v[46:47], v65
	s_wait_dscnt 0x0
	v_pk_mul_f32 v[98:99], v[46:47], v[44:45] op_sel_hi:[1,0]
	s_delay_alu instid0(VALU_DEP_1) | instskip(SKIP_1) | instid1(VALU_DEP_2)
	v_pk_fma_f32 v[100:101], v[46:47], v[44:45], v[98:99] op_sel:[1,1,0] op_sel_hi:[0,1,1]
	v_pk_fma_f32 v[44:45], v[46:47], v[44:45], v[98:99] op_sel:[1,1,0] op_sel_hi:[0,1,1] neg_lo:[0,0,1] neg_hi:[0,0,1]
	v_pk_add_f32 v[46:47], v[42:43], v[100:101] neg_lo:[0,1] neg_hi:[0,1]
	s_delay_alu instid0(VALU_DEP_2) | instskip(NEXT) | instid1(VALU_DEP_2)
	v_pk_add_f32 v[42:43], v[42:43], v[44:45]
	v_mov_b32_e32 v43, v47
.LBB62_321:                             ;   in Loop: Header=BB62_3 Depth=1
	s_or_b32 exec_lo, exec_lo, s12
	s_barrier_signal -1
	s_barrier_wait -1
	s_and_saveexec_b32 s12, s95
; %bb.322:                              ;   in Loop: Header=BB62_3 Depth=1
	v_pk_add_f32 v[44:45], v[42:43], 0 neg_lo:[1,1] neg_hi:[1,1]
	ds_store_b64 v65, v[44:45]
; %bb.323:                              ;   in Loop: Header=BB62_3 Depth=1
	s_or_b32 exec_lo, exec_lo, s12
	s_wait_dscnt 0x0
	s_barrier_signal -1
	s_barrier_wait -1
	s_barrier_signal -1
	s_barrier_wait -1
	s_and_saveexec_b32 s12, s2
; %bb.324:                              ;   in Loop: Header=BB62_3 Depth=1
	ds_store_b64 v67, v[42:43] offset:24416
; %bb.325:                              ;   in Loop: Header=BB62_3 Depth=1
	s_or_b32 exec_lo, exec_lo, s12
	s_wait_dscnt 0x0
	s_barrier_signal -1
	s_barrier_wait -1
	s_barrier_signal -1
	s_barrier_wait -1
	s_and_saveexec_b32 s12, s96
	s_cbranch_execz .LBB62_327
; %bb.326:                              ;   in Loop: Header=BB62_3 Depth=1
	ds_load_b64 v[42:43], v48 offset:23904
	s_wait_dscnt 0x0
	ds_store_b64 v9, v[42:43] offset:22896
	ds_load_b64 v[42:43], v48 offset:23912
	s_wait_dscnt 0x0
	ds_store_b64 v9, v[42:43] offset:23408
.LBB62_327:                             ;   in Loop: Header=BB62_3 Depth=1
	s_or_b32 exec_lo, exec_lo, s12
	s_wait_dscnt 0x0
	s_barrier_signal -1
	s_barrier_wait -1
	s_and_saveexec_b32 s12, s11
	s_cbranch_execz .LBB62_329
; %bb.328:                              ;   in Loop: Header=BB62_3 Depth=1
	ds_load_b64 v[42:43], v3 offset:23392
	v_add_nc_u32_e64 v2, 0x5800, 0
	ds_store_b64 v3, v[38:39] offset:23400
	s_wait_dscnt 0x1
	ds_store_2addr_b64 v2, v[38:39], v[42:43] offset0:44 offset1:45
.LBB62_329:                             ;   in Loop: Header=BB62_3 Depth=1
	s_or_b32 exec_lo, exec_lo, s12
	v_mov_b64_e32 v[42:43], 0
	s_wait_dscnt 0x0
	s_barrier_signal -1
	s_barrier_wait -1
	global_wb scope:SCOPE_DEV
	s_wait_storecnt 0x0
	global_inv scope:SCOPE_DEV
	s_and_saveexec_b32 s62, s4
	s_cbranch_execz .LBB62_335
; %bb.330:                              ;   in Loop: Header=BB62_3 Depth=1
	ds_load_b64 v[42:43], v66 offset:22848
	ds_load_b64 v[44:45], v55 offset:24416
	s_wait_dscnt 0x0
	v_dual_mul_f32 v2, v45, v43 :: v_dual_mul_f32 v5, v44, v43
	s_delay_alu instid0(VALU_DEP_1) | instskip(NEXT) | instid1(VALU_DEP_1)
	v_dual_fma_f32 v2, v44, v42, -v2 :: v_dual_fmac_f32 v5, v45, v42
	v_dual_add_f32 v42, 0, v2 :: v_dual_add_f32 v43, 0, v5
	s_and_saveexec_b32 s12, s14
	s_cbranch_execnz .LBB62_1076
; %bb.331:                              ;   in Loop: Header=BB62_3 Depth=1
	s_or_b32 exec_lo, exec_lo, s12
	s_and_saveexec_b32 s12, s15
	s_cbranch_execnz .LBB62_1077
.LBB62_332:                             ;   in Loop: Header=BB62_3 Depth=1
	s_or_b32 exec_lo, exec_lo, s12
	s_and_saveexec_b32 s12, s2
	s_cbranch_execz .LBB62_334
.LBB62_333:                             ;   in Loop: Header=BB62_3 Depth=1
	ds_load_b64 v[44:45], v49 offset:24384
	ds_load_b64 v[46:47], v3 offset:24440
	s_wait_dscnt 0x0
	v_pk_mul_f32 v[98:99], v[46:47], v[44:45] op_sel:[1,1] op_sel_hi:[0,1]
	s_delay_alu instid0(VALU_DEP_1) | instskip(SKIP_1) | instid1(VALU_DEP_2)
	v_pk_fma_f32 v[100:101], v[46:47], v[44:45], v[98:99] op_sel_hi:[1,0,1]
	v_pk_fma_f32 v[44:45], v[46:47], v[44:45], v[98:99] neg_lo:[0,0,1] neg_hi:[0,0,1]
	v_mov_b32_e32 v45, v101
	s_delay_alu instid0(VALU_DEP_1)
	v_pk_add_f32 v[42:43], v[42:43], v[44:45]
.LBB62_334:                             ;   in Loop: Header=BB62_3 Depth=1
	s_or_b32 exec_lo, exec_lo, s12
.LBB62_335:                             ;   in Loop: Header=BB62_3 Depth=1
	s_delay_alu instid0(SALU_CYCLE_1)
	s_or_b32 exec_lo, exec_lo, s62
	s_and_saveexec_b32 s12, s97
; %bb.336:                              ;   in Loop: Header=BB62_3 Depth=1
	s_delay_alu instid0(VALU_DEP_1)
	v_pk_add_f32 v[44:45], v[42:43], 0 neg_lo:[1,1] neg_hi:[1,1]
	ds_store_b64 v69, v[44:45]
; %bb.337:                              ;   in Loop: Header=BB62_3 Depth=1
	s_or_b32 exec_lo, exec_lo, s12
	s_wait_loadcnt_dscnt 0x0
	s_barrier_signal -1
	s_barrier_wait -1
	s_and_saveexec_b32 s12, s98
	s_cbranch_execz .LBB62_339
; %bb.338:                              ;   in Loop: Header=BB62_3 Depth=1
	ds_load_b64 v[44:45], v66 offset:22336
	ds_load_b64 v[46:47], v69
	s_wait_dscnt 0x0
	v_pk_mul_f32 v[98:99], v[46:47], v[44:45] op_sel:[1,1] op_sel_hi:[0,1]
	s_delay_alu instid0(VALU_DEP_1) | instskip(SKIP_1) | instid1(VALU_DEP_2)
	v_pk_fma_f32 v[100:101], v[46:47], v[44:45], v[98:99] op_sel_hi:[1,0,1]
	v_pk_fma_f32 v[44:45], v[46:47], v[44:45], v[98:99] neg_lo:[0,0,1] neg_hi:[0,0,1]
	v_mov_b32_e32 v45, v101
	s_delay_alu instid0(VALU_DEP_1)
	v_pk_add_f32 v[42:43], v[42:43], v[44:45] neg_lo:[0,1] neg_hi:[0,1]
.LBB62_339:                             ;   in Loop: Header=BB62_3 Depth=1
	s_or_b32 exec_lo, exec_lo, s12
	s_barrier_signal -1
	s_barrier_wait -1
	s_and_saveexec_b32 s12, s99
; %bb.340:                              ;   in Loop: Header=BB62_3 Depth=1
	v_pk_add_f32 v[44:45], v[42:43], 0 neg_lo:[1,1] neg_hi:[1,1]
	ds_store_b64 v69, v[44:45]
; %bb.341:                              ;   in Loop: Header=BB62_3 Depth=1
	s_or_b32 exec_lo, exec_lo, s12
	s_wait_dscnt 0x0
	s_barrier_signal -1
	s_barrier_wait -1
	s_and_saveexec_b32 s12, s100
	s_cbranch_execz .LBB62_343
; %bb.342:                              ;   in Loop: Header=BB62_3 Depth=1
	ds_load_b64 v[44:45], v66 offset:21824
	ds_load_b64 v[46:47], v69
	s_wait_dscnt 0x0
	v_pk_mul_f32 v[98:99], v[46:47], v[44:45] op_sel:[1,1] op_sel_hi:[0,1]
	s_delay_alu instid0(VALU_DEP_1) | instskip(SKIP_1) | instid1(VALU_DEP_2)
	v_pk_fma_f32 v[100:101], v[46:47], v[44:45], v[98:99] op_sel_hi:[1,0,1]
	v_pk_fma_f32 v[44:45], v[46:47], v[44:45], v[98:99] neg_lo:[0,0,1] neg_hi:[0,0,1]
	v_mov_b32_e32 v45, v101
	s_delay_alu instid0(VALU_DEP_1)
	v_pk_add_f32 v[42:43], v[42:43], v[44:45] neg_lo:[0,1] neg_hi:[0,1]
.LBB62_343:                             ;   in Loop: Header=BB62_3 Depth=1
	s_or_b32 exec_lo, exec_lo, s12
	s_barrier_signal -1
	s_barrier_wait -1
	s_and_saveexec_b32 s12, s101
; %bb.344:                              ;   in Loop: Header=BB62_3 Depth=1
	v_pk_add_f32 v[44:45], v[42:43], 0 neg_lo:[1,1] neg_hi:[1,1]
	ds_store_b64 v69, v[44:45]
; %bb.345:                              ;   in Loop: Header=BB62_3 Depth=1
	s_or_b32 exec_lo, exec_lo, s12
	s_wait_dscnt 0x0
	;; [unrolled: 26-line block ×3, first 2 shown]
	s_barrier_signal -1
	s_barrier_wait -1
	s_barrier_signal -1
	s_barrier_wait -1
	s_and_saveexec_b32 s12, s4
; %bb.350:                              ;   in Loop: Header=BB62_3 Depth=1
	ds_store_b64 v71, v[42:43] offset:24384
; %bb.351:                              ;   in Loop: Header=BB62_3 Depth=1
	s_or_b32 exec_lo, exec_lo, s12
	s_wait_dscnt 0x0
	s_barrier_signal -1
	s_barrier_wait -1
	s_barrier_signal -1
	s_barrier_wait -1
	s_and_saveexec_b32 s12, s103
	s_cbranch_execz .LBB62_353
; %bb.352:                              ;   in Loop: Header=BB62_3 Depth=1
	ds_load_b64 v[42:43], v50 offset:22848
	s_wait_dscnt 0x0
	ds_store_b64 v51, v[42:43] offset:20832
	ds_load_b64 v[42:43], v50 offset:22856
	s_wait_dscnt 0x0
	ds_store_b64 v51, v[42:43] offset:21344
	;; [unrolled: 3-line block ×4, first 2 shown]
.LBB62_353:                             ;   in Loop: Header=BB62_3 Depth=1
	s_or_b32 exec_lo, exec_lo, s12
	s_wait_dscnt 0x0
	s_barrier_signal -1
	s_barrier_wait -1
	s_and_saveexec_b32 s12, s11
	s_cbranch_execz .LBB62_355
; %bb.354:                              ;   in Loop: Header=BB62_3 Depth=1
	ds_load_b64 v[42:43], v3 offset:22352
	v_add_nc_u32_e64 v2, 0x5000, 0
	ds_store_b64 v3, v[38:39] offset:22360
	s_wait_dscnt 0x1
	ds_store_2addr_b64 v2, v[38:39], v[42:43] offset0:170 offset1:171
.LBB62_355:                             ;   in Loop: Header=BB62_3 Depth=1
	s_or_b32 exec_lo, exec_lo, s12
	v_dual_mov_b32 v42, 0 :: v_dual_mov_b32 v43, 0
	s_wait_dscnt 0x0
	s_barrier_signal -1
	s_barrier_wait -1
	global_wb scope:SCOPE_DEV
	s_wait_storecnt 0x0
	global_inv scope:SCOPE_DEV
	s_and_saveexec_b32 s62, s2
	s_cbranch_execz .LBB62_359
; %bb.356:                              ;   in Loop: Header=BB62_3 Depth=1
	ds_load_b64 v[42:43], v64 offset:21824
	ds_load_b64 v[44:45], v54 offset:22352
	s_wait_dscnt 0x0
	v_pk_mul_f32 v[46:47], v[44:45], v[42:43] op_sel:[1,1] op_sel_hi:[0,1]
	s_delay_alu instid0(VALU_DEP_1) | instskip(SKIP_1) | instid1(VALU_DEP_2)
	v_pk_fma_f32 v[98:99], v[44:45], v[42:43], v[46:47] op_sel_hi:[1,0,1]
	v_pk_fma_f32 v[42:43], v[44:45], v[42:43], v[46:47] neg_lo:[0,0,1] neg_hi:[0,0,1]
	v_mov_b32_e32 v43, v99
	s_delay_alu instid0(VALU_DEP_1)
	v_pk_add_f32 v[42:43], v[42:43], 0 op_sel_hi:[1,0]
	s_and_saveexec_b32 s12, s13
	s_cbranch_execz .LBB62_358
; %bb.357:                              ;   in Loop: Header=BB62_3 Depth=1
	ds_load_b64 v[44:45], v51 offset:22336
	ds_load_b64 v[46:47], v3 offset:22360
	s_wait_dscnt 0x0
	v_pk_mul_f32 v[98:99], v[46:47], v[44:45] op_sel:[1,1] op_sel_hi:[0,1]
	s_delay_alu instid0(VALU_DEP_1) | instskip(SKIP_1) | instid1(VALU_DEP_2)
	v_pk_fma_f32 v[100:101], v[46:47], v[44:45], v[98:99] op_sel_hi:[1,0,1]
	v_pk_fma_f32 v[44:45], v[46:47], v[44:45], v[98:99] neg_lo:[0,0,1] neg_hi:[0,0,1]
	v_mov_b32_e32 v45, v101
	s_delay_alu instid0(VALU_DEP_1)
	v_pk_add_f32 v[42:43], v[42:43], v[44:45]
.LBB62_358:                             ;   in Loop: Header=BB62_3 Depth=1
	s_or_b32 exec_lo, exec_lo, s12
.LBB62_359:                             ;   in Loop: Header=BB62_3 Depth=1
	s_delay_alu instid0(SALU_CYCLE_1)
	s_or_b32 exec_lo, exec_lo, s62
	s_and_saveexec_b32 s12, s94
; %bb.360:                              ;   in Loop: Header=BB62_3 Depth=1
	s_delay_alu instid0(VALU_DEP_1)
	v_pk_add_f32 v[44:45], v[42:43], 0 neg_lo:[1,1] neg_hi:[1,1]
	ds_store_b64 v65, v[44:45]
; %bb.361:                              ;   in Loop: Header=BB62_3 Depth=1
	s_or_b32 exec_lo, exec_lo, s12
	s_wait_loadcnt_dscnt 0x0
	s_barrier_signal -1
	s_barrier_wait -1
	s_and_saveexec_b32 s12, s95
	s_cbranch_execz .LBB62_363
; %bb.362:                              ;   in Loop: Header=BB62_3 Depth=1
	ds_load_b64 v[44:45], v3 offset:21312
	ds_load_b64 v[46:47], v65
	s_wait_dscnt 0x0
	v_pk_mul_f32 v[98:99], v[46:47], v[44:45] op_sel_hi:[1,0]
	s_delay_alu instid0(VALU_DEP_1) | instskip(SKIP_1) | instid1(VALU_DEP_2)
	v_pk_fma_f32 v[100:101], v[46:47], v[44:45], v[98:99] op_sel:[1,1,0] op_sel_hi:[0,1,1]
	v_pk_fma_f32 v[44:45], v[46:47], v[44:45], v[98:99] op_sel:[1,1,0] op_sel_hi:[0,1,1] neg_lo:[0,0,1] neg_hi:[0,0,1]
	v_pk_add_f32 v[46:47], v[42:43], v[100:101] neg_lo:[0,1] neg_hi:[0,1]
	s_delay_alu instid0(VALU_DEP_2) | instskip(NEXT) | instid1(VALU_DEP_2)
	v_pk_add_f32 v[42:43], v[42:43], v[44:45]
	v_mov_b32_e32 v43, v47
.LBB62_363:                             ;   in Loop: Header=BB62_3 Depth=1
	s_or_b32 exec_lo, exec_lo, s12
	s_barrier_signal -1
	s_barrier_wait -1
	s_and_saveexec_b32 s12, s95
; %bb.364:                              ;   in Loop: Header=BB62_3 Depth=1
	v_pk_add_f32 v[44:45], v[42:43], 0 neg_lo:[1,1] neg_hi:[1,1]
	ds_store_b64 v65, v[44:45]
; %bb.365:                              ;   in Loop: Header=BB62_3 Depth=1
	s_or_b32 exec_lo, exec_lo, s12
	s_wait_dscnt 0x0
	s_barrier_signal -1
	s_barrier_wait -1
	s_barrier_signal -1
	s_barrier_wait -1
	s_and_saveexec_b32 s12, s2
; %bb.366:                              ;   in Loop: Header=BB62_3 Depth=1
	ds_store_b64 v67, v[42:43] offset:22336
; %bb.367:                              ;   in Loop: Header=BB62_3 Depth=1
	s_or_b32 exec_lo, exec_lo, s12
	s_wait_dscnt 0x0
	s_barrier_signal -1
	s_barrier_wait -1
	s_barrier_signal -1
	s_barrier_wait -1
	s_and_saveexec_b32 s12, s96
	s_cbranch_execz .LBB62_369
; %bb.368:                              ;   in Loop: Header=BB62_3 Depth=1
	ds_load_b64 v[42:43], v52 offset:21824
	s_wait_dscnt 0x0
	ds_store_b64 v51, v[42:43] offset:20816
	ds_load_b64 v[42:43], v52 offset:21832
	s_wait_dscnt 0x0
	ds_store_b64 v51, v[42:43] offset:21328
.LBB62_369:                             ;   in Loop: Header=BB62_3 Depth=1
	s_or_b32 exec_lo, exec_lo, s12
	s_wait_dscnt 0x0
	s_barrier_signal -1
	s_barrier_wait -1
	s_and_saveexec_b32 s12, s11
	s_cbranch_execz .LBB62_371
; %bb.370:                              ;   in Loop: Header=BB62_3 Depth=1
	ds_load_b64 v[42:43], v3 offset:21312
	v_add_nc_u32_e64 v2, 0x5000, 0
	ds_store_b64 v3, v[38:39] offset:21320
	s_wait_dscnt 0x1
	ds_store_2addr_b64 v2, v[38:39], v[42:43] offset0:40 offset1:41
.LBB62_371:                             ;   in Loop: Header=BB62_3 Depth=1
	s_or_b32 exec_lo, exec_lo, s12
	v_mov_b64_e32 v[42:43], 0
	s_wait_dscnt 0x0
	s_barrier_signal -1
	s_barrier_wait -1
	global_wb scope:SCOPE_DEV
	s_wait_storecnt 0x0
	global_inv scope:SCOPE_DEV
	s_and_saveexec_b32 s62, s5
	s_cbranch_execz .LBB62_381
; %bb.372:                              ;   in Loop: Header=BB62_3 Depth=1
	ds_load_b64 v[42:43], v68 offset:20736
	ds_load_b64 v[44:45], v59 offset:24384
	s_wait_dscnt 0x0
	v_dual_mul_f32 v2, v45, v43 :: v_dual_mul_f32 v5, v44, v43
	s_delay_alu instid0(VALU_DEP_1) | instskip(NEXT) | instid1(VALU_DEP_1)
	v_dual_fma_f32 v2, v44, v42, -v2 :: v_dual_fmac_f32 v5, v45, v42
	v_dual_add_f32 v42, 0, v2 :: v_dual_add_f32 v43, 0, v5
	s_and_saveexec_b32 s12, s16
	s_cbranch_execnz .LBB62_1078
; %bb.373:                              ;   in Loop: Header=BB62_3 Depth=1
	s_or_b32 exec_lo, exec_lo, s12
	s_and_saveexec_b32 s12, s17
	s_cbranch_execnz .LBB62_1079
.LBB62_374:                             ;   in Loop: Header=BB62_3 Depth=1
	s_or_b32 exec_lo, exec_lo, s12
	s_and_saveexec_b32 s12, s18
	s_cbranch_execnz .LBB62_1080
.LBB62_375:                             ;   in Loop: Header=BB62_3 Depth=1
	s_or_b32 exec_lo, exec_lo, s12
	s_and_saveexec_b32 s12, s19
	s_cbranch_execnz .LBB62_1081
.LBB62_376:                             ;   in Loop: Header=BB62_3 Depth=1
	s_or_b32 exec_lo, exec_lo, s12
	s_and_saveexec_b32 s12, s20
	s_cbranch_execnz .LBB62_1082
.LBB62_377:                             ;   in Loop: Header=BB62_3 Depth=1
	s_or_b32 exec_lo, exec_lo, s12
	s_and_saveexec_b32 s12, s4
	s_cbranch_execnz .LBB62_1083
.LBB62_378:                             ;   in Loop: Header=BB62_3 Depth=1
	s_or_b32 exec_lo, exec_lo, s12
	s_and_saveexec_b32 s12, s15
	s_cbranch_execz .LBB62_380
.LBB62_379:                             ;   in Loop: Header=BB62_3 Depth=1
	ds_load_b64 v[44:45], v53 offset:24320
	ds_load_b64 v[46:47], v3 offset:24440
	s_wait_dscnt 0x0
	v_pk_mul_f32 v[98:99], v[46:47], v[44:45] op_sel:[1,1] op_sel_hi:[0,1]
	s_delay_alu instid0(VALU_DEP_1) | instskip(SKIP_1) | instid1(VALU_DEP_2)
	v_pk_fma_f32 v[100:101], v[46:47], v[44:45], v[98:99] op_sel_hi:[1,0,1]
	v_pk_fma_f32 v[44:45], v[46:47], v[44:45], v[98:99] neg_lo:[0,0,1] neg_hi:[0,0,1]
	v_mov_b32_e32 v45, v101
	s_delay_alu instid0(VALU_DEP_1)
	v_pk_add_f32 v[42:43], v[42:43], v[44:45]
.LBB62_380:                             ;   in Loop: Header=BB62_3 Depth=1
	s_or_b32 exec_lo, exec_lo, s12
.LBB62_381:                             ;   in Loop: Header=BB62_3 Depth=1
	s_delay_alu instid0(SALU_CYCLE_1)
	s_or_b32 exec_lo, exec_lo, s62
	s_and_saveexec_b32 s12, s104
; %bb.382:                              ;   in Loop: Header=BB62_3 Depth=1
	s_delay_alu instid0(VALU_DEP_1)
	v_pk_add_f32 v[44:45], v[42:43], 0 neg_lo:[1,1] neg_hi:[1,1]
	ds_store_b64 v72, v[44:45]
; %bb.383:                              ;   in Loop: Header=BB62_3 Depth=1
	s_or_b32 exec_lo, exec_lo, s12
	s_wait_loadcnt_dscnt 0x0
	s_barrier_signal -1
	s_barrier_wait -1
	s_and_saveexec_b32 s12, vcc_hi
	s_cbranch_execz .LBB62_385
; %bb.384:                              ;   in Loop: Header=BB62_3 Depth=1
	ds_load_b64 v[44:45], v68 offset:20224
	ds_load_b64 v[46:47], v72
	s_wait_dscnt 0x0
	v_pk_mul_f32 v[98:99], v[46:47], v[44:45] op_sel:[1,1] op_sel_hi:[0,1]
	s_delay_alu instid0(VALU_DEP_1) | instskip(SKIP_1) | instid1(VALU_DEP_2)
	v_pk_fma_f32 v[100:101], v[46:47], v[44:45], v[98:99] op_sel_hi:[1,0,1]
	v_pk_fma_f32 v[44:45], v[46:47], v[44:45], v[98:99] neg_lo:[0,0,1] neg_hi:[0,0,1]
	v_mov_b32_e32 v45, v101
	s_delay_alu instid0(VALU_DEP_1)
	v_pk_add_f32 v[42:43], v[42:43], v[44:45] neg_lo:[0,1] neg_hi:[0,1]
.LBB62_385:                             ;   in Loop: Header=BB62_3 Depth=1
	s_or_b32 exec_lo, exec_lo, s12
	s_barrier_signal -1
	s_barrier_wait -1
	s_and_saveexec_b32 s12, s39
; %bb.386:                              ;   in Loop: Header=BB62_3 Depth=1
	v_pk_add_f32 v[44:45], v[42:43], 0 neg_lo:[1,1] neg_hi:[1,1]
	ds_store_b64 v72, v[44:45]
; %bb.387:                              ;   in Loop: Header=BB62_3 Depth=1
	s_or_b32 exec_lo, exec_lo, s12
	s_wait_dscnt 0x0
	s_barrier_signal -1
	s_barrier_wait -1
	s_and_saveexec_b32 s12, s40
	s_cbranch_execz .LBB62_389
; %bb.388:                              ;   in Loop: Header=BB62_3 Depth=1
	ds_load_b64 v[44:45], v68 offset:19712
	ds_load_b64 v[46:47], v72
	s_wait_dscnt 0x0
	v_dual_mul_f32 v2, v47, v45 :: v_dual_mul_f32 v5, v46, v45
	s_delay_alu instid0(VALU_DEP_1) | instskip(NEXT) | instid1(VALU_DEP_1)
	v_dual_fma_f32 v2, v46, v44, -v2 :: v_dual_fmac_f32 v5, v47, v44
	v_dual_sub_f32 v42, v42, v2 :: v_dual_sub_f32 v43, v43, v5
.LBB62_389:                             ;   in Loop: Header=BB62_3 Depth=1
	s_or_b32 exec_lo, exec_lo, s12
	s_barrier_signal -1
	s_barrier_wait -1
	s_and_saveexec_b32 s12, s41
; %bb.390:                              ;   in Loop: Header=BB62_3 Depth=1
	v_pk_add_f32 v[44:45], v[42:43], 0 neg_lo:[1,1] neg_hi:[1,1]
	ds_store_b64 v72, v[44:45]
; %bb.391:                              ;   in Loop: Header=BB62_3 Depth=1
	s_or_b32 exec_lo, exec_lo, s12
	s_wait_dscnt 0x0
	s_barrier_signal -1
	s_barrier_wait -1
	s_and_saveexec_b32 s12, s42
	s_cbranch_execz .LBB62_393
; %bb.392:                              ;   in Loop: Header=BB62_3 Depth=1
	ds_load_b64 v[44:45], v68 offset:19200
	ds_load_b64 v[46:47], v72
	s_wait_dscnt 0x0
	v_dual_mul_f32 v2, v47, v45 :: v_dual_mul_f32 v99, v46, v45
	s_delay_alu instid0(VALU_DEP_1) | instskip(NEXT) | instid1(VALU_DEP_1)
	v_dual_fma_f32 v98, v46, v44, -v2 :: v_dual_fmac_f32 v99, v47, v44
	v_pk_add_f32 v[42:43], v[42:43], v[98:99] neg_lo:[0,1] neg_hi:[0,1]
.LBB62_393:                             ;   in Loop: Header=BB62_3 Depth=1
	s_or_b32 exec_lo, exec_lo, s12
	s_barrier_signal -1
	s_barrier_wait -1
	s_and_saveexec_b32 s12, s43
; %bb.394:                              ;   in Loop: Header=BB62_3 Depth=1
	v_pk_add_f32 v[44:45], v[42:43], 0 neg_lo:[1,1] neg_hi:[1,1]
	ds_store_b64 v72, v[44:45]
; %bb.395:                              ;   in Loop: Header=BB62_3 Depth=1
	s_or_b32 exec_lo, exec_lo, s12
	s_wait_dscnt 0x0
	s_barrier_signal -1
	s_barrier_wait -1
	s_and_saveexec_b32 s12, s44
	s_cbranch_execz .LBB62_397
; %bb.396:                              ;   in Loop: Header=BB62_3 Depth=1
	ds_load_b64 v[44:45], v68 offset:18688
	ds_load_b64 v[46:47], v72
	s_wait_dscnt 0x0
	v_pk_mul_f32 v[98:99], v[46:47], v[44:45] op_sel:[1,1] op_sel_hi:[0,1]
	s_delay_alu instid0(VALU_DEP_1) | instskip(SKIP_1) | instid1(VALU_DEP_2)
	v_pk_fma_f32 v[100:101], v[46:47], v[44:45], v[98:99] op_sel_hi:[1,0,1]
	v_pk_fma_f32 v[44:45], v[46:47], v[44:45], v[98:99] neg_lo:[0,0,1] neg_hi:[0,0,1]
	v_mov_b32_e32 v45, v101
	s_delay_alu instid0(VALU_DEP_1)
	v_pk_add_f32 v[42:43], v[42:43], v[44:45] neg_lo:[0,1] neg_hi:[0,1]
.LBB62_397:                             ;   in Loop: Header=BB62_3 Depth=1
	s_or_b32 exec_lo, exec_lo, s12
	s_barrier_signal -1
	s_barrier_wait -1
	s_and_saveexec_b32 s12, s45
; %bb.398:                              ;   in Loop: Header=BB62_3 Depth=1
	v_pk_add_f32 v[44:45], v[42:43], 0 neg_lo:[1,1] neg_hi:[1,1]
	ds_store_b64 v72, v[44:45]
; %bb.399:                              ;   in Loop: Header=BB62_3 Depth=1
	s_or_b32 exec_lo, exec_lo, s12
	s_wait_dscnt 0x0
	s_barrier_signal -1
	s_barrier_wait -1
	s_and_saveexec_b32 s12, s46
	s_cbranch_execz .LBB62_401
; %bb.400:                              ;   in Loop: Header=BB62_3 Depth=1
	ds_load_b64 v[44:45], v68 offset:18176
	ds_load_b64 v[46:47], v72
	s_wait_dscnt 0x0
	v_pk_mul_f32 v[98:99], v[46:47], v[44:45] op_sel:[1,1] op_sel_hi:[0,1]
	s_delay_alu instid0(VALU_DEP_1) | instskip(SKIP_1) | instid1(VALU_DEP_2)
	v_pk_fma_f32 v[100:101], v[46:47], v[44:45], v[98:99] op_sel_hi:[1,0,1]
	v_pk_fma_f32 v[44:45], v[46:47], v[44:45], v[98:99] neg_lo:[0,0,1] neg_hi:[0,0,1]
	v_mov_b32_e32 v45, v101
	s_delay_alu instid0(VALU_DEP_1)
	v_pk_add_f32 v[42:43], v[42:43], v[44:45] neg_lo:[0,1] neg_hi:[0,1]
.LBB62_401:                             ;   in Loop: Header=BB62_3 Depth=1
	;; [unrolled: 26-line block ×4, first 2 shown]
	s_or_b32 exec_lo, exec_lo, s12
	s_barrier_signal -1
	s_barrier_wait -1
	s_and_saveexec_b32 s12, s50
; %bb.410:                              ;   in Loop: Header=BB62_3 Depth=1
	v_pk_add_f32 v[44:45], v[42:43], 0 neg_lo:[1,1] neg_hi:[1,1]
	ds_store_b64 v72, v[44:45]
; %bb.411:                              ;   in Loop: Header=BB62_3 Depth=1
	s_or_b32 exec_lo, exec_lo, s12
	s_wait_dscnt 0x0
	s_barrier_signal -1
	s_barrier_wait -1
	s_barrier_signal -1
	s_barrier_wait -1
	s_and_saveexec_b32 s12, s5
; %bb.412:                              ;   in Loop: Header=BB62_3 Depth=1
	ds_store_b64 v73, v[42:43] offset:24320
; %bb.413:                              ;   in Loop: Header=BB62_3 Depth=1
	s_or_b32 exec_lo, exec_lo, s12
	s_wait_dscnt 0x0
	s_barrier_signal -1
	s_barrier_wait -1
	s_barrier_signal -1
	s_barrier_wait -1
	s_and_saveexec_b32 s12, s51
	s_cbranch_execz .LBB62_415
; %bb.414:                              ;   in Loop: Header=BB62_3 Depth=1
	ds_load_b64 v[42:43], v56 offset:20736
	s_wait_dscnt 0x0
	ds_store_b64 v57, v[42:43] offset:16704
	ds_load_b64 v[42:43], v56 offset:20744
	s_wait_dscnt 0x0
	ds_store_b64 v57, v[42:43] offset:17216
	;; [unrolled: 3-line block ×8, first 2 shown]
.LBB62_415:                             ;   in Loop: Header=BB62_3 Depth=1
	s_or_b32 exec_lo, exec_lo, s12
	s_wait_dscnt 0x0
	s_barrier_signal -1
	s_barrier_wait -1
	s_and_saveexec_b32 s12, s11
	s_cbranch_execz .LBB62_417
; %bb.416:                              ;   in Loop: Header=BB62_3 Depth=1
	ds_load_b64 v[42:43], v3 offset:20272
	v_add_nc_u32_e64 v2, 0x4800, 0
	ds_store_b64 v3, v[38:39] offset:20280
	s_wait_dscnt 0x1
	ds_store_2addr_b64 v2, v[38:39], v[42:43] offset0:166 offset1:167
.LBB62_417:                             ;   in Loop: Header=BB62_3 Depth=1
	s_or_b32 exec_lo, exec_lo, s12
	v_dual_mov_b32 v42, 0 :: v_dual_mov_b32 v43, 0
	s_wait_dscnt 0x0
	s_barrier_signal -1
	s_barrier_wait -1
	global_wb scope:SCOPE_DEV
	s_wait_storecnt 0x0
	global_inv scope:SCOPE_DEV
	s_and_saveexec_b32 s62, s2
	s_cbranch_execz .LBB62_421
; %bb.418:                              ;   in Loop: Header=BB62_3 Depth=1
	ds_load_b64 v[42:43], v64 offset:19744
	ds_load_b64 v[44:45], v54 offset:20272
	s_wait_dscnt 0x0
	v_pk_mul_f32 v[46:47], v[44:45], v[42:43] op_sel:[1,1] op_sel_hi:[0,1]
	s_delay_alu instid0(VALU_DEP_1) | instskip(SKIP_1) | instid1(VALU_DEP_2)
	v_pk_fma_f32 v[98:99], v[44:45], v[42:43], v[46:47] op_sel_hi:[1,0,1]
	v_pk_fma_f32 v[42:43], v[44:45], v[42:43], v[46:47] neg_lo:[0,0,1] neg_hi:[0,0,1]
	v_mov_b32_e32 v43, v99
	s_delay_alu instid0(VALU_DEP_1)
	v_pk_add_f32 v[42:43], v[42:43], 0 op_sel_hi:[1,0]
	s_and_saveexec_b32 s12, s13
	s_cbranch_execz .LBB62_420
; %bb.419:                              ;   in Loop: Header=BB62_3 Depth=1
	ds_load_b64 v[44:45], v57 offset:20256
	ds_load_b64 v[46:47], v3 offset:20280
	s_wait_dscnt 0x0
	v_pk_mul_f32 v[98:99], v[46:47], v[44:45] op_sel:[1,1] op_sel_hi:[0,1]
	s_delay_alu instid0(VALU_DEP_1) | instskip(SKIP_1) | instid1(VALU_DEP_2)
	v_pk_fma_f32 v[100:101], v[46:47], v[44:45], v[98:99] op_sel_hi:[1,0,1]
	v_pk_fma_f32 v[44:45], v[46:47], v[44:45], v[98:99] neg_lo:[0,0,1] neg_hi:[0,0,1]
	v_mov_b32_e32 v45, v101
	s_delay_alu instid0(VALU_DEP_1)
	v_pk_add_f32 v[42:43], v[42:43], v[44:45]
.LBB62_420:                             ;   in Loop: Header=BB62_3 Depth=1
	s_or_b32 exec_lo, exec_lo, s12
.LBB62_421:                             ;   in Loop: Header=BB62_3 Depth=1
	s_delay_alu instid0(SALU_CYCLE_1)
	s_or_b32 exec_lo, exec_lo, s62
	s_and_saveexec_b32 s12, s94
; %bb.422:                              ;   in Loop: Header=BB62_3 Depth=1
	s_delay_alu instid0(VALU_DEP_1)
	v_pk_add_f32 v[44:45], v[42:43], 0 neg_lo:[1,1] neg_hi:[1,1]
	ds_store_b64 v65, v[44:45]
; %bb.423:                              ;   in Loop: Header=BB62_3 Depth=1
	s_or_b32 exec_lo, exec_lo, s12
	s_wait_loadcnt_dscnt 0x0
	s_barrier_signal -1
	s_barrier_wait -1
	s_and_saveexec_b32 s12, s95
	s_cbranch_execz .LBB62_425
; %bb.424:                              ;   in Loop: Header=BB62_3 Depth=1
	ds_load_b64 v[44:45], v3 offset:19232
	ds_load_b64 v[46:47], v65
	s_wait_dscnt 0x0
	v_pk_mul_f32 v[98:99], v[46:47], v[44:45] op_sel_hi:[1,0]
	s_delay_alu instid0(VALU_DEP_1) | instskip(SKIP_1) | instid1(VALU_DEP_2)
	v_pk_fma_f32 v[100:101], v[46:47], v[44:45], v[98:99] op_sel:[1,1,0] op_sel_hi:[0,1,1]
	v_pk_fma_f32 v[44:45], v[46:47], v[44:45], v[98:99] op_sel:[1,1,0] op_sel_hi:[0,1,1] neg_lo:[0,0,1] neg_hi:[0,0,1]
	v_pk_add_f32 v[46:47], v[42:43], v[100:101] neg_lo:[0,1] neg_hi:[0,1]
	s_delay_alu instid0(VALU_DEP_2) | instskip(NEXT) | instid1(VALU_DEP_2)
	v_pk_add_f32 v[42:43], v[42:43], v[44:45]
	v_mov_b32_e32 v43, v47
.LBB62_425:                             ;   in Loop: Header=BB62_3 Depth=1
	s_or_b32 exec_lo, exec_lo, s12
	s_barrier_signal -1
	s_barrier_wait -1
	s_and_saveexec_b32 s12, s95
; %bb.426:                              ;   in Loop: Header=BB62_3 Depth=1
	v_pk_add_f32 v[44:45], v[42:43], 0 neg_lo:[1,1] neg_hi:[1,1]
	ds_store_b64 v65, v[44:45]
; %bb.427:                              ;   in Loop: Header=BB62_3 Depth=1
	s_or_b32 exec_lo, exec_lo, s12
	s_wait_dscnt 0x0
	s_barrier_signal -1
	s_barrier_wait -1
	s_barrier_signal -1
	s_barrier_wait -1
	s_and_saveexec_b32 s12, s2
; %bb.428:                              ;   in Loop: Header=BB62_3 Depth=1
	ds_store_b64 v67, v[42:43] offset:20256
; %bb.429:                              ;   in Loop: Header=BB62_3 Depth=1
	s_or_b32 exec_lo, exec_lo, s12
	s_wait_dscnt 0x0
	s_barrier_signal -1
	s_barrier_wait -1
	s_barrier_signal -1
	s_barrier_wait -1
	s_and_saveexec_b32 s12, s96
	s_cbranch_execz .LBB62_431
; %bb.430:                              ;   in Loop: Header=BB62_3 Depth=1
	ds_load_b64 v[42:43], v60 offset:19744
	s_wait_dscnt 0x0
	ds_store_b64 v57, v[42:43] offset:18736
	ds_load_b64 v[42:43], v60 offset:19752
	s_wait_dscnt 0x0
	ds_store_b64 v57, v[42:43] offset:19248
.LBB62_431:                             ;   in Loop: Header=BB62_3 Depth=1
	s_or_b32 exec_lo, exec_lo, s12
	s_wait_dscnt 0x0
	s_barrier_signal -1
	s_barrier_wait -1
	s_and_saveexec_b32 s12, s11
	s_cbranch_execz .LBB62_433
; %bb.432:                              ;   in Loop: Header=BB62_3 Depth=1
	ds_load_b64 v[42:43], v3 offset:19232
	v_add_nc_u32_e64 v2, 0x4800, 0
	ds_store_b64 v3, v[38:39] offset:19240
	s_wait_dscnt 0x1
	ds_store_2addr_b64 v2, v[38:39], v[42:43] offset0:36 offset1:37
.LBB62_433:                             ;   in Loop: Header=BB62_3 Depth=1
	s_or_b32 exec_lo, exec_lo, s12
	v_mov_b64_e32 v[42:43], 0
	s_wait_dscnt 0x0
	s_barrier_signal -1
	s_barrier_wait -1
	global_wb scope:SCOPE_DEV
	s_wait_storecnt 0x0
	global_inv scope:SCOPE_DEV
	s_and_saveexec_b32 s62, s4
	s_cbranch_execz .LBB62_439
; %bb.434:                              ;   in Loop: Header=BB62_3 Depth=1
	ds_load_b64 v[42:43], v66 offset:18688
	ds_load_b64 v[44:45], v55 offset:20256
	s_wait_dscnt 0x0
	v_dual_mul_f32 v2, v45, v43 :: v_dual_mul_f32 v5, v44, v43
	s_delay_alu instid0(VALU_DEP_1) | instskip(NEXT) | instid1(VALU_DEP_1)
	v_dual_fma_f32 v2, v44, v42, -v2 :: v_dual_fmac_f32 v5, v45, v42
	v_dual_add_f32 v42, 0, v2 :: v_dual_add_f32 v43, 0, v5
	s_and_saveexec_b32 s12, s14
	s_cbranch_execnz .LBB62_1084
; %bb.435:                              ;   in Loop: Header=BB62_3 Depth=1
	s_or_b32 exec_lo, exec_lo, s12
	s_and_saveexec_b32 s12, s15
	s_cbranch_execnz .LBB62_1085
.LBB62_436:                             ;   in Loop: Header=BB62_3 Depth=1
	s_or_b32 exec_lo, exec_lo, s12
	s_and_saveexec_b32 s12, s2
	s_cbranch_execz .LBB62_438
.LBB62_437:                             ;   in Loop: Header=BB62_3 Depth=1
	ds_load_b64 v[44:45], v78 offset:20224
	ds_load_b64 v[46:47], v3 offset:20280
	s_wait_dscnt 0x0
	v_pk_mul_f32 v[98:99], v[46:47], v[44:45] op_sel:[1,1] op_sel_hi:[0,1]
	s_delay_alu instid0(VALU_DEP_1) | instskip(SKIP_1) | instid1(VALU_DEP_2)
	v_pk_fma_f32 v[100:101], v[46:47], v[44:45], v[98:99] op_sel_hi:[1,0,1]
	v_pk_fma_f32 v[44:45], v[46:47], v[44:45], v[98:99] neg_lo:[0,0,1] neg_hi:[0,0,1]
	v_mov_b32_e32 v45, v101
	s_delay_alu instid0(VALU_DEP_1)
	v_pk_add_f32 v[42:43], v[42:43], v[44:45]
.LBB62_438:                             ;   in Loop: Header=BB62_3 Depth=1
	s_or_b32 exec_lo, exec_lo, s12
.LBB62_439:                             ;   in Loop: Header=BB62_3 Depth=1
	s_delay_alu instid0(SALU_CYCLE_1)
	s_or_b32 exec_lo, exec_lo, s62
	s_and_saveexec_b32 s12, s97
; %bb.440:                              ;   in Loop: Header=BB62_3 Depth=1
	s_delay_alu instid0(VALU_DEP_1)
	v_pk_add_f32 v[44:45], v[42:43], 0 neg_lo:[1,1] neg_hi:[1,1]
	ds_store_b64 v69, v[44:45]
; %bb.441:                              ;   in Loop: Header=BB62_3 Depth=1
	s_or_b32 exec_lo, exec_lo, s12
	s_wait_loadcnt_dscnt 0x0
	s_barrier_signal -1
	s_barrier_wait -1
	s_and_saveexec_b32 s12, s98
	s_cbranch_execz .LBB62_443
; %bb.442:                              ;   in Loop: Header=BB62_3 Depth=1
	ds_load_b64 v[44:45], v66 offset:18176
	ds_load_b64 v[46:47], v69
	s_wait_dscnt 0x0
	v_pk_mul_f32 v[98:99], v[46:47], v[44:45] op_sel:[1,1] op_sel_hi:[0,1]
	s_delay_alu instid0(VALU_DEP_1) | instskip(SKIP_1) | instid1(VALU_DEP_2)
	v_pk_fma_f32 v[100:101], v[46:47], v[44:45], v[98:99] op_sel_hi:[1,0,1]
	v_pk_fma_f32 v[44:45], v[46:47], v[44:45], v[98:99] neg_lo:[0,0,1] neg_hi:[0,0,1]
	v_mov_b32_e32 v45, v101
	s_delay_alu instid0(VALU_DEP_1)
	v_pk_add_f32 v[42:43], v[42:43], v[44:45] neg_lo:[0,1] neg_hi:[0,1]
.LBB62_443:                             ;   in Loop: Header=BB62_3 Depth=1
	s_or_b32 exec_lo, exec_lo, s12
	s_barrier_signal -1
	s_barrier_wait -1
	s_and_saveexec_b32 s12, s99
; %bb.444:                              ;   in Loop: Header=BB62_3 Depth=1
	v_pk_add_f32 v[44:45], v[42:43], 0 neg_lo:[1,1] neg_hi:[1,1]
	ds_store_b64 v69, v[44:45]
; %bb.445:                              ;   in Loop: Header=BB62_3 Depth=1
	s_or_b32 exec_lo, exec_lo, s12
	s_wait_dscnt 0x0
	s_barrier_signal -1
	s_barrier_wait -1
	s_and_saveexec_b32 s12, s100
	s_cbranch_execz .LBB62_447
; %bb.446:                              ;   in Loop: Header=BB62_3 Depth=1
	ds_load_b64 v[44:45], v66 offset:17664
	ds_load_b64 v[46:47], v69
	s_wait_dscnt 0x0
	v_pk_mul_f32 v[98:99], v[46:47], v[44:45] op_sel:[1,1] op_sel_hi:[0,1]
	s_delay_alu instid0(VALU_DEP_1) | instskip(SKIP_1) | instid1(VALU_DEP_2)
	v_pk_fma_f32 v[100:101], v[46:47], v[44:45], v[98:99] op_sel_hi:[1,0,1]
	v_pk_fma_f32 v[44:45], v[46:47], v[44:45], v[98:99] neg_lo:[0,0,1] neg_hi:[0,0,1]
	v_mov_b32_e32 v45, v101
	s_delay_alu instid0(VALU_DEP_1)
	v_pk_add_f32 v[42:43], v[42:43], v[44:45] neg_lo:[0,1] neg_hi:[0,1]
.LBB62_447:                             ;   in Loop: Header=BB62_3 Depth=1
	s_or_b32 exec_lo, exec_lo, s12
	s_barrier_signal -1
	s_barrier_wait -1
	s_and_saveexec_b32 s12, s101
; %bb.448:                              ;   in Loop: Header=BB62_3 Depth=1
	v_pk_add_f32 v[44:45], v[42:43], 0 neg_lo:[1,1] neg_hi:[1,1]
	ds_store_b64 v69, v[44:45]
; %bb.449:                              ;   in Loop: Header=BB62_3 Depth=1
	s_or_b32 exec_lo, exec_lo, s12
	s_wait_dscnt 0x0
	;; [unrolled: 26-line block ×3, first 2 shown]
	s_barrier_signal -1
	s_barrier_wait -1
	s_barrier_signal -1
	s_barrier_wait -1
	s_and_saveexec_b32 s12, s4
; %bb.454:                              ;   in Loop: Header=BB62_3 Depth=1
	ds_store_b64 v71, v[42:43] offset:20224
; %bb.455:                              ;   in Loop: Header=BB62_3 Depth=1
	s_or_b32 exec_lo, exec_lo, s12
	s_wait_dscnt 0x0
	s_barrier_signal -1
	s_barrier_wait -1
	s_barrier_signal -1
	s_barrier_wait -1
	s_and_saveexec_b32 s12, s103
	s_cbranch_execz .LBB62_457
; %bb.456:                              ;   in Loop: Header=BB62_3 Depth=1
	ds_load_b64 v[42:43], v79 offset:18688
	s_wait_dscnt 0x0
	ds_store_b64 v80, v[42:43] offset:16672
	ds_load_b64 v[42:43], v79 offset:18696
	s_wait_dscnt 0x0
	ds_store_b64 v80, v[42:43] offset:17184
	;; [unrolled: 3-line block ×4, first 2 shown]
.LBB62_457:                             ;   in Loop: Header=BB62_3 Depth=1
	s_or_b32 exec_lo, exec_lo, s12
	s_wait_dscnt 0x0
	s_barrier_signal -1
	s_barrier_wait -1
	s_and_saveexec_b32 s12, s11
	s_cbranch_execz .LBB62_459
; %bb.458:                              ;   in Loop: Header=BB62_3 Depth=1
	ds_load_b64 v[42:43], v3 offset:18192
	v_add_nc_u32_e64 v2, 0x4000, 0
	ds_store_b64 v3, v[38:39] offset:18200
	s_wait_dscnt 0x1
	ds_store_2addr_b64 v2, v[38:39], v[42:43] offset0:162 offset1:163
.LBB62_459:                             ;   in Loop: Header=BB62_3 Depth=1
	s_or_b32 exec_lo, exec_lo, s12
	v_dual_mov_b32 v42, 0 :: v_dual_mov_b32 v43, 0
	s_wait_dscnt 0x0
	s_barrier_signal -1
	s_barrier_wait -1
	global_wb scope:SCOPE_DEV
	s_wait_storecnt 0x0
	global_inv scope:SCOPE_DEV
	s_and_saveexec_b32 s62, s2
	s_cbranch_execz .LBB62_463
; %bb.460:                              ;   in Loop: Header=BB62_3 Depth=1
	ds_load_b64 v[42:43], v64 offset:17664
	ds_load_b64 v[44:45], v54 offset:18192
	s_wait_dscnt 0x0
	v_pk_mul_f32 v[46:47], v[44:45], v[42:43] op_sel:[1,1] op_sel_hi:[0,1]
	s_delay_alu instid0(VALU_DEP_1) | instskip(SKIP_1) | instid1(VALU_DEP_2)
	v_pk_fma_f32 v[98:99], v[44:45], v[42:43], v[46:47] op_sel_hi:[1,0,1]
	v_pk_fma_f32 v[42:43], v[44:45], v[42:43], v[46:47] neg_lo:[0,0,1] neg_hi:[0,0,1]
	v_mov_b32_e32 v43, v99
	s_delay_alu instid0(VALU_DEP_1)
	v_pk_add_f32 v[42:43], v[42:43], 0 op_sel_hi:[1,0]
	s_and_saveexec_b32 s12, s13
	s_cbranch_execz .LBB62_462
; %bb.461:                              ;   in Loop: Header=BB62_3 Depth=1
	ds_load_b64 v[44:45], v80 offset:18176
	ds_load_b64 v[46:47], v3 offset:18200
	s_wait_dscnt 0x0
	v_pk_mul_f32 v[98:99], v[46:47], v[44:45] op_sel:[1,1] op_sel_hi:[0,1]
	s_delay_alu instid0(VALU_DEP_1) | instskip(SKIP_1) | instid1(VALU_DEP_2)
	v_pk_fma_f32 v[100:101], v[46:47], v[44:45], v[98:99] op_sel_hi:[1,0,1]
	v_pk_fma_f32 v[44:45], v[46:47], v[44:45], v[98:99] neg_lo:[0,0,1] neg_hi:[0,0,1]
	v_mov_b32_e32 v45, v101
	s_delay_alu instid0(VALU_DEP_1)
	v_pk_add_f32 v[42:43], v[42:43], v[44:45]
.LBB62_462:                             ;   in Loop: Header=BB62_3 Depth=1
	s_or_b32 exec_lo, exec_lo, s12
.LBB62_463:                             ;   in Loop: Header=BB62_3 Depth=1
	s_delay_alu instid0(SALU_CYCLE_1)
	s_or_b32 exec_lo, exec_lo, s62
	s_and_saveexec_b32 s12, s94
; %bb.464:                              ;   in Loop: Header=BB62_3 Depth=1
	s_delay_alu instid0(VALU_DEP_1)
	v_pk_add_f32 v[44:45], v[42:43], 0 neg_lo:[1,1] neg_hi:[1,1]
	ds_store_b64 v65, v[44:45]
; %bb.465:                              ;   in Loop: Header=BB62_3 Depth=1
	s_or_b32 exec_lo, exec_lo, s12
	s_wait_loadcnt_dscnt 0x0
	s_barrier_signal -1
	s_barrier_wait -1
	s_and_saveexec_b32 s12, s95
	s_cbranch_execz .LBB62_467
; %bb.466:                              ;   in Loop: Header=BB62_3 Depth=1
	ds_load_b64 v[44:45], v3 offset:17152
	ds_load_b64 v[46:47], v65
	s_wait_dscnt 0x0
	v_pk_mul_f32 v[98:99], v[46:47], v[44:45] op_sel_hi:[1,0]
	s_delay_alu instid0(VALU_DEP_1) | instskip(SKIP_1) | instid1(VALU_DEP_2)
	v_pk_fma_f32 v[100:101], v[46:47], v[44:45], v[98:99] op_sel:[1,1,0] op_sel_hi:[0,1,1]
	v_pk_fma_f32 v[44:45], v[46:47], v[44:45], v[98:99] op_sel:[1,1,0] op_sel_hi:[0,1,1] neg_lo:[0,0,1] neg_hi:[0,0,1]
	v_pk_add_f32 v[46:47], v[42:43], v[100:101] neg_lo:[0,1] neg_hi:[0,1]
	s_delay_alu instid0(VALU_DEP_2) | instskip(NEXT) | instid1(VALU_DEP_2)
	v_pk_add_f32 v[42:43], v[42:43], v[44:45]
	v_mov_b32_e32 v43, v47
.LBB62_467:                             ;   in Loop: Header=BB62_3 Depth=1
	s_or_b32 exec_lo, exec_lo, s12
	s_barrier_signal -1
	s_barrier_wait -1
	s_and_saveexec_b32 s12, s95
; %bb.468:                              ;   in Loop: Header=BB62_3 Depth=1
	v_pk_add_f32 v[44:45], v[42:43], 0 neg_lo:[1,1] neg_hi:[1,1]
	ds_store_b64 v65, v[44:45]
; %bb.469:                              ;   in Loop: Header=BB62_3 Depth=1
	s_or_b32 exec_lo, exec_lo, s12
	s_wait_dscnt 0x0
	s_barrier_signal -1
	s_barrier_wait -1
	s_barrier_signal -1
	s_barrier_wait -1
	s_and_saveexec_b32 s12, s2
; %bb.470:                              ;   in Loop: Header=BB62_3 Depth=1
	ds_store_b64 v67, v[42:43] offset:18176
; %bb.471:                              ;   in Loop: Header=BB62_3 Depth=1
	s_or_b32 exec_lo, exec_lo, s12
	s_wait_dscnt 0x0
	s_barrier_signal -1
	s_barrier_wait -1
	s_barrier_signal -1
	s_barrier_wait -1
	s_and_saveexec_b32 s12, s96
	s_cbranch_execz .LBB62_473
; %bb.472:                              ;   in Loop: Header=BB62_3 Depth=1
	ds_load_b64 v[42:43], v85 offset:17664
	s_wait_dscnt 0x0
	ds_store_b64 v80, v[42:43] offset:16656
	ds_load_b64 v[42:43], v85 offset:17672
	s_wait_dscnt 0x0
	ds_store_b64 v80, v[42:43] offset:17168
.LBB62_473:                             ;   in Loop: Header=BB62_3 Depth=1
	s_or_b32 exec_lo, exec_lo, s12
	s_wait_dscnt 0x0
	s_barrier_signal -1
	s_barrier_wait -1
	s_and_saveexec_b32 s12, s11
	s_cbranch_execz .LBB62_475
; %bb.474:                              ;   in Loop: Header=BB62_3 Depth=1
	ds_load_b64 v[42:43], v3 offset:17152
	v_add_nc_u32_e64 v2, 0x4000, 0
	ds_store_b64 v3, v[38:39] offset:17160
	s_wait_dscnt 0x1
	ds_store_2addr_b64 v2, v[38:39], v[42:43] offset0:32 offset1:33
.LBB62_475:                             ;   in Loop: Header=BB62_3 Depth=1
	s_or_b32 exec_lo, exec_lo, s12
	v_mov_b64_e32 v[42:43], 0
	s_wait_dscnt 0x0
	s_barrier_signal -1
	s_barrier_wait -1
	global_wb scope:SCOPE_DEV
	s_wait_storecnt 0x0
	global_inv scope:SCOPE_DEV
	s_and_saveexec_b32 s62, s33
	s_cbranch_execz .LBB62_537
; %bb.476:                              ;   in Loop: Header=BB62_3 Depth=1
	ds_load_b64 v[42:43], v62 offset:16384
	ds_load_b64 v[44:45], v63 offset:32512
	v_readlane_b32 s60, v97, 5
	s_wait_dscnt 0x0
	v_dual_mul_f32 v2, v45, v43 :: v_dual_mul_f32 v5, v44, v43
	s_delay_alu instid0(VALU_DEP_1) | instskip(NEXT) | instid1(VALU_DEP_1)
	v_dual_fma_f32 v2, v44, v42, -v2 :: v_dual_fmac_f32 v5, v45, v42
	v_dual_add_f32 v42, 0, v2 :: v_dual_add_f32 v43, 0, v5
	s_and_saveexec_b32 s12, s60
	s_cbranch_execz .LBB62_478
; %bb.477:                              ;   in Loop: Header=BB62_3 Depth=1
	ds_load_b64 v[44:45], v62 offset:16896
	ds_load_b64 v[46:47], v63 offset:32520
	s_wait_dscnt 0x0
	v_dual_mul_f32 v2, v47, v45 :: v_dual_mul_f32 v5, v46, v45
	s_delay_alu instid0(VALU_DEP_1) | instskip(NEXT) | instid1(VALU_DEP_1)
	v_dual_fma_f32 v2, v46, v44, -v2 :: v_dual_fmac_f32 v5, v47, v44
	v_dual_add_f32 v42, v42, v2 :: v_dual_add_f32 v43, v43, v5
.LBB62_478:                             ;   in Loop: Header=BB62_3 Depth=1
	s_or_b32 exec_lo, exec_lo, s12
	v_readlane_b32 s60, v97, 6
	s_and_saveexec_b32 s12, s60
	s_cbranch_execz .LBB62_480
; %bb.479:                              ;   in Loop: Header=BB62_3 Depth=1
	ds_load_b64 v[44:45], v62 offset:17408
	ds_load_b64 v[46:47], v63 offset:32528
	s_wait_dscnt 0x0
	v_dual_mul_f32 v2, v47, v45 :: v_dual_mul_f32 v5, v46, v45
	s_delay_alu instid0(VALU_DEP_1) | instskip(NEXT) | instid1(VALU_DEP_1)
	v_dual_fma_f32 v2, v46, v44, -v2 :: v_dual_fmac_f32 v5, v47, v44
	v_dual_add_f32 v42, v42, v2 :: v_dual_add_f32 v43, v43, v5
.LBB62_480:                             ;   in Loop: Header=BB62_3 Depth=1
	s_or_b32 exec_lo, exec_lo, s12
	v_readlane_b32 s60, v97, 7
	;; [unrolled: 13-line block ×22, first 2 shown]
	s_and_saveexec_b32 s12, s60
	s_cbranch_execz .LBB62_522
; %bb.521:                              ;   in Loop: Header=BB62_3 Depth=1
	ds_load_b64 v[44:45], v62 offset:28160
	ds_load_b64 v[46:47], v63 offset:32696
	s_wait_dscnt 0x0
	v_dual_mul_f32 v2, v47, v45 :: v_dual_mul_f32 v5, v46, v45
	s_delay_alu instid0(VALU_DEP_1) | instskip(NEXT) | instid1(VALU_DEP_1)
	v_dual_fma_f32 v2, v46, v44, -v2 :: v_dual_fmac_f32 v5, v47, v44
	v_dual_add_f32 v42, v42, v2 :: v_dual_add_f32 v43, v43, v5
.LBB62_522:                             ;   in Loop: Header=BB62_3 Depth=1
	s_or_b32 exec_lo, exec_lo, s12
	s_and_saveexec_b32 s12, s6
	s_cbranch_execz .LBB62_524
; %bb.523:                              ;   in Loop: Header=BB62_3 Depth=1
	ds_load_b64 v[44:45], v62 offset:28672
	ds_load_b64 v[46:47], v63 offset:32704
	s_wait_dscnt 0x0
	v_dual_mul_f32 v2, v47, v45 :: v_dual_mul_f32 v5, v46, v45
	s_delay_alu instid0(VALU_DEP_1) | instskip(NEXT) | instid1(VALU_DEP_1)
	v_dual_fma_f32 v2, v46, v44, -v2 :: v_dual_fmac_f32 v5, v47, v44
	v_dual_add_f32 v42, v42, v2 :: v_dual_add_f32 v43, v43, v5
.LBB62_524:                             ;   in Loop: Header=BB62_3 Depth=1
	s_or_b32 exec_lo, exec_lo, s12
	v_readlane_b32 s60, v106, 24
	s_and_saveexec_b32 s12, s60
	s_cbranch_execz .LBB62_526
; %bb.525:                              ;   in Loop: Header=BB62_3 Depth=1
	ds_load_b64 v[44:45], v62 offset:29184
	ds_load_b64 v[46:47], v63 offset:32712
	s_wait_dscnt 0x0
	v_dual_mul_f32 v2, v47, v45 :: v_dual_mul_f32 v5, v46, v45
	s_delay_alu instid0(VALU_DEP_1) | instskip(NEXT) | instid1(VALU_DEP_1)
	v_dual_fma_f32 v2, v46, v44, -v2 :: v_dual_fmac_f32 v5, v47, v44
	v_dual_add_f32 v42, v42, v2 :: v_dual_add_f32 v43, v43, v5
.LBB62_526:                             ;   in Loop: Header=BB62_3 Depth=1
	s_or_b32 exec_lo, exec_lo, s12
	v_readlane_b32 s60, v106, 26
	;; [unrolled: 13-line block ×4, first 2 shown]
	s_and_saveexec_b32 s12, s60
	s_cbranch_execz .LBB62_532
; %bb.531:                              ;   in Loop: Header=BB62_3 Depth=1
	ds_load_b64 v[44:45], v62 offset:30720
	ds_load_b64 v[46:47], v63 offset:32736
	s_wait_dscnt 0x0
	v_dual_mul_f32 v2, v47, v45 :: v_dual_mul_f32 v99, v46, v45
	s_delay_alu instid0(VALU_DEP_1) | instskip(NEXT) | instid1(VALU_DEP_1)
	v_dual_fma_f32 v98, v46, v44, -v2 :: v_dual_fmac_f32 v99, v47, v44
	v_pk_add_f32 v[42:43], v[42:43], v[98:99]
.LBB62_532:                             ;   in Loop: Header=BB62_3 Depth=1
	s_or_b32 exec_lo, exec_lo, s12
	v_readlane_b32 s60, v97, 0
	s_and_saveexec_b32 s12, s60
	s_cbranch_execnz .LBB62_1086
; %bb.533:                              ;   in Loop: Header=BB62_3 Depth=1
	s_or_b32 exec_lo, exec_lo, s12
	s_and_saveexec_b32 s12, s5
	s_cbranch_execnz .LBB62_1087
.LBB62_534:                             ;   in Loop: Header=BB62_3 Depth=1
	s_or_b32 exec_lo, exec_lo, s12
	s_and_saveexec_b32 s12, s19
	s_delay_alu instid0(SALU_CYCLE_1)
	s_xor_b32 s12, exec_lo, s12
	s_cbranch_execz .LBB62_536
.LBB62_535:                             ;   in Loop: Header=BB62_3 Depth=1
	ds_load_b64 v[44:45], v62 offset:32256
	ds_load_b64 v[46:47], v63 offset:32760
	s_wait_dscnt 0x0
	v_pk_mul_f32 v[98:99], v[46:47], v[44:45] op_sel:[1,1] op_sel_hi:[0,1]
	s_delay_alu instid0(VALU_DEP_1) | instskip(SKIP_1) | instid1(VALU_DEP_2)
	v_pk_fma_f32 v[100:101], v[46:47], v[44:45], v[98:99] op_sel_hi:[1,0,1]
	v_pk_fma_f32 v[44:45], v[46:47], v[44:45], v[98:99] neg_lo:[0,0,1] neg_hi:[0,0,1]
	v_mov_b32_e32 v45, v101
	s_delay_alu instid0(VALU_DEP_1)
	v_pk_add_f32 v[42:43], v[42:43], v[44:45]
.LBB62_536:                             ;   in Loop: Header=BB62_3 Depth=1
	s_or_b32 exec_lo, exec_lo, s12
.LBB62_537:                             ;   in Loop: Header=BB62_3 Depth=1
	s_delay_alu instid0(SALU_CYCLE_1)
	s_or_b32 exec_lo, exec_lo, s62
	v_dual_mov_b32 v2, v96 :: v_dual_mov_b32 v5, v95
	s_mov_b32 s62, 31
	s_branch .LBB62_539
.LBB62_538:                             ;   in Loop: Header=BB62_539 Depth=2
	s_or_b32 exec_lo, exec_lo, s12
	v_add_nc_u32_e32 v5, 0xfffff800, v5
	v_add_nc_u32_e32 v2, 4, v2
	s_add_co_i32 s62, s62, -4
	s_cmp_eq_u32 s63, 0
	s_barrier_signal -1
	s_barrier_wait -1
	s_cbranch_scc1 .LBB62_555
.LBB62_539:                             ;   Parent Loop BB62_3 Depth=1
                                        ; =>  This Inner Loop Header: Depth=2
	s_delay_alu instid0(VALU_DEP_1) | instskip(SKIP_1) | instid1(SALU_CYCLE_1)
	v_cmp_eq_u32_e32 vcc_lo, 0, v2
	s_and_b32 s63, s10, vcc_lo
	s_and_saveexec_b32 s12, s63
; %bb.540:                              ;   in Loop: Header=BB62_539 Depth=2
	v_pk_add_f32 v[44:45], v[42:43], 0 neg_lo:[1,1] neg_hi:[1,1]
	ds_store_b64 v76, v[44:45]
; %bb.541:                              ;   in Loop: Header=BB62_539 Depth=2
	s_or_b32 exec_lo, exec_lo, s12
	v_cmp_gt_u32_e32 vcc_lo, s62, v58
	s_wait_loadcnt_dscnt 0x0
	s_barrier_signal -1
	s_barrier_wait -1
	s_and_b32 s63, s10, vcc_lo
	s_delay_alu instid0(SALU_CYCLE_1)
	s_and_saveexec_b32 s12, s63
	s_cbranch_execz .LBB62_543
; %bb.542:                              ;   in Loop: Header=BB62_539 Depth=2
	ds_load_b64 v[44:45], v5 offset:1536
	ds_load_b64 v[46:47], v76
	s_wait_dscnt 0x0
	v_pk_mul_f32 v[98:99], v[46:47], v[44:45] op_sel:[1,1] op_sel_hi:[0,1]
	s_delay_alu instid0(VALU_DEP_1) | instskip(SKIP_1) | instid1(VALU_DEP_2)
	v_pk_fma_f32 v[100:101], v[46:47], v[44:45], v[98:99] op_sel_hi:[1,0,1]
	v_pk_fma_f32 v[44:45], v[46:47], v[44:45], v[98:99] neg_lo:[0,0,1] neg_hi:[0,0,1]
	v_mov_b32_e32 v45, v101
	s_delay_alu instid0(VALU_DEP_1)
	v_pk_add_f32 v[42:43], v[42:43], v[44:45] neg_lo:[0,1] neg_hi:[0,1]
.LBB62_543:                             ;   in Loop: Header=BB62_539 Depth=2
	s_or_b32 exec_lo, exec_lo, s12
	s_add_co_i32 s12, s62, -1
	s_delay_alu instid0(SALU_CYCLE_1) | instskip(SKIP_3) | instid1(SALU_CYCLE_1)
	v_cmp_eq_u32_e32 vcc_lo, s12, v58
	s_barrier_signal -1
	s_barrier_wait -1
	s_and_b32 s64, s10, vcc_lo
	s_and_saveexec_b32 s63, s64
; %bb.544:                              ;   in Loop: Header=BB62_539 Depth=2
	v_pk_add_f32 v[44:45], v[42:43], 0 neg_lo:[1,1] neg_hi:[1,1]
	ds_store_b64 v76, v[44:45]
; %bb.545:                              ;   in Loop: Header=BB62_539 Depth=2
	s_or_b32 exec_lo, exec_lo, s63
	v_cmp_gt_u32_e32 vcc_lo, s12, v58
	s_wait_dscnt 0x0
	s_barrier_signal -1
	s_barrier_wait -1
	s_and_b32 s63, s10, vcc_lo
	s_delay_alu instid0(SALU_CYCLE_1)
	s_and_saveexec_b32 s12, s63
	s_cbranch_execz .LBB62_547
; %bb.546:                              ;   in Loop: Header=BB62_539 Depth=2
	ds_load_b64 v[44:45], v5 offset:1024
	ds_load_b64 v[46:47], v76
	s_wait_dscnt 0x0
	v_pk_mul_f32 v[98:99], v[46:47], v[44:45] op_sel:[1,1] op_sel_hi:[0,1]
	s_delay_alu instid0(VALU_DEP_1) | instskip(SKIP_1) | instid1(VALU_DEP_2)
	v_pk_fma_f32 v[100:101], v[46:47], v[44:45], v[98:99] op_sel_hi:[1,0,1]
	v_pk_fma_f32 v[44:45], v[46:47], v[44:45], v[98:99] neg_lo:[0,0,1] neg_hi:[0,0,1]
	v_mov_b32_e32 v45, v101
	s_delay_alu instid0(VALU_DEP_1)
	v_pk_add_f32 v[42:43], v[42:43], v[44:45] neg_lo:[0,1] neg_hi:[0,1]
.LBB62_547:                             ;   in Loop: Header=BB62_539 Depth=2
	s_or_b32 exec_lo, exec_lo, s12
	s_add_co_i32 s12, s62, -2
	s_delay_alu instid0(SALU_CYCLE_1) | instskip(SKIP_3) | instid1(SALU_CYCLE_1)
	v_cmp_eq_u32_e32 vcc_lo, s12, v58
	s_barrier_signal -1
	s_barrier_wait -1
	s_and_b32 s64, s10, vcc_lo
	s_and_saveexec_b32 s63, s64
; %bb.548:                              ;   in Loop: Header=BB62_539 Depth=2
	v_pk_add_f32 v[44:45], v[42:43], 0 neg_lo:[1,1] neg_hi:[1,1]
	ds_store_b64 v76, v[44:45]
; %bb.549:                              ;   in Loop: Header=BB62_539 Depth=2
	s_or_b32 exec_lo, exec_lo, s63
	v_cmp_gt_u32_e32 vcc_lo, s12, v58
	s_wait_dscnt 0x0
	;; [unrolled: 33-line block ×3, first 2 shown]
	s_barrier_signal -1
	s_barrier_wait -1
	s_and_b32 s64, s10, vcc_lo
	s_delay_alu instid0(SALU_CYCLE_1)
	s_and_saveexec_b32 s12, s64
	s_cbranch_execz .LBB62_538
; %bb.554:                              ;   in Loop: Header=BB62_539 Depth=2
	ds_load_b64 v[44:45], v5
	ds_load_b64 v[46:47], v76
	s_wait_dscnt 0x0
	v_pk_mul_f32 v[98:99], v[46:47], v[44:45] op_sel:[1,1] op_sel_hi:[0,1]
	s_delay_alu instid0(VALU_DEP_1) | instskip(SKIP_1) | instid1(VALU_DEP_2)
	v_pk_fma_f32 v[100:101], v[46:47], v[44:45], v[98:99] op_sel_hi:[1,0,1]
	v_pk_fma_f32 v[44:45], v[46:47], v[44:45], v[98:99] neg_lo:[0,0,1] neg_hi:[0,0,1]
	v_mov_b32_e32 v45, v101
	s_delay_alu instid0(VALU_DEP_1)
	v_pk_add_f32 v[42:43], v[42:43], v[44:45] neg_lo:[0,1] neg_hi:[0,1]
	s_branch .LBB62_538
.LBB62_555:                             ;   in Loop: Header=BB62_3 Depth=1
	s_and_saveexec_b32 s12, s33
; %bb.556:                              ;   in Loop: Header=BB62_3 Depth=1
	ds_store_b64 v77, v[42:43] offset:32256
; %bb.557:                              ;   in Loop: Header=BB62_3 Depth=1
	s_or_b32 exec_lo, exec_lo, s12
	s_wait_dscnt 0x0
	s_barrier_signal -1
	s_barrier_wait -1
	s_barrier_signal -1
	s_barrier_wait -1
	s_mov_b32 s62, exec_lo
	v_readlane_b32 s12, v106, 8
	s_and_b32 s12, s62, s12
	s_delay_alu instid0(SALU_CYCLE_1)
	s_mov_b32 exec_lo, s12
	s_cbranch_execz .LBB62_559
; %bb.558:                              ;   in Loop: Header=BB62_3 Depth=1
	ds_load_b64 v[42:43], v85 offset:16384
	v_add_nc_u32_e32 v2, v85, v88
	s_wait_dscnt 0x0
	ds_store_b64 v2, v[42:43] offset:256
	ds_load_b64 v[42:43], v85 offset:16392
	s_wait_dscnt 0x0
	ds_store_b64 v2, v[42:43] offset:768
	ds_load_b64 v[42:43], v85 offset:16400
	s_wait_dscnt 0x0
	ds_store_b64 v2, v[42:43] offset:1280
	ds_load_b64 v[42:43], v85 offset:16408
	s_wait_dscnt 0x0
	ds_store_b64 v2, v[42:43] offset:1792
	ds_load_b64 v[42:43], v85 offset:16416
	s_wait_dscnt 0x0
	ds_store_b64 v2, v[42:43] offset:2304
	ds_load_b64 v[42:43], v85 offset:16424
	s_wait_dscnt 0x0
	ds_store_b64 v2, v[42:43] offset:2816
	ds_load_b64 v[42:43], v85 offset:16432
	s_wait_dscnt 0x0
	ds_store_b64 v2, v[42:43] offset:3328
	ds_load_b64 v[42:43], v85 offset:16440
	s_wait_dscnt 0x0
	ds_store_b64 v2, v[42:43] offset:3840
	ds_load_b64 v[42:43], v85 offset:16448
	s_wait_dscnt 0x0
	ds_store_b64 v2, v[42:43] offset:4352
	ds_load_b64 v[42:43], v85 offset:16456
	s_wait_dscnt 0x0
	ds_store_b64 v2, v[42:43] offset:4864
	ds_load_b64 v[42:43], v85 offset:16464
	s_wait_dscnt 0x0
	ds_store_b64 v2, v[42:43] offset:5376
	ds_load_b64 v[42:43], v85 offset:16472
	s_wait_dscnt 0x0
	ds_store_b64 v2, v[42:43] offset:5888
	ds_load_b64 v[42:43], v85 offset:16480
	s_wait_dscnt 0x0
	ds_store_b64 v2, v[42:43] offset:6400
	ds_load_b64 v[42:43], v85 offset:16488
	s_wait_dscnt 0x0
	ds_store_b64 v2, v[42:43] offset:6912
	ds_load_b64 v[42:43], v85 offset:16496
	s_wait_dscnt 0x0
	ds_store_b64 v2, v[42:43] offset:7424
	ds_load_b64 v[42:43], v85 offset:16504
	s_wait_dscnt 0x0
	ds_store_b64 v2, v[42:43] offset:7936
	ds_load_b64 v[42:43], v85 offset:16512
	s_wait_dscnt 0x0
	ds_store_b64 v2, v[42:43] offset:8448
	ds_load_b64 v[42:43], v85 offset:16520
	s_wait_dscnt 0x0
	ds_store_b64 v2, v[42:43] offset:8960
	ds_load_b64 v[42:43], v85 offset:16528
	s_wait_dscnt 0x0
	ds_store_b64 v2, v[42:43] offset:9472
	ds_load_b64 v[42:43], v85 offset:16536
	s_wait_dscnt 0x0
	ds_store_b64 v2, v[42:43] offset:9984
	ds_load_b64 v[42:43], v85 offset:16544
	s_wait_dscnt 0x0
	ds_store_b64 v2, v[42:43] offset:10496
	ds_load_b64 v[42:43], v85 offset:16552
	s_wait_dscnt 0x0
	ds_store_b64 v2, v[42:43] offset:11008
	ds_load_b64 v[42:43], v85 offset:16560
	s_wait_dscnt 0x0
	ds_store_b64 v2, v[42:43] offset:11520
	ds_load_b64 v[42:43], v85 offset:16568
	s_wait_dscnt 0x0
	ds_store_b64 v2, v[42:43] offset:12032
	ds_load_b64 v[42:43], v85 offset:16576
	s_wait_dscnt 0x0
	ds_store_b64 v2, v[42:43] offset:12544
	ds_load_b64 v[42:43], v85 offset:16584
	s_wait_dscnt 0x0
	ds_store_b64 v2, v[42:43] offset:13056
	ds_load_b64 v[42:43], v85 offset:16592
	s_wait_dscnt 0x0
	ds_store_b64 v2, v[42:43] offset:13568
	ds_load_b64 v[42:43], v85 offset:16600
	s_wait_dscnt 0x0
	ds_store_b64 v2, v[42:43] offset:14080
	ds_load_b64 v[42:43], v85 offset:16608
	s_wait_dscnt 0x0
	ds_store_b64 v2, v[42:43] offset:14592
	ds_load_b64 v[42:43], v85 offset:16616
	s_wait_dscnt 0x0
	ds_store_b64 v2, v[42:43] offset:15104
	ds_load_b64 v[42:43], v85 offset:16624
	s_wait_dscnt 0x0
	ds_store_b64 v2, v[42:43] offset:15616
	ds_load_b64 v[42:43], v85 offset:16632
	s_wait_dscnt 0x0
	ds_store_b64 v2, v[42:43] offset:16128
.LBB62_559:                             ;   in Loop: Header=BB62_3 Depth=1
	s_or_b32 exec_lo, exec_lo, s62
	s_wait_dscnt 0x0
	s_barrier_signal -1
	s_barrier_wait -1
	s_and_saveexec_b32 s12, s11
	s_cbranch_execz .LBB62_561
; %bb.560:                              ;   in Loop: Header=BB62_3 Depth=1
	ds_load_b64 v[42:43], v3 offset:16112
	v_add_nc_u32_e64 v2, 0x3800, 0
	ds_store_b64 v3, v[38:39] offset:16120
	s_wait_dscnt 0x1
	ds_store_2addr_b64 v2, v[38:39], v[42:43] offset0:158 offset1:159
.LBB62_561:                             ;   in Loop: Header=BB62_3 Depth=1
	s_or_b32 exec_lo, exec_lo, s12
	v_dual_mov_b32 v42, 0 :: v_dual_mov_b32 v43, 0
	s_wait_dscnt 0x0
	s_barrier_signal -1
	s_barrier_wait -1
	global_wb scope:SCOPE_DEV
	s_wait_storecnt 0x0
	global_inv scope:SCOPE_DEV
	s_and_saveexec_b32 s62, s2
	s_cbranch_execz .LBB62_565
; %bb.562:                              ;   in Loop: Header=BB62_3 Depth=1
	ds_load_b64 v[42:43], v64 offset:15584
	ds_load_b64 v[44:45], v54 offset:16112
	s_wait_dscnt 0x0
	v_pk_mul_f32 v[46:47], v[44:45], v[42:43] op_sel:[1,1] op_sel_hi:[0,1]
	s_delay_alu instid0(VALU_DEP_1) | instskip(SKIP_1) | instid1(VALU_DEP_2)
	v_pk_fma_f32 v[98:99], v[44:45], v[42:43], v[46:47] op_sel_hi:[1,0,1]
	v_pk_fma_f32 v[42:43], v[44:45], v[42:43], v[46:47] neg_lo:[0,0,1] neg_hi:[0,0,1]
	v_mov_b32_e32 v43, v99
	s_delay_alu instid0(VALU_DEP_1)
	v_pk_add_f32 v[42:43], v[42:43], 0 op_sel_hi:[1,0]
	s_and_saveexec_b32 s12, s13
	s_cbranch_execz .LBB62_564
; %bb.563:                              ;   in Loop: Header=BB62_3 Depth=1
	ds_load_b64 v[44:45], v9 offset:16096
	ds_load_b64 v[46:47], v3 offset:16120
	s_wait_dscnt 0x0
	v_pk_mul_f32 v[98:99], v[46:47], v[44:45] op_sel:[1,1] op_sel_hi:[0,1]
	s_delay_alu instid0(VALU_DEP_1) | instskip(SKIP_1) | instid1(VALU_DEP_2)
	v_pk_fma_f32 v[100:101], v[46:47], v[44:45], v[98:99] op_sel_hi:[1,0,1]
	v_pk_fma_f32 v[44:45], v[46:47], v[44:45], v[98:99] neg_lo:[0,0,1] neg_hi:[0,0,1]
	v_mov_b32_e32 v45, v101
	s_delay_alu instid0(VALU_DEP_1)
	v_pk_add_f32 v[42:43], v[42:43], v[44:45]
.LBB62_564:                             ;   in Loop: Header=BB62_3 Depth=1
	s_or_b32 exec_lo, exec_lo, s12
.LBB62_565:                             ;   in Loop: Header=BB62_3 Depth=1
	s_delay_alu instid0(SALU_CYCLE_1)
	s_or_b32 exec_lo, exec_lo, s62
	s_and_saveexec_b32 s12, s94
; %bb.566:                              ;   in Loop: Header=BB62_3 Depth=1
	s_delay_alu instid0(VALU_DEP_1)
	v_pk_add_f32 v[44:45], v[42:43], 0 neg_lo:[1,1] neg_hi:[1,1]
	ds_store_b64 v65, v[44:45]
; %bb.567:                              ;   in Loop: Header=BB62_3 Depth=1
	s_or_b32 exec_lo, exec_lo, s12
	s_wait_loadcnt_dscnt 0x0
	s_barrier_signal -1
	s_barrier_wait -1
	s_and_saveexec_b32 s12, s95
	s_cbranch_execz .LBB62_569
; %bb.568:                              ;   in Loop: Header=BB62_3 Depth=1
	ds_load_b64 v[44:45], v3 offset:15072
	ds_load_b64 v[46:47], v65
	s_wait_dscnt 0x0
	v_pk_mul_f32 v[98:99], v[46:47], v[44:45] op_sel_hi:[1,0]
	s_delay_alu instid0(VALU_DEP_1) | instskip(SKIP_1) | instid1(VALU_DEP_2)
	v_pk_fma_f32 v[100:101], v[46:47], v[44:45], v[98:99] op_sel:[1,1,0] op_sel_hi:[0,1,1]
	v_pk_fma_f32 v[44:45], v[46:47], v[44:45], v[98:99] op_sel:[1,1,0] op_sel_hi:[0,1,1] neg_lo:[0,0,1] neg_hi:[0,0,1]
	v_pk_add_f32 v[46:47], v[42:43], v[100:101] neg_lo:[0,1] neg_hi:[0,1]
	s_delay_alu instid0(VALU_DEP_2) | instskip(NEXT) | instid1(VALU_DEP_2)
	v_pk_add_f32 v[42:43], v[42:43], v[44:45]
	v_mov_b32_e32 v43, v47
.LBB62_569:                             ;   in Loop: Header=BB62_3 Depth=1
	s_or_b32 exec_lo, exec_lo, s12
	s_barrier_signal -1
	s_barrier_wait -1
	s_and_saveexec_b32 s12, s95
; %bb.570:                              ;   in Loop: Header=BB62_3 Depth=1
	v_pk_add_f32 v[44:45], v[42:43], 0 neg_lo:[1,1] neg_hi:[1,1]
	ds_store_b64 v65, v[44:45]
; %bb.571:                              ;   in Loop: Header=BB62_3 Depth=1
	s_or_b32 exec_lo, exec_lo, s12
	s_wait_dscnt 0x0
	s_barrier_signal -1
	s_barrier_wait -1
	s_barrier_signal -1
	s_barrier_wait -1
	s_and_saveexec_b32 s12, s2
; %bb.572:                              ;   in Loop: Header=BB62_3 Depth=1
	ds_store_b64 v67, v[42:43] offset:16096
; %bb.573:                              ;   in Loop: Header=BB62_3 Depth=1
	s_or_b32 exec_lo, exec_lo, s12
	s_wait_dscnt 0x0
	s_barrier_signal -1
	s_barrier_wait -1
	s_barrier_signal -1
	s_barrier_wait -1
	s_and_saveexec_b32 s12, s96
	s_cbranch_execz .LBB62_575
; %bb.574:                              ;   in Loop: Header=BB62_3 Depth=1
	ds_load_b64 v[42:43], v48 offset:15584
	s_wait_dscnt 0x0
	ds_store_b64 v9, v[42:43] offset:14576
	ds_load_b64 v[42:43], v48 offset:15592
	s_wait_dscnt 0x0
	ds_store_b64 v9, v[42:43] offset:15088
.LBB62_575:                             ;   in Loop: Header=BB62_3 Depth=1
	s_or_b32 exec_lo, exec_lo, s12
	s_wait_dscnt 0x0
	s_barrier_signal -1
	s_barrier_wait -1
	s_and_saveexec_b32 s12, s11
	s_cbranch_execz .LBB62_577
; %bb.576:                              ;   in Loop: Header=BB62_3 Depth=1
	ds_load_b64 v[42:43], v3 offset:15072
	v_add_nc_u32_e64 v2, 0x3800, 0
	ds_store_b64 v3, v[38:39] offset:15080
	s_wait_dscnt 0x1
	ds_store_2addr_b64 v2, v[38:39], v[42:43] offset0:28 offset1:29
.LBB62_577:                             ;   in Loop: Header=BB62_3 Depth=1
	s_or_b32 exec_lo, exec_lo, s12
	v_mov_b64_e32 v[42:43], 0
	s_wait_dscnt 0x0
	s_barrier_signal -1
	s_barrier_wait -1
	global_wb scope:SCOPE_DEV
	s_wait_storecnt 0x0
	global_inv scope:SCOPE_DEV
	s_and_saveexec_b32 s62, s4
	s_cbranch_execz .LBB62_583
; %bb.578:                              ;   in Loop: Header=BB62_3 Depth=1
	ds_load_b64 v[42:43], v66 offset:14528
	ds_load_b64 v[44:45], v55 offset:16096
	s_wait_dscnt 0x0
	v_dual_mul_f32 v2, v45, v43 :: v_dual_mul_f32 v5, v44, v43
	s_delay_alu instid0(VALU_DEP_1) | instskip(NEXT) | instid1(VALU_DEP_1)
	v_dual_fma_f32 v2, v44, v42, -v2 :: v_dual_fmac_f32 v5, v45, v42
	v_dual_add_f32 v42, 0, v2 :: v_dual_add_f32 v43, 0, v5
	s_and_saveexec_b32 s12, s14
	s_cbranch_execnz .LBB62_1088
; %bb.579:                              ;   in Loop: Header=BB62_3 Depth=1
	s_or_b32 exec_lo, exec_lo, s12
	s_and_saveexec_b32 s12, s15
	s_cbranch_execnz .LBB62_1089
.LBB62_580:                             ;   in Loop: Header=BB62_3 Depth=1
	s_or_b32 exec_lo, exec_lo, s12
	s_and_saveexec_b32 s12, s2
	s_cbranch_execz .LBB62_582
.LBB62_581:                             ;   in Loop: Header=BB62_3 Depth=1
	ds_load_b64 v[44:45], v49 offset:16064
	ds_load_b64 v[46:47], v3 offset:16120
	s_wait_dscnt 0x0
	v_pk_mul_f32 v[98:99], v[46:47], v[44:45] op_sel:[1,1] op_sel_hi:[0,1]
	s_delay_alu instid0(VALU_DEP_1) | instskip(SKIP_1) | instid1(VALU_DEP_2)
	v_pk_fma_f32 v[100:101], v[46:47], v[44:45], v[98:99] op_sel_hi:[1,0,1]
	v_pk_fma_f32 v[44:45], v[46:47], v[44:45], v[98:99] neg_lo:[0,0,1] neg_hi:[0,0,1]
	v_mov_b32_e32 v45, v101
	s_delay_alu instid0(VALU_DEP_1)
	v_pk_add_f32 v[42:43], v[42:43], v[44:45]
.LBB62_582:                             ;   in Loop: Header=BB62_3 Depth=1
	s_or_b32 exec_lo, exec_lo, s12
.LBB62_583:                             ;   in Loop: Header=BB62_3 Depth=1
	s_delay_alu instid0(SALU_CYCLE_1)
	s_or_b32 exec_lo, exec_lo, s62
	s_and_saveexec_b32 s12, s97
; %bb.584:                              ;   in Loop: Header=BB62_3 Depth=1
	s_delay_alu instid0(VALU_DEP_1)
	v_pk_add_f32 v[44:45], v[42:43], 0 neg_lo:[1,1] neg_hi:[1,1]
	ds_store_b64 v69, v[44:45]
; %bb.585:                              ;   in Loop: Header=BB62_3 Depth=1
	s_or_b32 exec_lo, exec_lo, s12
	s_wait_loadcnt_dscnt 0x0
	s_barrier_signal -1
	s_barrier_wait -1
	s_and_saveexec_b32 s12, s98
	s_cbranch_execz .LBB62_587
; %bb.586:                              ;   in Loop: Header=BB62_3 Depth=1
	ds_load_b64 v[44:45], v66 offset:14016
	ds_load_b64 v[46:47], v69
	s_wait_dscnt 0x0
	v_pk_mul_f32 v[98:99], v[46:47], v[44:45] op_sel:[1,1] op_sel_hi:[0,1]
	s_delay_alu instid0(VALU_DEP_1) | instskip(SKIP_1) | instid1(VALU_DEP_2)
	v_pk_fma_f32 v[100:101], v[46:47], v[44:45], v[98:99] op_sel_hi:[1,0,1]
	v_pk_fma_f32 v[44:45], v[46:47], v[44:45], v[98:99] neg_lo:[0,0,1] neg_hi:[0,0,1]
	v_mov_b32_e32 v45, v101
	s_delay_alu instid0(VALU_DEP_1)
	v_pk_add_f32 v[42:43], v[42:43], v[44:45] neg_lo:[0,1] neg_hi:[0,1]
.LBB62_587:                             ;   in Loop: Header=BB62_3 Depth=1
	s_or_b32 exec_lo, exec_lo, s12
	s_barrier_signal -1
	s_barrier_wait -1
	s_and_saveexec_b32 s12, s99
; %bb.588:                              ;   in Loop: Header=BB62_3 Depth=1
	v_pk_add_f32 v[44:45], v[42:43], 0 neg_lo:[1,1] neg_hi:[1,1]
	ds_store_b64 v69, v[44:45]
; %bb.589:                              ;   in Loop: Header=BB62_3 Depth=1
	s_or_b32 exec_lo, exec_lo, s12
	s_wait_dscnt 0x0
	s_barrier_signal -1
	s_barrier_wait -1
	s_and_saveexec_b32 s12, s100
	s_cbranch_execz .LBB62_591
; %bb.590:                              ;   in Loop: Header=BB62_3 Depth=1
	ds_load_b64 v[44:45], v66 offset:13504
	ds_load_b64 v[46:47], v69
	s_wait_dscnt 0x0
	v_pk_mul_f32 v[98:99], v[46:47], v[44:45] op_sel:[1,1] op_sel_hi:[0,1]
	s_delay_alu instid0(VALU_DEP_1) | instskip(SKIP_1) | instid1(VALU_DEP_2)
	v_pk_fma_f32 v[100:101], v[46:47], v[44:45], v[98:99] op_sel_hi:[1,0,1]
	v_pk_fma_f32 v[44:45], v[46:47], v[44:45], v[98:99] neg_lo:[0,0,1] neg_hi:[0,0,1]
	v_mov_b32_e32 v45, v101
	s_delay_alu instid0(VALU_DEP_1)
	v_pk_add_f32 v[42:43], v[42:43], v[44:45] neg_lo:[0,1] neg_hi:[0,1]
.LBB62_591:                             ;   in Loop: Header=BB62_3 Depth=1
	s_or_b32 exec_lo, exec_lo, s12
	s_barrier_signal -1
	s_barrier_wait -1
	s_and_saveexec_b32 s12, s101
; %bb.592:                              ;   in Loop: Header=BB62_3 Depth=1
	v_pk_add_f32 v[44:45], v[42:43], 0 neg_lo:[1,1] neg_hi:[1,1]
	ds_store_b64 v69, v[44:45]
; %bb.593:                              ;   in Loop: Header=BB62_3 Depth=1
	s_or_b32 exec_lo, exec_lo, s12
	s_wait_dscnt 0x0
	;; [unrolled: 26-line block ×3, first 2 shown]
	s_barrier_signal -1
	s_barrier_wait -1
	s_barrier_signal -1
	s_barrier_wait -1
	s_and_saveexec_b32 s12, s4
; %bb.598:                              ;   in Loop: Header=BB62_3 Depth=1
	ds_store_b64 v71, v[42:43] offset:16064
; %bb.599:                              ;   in Loop: Header=BB62_3 Depth=1
	s_or_b32 exec_lo, exec_lo, s12
	s_wait_dscnt 0x0
	s_barrier_signal -1
	s_barrier_wait -1
	s_barrier_signal -1
	s_barrier_wait -1
	s_and_saveexec_b32 s12, s103
	s_cbranch_execz .LBB62_601
; %bb.600:                              ;   in Loop: Header=BB62_3 Depth=1
	ds_load_b64 v[42:43], v50 offset:14528
	s_wait_dscnt 0x0
	ds_store_b64 v51, v[42:43] offset:12512
	ds_load_b64 v[42:43], v50 offset:14536
	s_wait_dscnt 0x0
	ds_store_b64 v51, v[42:43] offset:13024
	;; [unrolled: 3-line block ×4, first 2 shown]
.LBB62_601:                             ;   in Loop: Header=BB62_3 Depth=1
	s_or_b32 exec_lo, exec_lo, s12
	s_wait_dscnt 0x0
	s_barrier_signal -1
	s_barrier_wait -1
	s_and_saveexec_b32 s12, s11
	s_cbranch_execz .LBB62_603
; %bb.602:                              ;   in Loop: Header=BB62_3 Depth=1
	ds_load_b64 v[42:43], v3 offset:14032
	v_add_nc_u32_e64 v2, 0x3000, 0
	ds_store_b64 v3, v[38:39] offset:14040
	s_wait_dscnt 0x1
	ds_store_2addr_b64 v2, v[38:39], v[42:43] offset0:154 offset1:155
.LBB62_603:                             ;   in Loop: Header=BB62_3 Depth=1
	s_or_b32 exec_lo, exec_lo, s12
	v_dual_mov_b32 v42, 0 :: v_dual_mov_b32 v43, 0
	s_wait_dscnt 0x0
	s_barrier_signal -1
	s_barrier_wait -1
	global_wb scope:SCOPE_DEV
	s_wait_storecnt 0x0
	global_inv scope:SCOPE_DEV
	s_and_saveexec_b32 s62, s2
	s_cbranch_execz .LBB62_607
; %bb.604:                              ;   in Loop: Header=BB62_3 Depth=1
	ds_load_b64 v[42:43], v64 offset:13504
	ds_load_b64 v[44:45], v54 offset:14032
	s_wait_dscnt 0x0
	v_pk_mul_f32 v[46:47], v[44:45], v[42:43] op_sel:[1,1] op_sel_hi:[0,1]
	s_delay_alu instid0(VALU_DEP_1) | instskip(SKIP_1) | instid1(VALU_DEP_2)
	v_pk_fma_f32 v[98:99], v[44:45], v[42:43], v[46:47] op_sel_hi:[1,0,1]
	v_pk_fma_f32 v[42:43], v[44:45], v[42:43], v[46:47] neg_lo:[0,0,1] neg_hi:[0,0,1]
	v_mov_b32_e32 v43, v99
	s_delay_alu instid0(VALU_DEP_1)
	v_pk_add_f32 v[42:43], v[42:43], 0 op_sel_hi:[1,0]
	s_and_saveexec_b32 s12, s13
	s_cbranch_execz .LBB62_606
; %bb.605:                              ;   in Loop: Header=BB62_3 Depth=1
	ds_load_b64 v[44:45], v51 offset:14016
	ds_load_b64 v[46:47], v3 offset:14040
	s_wait_dscnt 0x0
	v_pk_mul_f32 v[98:99], v[46:47], v[44:45] op_sel:[1,1] op_sel_hi:[0,1]
	s_delay_alu instid0(VALU_DEP_1) | instskip(SKIP_1) | instid1(VALU_DEP_2)
	v_pk_fma_f32 v[100:101], v[46:47], v[44:45], v[98:99] op_sel_hi:[1,0,1]
	v_pk_fma_f32 v[44:45], v[46:47], v[44:45], v[98:99] neg_lo:[0,0,1] neg_hi:[0,0,1]
	v_mov_b32_e32 v45, v101
	s_delay_alu instid0(VALU_DEP_1)
	v_pk_add_f32 v[42:43], v[42:43], v[44:45]
.LBB62_606:                             ;   in Loop: Header=BB62_3 Depth=1
	s_or_b32 exec_lo, exec_lo, s12
.LBB62_607:                             ;   in Loop: Header=BB62_3 Depth=1
	s_delay_alu instid0(SALU_CYCLE_1)
	s_or_b32 exec_lo, exec_lo, s62
	s_and_saveexec_b32 s12, s94
; %bb.608:                              ;   in Loop: Header=BB62_3 Depth=1
	s_delay_alu instid0(VALU_DEP_1)
	v_pk_add_f32 v[44:45], v[42:43], 0 neg_lo:[1,1] neg_hi:[1,1]
	ds_store_b64 v65, v[44:45]
; %bb.609:                              ;   in Loop: Header=BB62_3 Depth=1
	s_or_b32 exec_lo, exec_lo, s12
	s_wait_loadcnt_dscnt 0x0
	s_barrier_signal -1
	s_barrier_wait -1
	s_and_saveexec_b32 s12, s95
	s_cbranch_execz .LBB62_611
; %bb.610:                              ;   in Loop: Header=BB62_3 Depth=1
	ds_load_b64 v[44:45], v3 offset:12992
	ds_load_b64 v[46:47], v65
	s_wait_dscnt 0x0
	v_pk_mul_f32 v[98:99], v[46:47], v[44:45] op_sel_hi:[1,0]
	s_delay_alu instid0(VALU_DEP_1) | instskip(SKIP_1) | instid1(VALU_DEP_2)
	v_pk_fma_f32 v[100:101], v[46:47], v[44:45], v[98:99] op_sel:[1,1,0] op_sel_hi:[0,1,1]
	v_pk_fma_f32 v[44:45], v[46:47], v[44:45], v[98:99] op_sel:[1,1,0] op_sel_hi:[0,1,1] neg_lo:[0,0,1] neg_hi:[0,0,1]
	v_pk_add_f32 v[46:47], v[42:43], v[100:101] neg_lo:[0,1] neg_hi:[0,1]
	s_delay_alu instid0(VALU_DEP_2) | instskip(NEXT) | instid1(VALU_DEP_2)
	v_pk_add_f32 v[42:43], v[42:43], v[44:45]
	v_mov_b32_e32 v43, v47
.LBB62_611:                             ;   in Loop: Header=BB62_3 Depth=1
	s_or_b32 exec_lo, exec_lo, s12
	s_barrier_signal -1
	s_barrier_wait -1
	s_and_saveexec_b32 s12, s95
; %bb.612:                              ;   in Loop: Header=BB62_3 Depth=1
	v_pk_add_f32 v[44:45], v[42:43], 0 neg_lo:[1,1] neg_hi:[1,1]
	ds_store_b64 v65, v[44:45]
; %bb.613:                              ;   in Loop: Header=BB62_3 Depth=1
	s_or_b32 exec_lo, exec_lo, s12
	s_wait_dscnt 0x0
	s_barrier_signal -1
	s_barrier_wait -1
	s_barrier_signal -1
	s_barrier_wait -1
	s_and_saveexec_b32 s12, s2
; %bb.614:                              ;   in Loop: Header=BB62_3 Depth=1
	ds_store_b64 v67, v[42:43] offset:14016
; %bb.615:                              ;   in Loop: Header=BB62_3 Depth=1
	s_or_b32 exec_lo, exec_lo, s12
	s_wait_dscnt 0x0
	s_barrier_signal -1
	s_barrier_wait -1
	s_barrier_signal -1
	s_barrier_wait -1
	s_and_saveexec_b32 s12, s96
	s_cbranch_execz .LBB62_617
; %bb.616:                              ;   in Loop: Header=BB62_3 Depth=1
	ds_load_b64 v[42:43], v52 offset:13504
	s_wait_dscnt 0x0
	ds_store_b64 v51, v[42:43] offset:12496
	ds_load_b64 v[42:43], v52 offset:13512
	s_wait_dscnt 0x0
	ds_store_b64 v51, v[42:43] offset:13008
.LBB62_617:                             ;   in Loop: Header=BB62_3 Depth=1
	s_or_b32 exec_lo, exec_lo, s12
	s_wait_dscnt 0x0
	s_barrier_signal -1
	s_barrier_wait -1
	s_and_saveexec_b32 s12, s11
	s_cbranch_execz .LBB62_619
; %bb.618:                              ;   in Loop: Header=BB62_3 Depth=1
	ds_load_b64 v[42:43], v3 offset:12992
	v_add_nc_u32_e64 v2, 0x3000, 0
	ds_store_b64 v3, v[38:39] offset:13000
	s_wait_dscnt 0x1
	ds_store_2addr_b64 v2, v[38:39], v[42:43] offset0:24 offset1:25
.LBB62_619:                             ;   in Loop: Header=BB62_3 Depth=1
	s_or_b32 exec_lo, exec_lo, s12
	v_mov_b64_e32 v[42:43], 0
	s_wait_dscnt 0x0
	s_barrier_signal -1
	s_barrier_wait -1
	global_wb scope:SCOPE_DEV
	s_wait_storecnt 0x0
	global_inv scope:SCOPE_DEV
	s_and_saveexec_b32 s62, s5
	s_cbranch_execz .LBB62_629
; %bb.620:                              ;   in Loop: Header=BB62_3 Depth=1
	ds_load_b64 v[42:43], v68 offset:12416
	ds_load_b64 v[44:45], v59 offset:16064
	s_wait_dscnt 0x0
	v_dual_mul_f32 v2, v45, v43 :: v_dual_mul_f32 v5, v44, v43
	s_delay_alu instid0(VALU_DEP_1) | instskip(NEXT) | instid1(VALU_DEP_1)
	v_dual_fma_f32 v2, v44, v42, -v2 :: v_dual_fmac_f32 v5, v45, v42
	v_dual_add_f32 v42, 0, v2 :: v_dual_add_f32 v43, 0, v5
	s_and_saveexec_b32 s12, s16
	s_cbranch_execnz .LBB62_1090
; %bb.621:                              ;   in Loop: Header=BB62_3 Depth=1
	s_or_b32 exec_lo, exec_lo, s12
	s_and_saveexec_b32 s12, s17
	s_cbranch_execnz .LBB62_1091
.LBB62_622:                             ;   in Loop: Header=BB62_3 Depth=1
	s_or_b32 exec_lo, exec_lo, s12
	s_and_saveexec_b32 s12, s18
	s_cbranch_execnz .LBB62_1092
.LBB62_623:                             ;   in Loop: Header=BB62_3 Depth=1
	s_or_b32 exec_lo, exec_lo, s12
	s_and_saveexec_b32 s12, s19
	s_cbranch_execnz .LBB62_1093
.LBB62_624:                             ;   in Loop: Header=BB62_3 Depth=1
	s_or_b32 exec_lo, exec_lo, s12
	s_and_saveexec_b32 s12, s20
	s_cbranch_execnz .LBB62_1094
.LBB62_625:                             ;   in Loop: Header=BB62_3 Depth=1
	s_or_b32 exec_lo, exec_lo, s12
	s_and_saveexec_b32 s12, s4
	s_cbranch_execnz .LBB62_1095
.LBB62_626:                             ;   in Loop: Header=BB62_3 Depth=1
	s_or_b32 exec_lo, exec_lo, s12
	s_and_saveexec_b32 s12, s15
	s_cbranch_execz .LBB62_628
.LBB62_627:                             ;   in Loop: Header=BB62_3 Depth=1
	ds_load_b64 v[44:45], v53 offset:16000
	ds_load_b64 v[46:47], v3 offset:16120
	s_wait_dscnt 0x0
	v_pk_mul_f32 v[98:99], v[46:47], v[44:45] op_sel:[1,1] op_sel_hi:[0,1]
	s_delay_alu instid0(VALU_DEP_1) | instskip(SKIP_1) | instid1(VALU_DEP_2)
	v_pk_fma_f32 v[100:101], v[46:47], v[44:45], v[98:99] op_sel_hi:[1,0,1]
	v_pk_fma_f32 v[44:45], v[46:47], v[44:45], v[98:99] neg_lo:[0,0,1] neg_hi:[0,0,1]
	v_mov_b32_e32 v45, v101
	s_delay_alu instid0(VALU_DEP_1)
	v_pk_add_f32 v[42:43], v[42:43], v[44:45]
.LBB62_628:                             ;   in Loop: Header=BB62_3 Depth=1
	s_or_b32 exec_lo, exec_lo, s12
.LBB62_629:                             ;   in Loop: Header=BB62_3 Depth=1
	s_delay_alu instid0(SALU_CYCLE_1)
	s_or_b32 exec_lo, exec_lo, s62
	s_and_saveexec_b32 s12, s104
; %bb.630:                              ;   in Loop: Header=BB62_3 Depth=1
	s_delay_alu instid0(VALU_DEP_1)
	v_pk_add_f32 v[44:45], v[42:43], 0 neg_lo:[1,1] neg_hi:[1,1]
	ds_store_b64 v72, v[44:45]
; %bb.631:                              ;   in Loop: Header=BB62_3 Depth=1
	s_or_b32 exec_lo, exec_lo, s12
	s_wait_loadcnt_dscnt 0x0
	s_barrier_signal -1
	s_barrier_wait -1
	s_and_saveexec_b32 s12, vcc_hi
	s_cbranch_execz .LBB62_633
; %bb.632:                              ;   in Loop: Header=BB62_3 Depth=1
	ds_load_b64 v[44:45], v68 offset:11904
	ds_load_b64 v[46:47], v72
	s_wait_dscnt 0x0
	v_pk_mul_f32 v[98:99], v[46:47], v[44:45] op_sel:[1,1] op_sel_hi:[0,1]
	s_delay_alu instid0(VALU_DEP_1) | instskip(SKIP_1) | instid1(VALU_DEP_2)
	v_pk_fma_f32 v[100:101], v[46:47], v[44:45], v[98:99] op_sel_hi:[1,0,1]
	v_pk_fma_f32 v[44:45], v[46:47], v[44:45], v[98:99] neg_lo:[0,0,1] neg_hi:[0,0,1]
	v_mov_b32_e32 v45, v101
	s_delay_alu instid0(VALU_DEP_1)
	v_pk_add_f32 v[42:43], v[42:43], v[44:45] neg_lo:[0,1] neg_hi:[0,1]
.LBB62_633:                             ;   in Loop: Header=BB62_3 Depth=1
	s_or_b32 exec_lo, exec_lo, s12
	s_barrier_signal -1
	s_barrier_wait -1
	s_and_saveexec_b32 s12, s39
; %bb.634:                              ;   in Loop: Header=BB62_3 Depth=1
	v_pk_add_f32 v[44:45], v[42:43], 0 neg_lo:[1,1] neg_hi:[1,1]
	ds_store_b64 v72, v[44:45]
; %bb.635:                              ;   in Loop: Header=BB62_3 Depth=1
	s_or_b32 exec_lo, exec_lo, s12
	s_wait_dscnt 0x0
	s_barrier_signal -1
	s_barrier_wait -1
	s_and_saveexec_b32 s12, s40
	s_cbranch_execz .LBB62_637
; %bb.636:                              ;   in Loop: Header=BB62_3 Depth=1
	ds_load_b64 v[44:45], v68 offset:11392
	ds_load_b64 v[46:47], v72
	s_wait_dscnt 0x0
	v_dual_mul_f32 v2, v47, v45 :: v_dual_mul_f32 v5, v46, v45
	s_delay_alu instid0(VALU_DEP_1) | instskip(NEXT) | instid1(VALU_DEP_1)
	v_dual_fma_f32 v2, v46, v44, -v2 :: v_dual_fmac_f32 v5, v47, v44
	v_dual_sub_f32 v42, v42, v2 :: v_dual_sub_f32 v43, v43, v5
.LBB62_637:                             ;   in Loop: Header=BB62_3 Depth=1
	s_or_b32 exec_lo, exec_lo, s12
	s_barrier_signal -1
	s_barrier_wait -1
	s_and_saveexec_b32 s12, s41
; %bb.638:                              ;   in Loop: Header=BB62_3 Depth=1
	v_pk_add_f32 v[44:45], v[42:43], 0 neg_lo:[1,1] neg_hi:[1,1]
	ds_store_b64 v72, v[44:45]
; %bb.639:                              ;   in Loop: Header=BB62_3 Depth=1
	s_or_b32 exec_lo, exec_lo, s12
	s_wait_dscnt 0x0
	s_barrier_signal -1
	s_barrier_wait -1
	s_and_saveexec_b32 s12, s42
	s_cbranch_execz .LBB62_641
; %bb.640:                              ;   in Loop: Header=BB62_3 Depth=1
	ds_load_b64 v[44:45], v68 offset:10880
	ds_load_b64 v[46:47], v72
	s_wait_dscnt 0x0
	v_dual_mul_f32 v2, v47, v45 :: v_dual_mul_f32 v99, v46, v45
	s_delay_alu instid0(VALU_DEP_1) | instskip(NEXT) | instid1(VALU_DEP_1)
	v_dual_fma_f32 v98, v46, v44, -v2 :: v_dual_fmac_f32 v99, v47, v44
	v_pk_add_f32 v[42:43], v[42:43], v[98:99] neg_lo:[0,1] neg_hi:[0,1]
.LBB62_641:                             ;   in Loop: Header=BB62_3 Depth=1
	s_or_b32 exec_lo, exec_lo, s12
	s_barrier_signal -1
	s_barrier_wait -1
	s_and_saveexec_b32 s12, s43
; %bb.642:                              ;   in Loop: Header=BB62_3 Depth=1
	v_pk_add_f32 v[44:45], v[42:43], 0 neg_lo:[1,1] neg_hi:[1,1]
	ds_store_b64 v72, v[44:45]
; %bb.643:                              ;   in Loop: Header=BB62_3 Depth=1
	s_or_b32 exec_lo, exec_lo, s12
	s_wait_dscnt 0x0
	s_barrier_signal -1
	s_barrier_wait -1
	s_and_saveexec_b32 s12, s44
	s_cbranch_execz .LBB62_645
; %bb.644:                              ;   in Loop: Header=BB62_3 Depth=1
	ds_load_b64 v[44:45], v68 offset:10368
	ds_load_b64 v[46:47], v72
	s_wait_dscnt 0x0
	v_pk_mul_f32 v[98:99], v[46:47], v[44:45] op_sel:[1,1] op_sel_hi:[0,1]
	s_delay_alu instid0(VALU_DEP_1) | instskip(SKIP_1) | instid1(VALU_DEP_2)
	v_pk_fma_f32 v[100:101], v[46:47], v[44:45], v[98:99] op_sel_hi:[1,0,1]
	v_pk_fma_f32 v[44:45], v[46:47], v[44:45], v[98:99] neg_lo:[0,0,1] neg_hi:[0,0,1]
	v_mov_b32_e32 v45, v101
	s_delay_alu instid0(VALU_DEP_1)
	v_pk_add_f32 v[42:43], v[42:43], v[44:45] neg_lo:[0,1] neg_hi:[0,1]
.LBB62_645:                             ;   in Loop: Header=BB62_3 Depth=1
	s_or_b32 exec_lo, exec_lo, s12
	s_barrier_signal -1
	s_barrier_wait -1
	s_and_saveexec_b32 s12, s45
; %bb.646:                              ;   in Loop: Header=BB62_3 Depth=1
	v_pk_add_f32 v[44:45], v[42:43], 0 neg_lo:[1,1] neg_hi:[1,1]
	ds_store_b64 v72, v[44:45]
; %bb.647:                              ;   in Loop: Header=BB62_3 Depth=1
	s_or_b32 exec_lo, exec_lo, s12
	s_wait_dscnt 0x0
	s_barrier_signal -1
	s_barrier_wait -1
	s_and_saveexec_b32 s12, s46
	s_cbranch_execz .LBB62_649
; %bb.648:                              ;   in Loop: Header=BB62_3 Depth=1
	ds_load_b64 v[44:45], v68 offset:9856
	ds_load_b64 v[46:47], v72
	s_wait_dscnt 0x0
	v_pk_mul_f32 v[98:99], v[46:47], v[44:45] op_sel:[1,1] op_sel_hi:[0,1]
	s_delay_alu instid0(VALU_DEP_1) | instskip(SKIP_1) | instid1(VALU_DEP_2)
	v_pk_fma_f32 v[100:101], v[46:47], v[44:45], v[98:99] op_sel_hi:[1,0,1]
	v_pk_fma_f32 v[44:45], v[46:47], v[44:45], v[98:99] neg_lo:[0,0,1] neg_hi:[0,0,1]
	v_mov_b32_e32 v45, v101
	s_delay_alu instid0(VALU_DEP_1)
	v_pk_add_f32 v[42:43], v[42:43], v[44:45] neg_lo:[0,1] neg_hi:[0,1]
.LBB62_649:                             ;   in Loop: Header=BB62_3 Depth=1
	;; [unrolled: 26-line block ×4, first 2 shown]
	s_or_b32 exec_lo, exec_lo, s12
	s_barrier_signal -1
	s_barrier_wait -1
	s_and_saveexec_b32 s12, s50
; %bb.658:                              ;   in Loop: Header=BB62_3 Depth=1
	v_pk_add_f32 v[44:45], v[42:43], 0 neg_lo:[1,1] neg_hi:[1,1]
	ds_store_b64 v72, v[44:45]
; %bb.659:                              ;   in Loop: Header=BB62_3 Depth=1
	s_or_b32 exec_lo, exec_lo, s12
	s_wait_dscnt 0x0
	s_barrier_signal -1
	s_barrier_wait -1
	s_barrier_signal -1
	s_barrier_wait -1
	s_and_saveexec_b32 s12, s5
; %bb.660:                              ;   in Loop: Header=BB62_3 Depth=1
	ds_store_b64 v73, v[42:43] offset:16000
; %bb.661:                              ;   in Loop: Header=BB62_3 Depth=1
	s_or_b32 exec_lo, exec_lo, s12
	s_wait_dscnt 0x0
	s_barrier_signal -1
	s_barrier_wait -1
	s_barrier_signal -1
	s_barrier_wait -1
	s_and_saveexec_b32 s12, s51
	s_cbranch_execz .LBB62_663
; %bb.662:                              ;   in Loop: Header=BB62_3 Depth=1
	ds_load_b64 v[42:43], v56 offset:12416
	s_wait_dscnt 0x0
	ds_store_b64 v57, v[42:43] offset:8384
	ds_load_b64 v[42:43], v56 offset:12424
	s_wait_dscnt 0x0
	ds_store_b64 v57, v[42:43] offset:8896
	;; [unrolled: 3-line block ×8, first 2 shown]
.LBB62_663:                             ;   in Loop: Header=BB62_3 Depth=1
	s_or_b32 exec_lo, exec_lo, s12
	s_wait_dscnt 0x0
	s_barrier_signal -1
	s_barrier_wait -1
	s_and_saveexec_b32 s12, s11
	s_cbranch_execz .LBB62_665
; %bb.664:                              ;   in Loop: Header=BB62_3 Depth=1
	ds_load_b64 v[42:43], v3 offset:11952
	v_add_nc_u32_e64 v2, 0x2800, 0
	ds_store_b64 v3, v[38:39] offset:11960
	s_wait_dscnt 0x1
	ds_store_2addr_b64 v2, v[38:39], v[42:43] offset0:150 offset1:151
.LBB62_665:                             ;   in Loop: Header=BB62_3 Depth=1
	s_or_b32 exec_lo, exec_lo, s12
	v_dual_mov_b32 v42, 0 :: v_dual_mov_b32 v43, 0
	s_wait_dscnt 0x0
	s_barrier_signal -1
	s_barrier_wait -1
	global_wb scope:SCOPE_DEV
	s_wait_storecnt 0x0
	global_inv scope:SCOPE_DEV
	s_and_saveexec_b32 s62, s2
	s_cbranch_execz .LBB62_669
; %bb.666:                              ;   in Loop: Header=BB62_3 Depth=1
	ds_load_b64 v[42:43], v64 offset:11424
	ds_load_b64 v[44:45], v54 offset:11952
	s_wait_dscnt 0x0
	v_pk_mul_f32 v[46:47], v[44:45], v[42:43] op_sel:[1,1] op_sel_hi:[0,1]
	s_delay_alu instid0(VALU_DEP_1) | instskip(SKIP_1) | instid1(VALU_DEP_2)
	v_pk_fma_f32 v[98:99], v[44:45], v[42:43], v[46:47] op_sel_hi:[1,0,1]
	v_pk_fma_f32 v[42:43], v[44:45], v[42:43], v[46:47] neg_lo:[0,0,1] neg_hi:[0,0,1]
	v_mov_b32_e32 v43, v99
	s_delay_alu instid0(VALU_DEP_1)
	v_pk_add_f32 v[42:43], v[42:43], 0 op_sel_hi:[1,0]
	s_and_saveexec_b32 s12, s13
	s_cbranch_execz .LBB62_668
; %bb.667:                              ;   in Loop: Header=BB62_3 Depth=1
	ds_load_b64 v[44:45], v57 offset:11936
	ds_load_b64 v[46:47], v3 offset:11960
	s_wait_dscnt 0x0
	v_pk_mul_f32 v[98:99], v[46:47], v[44:45] op_sel:[1,1] op_sel_hi:[0,1]
	s_delay_alu instid0(VALU_DEP_1) | instskip(SKIP_1) | instid1(VALU_DEP_2)
	v_pk_fma_f32 v[100:101], v[46:47], v[44:45], v[98:99] op_sel_hi:[1,0,1]
	v_pk_fma_f32 v[44:45], v[46:47], v[44:45], v[98:99] neg_lo:[0,0,1] neg_hi:[0,0,1]
	v_mov_b32_e32 v45, v101
	s_delay_alu instid0(VALU_DEP_1)
	v_pk_add_f32 v[42:43], v[42:43], v[44:45]
.LBB62_668:                             ;   in Loop: Header=BB62_3 Depth=1
	s_or_b32 exec_lo, exec_lo, s12
.LBB62_669:                             ;   in Loop: Header=BB62_3 Depth=1
	s_delay_alu instid0(SALU_CYCLE_1)
	s_or_b32 exec_lo, exec_lo, s62
	s_and_saveexec_b32 s12, s94
; %bb.670:                              ;   in Loop: Header=BB62_3 Depth=1
	s_delay_alu instid0(VALU_DEP_1)
	v_pk_add_f32 v[44:45], v[42:43], 0 neg_lo:[1,1] neg_hi:[1,1]
	ds_store_b64 v65, v[44:45]
; %bb.671:                              ;   in Loop: Header=BB62_3 Depth=1
	s_or_b32 exec_lo, exec_lo, s12
	s_wait_loadcnt_dscnt 0x0
	s_barrier_signal -1
	s_barrier_wait -1
	s_and_saveexec_b32 s12, s95
	s_cbranch_execz .LBB62_673
; %bb.672:                              ;   in Loop: Header=BB62_3 Depth=1
	ds_load_b64 v[44:45], v3 offset:10912
	ds_load_b64 v[46:47], v65
	s_wait_dscnt 0x0
	v_pk_mul_f32 v[98:99], v[46:47], v[44:45] op_sel_hi:[1,0]
	s_delay_alu instid0(VALU_DEP_1) | instskip(SKIP_1) | instid1(VALU_DEP_2)
	v_pk_fma_f32 v[100:101], v[46:47], v[44:45], v[98:99] op_sel:[1,1,0] op_sel_hi:[0,1,1]
	v_pk_fma_f32 v[44:45], v[46:47], v[44:45], v[98:99] op_sel:[1,1,0] op_sel_hi:[0,1,1] neg_lo:[0,0,1] neg_hi:[0,0,1]
	v_pk_add_f32 v[46:47], v[42:43], v[100:101] neg_lo:[0,1] neg_hi:[0,1]
	s_delay_alu instid0(VALU_DEP_2) | instskip(NEXT) | instid1(VALU_DEP_2)
	v_pk_add_f32 v[42:43], v[42:43], v[44:45]
	v_mov_b32_e32 v43, v47
.LBB62_673:                             ;   in Loop: Header=BB62_3 Depth=1
	s_or_b32 exec_lo, exec_lo, s12
	s_barrier_signal -1
	s_barrier_wait -1
	s_and_saveexec_b32 s12, s95
; %bb.674:                              ;   in Loop: Header=BB62_3 Depth=1
	v_pk_add_f32 v[44:45], v[42:43], 0 neg_lo:[1,1] neg_hi:[1,1]
	ds_store_b64 v65, v[44:45]
; %bb.675:                              ;   in Loop: Header=BB62_3 Depth=1
	s_or_b32 exec_lo, exec_lo, s12
	s_wait_dscnt 0x0
	s_barrier_signal -1
	s_barrier_wait -1
	s_barrier_signal -1
	s_barrier_wait -1
	s_and_saveexec_b32 s12, s2
; %bb.676:                              ;   in Loop: Header=BB62_3 Depth=1
	ds_store_b64 v67, v[42:43] offset:11936
; %bb.677:                              ;   in Loop: Header=BB62_3 Depth=1
	s_or_b32 exec_lo, exec_lo, s12
	s_wait_dscnt 0x0
	s_barrier_signal -1
	s_barrier_wait -1
	s_barrier_signal -1
	s_barrier_wait -1
	s_and_saveexec_b32 s12, s96
	s_cbranch_execz .LBB62_679
; %bb.678:                              ;   in Loop: Header=BB62_3 Depth=1
	ds_load_b64 v[42:43], v60 offset:11424
	s_wait_dscnt 0x0
	ds_store_b64 v57, v[42:43] offset:10416
	ds_load_b64 v[42:43], v60 offset:11432
	s_wait_dscnt 0x0
	ds_store_b64 v57, v[42:43] offset:10928
.LBB62_679:                             ;   in Loop: Header=BB62_3 Depth=1
	s_or_b32 exec_lo, exec_lo, s12
	s_wait_dscnt 0x0
	s_barrier_signal -1
	s_barrier_wait -1
	s_and_saveexec_b32 s12, s11
	s_cbranch_execz .LBB62_681
; %bb.680:                              ;   in Loop: Header=BB62_3 Depth=1
	ds_load_b64 v[42:43], v3 offset:10912
	v_add_nc_u32_e64 v2, 0x2800, 0
	ds_store_b64 v3, v[38:39] offset:10920
	s_wait_dscnt 0x1
	ds_store_2addr_b64 v2, v[38:39], v[42:43] offset0:20 offset1:21
.LBB62_681:                             ;   in Loop: Header=BB62_3 Depth=1
	s_or_b32 exec_lo, exec_lo, s12
	v_mov_b64_e32 v[42:43], 0
	s_wait_dscnt 0x0
	s_barrier_signal -1
	s_barrier_wait -1
	global_wb scope:SCOPE_DEV
	s_wait_storecnt 0x0
	global_inv scope:SCOPE_DEV
	s_and_saveexec_b32 s62, s4
	s_cbranch_execz .LBB62_687
; %bb.682:                              ;   in Loop: Header=BB62_3 Depth=1
	ds_load_b64 v[42:43], v66 offset:10368
	ds_load_b64 v[44:45], v55 offset:11936
	s_wait_dscnt 0x0
	v_dual_mul_f32 v2, v45, v43 :: v_dual_mul_f32 v5, v44, v43
	s_delay_alu instid0(VALU_DEP_1) | instskip(NEXT) | instid1(VALU_DEP_1)
	v_dual_fma_f32 v2, v44, v42, -v2 :: v_dual_fmac_f32 v5, v45, v42
	v_dual_add_f32 v42, 0, v2 :: v_dual_add_f32 v43, 0, v5
	s_and_saveexec_b32 s12, s14
	s_cbranch_execnz .LBB62_1096
; %bb.683:                              ;   in Loop: Header=BB62_3 Depth=1
	s_or_b32 exec_lo, exec_lo, s12
	s_and_saveexec_b32 s12, s15
	s_cbranch_execnz .LBB62_1097
.LBB62_684:                             ;   in Loop: Header=BB62_3 Depth=1
	s_or_b32 exec_lo, exec_lo, s12
	s_and_saveexec_b32 s12, s2
	s_cbranch_execz .LBB62_686
.LBB62_685:                             ;   in Loop: Header=BB62_3 Depth=1
	ds_load_b64 v[44:45], v78 offset:11904
	ds_load_b64 v[46:47], v3 offset:11960
	s_wait_dscnt 0x0
	v_pk_mul_f32 v[98:99], v[46:47], v[44:45] op_sel:[1,1] op_sel_hi:[0,1]
	s_delay_alu instid0(VALU_DEP_1) | instskip(SKIP_1) | instid1(VALU_DEP_2)
	v_pk_fma_f32 v[100:101], v[46:47], v[44:45], v[98:99] op_sel_hi:[1,0,1]
	v_pk_fma_f32 v[44:45], v[46:47], v[44:45], v[98:99] neg_lo:[0,0,1] neg_hi:[0,0,1]
	v_mov_b32_e32 v45, v101
	s_delay_alu instid0(VALU_DEP_1)
	v_pk_add_f32 v[42:43], v[42:43], v[44:45]
.LBB62_686:                             ;   in Loop: Header=BB62_3 Depth=1
	s_or_b32 exec_lo, exec_lo, s12
.LBB62_687:                             ;   in Loop: Header=BB62_3 Depth=1
	s_delay_alu instid0(SALU_CYCLE_1)
	s_or_b32 exec_lo, exec_lo, s62
	s_and_saveexec_b32 s12, s97
; %bb.688:                              ;   in Loop: Header=BB62_3 Depth=1
	s_delay_alu instid0(VALU_DEP_1)
	v_pk_add_f32 v[44:45], v[42:43], 0 neg_lo:[1,1] neg_hi:[1,1]
	ds_store_b64 v69, v[44:45]
; %bb.689:                              ;   in Loop: Header=BB62_3 Depth=1
	s_or_b32 exec_lo, exec_lo, s12
	s_wait_loadcnt_dscnt 0x0
	s_barrier_signal -1
	s_barrier_wait -1
	s_and_saveexec_b32 s12, s98
	s_cbranch_execz .LBB62_691
; %bb.690:                              ;   in Loop: Header=BB62_3 Depth=1
	ds_load_b64 v[44:45], v66 offset:9856
	ds_load_b64 v[46:47], v69
	s_wait_dscnt 0x0
	v_pk_mul_f32 v[98:99], v[46:47], v[44:45] op_sel:[1,1] op_sel_hi:[0,1]
	s_delay_alu instid0(VALU_DEP_1) | instskip(SKIP_1) | instid1(VALU_DEP_2)
	v_pk_fma_f32 v[100:101], v[46:47], v[44:45], v[98:99] op_sel_hi:[1,0,1]
	v_pk_fma_f32 v[44:45], v[46:47], v[44:45], v[98:99] neg_lo:[0,0,1] neg_hi:[0,0,1]
	v_mov_b32_e32 v45, v101
	s_delay_alu instid0(VALU_DEP_1)
	v_pk_add_f32 v[42:43], v[42:43], v[44:45] neg_lo:[0,1] neg_hi:[0,1]
.LBB62_691:                             ;   in Loop: Header=BB62_3 Depth=1
	s_or_b32 exec_lo, exec_lo, s12
	s_barrier_signal -1
	s_barrier_wait -1
	s_and_saveexec_b32 s12, s99
; %bb.692:                              ;   in Loop: Header=BB62_3 Depth=1
	v_pk_add_f32 v[44:45], v[42:43], 0 neg_lo:[1,1] neg_hi:[1,1]
	ds_store_b64 v69, v[44:45]
; %bb.693:                              ;   in Loop: Header=BB62_3 Depth=1
	s_or_b32 exec_lo, exec_lo, s12
	s_wait_dscnt 0x0
	s_barrier_signal -1
	s_barrier_wait -1
	s_and_saveexec_b32 s12, s100
	s_cbranch_execz .LBB62_695
; %bb.694:                              ;   in Loop: Header=BB62_3 Depth=1
	ds_load_b64 v[44:45], v66 offset:9344
	ds_load_b64 v[46:47], v69
	s_wait_dscnt 0x0
	v_pk_mul_f32 v[98:99], v[46:47], v[44:45] op_sel:[1,1] op_sel_hi:[0,1]
	s_delay_alu instid0(VALU_DEP_1) | instskip(SKIP_1) | instid1(VALU_DEP_2)
	v_pk_fma_f32 v[100:101], v[46:47], v[44:45], v[98:99] op_sel_hi:[1,0,1]
	v_pk_fma_f32 v[44:45], v[46:47], v[44:45], v[98:99] neg_lo:[0,0,1] neg_hi:[0,0,1]
	v_mov_b32_e32 v45, v101
	s_delay_alu instid0(VALU_DEP_1)
	v_pk_add_f32 v[42:43], v[42:43], v[44:45] neg_lo:[0,1] neg_hi:[0,1]
.LBB62_695:                             ;   in Loop: Header=BB62_3 Depth=1
	s_or_b32 exec_lo, exec_lo, s12
	s_barrier_signal -1
	s_barrier_wait -1
	s_and_saveexec_b32 s12, s101
; %bb.696:                              ;   in Loop: Header=BB62_3 Depth=1
	v_pk_add_f32 v[44:45], v[42:43], 0 neg_lo:[1,1] neg_hi:[1,1]
	ds_store_b64 v69, v[44:45]
; %bb.697:                              ;   in Loop: Header=BB62_3 Depth=1
	s_or_b32 exec_lo, exec_lo, s12
	s_wait_dscnt 0x0
	;; [unrolled: 26-line block ×3, first 2 shown]
	s_barrier_signal -1
	s_barrier_wait -1
	s_barrier_signal -1
	s_barrier_wait -1
	s_and_saveexec_b32 s12, s4
; %bb.702:                              ;   in Loop: Header=BB62_3 Depth=1
	ds_store_b64 v71, v[42:43] offset:11904
; %bb.703:                              ;   in Loop: Header=BB62_3 Depth=1
	s_or_b32 exec_lo, exec_lo, s12
	s_wait_dscnt 0x0
	s_barrier_signal -1
	s_barrier_wait -1
	s_barrier_signal -1
	s_barrier_wait -1
	s_and_saveexec_b32 s12, s103
	s_cbranch_execz .LBB62_705
; %bb.704:                              ;   in Loop: Header=BB62_3 Depth=1
	ds_load_b64 v[42:43], v79 offset:10368
	s_wait_dscnt 0x0
	ds_store_b64 v80, v[42:43] offset:8352
	ds_load_b64 v[42:43], v79 offset:10376
	s_wait_dscnt 0x0
	ds_store_b64 v80, v[42:43] offset:8864
	;; [unrolled: 3-line block ×4, first 2 shown]
.LBB62_705:                             ;   in Loop: Header=BB62_3 Depth=1
	s_or_b32 exec_lo, exec_lo, s12
	s_wait_dscnt 0x0
	s_barrier_signal -1
	s_barrier_wait -1
	s_and_saveexec_b32 s12, s11
	s_cbranch_execz .LBB62_707
; %bb.706:                              ;   in Loop: Header=BB62_3 Depth=1
	ds_load_b64 v[42:43], v3 offset:9872
	v_add_nc_u32_e64 v2, 0x2000, 0
	ds_store_b64 v3, v[38:39] offset:9880
	s_wait_dscnt 0x1
	ds_store_2addr_b64 v2, v[38:39], v[42:43] offset0:146 offset1:147
.LBB62_707:                             ;   in Loop: Header=BB62_3 Depth=1
	s_or_b32 exec_lo, exec_lo, s12
	v_dual_mov_b32 v42, 0 :: v_dual_mov_b32 v43, 0
	s_wait_dscnt 0x0
	s_barrier_signal -1
	s_barrier_wait -1
	global_wb scope:SCOPE_DEV
	s_wait_storecnt 0x0
	global_inv scope:SCOPE_DEV
	s_and_saveexec_b32 s62, s2
	s_cbranch_execz .LBB62_711
; %bb.708:                              ;   in Loop: Header=BB62_3 Depth=1
	ds_load_b64 v[42:43], v64 offset:9344
	ds_load_b64 v[44:45], v54 offset:9872
	s_wait_dscnt 0x0
	v_pk_mul_f32 v[46:47], v[44:45], v[42:43] op_sel:[1,1] op_sel_hi:[0,1]
	s_delay_alu instid0(VALU_DEP_1) | instskip(SKIP_1) | instid1(VALU_DEP_2)
	v_pk_fma_f32 v[98:99], v[44:45], v[42:43], v[46:47] op_sel_hi:[1,0,1]
	v_pk_fma_f32 v[42:43], v[44:45], v[42:43], v[46:47] neg_lo:[0,0,1] neg_hi:[0,0,1]
	v_mov_b32_e32 v43, v99
	s_delay_alu instid0(VALU_DEP_1)
	v_pk_add_f32 v[42:43], v[42:43], 0 op_sel_hi:[1,0]
	s_and_saveexec_b32 s12, s13
	s_cbranch_execz .LBB62_710
; %bb.709:                              ;   in Loop: Header=BB62_3 Depth=1
	ds_load_b64 v[44:45], v80 offset:9856
	ds_load_b64 v[46:47], v3 offset:9880
	s_wait_dscnt 0x0
	v_pk_mul_f32 v[98:99], v[46:47], v[44:45] op_sel:[1,1] op_sel_hi:[0,1]
	s_delay_alu instid0(VALU_DEP_1) | instskip(SKIP_1) | instid1(VALU_DEP_2)
	v_pk_fma_f32 v[100:101], v[46:47], v[44:45], v[98:99] op_sel_hi:[1,0,1]
	v_pk_fma_f32 v[44:45], v[46:47], v[44:45], v[98:99] neg_lo:[0,0,1] neg_hi:[0,0,1]
	v_mov_b32_e32 v45, v101
	s_delay_alu instid0(VALU_DEP_1)
	v_pk_add_f32 v[42:43], v[42:43], v[44:45]
.LBB62_710:                             ;   in Loop: Header=BB62_3 Depth=1
	s_or_b32 exec_lo, exec_lo, s12
.LBB62_711:                             ;   in Loop: Header=BB62_3 Depth=1
	s_delay_alu instid0(SALU_CYCLE_1)
	s_or_b32 exec_lo, exec_lo, s62
	s_and_saveexec_b32 s12, s94
; %bb.712:                              ;   in Loop: Header=BB62_3 Depth=1
	s_delay_alu instid0(VALU_DEP_1)
	v_pk_add_f32 v[44:45], v[42:43], 0 neg_lo:[1,1] neg_hi:[1,1]
	ds_store_b64 v65, v[44:45]
; %bb.713:                              ;   in Loop: Header=BB62_3 Depth=1
	s_or_b32 exec_lo, exec_lo, s12
	s_wait_loadcnt_dscnt 0x0
	s_barrier_signal -1
	s_barrier_wait -1
	s_and_saveexec_b32 s12, s95
	s_cbranch_execz .LBB62_715
; %bb.714:                              ;   in Loop: Header=BB62_3 Depth=1
	ds_load_b64 v[44:45], v3 offset:8832
	ds_load_b64 v[46:47], v65
	s_wait_dscnt 0x0
	v_pk_mul_f32 v[98:99], v[46:47], v[44:45] op_sel_hi:[1,0]
	s_delay_alu instid0(VALU_DEP_1) | instskip(SKIP_1) | instid1(VALU_DEP_2)
	v_pk_fma_f32 v[100:101], v[46:47], v[44:45], v[98:99] op_sel:[1,1,0] op_sel_hi:[0,1,1]
	v_pk_fma_f32 v[44:45], v[46:47], v[44:45], v[98:99] op_sel:[1,1,0] op_sel_hi:[0,1,1] neg_lo:[0,0,1] neg_hi:[0,0,1]
	v_pk_add_f32 v[46:47], v[42:43], v[100:101] neg_lo:[0,1] neg_hi:[0,1]
	s_delay_alu instid0(VALU_DEP_2) | instskip(NEXT) | instid1(VALU_DEP_2)
	v_pk_add_f32 v[42:43], v[42:43], v[44:45]
	v_mov_b32_e32 v43, v47
.LBB62_715:                             ;   in Loop: Header=BB62_3 Depth=1
	s_or_b32 exec_lo, exec_lo, s12
	s_barrier_signal -1
	s_barrier_wait -1
	s_and_saveexec_b32 s12, s95
; %bb.716:                              ;   in Loop: Header=BB62_3 Depth=1
	v_pk_add_f32 v[44:45], v[42:43], 0 neg_lo:[1,1] neg_hi:[1,1]
	ds_store_b64 v65, v[44:45]
; %bb.717:                              ;   in Loop: Header=BB62_3 Depth=1
	s_or_b32 exec_lo, exec_lo, s12
	s_wait_dscnt 0x0
	s_barrier_signal -1
	s_barrier_wait -1
	s_barrier_signal -1
	s_barrier_wait -1
	s_and_saveexec_b32 s12, s2
; %bb.718:                              ;   in Loop: Header=BB62_3 Depth=1
	ds_store_b64 v67, v[42:43] offset:9856
; %bb.719:                              ;   in Loop: Header=BB62_3 Depth=1
	s_or_b32 exec_lo, exec_lo, s12
	s_wait_dscnt 0x0
	s_barrier_signal -1
	s_barrier_wait -1
	s_barrier_signal -1
	s_barrier_wait -1
	s_and_saveexec_b32 s12, s96
	s_cbranch_execz .LBB62_721
; %bb.720:                              ;   in Loop: Header=BB62_3 Depth=1
	ds_load_b64 v[42:43], v85 offset:9344
	s_wait_dscnt 0x0
	ds_store_b64 v80, v[42:43] offset:8336
	ds_load_b64 v[42:43], v85 offset:9352
	s_wait_dscnt 0x0
	ds_store_b64 v80, v[42:43] offset:8848
.LBB62_721:                             ;   in Loop: Header=BB62_3 Depth=1
	s_or_b32 exec_lo, exec_lo, s12
	s_wait_dscnt 0x0
	s_barrier_signal -1
	s_barrier_wait -1
	s_and_saveexec_b32 s12, s11
	s_cbranch_execz .LBB62_723
; %bb.722:                              ;   in Loop: Header=BB62_3 Depth=1
	ds_load_b64 v[42:43], v3 offset:8832
	v_add_nc_u32_e64 v2, 0x2000, 0
	ds_store_b64 v3, v[38:39] offset:8840
	s_wait_dscnt 0x1
	ds_store_2addr_b64 v2, v[38:39], v[42:43] offset0:16 offset1:17
.LBB62_723:                             ;   in Loop: Header=BB62_3 Depth=1
	s_or_b32 exec_lo, exec_lo, s12
	v_mov_b64_e32 v[42:43], 0
	s_wait_dscnt 0x0
	s_barrier_signal -1
	s_barrier_wait -1
	global_wb scope:SCOPE_DEV
	s_wait_storecnt 0x0
	global_inv scope:SCOPE_DEV
	s_and_saveexec_b32 s62, s6
	s_cbranch_execz .LBB62_751
; %bb.724:                              ;   in Loop: Header=BB62_3 Depth=1
	ds_load_b64 v[42:43], v70 offset:8192
	ds_load_b64 v[44:45], v61 offset:16000
	v_readlane_b32 s60, v106, 23
	s_wait_dscnt 0x0
	v_dual_mul_f32 v2, v45, v43 :: v_dual_mul_f32 v5, v44, v43
	s_delay_alu instid0(VALU_DEP_1) | instskip(NEXT) | instid1(VALU_DEP_1)
	v_dual_fma_f32 v2, v44, v42, -v2 :: v_dual_fmac_f32 v5, v45, v42
	v_dual_add_f32 v42, 0, v2 :: v_dual_add_f32 v43, 0, v5
	s_and_saveexec_b32 s12, s60
	s_cbranch_execz .LBB62_726
; %bb.725:                              ;   in Loop: Header=BB62_3 Depth=1
	ds_load_b64 v[44:45], v70 offset:8704
	ds_load_b64 v[46:47], v61 offset:16008
	s_wait_dscnt 0x0
	v_dual_mul_f32 v2, v47, v45 :: v_dual_mul_f32 v5, v46, v45
	s_delay_alu instid0(VALU_DEP_1) | instskip(NEXT) | instid1(VALU_DEP_1)
	v_dual_fma_f32 v2, v46, v44, -v2 :: v_dual_fmac_f32 v5, v47, v44
	v_dual_add_f32 v42, v42, v2 :: v_dual_add_f32 v43, v43, v5
.LBB62_726:                             ;   in Loop: Header=BB62_3 Depth=1
	s_or_b32 exec_lo, exec_lo, s12
	v_readlane_b32 s60, v106, 24
	s_and_saveexec_b32 s12, s60
	s_cbranch_execz .LBB62_728
; %bb.727:                              ;   in Loop: Header=BB62_3 Depth=1
	ds_load_b64 v[44:45], v70 offset:9216
	ds_load_b64 v[46:47], v61 offset:16016
	s_wait_dscnt 0x0
	v_dual_mul_f32 v2, v47, v45 :: v_dual_mul_f32 v5, v46, v45
	s_delay_alu instid0(VALU_DEP_1) | instskip(NEXT) | instid1(VALU_DEP_1)
	v_dual_fma_f32 v2, v46, v44, -v2 :: v_dual_fmac_f32 v5, v47, v44
	v_dual_add_f32 v42, v42, v2 :: v_dual_add_f32 v43, v43, v5
.LBB62_728:                             ;   in Loop: Header=BB62_3 Depth=1
	s_or_b32 exec_lo, exec_lo, s12
	v_readlane_b32 s60, v106, 25
	;; [unrolled: 13-line block ×10, first 2 shown]
	s_and_saveexec_b32 s12, s60
	s_cbranch_execnz .LBB62_1098
; %bb.745:                              ;   in Loop: Header=BB62_3 Depth=1
	s_or_b32 exec_lo, exec_lo, s12
	s_and_saveexec_b32 s12, s5
	s_cbranch_execnz .LBB62_1099
.LBB62_746:                             ;   in Loop: Header=BB62_3 Depth=1
	s_or_b32 exec_lo, exec_lo, s12
	s_and_saveexec_b32 s12, s17
	s_cbranch_execnz .LBB62_1100
.LBB62_747:                             ;   in Loop: Header=BB62_3 Depth=1
	s_or_b32 exec_lo, exec_lo, s12
	s_and_saveexec_b32 s12, s19
	s_cbranch_execnz .LBB62_1101
.LBB62_748:                             ;   in Loop: Header=BB62_3 Depth=1
	s_or_b32 exec_lo, exec_lo, s12
	s_and_saveexec_b32 s12, s4
	s_cbranch_execz .LBB62_750
.LBB62_749:                             ;   in Loop: Header=BB62_3 Depth=1
	ds_load_b64 v[44:45], v9 offset:15872
	ds_load_b64 v[46:47], v3 offset:16120
	s_wait_dscnt 0x0
	v_pk_mul_f32 v[98:99], v[46:47], v[44:45] op_sel:[1,1] op_sel_hi:[0,1]
	s_delay_alu instid0(VALU_DEP_1) | instskip(SKIP_1) | instid1(VALU_DEP_2)
	v_pk_fma_f32 v[100:101], v[46:47], v[44:45], v[98:99] op_sel_hi:[1,0,1]
	v_pk_fma_f32 v[44:45], v[46:47], v[44:45], v[98:99] neg_lo:[0,0,1] neg_hi:[0,0,1]
	v_mov_b32_e32 v45, v101
	s_delay_alu instid0(VALU_DEP_1)
	v_pk_add_f32 v[42:43], v[42:43], v[44:45]
.LBB62_750:                             ;   in Loop: Header=BB62_3 Depth=1
	s_or_b32 exec_lo, exec_lo, s12
.LBB62_751:                             ;   in Loop: Header=BB62_3 Depth=1
	s_delay_alu instid0(SALU_CYCLE_1)
	s_or_b32 exec_lo, exec_lo, s62
	v_readlane_b32 s60, v106, 1
	s_and_saveexec_b32 s12, s60
; %bb.752:                              ;   in Loop: Header=BB62_3 Depth=1
	v_pk_add_f32 v[44:45], v[42:43], 0 neg_lo:[1,1] neg_hi:[1,1]
	ds_store_b64 v74, v[44:45]
; %bb.753:                              ;   in Loop: Header=BB62_3 Depth=1
	s_or_b32 exec_lo, exec_lo, s12
	v_readlane_b32 s60, v106, 2
	s_wait_loadcnt_dscnt 0x0
	s_barrier_signal -1
	s_barrier_wait -1
	s_and_saveexec_b32 s12, s60
	s_cbranch_execz .LBB62_755
; %bb.754:                              ;   in Loop: Header=BB62_3 Depth=1
	ds_load_b64 v[44:45], v70 offset:7680
	ds_load_b64 v[46:47], v74
	s_wait_dscnt 0x0
	v_pk_mul_f32 v[98:99], v[46:47], v[44:45] op_sel:[1,1] op_sel_hi:[0,1]
	s_delay_alu instid0(VALU_DEP_1) | instskip(SKIP_1) | instid1(VALU_DEP_2)
	v_pk_fma_f32 v[100:101], v[46:47], v[44:45], v[98:99] op_sel_hi:[1,0,1]
	v_pk_fma_f32 v[44:45], v[46:47], v[44:45], v[98:99] neg_lo:[0,0,1] neg_hi:[0,0,1]
	v_mov_b32_e32 v45, v101
	s_delay_alu instid0(VALU_DEP_1)
	v_pk_add_f32 v[42:43], v[42:43], v[44:45] neg_lo:[0,1] neg_hi:[0,1]
.LBB62_755:                             ;   in Loop: Header=BB62_3 Depth=1
	s_or_b32 exec_lo, exec_lo, s12
	v_readlane_b32 s60, v106, 3
	s_barrier_signal -1
	s_barrier_wait -1
	s_and_saveexec_b32 s12, s60
; %bb.756:                              ;   in Loop: Header=BB62_3 Depth=1
	v_pk_add_f32 v[44:45], v[42:43], 0 neg_lo:[1,1] neg_hi:[1,1]
	ds_store_b64 v74, v[44:45]
; %bb.757:                              ;   in Loop: Header=BB62_3 Depth=1
	s_or_b32 exec_lo, exec_lo, s12
	v_readlane_b32 s60, v106, 4
	s_wait_dscnt 0x0
	s_barrier_signal -1
	s_barrier_wait -1
	s_and_saveexec_b32 s12, s60
	s_cbranch_execz .LBB62_759
; %bb.758:                              ;   in Loop: Header=BB62_3 Depth=1
	ds_load_b64 v[44:45], v70 offset:7168
	ds_load_b64 v[46:47], v74
	s_wait_dscnt 0x0
	v_pk_mul_f32 v[98:99], v[46:47], v[44:45] op_sel:[1,1] op_sel_hi:[0,1]
	s_delay_alu instid0(VALU_DEP_1) | instskip(SKIP_1) | instid1(VALU_DEP_2)
	v_pk_fma_f32 v[100:101], v[46:47], v[44:45], v[98:99] op_sel_hi:[1,0,1]
	v_pk_fma_f32 v[44:45], v[46:47], v[44:45], v[98:99] neg_lo:[0,0,1] neg_hi:[0,0,1]
	v_mov_b32_e32 v45, v101
	s_delay_alu instid0(VALU_DEP_1)
	v_pk_add_f32 v[42:43], v[42:43], v[44:45] neg_lo:[0,1] neg_hi:[0,1]
.LBB62_759:                             ;   in Loop: Header=BB62_3 Depth=1
	s_or_b32 exec_lo, exec_lo, s12
	v_readlane_b32 s60, v106, 5
	s_barrier_signal -1
	s_barrier_wait -1
	s_and_saveexec_b32 s12, s60
; %bb.760:                              ;   in Loop: Header=BB62_3 Depth=1
	v_pk_add_f32 v[44:45], v[42:43], 0 neg_lo:[1,1] neg_hi:[1,1]
	ds_store_b64 v74, v[44:45]
; %bb.761:                              ;   in Loop: Header=BB62_3 Depth=1
	s_or_b32 exec_lo, exec_lo, s12
	v_readlane_b32 s60, v106, 6
	s_wait_dscnt 0x0
	s_barrier_signal -1
	s_barrier_wait -1
	s_and_saveexec_b32 s12, s60
	s_cbranch_execz .LBB62_763
; %bb.762:                              ;   in Loop: Header=BB62_3 Depth=1
	ds_load_b64 v[44:45], v70 offset:6656
	ds_load_b64 v[46:47], v74
	s_wait_dscnt 0x0
	v_pk_mul_f32 v[98:99], v[46:47], v[44:45] op_sel:[1,1] op_sel_hi:[0,1]
	s_delay_alu instid0(VALU_DEP_1) | instskip(SKIP_1) | instid1(VALU_DEP_2)
	v_pk_fma_f32 v[100:101], v[46:47], v[44:45], v[98:99] op_sel_hi:[1,0,1]
	v_pk_fma_f32 v[44:45], v[46:47], v[44:45], v[98:99] neg_lo:[0,0,1] neg_hi:[0,0,1]
	v_mov_b32_e32 v45, v101
	s_delay_alu instid0(VALU_DEP_1)
	v_pk_add_f32 v[42:43], v[42:43], v[44:45] neg_lo:[0,1] neg_hi:[0,1]
.LBB62_763:                             ;   in Loop: Header=BB62_3 Depth=1
	s_or_b32 exec_lo, exec_lo, s12
	v_readlane_b32 s60, v106, 7
	s_barrier_signal -1
	s_barrier_wait -1
	s_and_saveexec_b32 s12, s60
; %bb.764:                              ;   in Loop: Header=BB62_3 Depth=1
	v_pk_add_f32 v[44:45], v[42:43], 0 neg_lo:[1,1] neg_hi:[1,1]
	ds_store_b64 v74, v[44:45]
; %bb.765:                              ;   in Loop: Header=BB62_3 Depth=1
	s_or_b32 exec_lo, exec_lo, s12
	s_wait_dscnt 0x0
	s_barrier_signal -1
	s_barrier_wait -1
	s_and_saveexec_b32 s12, s59
	s_cbranch_execz .LBB62_767
; %bb.766:                              ;   in Loop: Header=BB62_3 Depth=1
	ds_load_b64 v[44:45], v70 offset:6144
	ds_load_b64 v[46:47], v74
	s_wait_dscnt 0x0
	v_dual_mul_f32 v2, v47, v45 :: v_dual_mul_f32 v5, v46, v45
	s_delay_alu instid0(VALU_DEP_1) | instskip(NEXT) | instid1(VALU_DEP_1)
	v_dual_fma_f32 v2, v46, v44, -v2 :: v_dual_fmac_f32 v5, v47, v44
	v_dual_sub_f32 v42, v42, v2 :: v_dual_sub_f32 v43, v43, v5
.LBB62_767:                             ;   in Loop: Header=BB62_3 Depth=1
	s_or_b32 exec_lo, exec_lo, s12
	s_barrier_signal -1
	s_barrier_wait -1
	s_and_saveexec_b32 s12, s21
; %bb.768:                              ;   in Loop: Header=BB62_3 Depth=1
	v_pk_add_f32 v[44:45], v[42:43], 0 neg_lo:[1,1] neg_hi:[1,1]
	ds_store_b64 v74, v[44:45]
; %bb.769:                              ;   in Loop: Header=BB62_3 Depth=1
	s_or_b32 exec_lo, exec_lo, s12
	s_wait_dscnt 0x0
	s_barrier_signal -1
	s_barrier_wait -1
	s_and_saveexec_b32 s12, s23
	s_cbranch_execz .LBB62_771
; %bb.770:                              ;   in Loop: Header=BB62_3 Depth=1
	ds_load_b64 v[44:45], v70 offset:5632
	ds_load_b64 v[46:47], v74
	s_wait_dscnt 0x0
	v_dual_mul_f32 v2, v47, v45 :: v_dual_mul_f32 v99, v46, v45
	s_delay_alu instid0(VALU_DEP_1) | instskip(NEXT) | instid1(VALU_DEP_1)
	v_dual_fma_f32 v98, v46, v44, -v2 :: v_dual_fmac_f32 v99, v47, v44
	v_pk_add_f32 v[42:43], v[42:43], v[98:99] neg_lo:[0,1] neg_hi:[0,1]
.LBB62_771:                             ;   in Loop: Header=BB62_3 Depth=1
	s_or_b32 exec_lo, exec_lo, s12
	s_barrier_signal -1
	s_barrier_wait -1
	s_and_saveexec_b32 s12, s25
; %bb.772:                              ;   in Loop: Header=BB62_3 Depth=1
	v_pk_add_f32 v[44:45], v[42:43], 0 neg_lo:[1,1] neg_hi:[1,1]
	ds_store_b64 v74, v[44:45]
; %bb.773:                              ;   in Loop: Header=BB62_3 Depth=1
	s_or_b32 exec_lo, exec_lo, s12
	s_wait_dscnt 0x0
	s_barrier_signal -1
	s_barrier_wait -1
	s_and_saveexec_b32 s12, s27
	s_cbranch_execz .LBB62_775
; %bb.774:                              ;   in Loop: Header=BB62_3 Depth=1
	ds_load_b64 v[44:45], v70 offset:5120
	ds_load_b64 v[46:47], v74
	s_wait_dscnt 0x0
	v_pk_mul_f32 v[98:99], v[46:47], v[44:45] op_sel:[1,1] op_sel_hi:[0,1]
	s_delay_alu instid0(VALU_DEP_1) | instskip(SKIP_1) | instid1(VALU_DEP_2)
	v_pk_fma_f32 v[100:101], v[46:47], v[44:45], v[98:99] op_sel_hi:[1,0,1]
	v_pk_fma_f32 v[44:45], v[46:47], v[44:45], v[98:99] neg_lo:[0,0,1] neg_hi:[0,0,1]
	v_mov_b32_e32 v45, v101
	s_delay_alu instid0(VALU_DEP_1)
	v_pk_add_f32 v[42:43], v[42:43], v[44:45] neg_lo:[0,1] neg_hi:[0,1]
.LBB62_775:                             ;   in Loop: Header=BB62_3 Depth=1
	s_or_b32 exec_lo, exec_lo, s12
	s_barrier_signal -1
	s_barrier_wait -1
	s_and_saveexec_b32 s12, s29
; %bb.776:                              ;   in Loop: Header=BB62_3 Depth=1
	v_pk_add_f32 v[44:45], v[42:43], 0 neg_lo:[1,1] neg_hi:[1,1]
	ds_store_b64 v74, v[44:45]
; %bb.777:                              ;   in Loop: Header=BB62_3 Depth=1
	s_or_b32 exec_lo, exec_lo, s12
	s_wait_dscnt 0x0
	s_barrier_signal -1
	s_barrier_wait -1
	s_and_saveexec_b32 s12, s31
	s_cbranch_execz .LBB62_779
; %bb.778:                              ;   in Loop: Header=BB62_3 Depth=1
	ds_load_b64 v[44:45], v70 offset:4608
	ds_load_b64 v[46:47], v74
	s_wait_dscnt 0x0
	v_pk_mul_f32 v[98:99], v[46:47], v[44:45] op_sel:[1,1] op_sel_hi:[0,1]
	s_delay_alu instid0(VALU_DEP_1) | instskip(SKIP_1) | instid1(VALU_DEP_2)
	v_pk_fma_f32 v[100:101], v[46:47], v[44:45], v[98:99] op_sel_hi:[1,0,1]
	v_pk_fma_f32 v[44:45], v[46:47], v[44:45], v[98:99] neg_lo:[0,0,1] neg_hi:[0,0,1]
	v_mov_b32_e32 v45, v101
	s_delay_alu instid0(VALU_DEP_1)
	v_pk_add_f32 v[42:43], v[42:43], v[44:45] neg_lo:[0,1] neg_hi:[0,1]
.LBB62_779:                             ;   in Loop: Header=BB62_3 Depth=1
	;; [unrolled: 26-line block ×4, first 2 shown]
	s_or_b32 exec_lo, exec_lo, s12
	s_barrier_signal -1
	s_barrier_wait -1
	s_and_saveexec_b32 s12, s81
; %bb.788:                              ;   in Loop: Header=BB62_3 Depth=1
	v_pk_add_f32 v[44:45], v[42:43], 0 neg_lo:[1,1] neg_hi:[1,1]
	ds_store_b64 v74, v[44:45]
; %bb.789:                              ;   in Loop: Header=BB62_3 Depth=1
	s_or_b32 exec_lo, exec_lo, s12
	s_wait_dscnt 0x0
	s_barrier_signal -1
	s_barrier_wait -1
	s_and_saveexec_b32 s12, s70
	s_cbranch_execz .LBB62_791
; %bb.790:                              ;   in Loop: Header=BB62_3 Depth=1
	ds_load_b64 v[44:45], v70 offset:3072
	ds_load_b64 v[46:47], v74
	s_wait_dscnt 0x0
	v_dual_mul_f32 v2, v47, v45 :: v_dual_mul_f32 v5, v46, v45
	s_delay_alu instid0(VALU_DEP_1) | instskip(NEXT) | instid1(VALU_DEP_1)
	v_dual_fma_f32 v2, v46, v44, -v2 :: v_dual_fmac_f32 v5, v47, v44
	v_dual_sub_f32 v42, v42, v2 :: v_dual_sub_f32 v43, v43, v5
.LBB62_791:                             ;   in Loop: Header=BB62_3 Depth=1
	s_or_b32 exec_lo, exec_lo, s12
	s_barrier_signal -1
	s_barrier_wait -1
	s_and_saveexec_b32 s12, s71
; %bb.792:                              ;   in Loop: Header=BB62_3 Depth=1
	v_pk_add_f32 v[44:45], v[42:43], 0 neg_lo:[1,1] neg_hi:[1,1]
	ds_store_b64 v74, v[44:45]
; %bb.793:                              ;   in Loop: Header=BB62_3 Depth=1
	s_or_b32 exec_lo, exec_lo, s12
	s_wait_dscnt 0x0
	s_barrier_signal -1
	s_barrier_wait -1
	s_and_saveexec_b32 s12, s22
	s_cbranch_execz .LBB62_795
; %bb.794:                              ;   in Loop: Header=BB62_3 Depth=1
	ds_load_b64 v[44:45], v70 offset:2560
	ds_load_b64 v[46:47], v74
	s_wait_dscnt 0x0
	v_dual_mul_f32 v2, v47, v45 :: v_dual_mul_f32 v99, v46, v45
	s_delay_alu instid0(VALU_DEP_1) | instskip(NEXT) | instid1(VALU_DEP_1)
	v_dual_fma_f32 v98, v46, v44, -v2 :: v_dual_fmac_f32 v99, v47, v44
	v_pk_add_f32 v[42:43], v[42:43], v[98:99] neg_lo:[0,1] neg_hi:[0,1]
.LBB62_795:                             ;   in Loop: Header=BB62_3 Depth=1
	s_or_b32 exec_lo, exec_lo, s12
	s_barrier_signal -1
	s_barrier_wait -1
	s_and_saveexec_b32 s12, s24
; %bb.796:                              ;   in Loop: Header=BB62_3 Depth=1
	v_pk_add_f32 v[44:45], v[42:43], 0 neg_lo:[1,1] neg_hi:[1,1]
	ds_store_b64 v74, v[44:45]
; %bb.797:                              ;   in Loop: Header=BB62_3 Depth=1
	s_or_b32 exec_lo, exec_lo, s12
	s_wait_dscnt 0x0
	s_barrier_signal -1
	s_barrier_wait -1
	s_and_saveexec_b32 s12, s26
	s_cbranch_execz .LBB62_799
; %bb.798:                              ;   in Loop: Header=BB62_3 Depth=1
	ds_load_b64 v[44:45], v70 offset:2048
	ds_load_b64 v[46:47], v74
	s_wait_dscnt 0x0
	v_pk_mul_f32 v[98:99], v[46:47], v[44:45] op_sel:[1,1] op_sel_hi:[0,1]
	s_delay_alu instid0(VALU_DEP_1) | instskip(SKIP_1) | instid1(VALU_DEP_2)
	v_pk_fma_f32 v[100:101], v[46:47], v[44:45], v[98:99] op_sel_hi:[1,0,1]
	v_pk_fma_f32 v[44:45], v[46:47], v[44:45], v[98:99] neg_lo:[0,0,1] neg_hi:[0,0,1]
	v_mov_b32_e32 v45, v101
	s_delay_alu instid0(VALU_DEP_1)
	v_pk_add_f32 v[42:43], v[42:43], v[44:45] neg_lo:[0,1] neg_hi:[0,1]
.LBB62_799:                             ;   in Loop: Header=BB62_3 Depth=1
	s_or_b32 exec_lo, exec_lo, s12
	s_barrier_signal -1
	s_barrier_wait -1
	s_and_saveexec_b32 s12, s28
; %bb.800:                              ;   in Loop: Header=BB62_3 Depth=1
	v_pk_add_f32 v[44:45], v[42:43], 0 neg_lo:[1,1] neg_hi:[1,1]
	ds_store_b64 v74, v[44:45]
; %bb.801:                              ;   in Loop: Header=BB62_3 Depth=1
	s_or_b32 exec_lo, exec_lo, s12
	s_wait_dscnt 0x0
	s_barrier_signal -1
	s_barrier_wait -1
	s_and_saveexec_b32 s12, s30
	s_cbranch_execz .LBB62_803
; %bb.802:                              ;   in Loop: Header=BB62_3 Depth=1
	ds_load_b64 v[44:45], v70 offset:1536
	ds_load_b64 v[46:47], v74
	s_wait_dscnt 0x0
	v_pk_mul_f32 v[98:99], v[46:47], v[44:45] op_sel:[1,1] op_sel_hi:[0,1]
	s_delay_alu instid0(VALU_DEP_1) | instskip(SKIP_1) | instid1(VALU_DEP_2)
	v_pk_fma_f32 v[100:101], v[46:47], v[44:45], v[98:99] op_sel_hi:[1,0,1]
	v_pk_fma_f32 v[44:45], v[46:47], v[44:45], v[98:99] neg_lo:[0,0,1] neg_hi:[0,0,1]
	v_mov_b32_e32 v45, v101
	s_delay_alu instid0(VALU_DEP_1)
	v_pk_add_f32 v[42:43], v[42:43], v[44:45] neg_lo:[0,1] neg_hi:[0,1]
.LBB62_803:                             ;   in Loop: Header=BB62_3 Depth=1
	;; [unrolled: 26-line block ×4, first 2 shown]
	s_or_b32 exec_lo, exec_lo, s12
	s_barrier_signal -1
	s_barrier_wait -1
	s_and_saveexec_b32 s12, s54
; %bb.812:                              ;   in Loop: Header=BB62_3 Depth=1
	v_pk_add_f32 v[44:45], v[42:43], 0 neg_lo:[1,1] neg_hi:[1,1]
	ds_store_b64 v74, v[44:45]
; %bb.813:                              ;   in Loop: Header=BB62_3 Depth=1
	s_or_b32 exec_lo, exec_lo, s12
	s_wait_dscnt 0x0
	s_barrier_signal -1
	s_barrier_wait -1
	s_barrier_signal -1
	s_barrier_wait -1
	s_and_saveexec_b32 s12, s6
; %bb.814:                              ;   in Loop: Header=BB62_3 Depth=1
	ds_store_b64 v75, v[42:43] offset:15872
; %bb.815:                              ;   in Loop: Header=BB62_3 Depth=1
	s_or_b32 exec_lo, exec_lo, s12
	s_wait_dscnt 0x0
	s_barrier_signal -1
	s_barrier_wait -1
	s_barrier_signal -1
	s_barrier_wait -1
	s_and_saveexec_b32 s62, s56
	s_cbranch_execz .LBB62_817
; %bb.816:                              ;   in Loop: Header=BB62_3 Depth=1
	ds_load_b64 v[42:43], v48 offset:8192
	s_wait_dscnt 0x0
	ds_store_b64 v49, v[42:43] offset:128
	ds_load_b64 v[42:43], v48 offset:8200
	s_wait_dscnt 0x0
	ds_store_b64 v49, v[42:43] offset:640
	ds_load_b64 v[42:43], v48 offset:8208
	s_wait_dscnt 0x0
	ds_store_b64 v49, v[42:43] offset:1152
	ds_load_b64 v[42:43], v48 offset:8216
	s_wait_dscnt 0x0
	ds_store_b64 v49, v[42:43] offset:1664
	ds_load_b64 v[42:43], v48 offset:8224
	s_wait_dscnt 0x0
	ds_store_b64 v49, v[42:43] offset:2176
	ds_load_b64 v[42:43], v48 offset:8232
	s_wait_dscnt 0x0
	ds_store_b64 v49, v[42:43] offset:2688
	ds_load_b64 v[42:43], v48 offset:8240
	s_wait_dscnt 0x0
	ds_store_b64 v49, v[42:43] offset:3200
	ds_load_b64 v[42:43], v48 offset:8248
	s_wait_dscnt 0x0
	ds_store_b64 v49, v[42:43] offset:3712
	ds_load_b64 v[42:43], v48 offset:8256
	s_wait_dscnt 0x0
	ds_store_b64 v49, v[42:43] offset:4224
	ds_load_b64 v[42:43], v48 offset:8264
	s_wait_dscnt 0x0
	ds_store_b64 v49, v[42:43] offset:4736
	ds_load_b64 v[42:43], v48 offset:8272
	s_wait_dscnt 0x0
	ds_store_b64 v49, v[42:43] offset:5248
	ds_load_b64 v[42:43], v48 offset:8280
	s_wait_dscnt 0x0
	ds_store_b64 v49, v[42:43] offset:5760
	ds_load_b64 v[42:43], v48 offset:8288
	s_wait_dscnt 0x0
	ds_store_b64 v49, v[42:43] offset:6272
	ds_load_b64 v[42:43], v48 offset:8296
	s_wait_dscnt 0x0
	ds_store_b64 v49, v[42:43] offset:6784
	ds_load_b64 v[42:43], v48 offset:8304
	s_wait_dscnt 0x0
	ds_store_b64 v49, v[42:43] offset:7296
	ds_load_b64 v[42:43], v48 offset:8312
	s_wait_dscnt 0x0
	ds_store_b64 v49, v[42:43] offset:7808
.LBB62_817:                             ;   in Loop: Header=BB62_3 Depth=1
	s_or_b32 exec_lo, exec_lo, s62
	s_wait_dscnt 0x0
	s_barrier_signal -1
	s_barrier_wait -1
	s_and_saveexec_b32 s12, s11
	s_cbranch_execz .LBB62_819
; %bb.818:                              ;   in Loop: Header=BB62_3 Depth=1
	ds_load_b64 v[42:43], v3 offset:7792
	v_add_nc_u32_e64 v2, 0x1800, 0
	ds_store_b64 v3, v[38:39] offset:7800
	s_wait_dscnt 0x1
	ds_store_2addr_b64 v2, v[38:39], v[42:43] offset0:142 offset1:143
.LBB62_819:                             ;   in Loop: Header=BB62_3 Depth=1
	s_or_b32 exec_lo, exec_lo, s12
	v_dual_mov_b32 v42, 0 :: v_dual_mov_b32 v43, 0
	s_wait_dscnt 0x0
	s_barrier_signal -1
	s_barrier_wait -1
	global_wb scope:SCOPE_DEV
	s_wait_storecnt 0x0
	global_inv scope:SCOPE_DEV
	s_and_saveexec_b32 s62, s2
	s_cbranch_execz .LBB62_823
; %bb.820:                              ;   in Loop: Header=BB62_3 Depth=1
	ds_load_b64 v[42:43], v64 offset:7264
	ds_load_b64 v[44:45], v54 offset:7792
	s_wait_dscnt 0x0
	v_pk_mul_f32 v[46:47], v[44:45], v[42:43] op_sel:[1,1] op_sel_hi:[0,1]
	s_delay_alu instid0(VALU_DEP_1) | instskip(SKIP_1) | instid1(VALU_DEP_2)
	v_pk_fma_f32 v[98:99], v[44:45], v[42:43], v[46:47] op_sel_hi:[1,0,1]
	v_pk_fma_f32 v[42:43], v[44:45], v[42:43], v[46:47] neg_lo:[0,0,1] neg_hi:[0,0,1]
	v_mov_b32_e32 v43, v99
	s_delay_alu instid0(VALU_DEP_1)
	v_pk_add_f32 v[42:43], v[42:43], 0 op_sel_hi:[1,0]
	s_and_saveexec_b32 s12, s13
	s_cbranch_execz .LBB62_822
; %bb.821:                              ;   in Loop: Header=BB62_3 Depth=1
	ds_load_b64 v[44:45], v9 offset:7776
	ds_load_b64 v[46:47], v3 offset:7800
	s_wait_dscnt 0x0
	v_pk_mul_f32 v[98:99], v[46:47], v[44:45] op_sel:[1,1] op_sel_hi:[0,1]
	s_delay_alu instid0(VALU_DEP_1) | instskip(SKIP_1) | instid1(VALU_DEP_2)
	v_pk_fma_f32 v[100:101], v[46:47], v[44:45], v[98:99] op_sel_hi:[1,0,1]
	v_pk_fma_f32 v[44:45], v[46:47], v[44:45], v[98:99] neg_lo:[0,0,1] neg_hi:[0,0,1]
	v_mov_b32_e32 v45, v101
	s_delay_alu instid0(VALU_DEP_1)
	v_pk_add_f32 v[42:43], v[42:43], v[44:45]
.LBB62_822:                             ;   in Loop: Header=BB62_3 Depth=1
	s_or_b32 exec_lo, exec_lo, s12
.LBB62_823:                             ;   in Loop: Header=BB62_3 Depth=1
	s_delay_alu instid0(SALU_CYCLE_1)
	s_or_b32 exec_lo, exec_lo, s62
	s_and_saveexec_b32 s12, s94
; %bb.824:                              ;   in Loop: Header=BB62_3 Depth=1
	s_delay_alu instid0(VALU_DEP_1)
	v_pk_add_f32 v[44:45], v[42:43], 0 neg_lo:[1,1] neg_hi:[1,1]
	ds_store_b64 v65, v[44:45]
; %bb.825:                              ;   in Loop: Header=BB62_3 Depth=1
	s_or_b32 exec_lo, exec_lo, s12
	s_wait_loadcnt_dscnt 0x0
	s_barrier_signal -1
	s_barrier_wait -1
	s_and_saveexec_b32 s12, s95
	s_cbranch_execz .LBB62_827
; %bb.826:                              ;   in Loop: Header=BB62_3 Depth=1
	ds_load_b64 v[44:45], v3 offset:6752
	ds_load_b64 v[46:47], v65
	s_wait_dscnt 0x0
	v_pk_mul_f32 v[98:99], v[46:47], v[44:45] op_sel_hi:[1,0]
	s_delay_alu instid0(VALU_DEP_1) | instskip(SKIP_1) | instid1(VALU_DEP_2)
	v_pk_fma_f32 v[100:101], v[46:47], v[44:45], v[98:99] op_sel:[1,1,0] op_sel_hi:[0,1,1]
	v_pk_fma_f32 v[44:45], v[46:47], v[44:45], v[98:99] op_sel:[1,1,0] op_sel_hi:[0,1,1] neg_lo:[0,0,1] neg_hi:[0,0,1]
	v_pk_add_f32 v[46:47], v[42:43], v[100:101] neg_lo:[0,1] neg_hi:[0,1]
	s_delay_alu instid0(VALU_DEP_2) | instskip(NEXT) | instid1(VALU_DEP_2)
	v_pk_add_f32 v[42:43], v[42:43], v[44:45]
	v_mov_b32_e32 v43, v47
.LBB62_827:                             ;   in Loop: Header=BB62_3 Depth=1
	s_or_b32 exec_lo, exec_lo, s12
	s_barrier_signal -1
	s_barrier_wait -1
	s_and_saveexec_b32 s12, s95
; %bb.828:                              ;   in Loop: Header=BB62_3 Depth=1
	v_pk_add_f32 v[44:45], v[42:43], 0 neg_lo:[1,1] neg_hi:[1,1]
	ds_store_b64 v65, v[44:45]
; %bb.829:                              ;   in Loop: Header=BB62_3 Depth=1
	s_or_b32 exec_lo, exec_lo, s12
	s_wait_dscnt 0x0
	s_barrier_signal -1
	s_barrier_wait -1
	s_barrier_signal -1
	s_barrier_wait -1
	s_and_saveexec_b32 s12, s2
; %bb.830:                              ;   in Loop: Header=BB62_3 Depth=1
	ds_store_b64 v67, v[42:43] offset:7776
; %bb.831:                              ;   in Loop: Header=BB62_3 Depth=1
	s_or_b32 exec_lo, exec_lo, s12
	s_wait_dscnt 0x0
	s_barrier_signal -1
	s_barrier_wait -1
	s_barrier_signal -1
	s_barrier_wait -1
	s_and_saveexec_b32 s12, s96
	s_cbranch_execz .LBB62_833
; %bb.832:                              ;   in Loop: Header=BB62_3 Depth=1
	ds_load_b64 v[42:43], v48 offset:7264
	s_wait_dscnt 0x0
	ds_store_b64 v9, v[42:43] offset:6256
	ds_load_b64 v[42:43], v48 offset:7272
	s_wait_dscnt 0x0
	ds_store_b64 v9, v[42:43] offset:6768
.LBB62_833:                             ;   in Loop: Header=BB62_3 Depth=1
	s_or_b32 exec_lo, exec_lo, s12
	s_wait_dscnt 0x0
	s_barrier_signal -1
	s_barrier_wait -1
	s_and_saveexec_b32 s12, s11
	s_cbranch_execz .LBB62_835
; %bb.834:                              ;   in Loop: Header=BB62_3 Depth=1
	ds_load_b64 v[42:43], v3 offset:6752
	v_add_nc_u32_e64 v2, 0x1800, 0
	ds_store_b64 v3, v[38:39] offset:6760
	s_wait_dscnt 0x1
	ds_store_2addr_b64 v2, v[38:39], v[42:43] offset0:12 offset1:13
.LBB62_835:                             ;   in Loop: Header=BB62_3 Depth=1
	s_or_b32 exec_lo, exec_lo, s12
	v_mov_b64_e32 v[42:43], 0
	s_wait_dscnt 0x0
	s_barrier_signal -1
	s_barrier_wait -1
	global_wb scope:SCOPE_DEV
	s_wait_storecnt 0x0
	global_inv scope:SCOPE_DEV
	s_and_saveexec_b32 s62, s4
	s_cbranch_execz .LBB62_841
; %bb.836:                              ;   in Loop: Header=BB62_3 Depth=1
	ds_load_b64 v[42:43], v66 offset:6208
	ds_load_b64 v[44:45], v55 offset:7776
	s_wait_dscnt 0x0
	v_dual_mul_f32 v2, v45, v43 :: v_dual_mul_f32 v5, v44, v43
	s_delay_alu instid0(VALU_DEP_1) | instskip(NEXT) | instid1(VALU_DEP_1)
	v_dual_fma_f32 v2, v44, v42, -v2 :: v_dual_fmac_f32 v5, v45, v42
	v_dual_add_f32 v42, 0, v2 :: v_dual_add_f32 v43, 0, v5
	s_and_saveexec_b32 s12, s14
	s_cbranch_execnz .LBB62_1102
; %bb.837:                              ;   in Loop: Header=BB62_3 Depth=1
	s_or_b32 exec_lo, exec_lo, s12
	s_and_saveexec_b32 s12, s15
	s_cbranch_execnz .LBB62_1103
.LBB62_838:                             ;   in Loop: Header=BB62_3 Depth=1
	s_or_b32 exec_lo, exec_lo, s12
	s_and_saveexec_b32 s12, s2
	s_cbranch_execz .LBB62_840
.LBB62_839:                             ;   in Loop: Header=BB62_3 Depth=1
	ds_load_b64 v[44:45], v49 offset:7744
	ds_load_b64 v[46:47], v3 offset:7800
	s_wait_dscnt 0x0
	v_pk_mul_f32 v[98:99], v[46:47], v[44:45] op_sel:[1,1] op_sel_hi:[0,1]
	s_delay_alu instid0(VALU_DEP_1) | instskip(SKIP_1) | instid1(VALU_DEP_2)
	v_pk_fma_f32 v[100:101], v[46:47], v[44:45], v[98:99] op_sel_hi:[1,0,1]
	v_pk_fma_f32 v[44:45], v[46:47], v[44:45], v[98:99] neg_lo:[0,0,1] neg_hi:[0,0,1]
	v_mov_b32_e32 v45, v101
	s_delay_alu instid0(VALU_DEP_1)
	v_pk_add_f32 v[42:43], v[42:43], v[44:45]
.LBB62_840:                             ;   in Loop: Header=BB62_3 Depth=1
	s_or_b32 exec_lo, exec_lo, s12
.LBB62_841:                             ;   in Loop: Header=BB62_3 Depth=1
	s_delay_alu instid0(SALU_CYCLE_1)
	s_or_b32 exec_lo, exec_lo, s62
	s_and_saveexec_b32 s12, s97
; %bb.842:                              ;   in Loop: Header=BB62_3 Depth=1
	s_delay_alu instid0(VALU_DEP_1)
	v_pk_add_f32 v[44:45], v[42:43], 0 neg_lo:[1,1] neg_hi:[1,1]
	ds_store_b64 v69, v[44:45]
; %bb.843:                              ;   in Loop: Header=BB62_3 Depth=1
	s_or_b32 exec_lo, exec_lo, s12
	s_wait_loadcnt_dscnt 0x0
	s_barrier_signal -1
	s_barrier_wait -1
	s_and_saveexec_b32 s12, s98
	s_cbranch_execz .LBB62_845
; %bb.844:                              ;   in Loop: Header=BB62_3 Depth=1
	ds_load_b64 v[44:45], v66 offset:5696
	ds_load_b64 v[46:47], v69
	s_wait_dscnt 0x0
	v_pk_mul_f32 v[98:99], v[46:47], v[44:45] op_sel:[1,1] op_sel_hi:[0,1]
	s_delay_alu instid0(VALU_DEP_1) | instskip(SKIP_1) | instid1(VALU_DEP_2)
	v_pk_fma_f32 v[100:101], v[46:47], v[44:45], v[98:99] op_sel_hi:[1,0,1]
	v_pk_fma_f32 v[44:45], v[46:47], v[44:45], v[98:99] neg_lo:[0,0,1] neg_hi:[0,0,1]
	v_mov_b32_e32 v45, v101
	s_delay_alu instid0(VALU_DEP_1)
	v_pk_add_f32 v[42:43], v[42:43], v[44:45] neg_lo:[0,1] neg_hi:[0,1]
.LBB62_845:                             ;   in Loop: Header=BB62_3 Depth=1
	s_or_b32 exec_lo, exec_lo, s12
	s_barrier_signal -1
	s_barrier_wait -1
	s_and_saveexec_b32 s12, s99
; %bb.846:                              ;   in Loop: Header=BB62_3 Depth=1
	v_pk_add_f32 v[44:45], v[42:43], 0 neg_lo:[1,1] neg_hi:[1,1]
	ds_store_b64 v69, v[44:45]
; %bb.847:                              ;   in Loop: Header=BB62_3 Depth=1
	s_or_b32 exec_lo, exec_lo, s12
	s_wait_dscnt 0x0
	s_barrier_signal -1
	s_barrier_wait -1
	s_and_saveexec_b32 s12, s100
	s_cbranch_execz .LBB62_849
; %bb.848:                              ;   in Loop: Header=BB62_3 Depth=1
	ds_load_b64 v[44:45], v66 offset:5184
	ds_load_b64 v[46:47], v69
	s_wait_dscnt 0x0
	v_pk_mul_f32 v[98:99], v[46:47], v[44:45] op_sel:[1,1] op_sel_hi:[0,1]
	s_delay_alu instid0(VALU_DEP_1) | instskip(SKIP_1) | instid1(VALU_DEP_2)
	v_pk_fma_f32 v[100:101], v[46:47], v[44:45], v[98:99] op_sel_hi:[1,0,1]
	v_pk_fma_f32 v[44:45], v[46:47], v[44:45], v[98:99] neg_lo:[0,0,1] neg_hi:[0,0,1]
	v_mov_b32_e32 v45, v101
	s_delay_alu instid0(VALU_DEP_1)
	v_pk_add_f32 v[42:43], v[42:43], v[44:45] neg_lo:[0,1] neg_hi:[0,1]
.LBB62_849:                             ;   in Loop: Header=BB62_3 Depth=1
	s_or_b32 exec_lo, exec_lo, s12
	s_barrier_signal -1
	s_barrier_wait -1
	s_and_saveexec_b32 s12, s101
; %bb.850:                              ;   in Loop: Header=BB62_3 Depth=1
	v_pk_add_f32 v[44:45], v[42:43], 0 neg_lo:[1,1] neg_hi:[1,1]
	ds_store_b64 v69, v[44:45]
; %bb.851:                              ;   in Loop: Header=BB62_3 Depth=1
	s_or_b32 exec_lo, exec_lo, s12
	s_wait_dscnt 0x0
	;; [unrolled: 26-line block ×3, first 2 shown]
	s_barrier_signal -1
	s_barrier_wait -1
	s_barrier_signal -1
	s_barrier_wait -1
	s_and_saveexec_b32 s12, s4
; %bb.856:                              ;   in Loop: Header=BB62_3 Depth=1
	ds_store_b64 v71, v[42:43] offset:7744
; %bb.857:                              ;   in Loop: Header=BB62_3 Depth=1
	s_or_b32 exec_lo, exec_lo, s12
	s_wait_dscnt 0x0
	s_barrier_signal -1
	s_barrier_wait -1
	s_barrier_signal -1
	s_barrier_wait -1
	s_and_saveexec_b32 s12, s103
	s_cbranch_execz .LBB62_859
; %bb.858:                              ;   in Loop: Header=BB62_3 Depth=1
	ds_load_b64 v[42:43], v50 offset:6208
	s_wait_dscnt 0x0
	ds_store_b64 v51, v[42:43] offset:4192
	ds_load_b64 v[42:43], v50 offset:6216
	s_wait_dscnt 0x0
	ds_store_b64 v51, v[42:43] offset:4704
	;; [unrolled: 3-line block ×4, first 2 shown]
.LBB62_859:                             ;   in Loop: Header=BB62_3 Depth=1
	s_or_b32 exec_lo, exec_lo, s12
	s_wait_dscnt 0x0
	s_barrier_signal -1
	s_barrier_wait -1
	s_and_saveexec_b32 s12, s11
	s_cbranch_execz .LBB62_861
; %bb.860:                              ;   in Loop: Header=BB62_3 Depth=1
	ds_load_b64 v[42:43], v3 offset:5712
	v_add_nc_u32_e64 v2, 0x1000, 0
	ds_store_b64 v3, v[38:39] offset:5720
	s_wait_dscnt 0x1
	ds_store_2addr_b64 v2, v[38:39], v[42:43] offset0:138 offset1:139
.LBB62_861:                             ;   in Loop: Header=BB62_3 Depth=1
	s_or_b32 exec_lo, exec_lo, s12
	v_dual_mov_b32 v42, 0 :: v_dual_mov_b32 v43, 0
	s_wait_dscnt 0x0
	s_barrier_signal -1
	s_barrier_wait -1
	global_wb scope:SCOPE_DEV
	s_wait_storecnt 0x0
	global_inv scope:SCOPE_DEV
	s_and_saveexec_b32 s62, s2
	s_cbranch_execz .LBB62_865
; %bb.862:                              ;   in Loop: Header=BB62_3 Depth=1
	ds_load_b64 v[42:43], v64 offset:5184
	ds_load_b64 v[44:45], v54 offset:5712
	s_wait_dscnt 0x0
	v_pk_mul_f32 v[46:47], v[44:45], v[42:43] op_sel:[1,1] op_sel_hi:[0,1]
	s_delay_alu instid0(VALU_DEP_1) | instskip(SKIP_1) | instid1(VALU_DEP_2)
	v_pk_fma_f32 v[98:99], v[44:45], v[42:43], v[46:47] op_sel_hi:[1,0,1]
	v_pk_fma_f32 v[42:43], v[44:45], v[42:43], v[46:47] neg_lo:[0,0,1] neg_hi:[0,0,1]
	v_mov_b32_e32 v43, v99
	s_delay_alu instid0(VALU_DEP_1)
	v_pk_add_f32 v[42:43], v[42:43], 0 op_sel_hi:[1,0]
	s_and_saveexec_b32 s12, s13
	s_cbranch_execz .LBB62_864
; %bb.863:                              ;   in Loop: Header=BB62_3 Depth=1
	ds_load_b64 v[44:45], v51 offset:5696
	ds_load_b64 v[46:47], v3 offset:5720
	s_wait_dscnt 0x0
	v_pk_mul_f32 v[98:99], v[46:47], v[44:45] op_sel:[1,1] op_sel_hi:[0,1]
	s_delay_alu instid0(VALU_DEP_1) | instskip(SKIP_1) | instid1(VALU_DEP_2)
	v_pk_fma_f32 v[100:101], v[46:47], v[44:45], v[98:99] op_sel_hi:[1,0,1]
	v_pk_fma_f32 v[44:45], v[46:47], v[44:45], v[98:99] neg_lo:[0,0,1] neg_hi:[0,0,1]
	v_mov_b32_e32 v45, v101
	s_delay_alu instid0(VALU_DEP_1)
	v_pk_add_f32 v[42:43], v[42:43], v[44:45]
.LBB62_864:                             ;   in Loop: Header=BB62_3 Depth=1
	s_or_b32 exec_lo, exec_lo, s12
.LBB62_865:                             ;   in Loop: Header=BB62_3 Depth=1
	s_delay_alu instid0(SALU_CYCLE_1)
	s_or_b32 exec_lo, exec_lo, s62
	s_and_saveexec_b32 s12, s94
; %bb.866:                              ;   in Loop: Header=BB62_3 Depth=1
	s_delay_alu instid0(VALU_DEP_1)
	v_pk_add_f32 v[44:45], v[42:43], 0 neg_lo:[1,1] neg_hi:[1,1]
	ds_store_b64 v65, v[44:45]
; %bb.867:                              ;   in Loop: Header=BB62_3 Depth=1
	s_or_b32 exec_lo, exec_lo, s12
	s_wait_loadcnt_dscnt 0x0
	s_barrier_signal -1
	s_barrier_wait -1
	s_and_saveexec_b32 s12, s95
	s_cbranch_execz .LBB62_869
; %bb.868:                              ;   in Loop: Header=BB62_3 Depth=1
	ds_load_b64 v[44:45], v3 offset:4672
	ds_load_b64 v[46:47], v65
	s_wait_dscnt 0x0
	v_pk_mul_f32 v[98:99], v[46:47], v[44:45] op_sel_hi:[1,0]
	s_delay_alu instid0(VALU_DEP_1) | instskip(SKIP_1) | instid1(VALU_DEP_2)
	v_pk_fma_f32 v[100:101], v[46:47], v[44:45], v[98:99] op_sel:[1,1,0] op_sel_hi:[0,1,1]
	v_pk_fma_f32 v[44:45], v[46:47], v[44:45], v[98:99] op_sel:[1,1,0] op_sel_hi:[0,1,1] neg_lo:[0,0,1] neg_hi:[0,0,1]
	v_pk_add_f32 v[46:47], v[42:43], v[100:101] neg_lo:[0,1] neg_hi:[0,1]
	s_delay_alu instid0(VALU_DEP_2) | instskip(NEXT) | instid1(VALU_DEP_2)
	v_pk_add_f32 v[42:43], v[42:43], v[44:45]
	v_mov_b32_e32 v43, v47
.LBB62_869:                             ;   in Loop: Header=BB62_3 Depth=1
	s_or_b32 exec_lo, exec_lo, s12
	s_barrier_signal -1
	s_barrier_wait -1
	s_and_saveexec_b32 s12, s95
; %bb.870:                              ;   in Loop: Header=BB62_3 Depth=1
	v_pk_add_f32 v[44:45], v[42:43], 0 neg_lo:[1,1] neg_hi:[1,1]
	ds_store_b64 v65, v[44:45]
; %bb.871:                              ;   in Loop: Header=BB62_3 Depth=1
	s_or_b32 exec_lo, exec_lo, s12
	s_wait_dscnt 0x0
	s_barrier_signal -1
	s_barrier_wait -1
	s_barrier_signal -1
	s_barrier_wait -1
	s_and_saveexec_b32 s12, s2
; %bb.872:                              ;   in Loop: Header=BB62_3 Depth=1
	ds_store_b64 v67, v[42:43] offset:5696
; %bb.873:                              ;   in Loop: Header=BB62_3 Depth=1
	s_or_b32 exec_lo, exec_lo, s12
	s_wait_dscnt 0x0
	s_barrier_signal -1
	s_barrier_wait -1
	s_barrier_signal -1
	s_barrier_wait -1
	s_and_saveexec_b32 s12, s96
	s_cbranch_execz .LBB62_875
; %bb.874:                              ;   in Loop: Header=BB62_3 Depth=1
	ds_load_b64 v[42:43], v52 offset:5184
	s_wait_dscnt 0x0
	ds_store_b64 v51, v[42:43] offset:4176
	ds_load_b64 v[42:43], v52 offset:5192
	s_wait_dscnt 0x0
	ds_store_b64 v51, v[42:43] offset:4688
.LBB62_875:                             ;   in Loop: Header=BB62_3 Depth=1
	s_or_b32 exec_lo, exec_lo, s12
	s_wait_dscnt 0x0
	s_barrier_signal -1
	s_barrier_wait -1
	s_and_saveexec_b32 s12, s11
	s_cbranch_execz .LBB62_877
; %bb.876:                              ;   in Loop: Header=BB62_3 Depth=1
	ds_load_b64 v[42:43], v3 offset:4672
	v_add_nc_u32_e64 v2, 0x1000, 0
	ds_store_b64 v3, v[38:39] offset:4680
	s_wait_dscnt 0x1
	ds_store_2addr_b64 v2, v[38:39], v[42:43] offset0:8 offset1:9
.LBB62_877:                             ;   in Loop: Header=BB62_3 Depth=1
	s_or_b32 exec_lo, exec_lo, s12
	v_mov_b64_e32 v[42:43], 0
	s_wait_dscnt 0x0
	s_barrier_signal -1
	s_barrier_wait -1
	global_wb scope:SCOPE_DEV
	s_wait_storecnt 0x0
	global_inv scope:SCOPE_DEV
	s_and_saveexec_b32 s62, s5
	s_cbranch_execz .LBB62_887
; %bb.878:                              ;   in Loop: Header=BB62_3 Depth=1
	ds_load_b64 v[42:43], v68 offset:4096
	ds_load_b64 v[44:45], v59 offset:7744
	s_wait_dscnt 0x0
	v_dual_mul_f32 v2, v45, v43 :: v_dual_mul_f32 v5, v44, v43
	s_delay_alu instid0(VALU_DEP_1) | instskip(NEXT) | instid1(VALU_DEP_1)
	v_dual_fma_f32 v2, v44, v42, -v2 :: v_dual_fmac_f32 v5, v45, v42
	v_dual_add_f32 v42, 0, v2 :: v_dual_add_f32 v43, 0, v5
	s_and_saveexec_b32 s12, s16
	s_cbranch_execnz .LBB62_1104
; %bb.879:                              ;   in Loop: Header=BB62_3 Depth=1
	s_or_b32 exec_lo, exec_lo, s12
	s_and_saveexec_b32 s12, s17
	s_cbranch_execnz .LBB62_1105
.LBB62_880:                             ;   in Loop: Header=BB62_3 Depth=1
	s_or_b32 exec_lo, exec_lo, s12
	s_and_saveexec_b32 s12, s18
	s_cbranch_execnz .LBB62_1106
.LBB62_881:                             ;   in Loop: Header=BB62_3 Depth=1
	s_or_b32 exec_lo, exec_lo, s12
	s_and_saveexec_b32 s12, s19
	s_cbranch_execnz .LBB62_1107
.LBB62_882:                             ;   in Loop: Header=BB62_3 Depth=1
	s_or_b32 exec_lo, exec_lo, s12
	s_and_saveexec_b32 s12, s20
	s_cbranch_execnz .LBB62_1108
.LBB62_883:                             ;   in Loop: Header=BB62_3 Depth=1
	s_or_b32 exec_lo, exec_lo, s12
	s_and_saveexec_b32 s12, s4
	s_cbranch_execnz .LBB62_1109
.LBB62_884:                             ;   in Loop: Header=BB62_3 Depth=1
	s_or_b32 exec_lo, exec_lo, s12
	s_and_saveexec_b32 s12, s15
	s_cbranch_execz .LBB62_886
.LBB62_885:                             ;   in Loop: Header=BB62_3 Depth=1
	ds_load_b64 v[44:45], v53 offset:7680
	ds_load_b64 v[46:47], v3 offset:7800
	s_wait_dscnt 0x0
	v_pk_mul_f32 v[98:99], v[46:47], v[44:45] op_sel:[1,1] op_sel_hi:[0,1]
	s_delay_alu instid0(VALU_DEP_1) | instskip(SKIP_1) | instid1(VALU_DEP_2)
	v_pk_fma_f32 v[100:101], v[46:47], v[44:45], v[98:99] op_sel_hi:[1,0,1]
	v_pk_fma_f32 v[44:45], v[46:47], v[44:45], v[98:99] neg_lo:[0,0,1] neg_hi:[0,0,1]
	v_mov_b32_e32 v45, v101
	s_delay_alu instid0(VALU_DEP_1)
	v_pk_add_f32 v[42:43], v[42:43], v[44:45]
.LBB62_886:                             ;   in Loop: Header=BB62_3 Depth=1
	s_or_b32 exec_lo, exec_lo, s12
.LBB62_887:                             ;   in Loop: Header=BB62_3 Depth=1
	s_delay_alu instid0(SALU_CYCLE_1)
	s_or_b32 exec_lo, exec_lo, s62
	s_and_saveexec_b32 s12, s104
; %bb.888:                              ;   in Loop: Header=BB62_3 Depth=1
	s_delay_alu instid0(VALU_DEP_1)
	v_pk_add_f32 v[44:45], v[42:43], 0 neg_lo:[1,1] neg_hi:[1,1]
	ds_store_b64 v72, v[44:45]
; %bb.889:                              ;   in Loop: Header=BB62_3 Depth=1
	s_or_b32 exec_lo, exec_lo, s12
	s_wait_loadcnt_dscnt 0x0
	s_barrier_signal -1
	s_barrier_wait -1
	s_and_saveexec_b32 s12, vcc_hi
	s_cbranch_execz .LBB62_891
; %bb.890:                              ;   in Loop: Header=BB62_3 Depth=1
	ds_load_b64 v[44:45], v68 offset:3584
	ds_load_b64 v[46:47], v72
	s_wait_dscnt 0x0
	v_pk_mul_f32 v[98:99], v[46:47], v[44:45] op_sel:[1,1] op_sel_hi:[0,1]
	s_delay_alu instid0(VALU_DEP_1) | instskip(SKIP_1) | instid1(VALU_DEP_2)
	v_pk_fma_f32 v[100:101], v[46:47], v[44:45], v[98:99] op_sel_hi:[1,0,1]
	v_pk_fma_f32 v[44:45], v[46:47], v[44:45], v[98:99] neg_lo:[0,0,1] neg_hi:[0,0,1]
	v_mov_b32_e32 v45, v101
	s_delay_alu instid0(VALU_DEP_1)
	v_pk_add_f32 v[42:43], v[42:43], v[44:45] neg_lo:[0,1] neg_hi:[0,1]
.LBB62_891:                             ;   in Loop: Header=BB62_3 Depth=1
	s_or_b32 exec_lo, exec_lo, s12
	s_barrier_signal -1
	s_barrier_wait -1
	s_and_saveexec_b32 s12, s39
; %bb.892:                              ;   in Loop: Header=BB62_3 Depth=1
	v_pk_add_f32 v[44:45], v[42:43], 0 neg_lo:[1,1] neg_hi:[1,1]
	ds_store_b64 v72, v[44:45]
; %bb.893:                              ;   in Loop: Header=BB62_3 Depth=1
	s_or_b32 exec_lo, exec_lo, s12
	s_wait_dscnt 0x0
	s_barrier_signal -1
	s_barrier_wait -1
	s_and_saveexec_b32 s12, s40
	s_cbranch_execz .LBB62_895
; %bb.894:                              ;   in Loop: Header=BB62_3 Depth=1
	ds_load_b64 v[44:45], v68 offset:3072
	ds_load_b64 v[46:47], v72
	s_wait_dscnt 0x0
	v_dual_mul_f32 v2, v47, v45 :: v_dual_mul_f32 v5, v46, v45
	s_delay_alu instid0(VALU_DEP_1) | instskip(NEXT) | instid1(VALU_DEP_1)
	v_dual_fma_f32 v2, v46, v44, -v2 :: v_dual_fmac_f32 v5, v47, v44
	v_dual_sub_f32 v42, v42, v2 :: v_dual_sub_f32 v43, v43, v5
.LBB62_895:                             ;   in Loop: Header=BB62_3 Depth=1
	s_or_b32 exec_lo, exec_lo, s12
	s_barrier_signal -1
	s_barrier_wait -1
	s_and_saveexec_b32 s12, s41
; %bb.896:                              ;   in Loop: Header=BB62_3 Depth=1
	v_pk_add_f32 v[44:45], v[42:43], 0 neg_lo:[1,1] neg_hi:[1,1]
	ds_store_b64 v72, v[44:45]
; %bb.897:                              ;   in Loop: Header=BB62_3 Depth=1
	s_or_b32 exec_lo, exec_lo, s12
	s_wait_dscnt 0x0
	s_barrier_signal -1
	s_barrier_wait -1
	s_and_saveexec_b32 s12, s42
	s_cbranch_execz .LBB62_899
; %bb.898:                              ;   in Loop: Header=BB62_3 Depth=1
	ds_load_b64 v[44:45], v68 offset:2560
	ds_load_b64 v[46:47], v72
	s_wait_dscnt 0x0
	v_dual_mul_f32 v2, v47, v45 :: v_dual_mul_f32 v99, v46, v45
	s_delay_alu instid0(VALU_DEP_1) | instskip(NEXT) | instid1(VALU_DEP_1)
	v_dual_fma_f32 v98, v46, v44, -v2 :: v_dual_fmac_f32 v99, v47, v44
	v_pk_add_f32 v[42:43], v[42:43], v[98:99] neg_lo:[0,1] neg_hi:[0,1]
.LBB62_899:                             ;   in Loop: Header=BB62_3 Depth=1
	s_or_b32 exec_lo, exec_lo, s12
	s_barrier_signal -1
	s_barrier_wait -1
	s_and_saveexec_b32 s12, s43
; %bb.900:                              ;   in Loop: Header=BB62_3 Depth=1
	v_pk_add_f32 v[44:45], v[42:43], 0 neg_lo:[1,1] neg_hi:[1,1]
	ds_store_b64 v72, v[44:45]
; %bb.901:                              ;   in Loop: Header=BB62_3 Depth=1
	s_or_b32 exec_lo, exec_lo, s12
	s_wait_dscnt 0x0
	s_barrier_signal -1
	s_barrier_wait -1
	s_and_saveexec_b32 s12, s44
	s_cbranch_execz .LBB62_903
; %bb.902:                              ;   in Loop: Header=BB62_3 Depth=1
	ds_load_b64 v[44:45], v68 offset:2048
	ds_load_b64 v[46:47], v72
	s_wait_dscnt 0x0
	v_pk_mul_f32 v[98:99], v[46:47], v[44:45] op_sel:[1,1] op_sel_hi:[0,1]
	s_delay_alu instid0(VALU_DEP_1) | instskip(SKIP_1) | instid1(VALU_DEP_2)
	v_pk_fma_f32 v[100:101], v[46:47], v[44:45], v[98:99] op_sel_hi:[1,0,1]
	v_pk_fma_f32 v[44:45], v[46:47], v[44:45], v[98:99] neg_lo:[0,0,1] neg_hi:[0,0,1]
	v_mov_b32_e32 v45, v101
	s_delay_alu instid0(VALU_DEP_1)
	v_pk_add_f32 v[42:43], v[42:43], v[44:45] neg_lo:[0,1] neg_hi:[0,1]
.LBB62_903:                             ;   in Loop: Header=BB62_3 Depth=1
	s_or_b32 exec_lo, exec_lo, s12
	s_barrier_signal -1
	s_barrier_wait -1
	s_and_saveexec_b32 s12, s45
; %bb.904:                              ;   in Loop: Header=BB62_3 Depth=1
	v_pk_add_f32 v[44:45], v[42:43], 0 neg_lo:[1,1] neg_hi:[1,1]
	ds_store_b64 v72, v[44:45]
; %bb.905:                              ;   in Loop: Header=BB62_3 Depth=1
	s_or_b32 exec_lo, exec_lo, s12
	s_wait_dscnt 0x0
	s_barrier_signal -1
	s_barrier_wait -1
	s_and_saveexec_b32 s12, s46
	s_cbranch_execz .LBB62_907
; %bb.906:                              ;   in Loop: Header=BB62_3 Depth=1
	ds_load_b64 v[44:45], v68 offset:1536
	ds_load_b64 v[46:47], v72
	s_wait_dscnt 0x0
	v_pk_mul_f32 v[98:99], v[46:47], v[44:45] op_sel:[1,1] op_sel_hi:[0,1]
	s_delay_alu instid0(VALU_DEP_1) | instskip(SKIP_1) | instid1(VALU_DEP_2)
	v_pk_fma_f32 v[100:101], v[46:47], v[44:45], v[98:99] op_sel_hi:[1,0,1]
	v_pk_fma_f32 v[44:45], v[46:47], v[44:45], v[98:99] neg_lo:[0,0,1] neg_hi:[0,0,1]
	v_mov_b32_e32 v45, v101
	s_delay_alu instid0(VALU_DEP_1)
	v_pk_add_f32 v[42:43], v[42:43], v[44:45] neg_lo:[0,1] neg_hi:[0,1]
.LBB62_907:                             ;   in Loop: Header=BB62_3 Depth=1
	;; [unrolled: 26-line block ×4, first 2 shown]
	s_or_b32 exec_lo, exec_lo, s12
	s_barrier_signal -1
	s_barrier_wait -1
	s_and_saveexec_b32 s12, s50
; %bb.916:                              ;   in Loop: Header=BB62_3 Depth=1
	v_pk_add_f32 v[44:45], v[42:43], 0 neg_lo:[1,1] neg_hi:[1,1]
	ds_store_b64 v72, v[44:45]
; %bb.917:                              ;   in Loop: Header=BB62_3 Depth=1
	s_or_b32 exec_lo, exec_lo, s12
	s_wait_dscnt 0x0
	s_barrier_signal -1
	s_barrier_wait -1
	s_barrier_signal -1
	s_barrier_wait -1
	s_and_saveexec_b32 s12, s5
; %bb.918:                              ;   in Loop: Header=BB62_3 Depth=1
	ds_store_b64 v73, v[42:43] offset:7680
; %bb.919:                              ;   in Loop: Header=BB62_3 Depth=1
	s_or_b32 exec_lo, exec_lo, s12
	s_wait_dscnt 0x0
	s_barrier_signal -1
	s_barrier_wait -1
	s_barrier_signal -1
	s_barrier_wait -1
	s_and_saveexec_b32 s12, s51
	s_cbranch_execz .LBB62_921
; %bb.920:                              ;   in Loop: Header=BB62_3 Depth=1
	ds_load_b64 v[42:43], v56 offset:4096
	s_wait_dscnt 0x0
	ds_store_b64 v57, v[42:43] offset:64
	ds_load_b64 v[42:43], v56 offset:4104
	s_wait_dscnt 0x0
	ds_store_b64 v57, v[42:43] offset:576
	;; [unrolled: 3-line block ×8, first 2 shown]
.LBB62_921:                             ;   in Loop: Header=BB62_3 Depth=1
	s_or_b32 exec_lo, exec_lo, s12
	s_wait_dscnt 0x0
	s_barrier_signal -1
	s_barrier_wait -1
	s_and_saveexec_b32 s12, s11
	s_cbranch_execz .LBB62_923
; %bb.922:                              ;   in Loop: Header=BB62_3 Depth=1
	ds_load_b64 v[42:43], v3 offset:3632
	v_add_nc_u32_e64 v2, 0x800, 0
	ds_store_b64 v3, v[38:39] offset:3640
	s_wait_dscnt 0x1
	ds_store_2addr_b64 v2, v[38:39], v[42:43] offset0:134 offset1:135
.LBB62_923:                             ;   in Loop: Header=BB62_3 Depth=1
	s_or_b32 exec_lo, exec_lo, s12
	v_dual_mov_b32 v42, 0 :: v_dual_mov_b32 v43, 0
	s_wait_dscnt 0x0
	s_barrier_signal -1
	s_barrier_wait -1
	global_wb scope:SCOPE_DEV
	s_wait_storecnt 0x0
	global_inv scope:SCOPE_DEV
	s_and_saveexec_b32 s62, s2
	s_cbranch_execz .LBB62_927
; %bb.924:                              ;   in Loop: Header=BB62_3 Depth=1
	ds_load_b64 v[42:43], v64 offset:3104
	ds_load_b64 v[44:45], v54 offset:3632
	s_wait_dscnt 0x0
	v_pk_mul_f32 v[46:47], v[44:45], v[42:43] op_sel:[1,1] op_sel_hi:[0,1]
	s_delay_alu instid0(VALU_DEP_1) | instskip(SKIP_1) | instid1(VALU_DEP_2)
	v_pk_fma_f32 v[98:99], v[44:45], v[42:43], v[46:47] op_sel_hi:[1,0,1]
	v_pk_fma_f32 v[42:43], v[44:45], v[42:43], v[46:47] neg_lo:[0,0,1] neg_hi:[0,0,1]
	v_mov_b32_e32 v43, v99
	s_delay_alu instid0(VALU_DEP_1)
	v_pk_add_f32 v[42:43], v[42:43], 0 op_sel_hi:[1,0]
	s_and_saveexec_b32 s12, s13
	s_cbranch_execz .LBB62_926
; %bb.925:                              ;   in Loop: Header=BB62_3 Depth=1
	ds_load_b64 v[44:45], v57 offset:3616
	ds_load_b64 v[46:47], v3 offset:3640
	s_wait_dscnt 0x0
	v_pk_mul_f32 v[98:99], v[46:47], v[44:45] op_sel:[1,1] op_sel_hi:[0,1]
	s_delay_alu instid0(VALU_DEP_1) | instskip(SKIP_1) | instid1(VALU_DEP_2)
	v_pk_fma_f32 v[100:101], v[46:47], v[44:45], v[98:99] op_sel_hi:[1,0,1]
	v_pk_fma_f32 v[44:45], v[46:47], v[44:45], v[98:99] neg_lo:[0,0,1] neg_hi:[0,0,1]
	v_mov_b32_e32 v45, v101
	s_delay_alu instid0(VALU_DEP_1)
	v_pk_add_f32 v[42:43], v[42:43], v[44:45]
.LBB62_926:                             ;   in Loop: Header=BB62_3 Depth=1
	s_or_b32 exec_lo, exec_lo, s12
.LBB62_927:                             ;   in Loop: Header=BB62_3 Depth=1
	s_delay_alu instid0(SALU_CYCLE_1)
	s_or_b32 exec_lo, exec_lo, s62
	s_and_saveexec_b32 s12, s94
; %bb.928:                              ;   in Loop: Header=BB62_3 Depth=1
	s_delay_alu instid0(VALU_DEP_1)
	v_pk_add_f32 v[44:45], v[42:43], 0 neg_lo:[1,1] neg_hi:[1,1]
	ds_store_b64 v65, v[44:45]
; %bb.929:                              ;   in Loop: Header=BB62_3 Depth=1
	s_or_b32 exec_lo, exec_lo, s12
	s_wait_loadcnt_dscnt 0x0
	s_barrier_signal -1
	s_barrier_wait -1
	s_and_saveexec_b32 s12, s95
	s_cbranch_execz .LBB62_931
; %bb.930:                              ;   in Loop: Header=BB62_3 Depth=1
	ds_load_b64 v[44:45], v3 offset:2592
	ds_load_b64 v[46:47], v65
	s_wait_dscnt 0x0
	v_pk_mul_f32 v[98:99], v[46:47], v[44:45] op_sel_hi:[1,0]
	s_delay_alu instid0(VALU_DEP_1) | instskip(SKIP_1) | instid1(VALU_DEP_2)
	v_pk_fma_f32 v[100:101], v[46:47], v[44:45], v[98:99] op_sel:[1,1,0] op_sel_hi:[0,1,1]
	v_pk_fma_f32 v[44:45], v[46:47], v[44:45], v[98:99] op_sel:[1,1,0] op_sel_hi:[0,1,1] neg_lo:[0,0,1] neg_hi:[0,0,1]
	v_pk_add_f32 v[46:47], v[42:43], v[100:101] neg_lo:[0,1] neg_hi:[0,1]
	s_delay_alu instid0(VALU_DEP_2) | instskip(NEXT) | instid1(VALU_DEP_2)
	v_pk_add_f32 v[42:43], v[42:43], v[44:45]
	v_mov_b32_e32 v43, v47
.LBB62_931:                             ;   in Loop: Header=BB62_3 Depth=1
	s_or_b32 exec_lo, exec_lo, s12
	s_barrier_signal -1
	s_barrier_wait -1
	s_and_saveexec_b32 s12, s95
; %bb.932:                              ;   in Loop: Header=BB62_3 Depth=1
	v_pk_add_f32 v[44:45], v[42:43], 0 neg_lo:[1,1] neg_hi:[1,1]
	ds_store_b64 v65, v[44:45]
; %bb.933:                              ;   in Loop: Header=BB62_3 Depth=1
	s_or_b32 exec_lo, exec_lo, s12
	s_wait_dscnt 0x0
	s_barrier_signal -1
	s_barrier_wait -1
	s_barrier_signal -1
	s_barrier_wait -1
	s_and_saveexec_b32 s12, s2
; %bb.934:                              ;   in Loop: Header=BB62_3 Depth=1
	ds_store_b64 v67, v[42:43] offset:3616
; %bb.935:                              ;   in Loop: Header=BB62_3 Depth=1
	s_or_b32 exec_lo, exec_lo, s12
	s_wait_dscnt 0x0
	s_barrier_signal -1
	s_barrier_wait -1
	s_barrier_signal -1
	s_barrier_wait -1
	s_and_saveexec_b32 s12, s96
	s_cbranch_execz .LBB62_937
; %bb.936:                              ;   in Loop: Header=BB62_3 Depth=1
	ds_load_b64 v[42:43], v60 offset:3104
	s_wait_dscnt 0x0
	ds_store_b64 v57, v[42:43] offset:2096
	ds_load_b64 v[42:43], v60 offset:3112
	s_wait_dscnt 0x0
	ds_store_b64 v57, v[42:43] offset:2608
.LBB62_937:                             ;   in Loop: Header=BB62_3 Depth=1
	s_or_b32 exec_lo, exec_lo, s12
	s_wait_dscnt 0x0
	s_barrier_signal -1
	s_barrier_wait -1
	s_and_saveexec_b32 s12, s11
	s_cbranch_execz .LBB62_939
; %bb.938:                              ;   in Loop: Header=BB62_3 Depth=1
	ds_load_b64 v[42:43], v3 offset:2592
	v_add_nc_u32_e64 v2, 0x800, 0
	ds_store_b64 v3, v[38:39] offset:2600
	s_wait_dscnt 0x1
	ds_store_2addr_b64 v2, v[38:39], v[42:43] offset0:4 offset1:5
.LBB62_939:                             ;   in Loop: Header=BB62_3 Depth=1
	s_or_b32 exec_lo, exec_lo, s12
	v_mov_b64_e32 v[42:43], 0
	s_wait_dscnt 0x0
	s_barrier_signal -1
	s_barrier_wait -1
	global_wb scope:SCOPE_DEV
	s_wait_storecnt 0x0
	global_inv scope:SCOPE_DEV
	s_and_saveexec_b32 s62, s4
	s_cbranch_execz .LBB62_945
; %bb.940:                              ;   in Loop: Header=BB62_3 Depth=1
	ds_load_b64 v[42:43], v66 offset:2048
	ds_load_b64 v[44:45], v55 offset:3616
	s_wait_dscnt 0x0
	v_dual_mul_f32 v2, v45, v43 :: v_dual_mul_f32 v5, v44, v43
	s_delay_alu instid0(VALU_DEP_1) | instskip(NEXT) | instid1(VALU_DEP_1)
	v_dual_fma_f32 v2, v44, v42, -v2 :: v_dual_fmac_f32 v5, v45, v42
	v_dual_add_f32 v42, 0, v2 :: v_dual_add_f32 v43, 0, v5
	s_and_saveexec_b32 s12, s14
	s_cbranch_execnz .LBB62_1110
; %bb.941:                              ;   in Loop: Header=BB62_3 Depth=1
	s_or_b32 exec_lo, exec_lo, s12
	s_and_saveexec_b32 s12, s15
	s_cbranch_execnz .LBB62_1111
.LBB62_942:                             ;   in Loop: Header=BB62_3 Depth=1
	s_or_b32 exec_lo, exec_lo, s12
	s_and_saveexec_b32 s12, s2
	s_cbranch_execz .LBB62_944
.LBB62_943:                             ;   in Loop: Header=BB62_3 Depth=1
	ds_load_b64 v[44:45], v78 offset:3584
	ds_load_b64 v[46:47], v3 offset:3640
	s_wait_dscnt 0x0
	v_pk_mul_f32 v[98:99], v[46:47], v[44:45] op_sel:[1,1] op_sel_hi:[0,1]
	s_delay_alu instid0(VALU_DEP_1) | instskip(SKIP_1) | instid1(VALU_DEP_2)
	v_pk_fma_f32 v[100:101], v[46:47], v[44:45], v[98:99] op_sel_hi:[1,0,1]
	v_pk_fma_f32 v[44:45], v[46:47], v[44:45], v[98:99] neg_lo:[0,0,1] neg_hi:[0,0,1]
	v_mov_b32_e32 v45, v101
	s_delay_alu instid0(VALU_DEP_1)
	v_pk_add_f32 v[42:43], v[42:43], v[44:45]
.LBB62_944:                             ;   in Loop: Header=BB62_3 Depth=1
	s_or_b32 exec_lo, exec_lo, s12
.LBB62_945:                             ;   in Loop: Header=BB62_3 Depth=1
	s_delay_alu instid0(SALU_CYCLE_1)
	s_or_b32 exec_lo, exec_lo, s62
	s_and_saveexec_b32 s12, s97
; %bb.946:                              ;   in Loop: Header=BB62_3 Depth=1
	s_delay_alu instid0(VALU_DEP_1)
	v_pk_add_f32 v[44:45], v[42:43], 0 neg_lo:[1,1] neg_hi:[1,1]
	ds_store_b64 v69, v[44:45]
; %bb.947:                              ;   in Loop: Header=BB62_3 Depth=1
	s_or_b32 exec_lo, exec_lo, s12
	s_wait_loadcnt_dscnt 0x0
	s_barrier_signal -1
	s_barrier_wait -1
	s_and_saveexec_b32 s12, s98
	s_cbranch_execz .LBB62_949
; %bb.948:                              ;   in Loop: Header=BB62_3 Depth=1
	ds_load_b64 v[44:45], v66 offset:1536
	ds_load_b64 v[46:47], v69
	s_wait_dscnt 0x0
	v_pk_mul_f32 v[98:99], v[46:47], v[44:45] op_sel:[1,1] op_sel_hi:[0,1]
	s_delay_alu instid0(VALU_DEP_1) | instskip(SKIP_1) | instid1(VALU_DEP_2)
	v_pk_fma_f32 v[100:101], v[46:47], v[44:45], v[98:99] op_sel_hi:[1,0,1]
	v_pk_fma_f32 v[44:45], v[46:47], v[44:45], v[98:99] neg_lo:[0,0,1] neg_hi:[0,0,1]
	v_mov_b32_e32 v45, v101
	s_delay_alu instid0(VALU_DEP_1)
	v_pk_add_f32 v[42:43], v[42:43], v[44:45] neg_lo:[0,1] neg_hi:[0,1]
.LBB62_949:                             ;   in Loop: Header=BB62_3 Depth=1
	s_or_b32 exec_lo, exec_lo, s12
	s_barrier_signal -1
	s_barrier_wait -1
	s_and_saveexec_b32 s12, s99
; %bb.950:                              ;   in Loop: Header=BB62_3 Depth=1
	v_pk_add_f32 v[44:45], v[42:43], 0 neg_lo:[1,1] neg_hi:[1,1]
	ds_store_b64 v69, v[44:45]
; %bb.951:                              ;   in Loop: Header=BB62_3 Depth=1
	s_or_b32 exec_lo, exec_lo, s12
	s_wait_dscnt 0x0
	s_barrier_signal -1
	s_barrier_wait -1
	s_and_saveexec_b32 s12, s100
	s_cbranch_execz .LBB62_953
; %bb.952:                              ;   in Loop: Header=BB62_3 Depth=1
	ds_load_b64 v[44:45], v66 offset:1024
	ds_load_b64 v[46:47], v69
	s_wait_dscnt 0x0
	v_pk_mul_f32 v[98:99], v[46:47], v[44:45] op_sel:[1,1] op_sel_hi:[0,1]
	s_delay_alu instid0(VALU_DEP_1) | instskip(SKIP_1) | instid1(VALU_DEP_2)
	v_pk_fma_f32 v[100:101], v[46:47], v[44:45], v[98:99] op_sel_hi:[1,0,1]
	v_pk_fma_f32 v[44:45], v[46:47], v[44:45], v[98:99] neg_lo:[0,0,1] neg_hi:[0,0,1]
	v_mov_b32_e32 v45, v101
	s_delay_alu instid0(VALU_DEP_1)
	v_pk_add_f32 v[42:43], v[42:43], v[44:45] neg_lo:[0,1] neg_hi:[0,1]
.LBB62_953:                             ;   in Loop: Header=BB62_3 Depth=1
	s_or_b32 exec_lo, exec_lo, s12
	s_barrier_signal -1
	s_barrier_wait -1
	s_and_saveexec_b32 s12, s101
; %bb.954:                              ;   in Loop: Header=BB62_3 Depth=1
	v_pk_add_f32 v[44:45], v[42:43], 0 neg_lo:[1,1] neg_hi:[1,1]
	ds_store_b64 v69, v[44:45]
; %bb.955:                              ;   in Loop: Header=BB62_3 Depth=1
	s_or_b32 exec_lo, exec_lo, s12
	s_wait_dscnt 0x0
	;; [unrolled: 26-line block ×3, first 2 shown]
	s_barrier_signal -1
	s_barrier_wait -1
	s_barrier_signal -1
	s_barrier_wait -1
	s_and_saveexec_b32 s12, s4
; %bb.960:                              ;   in Loop: Header=BB62_3 Depth=1
	ds_store_b64 v71, v[42:43] offset:3584
; %bb.961:                              ;   in Loop: Header=BB62_3 Depth=1
	s_or_b32 exec_lo, exec_lo, s12
	s_wait_dscnt 0x0
	s_barrier_signal -1
	s_barrier_wait -1
	s_barrier_signal -1
	s_barrier_wait -1
	s_and_saveexec_b32 s12, s103
	s_cbranch_execz .LBB62_963
; %bb.962:                              ;   in Loop: Header=BB62_3 Depth=1
	ds_load_b64 v[42:43], v79 offset:2048
	s_wait_dscnt 0x0
	ds_store_b64 v80, v[42:43] offset:32
	ds_load_b64 v[42:43], v79 offset:2056
	s_wait_dscnt 0x0
	ds_store_b64 v80, v[42:43] offset:544
	;; [unrolled: 3-line block ×4, first 2 shown]
.LBB62_963:                             ;   in Loop: Header=BB62_3 Depth=1
	s_or_b32 exec_lo, exec_lo, s12
	s_wait_dscnt 0x0
	s_barrier_signal -1
	s_barrier_wait -1
	s_and_saveexec_b32 s12, s11
	s_cbranch_execz .LBB62_965
; %bb.964:                              ;   in Loop: Header=BB62_3 Depth=1
	ds_load_b64 v[42:43], v3 offset:1552
	ds_store_b64 v3, v[38:39] offset:1560
	s_wait_dscnt 0x1
	ds_store_2addr_b64 v3, v[38:39], v[42:43] offset0:130 offset1:131
.LBB62_965:                             ;   in Loop: Header=BB62_3 Depth=1
	s_or_b32 exec_lo, exec_lo, s12
	v_dual_mov_b32 v42, 0 :: v_dual_mov_b32 v43, 0
	s_wait_dscnt 0x0
	s_barrier_signal -1
	s_barrier_wait -1
	global_wb scope:SCOPE_DEV
	s_wait_storecnt 0x0
	global_inv scope:SCOPE_DEV
	s_and_saveexec_b32 s62, s2
	s_cbranch_execz .LBB62_969
; %bb.966:                              ;   in Loop: Header=BB62_3 Depth=1
	ds_load_b64 v[42:43], v64 offset:1024
	ds_load_b64 v[44:45], v54 offset:1552
	s_wait_dscnt 0x0
	v_pk_mul_f32 v[46:47], v[44:45], v[42:43] op_sel:[1,1] op_sel_hi:[0,1]
	s_delay_alu instid0(VALU_DEP_1) | instskip(SKIP_1) | instid1(VALU_DEP_2)
	v_pk_fma_f32 v[98:99], v[44:45], v[42:43], v[46:47] op_sel_hi:[1,0,1]
	v_pk_fma_f32 v[42:43], v[44:45], v[42:43], v[46:47] neg_lo:[0,0,1] neg_hi:[0,0,1]
	v_mov_b32_e32 v43, v99
	s_delay_alu instid0(VALU_DEP_1)
	v_pk_add_f32 v[42:43], v[42:43], 0 op_sel_hi:[1,0]
	s_and_saveexec_b32 s12, s13
	s_cbranch_execz .LBB62_968
; %bb.967:                              ;   in Loop: Header=BB62_3 Depth=1
	ds_load_b64 v[44:45], v80 offset:1536
	ds_load_b64 v[46:47], v3 offset:1560
	s_wait_dscnt 0x0
	v_pk_mul_f32 v[98:99], v[46:47], v[44:45] op_sel:[1,1] op_sel_hi:[0,1]
	s_delay_alu instid0(VALU_DEP_1) | instskip(SKIP_1) | instid1(VALU_DEP_2)
	v_pk_fma_f32 v[100:101], v[46:47], v[44:45], v[98:99] op_sel_hi:[1,0,1]
	v_pk_fma_f32 v[44:45], v[46:47], v[44:45], v[98:99] neg_lo:[0,0,1] neg_hi:[0,0,1]
	v_mov_b32_e32 v45, v101
	s_delay_alu instid0(VALU_DEP_1)
	v_pk_add_f32 v[42:43], v[42:43], v[44:45]
.LBB62_968:                             ;   in Loop: Header=BB62_3 Depth=1
	s_or_b32 exec_lo, exec_lo, s12
.LBB62_969:                             ;   in Loop: Header=BB62_3 Depth=1
	s_delay_alu instid0(SALU_CYCLE_1)
	s_or_b32 exec_lo, exec_lo, s62
	s_and_saveexec_b32 s12, s94
; %bb.970:                              ;   in Loop: Header=BB62_3 Depth=1
	s_delay_alu instid0(VALU_DEP_1)
	v_pk_add_f32 v[44:45], v[42:43], 0 neg_lo:[1,1] neg_hi:[1,1]
	ds_store_b64 v65, v[44:45]
; %bb.971:                              ;   in Loop: Header=BB62_3 Depth=1
	s_or_b32 exec_lo, exec_lo, s12
	s_wait_loadcnt_dscnt 0x0
	s_barrier_signal -1
	s_barrier_wait -1
	s_and_saveexec_b32 s12, s95
	s_cbranch_execz .LBB62_973
; %bb.972:                              ;   in Loop: Header=BB62_3 Depth=1
	ds_load_b64 v[44:45], v3 offset:512
	ds_load_b64 v[46:47], v65
	s_wait_dscnt 0x0
	v_pk_mul_f32 v[98:99], v[46:47], v[44:45] op_sel_hi:[1,0]
	s_delay_alu instid0(VALU_DEP_1) | instskip(SKIP_1) | instid1(VALU_DEP_2)
	v_pk_fma_f32 v[100:101], v[46:47], v[44:45], v[98:99] op_sel:[1,1,0] op_sel_hi:[0,1,1]
	v_pk_fma_f32 v[44:45], v[46:47], v[44:45], v[98:99] op_sel:[1,1,0] op_sel_hi:[0,1,1] neg_lo:[0,0,1] neg_hi:[0,0,1]
	v_pk_add_f32 v[46:47], v[42:43], v[100:101] neg_lo:[0,1] neg_hi:[0,1]
	s_delay_alu instid0(VALU_DEP_2) | instskip(NEXT) | instid1(VALU_DEP_2)
	v_pk_add_f32 v[42:43], v[42:43], v[44:45]
	v_mov_b32_e32 v43, v47
.LBB62_973:                             ;   in Loop: Header=BB62_3 Depth=1
	s_or_b32 exec_lo, exec_lo, s12
	s_barrier_signal -1
	s_barrier_wait -1
	s_and_saveexec_b32 s12, s95
; %bb.974:                              ;   in Loop: Header=BB62_3 Depth=1
	v_pk_add_f32 v[44:45], v[42:43], 0 neg_lo:[1,1] neg_hi:[1,1]
	ds_store_b64 v65, v[44:45]
; %bb.975:                              ;   in Loop: Header=BB62_3 Depth=1
	s_or_b32 exec_lo, exec_lo, s12
	s_wait_dscnt 0x0
	s_barrier_signal -1
	s_barrier_wait -1
	s_barrier_signal -1
	s_barrier_wait -1
	s_and_saveexec_b32 s12, s2
; %bb.976:                              ;   in Loop: Header=BB62_3 Depth=1
	ds_store_b64 v67, v[42:43] offset:1536
; %bb.977:                              ;   in Loop: Header=BB62_3 Depth=1
	s_or_b32 exec_lo, exec_lo, s12
	s_wait_dscnt 0x0
	s_barrier_signal -1
	s_barrier_wait -1
	s_barrier_signal -1
	s_barrier_wait -1
	s_and_saveexec_b32 s12, s96
	s_cbranch_execz .LBB62_979
; %bb.978:                              ;   in Loop: Header=BB62_3 Depth=1
	ds_load_b64 v[42:43], v85 offset:1024
	s_wait_dscnt 0x0
	ds_store_b64 v80, v[42:43] offset:16
	ds_load_b64 v[42:43], v85 offset:1032
	s_wait_dscnt 0x0
	ds_store_b64 v80, v[42:43] offset:528
.LBB62_979:                             ;   in Loop: Header=BB62_3 Depth=1
	s_or_b32 exec_lo, exec_lo, s12
	s_wait_dscnt 0x0
	s_barrier_signal -1
	s_barrier_wait -1
	s_and_saveexec_b32 s12, s11
	s_cbranch_execz .LBB62_981
; %bb.980:                              ;   in Loop: Header=BB62_3 Depth=1
	ds_load_b64 v[42:43], v3 offset:512
	ds_store_b64 v3, v[38:39] offset:520
	s_wait_dscnt 0x1
	ds_store_2addr_b64 v3, v[38:39], v[42:43] offset1:1
.LBB62_981:                             ;   in Loop: Header=BB62_3 Depth=1
	s_or_b32 exec_lo, exec_lo, s12
.LBB62_982:                             ;   in Loop: Header=BB62_3 Depth=1
	v_mov_b64_e32 v[42:43], 0
	s_mul_u64 s[62:63], s[74:75], s[76:77]
	s_wait_dscnt 0x0
	s_lshl_b64 s[62:63], s[62:63], 3
	s_barrier_signal -1
	s_add_nc_u64 s[64:65], s[68:69], s[62:63]
	s_barrier_wait -1
	s_and_saveexec_b32 s12, s57
	s_cbranch_execz .LBB62_984
; %bb.983:                              ;   in Loop: Header=BB62_3 Depth=1
	v_lshl_add_u64 v[42:43], v[14:15], 3, s[64:65]
	v_readlane_b32 s60, v106, 17
	v_readlane_b32 s61, v106, 18
	global_load_b64 v[42:43], v[42:43], off
	v_mov_b64_e32 v[44:45], s[60:61]
	v_readlane_b32 s60, v106, 19
	v_readlane_b32 s61, v106, 20
	s_delay_alu instid0(VALU_DEP_1) | instskip(SKIP_1) | instid1(VALU_DEP_4)
	v_mov_b64_e32 v[46:47], s[60:61]
	s_wait_loadcnt 0x0
	v_pk_mul_f32 v[44:45], v[44:45], v[42:43]
	s_wait_xcnt 0x0
	s_delay_alu instid0(VALU_DEP_1)
	v_pk_fma_f32 v[42:43], v[46:47], v[42:43], v[44:45] op_sel:[0,0,1] op_sel_hi:[1,1,0] neg_lo:[1,0,0] neg_hi:[1,0,0]
.LBB62_984:                             ;   in Loop: Header=BB62_3 Depth=1
	s_or_b32 exec_lo, exec_lo, s12
	s_delay_alu instid0(SALU_CYCLE_1)
	s_and_not1_b32 vcc_lo, exec_lo, s58
	s_cbranch_vccnz .LBB62_1003
; %bb.985:                              ;   in Loop: Header=BB62_3 Depth=1
	v_mov_b32_e32 v5, -1
	s_lshl_b64 s[62:63], s[76:77], 2
	s_delay_alu instid0(SALU_CYCLE_1)
	s_add_nc_u64 s[86:87], s[78:79], s[62:63]
	s_mov_b32 s63, 0
	s_branch .LBB62_987
.LBB62_986:                             ;   in Loop: Header=BB62_987 Depth=2
	s_or_b32 exec_lo, exec_lo, s12
	s_add_co_i32 s63, s63, 1
	s_delay_alu instid0(SALU_CYCLE_1)
	s_cmp_eq_u32 s63, s90
	s_cbranch_scc1 .LBB62_1003
.LBB62_987:                             ;   Parent Loop BB62_3 Depth=1
                                        ; =>  This Loop Header: Depth=2
                                        ;       Child Loop BB62_989 Depth 3
	v_cmp_gt_i32_e32 vcc_lo, s63, v5
	s_and_b32 s62, s34, vcc_lo
	s_delay_alu instid0(SALU_CYCLE_1)
	s_and_saveexec_b32 s12, s62
	s_cbranch_execz .LBB62_990
; %bb.988:                              ;   in Loop: Header=BB62_987 Depth=2
	global_load_b32 v5, v3, s[86:87]
	s_wait_loadcnt 0x0
	v_cmp_le_i32_e32 vcc_lo, s63, v5
	s_cbranch_vccnz .LBB62_990
.LBB62_989:                             ;   Parent Loop BB62_3 Depth=1
                                        ;     Parent Loop BB62_987 Depth=2
                                        ; =>    This Inner Loop Header: Depth=3
	global_wb scope:SCOPE_DEV
	s_wait_storecnt 0x0
	global_inv scope:SCOPE_DEV
	global_load_b32 v5, v3, s[86:87]
	s_wait_loadcnt 0x0
	v_cmp_gt_i32_e32 vcc_lo, s63, v5
	s_cbranch_vccnz .LBB62_989
.LBB62_990:                             ;   in Loop: Header=BB62_987 Depth=2
	s_wait_xcnt 0x0
	s_or_b32 exec_lo, exec_lo, s12
	s_lshl_b32 s62, s63, 6
	global_wb scope:SCOPE_DEV
	s_wait_storecnt 0x0
	global_inv scope:SCOPE_DEV
	s_wait_loadcnt 0x0
	s_barrier_signal -1
	s_barrier_wait -1
	s_and_saveexec_b32 s12, s35
	s_cbranch_execz .LBB62_995
; %bb.991:                              ;   in Loop: Header=BB62_987 Depth=2
	v_or_b32_e32 v2, s62, v8
	s_delay_alu instid0(VALU_DEP_1) | instskip(SKIP_1) | instid1(SALU_CYCLE_1)
	v_cmp_le_i32_e32 vcc_lo, s89, v2
	s_and_saveexec_b32 s60, vcc_lo
	s_xor_b32 vcc_lo, exec_lo, s60
; %bb.992:                              ;   in Loop: Header=BB62_987 Depth=2
	ds_store_b64 v90, v[36:37]
; %bb.993:                              ;   in Loop: Header=BB62_987 Depth=2
	s_and_not1_saveexec_b32 s60, vcc_lo
	s_cbranch_execz .LBB62_995
; %bb.994:                              ;   in Loop: Header=BB62_987 Depth=2
	v_mul_u64_e32 v[44:45], s[72:73], v[2:3]
	s_delay_alu instid0(VALU_DEP_1)
	v_lshl_add_u64 v[44:45], v[44:45], 3, s[64:65]
	global_load_b64 v[44:45], v[44:45], off
	s_wait_loadcnt 0x0
	ds_store_b64 v90, v[44:45]
.LBB62_995:                             ;   in Loop: Header=BB62_987 Depth=2
	s_or_b32 exec_lo, exec_lo, s12
	v_add_nc_u32_e32 v2, s62, v4
	s_wait_dscnt 0x0
	v_cmp_eq_u32_e32 vcc_lo, s63, v7
	s_barrier_signal -1
	s_barrier_wait -1
	v_cmp_gt_i32_e64 s62, s89, v2
	v_lshl_add_u64 v[44:45], v[2:3], 3, v[40:41]
	s_and_b32 s60, s62, s0
	s_delay_alu instid0(SALU_CYCLE_1)
	s_and_saveexec_b32 s12, s60
	s_cbranch_execz .LBB62_997
; %bb.996:                              ;   in Loop: Header=BB62_987 Depth=2
	s_delay_alu instid0(VALU_DEP_1) | instskip(SKIP_4) | instid1(VALU_DEP_1)
	v_dual_cndmask_b32 v47, v45, v17 :: v_dual_cndmask_b32 v46, v44, v16
	ds_load_b64 v[98:99], v86
	flat_load_b64 v[46:47], v[46:47]
	s_wait_loadcnt_dscnt 0x0
	v_dual_mul_f32 v35, v99, v47 :: v_dual_mul_f32 v47, v98, v47
	v_fmac_f32_e32 v47, v99, v46
	s_delay_alu instid0(VALU_DEP_1) | instskip(NEXT) | instid1(VALU_DEP_1)
	v_dual_fma_f32 v35, v98, v46, -v35 :: v_dual_add_f32 v43, v43, v47
	v_add_f32_e32 v42, v42, v35
.LBB62_997:                             ;   in Loop: Header=BB62_987 Depth=2
	s_or_b32 exec_lo, exec_lo, s12
	v_add_nc_u32_e32 v35, 16, v2
	s_delay_alu instid0(VALU_DEP_1) | instskip(SKIP_1) | instid1(SALU_CYCLE_1)
	v_cmp_gt_i32_e64 s62, s89, v35
	s_and_b32 s60, s62, s0
	s_and_saveexec_b32 s12, s60
	s_cbranch_execz .LBB62_999
; %bb.998:                              ;   in Loop: Header=BB62_987 Depth=2
	v_add_nc_u64_e32 v[46:47], 0x80, v[44:45]
	ds_load_b64 v[98:99], v86 offset:128
	v_dual_cndmask_b32 v47, v47, v21 :: v_dual_cndmask_b32 v46, v46, v20
	flat_load_b64 v[46:47], v[46:47]
	s_wait_loadcnt_dscnt 0x0
	v_dual_mul_f32 v35, v99, v47 :: v_dual_mul_f32 v47, v98, v47
	s_delay_alu instid0(VALU_DEP_1) | instskip(NEXT) | instid1(VALU_DEP_1)
	v_fmac_f32_e32 v47, v99, v46
	v_dual_fma_f32 v35, v98, v46, -v35 :: v_dual_add_f32 v43, v43, v47
	s_delay_alu instid0(VALU_DEP_1)
	v_add_f32_e32 v42, v42, v35
.LBB62_999:                             ;   in Loop: Header=BB62_987 Depth=2
	s_or_b32 exec_lo, exec_lo, s12
	v_add_nc_u32_e32 v35, 32, v2
	s_delay_alu instid0(VALU_DEP_1) | instskip(SKIP_1) | instid1(SALU_CYCLE_1)
	v_cmp_gt_i32_e64 s62, s89, v35
	s_and_b32 s60, s62, s0
	s_and_saveexec_b32 s12, s60
	s_cbranch_execz .LBB62_1001
; %bb.1000:                             ;   in Loop: Header=BB62_987 Depth=2
	v_add_nc_u64_e32 v[46:47], 0x100, v[44:45]
	ds_load_b64 v[98:99], v86 offset:256
	v_dual_cndmask_b32 v47, v47, v25 :: v_dual_cndmask_b32 v46, v46, v24
	flat_load_b64 v[46:47], v[46:47]
	s_wait_loadcnt_dscnt 0x0
	v_dual_mul_f32 v35, v99, v47 :: v_dual_mul_f32 v101, v98, v47
	s_delay_alu instid0(VALU_DEP_1) | instskip(NEXT) | instid1(VALU_DEP_1)
	v_dual_fma_f32 v100, v98, v46, -v35 :: v_dual_fmac_f32 v101, v99, v46
	v_pk_add_f32 v[42:43], v[42:43], v[100:101]
.LBB62_1001:                            ;   in Loop: Header=BB62_987 Depth=2
	s_or_b32 exec_lo, exec_lo, s12
	v_add_nc_u32_e32 v2, 48, v2
	s_delay_alu instid0(VALU_DEP_1) | instskip(SKIP_1) | instid1(SALU_CYCLE_1)
	v_cmp_gt_i32_e64 s62, s89, v2
	s_and_b32 s60, s62, s0
	s_and_saveexec_b32 s12, s60
	s_cbranch_execz .LBB62_986
; %bb.1002:                             ;   in Loop: Header=BB62_987 Depth=2
	v_add_nc_u64_e32 v[44:45], 0x180, v[44:45]
	ds_load_b64 v[46:47], v86 offset:384
	v_dual_cndmask_b32 v45, v45, v29 :: v_dual_cndmask_b32 v44, v44, v28
	flat_load_b64 v[44:45], v[44:45]
	s_wait_loadcnt_dscnt 0x0
	v_pk_mul_f32 v[98:99], v[46:47], v[44:45] op_sel:[1,1] op_sel_hi:[0,1]
	s_delay_alu instid0(VALU_DEP_1) | instskip(SKIP_1) | instid1(VALU_DEP_2)
	v_pk_fma_f32 v[100:101], v[46:47], v[44:45], v[98:99] op_sel_hi:[1,0,1]
	v_pk_fma_f32 v[44:45], v[46:47], v[44:45], v[98:99] neg_lo:[0,0,1] neg_hi:[0,0,1]
	v_mov_b32_e32 v45, v101
	s_delay_alu instid0(VALU_DEP_1)
	v_pk_add_f32 v[42:43], v[42:43], v[44:45]
	s_branch .LBB62_986
.LBB62_1003:                            ;   in Loop: Header=BB62_3 Depth=1
	ds_store_b64 v91, v[42:43]
	s_wait_dscnt 0x0
	s_barrier_signal -1
	s_barrier_wait -1
	s_and_saveexec_b32 s62, s3
	s_cbranch_execz .LBB62_1005
; %bb.1004:                             ;   in Loop: Header=BB62_3 Depth=1
	ds_load_2addr_stride64_b64 v[44:47], v92 offset0:1 offset1:2
	ds_load_2addr_stride64_b64 v[98:101], v92 offset0:3 offset1:4
	;; [unrolled: 1-line block ×3, first 2 shown]
	s_wait_dscnt 0x2
	v_pk_add_f32 v[40:41], v[42:43], v[44:45]
	s_delay_alu instid0(VALU_DEP_1) | instskip(SKIP_3) | instid1(VALU_DEP_1)
	v_pk_add_f32 v[44:45], v[40:41], v[46:47]
	ds_load_2addr_stride64_b64 v[40:43], v92 offset0:7 offset1:8
	s_wait_dscnt 0x2
	v_pk_add_f32 v[44:45], v[44:45], v[98:99]
	v_pk_add_f32 v[98:99], v[44:45], v[100:101]
	ds_load_2addr_stride64_b64 v[44:47], v92 offset0:9 offset1:10
	s_wait_dscnt 0x2
	v_pk_add_f32 v[98:99], v[98:99], v[102:103]
	s_delay_alu instid0(VALU_DEP_1) | instskip(SKIP_3) | instid1(VALU_DEP_1)
	v_pk_add_f32 v[102:103], v[98:99], v[104:105]
	ds_load_2addr_stride64_b64 v[98:101], v92 offset0:11 offset1:12
	s_wait_dscnt 0x2
	v_pk_add_f32 v[40:41], v[102:103], v[40:41]
	v_pk_add_f32 v[102:103], v[40:41], v[42:43]
	ds_load_2addr_stride64_b64 v[40:43], v92 offset0:13 offset1:14
	s_wait_dscnt 0x2
	v_pk_add_f32 v[44:45], v[102:103], v[44:45]
	s_delay_alu instid0(VALU_DEP_1) | instskip(SKIP_3) | instid1(VALU_DEP_1)
	v_pk_add_f32 v[44:45], v[44:45], v[46:47]
	ds_load_b64 v[46:47], v92 offset:7680
	s_wait_dscnt 0x2
	v_pk_add_f32 v[44:45], v[44:45], v[98:99]
	v_pk_add_f32 v[44:45], v[44:45], v[100:101]
	s_wait_dscnt 0x1
	s_delay_alu instid0(VALU_DEP_1) | instskip(NEXT) | instid1(VALU_DEP_1)
	v_pk_add_f32 v[40:41], v[44:45], v[40:41]
	v_pk_add_f32 v[40:41], v[40:41], v[42:43]
	s_wait_dscnt 0x0
	s_delay_alu instid0(VALU_DEP_1) | instskip(NEXT) | instid1(VALU_DEP_1)
	v_pk_add_f32 v[40:41], v[40:41], v[46:47]
	v_cndmask_b32_e64 v43, -v41, 0, s55
	s_delay_alu instid0(VALU_DEP_2)
	v_cndmask_b32_e64 v42, -v40, 0, s55
.LBB62_1005:                            ;   in Loop: Header=BB62_3 Depth=1
	s_or_b32 exec_lo, exec_lo, s62
	s_delay_alu instid0(SALU_CYCLE_1)
	s_and_not1_b32 vcc_lo, exec_lo, s93
	s_cbranch_vccnz .LBB62_1015
; %bb.1006:                             ;   in Loop: Header=BB62_3 Depth=1
	s_and_saveexec_b32 s12, s3
; %bb.1007:                             ;   in Loop: Header=BB62_3 Depth=1
	ds_store_b64 v94, v[42:43]
; %bb.1008:                             ;   in Loop: Header=BB62_3 Depth=1
	s_or_b32 exec_lo, exec_lo, s12
	v_mov_b64_e32 v[40:41], 0
	s_wait_dscnt 0x0
	s_barrier_signal -1
	s_barrier_wait -1
	s_and_saveexec_b32 s12, s1
	s_cbranch_execnz .LBB62_1054
; %bb.1009:                             ;   in Loop: Header=BB62_3 Depth=1
	s_or_b32 exec_lo, exec_lo, s12
	s_and_saveexec_b32 s12, s7
	s_cbranch_execnz .LBB62_1055
.LBB62_1010:                            ;   in Loop: Header=BB62_3 Depth=1
	s_or_b32 exec_lo, exec_lo, s12
	s_and_saveexec_b32 s12, s8
	s_cbranch_execnz .LBB62_1056
.LBB62_1011:                            ;   in Loop: Header=BB62_3 Depth=1
	s_or_b32 exec_lo, exec_lo, s12
	s_and_saveexec_b32 s12, s9
	s_cbranch_execz .LBB62_1013
.LBB62_1012:                            ;   in Loop: Header=BB62_3 Depth=1
	ds_load_b64 v[44:45], v93 offset:24576
	ds_load_b64 v[46:47], v86 offset:384
	s_wait_dscnt 0x0
	v_pk_mul_f32 v[98:99], v[46:47], v[44:45] op_sel:[1,1] op_sel_hi:[0,1]
	s_delay_alu instid0(VALU_DEP_1) | instskip(SKIP_1) | instid1(VALU_DEP_2)
	v_pk_fma_f32 v[100:101], v[46:47], v[44:45], v[98:99] op_sel_hi:[1,0,1]
	v_pk_fma_f32 v[44:45], v[46:47], v[44:45], v[98:99] neg_lo:[0,0,1] neg_hi:[0,0,1]
	v_mov_b32_e32 v45, v101
	s_delay_alu instid0(VALU_DEP_1)
	v_pk_add_f32 v[40:41], v[40:41], v[44:45]
.LBB62_1013:                            ;   in Loop: Header=BB62_3 Depth=1
	s_or_b32 exec_lo, exec_lo, s12
	s_mov_b32 s63, 0
	s_mov_b32 s62, 0
	ds_store_b64 v91, v[40:41]
	s_wait_dscnt 0x0
	s_barrier_signal -1
	s_barrier_wait -1
                                        ; implicit-def: $vgpr44_vgpr45
	s_and_saveexec_b32 s86, s3
	s_cbranch_execz .LBB62_1057
; %bb.1014:                             ;   in Loop: Header=BB62_3 Depth=1
	ds_load_2addr_stride64_b64 v[44:47], v92 offset0:1 offset1:2
	ds_load_2addr_stride64_b64 v[98:101], v92 offset0:3 offset1:4
	;; [unrolled: 1-line block ×3, first 2 shown]
	s_mov_b32 s62, exec_lo
	s_wait_dscnt 0x2
	v_pk_add_f32 v[40:41], v[40:41], v[44:45]
	s_delay_alu instid0(VALU_DEP_1) | instskip(SKIP_3) | instid1(VALU_DEP_1)
	v_pk_add_f32 v[40:41], v[40:41], v[46:47]
	ds_load_2addr_stride64_b64 v[44:47], v92 offset0:7 offset1:8
	s_wait_dscnt 0x2
	v_pk_add_f32 v[40:41], v[40:41], v[98:99]
	v_pk_add_f32 v[40:41], v[40:41], v[100:101]
	ds_load_2addr_stride64_b64 v[98:101], v92 offset0:9 offset1:10
	s_wait_dscnt 0x2
	v_pk_add_f32 v[40:41], v[40:41], v[102:103]
	s_delay_alu instid0(VALU_DEP_1) | instskip(SKIP_3) | instid1(VALU_DEP_1)
	v_pk_add_f32 v[40:41], v[40:41], v[104:105]
	ds_load_2addr_stride64_b64 v[102:105], v92 offset0:11 offset1:12
	s_wait_dscnt 0x2
	v_pk_add_f32 v[40:41], v[40:41], v[44:45]
	v_pk_add_f32 v[40:41], v[40:41], v[46:47]
	ds_load_2addr_stride64_b64 v[44:47], v92 offset0:13 offset1:14
	s_wait_dscnt 0x2
	v_pk_add_f32 v[40:41], v[40:41], v[98:99]
	ds_load_b64 v[98:99], v92 offset:7680
	v_pk_add_f32 v[40:41], v[40:41], v[100:101]
	s_wait_dscnt 0x2
	s_delay_alu instid0(VALU_DEP_1) | instskip(NEXT) | instid1(VALU_DEP_1)
	v_pk_add_f32 v[40:41], v[40:41], v[102:103]
	v_pk_add_f32 v[40:41], v[40:41], v[104:105]
	s_wait_dscnt 0x1
	s_delay_alu instid0(VALU_DEP_1) | instskip(NEXT) | instid1(VALU_DEP_1)
	v_pk_add_f32 v[40:41], v[40:41], v[44:45]
	v_pk_add_f32 v[40:41], v[40:41], v[46:47]
	s_wait_dscnt 0x0
	s_delay_alu instid0(VALU_DEP_1) | instskip(SKIP_1) | instid1(SALU_CYCLE_1)
	v_pk_add_f32 v[44:45], v[40:41], v[98:99]
	s_or_b32 exec_lo, exec_lo, s86
	s_and_b32 vcc_lo, exec_lo, s63
	s_cbranch_vccnz .LBB62_1016
	s_branch .LBB62_1058
.LBB62_1015:                            ;   in Loop: Header=BB62_3 Depth=1
	s_mov_b32 s62, 0
                                        ; implicit-def: $vgpr44_vgpr45
	s_cbranch_execz .LBB62_1058
.LBB62_1016:                            ;   in Loop: Header=BB62_3 Depth=1
	v_dual_mov_b32 v2, v6 :: v_dual_mov_b32 v5, v89
	s_mov_b32 s63, 0
	s_branch .LBB62_1018
.LBB62_1017:                            ;   in Loop: Header=BB62_1018 Depth=2
	s_or_b32 exec_lo, exec_lo, s12
	v_add_nc_u32_e32 v5, 0x800, v5
	v_add_nc_u32_e32 v2, -4, v2
	s_add_co_i32 s63, s63, 4
	s_delay_alu instid0(SALU_CYCLE_1)
	s_cmp_lg_u32 s63, 64
	s_barrier_signal -1
	s_barrier_wait -1
	s_cbranch_scc0 .LBB62_1034
.LBB62_1018:                            ;   Parent Loop BB62_3 Depth=1
                                        ; =>  This Inner Loop Header: Depth=2
	s_delay_alu instid0(VALU_DEP_1) | instskip(SKIP_1) | instid1(SALU_CYCLE_1)
	v_cmp_eq_u32_e32 vcc_lo, 0, v2
	s_and_b32 s60, s3, vcc_lo
	s_and_saveexec_b32 s12, s60
; %bb.1019:                             ;   in Loop: Header=BB62_1018 Depth=2
	ds_store_b64 v3, v[42:43] offset:41472
; %bb.1020:                             ;   in Loop: Header=BB62_1018 Depth=2
	s_or_b32 exec_lo, exec_lo, s12
	v_cmp_lt_u32_e32 vcc_lo, s63, v6
	s_wait_dscnt 0x0
	s_barrier_signal -1
	s_barrier_wait -1
	s_and_b32 s60, s3, vcc_lo
	s_delay_alu instid0(SALU_CYCLE_1)
	s_and_saveexec_b32 s12, s60
	s_cbranch_execz .LBB62_1022
; %bb.1021:                             ;   in Loop: Header=BB62_1018 Depth=2
	ds_load_b64 v[40:41], v5
	ds_load_b64 v[44:45], v3 offset:41472
	s_wait_dscnt 0x0
	v_pk_mul_f32 v[46:47], v[44:45], v[40:41] op_sel:[1,1] op_sel_hi:[0,1]
	s_delay_alu instid0(VALU_DEP_1) | instskip(SKIP_1) | instid1(VALU_DEP_2)
	v_pk_fma_f32 v[98:99], v[44:45], v[40:41], v[46:47] op_sel_hi:[1,0,1]
	v_pk_fma_f32 v[40:41], v[44:45], v[40:41], v[46:47] neg_lo:[0,0,1] neg_hi:[0,0,1]
	v_mov_b32_e32 v41, v99
	s_delay_alu instid0(VALU_DEP_1)
	v_pk_add_f32 v[42:43], v[42:43], v[40:41]
.LBB62_1022:                            ;   in Loop: Header=BB62_1018 Depth=2
	s_or_b32 exec_lo, exec_lo, s12
	s_or_b32 s12, s63, 1
	s_delay_alu instid0(SALU_CYCLE_1) | instskip(SKIP_3) | instid1(SALU_CYCLE_1)
	v_cmp_eq_u32_e32 vcc_lo, s12, v6
	s_barrier_signal -1
	s_barrier_wait -1
	s_and_b32 s60, s3, vcc_lo
	s_and_saveexec_b32 s86, s60
; %bb.1023:                             ;   in Loop: Header=BB62_1018 Depth=2
	ds_store_b64 v3, v[42:43] offset:41472
; %bb.1024:                             ;   in Loop: Header=BB62_1018 Depth=2
	s_or_b32 exec_lo, exec_lo, s86
	v_cmp_lt_u32_e32 vcc_lo, s12, v6
	s_wait_dscnt 0x0
	s_barrier_signal -1
	s_barrier_wait -1
	s_and_b32 s60, s3, vcc_lo
	s_delay_alu instid0(SALU_CYCLE_1)
	s_and_saveexec_b32 s12, s60
	s_cbranch_execz .LBB62_1026
; %bb.1025:                             ;   in Loop: Header=BB62_1018 Depth=2
	ds_load_b64 v[40:41], v5 offset:512
	ds_load_b64 v[44:45], v3 offset:41472
	s_wait_dscnt 0x0
	v_pk_mul_f32 v[46:47], v[44:45], v[40:41] op_sel:[1,1] op_sel_hi:[0,1]
	s_delay_alu instid0(VALU_DEP_1) | instskip(SKIP_1) | instid1(VALU_DEP_2)
	v_pk_fma_f32 v[98:99], v[44:45], v[40:41], v[46:47] op_sel_hi:[1,0,1]
	v_pk_fma_f32 v[40:41], v[44:45], v[40:41], v[46:47] neg_lo:[0,0,1] neg_hi:[0,0,1]
	v_mov_b32_e32 v41, v99
	s_delay_alu instid0(VALU_DEP_1)
	v_pk_add_f32 v[42:43], v[42:43], v[40:41]
.LBB62_1026:                            ;   in Loop: Header=BB62_1018 Depth=2
	s_or_b32 exec_lo, exec_lo, s12
	s_or_b32 s12, s63, 2
	s_delay_alu instid0(SALU_CYCLE_1) | instskip(SKIP_3) | instid1(SALU_CYCLE_1)
	v_cmp_eq_u32_e32 vcc_lo, s12, v6
	s_barrier_signal -1
	s_barrier_wait -1
	s_and_b32 s60, s3, vcc_lo
	s_and_saveexec_b32 s86, s60
; %bb.1027:                             ;   in Loop: Header=BB62_1018 Depth=2
	ds_store_b64 v3, v[42:43] offset:41472
; %bb.1028:                             ;   in Loop: Header=BB62_1018 Depth=2
	s_or_b32 exec_lo, exec_lo, s86
	v_cmp_lt_u32_e32 vcc_lo, s12, v6
	s_wait_dscnt 0x0
	s_barrier_signal -1
	s_barrier_wait -1
	s_and_b32 s60, s3, vcc_lo
	s_delay_alu instid0(SALU_CYCLE_1)
	s_and_saveexec_b32 s12, s60
	s_cbranch_execz .LBB62_1030
; %bb.1029:                             ;   in Loop: Header=BB62_1018 Depth=2
	ds_load_b64 v[40:41], v5 offset:1024
	ds_load_b64 v[44:45], v3 offset:41472
	s_wait_dscnt 0x0
	v_pk_mul_f32 v[46:47], v[44:45], v[40:41] op_sel:[1,1] op_sel_hi:[0,1]
	s_delay_alu instid0(VALU_DEP_1) | instskip(SKIP_1) | instid1(VALU_DEP_2)
	v_pk_fma_f32 v[98:99], v[44:45], v[40:41], v[46:47] op_sel_hi:[1,0,1]
	v_pk_fma_f32 v[40:41], v[44:45], v[40:41], v[46:47] neg_lo:[0,0,1] neg_hi:[0,0,1]
	v_mov_b32_e32 v41, v99
	s_delay_alu instid0(VALU_DEP_1)
	v_pk_add_f32 v[42:43], v[42:43], v[40:41]
.LBB62_1030:                            ;   in Loop: Header=BB62_1018 Depth=2
	s_or_b32 exec_lo, exec_lo, s12
	s_or_b32 s12, s63, 3
	s_delay_alu instid0(SALU_CYCLE_1) | instskip(SKIP_3) | instid1(SALU_CYCLE_1)
	v_cmp_eq_u32_e32 vcc_lo, s12, v6
	s_barrier_signal -1
	s_barrier_wait -1
	s_and_b32 s60, s3, vcc_lo
	s_and_saveexec_b32 s86, s60
; %bb.1031:                             ;   in Loop: Header=BB62_1018 Depth=2
	ds_store_b64 v3, v[42:43] offset:41472
; %bb.1032:                             ;   in Loop: Header=BB62_1018 Depth=2
	s_or_b32 exec_lo, exec_lo, s86
	v_cmp_lt_u32_e32 vcc_lo, s12, v6
	s_wait_dscnt 0x0
	s_barrier_signal -1
	s_barrier_wait -1
	s_and_b32 s60, s3, vcc_lo
	s_delay_alu instid0(SALU_CYCLE_1)
	s_and_saveexec_b32 s12, s60
	s_cbranch_execz .LBB62_1017
; %bb.1033:                             ;   in Loop: Header=BB62_1018 Depth=2
	ds_load_b64 v[40:41], v5 offset:1536
	ds_load_b64 v[44:45], v3 offset:41472
	s_wait_dscnt 0x0
	v_pk_mul_f32 v[46:47], v[44:45], v[40:41] op_sel:[1,1] op_sel_hi:[0,1]
	s_delay_alu instid0(VALU_DEP_1) | instskip(SKIP_1) | instid1(VALU_DEP_2)
	v_pk_fma_f32 v[98:99], v[44:45], v[40:41], v[46:47] op_sel_hi:[1,0,1]
	v_pk_fma_f32 v[40:41], v[44:45], v[40:41], v[46:47] neg_lo:[0,0,1] neg_hi:[0,0,1]
	v_mov_b32_e32 v41, v99
	s_delay_alu instid0(VALU_DEP_1)
	v_pk_add_f32 v[42:43], v[42:43], v[40:41]
	s_branch .LBB62_1017
.LBB62_1034:                            ;   in Loop: Header=BB62_3 Depth=1
	s_and_b32 vcc_lo, exec_lo, s92
	s_mov_b32 s12, -1
	s_cbranch_vccz .LBB62_1036
; %bb.1035:                             ;   in Loop: Header=BB62_3 Depth=1
	s_and_not1_b32 s60, s62, exec_lo
	s_and_b32 s61, s3, exec_lo
	s_mov_b32 s12, 0
	s_or_b32 s62, s60, s61
.LBB62_1036:                            ;   in Loop: Header=BB62_3 Depth=1
	s_and_not1_b32 vcc_lo, exec_lo, s12
	s_cbranch_vccnz .LBB62_1038
; %bb.1037:                             ;   in Loop: Header=BB62_3 Depth=1
	v_readlane_b32 s60, v106, 9
	s_and_not1_b32 s12, s62, exec_lo
	s_and_b32 s60, s60, exec_lo
	s_delay_alu instid0(SALU_CYCLE_1)
	s_or_b32 s62, s12, s60
.LBB62_1038:                            ;   in Loop: Header=BB62_3 Depth=1
	v_mov_b64_e32 v[40:41], v[0:1]
	s_and_saveexec_b32 s12, s62
	s_cbranch_execnz .LBB62_1059
	s_branch .LBB62_1060
.LBB62_1039:                            ;   in Loop: Header=BB62_3 Depth=1
	v_readlane_b32 s60, v106, 22
	s_and_saveexec_b32 s62, s60
; %bb.1040:                             ;   in Loop: Header=BB62_3 Depth=1
	ds_store_b64 v81, v[36:37]
; %bb.1041:                             ;   in Loop: Header=BB62_3 Depth=1
	s_or_b32 exec_lo, exec_lo, s62
	s_and_not1_saveexec_b32 s12, s12
	s_cbranch_execz .LBB62_18
.LBB62_1042:                            ;   in Loop: Header=BB62_3 Depth=1
	v_lshl_add_u64 v[44:45], v[32:33], 3, v[42:43]
	global_load_b64 v[44:45], v[44:45], off
	s_wait_loadcnt 0x0
	s_wait_xcnt 0x0
	v_pk_add_f32 v[44:45], v[44:45], 0 neg_lo:[1,1] neg_hi:[1,1]
	ds_store_b64 v81, v[44:45]
	s_or_b32 exec_lo, exec_lo, s12
	s_and_saveexec_b32 s12, s7
	s_delay_alu instid0(SALU_CYCLE_1)
	s_xor_b32 s12, exec_lo, s12
	s_cbranch_execz .LBB62_19
.LBB62_1043:                            ;   in Loop: Header=BB62_3 Depth=1
	v_readlane_b32 s60, v97, 2
	s_and_saveexec_b32 s62, s60
; %bb.1044:                             ;   in Loop: Header=BB62_3 Depth=1
	ds_store_b64 v82, v[36:37]
; %bb.1045:                             ;   in Loop: Header=BB62_3 Depth=1
	s_or_b32 exec_lo, exec_lo, s62
	s_and_not1_saveexec_b32 s12, s12
	s_cbranch_execz .LBB62_20
.LBB62_1046:                            ;   in Loop: Header=BB62_3 Depth=1
	v_lshl_add_u64 v[44:45], v[18:19], 3, v[42:43]
	global_load_b64 v[44:45], v[44:45], off
	s_wait_loadcnt 0x0
	s_wait_xcnt 0x0
	v_pk_add_f32 v[44:45], v[44:45], 0 neg_lo:[1,1] neg_hi:[1,1]
	ds_store_b64 v82, v[44:45]
	s_or_b32 exec_lo, exec_lo, s12
	s_and_saveexec_b32 s12, s8
	s_delay_alu instid0(SALU_CYCLE_1)
	s_xor_b32 s12, exec_lo, s12
	s_cbranch_execz .LBB62_21
.LBB62_1047:                            ;   in Loop: Header=BB62_3 Depth=1
	v_readlane_b32 s60, v97, 3
	s_and_saveexec_b32 s62, s60
; %bb.1048:                             ;   in Loop: Header=BB62_3 Depth=1
	ds_store_b64 v83, v[36:37]
; %bb.1049:                             ;   in Loop: Header=BB62_3 Depth=1
	s_or_b32 exec_lo, exec_lo, s62
	s_and_not1_saveexec_b32 s12, s12
	s_cbranch_execz .LBB62_22
.LBB62_1050:                            ;   in Loop: Header=BB62_3 Depth=1
	v_lshl_add_u64 v[44:45], v[22:23], 3, v[42:43]
	global_load_b64 v[44:45], v[44:45], off
	s_wait_loadcnt 0x0
	s_wait_xcnt 0x0
	v_pk_add_f32 v[44:45], v[44:45], 0 neg_lo:[1,1] neg_hi:[1,1]
	ds_store_b64 v83, v[44:45]
	s_or_b32 exec_lo, exec_lo, s12
	s_and_saveexec_b32 s12, s9
	s_delay_alu instid0(SALU_CYCLE_1)
	s_xor_b32 s12, exec_lo, s12
	s_cbranch_execz .LBB62_23
.LBB62_1051:                            ;   in Loop: Header=BB62_3 Depth=1
	v_readlane_b32 s60, v97, 4
	s_and_saveexec_b32 s62, s60
; %bb.1052:                             ;   in Loop: Header=BB62_3 Depth=1
	ds_store_b64 v84, v[36:37]
; %bb.1053:                             ;   in Loop: Header=BB62_3 Depth=1
	s_or_b32 exec_lo, exec_lo, s62
	s_and_not1_saveexec_b32 s12, s12
	s_cbranch_execnz .LBB62_24
	s_branch .LBB62_25
.LBB62_1054:                            ;   in Loop: Header=BB62_3 Depth=1
	ds_load_b64 v[40:41], v93
	ds_load_b64 v[44:45], v86
	s_wait_dscnt 0x0
	v_dual_mul_f32 v2, v45, v41 :: v_dual_mul_f32 v5, v44, v41
	s_delay_alu instid0(VALU_DEP_1) | instskip(NEXT) | instid1(VALU_DEP_1)
	v_dual_fma_f32 v2, v44, v40, -v2 :: v_dual_fmac_f32 v5, v45, v40
	v_dual_add_f32 v40, 0, v2 :: v_dual_add_f32 v41, 0, v5
	s_or_b32 exec_lo, exec_lo, s12
	s_and_saveexec_b32 s12, s7
	s_cbranch_execz .LBB62_1010
.LBB62_1055:                            ;   in Loop: Header=BB62_3 Depth=1
	ds_load_b64 v[44:45], v93 offset:8192
	ds_load_b64 v[46:47], v86 offset:128
	s_wait_dscnt 0x0
	v_dual_mul_f32 v2, v47, v45 :: v_dual_mul_f32 v99, v46, v45
	s_delay_alu instid0(VALU_DEP_1) | instskip(NEXT) | instid1(VALU_DEP_1)
	v_dual_fma_f32 v98, v46, v44, -v2 :: v_dual_fmac_f32 v99, v47, v44
	v_pk_add_f32 v[40:41], v[40:41], v[98:99]
	s_or_b32 exec_lo, exec_lo, s12
	s_and_saveexec_b32 s12, s8
	s_cbranch_execz .LBB62_1011
.LBB62_1056:                            ;   in Loop: Header=BB62_3 Depth=1
	ds_load_b64 v[44:45], v93 offset:16384
	ds_load_b64 v[46:47], v86 offset:256
	s_wait_dscnt 0x0
	v_pk_mul_f32 v[98:99], v[46:47], v[44:45] op_sel:[1,1] op_sel_hi:[0,1]
	s_delay_alu instid0(VALU_DEP_1) | instskip(SKIP_1) | instid1(VALU_DEP_2)
	v_pk_fma_f32 v[100:101], v[46:47], v[44:45], v[98:99] op_sel_hi:[1,0,1]
	v_pk_fma_f32 v[44:45], v[46:47], v[44:45], v[98:99] neg_lo:[0,0,1] neg_hi:[0,0,1]
	v_mov_b32_e32 v45, v101
	s_delay_alu instid0(VALU_DEP_1)
	v_pk_add_f32 v[40:41], v[40:41], v[44:45]
	s_or_b32 exec_lo, exec_lo, s12
	s_and_saveexec_b32 s12, s9
	s_cbranch_execnz .LBB62_1012
	s_branch .LBB62_1013
.LBB62_1057:                            ;   in Loop: Header=BB62_3 Depth=1
	s_or_b32 exec_lo, exec_lo, s86
	s_delay_alu instid0(SALU_CYCLE_1)
	s_and_b32 vcc_lo, exec_lo, s63
	s_cbranch_vccnz .LBB62_1016
.LBB62_1058:                            ;   in Loop: Header=BB62_3 Depth=1
	v_mov_b64_e32 v[42:43], v[44:45]
	v_mov_b64_e32 v[40:41], v[30:31]
	s_and_saveexec_b32 s12, s62
	s_cbranch_execz .LBB62_1060
.LBB62_1059:                            ;   in Loop: Header=BB62_3 Depth=1
	s_delay_alu instid0(VALU_DEP_1)
	v_lshl_add_u64 v[40:41], v[40:41], 3, s[64:65]
	global_store_b64 v[40:41], v[42:43], off
.LBB62_1060:                            ;   in Loop: Header=BB62_3 Depth=1
	s_wait_xcnt 0x0
	s_or_b32 exec_lo, exec_lo, s12
	global_wb scope:SCOPE_DEV
	s_wait_storecnt 0x0
	global_inv scope:SCOPE_DEV
	s_wait_loadcnt 0x0
	s_barrier_signal -1
	s_barrier_wait -1
	s_and_saveexec_b32 s12, s34
	s_cbranch_execz .LBB62_2
; %bb.1061:                             ;   in Loop: Header=BB62_3 Depth=1
	s_lshl_b64 s[62:63], s[76:77], 2
	s_delay_alu instid0(SALU_CYCLE_1)
	s_add_nc_u64 s[62:63], s[78:79], s[62:63]
	global_load_b32 v2, v3, s[62:63]
	s_wait_loadcnt 0x0
	v_add_nc_u32_e32 v2, 1, v2
	global_store_b32 v3, v2, s[62:63]
	s_branch .LBB62_2
.LBB62_1062:                            ;   in Loop: Header=BB62_3 Depth=1
	ds_load_b64 v[44:45], v66 offset:31680
	ds_load_b64 v[46:47], v55 offset:32744
	s_wait_dscnt 0x0
	v_dual_mul_f32 v2, v47, v45 :: v_dual_mul_f32 v5, v46, v45
	s_delay_alu instid0(VALU_DEP_1) | instskip(NEXT) | instid1(VALU_DEP_1)
	v_dual_fma_f32 v2, v46, v44, -v2 :: v_dual_fmac_f32 v5, v47, v44
	v_dual_add_f32 v42, v42, v2 :: v_dual_add_f32 v43, v43, v5
	s_or_b32 exec_lo, exec_lo, s12
	s_and_saveexec_b32 s12, s15
	s_cbranch_execz .LBB62_74
.LBB62_1063:                            ;   in Loop: Header=BB62_3 Depth=1
	ds_load_b64 v[44:45], v66 offset:32192
	ds_load_b64 v[46:47], v55 offset:32752
	s_wait_dscnt 0x0
	v_dual_mul_f32 v2, v47, v45 :: v_dual_mul_f32 v99, v46, v45
	s_delay_alu instid0(VALU_DEP_1) | instskip(NEXT) | instid1(VALU_DEP_1)
	v_dual_fma_f32 v98, v46, v44, -v2 :: v_dual_fmac_f32 v99, v47, v44
	v_pk_add_f32 v[42:43], v[42:43], v[98:99]
	s_or_b32 exec_lo, exec_lo, s12
	s_and_saveexec_b32 s12, s2
	s_cbranch_execnz .LBB62_75
	s_branch .LBB62_76
.LBB62_1064:                            ;   in Loop: Header=BB62_3 Depth=1
	ds_load_b64 v[44:45], v68 offset:29568
	ds_load_b64 v[46:47], v59 offset:32712
	s_wait_dscnt 0x0
	v_dual_mul_f32 v2, v47, v45 :: v_dual_mul_f32 v5, v46, v45
	s_delay_alu instid0(VALU_DEP_1) | instskip(NEXT) | instid1(VALU_DEP_1)
	v_dual_fma_f32 v2, v46, v44, -v2 :: v_dual_fmac_f32 v5, v47, v44
	v_dual_add_f32 v42, v42, v2 :: v_dual_add_f32 v43, v43, v5
	s_or_b32 exec_lo, exec_lo, s12
	s_and_saveexec_b32 s12, s17
	s_cbranch_execz .LBB62_116
.LBB62_1065:                            ;   in Loop: Header=BB62_3 Depth=1
	ds_load_b64 v[44:45], v68 offset:30080
	ds_load_b64 v[46:47], v59 offset:32720
	s_wait_dscnt 0x0
	v_dual_mul_f32 v2, v47, v45 :: v_dual_mul_f32 v5, v46, v45
	s_delay_alu instid0(VALU_DEP_1) | instskip(NEXT) | instid1(VALU_DEP_1)
	v_dual_fma_f32 v2, v46, v44, -v2 :: v_dual_fmac_f32 v5, v47, v44
	v_dual_add_f32 v42, v42, v2 :: v_dual_add_f32 v43, v43, v5
	s_or_b32 exec_lo, exec_lo, s12
	s_and_saveexec_b32 s12, s18
	s_cbranch_execz .LBB62_117
.LBB62_1066:                            ;   in Loop: Header=BB62_3 Depth=1
	ds_load_b64 v[44:45], v68 offset:30592
	ds_load_b64 v[46:47], v59 offset:32728
	s_wait_dscnt 0x0
	v_dual_mul_f32 v2, v47, v45 :: v_dual_mul_f32 v5, v46, v45
	s_delay_alu instid0(VALU_DEP_1) | instskip(NEXT) | instid1(VALU_DEP_1)
	v_dual_fma_f32 v2, v46, v44, -v2 :: v_dual_fmac_f32 v5, v47, v44
	v_dual_add_f32 v42, v42, v2 :: v_dual_add_f32 v43, v43, v5
	s_or_b32 exec_lo, exec_lo, s12
	s_and_saveexec_b32 s12, s19
	s_cbranch_execz .LBB62_118
.LBB62_1067:                            ;   in Loop: Header=BB62_3 Depth=1
	ds_load_b64 v[44:45], v68 offset:31104
	ds_load_b64 v[46:47], v59 offset:32736
	s_wait_dscnt 0x0
	v_dual_mul_f32 v2, v47, v45 :: v_dual_mul_f32 v99, v46, v45
	s_delay_alu instid0(VALU_DEP_1) | instskip(NEXT) | instid1(VALU_DEP_1)
	v_dual_fma_f32 v98, v46, v44, -v2 :: v_dual_fmac_f32 v99, v47, v44
	v_pk_add_f32 v[42:43], v[42:43], v[98:99]
	s_or_b32 exec_lo, exec_lo, s12
	s_and_saveexec_b32 s12, s20
	s_cbranch_execz .LBB62_119
.LBB62_1068:                            ;   in Loop: Header=BB62_3 Depth=1
	ds_load_b64 v[44:45], v68 offset:31616
	ds_load_b64 v[46:47], v59 offset:32744
	s_wait_dscnt 0x0
	v_pk_mul_f32 v[98:99], v[46:47], v[44:45] op_sel:[1,1] op_sel_hi:[0,1]
	s_delay_alu instid0(VALU_DEP_1) | instskip(SKIP_1) | instid1(VALU_DEP_2)
	v_pk_fma_f32 v[100:101], v[46:47], v[44:45], v[98:99] op_sel_hi:[1,0,1]
	v_pk_fma_f32 v[44:45], v[46:47], v[44:45], v[98:99] neg_lo:[0,0,1] neg_hi:[0,0,1]
	v_mov_b32_e32 v45, v101
	s_delay_alu instid0(VALU_DEP_1)
	v_pk_add_f32 v[42:43], v[42:43], v[44:45]
	s_or_b32 exec_lo, exec_lo, s12
	s_and_saveexec_b32 s12, s4
	s_cbranch_execz .LBB62_120
.LBB62_1069:                            ;   in Loop: Header=BB62_3 Depth=1
	ds_load_b64 v[44:45], v68 offset:32128
	ds_load_b64 v[46:47], v59 offset:32752
	s_wait_dscnt 0x0
	v_pk_mul_f32 v[98:99], v[46:47], v[44:45] op_sel:[1,1] op_sel_hi:[0,1]
	s_delay_alu instid0(VALU_DEP_1) | instskip(SKIP_1) | instid1(VALU_DEP_2)
	v_pk_fma_f32 v[100:101], v[46:47], v[44:45], v[98:99] op_sel_hi:[1,0,1]
	v_pk_fma_f32 v[44:45], v[46:47], v[44:45], v[98:99] neg_lo:[0,0,1] neg_hi:[0,0,1]
	v_mov_b32_e32 v45, v101
	s_delay_alu instid0(VALU_DEP_1)
	v_pk_add_f32 v[42:43], v[42:43], v[44:45]
	s_or_b32 exec_lo, exec_lo, s12
	s_and_saveexec_b32 s12, s15
	s_cbranch_execnz .LBB62_121
	s_branch .LBB62_122
.LBB62_1070:                            ;   in Loop: Header=BB62_3 Depth=1
	ds_load_b64 v[44:45], v66 offset:27520
	ds_load_b64 v[46:47], v55 offset:28584
	s_wait_dscnt 0x0
	v_dual_mul_f32 v2, v47, v45 :: v_dual_mul_f32 v5, v46, v45
	s_delay_alu instid0(VALU_DEP_1) | instskip(NEXT) | instid1(VALU_DEP_1)
	v_dual_fma_f32 v2, v46, v44, -v2 :: v_dual_fmac_f32 v5, v47, v44
	v_dual_add_f32 v42, v42, v2 :: v_dual_add_f32 v43, v43, v5
	s_or_b32 exec_lo, exec_lo, s12
	s_and_saveexec_b32 s12, s15
	s_cbranch_execz .LBB62_178
.LBB62_1071:                            ;   in Loop: Header=BB62_3 Depth=1
	ds_load_b64 v[44:45], v66 offset:28032
	ds_load_b64 v[46:47], v55 offset:28592
	s_wait_dscnt 0x0
	v_dual_mul_f32 v2, v47, v45 :: v_dual_mul_f32 v99, v46, v45
	s_delay_alu instid0(VALU_DEP_1) | instskip(NEXT) | instid1(VALU_DEP_1)
	v_dual_fma_f32 v98, v46, v44, -v2 :: v_dual_fmac_f32 v99, v47, v44
	v_pk_add_f32 v[42:43], v[42:43], v[98:99]
	s_or_b32 exec_lo, exec_lo, s12
	s_and_saveexec_b32 s12, s2
	s_cbranch_execnz .LBB62_179
	s_branch .LBB62_180
.LBB62_1072:                            ;   in Loop: Header=BB62_3 Depth=1
	ds_load_b64 v[44:45], v70 offset:30464
	ds_load_b64 v[46:47], v61 offset:32728
	s_wait_dscnt 0x0
	v_dual_mul_f32 v2, v47, v45 :: v_dual_mul_f32 v5, v46, v45
	s_delay_alu instid0(VALU_DEP_1) | instskip(NEXT) | instid1(VALU_DEP_1)
	v_dual_fma_f32 v2, v46, v44, -v2 :: v_dual_fmac_f32 v5, v47, v44
	v_dual_add_f32 v42, v42, v2 :: v_dual_add_f32 v43, v43, v5
	s_or_b32 exec_lo, exec_lo, s12
	s_and_saveexec_b32 s12, s5
	s_cbranch_execz .LBB62_240
.LBB62_1073:                            ;   in Loop: Header=BB62_3 Depth=1
	ds_load_b64 v[44:45], v70 offset:30976
	ds_load_b64 v[46:47], v61 offset:32736
	s_wait_dscnt 0x0
	v_dual_mul_f32 v2, v47, v45 :: v_dual_mul_f32 v5, v46, v45
	s_delay_alu instid0(VALU_DEP_1) | instskip(NEXT) | instid1(VALU_DEP_1)
	v_dual_fma_f32 v2, v46, v44, -v2 :: v_dual_fmac_f32 v5, v47, v44
	v_dual_add_f32 v42, v42, v2 :: v_dual_add_f32 v43, v43, v5
	s_or_b32 exec_lo, exec_lo, s12
	s_and_saveexec_b32 s12, s17
	s_cbranch_execz .LBB62_241
.LBB62_1074:                            ;   in Loop: Header=BB62_3 Depth=1
	ds_load_b64 v[44:45], v70 offset:31488
	ds_load_b64 v[46:47], v61 offset:32744
	s_wait_dscnt 0x0
	v_dual_mul_f32 v2, v47, v45 :: v_dual_mul_f32 v5, v46, v45
	s_delay_alu instid0(VALU_DEP_1) | instskip(NEXT) | instid1(VALU_DEP_1)
	v_dual_fma_f32 v2, v46, v44, -v2 :: v_dual_fmac_f32 v5, v47, v44
	v_dual_add_f32 v42, v42, v2 :: v_dual_add_f32 v43, v43, v5
	s_or_b32 exec_lo, exec_lo, s12
	s_and_saveexec_b32 s12, s19
	s_cbranch_execz .LBB62_242
.LBB62_1075:                            ;   in Loop: Header=BB62_3 Depth=1
	ds_load_b64 v[44:45], v70 offset:32000
	ds_load_b64 v[46:47], v61 offset:32752
	s_wait_dscnt 0x0
	v_dual_mul_f32 v2, v47, v45 :: v_dual_mul_f32 v99, v46, v45
	s_delay_alu instid0(VALU_DEP_1) | instskip(NEXT) | instid1(VALU_DEP_1)
	v_dual_fma_f32 v98, v46, v44, -v2 :: v_dual_fmac_f32 v99, v47, v44
	v_pk_add_f32 v[42:43], v[42:43], v[98:99]
	s_or_b32 exec_lo, exec_lo, s12
	s_and_saveexec_b32 s12, s4
	s_cbranch_execnz .LBB62_243
	s_branch .LBB62_244
.LBB62_1076:                            ;   in Loop: Header=BB62_3 Depth=1
	ds_load_b64 v[44:45], v66 offset:23360
	ds_load_b64 v[46:47], v55 offset:24424
	s_wait_dscnt 0x0
	v_dual_mul_f32 v2, v47, v45 :: v_dual_mul_f32 v5, v46, v45
	s_delay_alu instid0(VALU_DEP_1) | instskip(NEXT) | instid1(VALU_DEP_1)
	v_dual_fma_f32 v2, v46, v44, -v2 :: v_dual_fmac_f32 v5, v47, v44
	v_dual_add_f32 v42, v42, v2 :: v_dual_add_f32 v43, v43, v5
	s_or_b32 exec_lo, exec_lo, s12
	s_and_saveexec_b32 s12, s15
	s_cbranch_execz .LBB62_332
.LBB62_1077:                            ;   in Loop: Header=BB62_3 Depth=1
	ds_load_b64 v[44:45], v66 offset:23872
	ds_load_b64 v[46:47], v55 offset:24432
	s_wait_dscnt 0x0
	v_dual_mul_f32 v2, v47, v45 :: v_dual_mul_f32 v99, v46, v45
	s_delay_alu instid0(VALU_DEP_1) | instskip(NEXT) | instid1(VALU_DEP_1)
	v_dual_fma_f32 v98, v46, v44, -v2 :: v_dual_fmac_f32 v99, v47, v44
	v_pk_add_f32 v[42:43], v[42:43], v[98:99]
	s_or_b32 exec_lo, exec_lo, s12
	s_and_saveexec_b32 s12, s2
	s_cbranch_execnz .LBB62_333
	s_branch .LBB62_334
.LBB62_1078:                            ;   in Loop: Header=BB62_3 Depth=1
	ds_load_b64 v[44:45], v68 offset:21248
	ds_load_b64 v[46:47], v59 offset:24392
	s_wait_dscnt 0x0
	v_dual_mul_f32 v2, v47, v45 :: v_dual_mul_f32 v5, v46, v45
	s_delay_alu instid0(VALU_DEP_1) | instskip(NEXT) | instid1(VALU_DEP_1)
	v_dual_fma_f32 v2, v46, v44, -v2 :: v_dual_fmac_f32 v5, v47, v44
	v_dual_add_f32 v42, v42, v2 :: v_dual_add_f32 v43, v43, v5
	s_or_b32 exec_lo, exec_lo, s12
	s_and_saveexec_b32 s12, s17
	s_cbranch_execz .LBB62_374
.LBB62_1079:                            ;   in Loop: Header=BB62_3 Depth=1
	ds_load_b64 v[44:45], v68 offset:21760
	ds_load_b64 v[46:47], v59 offset:24400
	s_wait_dscnt 0x0
	v_dual_mul_f32 v2, v47, v45 :: v_dual_mul_f32 v5, v46, v45
	s_delay_alu instid0(VALU_DEP_1) | instskip(NEXT) | instid1(VALU_DEP_1)
	v_dual_fma_f32 v2, v46, v44, -v2 :: v_dual_fmac_f32 v5, v47, v44
	v_dual_add_f32 v42, v42, v2 :: v_dual_add_f32 v43, v43, v5
	s_or_b32 exec_lo, exec_lo, s12
	s_and_saveexec_b32 s12, s18
	s_cbranch_execz .LBB62_375
.LBB62_1080:                            ;   in Loop: Header=BB62_3 Depth=1
	ds_load_b64 v[44:45], v68 offset:22272
	ds_load_b64 v[46:47], v59 offset:24408
	s_wait_dscnt 0x0
	v_dual_mul_f32 v2, v47, v45 :: v_dual_mul_f32 v5, v46, v45
	s_delay_alu instid0(VALU_DEP_1) | instskip(NEXT) | instid1(VALU_DEP_1)
	v_dual_fma_f32 v2, v46, v44, -v2 :: v_dual_fmac_f32 v5, v47, v44
	v_dual_add_f32 v42, v42, v2 :: v_dual_add_f32 v43, v43, v5
	s_or_b32 exec_lo, exec_lo, s12
	s_and_saveexec_b32 s12, s19
	s_cbranch_execz .LBB62_376
.LBB62_1081:                            ;   in Loop: Header=BB62_3 Depth=1
	ds_load_b64 v[44:45], v68 offset:22784
	ds_load_b64 v[46:47], v59 offset:24416
	s_wait_dscnt 0x0
	v_dual_mul_f32 v2, v47, v45 :: v_dual_mul_f32 v99, v46, v45
	s_delay_alu instid0(VALU_DEP_1) | instskip(NEXT) | instid1(VALU_DEP_1)
	v_dual_fma_f32 v98, v46, v44, -v2 :: v_dual_fmac_f32 v99, v47, v44
	v_pk_add_f32 v[42:43], v[42:43], v[98:99]
	s_or_b32 exec_lo, exec_lo, s12
	s_and_saveexec_b32 s12, s20
	s_cbranch_execz .LBB62_377
.LBB62_1082:                            ;   in Loop: Header=BB62_3 Depth=1
	ds_load_b64 v[44:45], v68 offset:23296
	ds_load_b64 v[46:47], v59 offset:24424
	s_wait_dscnt 0x0
	v_pk_mul_f32 v[98:99], v[46:47], v[44:45] op_sel:[1,1] op_sel_hi:[0,1]
	s_delay_alu instid0(VALU_DEP_1) | instskip(SKIP_1) | instid1(VALU_DEP_2)
	v_pk_fma_f32 v[100:101], v[46:47], v[44:45], v[98:99] op_sel_hi:[1,0,1]
	v_pk_fma_f32 v[44:45], v[46:47], v[44:45], v[98:99] neg_lo:[0,0,1] neg_hi:[0,0,1]
	v_mov_b32_e32 v45, v101
	s_delay_alu instid0(VALU_DEP_1)
	v_pk_add_f32 v[42:43], v[42:43], v[44:45]
	s_or_b32 exec_lo, exec_lo, s12
	s_and_saveexec_b32 s12, s4
	s_cbranch_execz .LBB62_378
.LBB62_1083:                            ;   in Loop: Header=BB62_3 Depth=1
	ds_load_b64 v[44:45], v68 offset:23808
	ds_load_b64 v[46:47], v59 offset:24432
	s_wait_dscnt 0x0
	v_pk_mul_f32 v[98:99], v[46:47], v[44:45] op_sel:[1,1] op_sel_hi:[0,1]
	s_delay_alu instid0(VALU_DEP_1) | instskip(SKIP_1) | instid1(VALU_DEP_2)
	v_pk_fma_f32 v[100:101], v[46:47], v[44:45], v[98:99] op_sel_hi:[1,0,1]
	v_pk_fma_f32 v[44:45], v[46:47], v[44:45], v[98:99] neg_lo:[0,0,1] neg_hi:[0,0,1]
	v_mov_b32_e32 v45, v101
	s_delay_alu instid0(VALU_DEP_1)
	v_pk_add_f32 v[42:43], v[42:43], v[44:45]
	s_or_b32 exec_lo, exec_lo, s12
	s_and_saveexec_b32 s12, s15
	s_cbranch_execnz .LBB62_379
	s_branch .LBB62_380
.LBB62_1084:                            ;   in Loop: Header=BB62_3 Depth=1
	ds_load_b64 v[44:45], v66 offset:19200
	ds_load_b64 v[46:47], v55 offset:20264
	s_wait_dscnt 0x0
	v_dual_mul_f32 v2, v47, v45 :: v_dual_mul_f32 v5, v46, v45
	s_delay_alu instid0(VALU_DEP_1) | instskip(NEXT) | instid1(VALU_DEP_1)
	v_dual_fma_f32 v2, v46, v44, -v2 :: v_dual_fmac_f32 v5, v47, v44
	v_dual_add_f32 v42, v42, v2 :: v_dual_add_f32 v43, v43, v5
	s_or_b32 exec_lo, exec_lo, s12
	s_and_saveexec_b32 s12, s15
	s_cbranch_execz .LBB62_436
.LBB62_1085:                            ;   in Loop: Header=BB62_3 Depth=1
	ds_load_b64 v[44:45], v66 offset:19712
	ds_load_b64 v[46:47], v55 offset:20272
	s_wait_dscnt 0x0
	v_dual_mul_f32 v2, v47, v45 :: v_dual_mul_f32 v99, v46, v45
	s_delay_alu instid0(VALU_DEP_1) | instskip(NEXT) | instid1(VALU_DEP_1)
	v_dual_fma_f32 v98, v46, v44, -v2 :: v_dual_fmac_f32 v99, v47, v44
	v_pk_add_f32 v[42:43], v[42:43], v[98:99]
	s_or_b32 exec_lo, exec_lo, s12
	s_and_saveexec_b32 s12, s2
	s_cbranch_execnz .LBB62_437
	s_branch .LBB62_438
.LBB62_1086:                            ;   in Loop: Header=BB62_3 Depth=1
	ds_load_b64 v[44:45], v62 offset:31232
	ds_load_b64 v[46:47], v63 offset:32744
	s_wait_dscnt 0x0
	v_pk_mul_f32 v[98:99], v[46:47], v[44:45] op_sel:[1,1] op_sel_hi:[0,1]
	s_delay_alu instid0(VALU_DEP_1) | instskip(SKIP_1) | instid1(VALU_DEP_2)
	v_pk_fma_f32 v[100:101], v[46:47], v[44:45], v[98:99] op_sel_hi:[1,0,1]
	v_pk_fma_f32 v[44:45], v[46:47], v[44:45], v[98:99] neg_lo:[0,0,1] neg_hi:[0,0,1]
	v_mov_b32_e32 v45, v101
	s_delay_alu instid0(VALU_DEP_1)
	v_pk_add_f32 v[42:43], v[42:43], v[44:45]
	s_or_b32 exec_lo, exec_lo, s12
	s_and_saveexec_b32 s12, s5
	s_cbranch_execz .LBB62_534
.LBB62_1087:                            ;   in Loop: Header=BB62_3 Depth=1
	ds_load_b64 v[44:45], v62 offset:31744
	ds_load_b64 v[46:47], v63 offset:32752
	s_wait_dscnt 0x0
	v_pk_mul_f32 v[98:99], v[46:47], v[44:45] op_sel:[1,1] op_sel_hi:[0,1]
	s_delay_alu instid0(VALU_DEP_1) | instskip(SKIP_1) | instid1(VALU_DEP_2)
	v_pk_fma_f32 v[100:101], v[46:47], v[44:45], v[98:99] op_sel_hi:[1,0,1]
	v_pk_fma_f32 v[44:45], v[46:47], v[44:45], v[98:99] neg_lo:[0,0,1] neg_hi:[0,0,1]
	v_mov_b32_e32 v45, v101
	s_delay_alu instid0(VALU_DEP_1) | instskip(SKIP_2) | instid1(SALU_CYCLE_1)
	v_pk_add_f32 v[42:43], v[42:43], v[44:45]
	s_or_b32 exec_lo, exec_lo, s12
	s_and_saveexec_b32 s12, s19
	s_xor_b32 s12, exec_lo, s12
	s_cbranch_execnz .LBB62_535
	s_branch .LBB62_536
.LBB62_1088:                            ;   in Loop: Header=BB62_3 Depth=1
	ds_load_b64 v[44:45], v66 offset:15040
	ds_load_b64 v[46:47], v55 offset:16104
	s_wait_dscnt 0x0
	v_dual_mul_f32 v2, v47, v45 :: v_dual_mul_f32 v5, v46, v45
	s_delay_alu instid0(VALU_DEP_1) | instskip(NEXT) | instid1(VALU_DEP_1)
	v_dual_fma_f32 v2, v46, v44, -v2 :: v_dual_fmac_f32 v5, v47, v44
	v_dual_add_f32 v42, v42, v2 :: v_dual_add_f32 v43, v43, v5
	s_or_b32 exec_lo, exec_lo, s12
	s_and_saveexec_b32 s12, s15
	s_cbranch_execz .LBB62_580
.LBB62_1089:                            ;   in Loop: Header=BB62_3 Depth=1
	ds_load_b64 v[44:45], v66 offset:15552
	ds_load_b64 v[46:47], v55 offset:16112
	s_wait_dscnt 0x0
	v_dual_mul_f32 v2, v47, v45 :: v_dual_mul_f32 v99, v46, v45
	s_delay_alu instid0(VALU_DEP_1) | instskip(NEXT) | instid1(VALU_DEP_1)
	v_dual_fma_f32 v98, v46, v44, -v2 :: v_dual_fmac_f32 v99, v47, v44
	v_pk_add_f32 v[42:43], v[42:43], v[98:99]
	s_or_b32 exec_lo, exec_lo, s12
	s_and_saveexec_b32 s12, s2
	s_cbranch_execnz .LBB62_581
	s_branch .LBB62_582
.LBB62_1090:                            ;   in Loop: Header=BB62_3 Depth=1
	ds_load_b64 v[44:45], v68 offset:12928
	ds_load_b64 v[46:47], v59 offset:16072
	s_wait_dscnt 0x0
	v_dual_mul_f32 v2, v47, v45 :: v_dual_mul_f32 v5, v46, v45
	s_delay_alu instid0(VALU_DEP_1) | instskip(NEXT) | instid1(VALU_DEP_1)
	v_dual_fma_f32 v2, v46, v44, -v2 :: v_dual_fmac_f32 v5, v47, v44
	v_dual_add_f32 v42, v42, v2 :: v_dual_add_f32 v43, v43, v5
	s_or_b32 exec_lo, exec_lo, s12
	s_and_saveexec_b32 s12, s17
	s_cbranch_execz .LBB62_622
.LBB62_1091:                            ;   in Loop: Header=BB62_3 Depth=1
	ds_load_b64 v[44:45], v68 offset:13440
	ds_load_b64 v[46:47], v59 offset:16080
	s_wait_dscnt 0x0
	v_dual_mul_f32 v2, v47, v45 :: v_dual_mul_f32 v5, v46, v45
	s_delay_alu instid0(VALU_DEP_1) | instskip(NEXT) | instid1(VALU_DEP_1)
	v_dual_fma_f32 v2, v46, v44, -v2 :: v_dual_fmac_f32 v5, v47, v44
	v_dual_add_f32 v42, v42, v2 :: v_dual_add_f32 v43, v43, v5
	s_or_b32 exec_lo, exec_lo, s12
	s_and_saveexec_b32 s12, s18
	s_cbranch_execz .LBB62_623
.LBB62_1092:                            ;   in Loop: Header=BB62_3 Depth=1
	ds_load_b64 v[44:45], v68 offset:13952
	ds_load_b64 v[46:47], v59 offset:16088
	s_wait_dscnt 0x0
	v_dual_mul_f32 v2, v47, v45 :: v_dual_mul_f32 v5, v46, v45
	s_delay_alu instid0(VALU_DEP_1) | instskip(NEXT) | instid1(VALU_DEP_1)
	v_dual_fma_f32 v2, v46, v44, -v2 :: v_dual_fmac_f32 v5, v47, v44
	v_dual_add_f32 v42, v42, v2 :: v_dual_add_f32 v43, v43, v5
	s_or_b32 exec_lo, exec_lo, s12
	s_and_saveexec_b32 s12, s19
	s_cbranch_execz .LBB62_624
.LBB62_1093:                            ;   in Loop: Header=BB62_3 Depth=1
	ds_load_b64 v[44:45], v68 offset:14464
	ds_load_b64 v[46:47], v59 offset:16096
	s_wait_dscnt 0x0
	v_dual_mul_f32 v2, v47, v45 :: v_dual_mul_f32 v99, v46, v45
	s_delay_alu instid0(VALU_DEP_1) | instskip(NEXT) | instid1(VALU_DEP_1)
	v_dual_fma_f32 v98, v46, v44, -v2 :: v_dual_fmac_f32 v99, v47, v44
	v_pk_add_f32 v[42:43], v[42:43], v[98:99]
	s_or_b32 exec_lo, exec_lo, s12
	s_and_saveexec_b32 s12, s20
	s_cbranch_execz .LBB62_625
.LBB62_1094:                            ;   in Loop: Header=BB62_3 Depth=1
	ds_load_b64 v[44:45], v68 offset:14976
	ds_load_b64 v[46:47], v59 offset:16104
	s_wait_dscnt 0x0
	v_pk_mul_f32 v[98:99], v[46:47], v[44:45] op_sel:[1,1] op_sel_hi:[0,1]
	s_delay_alu instid0(VALU_DEP_1) | instskip(SKIP_1) | instid1(VALU_DEP_2)
	v_pk_fma_f32 v[100:101], v[46:47], v[44:45], v[98:99] op_sel_hi:[1,0,1]
	v_pk_fma_f32 v[44:45], v[46:47], v[44:45], v[98:99] neg_lo:[0,0,1] neg_hi:[0,0,1]
	v_mov_b32_e32 v45, v101
	s_delay_alu instid0(VALU_DEP_1)
	v_pk_add_f32 v[42:43], v[42:43], v[44:45]
	s_or_b32 exec_lo, exec_lo, s12
	s_and_saveexec_b32 s12, s4
	s_cbranch_execz .LBB62_626
.LBB62_1095:                            ;   in Loop: Header=BB62_3 Depth=1
	ds_load_b64 v[44:45], v68 offset:15488
	ds_load_b64 v[46:47], v59 offset:16112
	s_wait_dscnt 0x0
	v_pk_mul_f32 v[98:99], v[46:47], v[44:45] op_sel:[1,1] op_sel_hi:[0,1]
	s_delay_alu instid0(VALU_DEP_1) | instskip(SKIP_1) | instid1(VALU_DEP_2)
	v_pk_fma_f32 v[100:101], v[46:47], v[44:45], v[98:99] op_sel_hi:[1,0,1]
	v_pk_fma_f32 v[44:45], v[46:47], v[44:45], v[98:99] neg_lo:[0,0,1] neg_hi:[0,0,1]
	v_mov_b32_e32 v45, v101
	s_delay_alu instid0(VALU_DEP_1)
	v_pk_add_f32 v[42:43], v[42:43], v[44:45]
	s_or_b32 exec_lo, exec_lo, s12
	s_and_saveexec_b32 s12, s15
	s_cbranch_execnz .LBB62_627
	s_branch .LBB62_628
.LBB62_1096:                            ;   in Loop: Header=BB62_3 Depth=1
	ds_load_b64 v[44:45], v66 offset:10880
	ds_load_b64 v[46:47], v55 offset:11944
	s_wait_dscnt 0x0
	v_dual_mul_f32 v2, v47, v45 :: v_dual_mul_f32 v5, v46, v45
	s_delay_alu instid0(VALU_DEP_1) | instskip(NEXT) | instid1(VALU_DEP_1)
	v_dual_fma_f32 v2, v46, v44, -v2 :: v_dual_fmac_f32 v5, v47, v44
	v_dual_add_f32 v42, v42, v2 :: v_dual_add_f32 v43, v43, v5
	s_or_b32 exec_lo, exec_lo, s12
	s_and_saveexec_b32 s12, s15
	s_cbranch_execz .LBB62_684
.LBB62_1097:                            ;   in Loop: Header=BB62_3 Depth=1
	ds_load_b64 v[44:45], v66 offset:11392
	ds_load_b64 v[46:47], v55 offset:11952
	s_wait_dscnt 0x0
	v_dual_mul_f32 v2, v47, v45 :: v_dual_mul_f32 v99, v46, v45
	s_delay_alu instid0(VALU_DEP_1) | instskip(NEXT) | instid1(VALU_DEP_1)
	v_dual_fma_f32 v98, v46, v44, -v2 :: v_dual_fmac_f32 v99, v47, v44
	v_pk_add_f32 v[42:43], v[42:43], v[98:99]
	s_or_b32 exec_lo, exec_lo, s12
	s_and_saveexec_b32 s12, s2
	s_cbranch_execnz .LBB62_685
	s_branch .LBB62_686
.LBB62_1098:                            ;   in Loop: Header=BB62_3 Depth=1
	ds_load_b64 v[44:45], v70 offset:13824
	ds_load_b64 v[46:47], v61 offset:16088
	s_wait_dscnt 0x0
	v_dual_mul_f32 v2, v47, v45 :: v_dual_mul_f32 v5, v46, v45
	s_delay_alu instid0(VALU_DEP_1) | instskip(NEXT) | instid1(VALU_DEP_1)
	v_dual_fma_f32 v2, v46, v44, -v2 :: v_dual_fmac_f32 v5, v47, v44
	v_dual_add_f32 v42, v42, v2 :: v_dual_add_f32 v43, v43, v5
	s_or_b32 exec_lo, exec_lo, s12
	s_and_saveexec_b32 s12, s5
	s_cbranch_execz .LBB62_746
.LBB62_1099:                            ;   in Loop: Header=BB62_3 Depth=1
	ds_load_b64 v[44:45], v70 offset:14336
	ds_load_b64 v[46:47], v61 offset:16096
	s_wait_dscnt 0x0
	v_dual_mul_f32 v2, v47, v45 :: v_dual_mul_f32 v5, v46, v45
	s_delay_alu instid0(VALU_DEP_1) | instskip(NEXT) | instid1(VALU_DEP_1)
	v_dual_fma_f32 v2, v46, v44, -v2 :: v_dual_fmac_f32 v5, v47, v44
	v_dual_add_f32 v42, v42, v2 :: v_dual_add_f32 v43, v43, v5
	s_or_b32 exec_lo, exec_lo, s12
	s_and_saveexec_b32 s12, s17
	s_cbranch_execz .LBB62_747
.LBB62_1100:                            ;   in Loop: Header=BB62_3 Depth=1
	ds_load_b64 v[44:45], v70 offset:14848
	ds_load_b64 v[46:47], v61 offset:16104
	s_wait_dscnt 0x0
	v_dual_mul_f32 v2, v47, v45 :: v_dual_mul_f32 v5, v46, v45
	s_delay_alu instid0(VALU_DEP_1) | instskip(NEXT) | instid1(VALU_DEP_1)
	v_dual_fma_f32 v2, v46, v44, -v2 :: v_dual_fmac_f32 v5, v47, v44
	v_dual_add_f32 v42, v42, v2 :: v_dual_add_f32 v43, v43, v5
	s_or_b32 exec_lo, exec_lo, s12
	s_and_saveexec_b32 s12, s19
	s_cbranch_execz .LBB62_748
.LBB62_1101:                            ;   in Loop: Header=BB62_3 Depth=1
	ds_load_b64 v[44:45], v70 offset:15360
	ds_load_b64 v[46:47], v61 offset:16112
	s_wait_dscnt 0x0
	v_dual_mul_f32 v2, v47, v45 :: v_dual_mul_f32 v99, v46, v45
	s_delay_alu instid0(VALU_DEP_1) | instskip(NEXT) | instid1(VALU_DEP_1)
	v_dual_fma_f32 v98, v46, v44, -v2 :: v_dual_fmac_f32 v99, v47, v44
	v_pk_add_f32 v[42:43], v[42:43], v[98:99]
	s_or_b32 exec_lo, exec_lo, s12
	s_and_saveexec_b32 s12, s4
	s_cbranch_execnz .LBB62_749
	s_branch .LBB62_750
.LBB62_1102:                            ;   in Loop: Header=BB62_3 Depth=1
	ds_load_b64 v[44:45], v66 offset:6720
	ds_load_b64 v[46:47], v55 offset:7784
	s_wait_dscnt 0x0
	v_dual_mul_f32 v2, v47, v45 :: v_dual_mul_f32 v5, v46, v45
	s_delay_alu instid0(VALU_DEP_1) | instskip(NEXT) | instid1(VALU_DEP_1)
	v_dual_fma_f32 v2, v46, v44, -v2 :: v_dual_fmac_f32 v5, v47, v44
	v_dual_add_f32 v42, v42, v2 :: v_dual_add_f32 v43, v43, v5
	s_or_b32 exec_lo, exec_lo, s12
	s_and_saveexec_b32 s12, s15
	s_cbranch_execz .LBB62_838
.LBB62_1103:                            ;   in Loop: Header=BB62_3 Depth=1
	ds_load_b64 v[44:45], v66 offset:7232
	ds_load_b64 v[46:47], v55 offset:7792
	s_wait_dscnt 0x0
	v_dual_mul_f32 v2, v47, v45 :: v_dual_mul_f32 v99, v46, v45
	s_delay_alu instid0(VALU_DEP_1) | instskip(NEXT) | instid1(VALU_DEP_1)
	v_dual_fma_f32 v98, v46, v44, -v2 :: v_dual_fmac_f32 v99, v47, v44
	v_pk_add_f32 v[42:43], v[42:43], v[98:99]
	s_or_b32 exec_lo, exec_lo, s12
	s_and_saveexec_b32 s12, s2
	s_cbranch_execnz .LBB62_839
	s_branch .LBB62_840
.LBB62_1104:                            ;   in Loop: Header=BB62_3 Depth=1
	ds_load_b64 v[44:45], v68 offset:4608
	ds_load_b64 v[46:47], v59 offset:7752
	s_wait_dscnt 0x0
	v_dual_mul_f32 v2, v47, v45 :: v_dual_mul_f32 v5, v46, v45
	s_delay_alu instid0(VALU_DEP_1) | instskip(NEXT) | instid1(VALU_DEP_1)
	v_dual_fma_f32 v2, v46, v44, -v2 :: v_dual_fmac_f32 v5, v47, v44
	v_dual_add_f32 v42, v42, v2 :: v_dual_add_f32 v43, v43, v5
	s_or_b32 exec_lo, exec_lo, s12
	s_and_saveexec_b32 s12, s17
	s_cbranch_execz .LBB62_880
.LBB62_1105:                            ;   in Loop: Header=BB62_3 Depth=1
	ds_load_b64 v[44:45], v68 offset:5120
	ds_load_b64 v[46:47], v59 offset:7760
	s_wait_dscnt 0x0
	v_dual_mul_f32 v2, v47, v45 :: v_dual_mul_f32 v5, v46, v45
	s_delay_alu instid0(VALU_DEP_1) | instskip(NEXT) | instid1(VALU_DEP_1)
	v_dual_fma_f32 v2, v46, v44, -v2 :: v_dual_fmac_f32 v5, v47, v44
	v_dual_add_f32 v42, v42, v2 :: v_dual_add_f32 v43, v43, v5
	s_or_b32 exec_lo, exec_lo, s12
	s_and_saveexec_b32 s12, s18
	s_cbranch_execz .LBB62_881
.LBB62_1106:                            ;   in Loop: Header=BB62_3 Depth=1
	ds_load_b64 v[44:45], v68 offset:5632
	ds_load_b64 v[46:47], v59 offset:7768
	s_wait_dscnt 0x0
	v_dual_mul_f32 v2, v47, v45 :: v_dual_mul_f32 v5, v46, v45
	s_delay_alu instid0(VALU_DEP_1) | instskip(NEXT) | instid1(VALU_DEP_1)
	v_dual_fma_f32 v2, v46, v44, -v2 :: v_dual_fmac_f32 v5, v47, v44
	v_dual_add_f32 v42, v42, v2 :: v_dual_add_f32 v43, v43, v5
	s_or_b32 exec_lo, exec_lo, s12
	s_and_saveexec_b32 s12, s19
	s_cbranch_execz .LBB62_882
.LBB62_1107:                            ;   in Loop: Header=BB62_3 Depth=1
	ds_load_b64 v[44:45], v68 offset:6144
	ds_load_b64 v[46:47], v59 offset:7776
	s_wait_dscnt 0x0
	v_dual_mul_f32 v2, v47, v45 :: v_dual_mul_f32 v99, v46, v45
	s_delay_alu instid0(VALU_DEP_1) | instskip(NEXT) | instid1(VALU_DEP_1)
	v_dual_fma_f32 v98, v46, v44, -v2 :: v_dual_fmac_f32 v99, v47, v44
	v_pk_add_f32 v[42:43], v[42:43], v[98:99]
	s_or_b32 exec_lo, exec_lo, s12
	s_and_saveexec_b32 s12, s20
	s_cbranch_execz .LBB62_883
.LBB62_1108:                            ;   in Loop: Header=BB62_3 Depth=1
	ds_load_b64 v[44:45], v68 offset:6656
	ds_load_b64 v[46:47], v59 offset:7784
	s_wait_dscnt 0x0
	v_pk_mul_f32 v[98:99], v[46:47], v[44:45] op_sel:[1,1] op_sel_hi:[0,1]
	s_delay_alu instid0(VALU_DEP_1) | instskip(SKIP_1) | instid1(VALU_DEP_2)
	v_pk_fma_f32 v[100:101], v[46:47], v[44:45], v[98:99] op_sel_hi:[1,0,1]
	v_pk_fma_f32 v[44:45], v[46:47], v[44:45], v[98:99] neg_lo:[0,0,1] neg_hi:[0,0,1]
	v_mov_b32_e32 v45, v101
	s_delay_alu instid0(VALU_DEP_1)
	v_pk_add_f32 v[42:43], v[42:43], v[44:45]
	s_or_b32 exec_lo, exec_lo, s12
	s_and_saveexec_b32 s12, s4
	s_cbranch_execz .LBB62_884
.LBB62_1109:                            ;   in Loop: Header=BB62_3 Depth=1
	ds_load_b64 v[44:45], v68 offset:7168
	ds_load_b64 v[46:47], v59 offset:7792
	s_wait_dscnt 0x0
	v_pk_mul_f32 v[98:99], v[46:47], v[44:45] op_sel:[1,1] op_sel_hi:[0,1]
	s_delay_alu instid0(VALU_DEP_1) | instskip(SKIP_1) | instid1(VALU_DEP_2)
	v_pk_fma_f32 v[100:101], v[46:47], v[44:45], v[98:99] op_sel_hi:[1,0,1]
	v_pk_fma_f32 v[44:45], v[46:47], v[44:45], v[98:99] neg_lo:[0,0,1] neg_hi:[0,0,1]
	v_mov_b32_e32 v45, v101
	s_delay_alu instid0(VALU_DEP_1)
	v_pk_add_f32 v[42:43], v[42:43], v[44:45]
	s_or_b32 exec_lo, exec_lo, s12
	s_and_saveexec_b32 s12, s15
	s_cbranch_execnz .LBB62_885
	s_branch .LBB62_886
.LBB62_1110:                            ;   in Loop: Header=BB62_3 Depth=1
	ds_load_b64 v[44:45], v66 offset:2560
	ds_load_b64 v[46:47], v55 offset:3624
	s_wait_dscnt 0x0
	v_dual_mul_f32 v2, v47, v45 :: v_dual_mul_f32 v5, v46, v45
	s_delay_alu instid0(VALU_DEP_1) | instskip(NEXT) | instid1(VALU_DEP_1)
	v_dual_fma_f32 v2, v46, v44, -v2 :: v_dual_fmac_f32 v5, v47, v44
	v_dual_add_f32 v42, v42, v2 :: v_dual_add_f32 v43, v43, v5
	s_or_b32 exec_lo, exec_lo, s12
	s_and_saveexec_b32 s12, s15
	s_cbranch_execz .LBB62_942
.LBB62_1111:                            ;   in Loop: Header=BB62_3 Depth=1
	ds_load_b64 v[44:45], v66 offset:3072
	ds_load_b64 v[46:47], v55 offset:3632
	s_wait_dscnt 0x0
	v_dual_mul_f32 v2, v47, v45 :: v_dual_mul_f32 v99, v46, v45
	s_delay_alu instid0(VALU_DEP_1) | instskip(NEXT) | instid1(VALU_DEP_1)
	v_dual_fma_f32 v98, v46, v44, -v2 :: v_dual_fmac_f32 v99, v47, v44
	v_pk_add_f32 v[42:43], v[42:43], v[98:99]
	s_or_b32 exec_lo, exec_lo, s12
	s_and_saveexec_b32 s12, s2
	s_cbranch_execnz .LBB62_943
	s_branch .LBB62_944
.LBB62_1112:
	s_endpgm
	.section	.rodata,"a",@progbits
	.p2align	6, 0x0
	.amdhsa_kernel _ZL19rocblas_trsv_deviceILi64ELi16ELb0ELb1ELb0ELb1E19rocblas_complex_numIfES1_PKS1_PS1_EviT7_lllT6_T8_lllPii
		.amdhsa_group_segment_fixed_size 41480
		.amdhsa_private_segment_fixed_size 48
		.amdhsa_kernarg_size 352
		.amdhsa_user_sgpr_count 2
		.amdhsa_user_sgpr_dispatch_ptr 0
		.amdhsa_user_sgpr_queue_ptr 0
		.amdhsa_user_sgpr_kernarg_segment_ptr 1
		.amdhsa_user_sgpr_dispatch_id 0
		.amdhsa_user_sgpr_kernarg_preload_length 0
		.amdhsa_user_sgpr_kernarg_preload_offset 0
		.amdhsa_user_sgpr_private_segment_size 0
		.amdhsa_wavefront_size32 1
		.amdhsa_uses_dynamic_stack 0
		.amdhsa_enable_private_segment 1
		.amdhsa_system_sgpr_workgroup_id_x 1
		.amdhsa_system_sgpr_workgroup_id_y 0
		.amdhsa_system_sgpr_workgroup_id_z 1
		.amdhsa_system_sgpr_workgroup_info 0
		.amdhsa_system_vgpr_workitem_id 1
		.amdhsa_next_free_vgpr 107
		.amdhsa_next_free_sgpr 105
		.amdhsa_named_barrier_count 0
		.amdhsa_reserve_vcc 1
		.amdhsa_float_round_mode_32 0
		.amdhsa_float_round_mode_16_64 0
		.amdhsa_float_denorm_mode_32 3
		.amdhsa_float_denorm_mode_16_64 3
		.amdhsa_fp16_overflow 0
		.amdhsa_memory_ordered 1
		.amdhsa_forward_progress 1
		.amdhsa_inst_pref_size 255
		.amdhsa_round_robin_scheduling 0
		.amdhsa_exception_fp_ieee_invalid_op 0
		.amdhsa_exception_fp_denorm_src 0
		.amdhsa_exception_fp_ieee_div_zero 0
		.amdhsa_exception_fp_ieee_overflow 0
		.amdhsa_exception_fp_ieee_underflow 0
		.amdhsa_exception_fp_ieee_inexact 0
		.amdhsa_exception_int_div_zero 0
	.end_amdhsa_kernel
	.section	.text._ZL19rocblas_trsv_deviceILi64ELi16ELb0ELb1ELb0ELb1E19rocblas_complex_numIfES1_PKS1_PS1_EviT7_lllT6_T8_lllPii,"axG",@progbits,_ZL19rocblas_trsv_deviceILi64ELi16ELb0ELb1ELb0ELb1E19rocblas_complex_numIfES1_PKS1_PS1_EviT7_lllT6_T8_lllPii,comdat
.Lfunc_end62:
	.size	_ZL19rocblas_trsv_deviceILi64ELi16ELb0ELb1ELb0ELb1E19rocblas_complex_numIfES1_PKS1_PS1_EviT7_lllT6_T8_lllPii, .Lfunc_end62-_ZL19rocblas_trsv_deviceILi64ELi16ELb0ELb1ELb0ELb1E19rocblas_complex_numIfES1_PKS1_PS1_EviT7_lllT6_T8_lllPii
                                        ; -- End function
	.set _ZL19rocblas_trsv_deviceILi64ELi16ELb0ELb1ELb0ELb1E19rocblas_complex_numIfES1_PKS1_PS1_EviT7_lllT6_T8_lllPii.num_vgpr, 107
	.set _ZL19rocblas_trsv_deviceILi64ELi16ELb0ELb1ELb0ELb1E19rocblas_complex_numIfES1_PKS1_PS1_EviT7_lllT6_T8_lllPii.num_agpr, 0
	.set _ZL19rocblas_trsv_deviceILi64ELi16ELb0ELb1ELb0ELb1E19rocblas_complex_numIfES1_PKS1_PS1_EviT7_lllT6_T8_lllPii.numbered_sgpr, 105
	.set _ZL19rocblas_trsv_deviceILi64ELi16ELb0ELb1ELb0ELb1E19rocblas_complex_numIfES1_PKS1_PS1_EviT7_lllT6_T8_lllPii.num_named_barrier, 0
	.set _ZL19rocblas_trsv_deviceILi64ELi16ELb0ELb1ELb0ELb1E19rocblas_complex_numIfES1_PKS1_PS1_EviT7_lllT6_T8_lllPii.private_seg_size, 48
	.set _ZL19rocblas_trsv_deviceILi64ELi16ELb0ELb1ELb0ELb1E19rocblas_complex_numIfES1_PKS1_PS1_EviT7_lllT6_T8_lllPii.uses_vcc, 1
	.set _ZL19rocblas_trsv_deviceILi64ELi16ELb0ELb1ELb0ELb1E19rocblas_complex_numIfES1_PKS1_PS1_EviT7_lllT6_T8_lllPii.uses_flat_scratch, 0
	.set _ZL19rocblas_trsv_deviceILi64ELi16ELb0ELb1ELb0ELb1E19rocblas_complex_numIfES1_PKS1_PS1_EviT7_lllT6_T8_lllPii.has_dyn_sized_stack, 0
	.set _ZL19rocblas_trsv_deviceILi64ELi16ELb0ELb1ELb0ELb1E19rocblas_complex_numIfES1_PKS1_PS1_EviT7_lllT6_T8_lllPii.has_recursion, 0
	.set _ZL19rocblas_trsv_deviceILi64ELi16ELb0ELb1ELb0ELb1E19rocblas_complex_numIfES1_PKS1_PS1_EviT7_lllT6_T8_lllPii.has_indirect_call, 0
	.section	.AMDGPU.csdata,"",@progbits
; Kernel info:
; codeLenInByte = 41416
; TotalNumSgprs: 107
; NumVgprs: 107
; ScratchSize: 48
; MemoryBound: 0
; FloatMode: 240
; IeeeMode: 1
; LDSByteSize: 41480 bytes/workgroup (compile time only)
; SGPRBlocks: 0
; VGPRBlocks: 6
; NumSGPRsForWavesPerEU: 107
; NumVGPRsForWavesPerEU: 107
; NamedBarCnt: 0
; Occupancy: 9
; WaveLimiterHint : 0
; COMPUTE_PGM_RSRC2:SCRATCH_EN: 1
; COMPUTE_PGM_RSRC2:USER_SGPR: 2
; COMPUTE_PGM_RSRC2:TRAP_HANDLER: 0
; COMPUTE_PGM_RSRC2:TGID_X_EN: 1
; COMPUTE_PGM_RSRC2:TGID_Y_EN: 0
; COMPUTE_PGM_RSRC2:TGID_Z_EN: 1
; COMPUTE_PGM_RSRC2:TIDIG_COMP_CNT: 1
	.section	.text._ZL19rocblas_trsv_deviceILi64ELi16ELb0ELb1ELb1ELb1E19rocblas_complex_numIfES1_PKS1_PS1_EviT7_lllT6_T8_lllPii,"axG",@progbits,_ZL19rocblas_trsv_deviceILi64ELi16ELb0ELb1ELb1ELb1E19rocblas_complex_numIfES1_PKS1_PS1_EviT7_lllT6_T8_lllPii,comdat
	.globl	_ZL19rocblas_trsv_deviceILi64ELi16ELb0ELb1ELb1ELb1E19rocblas_complex_numIfES1_PKS1_PS1_EviT7_lllT6_T8_lllPii ; -- Begin function _ZL19rocblas_trsv_deviceILi64ELi16ELb0ELb1ELb1ELb1E19rocblas_complex_numIfES1_PKS1_PS1_EviT7_lllT6_T8_lllPii
	.p2align	8
	.type	_ZL19rocblas_trsv_deviceILi64ELi16ELb0ELb1ELb1ELb1E19rocblas_complex_numIfES1_PKS1_PS1_EviT7_lllT6_T8_lllPii,@function
_ZL19rocblas_trsv_deviceILi64ELi16ELb0ELb1ELb1ELb1E19rocblas_complex_numIfES1_PKS1_PS1_EviT7_lllT6_T8_lllPii: ; @_ZL19rocblas_trsv_deviceILi64ELi16ELb0ELb1ELb1ELb1E19rocblas_complex_numIfES1_PKS1_PS1_EviT7_lllT6_T8_lllPii
; %bb.0:
	s_load_b32 s86, s[0:1], 0x58
	s_bfe_u32 s2, ttmp6, 0x40014
	s_lshr_b32 s3, ttmp7, 16
	s_add_co_i32 s2, s2, 1
	s_bfe_u32 s5, ttmp6, 0x40008
	s_mul_i32 s4, s3, s2
	s_getreg_b32 s2, hwreg(HW_REG_IB_STS2, 6, 4)
	s_add_co_i32 s5, s5, s4
	s_cmp_eq_u32 s2, 0
	s_mov_b32 s73, 0
	s_cselect_b32 s72, s3, s5
	s_wait_kmcnt 0x0
	s_cmp_ge_u32 s72, s86
	s_cbranch_scc1 .LBB63_1126
; %bb.1:
	s_clause 0x3
	s_load_b256 s[56:63], s[0:1], 0x8
	s_load_b256 s[64:71], s[0:1], 0x30
	s_load_b32 s3, s[0:1], 0x6c
	s_load_b32 s87, s[0:1], 0x0
	s_bfe_u32 s5, ttmp6, 0x4000c
	s_and_b32 s4, ttmp6, 15
	s_add_co_i32 s5, s5, 1
	v_bfe_u32 v4, v0, 10, 10
	s_mul_i32 s5, ttmp9, s5
	v_and_b32_e32 v6, 0x3ff, v0
	s_add_co_i32 s4, s4, s5
	v_mov_b32_e32 v3, 0
                                        ; implicit-def: $vgpr107 : SGPR spill to VGPR lane
	v_dual_add_nc_u32 v20, 32, v4 :: v_dual_add_nc_u32 v22, 48, v4
	s_delay_alu instid0(VALU_DEP_3)
	v_lshlrev_b32_e32 v1, 6, v6
	v_lshl_add_u32 v27, v4, 6, v6
	v_cmp_gt_u32_e64 s6, 2, v6
	v_and_b32_e32 v23, 7, v0
	v_and_b32_e32 v24, 15, v0
	s_clause 0x1
	s_load_b64 s[74:75], s[0:1], 0x50
	s_load_b64 s[80:81], s[0:1], 0x28
	s_wait_kmcnt 0x0
	s_lshl_b64 s[12:13], s[58:59], 3
	s_lshl_b64 s[14:15], s[66:67], 3
	s_cmp_eq_u32 s2, 0
	v_lshl_add_u32 v17, v22, 6, v6
	s_cselect_b32 s88, ttmp9, s4
	s_and_b32 s2, s3, 0xffff
	s_add_co_i32 s3, s87, -1
	s_ashr_i32 s4, s87, 31
	s_ashr_i32 s5, s3, 31
	s_lshr_b32 s4, s4, 26
	s_lshr_b32 s5, s5, 26
	s_add_co_i32 s4, s87, s4
	s_add_co_i32 s3, s3, s5
	s_and_not1_b32 s4, s4, 63
	s_ashr_i32 s3, s3, 6
	s_sub_co_i32 s18, s87, s4
	s_cmp_eq_u32 s3, s88
	v_mad_u32_u24 v8, v4, s2, v6
	s_cselect_b32 s2, -1, 0
	s_cmp_lg_u32 s18, 0
	v_sub_co_u32 v7, s3, s88, 1
	s_cselect_b32 s4, -1, 0
	s_lshl_b32 s16, s88, 6
	s_and_b32 s19, s4, s2
	v_dual_add_nc_u32 v5, s16, v4 :: v_dual_add_nc_u32 v18, 16, v4
	s_xor_b32 s3, s3, -1
	s_xor_b32 s90, s19, -1
	s_cmp_lt_i32 s88, 5
	s_delay_alu instid0(VALU_DEP_1) | instskip(SKIP_2) | instid1(VALU_DEP_2)
	v_dual_add_nc_u32 v2, v4, v1 :: v_dual_add_nc_u32 v10, v18, v1
	s_cselect_b32 vcc_lo, -1, 0
	v_lshl_add_u32 v11, v18, 6, v6
	v_dual_cndmask_b32 v19, v27, v2, vcc_lo :: v_dual_bitop2_b32 v14, 1, v0 bitop3:0x40
	v_writelane_b32 v107, s3, 0
	s_add_nc_u64 s[2:3], s[60:61], 1
	s_ashr_i32 s17, s16, 31
	s_or_b32 vcc_lo, vcc_lo, s19
	s_mul_u64 s[10:11], s[2:3], s[16:17]
	v_dual_cndmask_b32 v21, v11, v10, vcc_lo :: v_dual_bitop2_b32 v15, 3, v0 bitop3:0x40
	v_cmp_gt_u32_e64 s2, 4, v27
	v_cmp_eq_u32_e64 s4, 1, v14
	v_cmp_eq_u32_e64 s5, 0, v14
	;; [unrolled: 1-line block ×4, first 2 shown]
	v_add_nc_u32_e32 v10, v20, v1
	s_and_b32 s92, s4, s2
	s_and_b32 s93, s5, s2
	v_cmp_gt_u32_e64 s4, 16, v27
	v_cmp_eq_u32_e64 s5, 3, v15
	s_and_b32 s94, s3, s6
	v_cmp_ne_u32_e64 s6, 3, v15
	v_cmp_gt_u32_e64 s8, 2, v15
	s_and_b32 s97, s7, s4
	s_and_b32 s95, s5, s4
	v_cmp_eq_u32_e64 s5, 1, v15
	s_and_b32 s96, s6, s4
	v_cmp_eq_u32_e64 s6, 0, v15
	v_cmp_gt_u32_e64 s7, 4, v6
	v_cmp_ne_u32_e64 s9, 7, v23
	s_and_b32 s99, s5, s4
	v_cmp_gt_u32_e64 s5, 64, v27
	s_and_b32 s100, s6, s4
	v_cmp_eq_u32_e64 s6, 6, v23
	s_and_b32 s101, s3, s7
	v_cmp_gt_u32_e64 s7, 6, v23
	s_and_b32 s98, s8, s4
	v_cmp_eq_u32_e64 s8, 7, v23
	;; [unrolled: 4-line block ×3, first 2 shown]
	s_and_b32 vcc_hi, s7, s5
	v_cmp_gt_u32_e64 s7, 4, v23
	s_and_b32 s39, s6, s5
	v_cmp_eq_u32_e64 s6, 3, v23
	s_and_b32 s102, s8, s5
	v_cmp_eq_u32_e64 s8, 5, v23
	s_and_b32 s40, s9, s5
	s_and_b32 s41, s7, s5
	v_cmp_eq_u32_e64 s7, 2, v23
	v_cmp_gt_u32_e64 s9, 2, v23
	s_and_b32 s42, s6, s5
	v_cmp_eq_u32_e64 s6, 1, v23
	s_and_b32 s38, s8, s5
	v_cmp_gt_u32_e64 s8, 3, v23
	s_and_b32 s44, s7, s5
	s_and_b32 s45, s9, s5
	v_cmp_eq_u32_e64 s7, 0, v23
	s_and_b32 s46, s6, s5
	v_cmp_gt_u32_e64 s6, 0x100, v27
	v_add_nc_u32_e32 v1, v22, v1
	v_cmp_eq_u32_e64 s9, 15, v24
	s_and_b32 s43, s8, s5
	v_cmp_gt_u32_e64 s8, 8, v6
	s_and_b32 s47, s7, s5
	v_cmp_ne_u32_e64 s7, 15, v24
	s_and_b32 s9, s9, s6
	v_lshl_add_u32 v11, v20, 6, v6
	v_writelane_b32 v107, s9, 1
	s_and_b32 s48, s3, s8
	v_cmp_eq_u32_e64 s8, 14, v24
	s_and_b32 s7, s7, s6
	v_cmp_gt_u32_e64 s9, 14, v24
	v_writelane_b32 v107, s7, 2
	v_cmp_eq_u32_e64 s7, 13, v24
	s_and_b32 s8, s8, s6
	s_xor_b32 s91, vcc_lo, -1
	s_and_b32 s9, s9, s6
	v_writelane_b32 v107, s8, 3
	v_cmp_gt_u32_e64 s8, 13, v24
	s_and_b32 s7, s7, s6
	v_dual_cndmask_b32 v25, v11, v10 :: v_dual_add_nc_u32 v2, s16, v8
	v_writelane_b32 v107, s9, 4
	v_cmp_eq_u32_e64 s9, 12, v24
	s_and_b32 s8, s8, s6
	v_cndmask_b32_e32 v26, v17, v1, vcc_lo
	v_cmp_le_i32_e32 vcc_lo, s18, v6
	v_writelane_b32 v107, s7, 5
	v_cmp_gt_u32_e64 s7, 12, v24
	s_and_b32 s9, s9, s6
	v_cmp_eq_u32_e64 s0, 0, v24
	s_and_b32 s51, vcc_lo, s19
	v_writelane_b32 v107, s8, 6
	s_and_b32 s58, s7, s6
	v_cmp_eq_u32_e64 s7, 10, v24
	v_cmp_eq_u32_e64 s8, 11, v24
	v_cmp_gt_u32_e64 s1, 16, v6
	v_writelane_b32 v107, s9, 7
	v_cmp_gt_u32_e64 s9, 11, v24
	s_and_b32 s22, s7, s6
	v_cmp_gt_u32_e64 s7, 9, v24
	s_and_b32 s59, s8, s6
	v_cmp_gt_u32_e64 s8, 10, v24
	s_and_b32 s20, s9, s6
	v_cmp_eq_u32_e64 s9, 9, v24
	s_and_b32 s28, s7, s6
	v_cmp_eq_u32_e64 s7, 7, v24
	s_and_b32 s24, s8, s6
	v_cmp_eq_u32_e64 s8, 8, v24
	s_and_b32 s26, s9, s6
	v_cmp_gt_u32_e64 s9, 8, v24
	s_and_b32 s36, s7, s6
	v_cmp_gt_u32_e64 s7, 6, v24
	s_and_b32 s30, s8, s6
	v_cmp_gt_u32_e64 s8, 7, v24
	s_and_b32 s35, s9, s6
	v_cmp_eq_u32_e64 s9, 6, v24
	s_and_b32 s77, s7, s6
	v_cmp_eq_u32_e64 s7, 4, v24
	s_and_b32 s37, s8, s6
	v_cmp_eq_u32_e64 s8, 5, v24
	s_and_b32 s76, s9, s6
	v_cmp_gt_u32_e64 s9, 5, v24
	s_and_b32 s21, s7, s6
	v_cmp_gt_u32_e64 s7, 3, v24
	s_and_b32 s66, s8, s6
	v_cmp_gt_u32_e64 s8, 4, v24
	s_and_b32 s67, s9, s6
	v_cmp_eq_u32_e64 s9, 3, v24
	s_and_b32 s27, s7, s6
	v_cmp_eq_u32_e64 s7, 1, v24
	s_and_b32 s23, s8, s6
	v_cmp_eq_u32_e64 s8, 2, v24
	s_and_b32 s25, s9, s6
	v_cmp_gt_u32_e64 s9, 2, v24
	s_and_b32 s49, s7, s6
	v_cmp_gt_u32_e64 s7, 32, v6
	s_and_b32 s50, s0, s6
	s_xor_b32 s0, s51, -1
	s_and_b32 s29, s8, s6
	s_and_b32 s53, s3, s0
	v_cmp_le_i32_e64 s0, s18, v4
	s_and_b32 s89, s9, s6
	s_and_b32 s52, s3, s1
	;; [unrolled: 1-line block ×3, first 2 shown]
	s_xor_b32 s82, s81, 0x80000000
	s_cmp_gt_i32 s88, 0
	v_dual_lshrrev_b32 v1, 1, v27 :: v_dual_lshrrev_b32 v28, 2, v27
	s_cselect_b32 s54, -1, 0
	s_or_b32 s7, s0, vcc_lo
	v_cmp_le_i32_e64 s0, s18, v18
	v_dual_mov_b32 v9, v3 :: v_dual_add_nc_u32 v16, s16, v6
	v_dual_lshlrev_b32 v29, 9, v1 :: v_dual_lshlrev_b32 v30, 9, v28
	s_or_b32 s8, s0, vcc_lo
	v_cmp_le_i32_e64 s0, s18, v20
	s_delay_alu instid0(VALU_DEP_3)
	v_add_nc_u64_e32 v[12:13], s[16:17], v[8:9]
	v_writelane_b32 v107, s1, 8
	v_subrev_nc_u32_e32 v10, 64, v5
	v_dual_sub_nc_u32 v57, 0, v30 :: v_dual_lshlrev_b32 v17, 6, v27
	s_or_b32 s9, s0, vcc_lo
	v_cmp_le_i32_e64 s0, s18, v22
	v_dual_lshrrev_b32 v31, 4, v27 :: v_dual_bitop2_b32 v32, -8, v27 bitop3:0x40
	v_dual_lshrrev_b32 v33, 5, v27 :: v_dual_bitop2_b32 v60, 31, v0 bitop3:0x40
	s_or_b32 s16, s0, vcc_lo
	v_cmp_gt_i32_e32 vcc_lo, s18, v6
	v_dual_lshrrev_b32 v11, 10, v0 :: v_dual_sub_nc_u32 v56, 0, v29
	v_and_b32_e32 v34, 0xfffffe00, v17
	v_dual_lshlrev_b32 v35, 9, v31 :: v_dual_lshlrev_b32 v36, 9, v33
	s_and_b32 s0, s3, vcc_lo
	v_subrev_nc_u32_e32 v37, 48, v5
	v_dual_ashrrev_i32 v17, 31, v16 :: v_dual_lshlrev_b32 v68, 3, v15
	v_writelane_b32 v107, s0, 9
	v_cmp_gt_i32_e64 s0, s87, v16
	v_cmp_gt_i32_e32 vcc_lo, s87, v10
	v_lshlrev_b32_e32 v64, 3, v60
	v_dual_sub_nc_u32 v65, 0, v36 :: v_dual_lshlrev_b32 v66, 3, v14
	v_bitop3_b32 v39, v0, v11, 0x3ff bitop3:0xa8
	v_lshl_add_u32 v67, v1, 3, 0x8000
	v_mul_u64_e32 v[0:1], s[68:69], v[12:13]
	v_mul_u64_e32 v[12:13], s[60:61], v[16:17]
	;; [unrolled: 1-line block ×3, first 2 shown]
	s_and_b32 s1, vcc_lo, s0
	v_subrev_nc_u32_e32 v16, 32, v5
	v_cmp_gt_i32_e32 vcc_lo, s87, v37
	v_writelane_b32 v107, s1, 10
	v_dual_ashrrev_i32 v11, 31, v10 :: v_dual_sub_nc_u32 v79, v64, v36
	v_add_nc_u32_e32 v5, -16, v5
	s_and_b32 s1, vcc_lo, s0
	v_cmp_gt_i32_e32 vcc_lo, s87, v16
	v_writelane_b32 v107, s1, 11
	s_add_nc_u64 s[78:79], s[56:57], s[12:13]
	s_mov_b32 s83, s81
	v_lshlrev_b32_e32 v9, 3, v6
	s_and_b32 s1, vcc_lo, s0
	v_cmp_gt_i32_e32 vcc_lo, s87, v5
	v_writelane_b32 v107, s1, 12
	s_mov_b32 s81, s80
	v_mad_u32_u24 v49, 0x1f8, v6, v9
	v_cmp_gt_u32_e64 s31, 0xf0, v27
	s_and_b32 s1, vcc_lo, s0
	v_dual_lshlrev_b32 v16, 3, v4 :: v_dual_lshlrev_b32 v84, 3, v19
	v_writelane_b32 v107, s1, 13
	v_cmp_ge_u32_e64 s1, v6, v4
	v_mad_i32_i24 v50, 0xfffffe08, v6, v49
                                        ; implicit-def: $vgpr106 : SGPR spill to VGPR lane
	v_dual_sub_nc_u32 v69, v66, v29 :: v_dual_lshlrev_b32 v70, 3, v23
	v_dual_lshlrev_b32 v72, 3, v24 :: v_dual_sub_nc_u32 v73, v68, v30
	s_or_b32 s7, s7, s1
	s_delay_alu instid0(VALU_DEP_3)
	v_mad_u32_u24 v51, 0x1f8, v6, v50
	v_writelane_b32 v107, s7, 14
	v_cmp_ge_u32_e64 s7, v6, v18
	v_lshl_add_u32 v78, v33, 3, 0x8000
	v_or_b32_e32 v33, v18, v6
	v_mad_i32_i24 v52, 0xfffffe08, v6, v51
	v_dual_sub_nc_u32 v61, 0, v34 :: v_dual_sub_nc_u32 v63, 0, v35
	s_or_b32 s8, s8, s7
	v_dual_sub_nc_u32 v75, v70, v34 :: v_dual_sub_nc_u32 v77, v72, v35
	v_writelane_b32 v107, s8, 15
	v_cmp_ge_u32_e64 s8, v6, v20
	v_mad_u32_u24 v53, 0x1f8, v6, v52
	v_or_b32_e32 v35, v20, v6
	v_cmp_gt_u32_e64 s55, 64, v33
	v_dual_lshlrev_b32 v87, 3, v26 :: v_dual_mov_b32 v23, v3
	s_or_b32 s9, s9, s8
	v_mad_i32_i24 v54, 0xfffffe08, v6, v53
	v_writelane_b32 v107, s9, 16
	v_cmp_ge_u32_e64 s9, v6, v22
	v_or_b32_e32 v88, 0xa000, v16
	v_or_b32_e32 v37, v22, v6
	v_mad_u32_u24 v55, 0x1f8, v6, v54
	v_lshlrev_b32_e32 v26, 3, v6
	s_or_b32 s12, s16, s9
	v_add_nc_u32_e32 v95, v88, v9
	v_writelane_b32 v107, s12, 17
	v_cmp_gt_u32_e64 s12, 64, v39
	v_mad_i32_i24 v58, 0xfffffe08, v6, v55
	v_mul_i32_i24_e32 v81, 0xfffffe08, v6
	v_dual_lshlrev_b32 v85, 3, v21 :: v_dual_mov_b32 v19, v3
	v_writelane_b32 v107, s82, 18
	s_delay_alu instid0(VALU_DEP_4) | instskip(SKIP_3) | instid1(VALU_DEP_4)
	v_mad_u32_u24 v59, 0x1f8, v6, v58
	v_dual_mov_b32 v21, v3 :: v_dual_lshlrev_b32 v86, 3, v25
	v_dual_mov_b32 v5, v3 :: v_dual_add_nc_u32 v74, 0x8000, v32
	v_writelane_b32 v107, s83, 19
	v_mad_i32_i24 v62, 0xfffffe08, v6, v59
	v_lshl_add_u32 v71, v28, 3, 0x8000
	v_lshl_add_u32 v76, v31, 3, 0x8000
	v_mul_u64_e32 v[24:25], s[60:61], v[4:5]
	v_writelane_b32 v107, s80, 20
	v_mad_u32_u24 v80, 0x1f8, v6, v62
	v_cmp_lt_u32_e32 vcc_lo, 0x3ff, v27
	v_mov_b64_e32 v[28:29], 0
	v_mov_b64_e32 v[30:31], 0x3f800000
	v_writelane_b32 v107, s81, 21
	v_mad_i32_i24 v82, 0xfffffe08, v6, v80
	s_add_nc_u64 s[64:65], s[64:65], s[14:15]
	s_lshl_b64 s[80:81], s[10:11], 3
	v_lshl_add_u32 v91, v8, 3, 0xa000
	v_writelane_b32 v107, s12, 22
	v_mad_u32_u24 v83, 0x1f8, v6, v82
	v_lshl_add_u32 v92, v27, 3, 0x8000
	v_add_nc_u32_e32 v93, 0x8000, v9
	v_lshl_add_u32 v94, v4, 9, v62
	v_writelane_b32 v107, s31, 23
	v_cmp_gt_u32_e64 s31, 0xe0, v27
	v_add_nc_u32_e32 v89, v83, v16
	v_mul_u64_e32 v[16:17], s[60:61], v[18:19]
	v_mul_u64_e32 v[18:19], s[60:61], v[20:21]
	;; [unrolled: 1-line block ×3, first 2 shown]
	v_writelane_b32 v107, s31, 24
	v_cmp_gt_u32_e64 s31, 0xd0, v27
	v_mad_u32_u24 v23, 0x1f8, v6, v81
	v_or_b32_e32 v96, 0x3800, v64
	v_subrev_nc_u32_e32 v97, 31, v60
	v_cmp_eq_u32_e64 s10, 0, v39
	v_writelane_b32 v107, s31, 25
	v_cmp_gt_u32_e64 s31, 0xc0, v27
	v_mad_u32 v90, v23, 7, v9
	v_mul_u64_e32 v[22:23], s[68:69], v[2:3]
	v_cmp_gt_u32_e64 s12, 2, v27
	v_cmp_gt_u32_e64 s13, 12, v27
	v_writelane_b32 v107, s31, 26
	v_cmp_gt_u32_e64 s31, 0xb0, v27
	v_cmp_gt_u32_e64 s14, 8, v27
	;; [unrolled: 1-line block ×5, first 2 shown]
	v_writelane_b32 v107, s31, 27
	v_cmp_gt_u32_e64 s31, 0xa0, v27
	v_cmp_gt_u32_e64 s18, 32, v27
	;; [unrolled: 1-line block ×3, first 2 shown]
	v_cmp_eq_u32_e64 s33, 0, v8
	v_cmp_gt_u32_e64 s34, 64, v8
	v_writelane_b32 v107, s31, 28
	v_cmp_gt_u32_e64 s31, 0x90, v27
	s_xor_b32 s11, vcc_lo, -1
                                        ; implicit-def: $vgpr32
                                        ; implicit-def: $vgpr34
                                        ; implicit-def: $vgpr36
                                        ; implicit-def: $vgpr38
	v_writelane_b32 v107, s31, 29
	v_cmp_gt_u32_e64 s31, 0x80, v27
	s_delay_alu instid0(VALU_DEP_1) | instskip(SKIP_1) | instid1(VALU_DEP_1)
	v_writelane_b32 v107, s31, 30
	v_cmp_gt_u32_e64 s31, 0x70, v27
	v_writelane_b32 v107, s31, 31
	v_cmp_gt_u32_e64 s31, 0x60, v27
	s_delay_alu instid0(VALU_DEP_1) | instskip(SKIP_1) | instid1(VALU_DEP_1)
	v_writelane_b32 v106, s31, 0
	v_cmp_gt_u32_e64 s31, 0x50, v27
	v_writelane_b32 v106, s31, 1
	v_cmp_gt_u32_e64 s31, 0x400, v27
	v_writelane_b32 v106, s55, 2
	v_cmp_gt_u32_e64 s55, 64, v35
	s_delay_alu instid0(VALU_DEP_1) | instskip(SKIP_1) | instid1(VALU_DEP_1)
	v_writelane_b32 v106, s55, 3
	v_cmp_gt_u32_e64 s55, 64, v37
	v_writelane_b32 v106, s55, 4
	v_cmp_gt_u32_e64 s55, 0x3e0, v27
	s_delay_alu instid0(VALU_DEP_1) | instskip(SKIP_1) | instid1(VALU_DEP_1)
	v_writelane_b32 v106, s55, 5
	v_cmp_gt_u32_e64 s55, 0x3c0, v27
	v_writelane_b32 v106, s55, 6
	v_cmp_gt_u32_e64 s55, 0x3a0, v27
	;; [unrolled: 5-line block ×12, first 2 shown]
	s_delay_alu instid0(VALU_DEP_1)
	v_writelane_b32 v106, s55, 27
	s_branch .LBB63_3
.LBB63_2:                               ;   in Loop: Header=BB63_3 Depth=1
	s_wait_xcnt 0x0
	s_or_b32 exec_lo, exec_lo, s56
	s_add_co_i32 s72, s72, 0x10000
	global_wb scope:SCOPE_DEV
	s_wait_storecnt 0x0
	global_inv scope:SCOPE_DEV
	s_cmp_lt_u32 s72, s86
	s_cbranch_scc0 .LBB63_1126
.LBB63_3:                               ; =>This Loop Header: Depth=1
                                        ;     Child Loop BB63_537 Depth 2
                                        ;     Child Loop BB63_986 Depth 2
                                        ;       Child Loop BB63_988 Depth 3
                                        ;     Child Loop BB63_1032 Depth 2
	s_mul_u64 s[60:61], s[62:63], s[72:73]
	v_readlane_b32 s55, v107, 0
	s_lshl_b64 s[60:61], s[60:61], 3
	s_delay_alu instid0(SALU_CYCLE_1)
	s_add_nc_u64 s[82:83], s[78:79], s[60:61]
	s_and_not1_b32 vcc_lo, exec_lo, s55
	v_lshl_add_u64 v[40:41], v[12:13], 3, s[82:83]
	s_cbranch_vccnz .LBB63_13
; %bb.4:                                ;   in Loop: Header=BB63_3 Depth=1
	s_delay_alu instid0(VALU_DEP_1)
	v_lshl_add_u64 v[42:43], v[10:11], 3, v[40:41]
	v_dual_mov_b32 v34, 0 :: v_dual_mov_b32 v32, 0
	v_mov_b32_e32 v33, 0
	v_readlane_b32 s55, v107, 10
	s_barrier_signal -1
	s_barrier_wait -1
	s_and_saveexec_b32 s56, s55
	s_cbranch_execz .LBB63_6
; %bb.5:                                ;   in Loop: Header=BB63_3 Depth=1
	global_load_b64 v[32:33], v[42:43], off
.LBB63_6:                               ;   in Loop: Header=BB63_3 Depth=1
	s_wait_xcnt 0x0
	s_or_b32 exec_lo, exec_lo, s56
	v_mov_b32_e32 v35, 0
	v_readlane_b32 s55, v107, 11
	s_wait_loadcnt 0x0
	s_barrier_signal -1
	s_barrier_wait -1
	s_and_saveexec_b32 s56, s55
	s_cbranch_execz .LBB63_8
; %bb.7:                                ;   in Loop: Header=BB63_3 Depth=1
	global_load_b64 v[34:35], v[42:43], off offset:128
.LBB63_8:                               ;   in Loop: Header=BB63_3 Depth=1
	s_wait_xcnt 0x0
	s_or_b32 exec_lo, exec_lo, s56
	v_dual_mov_b32 v39, 0 :: v_dual_mov_b32 v36, 0
	v_mov_b32_e32 v37, 0
	v_readlane_b32 s55, v107, 12
	s_wait_loadcnt 0x0
	s_barrier_signal -1
	s_barrier_wait -1
	s_and_saveexec_b32 s56, s55
	s_cbranch_execz .LBB63_10
; %bb.9:                                ;   in Loop: Header=BB63_3 Depth=1
	global_load_b64 v[36:37], v[42:43], off offset:256
.LBB63_10:                              ;   in Loop: Header=BB63_3 Depth=1
	s_wait_xcnt 0x0
	s_or_b32 exec_lo, exec_lo, s56
	v_mov_b32_e32 v38, 0
	v_readlane_b32 s55, v107, 13
	s_wait_loadcnt 0x0
	s_barrier_signal -1
	s_barrier_wait -1
	s_and_saveexec_b32 s56, s55
	s_cbranch_execz .LBB63_12
; %bb.11:                               ;   in Loop: Header=BB63_3 Depth=1
	global_load_b64 v[38:39], v[42:43], off offset:384
.LBB63_12:                              ;   in Loop: Header=BB63_3 Depth=1
	s_wait_xcnt 0x0
	s_or_b32 exec_lo, exec_lo, s56
.LBB63_13:                              ;   in Loop: Header=BB63_3 Depth=1
	v_mov_b32_e32 v27, v3
	s_add_nc_u64 s[60:61], s[82:83], s[80:81]
	s_and_not1_b32 vcc_lo, exec_lo, s90
	s_mov_b32 s56, -1
	s_delay_alu instid0(VALU_DEP_1)
	v_add_nc_u64_e32 v[42:43], s[60:61], v[26:27]
	s_cbranch_vccnz .LBB63_24
; %bb.14:                               ;   in Loop: Header=BB63_3 Depth=1
	s_and_saveexec_b32 s56, s1
	s_delay_alu instid0(SALU_CYCLE_1)
	s_xor_b32 s56, exec_lo, s56
	s_cbranch_execnz .LBB63_1053
; %bb.15:                               ;   in Loop: Header=BB63_3 Depth=1
	s_and_not1_saveexec_b32 s56, s56
	s_cbranch_execnz .LBB63_1056
.LBB63_16:                              ;   in Loop: Header=BB63_3 Depth=1
	s_or_b32 exec_lo, exec_lo, s56
	s_and_saveexec_b32 s56, s7
	s_delay_alu instid0(SALU_CYCLE_1)
	s_xor_b32 s56, exec_lo, s56
	s_cbranch_execnz .LBB63_1057
.LBB63_17:                              ;   in Loop: Header=BB63_3 Depth=1
	s_and_not1_saveexec_b32 s56, s56
	s_cbranch_execnz .LBB63_1060
.LBB63_18:                              ;   in Loop: Header=BB63_3 Depth=1
	s_or_b32 exec_lo, exec_lo, s56
	s_and_saveexec_b32 s56, s8
	s_delay_alu instid0(SALU_CYCLE_1)
	s_xor_b32 s56, exec_lo, s56
	s_cbranch_execnz .LBB63_1061
.LBB63_19:                              ;   in Loop: Header=BB63_3 Depth=1
	s_and_not1_saveexec_b32 s56, s56
	s_cbranch_execnz .LBB63_1064
.LBB63_20:                              ;   in Loop: Header=BB63_3 Depth=1
	s_or_b32 exec_lo, exec_lo, s56
	s_and_saveexec_b32 s56, s9
	s_delay_alu instid0(SALU_CYCLE_1)
	s_xor_b32 s56, exec_lo, s56
	s_cbranch_execnz .LBB63_1065
.LBB63_21:                              ;   in Loop: Header=BB63_3 Depth=1
	s_and_not1_saveexec_b32 s56, s56
	s_cbranch_execz .LBB63_23
.LBB63_22:                              ;   in Loop: Header=BB63_3 Depth=1
	v_lshl_add_u64 v[44:45], v[20:21], 3, v[42:43]
	global_load_b64 v[44:45], v[44:45], off
	s_wait_loadcnt 0x0
	v_xor_b32_e32 v44, 0x80000000, v44
	ds_store_b64 v87, v[44:45]
.LBB63_23:                              ;   in Loop: Header=BB63_3 Depth=1
	s_or_b32 exec_lo, exec_lo, s56
	s_mov_b32 s56, 0
.LBB63_24:                              ;   in Loop: Header=BB63_3 Depth=1
	s_delay_alu instid0(SALU_CYCLE_1)
	s_and_b32 vcc_lo, exec_lo, s56
	s_cbranch_vccz .LBB63_50
; %bb.25:                               ;   in Loop: Header=BB63_3 Depth=1
	v_readlane_b32 s55, v107, 14
	s_and_saveexec_b32 s56, s55
	s_delay_alu instid0(SALU_CYCLE_1)
	s_xor_b32 s56, exec_lo, s56
	s_cbranch_execz .LBB63_29
; %bb.26:                               ;   in Loop: Header=BB63_3 Depth=1
	v_readlane_b32 s55, v107, 22
	s_and_saveexec_b32 s60, s55
; %bb.27:                               ;   in Loop: Header=BB63_3 Depth=1
	ds_store_b64 v89, v[28:29]
; %bb.28:                               ;   in Loop: Header=BB63_3 Depth=1
	s_or_b32 exec_lo, exec_lo, s60
.LBB63_29:                              ;   in Loop: Header=BB63_3 Depth=1
	s_and_not1_saveexec_b32 s56, s56
	s_cbranch_execz .LBB63_31
; %bb.30:                               ;   in Loop: Header=BB63_3 Depth=1
	v_lshl_add_u64 v[44:45], v[24:25], 3, v[42:43]
	global_load_b64 v[44:45], v[44:45], off
	s_wait_loadcnt 0x0
	v_xor_b32_e32 v44, 0x80000000, v44
	ds_store_b64 v89, v[44:45]
.LBB63_31:                              ;   in Loop: Header=BB63_3 Depth=1
	s_or_b32 exec_lo, exec_lo, s56
	v_readlane_b32 s55, v107, 15
	s_and_saveexec_b32 s56, s55
	s_delay_alu instid0(SALU_CYCLE_1)
	s_xor_b32 s56, exec_lo, s56
	s_cbranch_execz .LBB63_35
; %bb.32:                               ;   in Loop: Header=BB63_3 Depth=1
	v_readlane_b32 s55, v106, 2
	s_and_saveexec_b32 s60, s55
; %bb.33:                               ;   in Loop: Header=BB63_3 Depth=1
	ds_store_b64 v85, v[28:29]
; %bb.34:                               ;   in Loop: Header=BB63_3 Depth=1
	s_or_b32 exec_lo, exec_lo, s60
.LBB63_35:                              ;   in Loop: Header=BB63_3 Depth=1
	s_and_not1_saveexec_b32 s56, s56
	s_cbranch_execz .LBB63_37
; %bb.36:                               ;   in Loop: Header=BB63_3 Depth=1
	v_lshl_add_u64 v[44:45], v[16:17], 3, v[42:43]
	global_load_b64 v[44:45], v[44:45], off
	s_wait_loadcnt 0x0
	v_xor_b32_e32 v44, 0x80000000, v44
	ds_store_b64 v85, v[44:45]
.LBB63_37:                              ;   in Loop: Header=BB63_3 Depth=1
	s_or_b32 exec_lo, exec_lo, s56
	;; [unrolled: 23-line block ×3, first 2 shown]
	v_readlane_b32 s55, v107, 17
	s_and_saveexec_b32 s56, s55
	s_delay_alu instid0(SALU_CYCLE_1)
	s_xor_b32 s56, exec_lo, s56
	s_cbranch_execz .LBB63_47
; %bb.44:                               ;   in Loop: Header=BB63_3 Depth=1
	v_readlane_b32 s55, v106, 4
	s_and_saveexec_b32 s60, s55
; %bb.45:                               ;   in Loop: Header=BB63_3 Depth=1
	ds_store_b64 v87, v[28:29]
; %bb.46:                               ;   in Loop: Header=BB63_3 Depth=1
	s_or_b32 exec_lo, exec_lo, s60
                                        ; implicit-def: $vgpr42_vgpr43
.LBB63_47:                              ;   in Loop: Header=BB63_3 Depth=1
	s_and_not1_saveexec_b32 s56, s56
	s_cbranch_execz .LBB63_49
; %bb.48:                               ;   in Loop: Header=BB63_3 Depth=1
	v_lshl_add_u64 v[42:43], v[20:21], 3, v[42:43]
	global_load_b64 v[42:43], v[42:43], off
	s_wait_loadcnt 0x0
	v_xor_b32_e32 v42, 0x80000000, v42
	ds_store_b64 v87, v[42:43]
.LBB63_49:                              ;   in Loop: Header=BB63_3 Depth=1
	s_or_b32 exec_lo, exec_lo, s56
.LBB63_50:                              ;   in Loop: Header=BB63_3 Depth=1
	s_delay_alu instid0(SALU_CYCLE_1)
	s_and_not1_b32 vcc_lo, exec_lo, s91
	s_wait_loadcnt_dscnt 0x0
	s_barrier_signal -1
	s_barrier_wait -1
	s_cbranch_vccnz .LBB63_980
; %bb.51:                               ;   in Loop: Header=BB63_3 Depth=1
	s_and_saveexec_b32 s56, s10
	s_cbranch_execz .LBB63_53
; %bb.52:                               ;   in Loop: Header=BB63_3 Depth=1
	ds_load_b64 v[42:43], v3 offset:32752
	v_add_nc_u32_e64 v2, 0x7800, 0
	ds_store_b64 v3, v[30:31] offset:32760
	s_wait_dscnt 0x1
	ds_store_2addr_b64 v2, v[30:31], v[42:43] offset0:190 offset1:191
.LBB63_53:                              ;   in Loop: Header=BB63_3 Depth=1
	s_or_b32 exec_lo, exec_lo, s56
	v_dual_mov_b32 v42, 0 :: v_dual_mov_b32 v43, 0
	s_wait_dscnt 0x0
	s_barrier_signal -1
	s_barrier_wait -1
	global_wb scope:SCOPE_DEV
	s_wait_storecnt 0x0
	global_inv scope:SCOPE_DEV
	s_and_saveexec_b32 s60, s2
	s_cbranch_execz .LBB63_57
; %bb.54:                               ;   in Loop: Header=BB63_3 Depth=1
	ds_load_b64 v[42:43], v66 offset:32224
	ds_load_b64 v[44:45], v56 offset:32752
	s_wait_dscnt 0x0
	v_pk_mul_f32 v[46:47], v[44:45], v[42:43] op_sel:[1,1] op_sel_hi:[0,1]
	s_delay_alu instid0(VALU_DEP_1) | instskip(SKIP_1) | instid1(VALU_DEP_2)
	v_pk_fma_f32 v[98:99], v[44:45], v[42:43], v[46:47] op_sel_hi:[1,0,1]
	v_pk_fma_f32 v[42:43], v[44:45], v[42:43], v[46:47] neg_lo:[0,0,1] neg_hi:[0,0,1]
	v_mov_b32_e32 v43, v99
	s_delay_alu instid0(VALU_DEP_1)
	v_pk_add_f32 v[42:43], v[42:43], 0 op_sel_hi:[1,0]
	s_and_saveexec_b32 s56, s12
	s_cbranch_execz .LBB63_56
; %bb.55:                               ;   in Loop: Header=BB63_3 Depth=1
	ds_load_b64 v[44:45], v9 offset:32736
	ds_load_b64 v[46:47], v3 offset:32760
	s_wait_dscnt 0x0
	v_pk_mul_f32 v[98:99], v[46:47], v[44:45] op_sel:[1,1] op_sel_hi:[0,1]
	s_delay_alu instid0(VALU_DEP_1) | instskip(SKIP_1) | instid1(VALU_DEP_2)
	v_pk_fma_f32 v[100:101], v[46:47], v[44:45], v[98:99] op_sel_hi:[1,0,1]
	v_pk_fma_f32 v[44:45], v[46:47], v[44:45], v[98:99] neg_lo:[0,0,1] neg_hi:[0,0,1]
	v_mov_b32_e32 v45, v101
	s_delay_alu instid0(VALU_DEP_1)
	v_pk_add_f32 v[42:43], v[42:43], v[44:45]
.LBB63_56:                              ;   in Loop: Header=BB63_3 Depth=1
	s_or_b32 exec_lo, exec_lo, s56
.LBB63_57:                              ;   in Loop: Header=BB63_3 Depth=1
	s_delay_alu instid0(SALU_CYCLE_1)
	s_or_b32 exec_lo, exec_lo, s60
	s_and_saveexec_b32 s56, s92
; %bb.58:                               ;   in Loop: Header=BB63_3 Depth=1
	s_delay_alu instid0(VALU_DEP_1)
	v_pk_add_f32 v[44:45], v[42:43], 0 neg_lo:[1,1] neg_hi:[1,1]
	ds_store_b64 v67, v[44:45]
; %bb.59:                               ;   in Loop: Header=BB63_3 Depth=1
	s_or_b32 exec_lo, exec_lo, s56
	s_wait_loadcnt_dscnt 0x0
	s_barrier_signal -1
	s_barrier_wait -1
	s_and_saveexec_b32 s56, s93
	s_cbranch_execz .LBB63_61
; %bb.60:                               ;   in Loop: Header=BB63_3 Depth=1
	ds_load_b64 v[44:45], v3 offset:31712
	ds_load_b64 v[46:47], v67
	s_wait_dscnt 0x0
	v_pk_mul_f32 v[98:99], v[46:47], v[44:45] op_sel_hi:[1,0]
	s_delay_alu instid0(VALU_DEP_1) | instskip(SKIP_1) | instid1(VALU_DEP_2)
	v_pk_fma_f32 v[100:101], v[46:47], v[44:45], v[98:99] op_sel:[1,1,0] op_sel_hi:[0,1,1]
	v_pk_fma_f32 v[44:45], v[46:47], v[44:45], v[98:99] op_sel:[1,1,0] op_sel_hi:[0,1,1] neg_lo:[0,0,1] neg_hi:[0,0,1]
	v_pk_add_f32 v[46:47], v[42:43], v[100:101] neg_lo:[0,1] neg_hi:[0,1]
	s_delay_alu instid0(VALU_DEP_2) | instskip(NEXT) | instid1(VALU_DEP_2)
	v_pk_add_f32 v[42:43], v[42:43], v[44:45]
	v_mov_b32_e32 v43, v47
.LBB63_61:                              ;   in Loop: Header=BB63_3 Depth=1
	s_or_b32 exec_lo, exec_lo, s56
	s_barrier_signal -1
	s_barrier_wait -1
	s_and_saveexec_b32 s56, s93
; %bb.62:                               ;   in Loop: Header=BB63_3 Depth=1
	v_pk_add_f32 v[44:45], v[42:43], 0 neg_lo:[1,1] neg_hi:[1,1]
	ds_store_b64 v67, v[44:45]
; %bb.63:                               ;   in Loop: Header=BB63_3 Depth=1
	s_or_b32 exec_lo, exec_lo, s56
	s_wait_dscnt 0x0
	s_barrier_signal -1
	s_barrier_wait -1
	s_barrier_signal -1
	s_barrier_wait -1
	s_and_saveexec_b32 s56, s2
; %bb.64:                               ;   in Loop: Header=BB63_3 Depth=1
	ds_store_b64 v69, v[42:43] offset:32736
; %bb.65:                               ;   in Loop: Header=BB63_3 Depth=1
	s_or_b32 exec_lo, exec_lo, s56
	s_wait_dscnt 0x0
	s_barrier_signal -1
	s_barrier_wait -1
	s_barrier_signal -1
	s_barrier_wait -1
	s_and_saveexec_b32 s56, s94
	s_cbranch_execz .LBB63_67
; %bb.66:                               ;   in Loop: Header=BB63_3 Depth=1
	ds_load_b64 v[42:43], v49 offset:32224
	s_wait_dscnt 0x0
	ds_store_b64 v9, v[42:43] offset:31216
	ds_load_b64 v[42:43], v49 offset:32232
	s_wait_dscnt 0x0
	ds_store_b64 v9, v[42:43] offset:31728
.LBB63_67:                              ;   in Loop: Header=BB63_3 Depth=1
	s_or_b32 exec_lo, exec_lo, s56
	s_wait_dscnt 0x0
	s_barrier_signal -1
	s_barrier_wait -1
	s_and_saveexec_b32 s56, s10
	s_cbranch_execz .LBB63_69
; %bb.68:                               ;   in Loop: Header=BB63_3 Depth=1
	ds_load_b64 v[42:43], v3 offset:31712
	v_add_nc_u32_e64 v2, 0x7800, 0
	ds_store_b64 v3, v[30:31] offset:31720
	s_wait_dscnt 0x1
	ds_store_2addr_b64 v2, v[30:31], v[42:43] offset0:60 offset1:61
.LBB63_69:                              ;   in Loop: Header=BB63_3 Depth=1
	s_or_b32 exec_lo, exec_lo, s56
	v_mov_b64_e32 v[42:43], 0
	s_wait_dscnt 0x0
	s_barrier_signal -1
	s_barrier_wait -1
	global_wb scope:SCOPE_DEV
	s_wait_storecnt 0x0
	global_inv scope:SCOPE_DEV
	s_and_saveexec_b32 s60, s4
	s_cbranch_execz .LBB63_75
; %bb.70:                               ;   in Loop: Header=BB63_3 Depth=1
	ds_load_b64 v[42:43], v68 offset:31168
	ds_load_b64 v[44:45], v57 offset:32736
	s_wait_dscnt 0x0
	v_dual_mul_f32 v2, v45, v43 :: v_dual_mul_f32 v5, v44, v43
	s_delay_alu instid0(VALU_DEP_1) | instskip(NEXT) | instid1(VALU_DEP_1)
	v_dual_fma_f32 v2, v44, v42, -v2 :: v_dual_fmac_f32 v5, v45, v42
	v_dual_add_f32 v42, 0, v2 :: v_dual_add_f32 v43, 0, v5
	s_and_saveexec_b32 s56, s13
	s_cbranch_execnz .LBB63_1076
; %bb.71:                               ;   in Loop: Header=BB63_3 Depth=1
	s_or_b32 exec_lo, exec_lo, s56
	s_and_saveexec_b32 s56, s14
	s_cbranch_execnz .LBB63_1077
.LBB63_72:                              ;   in Loop: Header=BB63_3 Depth=1
	s_or_b32 exec_lo, exec_lo, s56
	s_and_saveexec_b32 s56, s2
	s_cbranch_execz .LBB63_74
.LBB63_73:                              ;   in Loop: Header=BB63_3 Depth=1
	ds_load_b64 v[44:45], v50 offset:32704
	ds_load_b64 v[46:47], v3 offset:32760
	s_wait_dscnt 0x0
	v_pk_mul_f32 v[98:99], v[46:47], v[44:45] op_sel:[1,1] op_sel_hi:[0,1]
	s_delay_alu instid0(VALU_DEP_1) | instskip(SKIP_1) | instid1(VALU_DEP_2)
	v_pk_fma_f32 v[100:101], v[46:47], v[44:45], v[98:99] op_sel_hi:[1,0,1]
	v_pk_fma_f32 v[44:45], v[46:47], v[44:45], v[98:99] neg_lo:[0,0,1] neg_hi:[0,0,1]
	v_mov_b32_e32 v45, v101
	s_delay_alu instid0(VALU_DEP_1)
	v_pk_add_f32 v[42:43], v[42:43], v[44:45]
.LBB63_74:                              ;   in Loop: Header=BB63_3 Depth=1
	s_or_b32 exec_lo, exec_lo, s56
.LBB63_75:                              ;   in Loop: Header=BB63_3 Depth=1
	s_delay_alu instid0(SALU_CYCLE_1)
	s_or_b32 exec_lo, exec_lo, s60
	s_and_saveexec_b32 s56, s95
; %bb.76:                               ;   in Loop: Header=BB63_3 Depth=1
	s_delay_alu instid0(VALU_DEP_1)
	v_pk_add_f32 v[44:45], v[42:43], 0 neg_lo:[1,1] neg_hi:[1,1]
	ds_store_b64 v71, v[44:45]
; %bb.77:                               ;   in Loop: Header=BB63_3 Depth=1
	s_or_b32 exec_lo, exec_lo, s56
	s_wait_loadcnt_dscnt 0x0
	s_barrier_signal -1
	s_barrier_wait -1
	s_and_saveexec_b32 s56, s96
	s_cbranch_execz .LBB63_79
; %bb.78:                               ;   in Loop: Header=BB63_3 Depth=1
	ds_load_b64 v[44:45], v68 offset:30656
	ds_load_b64 v[46:47], v71
	s_wait_dscnt 0x0
	v_pk_mul_f32 v[98:99], v[46:47], v[44:45] op_sel:[1,1] op_sel_hi:[0,1]
	s_delay_alu instid0(VALU_DEP_1) | instskip(SKIP_1) | instid1(VALU_DEP_2)
	v_pk_fma_f32 v[100:101], v[46:47], v[44:45], v[98:99] op_sel_hi:[1,0,1]
	v_pk_fma_f32 v[44:45], v[46:47], v[44:45], v[98:99] neg_lo:[0,0,1] neg_hi:[0,0,1]
	v_mov_b32_e32 v45, v101
	s_delay_alu instid0(VALU_DEP_1)
	v_pk_add_f32 v[42:43], v[42:43], v[44:45] neg_lo:[0,1] neg_hi:[0,1]
.LBB63_79:                              ;   in Loop: Header=BB63_3 Depth=1
	s_or_b32 exec_lo, exec_lo, s56
	s_barrier_signal -1
	s_barrier_wait -1
	s_and_saveexec_b32 s56, s97
; %bb.80:                               ;   in Loop: Header=BB63_3 Depth=1
	v_pk_add_f32 v[44:45], v[42:43], 0 neg_lo:[1,1] neg_hi:[1,1]
	ds_store_b64 v71, v[44:45]
; %bb.81:                               ;   in Loop: Header=BB63_3 Depth=1
	s_or_b32 exec_lo, exec_lo, s56
	s_wait_dscnt 0x0
	s_barrier_signal -1
	s_barrier_wait -1
	s_and_saveexec_b32 s56, s98
	s_cbranch_execz .LBB63_83
; %bb.82:                               ;   in Loop: Header=BB63_3 Depth=1
	ds_load_b64 v[44:45], v68 offset:30144
	ds_load_b64 v[46:47], v71
	s_wait_dscnt 0x0
	v_pk_mul_f32 v[98:99], v[46:47], v[44:45] op_sel:[1,1] op_sel_hi:[0,1]
	s_delay_alu instid0(VALU_DEP_1) | instskip(SKIP_1) | instid1(VALU_DEP_2)
	v_pk_fma_f32 v[100:101], v[46:47], v[44:45], v[98:99] op_sel_hi:[1,0,1]
	v_pk_fma_f32 v[44:45], v[46:47], v[44:45], v[98:99] neg_lo:[0,0,1] neg_hi:[0,0,1]
	v_mov_b32_e32 v45, v101
	s_delay_alu instid0(VALU_DEP_1)
	v_pk_add_f32 v[42:43], v[42:43], v[44:45] neg_lo:[0,1] neg_hi:[0,1]
.LBB63_83:                              ;   in Loop: Header=BB63_3 Depth=1
	s_or_b32 exec_lo, exec_lo, s56
	s_barrier_signal -1
	s_barrier_wait -1
	s_and_saveexec_b32 s56, s99
; %bb.84:                               ;   in Loop: Header=BB63_3 Depth=1
	v_pk_add_f32 v[44:45], v[42:43], 0 neg_lo:[1,1] neg_hi:[1,1]
	ds_store_b64 v71, v[44:45]
; %bb.85:                               ;   in Loop: Header=BB63_3 Depth=1
	s_or_b32 exec_lo, exec_lo, s56
	s_wait_dscnt 0x0
	;; [unrolled: 26-line block ×3, first 2 shown]
	s_barrier_signal -1
	s_barrier_wait -1
	s_barrier_signal -1
	s_barrier_wait -1
	s_and_saveexec_b32 s56, s4
; %bb.90:                               ;   in Loop: Header=BB63_3 Depth=1
	ds_store_b64 v73, v[42:43] offset:32704
; %bb.91:                               ;   in Loop: Header=BB63_3 Depth=1
	s_or_b32 exec_lo, exec_lo, s56
	s_wait_dscnt 0x0
	s_barrier_signal -1
	s_barrier_wait -1
	s_barrier_signal -1
	s_barrier_wait -1
	s_and_saveexec_b32 s56, s101
	s_cbranch_execz .LBB63_93
; %bb.92:                               ;   in Loop: Header=BB63_3 Depth=1
	ds_load_b64 v[42:43], v51 offset:31168
	s_wait_dscnt 0x0
	ds_store_b64 v52, v[42:43] offset:29152
	ds_load_b64 v[42:43], v51 offset:31176
	s_wait_dscnt 0x0
	ds_store_b64 v52, v[42:43] offset:29664
	;; [unrolled: 3-line block ×4, first 2 shown]
.LBB63_93:                              ;   in Loop: Header=BB63_3 Depth=1
	s_or_b32 exec_lo, exec_lo, s56
	s_wait_dscnt 0x0
	s_barrier_signal -1
	s_barrier_wait -1
	s_and_saveexec_b32 s56, s10
	s_cbranch_execz .LBB63_95
; %bb.94:                               ;   in Loop: Header=BB63_3 Depth=1
	ds_load_b64 v[42:43], v3 offset:30672
	v_add_nc_u32_e64 v2, 0x7000, 0
	ds_store_b64 v3, v[30:31] offset:30680
	s_wait_dscnt 0x1
	ds_store_2addr_b64 v2, v[30:31], v[42:43] offset0:186 offset1:187
.LBB63_95:                              ;   in Loop: Header=BB63_3 Depth=1
	s_or_b32 exec_lo, exec_lo, s56
	v_dual_mov_b32 v42, 0 :: v_dual_mov_b32 v43, 0
	s_wait_dscnt 0x0
	s_barrier_signal -1
	s_barrier_wait -1
	global_wb scope:SCOPE_DEV
	s_wait_storecnt 0x0
	global_inv scope:SCOPE_DEV
	s_and_saveexec_b32 s60, s2
	s_cbranch_execz .LBB63_99
; %bb.96:                               ;   in Loop: Header=BB63_3 Depth=1
	ds_load_b64 v[42:43], v66 offset:30144
	ds_load_b64 v[44:45], v56 offset:30672
	s_wait_dscnt 0x0
	v_pk_mul_f32 v[46:47], v[44:45], v[42:43] op_sel:[1,1] op_sel_hi:[0,1]
	s_delay_alu instid0(VALU_DEP_1) | instskip(SKIP_1) | instid1(VALU_DEP_2)
	v_pk_fma_f32 v[98:99], v[44:45], v[42:43], v[46:47] op_sel_hi:[1,0,1]
	v_pk_fma_f32 v[42:43], v[44:45], v[42:43], v[46:47] neg_lo:[0,0,1] neg_hi:[0,0,1]
	v_mov_b32_e32 v43, v99
	s_delay_alu instid0(VALU_DEP_1)
	v_pk_add_f32 v[42:43], v[42:43], 0 op_sel_hi:[1,0]
	s_and_saveexec_b32 s56, s12
	s_cbranch_execz .LBB63_98
; %bb.97:                               ;   in Loop: Header=BB63_3 Depth=1
	ds_load_b64 v[44:45], v52 offset:30656
	ds_load_b64 v[46:47], v3 offset:30680
	s_wait_dscnt 0x0
	v_pk_mul_f32 v[98:99], v[46:47], v[44:45] op_sel:[1,1] op_sel_hi:[0,1]
	s_delay_alu instid0(VALU_DEP_1) | instskip(SKIP_1) | instid1(VALU_DEP_2)
	v_pk_fma_f32 v[100:101], v[46:47], v[44:45], v[98:99] op_sel_hi:[1,0,1]
	v_pk_fma_f32 v[44:45], v[46:47], v[44:45], v[98:99] neg_lo:[0,0,1] neg_hi:[0,0,1]
	v_mov_b32_e32 v45, v101
	s_delay_alu instid0(VALU_DEP_1)
	v_pk_add_f32 v[42:43], v[42:43], v[44:45]
.LBB63_98:                              ;   in Loop: Header=BB63_3 Depth=1
	s_or_b32 exec_lo, exec_lo, s56
.LBB63_99:                              ;   in Loop: Header=BB63_3 Depth=1
	s_delay_alu instid0(SALU_CYCLE_1)
	s_or_b32 exec_lo, exec_lo, s60
	s_and_saveexec_b32 s56, s92
; %bb.100:                              ;   in Loop: Header=BB63_3 Depth=1
	s_delay_alu instid0(VALU_DEP_1)
	v_pk_add_f32 v[44:45], v[42:43], 0 neg_lo:[1,1] neg_hi:[1,1]
	ds_store_b64 v67, v[44:45]
; %bb.101:                              ;   in Loop: Header=BB63_3 Depth=1
	s_or_b32 exec_lo, exec_lo, s56
	s_wait_loadcnt_dscnt 0x0
	s_barrier_signal -1
	s_barrier_wait -1
	s_and_saveexec_b32 s56, s93
	s_cbranch_execz .LBB63_103
; %bb.102:                              ;   in Loop: Header=BB63_3 Depth=1
	ds_load_b64 v[44:45], v3 offset:29632
	ds_load_b64 v[46:47], v67
	s_wait_dscnt 0x0
	v_pk_mul_f32 v[98:99], v[46:47], v[44:45] op_sel_hi:[1,0]
	s_delay_alu instid0(VALU_DEP_1) | instskip(SKIP_1) | instid1(VALU_DEP_2)
	v_pk_fma_f32 v[100:101], v[46:47], v[44:45], v[98:99] op_sel:[1,1,0] op_sel_hi:[0,1,1]
	v_pk_fma_f32 v[44:45], v[46:47], v[44:45], v[98:99] op_sel:[1,1,0] op_sel_hi:[0,1,1] neg_lo:[0,0,1] neg_hi:[0,0,1]
	v_pk_add_f32 v[46:47], v[42:43], v[100:101] neg_lo:[0,1] neg_hi:[0,1]
	s_delay_alu instid0(VALU_DEP_2) | instskip(NEXT) | instid1(VALU_DEP_2)
	v_pk_add_f32 v[42:43], v[42:43], v[44:45]
	v_mov_b32_e32 v43, v47
.LBB63_103:                             ;   in Loop: Header=BB63_3 Depth=1
	s_or_b32 exec_lo, exec_lo, s56
	s_barrier_signal -1
	s_barrier_wait -1
	s_and_saveexec_b32 s56, s93
; %bb.104:                              ;   in Loop: Header=BB63_3 Depth=1
	v_pk_add_f32 v[44:45], v[42:43], 0 neg_lo:[1,1] neg_hi:[1,1]
	ds_store_b64 v67, v[44:45]
; %bb.105:                              ;   in Loop: Header=BB63_3 Depth=1
	s_or_b32 exec_lo, exec_lo, s56
	s_wait_dscnt 0x0
	s_barrier_signal -1
	s_barrier_wait -1
	s_barrier_signal -1
	s_barrier_wait -1
	s_and_saveexec_b32 s56, s2
; %bb.106:                              ;   in Loop: Header=BB63_3 Depth=1
	ds_store_b64 v69, v[42:43] offset:30656
; %bb.107:                              ;   in Loop: Header=BB63_3 Depth=1
	s_or_b32 exec_lo, exec_lo, s56
	s_wait_dscnt 0x0
	s_barrier_signal -1
	s_barrier_wait -1
	s_barrier_signal -1
	s_barrier_wait -1
	s_and_saveexec_b32 s56, s94
	s_cbranch_execz .LBB63_109
; %bb.108:                              ;   in Loop: Header=BB63_3 Depth=1
	ds_load_b64 v[42:43], v53 offset:30144
	s_wait_dscnt 0x0
	ds_store_b64 v52, v[42:43] offset:29136
	ds_load_b64 v[42:43], v53 offset:30152
	s_wait_dscnt 0x0
	ds_store_b64 v52, v[42:43] offset:29648
.LBB63_109:                             ;   in Loop: Header=BB63_3 Depth=1
	s_or_b32 exec_lo, exec_lo, s56
	s_wait_dscnt 0x0
	s_barrier_signal -1
	s_barrier_wait -1
	s_and_saveexec_b32 s56, s10
	s_cbranch_execz .LBB63_111
; %bb.110:                              ;   in Loop: Header=BB63_3 Depth=1
	ds_load_b64 v[42:43], v3 offset:29632
	v_add_nc_u32_e64 v2, 0x7000, 0
	ds_store_b64 v3, v[30:31] offset:29640
	s_wait_dscnt 0x1
	ds_store_2addr_b64 v2, v[30:31], v[42:43] offset0:56 offset1:57
.LBB63_111:                             ;   in Loop: Header=BB63_3 Depth=1
	s_or_b32 exec_lo, exec_lo, s56
	v_mov_b64_e32 v[42:43], 0
	s_wait_dscnt 0x0
	s_barrier_signal -1
	s_barrier_wait -1
	global_wb scope:SCOPE_DEV
	s_wait_storecnt 0x0
	global_inv scope:SCOPE_DEV
	s_and_saveexec_b32 s60, s5
	s_cbranch_execz .LBB63_121
; %bb.112:                              ;   in Loop: Header=BB63_3 Depth=1
	ds_load_b64 v[42:43], v70 offset:29056
	ds_load_b64 v[44:45], v61 offset:32704
	s_wait_dscnt 0x0
	v_dual_mul_f32 v2, v45, v43 :: v_dual_mul_f32 v5, v44, v43
	s_delay_alu instid0(VALU_DEP_1) | instskip(NEXT) | instid1(VALU_DEP_1)
	v_dual_fma_f32 v2, v44, v42, -v2 :: v_dual_fmac_f32 v5, v45, v42
	v_dual_add_f32 v42, 0, v2 :: v_dual_add_f32 v43, 0, v5
	s_and_saveexec_b32 s56, s15
	s_cbranch_execnz .LBB63_1078
; %bb.113:                              ;   in Loop: Header=BB63_3 Depth=1
	s_or_b32 exec_lo, exec_lo, s56
	s_and_saveexec_b32 s56, s16
	s_cbranch_execnz .LBB63_1079
.LBB63_114:                             ;   in Loop: Header=BB63_3 Depth=1
	s_or_b32 exec_lo, exec_lo, s56
	s_and_saveexec_b32 s56, s17
	s_cbranch_execnz .LBB63_1080
.LBB63_115:                             ;   in Loop: Header=BB63_3 Depth=1
	s_or_b32 exec_lo, exec_lo, s56
	s_and_saveexec_b32 s56, s18
	s_cbranch_execnz .LBB63_1081
.LBB63_116:                             ;   in Loop: Header=BB63_3 Depth=1
	s_or_b32 exec_lo, exec_lo, s56
	s_and_saveexec_b32 s56, s19
	s_cbranch_execnz .LBB63_1082
.LBB63_117:                             ;   in Loop: Header=BB63_3 Depth=1
	s_or_b32 exec_lo, exec_lo, s56
	s_and_saveexec_b32 s56, s4
	s_cbranch_execnz .LBB63_1083
.LBB63_118:                             ;   in Loop: Header=BB63_3 Depth=1
	s_or_b32 exec_lo, exec_lo, s56
	s_and_saveexec_b32 s56, s14
	s_cbranch_execz .LBB63_120
.LBB63_119:                             ;   in Loop: Header=BB63_3 Depth=1
	ds_load_b64 v[44:45], v54 offset:32640
	ds_load_b64 v[46:47], v3 offset:32760
	s_wait_dscnt 0x0
	v_pk_mul_f32 v[98:99], v[46:47], v[44:45] op_sel:[1,1] op_sel_hi:[0,1]
	s_delay_alu instid0(VALU_DEP_1) | instskip(SKIP_1) | instid1(VALU_DEP_2)
	v_pk_fma_f32 v[100:101], v[46:47], v[44:45], v[98:99] op_sel_hi:[1,0,1]
	v_pk_fma_f32 v[44:45], v[46:47], v[44:45], v[98:99] neg_lo:[0,0,1] neg_hi:[0,0,1]
	v_mov_b32_e32 v45, v101
	s_delay_alu instid0(VALU_DEP_1)
	v_pk_add_f32 v[42:43], v[42:43], v[44:45]
.LBB63_120:                             ;   in Loop: Header=BB63_3 Depth=1
	s_or_b32 exec_lo, exec_lo, s56
.LBB63_121:                             ;   in Loop: Header=BB63_3 Depth=1
	s_delay_alu instid0(SALU_CYCLE_1)
	s_or_b32 exec_lo, exec_lo, s60
	s_and_saveexec_b32 s56, s102
; %bb.122:                              ;   in Loop: Header=BB63_3 Depth=1
	s_delay_alu instid0(VALU_DEP_1)
	v_pk_add_f32 v[44:45], v[42:43], 0 neg_lo:[1,1] neg_hi:[1,1]
	ds_store_b64 v74, v[44:45]
; %bb.123:                              ;   in Loop: Header=BB63_3 Depth=1
	s_or_b32 exec_lo, exec_lo, s56
	s_wait_loadcnt_dscnt 0x0
	s_barrier_signal -1
	s_barrier_wait -1
	s_and_saveexec_b32 s56, s103
	s_cbranch_execz .LBB63_125
; %bb.124:                              ;   in Loop: Header=BB63_3 Depth=1
	ds_load_b64 v[44:45], v70 offset:28544
	ds_load_b64 v[46:47], v74
	s_wait_dscnt 0x0
	v_pk_mul_f32 v[98:99], v[46:47], v[44:45] op_sel:[1,1] op_sel_hi:[0,1]
	s_delay_alu instid0(VALU_DEP_1) | instskip(SKIP_1) | instid1(VALU_DEP_2)
	v_pk_fma_f32 v[100:101], v[46:47], v[44:45], v[98:99] op_sel_hi:[1,0,1]
	v_pk_fma_f32 v[44:45], v[46:47], v[44:45], v[98:99] neg_lo:[0,0,1] neg_hi:[0,0,1]
	v_mov_b32_e32 v45, v101
	s_delay_alu instid0(VALU_DEP_1)
	v_pk_add_f32 v[42:43], v[42:43], v[44:45] neg_lo:[0,1] neg_hi:[0,1]
.LBB63_125:                             ;   in Loop: Header=BB63_3 Depth=1
	s_or_b32 exec_lo, exec_lo, s56
	s_barrier_signal -1
	s_barrier_wait -1
	s_and_saveexec_b32 s56, s104
; %bb.126:                              ;   in Loop: Header=BB63_3 Depth=1
	v_pk_add_f32 v[44:45], v[42:43], 0 neg_lo:[1,1] neg_hi:[1,1]
	ds_store_b64 v74, v[44:45]
; %bb.127:                              ;   in Loop: Header=BB63_3 Depth=1
	s_or_b32 exec_lo, exec_lo, s56
	s_wait_dscnt 0x0
	s_barrier_signal -1
	s_barrier_wait -1
	s_and_saveexec_b32 s56, vcc_hi
	s_cbranch_execz .LBB63_129
; %bb.128:                              ;   in Loop: Header=BB63_3 Depth=1
	ds_load_b64 v[44:45], v70 offset:28032
	ds_load_b64 v[46:47], v74
	s_wait_dscnt 0x0
	v_dual_mul_f32 v2, v47, v45 :: v_dual_mul_f32 v5, v46, v45
	s_delay_alu instid0(VALU_DEP_1) | instskip(NEXT) | instid1(VALU_DEP_1)
	v_dual_fma_f32 v2, v46, v44, -v2 :: v_dual_fmac_f32 v5, v47, v44
	v_dual_sub_f32 v42, v42, v2 :: v_dual_sub_f32 v43, v43, v5
.LBB63_129:                             ;   in Loop: Header=BB63_3 Depth=1
	s_or_b32 exec_lo, exec_lo, s56
	s_barrier_signal -1
	s_barrier_wait -1
	s_and_saveexec_b32 s56, s38
; %bb.130:                              ;   in Loop: Header=BB63_3 Depth=1
	v_pk_add_f32 v[44:45], v[42:43], 0 neg_lo:[1,1] neg_hi:[1,1]
	ds_store_b64 v74, v[44:45]
; %bb.131:                              ;   in Loop: Header=BB63_3 Depth=1
	s_or_b32 exec_lo, exec_lo, s56
	s_wait_dscnt 0x0
	s_barrier_signal -1
	s_barrier_wait -1
	s_and_saveexec_b32 s56, s39
	s_cbranch_execz .LBB63_133
; %bb.132:                              ;   in Loop: Header=BB63_3 Depth=1
	ds_load_b64 v[44:45], v70 offset:27520
	ds_load_b64 v[46:47], v74
	s_wait_dscnt 0x0
	v_dual_mul_f32 v2, v47, v45 :: v_dual_mul_f32 v99, v46, v45
	s_delay_alu instid0(VALU_DEP_1) | instskip(NEXT) | instid1(VALU_DEP_1)
	v_dual_fma_f32 v98, v46, v44, -v2 :: v_dual_fmac_f32 v99, v47, v44
	v_pk_add_f32 v[42:43], v[42:43], v[98:99] neg_lo:[0,1] neg_hi:[0,1]
.LBB63_133:                             ;   in Loop: Header=BB63_3 Depth=1
	s_or_b32 exec_lo, exec_lo, s56
	s_barrier_signal -1
	s_barrier_wait -1
	s_and_saveexec_b32 s56, s40
; %bb.134:                              ;   in Loop: Header=BB63_3 Depth=1
	v_pk_add_f32 v[44:45], v[42:43], 0 neg_lo:[1,1] neg_hi:[1,1]
	ds_store_b64 v74, v[44:45]
; %bb.135:                              ;   in Loop: Header=BB63_3 Depth=1
	s_or_b32 exec_lo, exec_lo, s56
	s_wait_dscnt 0x0
	s_barrier_signal -1
	s_barrier_wait -1
	s_and_saveexec_b32 s56, s41
	s_cbranch_execz .LBB63_137
; %bb.136:                              ;   in Loop: Header=BB63_3 Depth=1
	ds_load_b64 v[44:45], v70 offset:27008
	ds_load_b64 v[46:47], v74
	s_wait_dscnt 0x0
	v_pk_mul_f32 v[98:99], v[46:47], v[44:45] op_sel:[1,1] op_sel_hi:[0,1]
	s_delay_alu instid0(VALU_DEP_1) | instskip(SKIP_1) | instid1(VALU_DEP_2)
	v_pk_fma_f32 v[100:101], v[46:47], v[44:45], v[98:99] op_sel_hi:[1,0,1]
	v_pk_fma_f32 v[44:45], v[46:47], v[44:45], v[98:99] neg_lo:[0,0,1] neg_hi:[0,0,1]
	v_mov_b32_e32 v45, v101
	s_delay_alu instid0(VALU_DEP_1)
	v_pk_add_f32 v[42:43], v[42:43], v[44:45] neg_lo:[0,1] neg_hi:[0,1]
.LBB63_137:                             ;   in Loop: Header=BB63_3 Depth=1
	s_or_b32 exec_lo, exec_lo, s56
	s_barrier_signal -1
	s_barrier_wait -1
	s_and_saveexec_b32 s56, s42
; %bb.138:                              ;   in Loop: Header=BB63_3 Depth=1
	v_pk_add_f32 v[44:45], v[42:43], 0 neg_lo:[1,1] neg_hi:[1,1]
	ds_store_b64 v74, v[44:45]
; %bb.139:                              ;   in Loop: Header=BB63_3 Depth=1
	s_or_b32 exec_lo, exec_lo, s56
	s_wait_dscnt 0x0
	s_barrier_signal -1
	s_barrier_wait -1
	s_and_saveexec_b32 s56, s43
	s_cbranch_execz .LBB63_141
; %bb.140:                              ;   in Loop: Header=BB63_3 Depth=1
	ds_load_b64 v[44:45], v70 offset:26496
	ds_load_b64 v[46:47], v74
	s_wait_dscnt 0x0
	v_pk_mul_f32 v[98:99], v[46:47], v[44:45] op_sel:[1,1] op_sel_hi:[0,1]
	s_delay_alu instid0(VALU_DEP_1) | instskip(SKIP_1) | instid1(VALU_DEP_2)
	v_pk_fma_f32 v[100:101], v[46:47], v[44:45], v[98:99] op_sel_hi:[1,0,1]
	v_pk_fma_f32 v[44:45], v[46:47], v[44:45], v[98:99] neg_lo:[0,0,1] neg_hi:[0,0,1]
	v_mov_b32_e32 v45, v101
	s_delay_alu instid0(VALU_DEP_1)
	v_pk_add_f32 v[42:43], v[42:43], v[44:45] neg_lo:[0,1] neg_hi:[0,1]
.LBB63_141:                             ;   in Loop: Header=BB63_3 Depth=1
	;; [unrolled: 26-line block ×4, first 2 shown]
	s_or_b32 exec_lo, exec_lo, s56
	s_barrier_signal -1
	s_barrier_wait -1
	s_and_saveexec_b32 s56, s47
; %bb.150:                              ;   in Loop: Header=BB63_3 Depth=1
	v_pk_add_f32 v[44:45], v[42:43], 0 neg_lo:[1,1] neg_hi:[1,1]
	ds_store_b64 v74, v[44:45]
; %bb.151:                              ;   in Loop: Header=BB63_3 Depth=1
	s_or_b32 exec_lo, exec_lo, s56
	s_wait_dscnt 0x0
	s_barrier_signal -1
	s_barrier_wait -1
	s_barrier_signal -1
	s_barrier_wait -1
	s_and_saveexec_b32 s56, s5
; %bb.152:                              ;   in Loop: Header=BB63_3 Depth=1
	ds_store_b64 v75, v[42:43] offset:32640
; %bb.153:                              ;   in Loop: Header=BB63_3 Depth=1
	s_or_b32 exec_lo, exec_lo, s56
	s_wait_dscnt 0x0
	s_barrier_signal -1
	s_barrier_wait -1
	s_barrier_signal -1
	s_barrier_wait -1
	s_and_saveexec_b32 s56, s48
	s_cbranch_execz .LBB63_155
; %bb.154:                              ;   in Loop: Header=BB63_3 Depth=1
	ds_load_b64 v[42:43], v55 offset:29056
	s_wait_dscnt 0x0
	ds_store_b64 v58, v[42:43] offset:25024
	ds_load_b64 v[42:43], v55 offset:29064
	s_wait_dscnt 0x0
	ds_store_b64 v58, v[42:43] offset:25536
	ds_load_b64 v[42:43], v55 offset:29072
	s_wait_dscnt 0x0
	ds_store_b64 v58, v[42:43] offset:26048
	ds_load_b64 v[42:43], v55 offset:29080
	s_wait_dscnt 0x0
	ds_store_b64 v58, v[42:43] offset:26560
	ds_load_b64 v[42:43], v55 offset:29088
	s_wait_dscnt 0x0
	ds_store_b64 v58, v[42:43] offset:27072
	ds_load_b64 v[42:43], v55 offset:29096
	s_wait_dscnt 0x0
	ds_store_b64 v58, v[42:43] offset:27584
	ds_load_b64 v[42:43], v55 offset:29104
	s_wait_dscnt 0x0
	ds_store_b64 v58, v[42:43] offset:28096
	ds_load_b64 v[42:43], v55 offset:29112
	s_wait_dscnt 0x0
	ds_store_b64 v58, v[42:43] offset:28608
.LBB63_155:                             ;   in Loop: Header=BB63_3 Depth=1
	s_or_b32 exec_lo, exec_lo, s56
	s_wait_dscnt 0x0
	s_barrier_signal -1
	s_barrier_wait -1
	s_and_saveexec_b32 s56, s10
	s_cbranch_execz .LBB63_157
; %bb.156:                              ;   in Loop: Header=BB63_3 Depth=1
	ds_load_b64 v[42:43], v3 offset:28592
	v_add_nc_u32_e64 v2, 0x6800, 0
	ds_store_b64 v3, v[30:31] offset:28600
	s_wait_dscnt 0x1
	ds_store_2addr_b64 v2, v[30:31], v[42:43] offset0:182 offset1:183
.LBB63_157:                             ;   in Loop: Header=BB63_3 Depth=1
	s_or_b32 exec_lo, exec_lo, s56
	v_dual_mov_b32 v42, 0 :: v_dual_mov_b32 v43, 0
	s_wait_dscnt 0x0
	s_barrier_signal -1
	s_barrier_wait -1
	global_wb scope:SCOPE_DEV
	s_wait_storecnt 0x0
	global_inv scope:SCOPE_DEV
	s_and_saveexec_b32 s60, s2
	s_cbranch_execz .LBB63_161
; %bb.158:                              ;   in Loop: Header=BB63_3 Depth=1
	ds_load_b64 v[42:43], v66 offset:28064
	ds_load_b64 v[44:45], v56 offset:28592
	s_wait_dscnt 0x0
	v_pk_mul_f32 v[46:47], v[44:45], v[42:43] op_sel:[1,1] op_sel_hi:[0,1]
	s_delay_alu instid0(VALU_DEP_1) | instskip(SKIP_1) | instid1(VALU_DEP_2)
	v_pk_fma_f32 v[98:99], v[44:45], v[42:43], v[46:47] op_sel_hi:[1,0,1]
	v_pk_fma_f32 v[42:43], v[44:45], v[42:43], v[46:47] neg_lo:[0,0,1] neg_hi:[0,0,1]
	v_mov_b32_e32 v43, v99
	s_delay_alu instid0(VALU_DEP_1)
	v_pk_add_f32 v[42:43], v[42:43], 0 op_sel_hi:[1,0]
	s_and_saveexec_b32 s56, s12
	s_cbranch_execz .LBB63_160
; %bb.159:                              ;   in Loop: Header=BB63_3 Depth=1
	ds_load_b64 v[44:45], v58 offset:28576
	ds_load_b64 v[46:47], v3 offset:28600
	s_wait_dscnt 0x0
	v_pk_mul_f32 v[98:99], v[46:47], v[44:45] op_sel:[1,1] op_sel_hi:[0,1]
	s_delay_alu instid0(VALU_DEP_1) | instskip(SKIP_1) | instid1(VALU_DEP_2)
	v_pk_fma_f32 v[100:101], v[46:47], v[44:45], v[98:99] op_sel_hi:[1,0,1]
	v_pk_fma_f32 v[44:45], v[46:47], v[44:45], v[98:99] neg_lo:[0,0,1] neg_hi:[0,0,1]
	v_mov_b32_e32 v45, v101
	s_delay_alu instid0(VALU_DEP_1)
	v_pk_add_f32 v[42:43], v[42:43], v[44:45]
.LBB63_160:                             ;   in Loop: Header=BB63_3 Depth=1
	s_or_b32 exec_lo, exec_lo, s56
.LBB63_161:                             ;   in Loop: Header=BB63_3 Depth=1
	s_delay_alu instid0(SALU_CYCLE_1)
	s_or_b32 exec_lo, exec_lo, s60
	s_and_saveexec_b32 s56, s92
; %bb.162:                              ;   in Loop: Header=BB63_3 Depth=1
	s_delay_alu instid0(VALU_DEP_1)
	v_pk_add_f32 v[44:45], v[42:43], 0 neg_lo:[1,1] neg_hi:[1,1]
	ds_store_b64 v67, v[44:45]
; %bb.163:                              ;   in Loop: Header=BB63_3 Depth=1
	s_or_b32 exec_lo, exec_lo, s56
	s_wait_loadcnt_dscnt 0x0
	s_barrier_signal -1
	s_barrier_wait -1
	s_and_saveexec_b32 s56, s93
	s_cbranch_execz .LBB63_165
; %bb.164:                              ;   in Loop: Header=BB63_3 Depth=1
	ds_load_b64 v[44:45], v3 offset:27552
	ds_load_b64 v[46:47], v67
	s_wait_dscnt 0x0
	v_pk_mul_f32 v[98:99], v[46:47], v[44:45] op_sel_hi:[1,0]
	s_delay_alu instid0(VALU_DEP_1) | instskip(SKIP_1) | instid1(VALU_DEP_2)
	v_pk_fma_f32 v[100:101], v[46:47], v[44:45], v[98:99] op_sel:[1,1,0] op_sel_hi:[0,1,1]
	v_pk_fma_f32 v[44:45], v[46:47], v[44:45], v[98:99] op_sel:[1,1,0] op_sel_hi:[0,1,1] neg_lo:[0,0,1] neg_hi:[0,0,1]
	v_pk_add_f32 v[46:47], v[42:43], v[100:101] neg_lo:[0,1] neg_hi:[0,1]
	s_delay_alu instid0(VALU_DEP_2) | instskip(NEXT) | instid1(VALU_DEP_2)
	v_pk_add_f32 v[42:43], v[42:43], v[44:45]
	v_mov_b32_e32 v43, v47
.LBB63_165:                             ;   in Loop: Header=BB63_3 Depth=1
	s_or_b32 exec_lo, exec_lo, s56
	s_barrier_signal -1
	s_barrier_wait -1
	s_and_saveexec_b32 s56, s93
; %bb.166:                              ;   in Loop: Header=BB63_3 Depth=1
	v_pk_add_f32 v[44:45], v[42:43], 0 neg_lo:[1,1] neg_hi:[1,1]
	ds_store_b64 v67, v[44:45]
; %bb.167:                              ;   in Loop: Header=BB63_3 Depth=1
	s_or_b32 exec_lo, exec_lo, s56
	s_wait_dscnt 0x0
	s_barrier_signal -1
	s_barrier_wait -1
	s_barrier_signal -1
	s_barrier_wait -1
	s_and_saveexec_b32 s56, s2
; %bb.168:                              ;   in Loop: Header=BB63_3 Depth=1
	ds_store_b64 v69, v[42:43] offset:28576
; %bb.169:                              ;   in Loop: Header=BB63_3 Depth=1
	s_or_b32 exec_lo, exec_lo, s56
	s_wait_dscnt 0x0
	s_barrier_signal -1
	s_barrier_wait -1
	s_barrier_signal -1
	s_barrier_wait -1
	s_and_saveexec_b32 s56, s94
	s_cbranch_execz .LBB63_171
; %bb.170:                              ;   in Loop: Header=BB63_3 Depth=1
	ds_load_b64 v[42:43], v59 offset:28064
	s_wait_dscnt 0x0
	ds_store_b64 v58, v[42:43] offset:27056
	ds_load_b64 v[42:43], v59 offset:28072
	s_wait_dscnt 0x0
	ds_store_b64 v58, v[42:43] offset:27568
.LBB63_171:                             ;   in Loop: Header=BB63_3 Depth=1
	s_or_b32 exec_lo, exec_lo, s56
	s_wait_dscnt 0x0
	s_barrier_signal -1
	s_barrier_wait -1
	s_and_saveexec_b32 s56, s10
	s_cbranch_execz .LBB63_173
; %bb.172:                              ;   in Loop: Header=BB63_3 Depth=1
	ds_load_b64 v[42:43], v3 offset:27552
	v_add_nc_u32_e64 v2, 0x6800, 0
	ds_store_b64 v3, v[30:31] offset:27560
	s_wait_dscnt 0x1
	ds_store_2addr_b64 v2, v[30:31], v[42:43] offset0:52 offset1:53
.LBB63_173:                             ;   in Loop: Header=BB63_3 Depth=1
	s_or_b32 exec_lo, exec_lo, s56
	v_mov_b64_e32 v[42:43], 0
	s_wait_dscnt 0x0
	s_barrier_signal -1
	s_barrier_wait -1
	global_wb scope:SCOPE_DEV
	s_wait_storecnt 0x0
	global_inv scope:SCOPE_DEV
	s_and_saveexec_b32 s60, s4
	s_cbranch_execz .LBB63_179
; %bb.174:                              ;   in Loop: Header=BB63_3 Depth=1
	ds_load_b64 v[42:43], v68 offset:27008
	ds_load_b64 v[44:45], v57 offset:28576
	s_wait_dscnt 0x0
	v_dual_mul_f32 v2, v45, v43 :: v_dual_mul_f32 v5, v44, v43
	s_delay_alu instid0(VALU_DEP_1) | instskip(NEXT) | instid1(VALU_DEP_1)
	v_dual_fma_f32 v2, v44, v42, -v2 :: v_dual_fmac_f32 v5, v45, v42
	v_dual_add_f32 v42, 0, v2 :: v_dual_add_f32 v43, 0, v5
	s_and_saveexec_b32 s56, s13
	s_cbranch_execnz .LBB63_1084
; %bb.175:                              ;   in Loop: Header=BB63_3 Depth=1
	s_or_b32 exec_lo, exec_lo, s56
	s_and_saveexec_b32 s56, s14
	s_cbranch_execnz .LBB63_1085
.LBB63_176:                             ;   in Loop: Header=BB63_3 Depth=1
	s_or_b32 exec_lo, exec_lo, s56
	s_and_saveexec_b32 s56, s2
	s_cbranch_execz .LBB63_178
.LBB63_177:                             ;   in Loop: Header=BB63_3 Depth=1
	ds_load_b64 v[44:45], v62 offset:28544
	ds_load_b64 v[46:47], v3 offset:28600
	s_wait_dscnt 0x0
	v_pk_mul_f32 v[98:99], v[46:47], v[44:45] op_sel:[1,1] op_sel_hi:[0,1]
	s_delay_alu instid0(VALU_DEP_1) | instskip(SKIP_1) | instid1(VALU_DEP_2)
	v_pk_fma_f32 v[100:101], v[46:47], v[44:45], v[98:99] op_sel_hi:[1,0,1]
	v_pk_fma_f32 v[44:45], v[46:47], v[44:45], v[98:99] neg_lo:[0,0,1] neg_hi:[0,0,1]
	v_mov_b32_e32 v45, v101
	s_delay_alu instid0(VALU_DEP_1)
	v_pk_add_f32 v[42:43], v[42:43], v[44:45]
.LBB63_178:                             ;   in Loop: Header=BB63_3 Depth=1
	s_or_b32 exec_lo, exec_lo, s56
.LBB63_179:                             ;   in Loop: Header=BB63_3 Depth=1
	s_delay_alu instid0(SALU_CYCLE_1)
	s_or_b32 exec_lo, exec_lo, s60
	s_and_saveexec_b32 s56, s95
; %bb.180:                              ;   in Loop: Header=BB63_3 Depth=1
	s_delay_alu instid0(VALU_DEP_1)
	v_pk_add_f32 v[44:45], v[42:43], 0 neg_lo:[1,1] neg_hi:[1,1]
	ds_store_b64 v71, v[44:45]
; %bb.181:                              ;   in Loop: Header=BB63_3 Depth=1
	s_or_b32 exec_lo, exec_lo, s56
	s_wait_loadcnt_dscnt 0x0
	s_barrier_signal -1
	s_barrier_wait -1
	s_and_saveexec_b32 s56, s96
	s_cbranch_execz .LBB63_183
; %bb.182:                              ;   in Loop: Header=BB63_3 Depth=1
	ds_load_b64 v[44:45], v68 offset:26496
	ds_load_b64 v[46:47], v71
	s_wait_dscnt 0x0
	v_pk_mul_f32 v[98:99], v[46:47], v[44:45] op_sel:[1,1] op_sel_hi:[0,1]
	s_delay_alu instid0(VALU_DEP_1) | instskip(SKIP_1) | instid1(VALU_DEP_2)
	v_pk_fma_f32 v[100:101], v[46:47], v[44:45], v[98:99] op_sel_hi:[1,0,1]
	v_pk_fma_f32 v[44:45], v[46:47], v[44:45], v[98:99] neg_lo:[0,0,1] neg_hi:[0,0,1]
	v_mov_b32_e32 v45, v101
	s_delay_alu instid0(VALU_DEP_1)
	v_pk_add_f32 v[42:43], v[42:43], v[44:45] neg_lo:[0,1] neg_hi:[0,1]
.LBB63_183:                             ;   in Loop: Header=BB63_3 Depth=1
	s_or_b32 exec_lo, exec_lo, s56
	s_barrier_signal -1
	s_barrier_wait -1
	s_and_saveexec_b32 s56, s97
; %bb.184:                              ;   in Loop: Header=BB63_3 Depth=1
	v_pk_add_f32 v[44:45], v[42:43], 0 neg_lo:[1,1] neg_hi:[1,1]
	ds_store_b64 v71, v[44:45]
; %bb.185:                              ;   in Loop: Header=BB63_3 Depth=1
	s_or_b32 exec_lo, exec_lo, s56
	s_wait_dscnt 0x0
	s_barrier_signal -1
	s_barrier_wait -1
	s_and_saveexec_b32 s56, s98
	s_cbranch_execz .LBB63_187
; %bb.186:                              ;   in Loop: Header=BB63_3 Depth=1
	ds_load_b64 v[44:45], v68 offset:25984
	ds_load_b64 v[46:47], v71
	s_wait_dscnt 0x0
	v_pk_mul_f32 v[98:99], v[46:47], v[44:45] op_sel:[1,1] op_sel_hi:[0,1]
	s_delay_alu instid0(VALU_DEP_1) | instskip(SKIP_1) | instid1(VALU_DEP_2)
	v_pk_fma_f32 v[100:101], v[46:47], v[44:45], v[98:99] op_sel_hi:[1,0,1]
	v_pk_fma_f32 v[44:45], v[46:47], v[44:45], v[98:99] neg_lo:[0,0,1] neg_hi:[0,0,1]
	v_mov_b32_e32 v45, v101
	s_delay_alu instid0(VALU_DEP_1)
	v_pk_add_f32 v[42:43], v[42:43], v[44:45] neg_lo:[0,1] neg_hi:[0,1]
.LBB63_187:                             ;   in Loop: Header=BB63_3 Depth=1
	s_or_b32 exec_lo, exec_lo, s56
	s_barrier_signal -1
	s_barrier_wait -1
	s_and_saveexec_b32 s56, s99
; %bb.188:                              ;   in Loop: Header=BB63_3 Depth=1
	v_pk_add_f32 v[44:45], v[42:43], 0 neg_lo:[1,1] neg_hi:[1,1]
	ds_store_b64 v71, v[44:45]
; %bb.189:                              ;   in Loop: Header=BB63_3 Depth=1
	s_or_b32 exec_lo, exec_lo, s56
	s_wait_dscnt 0x0
	s_barrier_signal -1
	s_barrier_wait -1
	s_and_saveexec_b32 s56, s100
	s_cbranch_execz .LBB63_191
; %bb.190:                              ;   in Loop: Header=BB63_3 Depth=1
	ds_load_b64 v[44:45], v3 offset:25472
	ds_load_b64 v[46:47], v71
	s_wait_dscnt 0x0
	v_pk_mul_f32 v[98:99], v[46:47], v[44:45] op_sel:[1,1] op_sel_hi:[0,1]
	s_delay_alu instid0(VALU_DEP_1) | instskip(SKIP_1) | instid1(VALU_DEP_2)
	v_pk_fma_f32 v[100:101], v[46:47], v[44:45], v[98:99] op_sel_hi:[1,0,1]
	v_pk_fma_f32 v[44:45], v[46:47], v[44:45], v[98:99] neg_lo:[0,0,1] neg_hi:[0,0,1]
	v_mov_b32_e32 v45, v101
	s_delay_alu instid0(VALU_DEP_1)
	v_pk_add_f32 v[42:43], v[42:43], v[44:45] neg_lo:[0,1] neg_hi:[0,1]
.LBB63_191:                             ;   in Loop: Header=BB63_3 Depth=1
	s_or_b32 exec_lo, exec_lo, s56
	s_barrier_signal -1
	s_barrier_wait -1
	s_and_saveexec_b32 s56, s100
; %bb.192:                              ;   in Loop: Header=BB63_3 Depth=1
	v_pk_add_f32 v[44:45], v[42:43], 0 neg_lo:[1,1] neg_hi:[1,1]
	ds_store_b64 v71, v[44:45]
; %bb.193:                              ;   in Loop: Header=BB63_3 Depth=1
	s_or_b32 exec_lo, exec_lo, s56
	s_wait_dscnt 0x0
	s_barrier_signal -1
	s_barrier_wait -1
	s_barrier_signal -1
	s_barrier_wait -1
	s_and_saveexec_b32 s56, s4
; %bb.194:                              ;   in Loop: Header=BB63_3 Depth=1
	ds_store_b64 v73, v[42:43] offset:28544
; %bb.195:                              ;   in Loop: Header=BB63_3 Depth=1
	s_or_b32 exec_lo, exec_lo, s56
	s_wait_dscnt 0x0
	s_barrier_signal -1
	s_barrier_wait -1
	s_barrier_signal -1
	s_barrier_wait -1
	s_and_saveexec_b32 s56, s101
	s_cbranch_execz .LBB63_197
; %bb.196:                              ;   in Loop: Header=BB63_3 Depth=1
	ds_load_b64 v[42:43], v80 offset:27008
	s_wait_dscnt 0x0
	ds_store_b64 v82, v[42:43] offset:24992
	ds_load_b64 v[42:43], v80 offset:27016
	s_wait_dscnt 0x0
	ds_store_b64 v82, v[42:43] offset:25504
	;; [unrolled: 3-line block ×4, first 2 shown]
.LBB63_197:                             ;   in Loop: Header=BB63_3 Depth=1
	s_or_b32 exec_lo, exec_lo, s56
	s_wait_dscnt 0x0
	s_barrier_signal -1
	s_barrier_wait -1
	s_and_saveexec_b32 s56, s10
	s_cbranch_execz .LBB63_199
; %bb.198:                              ;   in Loop: Header=BB63_3 Depth=1
	ds_load_b64 v[42:43], v3 offset:26512
	v_add_nc_u32_e64 v2, 0x6000, 0
	ds_store_b64 v3, v[30:31] offset:26520
	s_wait_dscnt 0x1
	ds_store_2addr_b64 v2, v[30:31], v[42:43] offset0:178 offset1:179
.LBB63_199:                             ;   in Loop: Header=BB63_3 Depth=1
	s_or_b32 exec_lo, exec_lo, s56
	v_dual_mov_b32 v42, 0 :: v_dual_mov_b32 v43, 0
	s_wait_dscnt 0x0
	s_barrier_signal -1
	s_barrier_wait -1
	global_wb scope:SCOPE_DEV
	s_wait_storecnt 0x0
	global_inv scope:SCOPE_DEV
	s_and_saveexec_b32 s60, s2
	s_cbranch_execz .LBB63_203
; %bb.200:                              ;   in Loop: Header=BB63_3 Depth=1
	ds_load_b64 v[42:43], v66 offset:25984
	ds_load_b64 v[44:45], v56 offset:26512
	s_wait_dscnt 0x0
	v_pk_mul_f32 v[46:47], v[44:45], v[42:43] op_sel:[1,1] op_sel_hi:[0,1]
	s_delay_alu instid0(VALU_DEP_1) | instskip(SKIP_1) | instid1(VALU_DEP_2)
	v_pk_fma_f32 v[98:99], v[44:45], v[42:43], v[46:47] op_sel_hi:[1,0,1]
	v_pk_fma_f32 v[42:43], v[44:45], v[42:43], v[46:47] neg_lo:[0,0,1] neg_hi:[0,0,1]
	v_mov_b32_e32 v43, v99
	s_delay_alu instid0(VALU_DEP_1)
	v_pk_add_f32 v[42:43], v[42:43], 0 op_sel_hi:[1,0]
	s_and_saveexec_b32 s56, s12
	s_cbranch_execz .LBB63_202
; %bb.201:                              ;   in Loop: Header=BB63_3 Depth=1
	ds_load_b64 v[44:45], v82 offset:26496
	ds_load_b64 v[46:47], v3 offset:26520
	s_wait_dscnt 0x0
	v_pk_mul_f32 v[98:99], v[46:47], v[44:45] op_sel:[1,1] op_sel_hi:[0,1]
	s_delay_alu instid0(VALU_DEP_1) | instskip(SKIP_1) | instid1(VALU_DEP_2)
	v_pk_fma_f32 v[100:101], v[46:47], v[44:45], v[98:99] op_sel_hi:[1,0,1]
	v_pk_fma_f32 v[44:45], v[46:47], v[44:45], v[98:99] neg_lo:[0,0,1] neg_hi:[0,0,1]
	v_mov_b32_e32 v45, v101
	s_delay_alu instid0(VALU_DEP_1)
	v_pk_add_f32 v[42:43], v[42:43], v[44:45]
.LBB63_202:                             ;   in Loop: Header=BB63_3 Depth=1
	s_or_b32 exec_lo, exec_lo, s56
.LBB63_203:                             ;   in Loop: Header=BB63_3 Depth=1
	s_delay_alu instid0(SALU_CYCLE_1)
	s_or_b32 exec_lo, exec_lo, s60
	s_and_saveexec_b32 s56, s92
; %bb.204:                              ;   in Loop: Header=BB63_3 Depth=1
	s_delay_alu instid0(VALU_DEP_1)
	v_pk_add_f32 v[44:45], v[42:43], 0 neg_lo:[1,1] neg_hi:[1,1]
	ds_store_b64 v67, v[44:45]
; %bb.205:                              ;   in Loop: Header=BB63_3 Depth=1
	s_or_b32 exec_lo, exec_lo, s56
	s_wait_loadcnt_dscnt 0x0
	s_barrier_signal -1
	s_barrier_wait -1
	s_and_saveexec_b32 s56, s93
	s_cbranch_execz .LBB63_207
; %bb.206:                              ;   in Loop: Header=BB63_3 Depth=1
	ds_load_b64 v[44:45], v3 offset:25472
	ds_load_b64 v[46:47], v67
	s_wait_dscnt 0x0
	v_pk_mul_f32 v[98:99], v[46:47], v[44:45] op_sel_hi:[1,0]
	s_delay_alu instid0(VALU_DEP_1) | instskip(SKIP_1) | instid1(VALU_DEP_2)
	v_pk_fma_f32 v[100:101], v[46:47], v[44:45], v[98:99] op_sel:[1,1,0] op_sel_hi:[0,1,1]
	v_pk_fma_f32 v[44:45], v[46:47], v[44:45], v[98:99] op_sel:[1,1,0] op_sel_hi:[0,1,1] neg_lo:[0,0,1] neg_hi:[0,0,1]
	v_pk_add_f32 v[46:47], v[42:43], v[100:101] neg_lo:[0,1] neg_hi:[0,1]
	s_delay_alu instid0(VALU_DEP_2) | instskip(NEXT) | instid1(VALU_DEP_2)
	v_pk_add_f32 v[42:43], v[42:43], v[44:45]
	v_mov_b32_e32 v43, v47
.LBB63_207:                             ;   in Loop: Header=BB63_3 Depth=1
	s_or_b32 exec_lo, exec_lo, s56
	s_barrier_signal -1
	s_barrier_wait -1
	s_and_saveexec_b32 s56, s93
; %bb.208:                              ;   in Loop: Header=BB63_3 Depth=1
	v_pk_add_f32 v[44:45], v[42:43], 0 neg_lo:[1,1] neg_hi:[1,1]
	ds_store_b64 v67, v[44:45]
; %bb.209:                              ;   in Loop: Header=BB63_3 Depth=1
	s_or_b32 exec_lo, exec_lo, s56
	s_wait_dscnt 0x0
	s_barrier_signal -1
	s_barrier_wait -1
	s_barrier_signal -1
	s_barrier_wait -1
	s_and_saveexec_b32 s56, s2
; %bb.210:                              ;   in Loop: Header=BB63_3 Depth=1
	ds_store_b64 v69, v[42:43] offset:26496
; %bb.211:                              ;   in Loop: Header=BB63_3 Depth=1
	s_or_b32 exec_lo, exec_lo, s56
	s_wait_dscnt 0x0
	s_barrier_signal -1
	s_barrier_wait -1
	s_barrier_signal -1
	s_barrier_wait -1
	s_and_saveexec_b32 s56, s94
	s_cbranch_execz .LBB63_213
; %bb.212:                              ;   in Loop: Header=BB63_3 Depth=1
	ds_load_b64 v[42:43], v83 offset:25984
	s_wait_dscnt 0x0
	ds_store_b64 v82, v[42:43] offset:24976
	ds_load_b64 v[42:43], v83 offset:25992
	s_wait_dscnt 0x0
	ds_store_b64 v82, v[42:43] offset:25488
.LBB63_213:                             ;   in Loop: Header=BB63_3 Depth=1
	s_or_b32 exec_lo, exec_lo, s56
	s_wait_dscnt 0x0
	s_barrier_signal -1
	s_barrier_wait -1
	s_and_saveexec_b32 s56, s10
	s_cbranch_execz .LBB63_215
; %bb.214:                              ;   in Loop: Header=BB63_3 Depth=1
	ds_load_b64 v[42:43], v3 offset:25472
	v_add_nc_u32_e64 v2, 0x6000, 0
	ds_store_b64 v3, v[30:31] offset:25480
	s_wait_dscnt 0x1
	ds_store_2addr_b64 v2, v[30:31], v[42:43] offset0:48 offset1:49
.LBB63_215:                             ;   in Loop: Header=BB63_3 Depth=1
	s_or_b32 exec_lo, exec_lo, s56
	v_mov_b64_e32 v[42:43], 0
	s_wait_dscnt 0x0
	s_barrier_signal -1
	s_barrier_wait -1
	global_wb scope:SCOPE_DEV
	s_wait_storecnt 0x0
	global_inv scope:SCOPE_DEV
	s_and_saveexec_b32 s61, s6
	s_cbranch_execz .LBB63_243
; %bb.216:                              ;   in Loop: Header=BB63_3 Depth=1
	ds_load_b64 v[42:43], v72 offset:24832
	ds_load_b64 v[44:45], v63 offset:32640
	v_readlane_b32 s55, v107, 23
	s_wait_dscnt 0x0
	v_dual_mul_f32 v2, v45, v43 :: v_dual_mul_f32 v5, v44, v43
	s_delay_alu instid0(VALU_DEP_1) | instskip(NEXT) | instid1(VALU_DEP_1)
	v_dual_fma_f32 v2, v44, v42, -v2 :: v_dual_fmac_f32 v5, v45, v42
	v_dual_add_f32 v42, 0, v2 :: v_dual_add_f32 v43, 0, v5
	s_and_saveexec_b32 s56, s55
	s_cbranch_execz .LBB63_218
; %bb.217:                              ;   in Loop: Header=BB63_3 Depth=1
	ds_load_b64 v[44:45], v72 offset:25344
	ds_load_b64 v[46:47], v63 offset:32648
	s_wait_dscnt 0x0
	v_dual_mul_f32 v2, v47, v45 :: v_dual_mul_f32 v5, v46, v45
	s_delay_alu instid0(VALU_DEP_1) | instskip(NEXT) | instid1(VALU_DEP_1)
	v_dual_fma_f32 v2, v46, v44, -v2 :: v_dual_fmac_f32 v5, v47, v44
	v_dual_add_f32 v42, v42, v2 :: v_dual_add_f32 v43, v43, v5
.LBB63_218:                             ;   in Loop: Header=BB63_3 Depth=1
	s_or_b32 exec_lo, exec_lo, s56
	v_readlane_b32 s55, v107, 24
	s_and_saveexec_b32 s56, s55
	s_cbranch_execz .LBB63_220
; %bb.219:                              ;   in Loop: Header=BB63_3 Depth=1
	ds_load_b64 v[44:45], v72 offset:25856
	ds_load_b64 v[46:47], v63 offset:32656
	s_wait_dscnt 0x0
	v_dual_mul_f32 v2, v47, v45 :: v_dual_mul_f32 v5, v46, v45
	s_delay_alu instid0(VALU_DEP_1) | instskip(NEXT) | instid1(VALU_DEP_1)
	v_dual_fma_f32 v2, v46, v44, -v2 :: v_dual_fmac_f32 v5, v47, v44
	v_dual_add_f32 v42, v42, v2 :: v_dual_add_f32 v43, v43, v5
.LBB63_220:                             ;   in Loop: Header=BB63_3 Depth=1
	s_or_b32 exec_lo, exec_lo, s56
	v_readlane_b32 s55, v107, 25
	;; [unrolled: 13-line block ×10, first 2 shown]
	s_and_saveexec_b32 s56, s55
	s_cbranch_execnz .LBB63_1086
; %bb.237:                              ;   in Loop: Header=BB63_3 Depth=1
	s_or_b32 exec_lo, exec_lo, s56
	s_and_saveexec_b32 s56, s5
	s_cbranch_execnz .LBB63_1087
.LBB63_238:                             ;   in Loop: Header=BB63_3 Depth=1
	s_or_b32 exec_lo, exec_lo, s56
	s_and_saveexec_b32 s56, s16
	s_cbranch_execnz .LBB63_1088
.LBB63_239:                             ;   in Loop: Header=BB63_3 Depth=1
	s_or_b32 exec_lo, exec_lo, s56
	s_and_saveexec_b32 s56, s18
	s_cbranch_execnz .LBB63_1089
.LBB63_240:                             ;   in Loop: Header=BB63_3 Depth=1
	s_or_b32 exec_lo, exec_lo, s56
	s_and_saveexec_b32 s56, s4
	s_cbranch_execz .LBB63_242
.LBB63_241:                             ;   in Loop: Header=BB63_3 Depth=1
	ds_load_b64 v[44:45], v9 offset:32512
	ds_load_b64 v[46:47], v3 offset:32760
	s_wait_dscnt 0x0
	v_pk_mul_f32 v[98:99], v[46:47], v[44:45] op_sel:[1,1] op_sel_hi:[0,1]
	s_delay_alu instid0(VALU_DEP_1) | instskip(SKIP_1) | instid1(VALU_DEP_2)
	v_pk_fma_f32 v[100:101], v[46:47], v[44:45], v[98:99] op_sel_hi:[1,0,1]
	v_pk_fma_f32 v[44:45], v[46:47], v[44:45], v[98:99] neg_lo:[0,0,1] neg_hi:[0,0,1]
	v_mov_b32_e32 v45, v101
	s_delay_alu instid0(VALU_DEP_1)
	v_pk_add_f32 v[42:43], v[42:43], v[44:45]
.LBB63_242:                             ;   in Loop: Header=BB63_3 Depth=1
	s_or_b32 exec_lo, exec_lo, s56
.LBB63_243:                             ;   in Loop: Header=BB63_3 Depth=1
	s_delay_alu instid0(SALU_CYCLE_1)
	s_or_b32 exec_lo, exec_lo, s61
	v_readlane_b32 s55, v107, 1
	s_and_saveexec_b32 s56, s55
; %bb.244:                              ;   in Loop: Header=BB63_3 Depth=1
	v_pk_add_f32 v[44:45], v[42:43], 0 neg_lo:[1,1] neg_hi:[1,1]
	ds_store_b64 v76, v[44:45]
; %bb.245:                              ;   in Loop: Header=BB63_3 Depth=1
	s_or_b32 exec_lo, exec_lo, s56
	v_readlane_b32 s55, v107, 2
	s_wait_loadcnt_dscnt 0x0
	s_barrier_signal -1
	s_barrier_wait -1
	s_and_saveexec_b32 s56, s55
	s_cbranch_execz .LBB63_247
; %bb.246:                              ;   in Loop: Header=BB63_3 Depth=1
	ds_load_b64 v[44:45], v72 offset:24320
	ds_load_b64 v[46:47], v76
	s_wait_dscnt 0x0
	v_pk_mul_f32 v[98:99], v[46:47], v[44:45] op_sel:[1,1] op_sel_hi:[0,1]
	s_delay_alu instid0(VALU_DEP_1) | instskip(SKIP_1) | instid1(VALU_DEP_2)
	v_pk_fma_f32 v[100:101], v[46:47], v[44:45], v[98:99] op_sel_hi:[1,0,1]
	v_pk_fma_f32 v[44:45], v[46:47], v[44:45], v[98:99] neg_lo:[0,0,1] neg_hi:[0,0,1]
	v_mov_b32_e32 v45, v101
	s_delay_alu instid0(VALU_DEP_1)
	v_pk_add_f32 v[42:43], v[42:43], v[44:45] neg_lo:[0,1] neg_hi:[0,1]
.LBB63_247:                             ;   in Loop: Header=BB63_3 Depth=1
	s_or_b32 exec_lo, exec_lo, s56
	v_readlane_b32 s55, v107, 3
	s_barrier_signal -1
	s_barrier_wait -1
	s_and_saveexec_b32 s56, s55
; %bb.248:                              ;   in Loop: Header=BB63_3 Depth=1
	v_pk_add_f32 v[44:45], v[42:43], 0 neg_lo:[1,1] neg_hi:[1,1]
	ds_store_b64 v76, v[44:45]
; %bb.249:                              ;   in Loop: Header=BB63_3 Depth=1
	s_or_b32 exec_lo, exec_lo, s56
	v_readlane_b32 s55, v107, 4
	s_wait_dscnt 0x0
	s_barrier_signal -1
	s_barrier_wait -1
	s_and_saveexec_b32 s56, s55
	s_cbranch_execz .LBB63_251
; %bb.250:                              ;   in Loop: Header=BB63_3 Depth=1
	ds_load_b64 v[44:45], v72 offset:23808
	ds_load_b64 v[46:47], v76
	s_wait_dscnt 0x0
	v_pk_mul_f32 v[98:99], v[46:47], v[44:45] op_sel:[1,1] op_sel_hi:[0,1]
	s_delay_alu instid0(VALU_DEP_1) | instskip(SKIP_1) | instid1(VALU_DEP_2)
	v_pk_fma_f32 v[100:101], v[46:47], v[44:45], v[98:99] op_sel_hi:[1,0,1]
	v_pk_fma_f32 v[44:45], v[46:47], v[44:45], v[98:99] neg_lo:[0,0,1] neg_hi:[0,0,1]
	v_mov_b32_e32 v45, v101
	s_delay_alu instid0(VALU_DEP_1)
	v_pk_add_f32 v[42:43], v[42:43], v[44:45] neg_lo:[0,1] neg_hi:[0,1]
.LBB63_251:                             ;   in Loop: Header=BB63_3 Depth=1
	s_or_b32 exec_lo, exec_lo, s56
	v_readlane_b32 s55, v107, 5
	s_barrier_signal -1
	s_barrier_wait -1
	s_and_saveexec_b32 s56, s55
; %bb.252:                              ;   in Loop: Header=BB63_3 Depth=1
	v_pk_add_f32 v[44:45], v[42:43], 0 neg_lo:[1,1] neg_hi:[1,1]
	ds_store_b64 v76, v[44:45]
; %bb.253:                              ;   in Loop: Header=BB63_3 Depth=1
	s_or_b32 exec_lo, exec_lo, s56
	v_readlane_b32 s55, v107, 6
	s_wait_dscnt 0x0
	s_barrier_signal -1
	s_barrier_wait -1
	s_and_saveexec_b32 s56, s55
	s_cbranch_execz .LBB63_255
; %bb.254:                              ;   in Loop: Header=BB63_3 Depth=1
	ds_load_b64 v[44:45], v72 offset:23296
	ds_load_b64 v[46:47], v76
	s_wait_dscnt 0x0
	v_pk_mul_f32 v[98:99], v[46:47], v[44:45] op_sel:[1,1] op_sel_hi:[0,1]
	s_delay_alu instid0(VALU_DEP_1) | instskip(SKIP_1) | instid1(VALU_DEP_2)
	v_pk_fma_f32 v[100:101], v[46:47], v[44:45], v[98:99] op_sel_hi:[1,0,1]
	v_pk_fma_f32 v[44:45], v[46:47], v[44:45], v[98:99] neg_lo:[0,0,1] neg_hi:[0,0,1]
	v_mov_b32_e32 v45, v101
	s_delay_alu instid0(VALU_DEP_1)
	v_pk_add_f32 v[42:43], v[42:43], v[44:45] neg_lo:[0,1] neg_hi:[0,1]
.LBB63_255:                             ;   in Loop: Header=BB63_3 Depth=1
	s_or_b32 exec_lo, exec_lo, s56
	v_readlane_b32 s55, v107, 7
	s_barrier_signal -1
	s_barrier_wait -1
	s_and_saveexec_b32 s56, s55
; %bb.256:                              ;   in Loop: Header=BB63_3 Depth=1
	v_pk_add_f32 v[44:45], v[42:43], 0 neg_lo:[1,1] neg_hi:[1,1]
	ds_store_b64 v76, v[44:45]
; %bb.257:                              ;   in Loop: Header=BB63_3 Depth=1
	s_or_b32 exec_lo, exec_lo, s56
	s_wait_dscnt 0x0
	s_barrier_signal -1
	s_barrier_wait -1
	s_and_saveexec_b32 s56, s58
	s_cbranch_execz .LBB63_259
; %bb.258:                              ;   in Loop: Header=BB63_3 Depth=1
	ds_load_b64 v[44:45], v72 offset:22784
	ds_load_b64 v[46:47], v76
	s_wait_dscnt 0x0
	v_dual_mul_f32 v2, v47, v45 :: v_dual_mul_f32 v5, v46, v45
	s_delay_alu instid0(VALU_DEP_1) | instskip(NEXT) | instid1(VALU_DEP_1)
	v_dual_fma_f32 v2, v46, v44, -v2 :: v_dual_fmac_f32 v5, v47, v44
	v_dual_sub_f32 v42, v42, v2 :: v_dual_sub_f32 v43, v43, v5
.LBB63_259:                             ;   in Loop: Header=BB63_3 Depth=1
	s_or_b32 exec_lo, exec_lo, s56
	s_barrier_signal -1
	s_barrier_wait -1
	s_and_saveexec_b32 s56, s59
; %bb.260:                              ;   in Loop: Header=BB63_3 Depth=1
	v_pk_add_f32 v[44:45], v[42:43], 0 neg_lo:[1,1] neg_hi:[1,1]
	ds_store_b64 v76, v[44:45]
; %bb.261:                              ;   in Loop: Header=BB63_3 Depth=1
	s_or_b32 exec_lo, exec_lo, s56
	s_wait_dscnt 0x0
	s_barrier_signal -1
	s_barrier_wait -1
	s_and_saveexec_b32 s56, s20
	s_cbranch_execz .LBB63_263
; %bb.262:                              ;   in Loop: Header=BB63_3 Depth=1
	ds_load_b64 v[44:45], v72 offset:22272
	ds_load_b64 v[46:47], v76
	s_wait_dscnt 0x0
	v_dual_mul_f32 v2, v47, v45 :: v_dual_mul_f32 v99, v46, v45
	s_delay_alu instid0(VALU_DEP_1) | instskip(NEXT) | instid1(VALU_DEP_1)
	v_dual_fma_f32 v98, v46, v44, -v2 :: v_dual_fmac_f32 v99, v47, v44
	v_pk_add_f32 v[42:43], v[42:43], v[98:99] neg_lo:[0,1] neg_hi:[0,1]
.LBB63_263:                             ;   in Loop: Header=BB63_3 Depth=1
	s_or_b32 exec_lo, exec_lo, s56
	s_barrier_signal -1
	s_barrier_wait -1
	s_and_saveexec_b32 s56, s22
; %bb.264:                              ;   in Loop: Header=BB63_3 Depth=1
	v_pk_add_f32 v[44:45], v[42:43], 0 neg_lo:[1,1] neg_hi:[1,1]
	ds_store_b64 v76, v[44:45]
; %bb.265:                              ;   in Loop: Header=BB63_3 Depth=1
	s_or_b32 exec_lo, exec_lo, s56
	s_wait_dscnt 0x0
	s_barrier_signal -1
	s_barrier_wait -1
	s_and_saveexec_b32 s56, s24
	s_cbranch_execz .LBB63_267
; %bb.266:                              ;   in Loop: Header=BB63_3 Depth=1
	ds_load_b64 v[44:45], v72 offset:21760
	ds_load_b64 v[46:47], v76
	s_wait_dscnt 0x0
	v_pk_mul_f32 v[98:99], v[46:47], v[44:45] op_sel:[1,1] op_sel_hi:[0,1]
	s_delay_alu instid0(VALU_DEP_1) | instskip(SKIP_1) | instid1(VALU_DEP_2)
	v_pk_fma_f32 v[100:101], v[46:47], v[44:45], v[98:99] op_sel_hi:[1,0,1]
	v_pk_fma_f32 v[44:45], v[46:47], v[44:45], v[98:99] neg_lo:[0,0,1] neg_hi:[0,0,1]
	v_mov_b32_e32 v45, v101
	s_delay_alu instid0(VALU_DEP_1)
	v_pk_add_f32 v[42:43], v[42:43], v[44:45] neg_lo:[0,1] neg_hi:[0,1]
.LBB63_267:                             ;   in Loop: Header=BB63_3 Depth=1
	s_or_b32 exec_lo, exec_lo, s56
	s_barrier_signal -1
	s_barrier_wait -1
	s_and_saveexec_b32 s56, s26
; %bb.268:                              ;   in Loop: Header=BB63_3 Depth=1
	v_pk_add_f32 v[44:45], v[42:43], 0 neg_lo:[1,1] neg_hi:[1,1]
	ds_store_b64 v76, v[44:45]
; %bb.269:                              ;   in Loop: Header=BB63_3 Depth=1
	s_or_b32 exec_lo, exec_lo, s56
	s_wait_dscnt 0x0
	s_barrier_signal -1
	s_barrier_wait -1
	s_and_saveexec_b32 s56, s28
	s_cbranch_execz .LBB63_271
; %bb.270:                              ;   in Loop: Header=BB63_3 Depth=1
	ds_load_b64 v[44:45], v72 offset:21248
	ds_load_b64 v[46:47], v76
	s_wait_dscnt 0x0
	v_pk_mul_f32 v[98:99], v[46:47], v[44:45] op_sel:[1,1] op_sel_hi:[0,1]
	s_delay_alu instid0(VALU_DEP_1) | instskip(SKIP_1) | instid1(VALU_DEP_2)
	v_pk_fma_f32 v[100:101], v[46:47], v[44:45], v[98:99] op_sel_hi:[1,0,1]
	v_pk_fma_f32 v[44:45], v[46:47], v[44:45], v[98:99] neg_lo:[0,0,1] neg_hi:[0,0,1]
	v_mov_b32_e32 v45, v101
	s_delay_alu instid0(VALU_DEP_1)
	v_pk_add_f32 v[42:43], v[42:43], v[44:45] neg_lo:[0,1] neg_hi:[0,1]
.LBB63_271:                             ;   in Loop: Header=BB63_3 Depth=1
	;; [unrolled: 26-line block ×4, first 2 shown]
	s_or_b32 exec_lo, exec_lo, s56
	s_barrier_signal -1
	s_barrier_wait -1
	s_and_saveexec_b32 s56, s76
; %bb.280:                              ;   in Loop: Header=BB63_3 Depth=1
	v_pk_add_f32 v[44:45], v[42:43], 0 neg_lo:[1,1] neg_hi:[1,1]
	ds_store_b64 v76, v[44:45]
; %bb.281:                              ;   in Loop: Header=BB63_3 Depth=1
	s_or_b32 exec_lo, exec_lo, s56
	s_wait_dscnt 0x0
	s_barrier_signal -1
	s_barrier_wait -1
	s_and_saveexec_b32 s56, s77
	s_cbranch_execz .LBB63_283
; %bb.282:                              ;   in Loop: Header=BB63_3 Depth=1
	ds_load_b64 v[44:45], v72 offset:19712
	ds_load_b64 v[46:47], v76
	s_wait_dscnt 0x0
	v_dual_mul_f32 v2, v47, v45 :: v_dual_mul_f32 v5, v46, v45
	s_delay_alu instid0(VALU_DEP_1) | instskip(NEXT) | instid1(VALU_DEP_1)
	v_dual_fma_f32 v2, v46, v44, -v2 :: v_dual_fmac_f32 v5, v47, v44
	v_dual_sub_f32 v42, v42, v2 :: v_dual_sub_f32 v43, v43, v5
.LBB63_283:                             ;   in Loop: Header=BB63_3 Depth=1
	s_or_b32 exec_lo, exec_lo, s56
	s_barrier_signal -1
	s_barrier_wait -1
	s_and_saveexec_b32 s56, s66
; %bb.284:                              ;   in Loop: Header=BB63_3 Depth=1
	v_pk_add_f32 v[44:45], v[42:43], 0 neg_lo:[1,1] neg_hi:[1,1]
	ds_store_b64 v76, v[44:45]
; %bb.285:                              ;   in Loop: Header=BB63_3 Depth=1
	s_or_b32 exec_lo, exec_lo, s56
	s_wait_dscnt 0x0
	s_barrier_signal -1
	s_barrier_wait -1
	s_and_saveexec_b32 s56, s67
	s_cbranch_execz .LBB63_287
; %bb.286:                              ;   in Loop: Header=BB63_3 Depth=1
	ds_load_b64 v[44:45], v72 offset:19200
	ds_load_b64 v[46:47], v76
	s_wait_dscnt 0x0
	v_dual_mul_f32 v2, v47, v45 :: v_dual_mul_f32 v99, v46, v45
	s_delay_alu instid0(VALU_DEP_1) | instskip(NEXT) | instid1(VALU_DEP_1)
	v_dual_fma_f32 v98, v46, v44, -v2 :: v_dual_fmac_f32 v99, v47, v44
	v_pk_add_f32 v[42:43], v[42:43], v[98:99] neg_lo:[0,1] neg_hi:[0,1]
.LBB63_287:                             ;   in Loop: Header=BB63_3 Depth=1
	s_or_b32 exec_lo, exec_lo, s56
	s_barrier_signal -1
	s_barrier_wait -1
	s_and_saveexec_b32 s56, s21
; %bb.288:                              ;   in Loop: Header=BB63_3 Depth=1
	v_pk_add_f32 v[44:45], v[42:43], 0 neg_lo:[1,1] neg_hi:[1,1]
	ds_store_b64 v76, v[44:45]
; %bb.289:                              ;   in Loop: Header=BB63_3 Depth=1
	s_or_b32 exec_lo, exec_lo, s56
	s_wait_dscnt 0x0
	s_barrier_signal -1
	s_barrier_wait -1
	s_and_saveexec_b32 s56, s23
	s_cbranch_execz .LBB63_291
; %bb.290:                              ;   in Loop: Header=BB63_3 Depth=1
	ds_load_b64 v[44:45], v72 offset:18688
	ds_load_b64 v[46:47], v76
	s_wait_dscnt 0x0
	v_pk_mul_f32 v[98:99], v[46:47], v[44:45] op_sel:[1,1] op_sel_hi:[0,1]
	s_delay_alu instid0(VALU_DEP_1) | instskip(SKIP_1) | instid1(VALU_DEP_2)
	v_pk_fma_f32 v[100:101], v[46:47], v[44:45], v[98:99] op_sel_hi:[1,0,1]
	v_pk_fma_f32 v[44:45], v[46:47], v[44:45], v[98:99] neg_lo:[0,0,1] neg_hi:[0,0,1]
	v_mov_b32_e32 v45, v101
	s_delay_alu instid0(VALU_DEP_1)
	v_pk_add_f32 v[42:43], v[42:43], v[44:45] neg_lo:[0,1] neg_hi:[0,1]
.LBB63_291:                             ;   in Loop: Header=BB63_3 Depth=1
	s_or_b32 exec_lo, exec_lo, s56
	s_barrier_signal -1
	s_barrier_wait -1
	s_and_saveexec_b32 s56, s25
; %bb.292:                              ;   in Loop: Header=BB63_3 Depth=1
	v_pk_add_f32 v[44:45], v[42:43], 0 neg_lo:[1,1] neg_hi:[1,1]
	ds_store_b64 v76, v[44:45]
; %bb.293:                              ;   in Loop: Header=BB63_3 Depth=1
	s_or_b32 exec_lo, exec_lo, s56
	s_wait_dscnt 0x0
	s_barrier_signal -1
	s_barrier_wait -1
	s_and_saveexec_b32 s56, s27
	s_cbranch_execz .LBB63_295
; %bb.294:                              ;   in Loop: Header=BB63_3 Depth=1
	ds_load_b64 v[44:45], v72 offset:18176
	ds_load_b64 v[46:47], v76
	s_wait_dscnt 0x0
	v_pk_mul_f32 v[98:99], v[46:47], v[44:45] op_sel:[1,1] op_sel_hi:[0,1]
	s_delay_alu instid0(VALU_DEP_1) | instskip(SKIP_1) | instid1(VALU_DEP_2)
	v_pk_fma_f32 v[100:101], v[46:47], v[44:45], v[98:99] op_sel_hi:[1,0,1]
	v_pk_fma_f32 v[44:45], v[46:47], v[44:45], v[98:99] neg_lo:[0,0,1] neg_hi:[0,0,1]
	v_mov_b32_e32 v45, v101
	s_delay_alu instid0(VALU_DEP_1)
	v_pk_add_f32 v[42:43], v[42:43], v[44:45] neg_lo:[0,1] neg_hi:[0,1]
.LBB63_295:                             ;   in Loop: Header=BB63_3 Depth=1
	s_or_b32 exec_lo, exec_lo, s56
	s_barrier_signal -1
	s_barrier_wait -1
	s_and_saveexec_b32 s56, s29
; %bb.296:                              ;   in Loop: Header=BB63_3 Depth=1
	v_pk_add_f32 v[44:45], v[42:43], 0 neg_lo:[1,1] neg_hi:[1,1]
	ds_store_b64 v76, v[44:45]
; %bb.297:                              ;   in Loop: Header=BB63_3 Depth=1
	s_or_b32 exec_lo, exec_lo, s56
	s_wait_dscnt 0x0
	s_barrier_signal -1
	s_barrier_wait -1
	s_and_saveexec_b32 s56, s89
	s_cbranch_execz .LBB63_299
; %bb.298:                              ;   in Loop: Header=BB63_3 Depth=1
	ds_load_b64 v[44:45], v72 offset:17664
	ds_load_b64 v[46:47], v76
	s_wait_dscnt 0x0
	v_pk_mul_f32 v[98:99], v[46:47], v[44:45] op_sel:[1,1] op_sel_hi:[0,1]
	s_delay_alu instid0(VALU_DEP_1) | instskip(SKIP_1) | instid1(VALU_DEP_2)
	v_pk_fma_f32 v[100:101], v[46:47], v[44:45], v[98:99] op_sel_hi:[1,0,1]
	v_pk_fma_f32 v[44:45], v[46:47], v[44:45], v[98:99] neg_lo:[0,0,1] neg_hi:[0,0,1]
	v_mov_b32_e32 v45, v101
	s_delay_alu instid0(VALU_DEP_1)
	v_pk_add_f32 v[42:43], v[42:43], v[44:45] neg_lo:[0,1] neg_hi:[0,1]
.LBB63_299:                             ;   in Loop: Header=BB63_3 Depth=1
	s_or_b32 exec_lo, exec_lo, s56
	s_barrier_signal -1
	s_barrier_wait -1
	s_and_saveexec_b32 s56, s49
; %bb.300:                              ;   in Loop: Header=BB63_3 Depth=1
	v_pk_add_f32 v[44:45], v[42:43], 0 neg_lo:[1,1] neg_hi:[1,1]
	ds_store_b64 v76, v[44:45]
; %bb.301:                              ;   in Loop: Header=BB63_3 Depth=1
	s_or_b32 exec_lo, exec_lo, s56
	s_wait_dscnt 0x0
	s_barrier_signal -1
	s_barrier_wait -1
	s_and_saveexec_b32 s56, s50
	s_cbranch_execz .LBB63_303
; %bb.302:                              ;   in Loop: Header=BB63_3 Depth=1
	ds_load_b64 v[44:45], v3 offset:17152
	ds_load_b64 v[46:47], v76
	s_wait_dscnt 0x0
	v_pk_mul_f32 v[98:99], v[46:47], v[44:45] op_sel:[1,1] op_sel_hi:[0,1]
	s_delay_alu instid0(VALU_DEP_1) | instskip(SKIP_1) | instid1(VALU_DEP_2)
	v_pk_fma_f32 v[100:101], v[46:47], v[44:45], v[98:99] op_sel_hi:[1,0,1]
	v_pk_fma_f32 v[44:45], v[46:47], v[44:45], v[98:99] neg_lo:[0,0,1] neg_hi:[0,0,1]
	v_mov_b32_e32 v45, v101
	s_delay_alu instid0(VALU_DEP_1)
	v_pk_add_f32 v[42:43], v[42:43], v[44:45] neg_lo:[0,1] neg_hi:[0,1]
.LBB63_303:                             ;   in Loop: Header=BB63_3 Depth=1
	s_or_b32 exec_lo, exec_lo, s56
	s_barrier_signal -1
	s_barrier_wait -1
	s_and_saveexec_b32 s56, s50
; %bb.304:                              ;   in Loop: Header=BB63_3 Depth=1
	v_pk_add_f32 v[44:45], v[42:43], 0 neg_lo:[1,1] neg_hi:[1,1]
	ds_store_b64 v76, v[44:45]
; %bb.305:                              ;   in Loop: Header=BB63_3 Depth=1
	s_or_b32 exec_lo, exec_lo, s56
	s_wait_dscnt 0x0
	s_barrier_signal -1
	s_barrier_wait -1
	s_barrier_signal -1
	s_barrier_wait -1
	s_and_saveexec_b32 s56, s6
; %bb.306:                              ;   in Loop: Header=BB63_3 Depth=1
	ds_store_b64 v77, v[42:43] offset:32512
; %bb.307:                              ;   in Loop: Header=BB63_3 Depth=1
	s_or_b32 exec_lo, exec_lo, s56
	s_wait_dscnt 0x0
	s_barrier_signal -1
	s_barrier_wait -1
	s_barrier_signal -1
	s_barrier_wait -1
	s_and_saveexec_b32 s60, s52
	s_cbranch_execz .LBB63_309
; %bb.308:                              ;   in Loop: Header=BB63_3 Depth=1
	ds_load_b64 v[42:43], v49 offset:24832
	s_wait_dscnt 0x0
	ds_store_b64 v50, v[42:43] offset:16768
	ds_load_b64 v[42:43], v49 offset:24840
	s_wait_dscnt 0x0
	ds_store_b64 v50, v[42:43] offset:17280
	;; [unrolled: 3-line block ×16, first 2 shown]
.LBB63_309:                             ;   in Loop: Header=BB63_3 Depth=1
	s_or_b32 exec_lo, exec_lo, s60
	s_wait_dscnt 0x0
	s_barrier_signal -1
	s_barrier_wait -1
	s_and_saveexec_b32 s56, s10
	s_cbranch_execz .LBB63_311
; %bb.310:                              ;   in Loop: Header=BB63_3 Depth=1
	ds_load_b64 v[42:43], v3 offset:24432
	v_add_nc_u32_e64 v2, 0x5800, 0
	ds_store_b64 v3, v[30:31] offset:24440
	s_wait_dscnt 0x1
	ds_store_2addr_b64 v2, v[30:31], v[42:43] offset0:174 offset1:175
.LBB63_311:                             ;   in Loop: Header=BB63_3 Depth=1
	s_or_b32 exec_lo, exec_lo, s56
	v_dual_mov_b32 v42, 0 :: v_dual_mov_b32 v43, 0
	s_wait_dscnt 0x0
	s_barrier_signal -1
	s_barrier_wait -1
	global_wb scope:SCOPE_DEV
	s_wait_storecnt 0x0
	global_inv scope:SCOPE_DEV
	s_and_saveexec_b32 s60, s2
	s_cbranch_execz .LBB63_315
; %bb.312:                              ;   in Loop: Header=BB63_3 Depth=1
	ds_load_b64 v[42:43], v66 offset:23904
	ds_load_b64 v[44:45], v56 offset:24432
	s_wait_dscnt 0x0
	v_pk_mul_f32 v[46:47], v[44:45], v[42:43] op_sel:[1,1] op_sel_hi:[0,1]
	s_delay_alu instid0(VALU_DEP_1) | instskip(SKIP_1) | instid1(VALU_DEP_2)
	v_pk_fma_f32 v[98:99], v[44:45], v[42:43], v[46:47] op_sel_hi:[1,0,1]
	v_pk_fma_f32 v[42:43], v[44:45], v[42:43], v[46:47] neg_lo:[0,0,1] neg_hi:[0,0,1]
	v_mov_b32_e32 v43, v99
	s_delay_alu instid0(VALU_DEP_1)
	v_pk_add_f32 v[42:43], v[42:43], 0 op_sel_hi:[1,0]
	s_and_saveexec_b32 s56, s12
	s_cbranch_execz .LBB63_314
; %bb.313:                              ;   in Loop: Header=BB63_3 Depth=1
	ds_load_b64 v[44:45], v9 offset:24416
	ds_load_b64 v[46:47], v3 offset:24440
	s_wait_dscnt 0x0
	v_pk_mul_f32 v[98:99], v[46:47], v[44:45] op_sel:[1,1] op_sel_hi:[0,1]
	s_delay_alu instid0(VALU_DEP_1) | instskip(SKIP_1) | instid1(VALU_DEP_2)
	v_pk_fma_f32 v[100:101], v[46:47], v[44:45], v[98:99] op_sel_hi:[1,0,1]
	v_pk_fma_f32 v[44:45], v[46:47], v[44:45], v[98:99] neg_lo:[0,0,1] neg_hi:[0,0,1]
	v_mov_b32_e32 v45, v101
	s_delay_alu instid0(VALU_DEP_1)
	v_pk_add_f32 v[42:43], v[42:43], v[44:45]
.LBB63_314:                             ;   in Loop: Header=BB63_3 Depth=1
	s_or_b32 exec_lo, exec_lo, s56
.LBB63_315:                             ;   in Loop: Header=BB63_3 Depth=1
	s_delay_alu instid0(SALU_CYCLE_1)
	s_or_b32 exec_lo, exec_lo, s60
	s_and_saveexec_b32 s56, s92
; %bb.316:                              ;   in Loop: Header=BB63_3 Depth=1
	s_delay_alu instid0(VALU_DEP_1)
	v_pk_add_f32 v[44:45], v[42:43], 0 neg_lo:[1,1] neg_hi:[1,1]
	ds_store_b64 v67, v[44:45]
; %bb.317:                              ;   in Loop: Header=BB63_3 Depth=1
	s_or_b32 exec_lo, exec_lo, s56
	s_wait_loadcnt_dscnt 0x0
	s_barrier_signal -1
	s_barrier_wait -1
	s_and_saveexec_b32 s56, s93
	s_cbranch_execz .LBB63_319
; %bb.318:                              ;   in Loop: Header=BB63_3 Depth=1
	ds_load_b64 v[44:45], v3 offset:23392
	ds_load_b64 v[46:47], v67
	s_wait_dscnt 0x0
	v_pk_mul_f32 v[98:99], v[46:47], v[44:45] op_sel_hi:[1,0]
	s_delay_alu instid0(VALU_DEP_1) | instskip(SKIP_1) | instid1(VALU_DEP_2)
	v_pk_fma_f32 v[100:101], v[46:47], v[44:45], v[98:99] op_sel:[1,1,0] op_sel_hi:[0,1,1]
	v_pk_fma_f32 v[44:45], v[46:47], v[44:45], v[98:99] op_sel:[1,1,0] op_sel_hi:[0,1,1] neg_lo:[0,0,1] neg_hi:[0,0,1]
	v_pk_add_f32 v[46:47], v[42:43], v[100:101] neg_lo:[0,1] neg_hi:[0,1]
	s_delay_alu instid0(VALU_DEP_2) | instskip(NEXT) | instid1(VALU_DEP_2)
	v_pk_add_f32 v[42:43], v[42:43], v[44:45]
	v_mov_b32_e32 v43, v47
.LBB63_319:                             ;   in Loop: Header=BB63_3 Depth=1
	s_or_b32 exec_lo, exec_lo, s56
	s_barrier_signal -1
	s_barrier_wait -1
	s_and_saveexec_b32 s56, s93
; %bb.320:                              ;   in Loop: Header=BB63_3 Depth=1
	v_pk_add_f32 v[44:45], v[42:43], 0 neg_lo:[1,1] neg_hi:[1,1]
	ds_store_b64 v67, v[44:45]
; %bb.321:                              ;   in Loop: Header=BB63_3 Depth=1
	s_or_b32 exec_lo, exec_lo, s56
	s_wait_dscnt 0x0
	s_barrier_signal -1
	s_barrier_wait -1
	s_barrier_signal -1
	s_barrier_wait -1
	s_and_saveexec_b32 s56, s2
; %bb.322:                              ;   in Loop: Header=BB63_3 Depth=1
	ds_store_b64 v69, v[42:43] offset:24416
; %bb.323:                              ;   in Loop: Header=BB63_3 Depth=1
	s_or_b32 exec_lo, exec_lo, s56
	s_wait_dscnt 0x0
	s_barrier_signal -1
	s_barrier_wait -1
	s_barrier_signal -1
	s_barrier_wait -1
	s_and_saveexec_b32 s56, s94
	s_cbranch_execz .LBB63_325
; %bb.324:                              ;   in Loop: Header=BB63_3 Depth=1
	ds_load_b64 v[42:43], v49 offset:23904
	s_wait_dscnt 0x0
	ds_store_b64 v9, v[42:43] offset:22896
	ds_load_b64 v[42:43], v49 offset:23912
	s_wait_dscnt 0x0
	ds_store_b64 v9, v[42:43] offset:23408
.LBB63_325:                             ;   in Loop: Header=BB63_3 Depth=1
	s_or_b32 exec_lo, exec_lo, s56
	s_wait_dscnt 0x0
	s_barrier_signal -1
	s_barrier_wait -1
	s_and_saveexec_b32 s56, s10
	s_cbranch_execz .LBB63_327
; %bb.326:                              ;   in Loop: Header=BB63_3 Depth=1
	ds_load_b64 v[42:43], v3 offset:23392
	v_add_nc_u32_e64 v2, 0x5800, 0
	ds_store_b64 v3, v[30:31] offset:23400
	s_wait_dscnt 0x1
	ds_store_2addr_b64 v2, v[30:31], v[42:43] offset0:44 offset1:45
.LBB63_327:                             ;   in Loop: Header=BB63_3 Depth=1
	s_or_b32 exec_lo, exec_lo, s56
	v_mov_b64_e32 v[42:43], 0
	s_wait_dscnt 0x0
	s_barrier_signal -1
	s_barrier_wait -1
	global_wb scope:SCOPE_DEV
	s_wait_storecnt 0x0
	global_inv scope:SCOPE_DEV
	s_and_saveexec_b32 s60, s4
	s_cbranch_execz .LBB63_333
; %bb.328:                              ;   in Loop: Header=BB63_3 Depth=1
	ds_load_b64 v[42:43], v68 offset:22848
	ds_load_b64 v[44:45], v57 offset:24416
	s_wait_dscnt 0x0
	v_dual_mul_f32 v2, v45, v43 :: v_dual_mul_f32 v5, v44, v43
	s_delay_alu instid0(VALU_DEP_1) | instskip(NEXT) | instid1(VALU_DEP_1)
	v_dual_fma_f32 v2, v44, v42, -v2 :: v_dual_fmac_f32 v5, v45, v42
	v_dual_add_f32 v42, 0, v2 :: v_dual_add_f32 v43, 0, v5
	s_and_saveexec_b32 s56, s13
	s_cbranch_execnz .LBB63_1090
; %bb.329:                              ;   in Loop: Header=BB63_3 Depth=1
	s_or_b32 exec_lo, exec_lo, s56
	s_and_saveexec_b32 s56, s14
	s_cbranch_execnz .LBB63_1091
.LBB63_330:                             ;   in Loop: Header=BB63_3 Depth=1
	s_or_b32 exec_lo, exec_lo, s56
	s_and_saveexec_b32 s56, s2
	s_cbranch_execz .LBB63_332
.LBB63_331:                             ;   in Loop: Header=BB63_3 Depth=1
	ds_load_b64 v[44:45], v50 offset:24384
	ds_load_b64 v[46:47], v3 offset:24440
	s_wait_dscnt 0x0
	v_pk_mul_f32 v[98:99], v[46:47], v[44:45] op_sel:[1,1] op_sel_hi:[0,1]
	s_delay_alu instid0(VALU_DEP_1) | instskip(SKIP_1) | instid1(VALU_DEP_2)
	v_pk_fma_f32 v[100:101], v[46:47], v[44:45], v[98:99] op_sel_hi:[1,0,1]
	v_pk_fma_f32 v[44:45], v[46:47], v[44:45], v[98:99] neg_lo:[0,0,1] neg_hi:[0,0,1]
	v_mov_b32_e32 v45, v101
	s_delay_alu instid0(VALU_DEP_1)
	v_pk_add_f32 v[42:43], v[42:43], v[44:45]
.LBB63_332:                             ;   in Loop: Header=BB63_3 Depth=1
	s_or_b32 exec_lo, exec_lo, s56
.LBB63_333:                             ;   in Loop: Header=BB63_3 Depth=1
	s_delay_alu instid0(SALU_CYCLE_1)
	s_or_b32 exec_lo, exec_lo, s60
	s_and_saveexec_b32 s56, s95
; %bb.334:                              ;   in Loop: Header=BB63_3 Depth=1
	s_delay_alu instid0(VALU_DEP_1)
	v_pk_add_f32 v[44:45], v[42:43], 0 neg_lo:[1,1] neg_hi:[1,1]
	ds_store_b64 v71, v[44:45]
; %bb.335:                              ;   in Loop: Header=BB63_3 Depth=1
	s_or_b32 exec_lo, exec_lo, s56
	s_wait_loadcnt_dscnt 0x0
	s_barrier_signal -1
	s_barrier_wait -1
	s_and_saveexec_b32 s56, s96
	s_cbranch_execz .LBB63_337
; %bb.336:                              ;   in Loop: Header=BB63_3 Depth=1
	ds_load_b64 v[44:45], v68 offset:22336
	ds_load_b64 v[46:47], v71
	s_wait_dscnt 0x0
	v_pk_mul_f32 v[98:99], v[46:47], v[44:45] op_sel:[1,1] op_sel_hi:[0,1]
	s_delay_alu instid0(VALU_DEP_1) | instskip(SKIP_1) | instid1(VALU_DEP_2)
	v_pk_fma_f32 v[100:101], v[46:47], v[44:45], v[98:99] op_sel_hi:[1,0,1]
	v_pk_fma_f32 v[44:45], v[46:47], v[44:45], v[98:99] neg_lo:[0,0,1] neg_hi:[0,0,1]
	v_mov_b32_e32 v45, v101
	s_delay_alu instid0(VALU_DEP_1)
	v_pk_add_f32 v[42:43], v[42:43], v[44:45] neg_lo:[0,1] neg_hi:[0,1]
.LBB63_337:                             ;   in Loop: Header=BB63_3 Depth=1
	s_or_b32 exec_lo, exec_lo, s56
	s_barrier_signal -1
	s_barrier_wait -1
	s_and_saveexec_b32 s56, s97
; %bb.338:                              ;   in Loop: Header=BB63_3 Depth=1
	v_pk_add_f32 v[44:45], v[42:43], 0 neg_lo:[1,1] neg_hi:[1,1]
	ds_store_b64 v71, v[44:45]
; %bb.339:                              ;   in Loop: Header=BB63_3 Depth=1
	s_or_b32 exec_lo, exec_lo, s56
	s_wait_dscnt 0x0
	s_barrier_signal -1
	s_barrier_wait -1
	s_and_saveexec_b32 s56, s98
	s_cbranch_execz .LBB63_341
; %bb.340:                              ;   in Loop: Header=BB63_3 Depth=1
	ds_load_b64 v[44:45], v68 offset:21824
	ds_load_b64 v[46:47], v71
	s_wait_dscnt 0x0
	v_pk_mul_f32 v[98:99], v[46:47], v[44:45] op_sel:[1,1] op_sel_hi:[0,1]
	s_delay_alu instid0(VALU_DEP_1) | instskip(SKIP_1) | instid1(VALU_DEP_2)
	v_pk_fma_f32 v[100:101], v[46:47], v[44:45], v[98:99] op_sel_hi:[1,0,1]
	v_pk_fma_f32 v[44:45], v[46:47], v[44:45], v[98:99] neg_lo:[0,0,1] neg_hi:[0,0,1]
	v_mov_b32_e32 v45, v101
	s_delay_alu instid0(VALU_DEP_1)
	v_pk_add_f32 v[42:43], v[42:43], v[44:45] neg_lo:[0,1] neg_hi:[0,1]
.LBB63_341:                             ;   in Loop: Header=BB63_3 Depth=1
	s_or_b32 exec_lo, exec_lo, s56
	s_barrier_signal -1
	s_barrier_wait -1
	s_and_saveexec_b32 s56, s99
; %bb.342:                              ;   in Loop: Header=BB63_3 Depth=1
	v_pk_add_f32 v[44:45], v[42:43], 0 neg_lo:[1,1] neg_hi:[1,1]
	ds_store_b64 v71, v[44:45]
; %bb.343:                              ;   in Loop: Header=BB63_3 Depth=1
	s_or_b32 exec_lo, exec_lo, s56
	s_wait_dscnt 0x0
	;; [unrolled: 26-line block ×3, first 2 shown]
	s_barrier_signal -1
	s_barrier_wait -1
	s_barrier_signal -1
	s_barrier_wait -1
	s_and_saveexec_b32 s56, s4
; %bb.348:                              ;   in Loop: Header=BB63_3 Depth=1
	ds_store_b64 v73, v[42:43] offset:24384
; %bb.349:                              ;   in Loop: Header=BB63_3 Depth=1
	s_or_b32 exec_lo, exec_lo, s56
	s_wait_dscnt 0x0
	s_barrier_signal -1
	s_barrier_wait -1
	s_barrier_signal -1
	s_barrier_wait -1
	s_and_saveexec_b32 s56, s101
	s_cbranch_execz .LBB63_351
; %bb.350:                              ;   in Loop: Header=BB63_3 Depth=1
	ds_load_b64 v[42:43], v51 offset:22848
	s_wait_dscnt 0x0
	ds_store_b64 v52, v[42:43] offset:20832
	ds_load_b64 v[42:43], v51 offset:22856
	s_wait_dscnt 0x0
	ds_store_b64 v52, v[42:43] offset:21344
	;; [unrolled: 3-line block ×4, first 2 shown]
.LBB63_351:                             ;   in Loop: Header=BB63_3 Depth=1
	s_or_b32 exec_lo, exec_lo, s56
	s_wait_dscnt 0x0
	s_barrier_signal -1
	s_barrier_wait -1
	s_and_saveexec_b32 s56, s10
	s_cbranch_execz .LBB63_353
; %bb.352:                              ;   in Loop: Header=BB63_3 Depth=1
	ds_load_b64 v[42:43], v3 offset:22352
	v_add_nc_u32_e64 v2, 0x5000, 0
	ds_store_b64 v3, v[30:31] offset:22360
	s_wait_dscnt 0x1
	ds_store_2addr_b64 v2, v[30:31], v[42:43] offset0:170 offset1:171
.LBB63_353:                             ;   in Loop: Header=BB63_3 Depth=1
	s_or_b32 exec_lo, exec_lo, s56
	v_dual_mov_b32 v42, 0 :: v_dual_mov_b32 v43, 0
	s_wait_dscnt 0x0
	s_barrier_signal -1
	s_barrier_wait -1
	global_wb scope:SCOPE_DEV
	s_wait_storecnt 0x0
	global_inv scope:SCOPE_DEV
	s_and_saveexec_b32 s60, s2
	s_cbranch_execz .LBB63_357
; %bb.354:                              ;   in Loop: Header=BB63_3 Depth=1
	ds_load_b64 v[42:43], v66 offset:21824
	ds_load_b64 v[44:45], v56 offset:22352
	s_wait_dscnt 0x0
	v_pk_mul_f32 v[46:47], v[44:45], v[42:43] op_sel:[1,1] op_sel_hi:[0,1]
	s_delay_alu instid0(VALU_DEP_1) | instskip(SKIP_1) | instid1(VALU_DEP_2)
	v_pk_fma_f32 v[98:99], v[44:45], v[42:43], v[46:47] op_sel_hi:[1,0,1]
	v_pk_fma_f32 v[42:43], v[44:45], v[42:43], v[46:47] neg_lo:[0,0,1] neg_hi:[0,0,1]
	v_mov_b32_e32 v43, v99
	s_delay_alu instid0(VALU_DEP_1)
	v_pk_add_f32 v[42:43], v[42:43], 0 op_sel_hi:[1,0]
	s_and_saveexec_b32 s56, s12
	s_cbranch_execz .LBB63_356
; %bb.355:                              ;   in Loop: Header=BB63_3 Depth=1
	ds_load_b64 v[44:45], v52 offset:22336
	ds_load_b64 v[46:47], v3 offset:22360
	s_wait_dscnt 0x0
	v_pk_mul_f32 v[98:99], v[46:47], v[44:45] op_sel:[1,1] op_sel_hi:[0,1]
	s_delay_alu instid0(VALU_DEP_1) | instskip(SKIP_1) | instid1(VALU_DEP_2)
	v_pk_fma_f32 v[100:101], v[46:47], v[44:45], v[98:99] op_sel_hi:[1,0,1]
	v_pk_fma_f32 v[44:45], v[46:47], v[44:45], v[98:99] neg_lo:[0,0,1] neg_hi:[0,0,1]
	v_mov_b32_e32 v45, v101
	s_delay_alu instid0(VALU_DEP_1)
	v_pk_add_f32 v[42:43], v[42:43], v[44:45]
.LBB63_356:                             ;   in Loop: Header=BB63_3 Depth=1
	s_or_b32 exec_lo, exec_lo, s56
.LBB63_357:                             ;   in Loop: Header=BB63_3 Depth=1
	s_delay_alu instid0(SALU_CYCLE_1)
	s_or_b32 exec_lo, exec_lo, s60
	s_and_saveexec_b32 s56, s92
; %bb.358:                              ;   in Loop: Header=BB63_3 Depth=1
	s_delay_alu instid0(VALU_DEP_1)
	v_pk_add_f32 v[44:45], v[42:43], 0 neg_lo:[1,1] neg_hi:[1,1]
	ds_store_b64 v67, v[44:45]
; %bb.359:                              ;   in Loop: Header=BB63_3 Depth=1
	s_or_b32 exec_lo, exec_lo, s56
	s_wait_loadcnt_dscnt 0x0
	s_barrier_signal -1
	s_barrier_wait -1
	s_and_saveexec_b32 s56, s93
	s_cbranch_execz .LBB63_361
; %bb.360:                              ;   in Loop: Header=BB63_3 Depth=1
	ds_load_b64 v[44:45], v3 offset:21312
	ds_load_b64 v[46:47], v67
	s_wait_dscnt 0x0
	v_pk_mul_f32 v[98:99], v[46:47], v[44:45] op_sel_hi:[1,0]
	s_delay_alu instid0(VALU_DEP_1) | instskip(SKIP_1) | instid1(VALU_DEP_2)
	v_pk_fma_f32 v[100:101], v[46:47], v[44:45], v[98:99] op_sel:[1,1,0] op_sel_hi:[0,1,1]
	v_pk_fma_f32 v[44:45], v[46:47], v[44:45], v[98:99] op_sel:[1,1,0] op_sel_hi:[0,1,1] neg_lo:[0,0,1] neg_hi:[0,0,1]
	v_pk_add_f32 v[46:47], v[42:43], v[100:101] neg_lo:[0,1] neg_hi:[0,1]
	s_delay_alu instid0(VALU_DEP_2) | instskip(NEXT) | instid1(VALU_DEP_2)
	v_pk_add_f32 v[42:43], v[42:43], v[44:45]
	v_mov_b32_e32 v43, v47
.LBB63_361:                             ;   in Loop: Header=BB63_3 Depth=1
	s_or_b32 exec_lo, exec_lo, s56
	s_barrier_signal -1
	s_barrier_wait -1
	s_and_saveexec_b32 s56, s93
; %bb.362:                              ;   in Loop: Header=BB63_3 Depth=1
	v_pk_add_f32 v[44:45], v[42:43], 0 neg_lo:[1,1] neg_hi:[1,1]
	ds_store_b64 v67, v[44:45]
; %bb.363:                              ;   in Loop: Header=BB63_3 Depth=1
	s_or_b32 exec_lo, exec_lo, s56
	s_wait_dscnt 0x0
	s_barrier_signal -1
	s_barrier_wait -1
	s_barrier_signal -1
	s_barrier_wait -1
	s_and_saveexec_b32 s56, s2
; %bb.364:                              ;   in Loop: Header=BB63_3 Depth=1
	ds_store_b64 v69, v[42:43] offset:22336
; %bb.365:                              ;   in Loop: Header=BB63_3 Depth=1
	s_or_b32 exec_lo, exec_lo, s56
	s_wait_dscnt 0x0
	s_barrier_signal -1
	s_barrier_wait -1
	s_barrier_signal -1
	s_barrier_wait -1
	s_and_saveexec_b32 s56, s94
	s_cbranch_execz .LBB63_367
; %bb.366:                              ;   in Loop: Header=BB63_3 Depth=1
	ds_load_b64 v[42:43], v53 offset:21824
	s_wait_dscnt 0x0
	ds_store_b64 v52, v[42:43] offset:20816
	ds_load_b64 v[42:43], v53 offset:21832
	s_wait_dscnt 0x0
	ds_store_b64 v52, v[42:43] offset:21328
.LBB63_367:                             ;   in Loop: Header=BB63_3 Depth=1
	s_or_b32 exec_lo, exec_lo, s56
	s_wait_dscnt 0x0
	s_barrier_signal -1
	s_barrier_wait -1
	s_and_saveexec_b32 s56, s10
	s_cbranch_execz .LBB63_369
; %bb.368:                              ;   in Loop: Header=BB63_3 Depth=1
	ds_load_b64 v[42:43], v3 offset:21312
	v_add_nc_u32_e64 v2, 0x5000, 0
	ds_store_b64 v3, v[30:31] offset:21320
	s_wait_dscnt 0x1
	ds_store_2addr_b64 v2, v[30:31], v[42:43] offset0:40 offset1:41
.LBB63_369:                             ;   in Loop: Header=BB63_3 Depth=1
	s_or_b32 exec_lo, exec_lo, s56
	v_mov_b64_e32 v[42:43], 0
	s_wait_dscnt 0x0
	s_barrier_signal -1
	s_barrier_wait -1
	global_wb scope:SCOPE_DEV
	s_wait_storecnt 0x0
	global_inv scope:SCOPE_DEV
	s_and_saveexec_b32 s60, s5
	s_cbranch_execz .LBB63_379
; %bb.370:                              ;   in Loop: Header=BB63_3 Depth=1
	ds_load_b64 v[42:43], v70 offset:20736
	ds_load_b64 v[44:45], v61 offset:24384
	s_wait_dscnt 0x0
	v_dual_mul_f32 v2, v45, v43 :: v_dual_mul_f32 v5, v44, v43
	s_delay_alu instid0(VALU_DEP_1) | instskip(NEXT) | instid1(VALU_DEP_1)
	v_dual_fma_f32 v2, v44, v42, -v2 :: v_dual_fmac_f32 v5, v45, v42
	v_dual_add_f32 v42, 0, v2 :: v_dual_add_f32 v43, 0, v5
	s_and_saveexec_b32 s56, s15
	s_cbranch_execnz .LBB63_1092
; %bb.371:                              ;   in Loop: Header=BB63_3 Depth=1
	s_or_b32 exec_lo, exec_lo, s56
	s_and_saveexec_b32 s56, s16
	s_cbranch_execnz .LBB63_1093
.LBB63_372:                             ;   in Loop: Header=BB63_3 Depth=1
	s_or_b32 exec_lo, exec_lo, s56
	s_and_saveexec_b32 s56, s17
	s_cbranch_execnz .LBB63_1094
.LBB63_373:                             ;   in Loop: Header=BB63_3 Depth=1
	s_or_b32 exec_lo, exec_lo, s56
	s_and_saveexec_b32 s56, s18
	s_cbranch_execnz .LBB63_1095
.LBB63_374:                             ;   in Loop: Header=BB63_3 Depth=1
	s_or_b32 exec_lo, exec_lo, s56
	s_and_saveexec_b32 s56, s19
	s_cbranch_execnz .LBB63_1096
.LBB63_375:                             ;   in Loop: Header=BB63_3 Depth=1
	s_or_b32 exec_lo, exec_lo, s56
	s_and_saveexec_b32 s56, s4
	s_cbranch_execnz .LBB63_1097
.LBB63_376:                             ;   in Loop: Header=BB63_3 Depth=1
	s_or_b32 exec_lo, exec_lo, s56
	s_and_saveexec_b32 s56, s14
	s_cbranch_execz .LBB63_378
.LBB63_377:                             ;   in Loop: Header=BB63_3 Depth=1
	ds_load_b64 v[44:45], v54 offset:24320
	ds_load_b64 v[46:47], v3 offset:24440
	s_wait_dscnt 0x0
	v_pk_mul_f32 v[98:99], v[46:47], v[44:45] op_sel:[1,1] op_sel_hi:[0,1]
	s_delay_alu instid0(VALU_DEP_1) | instskip(SKIP_1) | instid1(VALU_DEP_2)
	v_pk_fma_f32 v[100:101], v[46:47], v[44:45], v[98:99] op_sel_hi:[1,0,1]
	v_pk_fma_f32 v[44:45], v[46:47], v[44:45], v[98:99] neg_lo:[0,0,1] neg_hi:[0,0,1]
	v_mov_b32_e32 v45, v101
	s_delay_alu instid0(VALU_DEP_1)
	v_pk_add_f32 v[42:43], v[42:43], v[44:45]
.LBB63_378:                             ;   in Loop: Header=BB63_3 Depth=1
	s_or_b32 exec_lo, exec_lo, s56
.LBB63_379:                             ;   in Loop: Header=BB63_3 Depth=1
	s_delay_alu instid0(SALU_CYCLE_1)
	s_or_b32 exec_lo, exec_lo, s60
	s_and_saveexec_b32 s56, s102
; %bb.380:                              ;   in Loop: Header=BB63_3 Depth=1
	s_delay_alu instid0(VALU_DEP_1)
	v_pk_add_f32 v[44:45], v[42:43], 0 neg_lo:[1,1] neg_hi:[1,1]
	ds_store_b64 v74, v[44:45]
; %bb.381:                              ;   in Loop: Header=BB63_3 Depth=1
	s_or_b32 exec_lo, exec_lo, s56
	s_wait_loadcnt_dscnt 0x0
	s_barrier_signal -1
	s_barrier_wait -1
	s_and_saveexec_b32 s56, s103
	s_cbranch_execz .LBB63_383
; %bb.382:                              ;   in Loop: Header=BB63_3 Depth=1
	ds_load_b64 v[44:45], v70 offset:20224
	ds_load_b64 v[46:47], v74
	s_wait_dscnt 0x0
	v_pk_mul_f32 v[98:99], v[46:47], v[44:45] op_sel:[1,1] op_sel_hi:[0,1]
	s_delay_alu instid0(VALU_DEP_1) | instskip(SKIP_1) | instid1(VALU_DEP_2)
	v_pk_fma_f32 v[100:101], v[46:47], v[44:45], v[98:99] op_sel_hi:[1,0,1]
	v_pk_fma_f32 v[44:45], v[46:47], v[44:45], v[98:99] neg_lo:[0,0,1] neg_hi:[0,0,1]
	v_mov_b32_e32 v45, v101
	s_delay_alu instid0(VALU_DEP_1)
	v_pk_add_f32 v[42:43], v[42:43], v[44:45] neg_lo:[0,1] neg_hi:[0,1]
.LBB63_383:                             ;   in Loop: Header=BB63_3 Depth=1
	s_or_b32 exec_lo, exec_lo, s56
	s_barrier_signal -1
	s_barrier_wait -1
	s_and_saveexec_b32 s56, s104
; %bb.384:                              ;   in Loop: Header=BB63_3 Depth=1
	v_pk_add_f32 v[44:45], v[42:43], 0 neg_lo:[1,1] neg_hi:[1,1]
	ds_store_b64 v74, v[44:45]
; %bb.385:                              ;   in Loop: Header=BB63_3 Depth=1
	s_or_b32 exec_lo, exec_lo, s56
	s_wait_dscnt 0x0
	s_barrier_signal -1
	s_barrier_wait -1
	s_and_saveexec_b32 s56, vcc_hi
	s_cbranch_execz .LBB63_387
; %bb.386:                              ;   in Loop: Header=BB63_3 Depth=1
	ds_load_b64 v[44:45], v70 offset:19712
	ds_load_b64 v[46:47], v74
	s_wait_dscnt 0x0
	v_dual_mul_f32 v2, v47, v45 :: v_dual_mul_f32 v5, v46, v45
	s_delay_alu instid0(VALU_DEP_1) | instskip(NEXT) | instid1(VALU_DEP_1)
	v_dual_fma_f32 v2, v46, v44, -v2 :: v_dual_fmac_f32 v5, v47, v44
	v_dual_sub_f32 v42, v42, v2 :: v_dual_sub_f32 v43, v43, v5
.LBB63_387:                             ;   in Loop: Header=BB63_3 Depth=1
	s_or_b32 exec_lo, exec_lo, s56
	s_barrier_signal -1
	s_barrier_wait -1
	s_and_saveexec_b32 s56, s38
; %bb.388:                              ;   in Loop: Header=BB63_3 Depth=1
	v_pk_add_f32 v[44:45], v[42:43], 0 neg_lo:[1,1] neg_hi:[1,1]
	ds_store_b64 v74, v[44:45]
; %bb.389:                              ;   in Loop: Header=BB63_3 Depth=1
	s_or_b32 exec_lo, exec_lo, s56
	s_wait_dscnt 0x0
	s_barrier_signal -1
	s_barrier_wait -1
	s_and_saveexec_b32 s56, s39
	s_cbranch_execz .LBB63_391
; %bb.390:                              ;   in Loop: Header=BB63_3 Depth=1
	ds_load_b64 v[44:45], v70 offset:19200
	ds_load_b64 v[46:47], v74
	s_wait_dscnt 0x0
	v_dual_mul_f32 v2, v47, v45 :: v_dual_mul_f32 v99, v46, v45
	s_delay_alu instid0(VALU_DEP_1) | instskip(NEXT) | instid1(VALU_DEP_1)
	v_dual_fma_f32 v98, v46, v44, -v2 :: v_dual_fmac_f32 v99, v47, v44
	v_pk_add_f32 v[42:43], v[42:43], v[98:99] neg_lo:[0,1] neg_hi:[0,1]
.LBB63_391:                             ;   in Loop: Header=BB63_3 Depth=1
	s_or_b32 exec_lo, exec_lo, s56
	s_barrier_signal -1
	s_barrier_wait -1
	s_and_saveexec_b32 s56, s40
; %bb.392:                              ;   in Loop: Header=BB63_3 Depth=1
	v_pk_add_f32 v[44:45], v[42:43], 0 neg_lo:[1,1] neg_hi:[1,1]
	ds_store_b64 v74, v[44:45]
; %bb.393:                              ;   in Loop: Header=BB63_3 Depth=1
	s_or_b32 exec_lo, exec_lo, s56
	s_wait_dscnt 0x0
	s_barrier_signal -1
	s_barrier_wait -1
	s_and_saveexec_b32 s56, s41
	s_cbranch_execz .LBB63_395
; %bb.394:                              ;   in Loop: Header=BB63_3 Depth=1
	ds_load_b64 v[44:45], v70 offset:18688
	ds_load_b64 v[46:47], v74
	s_wait_dscnt 0x0
	v_pk_mul_f32 v[98:99], v[46:47], v[44:45] op_sel:[1,1] op_sel_hi:[0,1]
	s_delay_alu instid0(VALU_DEP_1) | instskip(SKIP_1) | instid1(VALU_DEP_2)
	v_pk_fma_f32 v[100:101], v[46:47], v[44:45], v[98:99] op_sel_hi:[1,0,1]
	v_pk_fma_f32 v[44:45], v[46:47], v[44:45], v[98:99] neg_lo:[0,0,1] neg_hi:[0,0,1]
	v_mov_b32_e32 v45, v101
	s_delay_alu instid0(VALU_DEP_1)
	v_pk_add_f32 v[42:43], v[42:43], v[44:45] neg_lo:[0,1] neg_hi:[0,1]
.LBB63_395:                             ;   in Loop: Header=BB63_3 Depth=1
	s_or_b32 exec_lo, exec_lo, s56
	s_barrier_signal -1
	s_barrier_wait -1
	s_and_saveexec_b32 s56, s42
; %bb.396:                              ;   in Loop: Header=BB63_3 Depth=1
	v_pk_add_f32 v[44:45], v[42:43], 0 neg_lo:[1,1] neg_hi:[1,1]
	ds_store_b64 v74, v[44:45]
; %bb.397:                              ;   in Loop: Header=BB63_3 Depth=1
	s_or_b32 exec_lo, exec_lo, s56
	s_wait_dscnt 0x0
	s_barrier_signal -1
	s_barrier_wait -1
	s_and_saveexec_b32 s56, s43
	s_cbranch_execz .LBB63_399
; %bb.398:                              ;   in Loop: Header=BB63_3 Depth=1
	ds_load_b64 v[44:45], v70 offset:18176
	ds_load_b64 v[46:47], v74
	s_wait_dscnt 0x0
	v_pk_mul_f32 v[98:99], v[46:47], v[44:45] op_sel:[1,1] op_sel_hi:[0,1]
	s_delay_alu instid0(VALU_DEP_1) | instskip(SKIP_1) | instid1(VALU_DEP_2)
	v_pk_fma_f32 v[100:101], v[46:47], v[44:45], v[98:99] op_sel_hi:[1,0,1]
	v_pk_fma_f32 v[44:45], v[46:47], v[44:45], v[98:99] neg_lo:[0,0,1] neg_hi:[0,0,1]
	v_mov_b32_e32 v45, v101
	s_delay_alu instid0(VALU_DEP_1)
	v_pk_add_f32 v[42:43], v[42:43], v[44:45] neg_lo:[0,1] neg_hi:[0,1]
.LBB63_399:                             ;   in Loop: Header=BB63_3 Depth=1
	;; [unrolled: 26-line block ×4, first 2 shown]
	s_or_b32 exec_lo, exec_lo, s56
	s_barrier_signal -1
	s_barrier_wait -1
	s_and_saveexec_b32 s56, s47
; %bb.408:                              ;   in Loop: Header=BB63_3 Depth=1
	v_pk_add_f32 v[44:45], v[42:43], 0 neg_lo:[1,1] neg_hi:[1,1]
	ds_store_b64 v74, v[44:45]
; %bb.409:                              ;   in Loop: Header=BB63_3 Depth=1
	s_or_b32 exec_lo, exec_lo, s56
	s_wait_dscnt 0x0
	s_barrier_signal -1
	s_barrier_wait -1
	s_barrier_signal -1
	s_barrier_wait -1
	s_and_saveexec_b32 s56, s5
; %bb.410:                              ;   in Loop: Header=BB63_3 Depth=1
	ds_store_b64 v75, v[42:43] offset:24320
; %bb.411:                              ;   in Loop: Header=BB63_3 Depth=1
	s_or_b32 exec_lo, exec_lo, s56
	s_wait_dscnt 0x0
	s_barrier_signal -1
	s_barrier_wait -1
	s_barrier_signal -1
	s_barrier_wait -1
	s_and_saveexec_b32 s56, s48
	s_cbranch_execz .LBB63_413
; %bb.412:                              ;   in Loop: Header=BB63_3 Depth=1
	ds_load_b64 v[42:43], v55 offset:20736
	s_wait_dscnt 0x0
	ds_store_b64 v58, v[42:43] offset:16704
	ds_load_b64 v[42:43], v55 offset:20744
	s_wait_dscnt 0x0
	ds_store_b64 v58, v[42:43] offset:17216
	;; [unrolled: 3-line block ×8, first 2 shown]
.LBB63_413:                             ;   in Loop: Header=BB63_3 Depth=1
	s_or_b32 exec_lo, exec_lo, s56
	s_wait_dscnt 0x0
	s_barrier_signal -1
	s_barrier_wait -1
	s_and_saveexec_b32 s56, s10
	s_cbranch_execz .LBB63_415
; %bb.414:                              ;   in Loop: Header=BB63_3 Depth=1
	ds_load_b64 v[42:43], v3 offset:20272
	v_add_nc_u32_e64 v2, 0x4800, 0
	ds_store_b64 v3, v[30:31] offset:20280
	s_wait_dscnt 0x1
	ds_store_2addr_b64 v2, v[30:31], v[42:43] offset0:166 offset1:167
.LBB63_415:                             ;   in Loop: Header=BB63_3 Depth=1
	s_or_b32 exec_lo, exec_lo, s56
	v_dual_mov_b32 v42, 0 :: v_dual_mov_b32 v43, 0
	s_wait_dscnt 0x0
	s_barrier_signal -1
	s_barrier_wait -1
	global_wb scope:SCOPE_DEV
	s_wait_storecnt 0x0
	global_inv scope:SCOPE_DEV
	s_and_saveexec_b32 s60, s2
	s_cbranch_execz .LBB63_419
; %bb.416:                              ;   in Loop: Header=BB63_3 Depth=1
	ds_load_b64 v[42:43], v66 offset:19744
	ds_load_b64 v[44:45], v56 offset:20272
	s_wait_dscnt 0x0
	v_pk_mul_f32 v[46:47], v[44:45], v[42:43] op_sel:[1,1] op_sel_hi:[0,1]
	s_delay_alu instid0(VALU_DEP_1) | instskip(SKIP_1) | instid1(VALU_DEP_2)
	v_pk_fma_f32 v[98:99], v[44:45], v[42:43], v[46:47] op_sel_hi:[1,0,1]
	v_pk_fma_f32 v[42:43], v[44:45], v[42:43], v[46:47] neg_lo:[0,0,1] neg_hi:[0,0,1]
	v_mov_b32_e32 v43, v99
	s_delay_alu instid0(VALU_DEP_1)
	v_pk_add_f32 v[42:43], v[42:43], 0 op_sel_hi:[1,0]
	s_and_saveexec_b32 s56, s12
	s_cbranch_execz .LBB63_418
; %bb.417:                              ;   in Loop: Header=BB63_3 Depth=1
	ds_load_b64 v[44:45], v58 offset:20256
	ds_load_b64 v[46:47], v3 offset:20280
	s_wait_dscnt 0x0
	v_pk_mul_f32 v[98:99], v[46:47], v[44:45] op_sel:[1,1] op_sel_hi:[0,1]
	s_delay_alu instid0(VALU_DEP_1) | instskip(SKIP_1) | instid1(VALU_DEP_2)
	v_pk_fma_f32 v[100:101], v[46:47], v[44:45], v[98:99] op_sel_hi:[1,0,1]
	v_pk_fma_f32 v[44:45], v[46:47], v[44:45], v[98:99] neg_lo:[0,0,1] neg_hi:[0,0,1]
	v_mov_b32_e32 v45, v101
	s_delay_alu instid0(VALU_DEP_1)
	v_pk_add_f32 v[42:43], v[42:43], v[44:45]
.LBB63_418:                             ;   in Loop: Header=BB63_3 Depth=1
	s_or_b32 exec_lo, exec_lo, s56
.LBB63_419:                             ;   in Loop: Header=BB63_3 Depth=1
	s_delay_alu instid0(SALU_CYCLE_1)
	s_or_b32 exec_lo, exec_lo, s60
	s_and_saveexec_b32 s56, s92
; %bb.420:                              ;   in Loop: Header=BB63_3 Depth=1
	s_delay_alu instid0(VALU_DEP_1)
	v_pk_add_f32 v[44:45], v[42:43], 0 neg_lo:[1,1] neg_hi:[1,1]
	ds_store_b64 v67, v[44:45]
; %bb.421:                              ;   in Loop: Header=BB63_3 Depth=1
	s_or_b32 exec_lo, exec_lo, s56
	s_wait_loadcnt_dscnt 0x0
	s_barrier_signal -1
	s_barrier_wait -1
	s_and_saveexec_b32 s56, s93
	s_cbranch_execz .LBB63_423
; %bb.422:                              ;   in Loop: Header=BB63_3 Depth=1
	ds_load_b64 v[44:45], v3 offset:19232
	ds_load_b64 v[46:47], v67
	s_wait_dscnt 0x0
	v_pk_mul_f32 v[98:99], v[46:47], v[44:45] op_sel_hi:[1,0]
	s_delay_alu instid0(VALU_DEP_1) | instskip(SKIP_1) | instid1(VALU_DEP_2)
	v_pk_fma_f32 v[100:101], v[46:47], v[44:45], v[98:99] op_sel:[1,1,0] op_sel_hi:[0,1,1]
	v_pk_fma_f32 v[44:45], v[46:47], v[44:45], v[98:99] op_sel:[1,1,0] op_sel_hi:[0,1,1] neg_lo:[0,0,1] neg_hi:[0,0,1]
	v_pk_add_f32 v[46:47], v[42:43], v[100:101] neg_lo:[0,1] neg_hi:[0,1]
	s_delay_alu instid0(VALU_DEP_2) | instskip(NEXT) | instid1(VALU_DEP_2)
	v_pk_add_f32 v[42:43], v[42:43], v[44:45]
	v_mov_b32_e32 v43, v47
.LBB63_423:                             ;   in Loop: Header=BB63_3 Depth=1
	s_or_b32 exec_lo, exec_lo, s56
	s_barrier_signal -1
	s_barrier_wait -1
	s_and_saveexec_b32 s56, s93
; %bb.424:                              ;   in Loop: Header=BB63_3 Depth=1
	v_pk_add_f32 v[44:45], v[42:43], 0 neg_lo:[1,1] neg_hi:[1,1]
	ds_store_b64 v67, v[44:45]
; %bb.425:                              ;   in Loop: Header=BB63_3 Depth=1
	s_or_b32 exec_lo, exec_lo, s56
	s_wait_dscnt 0x0
	s_barrier_signal -1
	s_barrier_wait -1
	s_barrier_signal -1
	s_barrier_wait -1
	s_and_saveexec_b32 s56, s2
; %bb.426:                              ;   in Loop: Header=BB63_3 Depth=1
	ds_store_b64 v69, v[42:43] offset:20256
; %bb.427:                              ;   in Loop: Header=BB63_3 Depth=1
	s_or_b32 exec_lo, exec_lo, s56
	s_wait_dscnt 0x0
	s_barrier_signal -1
	s_barrier_wait -1
	s_barrier_signal -1
	s_barrier_wait -1
	s_and_saveexec_b32 s56, s94
	s_cbranch_execz .LBB63_429
; %bb.428:                              ;   in Loop: Header=BB63_3 Depth=1
	ds_load_b64 v[42:43], v59 offset:19744
	s_wait_dscnt 0x0
	ds_store_b64 v58, v[42:43] offset:18736
	ds_load_b64 v[42:43], v59 offset:19752
	s_wait_dscnt 0x0
	ds_store_b64 v58, v[42:43] offset:19248
.LBB63_429:                             ;   in Loop: Header=BB63_3 Depth=1
	s_or_b32 exec_lo, exec_lo, s56
	s_wait_dscnt 0x0
	s_barrier_signal -1
	s_barrier_wait -1
	s_and_saveexec_b32 s56, s10
	s_cbranch_execz .LBB63_431
; %bb.430:                              ;   in Loop: Header=BB63_3 Depth=1
	ds_load_b64 v[42:43], v3 offset:19232
	v_add_nc_u32_e64 v2, 0x4800, 0
	ds_store_b64 v3, v[30:31] offset:19240
	s_wait_dscnt 0x1
	ds_store_2addr_b64 v2, v[30:31], v[42:43] offset0:36 offset1:37
.LBB63_431:                             ;   in Loop: Header=BB63_3 Depth=1
	s_or_b32 exec_lo, exec_lo, s56
	v_mov_b64_e32 v[42:43], 0
	s_wait_dscnt 0x0
	s_barrier_signal -1
	s_barrier_wait -1
	global_wb scope:SCOPE_DEV
	s_wait_storecnt 0x0
	global_inv scope:SCOPE_DEV
	s_and_saveexec_b32 s60, s4
	s_cbranch_execz .LBB63_437
; %bb.432:                              ;   in Loop: Header=BB63_3 Depth=1
	ds_load_b64 v[42:43], v68 offset:18688
	ds_load_b64 v[44:45], v57 offset:20256
	s_wait_dscnt 0x0
	v_dual_mul_f32 v2, v45, v43 :: v_dual_mul_f32 v5, v44, v43
	s_delay_alu instid0(VALU_DEP_1) | instskip(NEXT) | instid1(VALU_DEP_1)
	v_dual_fma_f32 v2, v44, v42, -v2 :: v_dual_fmac_f32 v5, v45, v42
	v_dual_add_f32 v42, 0, v2 :: v_dual_add_f32 v43, 0, v5
	s_and_saveexec_b32 s56, s13
	s_cbranch_execnz .LBB63_1098
; %bb.433:                              ;   in Loop: Header=BB63_3 Depth=1
	s_or_b32 exec_lo, exec_lo, s56
	s_and_saveexec_b32 s56, s14
	s_cbranch_execnz .LBB63_1099
.LBB63_434:                             ;   in Loop: Header=BB63_3 Depth=1
	s_or_b32 exec_lo, exec_lo, s56
	s_and_saveexec_b32 s56, s2
	s_cbranch_execz .LBB63_436
.LBB63_435:                             ;   in Loop: Header=BB63_3 Depth=1
	ds_load_b64 v[44:45], v62 offset:20224
	ds_load_b64 v[46:47], v3 offset:20280
	s_wait_dscnt 0x0
	v_pk_mul_f32 v[98:99], v[46:47], v[44:45] op_sel:[1,1] op_sel_hi:[0,1]
	s_delay_alu instid0(VALU_DEP_1) | instskip(SKIP_1) | instid1(VALU_DEP_2)
	v_pk_fma_f32 v[100:101], v[46:47], v[44:45], v[98:99] op_sel_hi:[1,0,1]
	v_pk_fma_f32 v[44:45], v[46:47], v[44:45], v[98:99] neg_lo:[0,0,1] neg_hi:[0,0,1]
	v_mov_b32_e32 v45, v101
	s_delay_alu instid0(VALU_DEP_1)
	v_pk_add_f32 v[42:43], v[42:43], v[44:45]
.LBB63_436:                             ;   in Loop: Header=BB63_3 Depth=1
	s_or_b32 exec_lo, exec_lo, s56
.LBB63_437:                             ;   in Loop: Header=BB63_3 Depth=1
	s_delay_alu instid0(SALU_CYCLE_1)
	s_or_b32 exec_lo, exec_lo, s60
	s_and_saveexec_b32 s56, s95
; %bb.438:                              ;   in Loop: Header=BB63_3 Depth=1
	s_delay_alu instid0(VALU_DEP_1)
	v_pk_add_f32 v[44:45], v[42:43], 0 neg_lo:[1,1] neg_hi:[1,1]
	ds_store_b64 v71, v[44:45]
; %bb.439:                              ;   in Loop: Header=BB63_3 Depth=1
	s_or_b32 exec_lo, exec_lo, s56
	s_wait_loadcnt_dscnt 0x0
	s_barrier_signal -1
	s_barrier_wait -1
	s_and_saveexec_b32 s56, s96
	s_cbranch_execz .LBB63_441
; %bb.440:                              ;   in Loop: Header=BB63_3 Depth=1
	ds_load_b64 v[44:45], v68 offset:18176
	ds_load_b64 v[46:47], v71
	s_wait_dscnt 0x0
	v_pk_mul_f32 v[98:99], v[46:47], v[44:45] op_sel:[1,1] op_sel_hi:[0,1]
	s_delay_alu instid0(VALU_DEP_1) | instskip(SKIP_1) | instid1(VALU_DEP_2)
	v_pk_fma_f32 v[100:101], v[46:47], v[44:45], v[98:99] op_sel_hi:[1,0,1]
	v_pk_fma_f32 v[44:45], v[46:47], v[44:45], v[98:99] neg_lo:[0,0,1] neg_hi:[0,0,1]
	v_mov_b32_e32 v45, v101
	s_delay_alu instid0(VALU_DEP_1)
	v_pk_add_f32 v[42:43], v[42:43], v[44:45] neg_lo:[0,1] neg_hi:[0,1]
.LBB63_441:                             ;   in Loop: Header=BB63_3 Depth=1
	s_or_b32 exec_lo, exec_lo, s56
	s_barrier_signal -1
	s_barrier_wait -1
	s_and_saveexec_b32 s56, s97
; %bb.442:                              ;   in Loop: Header=BB63_3 Depth=1
	v_pk_add_f32 v[44:45], v[42:43], 0 neg_lo:[1,1] neg_hi:[1,1]
	ds_store_b64 v71, v[44:45]
; %bb.443:                              ;   in Loop: Header=BB63_3 Depth=1
	s_or_b32 exec_lo, exec_lo, s56
	s_wait_dscnt 0x0
	s_barrier_signal -1
	s_barrier_wait -1
	s_and_saveexec_b32 s56, s98
	s_cbranch_execz .LBB63_445
; %bb.444:                              ;   in Loop: Header=BB63_3 Depth=1
	ds_load_b64 v[44:45], v68 offset:17664
	ds_load_b64 v[46:47], v71
	s_wait_dscnt 0x0
	v_pk_mul_f32 v[98:99], v[46:47], v[44:45] op_sel:[1,1] op_sel_hi:[0,1]
	s_delay_alu instid0(VALU_DEP_1) | instskip(SKIP_1) | instid1(VALU_DEP_2)
	v_pk_fma_f32 v[100:101], v[46:47], v[44:45], v[98:99] op_sel_hi:[1,0,1]
	v_pk_fma_f32 v[44:45], v[46:47], v[44:45], v[98:99] neg_lo:[0,0,1] neg_hi:[0,0,1]
	v_mov_b32_e32 v45, v101
	s_delay_alu instid0(VALU_DEP_1)
	v_pk_add_f32 v[42:43], v[42:43], v[44:45] neg_lo:[0,1] neg_hi:[0,1]
.LBB63_445:                             ;   in Loop: Header=BB63_3 Depth=1
	s_or_b32 exec_lo, exec_lo, s56
	s_barrier_signal -1
	s_barrier_wait -1
	s_and_saveexec_b32 s56, s99
; %bb.446:                              ;   in Loop: Header=BB63_3 Depth=1
	v_pk_add_f32 v[44:45], v[42:43], 0 neg_lo:[1,1] neg_hi:[1,1]
	ds_store_b64 v71, v[44:45]
; %bb.447:                              ;   in Loop: Header=BB63_3 Depth=1
	s_or_b32 exec_lo, exec_lo, s56
	s_wait_dscnt 0x0
	;; [unrolled: 26-line block ×3, first 2 shown]
	s_barrier_signal -1
	s_barrier_wait -1
	s_barrier_signal -1
	s_barrier_wait -1
	s_and_saveexec_b32 s56, s4
; %bb.452:                              ;   in Loop: Header=BB63_3 Depth=1
	ds_store_b64 v73, v[42:43] offset:20224
; %bb.453:                              ;   in Loop: Header=BB63_3 Depth=1
	s_or_b32 exec_lo, exec_lo, s56
	s_wait_dscnt 0x0
	s_barrier_signal -1
	s_barrier_wait -1
	s_barrier_signal -1
	s_barrier_wait -1
	s_and_saveexec_b32 s56, s101
	s_cbranch_execz .LBB63_455
; %bb.454:                              ;   in Loop: Header=BB63_3 Depth=1
	ds_load_b64 v[42:43], v80 offset:18688
	s_wait_dscnt 0x0
	ds_store_b64 v82, v[42:43] offset:16672
	ds_load_b64 v[42:43], v80 offset:18696
	s_wait_dscnt 0x0
	ds_store_b64 v82, v[42:43] offset:17184
	ds_load_b64 v[42:43], v80 offset:18704
	s_wait_dscnt 0x0
	ds_store_b64 v82, v[42:43] offset:17696
	ds_load_b64 v[42:43], v80 offset:18712
	s_wait_dscnt 0x0
	ds_store_b64 v82, v[42:43] offset:18208
.LBB63_455:                             ;   in Loop: Header=BB63_3 Depth=1
	s_or_b32 exec_lo, exec_lo, s56
	s_wait_dscnt 0x0
	s_barrier_signal -1
	s_barrier_wait -1
	s_and_saveexec_b32 s56, s10
	s_cbranch_execz .LBB63_457
; %bb.456:                              ;   in Loop: Header=BB63_3 Depth=1
	ds_load_b64 v[42:43], v3 offset:18192
	v_add_nc_u32_e64 v2, 0x4000, 0
	ds_store_b64 v3, v[30:31] offset:18200
	s_wait_dscnt 0x1
	ds_store_2addr_b64 v2, v[30:31], v[42:43] offset0:162 offset1:163
.LBB63_457:                             ;   in Loop: Header=BB63_3 Depth=1
	s_or_b32 exec_lo, exec_lo, s56
	v_dual_mov_b32 v42, 0 :: v_dual_mov_b32 v43, 0
	s_wait_dscnt 0x0
	s_barrier_signal -1
	s_barrier_wait -1
	global_wb scope:SCOPE_DEV
	s_wait_storecnt 0x0
	global_inv scope:SCOPE_DEV
	s_and_saveexec_b32 s60, s2
	s_cbranch_execz .LBB63_461
; %bb.458:                              ;   in Loop: Header=BB63_3 Depth=1
	ds_load_b64 v[42:43], v66 offset:17664
	ds_load_b64 v[44:45], v56 offset:18192
	s_wait_dscnt 0x0
	v_pk_mul_f32 v[46:47], v[44:45], v[42:43] op_sel:[1,1] op_sel_hi:[0,1]
	s_delay_alu instid0(VALU_DEP_1) | instskip(SKIP_1) | instid1(VALU_DEP_2)
	v_pk_fma_f32 v[98:99], v[44:45], v[42:43], v[46:47] op_sel_hi:[1,0,1]
	v_pk_fma_f32 v[42:43], v[44:45], v[42:43], v[46:47] neg_lo:[0,0,1] neg_hi:[0,0,1]
	v_mov_b32_e32 v43, v99
	s_delay_alu instid0(VALU_DEP_1)
	v_pk_add_f32 v[42:43], v[42:43], 0 op_sel_hi:[1,0]
	s_and_saveexec_b32 s56, s12
	s_cbranch_execz .LBB63_460
; %bb.459:                              ;   in Loop: Header=BB63_3 Depth=1
	ds_load_b64 v[44:45], v82 offset:18176
	ds_load_b64 v[46:47], v3 offset:18200
	s_wait_dscnt 0x0
	v_pk_mul_f32 v[98:99], v[46:47], v[44:45] op_sel:[1,1] op_sel_hi:[0,1]
	s_delay_alu instid0(VALU_DEP_1) | instskip(SKIP_1) | instid1(VALU_DEP_2)
	v_pk_fma_f32 v[100:101], v[46:47], v[44:45], v[98:99] op_sel_hi:[1,0,1]
	v_pk_fma_f32 v[44:45], v[46:47], v[44:45], v[98:99] neg_lo:[0,0,1] neg_hi:[0,0,1]
	v_mov_b32_e32 v45, v101
	s_delay_alu instid0(VALU_DEP_1)
	v_pk_add_f32 v[42:43], v[42:43], v[44:45]
.LBB63_460:                             ;   in Loop: Header=BB63_3 Depth=1
	s_or_b32 exec_lo, exec_lo, s56
.LBB63_461:                             ;   in Loop: Header=BB63_3 Depth=1
	s_delay_alu instid0(SALU_CYCLE_1)
	s_or_b32 exec_lo, exec_lo, s60
	s_and_saveexec_b32 s56, s92
; %bb.462:                              ;   in Loop: Header=BB63_3 Depth=1
	s_delay_alu instid0(VALU_DEP_1)
	v_pk_add_f32 v[44:45], v[42:43], 0 neg_lo:[1,1] neg_hi:[1,1]
	ds_store_b64 v67, v[44:45]
; %bb.463:                              ;   in Loop: Header=BB63_3 Depth=1
	s_or_b32 exec_lo, exec_lo, s56
	s_wait_loadcnt_dscnt 0x0
	s_barrier_signal -1
	s_barrier_wait -1
	s_and_saveexec_b32 s56, s93
	s_cbranch_execz .LBB63_465
; %bb.464:                              ;   in Loop: Header=BB63_3 Depth=1
	ds_load_b64 v[44:45], v3 offset:17152
	ds_load_b64 v[46:47], v67
	s_wait_dscnt 0x0
	v_pk_mul_f32 v[98:99], v[46:47], v[44:45] op_sel_hi:[1,0]
	s_delay_alu instid0(VALU_DEP_1) | instskip(SKIP_1) | instid1(VALU_DEP_2)
	v_pk_fma_f32 v[100:101], v[46:47], v[44:45], v[98:99] op_sel:[1,1,0] op_sel_hi:[0,1,1]
	v_pk_fma_f32 v[44:45], v[46:47], v[44:45], v[98:99] op_sel:[1,1,0] op_sel_hi:[0,1,1] neg_lo:[0,0,1] neg_hi:[0,0,1]
	v_pk_add_f32 v[46:47], v[42:43], v[100:101] neg_lo:[0,1] neg_hi:[0,1]
	s_delay_alu instid0(VALU_DEP_2) | instskip(NEXT) | instid1(VALU_DEP_2)
	v_pk_add_f32 v[42:43], v[42:43], v[44:45]
	v_mov_b32_e32 v43, v47
.LBB63_465:                             ;   in Loop: Header=BB63_3 Depth=1
	s_or_b32 exec_lo, exec_lo, s56
	s_barrier_signal -1
	s_barrier_wait -1
	s_and_saveexec_b32 s56, s93
; %bb.466:                              ;   in Loop: Header=BB63_3 Depth=1
	v_pk_add_f32 v[44:45], v[42:43], 0 neg_lo:[1,1] neg_hi:[1,1]
	ds_store_b64 v67, v[44:45]
; %bb.467:                              ;   in Loop: Header=BB63_3 Depth=1
	s_or_b32 exec_lo, exec_lo, s56
	s_wait_dscnt 0x0
	s_barrier_signal -1
	s_barrier_wait -1
	s_barrier_signal -1
	s_barrier_wait -1
	s_and_saveexec_b32 s56, s2
; %bb.468:                              ;   in Loop: Header=BB63_3 Depth=1
	ds_store_b64 v69, v[42:43] offset:18176
; %bb.469:                              ;   in Loop: Header=BB63_3 Depth=1
	s_or_b32 exec_lo, exec_lo, s56
	s_wait_dscnt 0x0
	s_barrier_signal -1
	s_barrier_wait -1
	s_barrier_signal -1
	s_barrier_wait -1
	s_and_saveexec_b32 s56, s94
	s_cbranch_execz .LBB63_471
; %bb.470:                              ;   in Loop: Header=BB63_3 Depth=1
	ds_load_b64 v[42:43], v83 offset:17664
	s_wait_dscnt 0x0
	ds_store_b64 v82, v[42:43] offset:16656
	ds_load_b64 v[42:43], v83 offset:17672
	s_wait_dscnt 0x0
	ds_store_b64 v82, v[42:43] offset:17168
.LBB63_471:                             ;   in Loop: Header=BB63_3 Depth=1
	s_or_b32 exec_lo, exec_lo, s56
	s_wait_dscnt 0x0
	s_barrier_signal -1
	s_barrier_wait -1
	s_and_saveexec_b32 s56, s10
	s_cbranch_execz .LBB63_473
; %bb.472:                              ;   in Loop: Header=BB63_3 Depth=1
	ds_load_b64 v[42:43], v3 offset:17152
	v_add_nc_u32_e64 v2, 0x4000, 0
	ds_store_b64 v3, v[30:31] offset:17160
	s_wait_dscnt 0x1
	ds_store_2addr_b64 v2, v[30:31], v[42:43] offset0:32 offset1:33
.LBB63_473:                             ;   in Loop: Header=BB63_3 Depth=1
	s_or_b32 exec_lo, exec_lo, s56
	v_mov_b64_e32 v[42:43], 0
	s_wait_dscnt 0x0
	s_barrier_signal -1
	s_barrier_wait -1
	global_wb scope:SCOPE_DEV
	s_wait_storecnt 0x0
	global_inv scope:SCOPE_DEV
	s_and_saveexec_b32 s61, s31
	s_cbranch_execz .LBB63_535
; %bb.474:                              ;   in Loop: Header=BB63_3 Depth=1
	ds_load_b64 v[42:43], v64 offset:16384
	ds_load_b64 v[44:45], v65 offset:32512
	v_readlane_b32 s55, v106, 5
	s_wait_dscnt 0x0
	v_dual_mul_f32 v2, v45, v43 :: v_dual_mul_f32 v5, v44, v43
	s_delay_alu instid0(VALU_DEP_1) | instskip(NEXT) | instid1(VALU_DEP_1)
	v_dual_fma_f32 v2, v44, v42, -v2 :: v_dual_fmac_f32 v5, v45, v42
	v_dual_add_f32 v42, 0, v2 :: v_dual_add_f32 v43, 0, v5
	s_and_saveexec_b32 s56, s55
	s_cbranch_execz .LBB63_476
; %bb.475:                              ;   in Loop: Header=BB63_3 Depth=1
	ds_load_b64 v[44:45], v64 offset:16896
	ds_load_b64 v[46:47], v65 offset:32520
	s_wait_dscnt 0x0
	v_dual_mul_f32 v2, v47, v45 :: v_dual_mul_f32 v5, v46, v45
	s_delay_alu instid0(VALU_DEP_1) | instskip(NEXT) | instid1(VALU_DEP_1)
	v_dual_fma_f32 v2, v46, v44, -v2 :: v_dual_fmac_f32 v5, v47, v44
	v_dual_add_f32 v42, v42, v2 :: v_dual_add_f32 v43, v43, v5
.LBB63_476:                             ;   in Loop: Header=BB63_3 Depth=1
	s_or_b32 exec_lo, exec_lo, s56
	v_readlane_b32 s55, v106, 6
	s_and_saveexec_b32 s56, s55
	s_cbranch_execz .LBB63_478
; %bb.477:                              ;   in Loop: Header=BB63_3 Depth=1
	ds_load_b64 v[44:45], v64 offset:17408
	ds_load_b64 v[46:47], v65 offset:32528
	s_wait_dscnt 0x0
	v_dual_mul_f32 v2, v47, v45 :: v_dual_mul_f32 v5, v46, v45
	s_delay_alu instid0(VALU_DEP_1) | instskip(NEXT) | instid1(VALU_DEP_1)
	v_dual_fma_f32 v2, v46, v44, -v2 :: v_dual_fmac_f32 v5, v47, v44
	v_dual_add_f32 v42, v42, v2 :: v_dual_add_f32 v43, v43, v5
.LBB63_478:                             ;   in Loop: Header=BB63_3 Depth=1
	s_or_b32 exec_lo, exec_lo, s56
	v_readlane_b32 s55, v106, 7
	;; [unrolled: 13-line block ×22, first 2 shown]
	s_and_saveexec_b32 s56, s55
	s_cbranch_execz .LBB63_520
; %bb.519:                              ;   in Loop: Header=BB63_3 Depth=1
	ds_load_b64 v[44:45], v64 offset:28160
	ds_load_b64 v[46:47], v65 offset:32696
	s_wait_dscnt 0x0
	v_dual_mul_f32 v2, v47, v45 :: v_dual_mul_f32 v5, v46, v45
	s_delay_alu instid0(VALU_DEP_1) | instskip(NEXT) | instid1(VALU_DEP_1)
	v_dual_fma_f32 v2, v46, v44, -v2 :: v_dual_fmac_f32 v5, v47, v44
	v_dual_add_f32 v42, v42, v2 :: v_dual_add_f32 v43, v43, v5
.LBB63_520:                             ;   in Loop: Header=BB63_3 Depth=1
	s_or_b32 exec_lo, exec_lo, s56
	s_and_saveexec_b32 s56, s6
	s_cbranch_execz .LBB63_522
; %bb.521:                              ;   in Loop: Header=BB63_3 Depth=1
	ds_load_b64 v[44:45], v64 offset:28672
	ds_load_b64 v[46:47], v65 offset:32704
	s_wait_dscnt 0x0
	v_dual_mul_f32 v2, v47, v45 :: v_dual_mul_f32 v5, v46, v45
	s_delay_alu instid0(VALU_DEP_1) | instskip(NEXT) | instid1(VALU_DEP_1)
	v_dual_fma_f32 v2, v46, v44, -v2 :: v_dual_fmac_f32 v5, v47, v44
	v_dual_add_f32 v42, v42, v2 :: v_dual_add_f32 v43, v43, v5
.LBB63_522:                             ;   in Loop: Header=BB63_3 Depth=1
	s_or_b32 exec_lo, exec_lo, s56
	v_readlane_b32 s55, v107, 24
	s_and_saveexec_b32 s56, s55
	s_cbranch_execz .LBB63_524
; %bb.523:                              ;   in Loop: Header=BB63_3 Depth=1
	ds_load_b64 v[44:45], v64 offset:29184
	ds_load_b64 v[46:47], v65 offset:32712
	s_wait_dscnt 0x0
	v_dual_mul_f32 v2, v47, v45 :: v_dual_mul_f32 v5, v46, v45
	s_delay_alu instid0(VALU_DEP_1) | instskip(NEXT) | instid1(VALU_DEP_1)
	v_dual_fma_f32 v2, v46, v44, -v2 :: v_dual_fmac_f32 v5, v47, v44
	v_dual_add_f32 v42, v42, v2 :: v_dual_add_f32 v43, v43, v5
.LBB63_524:                             ;   in Loop: Header=BB63_3 Depth=1
	s_or_b32 exec_lo, exec_lo, s56
	v_readlane_b32 s55, v107, 26
	;; [unrolled: 13-line block ×4, first 2 shown]
	s_and_saveexec_b32 s56, s55
	s_cbranch_execz .LBB63_530
; %bb.529:                              ;   in Loop: Header=BB63_3 Depth=1
	ds_load_b64 v[44:45], v64 offset:30720
	ds_load_b64 v[46:47], v65 offset:32736
	s_wait_dscnt 0x0
	v_dual_mul_f32 v2, v47, v45 :: v_dual_mul_f32 v99, v46, v45
	s_delay_alu instid0(VALU_DEP_1) | instskip(NEXT) | instid1(VALU_DEP_1)
	v_dual_fma_f32 v98, v46, v44, -v2 :: v_dual_fmac_f32 v99, v47, v44
	v_pk_add_f32 v[42:43], v[42:43], v[98:99]
.LBB63_530:                             ;   in Loop: Header=BB63_3 Depth=1
	s_or_b32 exec_lo, exec_lo, s56
	v_readlane_b32 s55, v106, 0
	s_and_saveexec_b32 s56, s55
	s_cbranch_execnz .LBB63_1100
; %bb.531:                              ;   in Loop: Header=BB63_3 Depth=1
	s_or_b32 exec_lo, exec_lo, s56
	s_and_saveexec_b32 s56, s5
	s_cbranch_execnz .LBB63_1101
.LBB63_532:                             ;   in Loop: Header=BB63_3 Depth=1
	s_or_b32 exec_lo, exec_lo, s56
	s_and_saveexec_b32 s56, s18
	s_delay_alu instid0(SALU_CYCLE_1)
	s_xor_b32 s56, exec_lo, s56
	s_cbranch_execz .LBB63_534
.LBB63_533:                             ;   in Loop: Header=BB63_3 Depth=1
	ds_load_b64 v[44:45], v64 offset:32256
	ds_load_b64 v[46:47], v65 offset:32760
	s_wait_dscnt 0x0
	v_pk_mul_f32 v[98:99], v[46:47], v[44:45] op_sel:[1,1] op_sel_hi:[0,1]
	s_delay_alu instid0(VALU_DEP_1) | instskip(SKIP_1) | instid1(VALU_DEP_2)
	v_pk_fma_f32 v[100:101], v[46:47], v[44:45], v[98:99] op_sel_hi:[1,0,1]
	v_pk_fma_f32 v[44:45], v[46:47], v[44:45], v[98:99] neg_lo:[0,0,1] neg_hi:[0,0,1]
	v_mov_b32_e32 v45, v101
	s_delay_alu instid0(VALU_DEP_1)
	v_pk_add_f32 v[42:43], v[42:43], v[44:45]
.LBB63_534:                             ;   in Loop: Header=BB63_3 Depth=1
	s_or_b32 exec_lo, exec_lo, s56
.LBB63_535:                             ;   in Loop: Header=BB63_3 Depth=1
	s_delay_alu instid0(SALU_CYCLE_1)
	s_or_b32 exec_lo, exec_lo, s61
	v_dual_mov_b32 v2, v97 :: v_dual_mov_b32 v5, v96
	s_mov_b32 s60, 31
	s_branch .LBB63_537
.LBB63_536:                             ;   in Loop: Header=BB63_537 Depth=2
	s_or_b32 exec_lo, exec_lo, s56
	v_add_nc_u32_e32 v5, 0xfffff800, v5
	v_add_nc_u32_e32 v2, 4, v2
	s_add_co_i32 s60, s60, -4
	s_cmp_eq_u32 s61, 0
	s_barrier_signal -1
	s_barrier_wait -1
	s_cbranch_scc1 .LBB63_553
.LBB63_537:                             ;   Parent Loop BB63_3 Depth=1
                                        ; =>  This Inner Loop Header: Depth=2
	s_delay_alu instid0(VALU_DEP_1) | instskip(SKIP_1) | instid1(SALU_CYCLE_1)
	v_cmp_eq_u32_e32 vcc_lo, 0, v2
	s_and_b32 s61, s11, vcc_lo
	s_and_saveexec_b32 s56, s61
; %bb.538:                              ;   in Loop: Header=BB63_537 Depth=2
	v_pk_add_f32 v[44:45], v[42:43], 0 neg_lo:[1,1] neg_hi:[1,1]
	ds_store_b64 v78, v[44:45]
; %bb.539:                              ;   in Loop: Header=BB63_537 Depth=2
	s_or_b32 exec_lo, exec_lo, s56
	v_cmp_gt_u32_e32 vcc_lo, s60, v60
	s_wait_loadcnt_dscnt 0x0
	s_barrier_signal -1
	s_barrier_wait -1
	s_and_b32 s61, s11, vcc_lo
	s_delay_alu instid0(SALU_CYCLE_1)
	s_and_saveexec_b32 s56, s61
	s_cbranch_execz .LBB63_541
; %bb.540:                              ;   in Loop: Header=BB63_537 Depth=2
	ds_load_b64 v[44:45], v5 offset:1536
	ds_load_b64 v[46:47], v78
	s_wait_dscnt 0x0
	v_pk_mul_f32 v[98:99], v[46:47], v[44:45] op_sel:[1,1] op_sel_hi:[0,1]
	s_delay_alu instid0(VALU_DEP_1) | instskip(SKIP_1) | instid1(VALU_DEP_2)
	v_pk_fma_f32 v[100:101], v[46:47], v[44:45], v[98:99] op_sel_hi:[1,0,1]
	v_pk_fma_f32 v[44:45], v[46:47], v[44:45], v[98:99] neg_lo:[0,0,1] neg_hi:[0,0,1]
	v_mov_b32_e32 v45, v101
	s_delay_alu instid0(VALU_DEP_1)
	v_pk_add_f32 v[42:43], v[42:43], v[44:45] neg_lo:[0,1] neg_hi:[0,1]
.LBB63_541:                             ;   in Loop: Header=BB63_537 Depth=2
	s_or_b32 exec_lo, exec_lo, s56
	s_add_co_i32 s56, s60, -1
	s_delay_alu instid0(SALU_CYCLE_1) | instskip(SKIP_3) | instid1(SALU_CYCLE_1)
	v_cmp_eq_u32_e32 vcc_lo, s56, v60
	s_barrier_signal -1
	s_barrier_wait -1
	s_and_b32 s82, s11, vcc_lo
	s_and_saveexec_b32 s61, s82
; %bb.542:                              ;   in Loop: Header=BB63_537 Depth=2
	v_pk_add_f32 v[44:45], v[42:43], 0 neg_lo:[1,1] neg_hi:[1,1]
	ds_store_b64 v78, v[44:45]
; %bb.543:                              ;   in Loop: Header=BB63_537 Depth=2
	s_or_b32 exec_lo, exec_lo, s61
	v_cmp_gt_u32_e32 vcc_lo, s56, v60
	s_wait_dscnt 0x0
	s_barrier_signal -1
	s_barrier_wait -1
	s_and_b32 s61, s11, vcc_lo
	s_delay_alu instid0(SALU_CYCLE_1)
	s_and_saveexec_b32 s56, s61
	s_cbranch_execz .LBB63_545
; %bb.544:                              ;   in Loop: Header=BB63_537 Depth=2
	ds_load_b64 v[44:45], v5 offset:1024
	ds_load_b64 v[46:47], v78
	s_wait_dscnt 0x0
	v_pk_mul_f32 v[98:99], v[46:47], v[44:45] op_sel:[1,1] op_sel_hi:[0,1]
	s_delay_alu instid0(VALU_DEP_1) | instskip(SKIP_1) | instid1(VALU_DEP_2)
	v_pk_fma_f32 v[100:101], v[46:47], v[44:45], v[98:99] op_sel_hi:[1,0,1]
	v_pk_fma_f32 v[44:45], v[46:47], v[44:45], v[98:99] neg_lo:[0,0,1] neg_hi:[0,0,1]
	v_mov_b32_e32 v45, v101
	s_delay_alu instid0(VALU_DEP_1)
	v_pk_add_f32 v[42:43], v[42:43], v[44:45] neg_lo:[0,1] neg_hi:[0,1]
.LBB63_545:                             ;   in Loop: Header=BB63_537 Depth=2
	s_or_b32 exec_lo, exec_lo, s56
	s_add_co_i32 s56, s60, -2
	s_delay_alu instid0(SALU_CYCLE_1) | instskip(SKIP_3) | instid1(SALU_CYCLE_1)
	v_cmp_eq_u32_e32 vcc_lo, s56, v60
	s_barrier_signal -1
	s_barrier_wait -1
	s_and_b32 s82, s11, vcc_lo
	s_and_saveexec_b32 s61, s82
; %bb.546:                              ;   in Loop: Header=BB63_537 Depth=2
	v_pk_add_f32 v[44:45], v[42:43], 0 neg_lo:[1,1] neg_hi:[1,1]
	ds_store_b64 v78, v[44:45]
; %bb.547:                              ;   in Loop: Header=BB63_537 Depth=2
	s_or_b32 exec_lo, exec_lo, s61
	v_cmp_gt_u32_e32 vcc_lo, s56, v60
	s_wait_dscnt 0x0
	;; [unrolled: 33-line block ×3, first 2 shown]
	s_barrier_signal -1
	s_barrier_wait -1
	s_and_b32 s82, s11, vcc_lo
	s_delay_alu instid0(SALU_CYCLE_1)
	s_and_saveexec_b32 s56, s82
	s_cbranch_execz .LBB63_536
; %bb.552:                              ;   in Loop: Header=BB63_537 Depth=2
	ds_load_b64 v[44:45], v5
	ds_load_b64 v[46:47], v78
	s_wait_dscnt 0x0
	v_pk_mul_f32 v[98:99], v[46:47], v[44:45] op_sel:[1,1] op_sel_hi:[0,1]
	s_delay_alu instid0(VALU_DEP_1) | instskip(SKIP_1) | instid1(VALU_DEP_2)
	v_pk_fma_f32 v[100:101], v[46:47], v[44:45], v[98:99] op_sel_hi:[1,0,1]
	v_pk_fma_f32 v[44:45], v[46:47], v[44:45], v[98:99] neg_lo:[0,0,1] neg_hi:[0,0,1]
	v_mov_b32_e32 v45, v101
	s_delay_alu instid0(VALU_DEP_1)
	v_pk_add_f32 v[42:43], v[42:43], v[44:45] neg_lo:[0,1] neg_hi:[0,1]
	s_branch .LBB63_536
.LBB63_553:                             ;   in Loop: Header=BB63_3 Depth=1
	s_and_saveexec_b32 s56, s31
; %bb.554:                              ;   in Loop: Header=BB63_3 Depth=1
	ds_store_b64 v79, v[42:43] offset:32256
; %bb.555:                              ;   in Loop: Header=BB63_3 Depth=1
	s_or_b32 exec_lo, exec_lo, s56
	v_readlane_b32 s55, v107, 8
	s_wait_dscnt 0x0
	s_barrier_signal -1
	s_barrier_wait -1
	s_barrier_signal -1
	s_barrier_wait -1
	s_and_saveexec_b32 s60, s55
	s_cbranch_execz .LBB63_557
; %bb.556:                              ;   in Loop: Header=BB63_3 Depth=1
	ds_load_b64 v[42:43], v83 offset:16384
	v_add_nc_u32_e32 v2, v83, v81
	s_wait_dscnt 0x0
	ds_store_b64 v2, v[42:43] offset:256
	ds_load_b64 v[42:43], v83 offset:16392
	s_wait_dscnt 0x0
	ds_store_b64 v2, v[42:43] offset:768
	ds_load_b64 v[42:43], v83 offset:16400
	;; [unrolled: 3-line block ×31, first 2 shown]
	s_wait_dscnt 0x0
	ds_store_b64 v2, v[42:43] offset:16128
.LBB63_557:                             ;   in Loop: Header=BB63_3 Depth=1
	s_or_b32 exec_lo, exec_lo, s60
	s_wait_dscnt 0x0
	s_barrier_signal -1
	s_barrier_wait -1
	s_and_saveexec_b32 s56, s10
	s_cbranch_execz .LBB63_559
; %bb.558:                              ;   in Loop: Header=BB63_3 Depth=1
	ds_load_b64 v[42:43], v3 offset:16112
	v_add_nc_u32_e64 v2, 0x3800, 0
	ds_store_b64 v3, v[30:31] offset:16120
	s_wait_dscnt 0x1
	ds_store_2addr_b64 v2, v[30:31], v[42:43] offset0:158 offset1:159
.LBB63_559:                             ;   in Loop: Header=BB63_3 Depth=1
	s_or_b32 exec_lo, exec_lo, s56
	v_dual_mov_b32 v42, 0 :: v_dual_mov_b32 v43, 0
	s_wait_dscnt 0x0
	s_barrier_signal -1
	s_barrier_wait -1
	global_wb scope:SCOPE_DEV
	s_wait_storecnt 0x0
	global_inv scope:SCOPE_DEV
	s_and_saveexec_b32 s60, s2
	s_cbranch_execz .LBB63_563
; %bb.560:                              ;   in Loop: Header=BB63_3 Depth=1
	ds_load_b64 v[42:43], v66 offset:15584
	ds_load_b64 v[44:45], v56 offset:16112
	s_wait_dscnt 0x0
	v_pk_mul_f32 v[46:47], v[44:45], v[42:43] op_sel:[1,1] op_sel_hi:[0,1]
	s_delay_alu instid0(VALU_DEP_1) | instskip(SKIP_1) | instid1(VALU_DEP_2)
	v_pk_fma_f32 v[98:99], v[44:45], v[42:43], v[46:47] op_sel_hi:[1,0,1]
	v_pk_fma_f32 v[42:43], v[44:45], v[42:43], v[46:47] neg_lo:[0,0,1] neg_hi:[0,0,1]
	v_mov_b32_e32 v43, v99
	s_delay_alu instid0(VALU_DEP_1)
	v_pk_add_f32 v[42:43], v[42:43], 0 op_sel_hi:[1,0]
	s_and_saveexec_b32 s56, s12
	s_cbranch_execz .LBB63_562
; %bb.561:                              ;   in Loop: Header=BB63_3 Depth=1
	ds_load_b64 v[44:45], v9 offset:16096
	ds_load_b64 v[46:47], v3 offset:16120
	s_wait_dscnt 0x0
	v_pk_mul_f32 v[98:99], v[46:47], v[44:45] op_sel:[1,1] op_sel_hi:[0,1]
	s_delay_alu instid0(VALU_DEP_1) | instskip(SKIP_1) | instid1(VALU_DEP_2)
	v_pk_fma_f32 v[100:101], v[46:47], v[44:45], v[98:99] op_sel_hi:[1,0,1]
	v_pk_fma_f32 v[44:45], v[46:47], v[44:45], v[98:99] neg_lo:[0,0,1] neg_hi:[0,0,1]
	v_mov_b32_e32 v45, v101
	s_delay_alu instid0(VALU_DEP_1)
	v_pk_add_f32 v[42:43], v[42:43], v[44:45]
.LBB63_562:                             ;   in Loop: Header=BB63_3 Depth=1
	s_or_b32 exec_lo, exec_lo, s56
.LBB63_563:                             ;   in Loop: Header=BB63_3 Depth=1
	s_delay_alu instid0(SALU_CYCLE_1)
	s_or_b32 exec_lo, exec_lo, s60
	s_and_saveexec_b32 s56, s92
; %bb.564:                              ;   in Loop: Header=BB63_3 Depth=1
	s_delay_alu instid0(VALU_DEP_1)
	v_pk_add_f32 v[44:45], v[42:43], 0 neg_lo:[1,1] neg_hi:[1,1]
	ds_store_b64 v67, v[44:45]
; %bb.565:                              ;   in Loop: Header=BB63_3 Depth=1
	s_or_b32 exec_lo, exec_lo, s56
	s_wait_loadcnt_dscnt 0x0
	s_barrier_signal -1
	s_barrier_wait -1
	s_and_saveexec_b32 s56, s93
	s_cbranch_execz .LBB63_567
; %bb.566:                              ;   in Loop: Header=BB63_3 Depth=1
	ds_load_b64 v[44:45], v3 offset:15072
	ds_load_b64 v[46:47], v67
	s_wait_dscnt 0x0
	v_pk_mul_f32 v[98:99], v[46:47], v[44:45] op_sel_hi:[1,0]
	s_delay_alu instid0(VALU_DEP_1) | instskip(SKIP_1) | instid1(VALU_DEP_2)
	v_pk_fma_f32 v[100:101], v[46:47], v[44:45], v[98:99] op_sel:[1,1,0] op_sel_hi:[0,1,1]
	v_pk_fma_f32 v[44:45], v[46:47], v[44:45], v[98:99] op_sel:[1,1,0] op_sel_hi:[0,1,1] neg_lo:[0,0,1] neg_hi:[0,0,1]
	v_pk_add_f32 v[46:47], v[42:43], v[100:101] neg_lo:[0,1] neg_hi:[0,1]
	s_delay_alu instid0(VALU_DEP_2) | instskip(NEXT) | instid1(VALU_DEP_2)
	v_pk_add_f32 v[42:43], v[42:43], v[44:45]
	v_mov_b32_e32 v43, v47
.LBB63_567:                             ;   in Loop: Header=BB63_3 Depth=1
	s_or_b32 exec_lo, exec_lo, s56
	s_barrier_signal -1
	s_barrier_wait -1
	s_and_saveexec_b32 s56, s93
; %bb.568:                              ;   in Loop: Header=BB63_3 Depth=1
	v_pk_add_f32 v[44:45], v[42:43], 0 neg_lo:[1,1] neg_hi:[1,1]
	ds_store_b64 v67, v[44:45]
; %bb.569:                              ;   in Loop: Header=BB63_3 Depth=1
	s_or_b32 exec_lo, exec_lo, s56
	s_wait_dscnt 0x0
	s_barrier_signal -1
	s_barrier_wait -1
	s_barrier_signal -1
	s_barrier_wait -1
	s_and_saveexec_b32 s56, s2
; %bb.570:                              ;   in Loop: Header=BB63_3 Depth=1
	ds_store_b64 v69, v[42:43] offset:16096
; %bb.571:                              ;   in Loop: Header=BB63_3 Depth=1
	s_or_b32 exec_lo, exec_lo, s56
	s_wait_dscnt 0x0
	s_barrier_signal -1
	s_barrier_wait -1
	s_barrier_signal -1
	s_barrier_wait -1
	s_and_saveexec_b32 s56, s94
	s_cbranch_execz .LBB63_573
; %bb.572:                              ;   in Loop: Header=BB63_3 Depth=1
	ds_load_b64 v[42:43], v49 offset:15584
	s_wait_dscnt 0x0
	ds_store_b64 v9, v[42:43] offset:14576
	ds_load_b64 v[42:43], v49 offset:15592
	s_wait_dscnt 0x0
	ds_store_b64 v9, v[42:43] offset:15088
.LBB63_573:                             ;   in Loop: Header=BB63_3 Depth=1
	s_or_b32 exec_lo, exec_lo, s56
	s_wait_dscnt 0x0
	s_barrier_signal -1
	s_barrier_wait -1
	s_and_saveexec_b32 s56, s10
	s_cbranch_execz .LBB63_575
; %bb.574:                              ;   in Loop: Header=BB63_3 Depth=1
	ds_load_b64 v[42:43], v3 offset:15072
	v_add_nc_u32_e64 v2, 0x3800, 0
	ds_store_b64 v3, v[30:31] offset:15080
	s_wait_dscnt 0x1
	ds_store_2addr_b64 v2, v[30:31], v[42:43] offset0:28 offset1:29
.LBB63_575:                             ;   in Loop: Header=BB63_3 Depth=1
	s_or_b32 exec_lo, exec_lo, s56
	v_mov_b64_e32 v[42:43], 0
	s_wait_dscnt 0x0
	s_barrier_signal -1
	s_barrier_wait -1
	global_wb scope:SCOPE_DEV
	s_wait_storecnt 0x0
	global_inv scope:SCOPE_DEV
	s_and_saveexec_b32 s60, s4
	s_cbranch_execz .LBB63_581
; %bb.576:                              ;   in Loop: Header=BB63_3 Depth=1
	ds_load_b64 v[42:43], v68 offset:14528
	ds_load_b64 v[44:45], v57 offset:16096
	s_wait_dscnt 0x0
	v_dual_mul_f32 v2, v45, v43 :: v_dual_mul_f32 v5, v44, v43
	s_delay_alu instid0(VALU_DEP_1) | instskip(NEXT) | instid1(VALU_DEP_1)
	v_dual_fma_f32 v2, v44, v42, -v2 :: v_dual_fmac_f32 v5, v45, v42
	v_dual_add_f32 v42, 0, v2 :: v_dual_add_f32 v43, 0, v5
	s_and_saveexec_b32 s56, s13
	s_cbranch_execnz .LBB63_1102
; %bb.577:                              ;   in Loop: Header=BB63_3 Depth=1
	s_or_b32 exec_lo, exec_lo, s56
	s_and_saveexec_b32 s56, s14
	s_cbranch_execnz .LBB63_1103
.LBB63_578:                             ;   in Loop: Header=BB63_3 Depth=1
	s_or_b32 exec_lo, exec_lo, s56
	s_and_saveexec_b32 s56, s2
	s_cbranch_execz .LBB63_580
.LBB63_579:                             ;   in Loop: Header=BB63_3 Depth=1
	ds_load_b64 v[44:45], v50 offset:16064
	ds_load_b64 v[46:47], v3 offset:16120
	s_wait_dscnt 0x0
	v_pk_mul_f32 v[98:99], v[46:47], v[44:45] op_sel:[1,1] op_sel_hi:[0,1]
	s_delay_alu instid0(VALU_DEP_1) | instskip(SKIP_1) | instid1(VALU_DEP_2)
	v_pk_fma_f32 v[100:101], v[46:47], v[44:45], v[98:99] op_sel_hi:[1,0,1]
	v_pk_fma_f32 v[44:45], v[46:47], v[44:45], v[98:99] neg_lo:[0,0,1] neg_hi:[0,0,1]
	v_mov_b32_e32 v45, v101
	s_delay_alu instid0(VALU_DEP_1)
	v_pk_add_f32 v[42:43], v[42:43], v[44:45]
.LBB63_580:                             ;   in Loop: Header=BB63_3 Depth=1
	s_or_b32 exec_lo, exec_lo, s56
.LBB63_581:                             ;   in Loop: Header=BB63_3 Depth=1
	s_delay_alu instid0(SALU_CYCLE_1)
	s_or_b32 exec_lo, exec_lo, s60
	s_and_saveexec_b32 s56, s95
; %bb.582:                              ;   in Loop: Header=BB63_3 Depth=1
	s_delay_alu instid0(VALU_DEP_1)
	v_pk_add_f32 v[44:45], v[42:43], 0 neg_lo:[1,1] neg_hi:[1,1]
	ds_store_b64 v71, v[44:45]
; %bb.583:                              ;   in Loop: Header=BB63_3 Depth=1
	s_or_b32 exec_lo, exec_lo, s56
	s_wait_loadcnt_dscnt 0x0
	s_barrier_signal -1
	s_barrier_wait -1
	s_and_saveexec_b32 s56, s96
	s_cbranch_execz .LBB63_585
; %bb.584:                              ;   in Loop: Header=BB63_3 Depth=1
	ds_load_b64 v[44:45], v68 offset:14016
	ds_load_b64 v[46:47], v71
	s_wait_dscnt 0x0
	v_pk_mul_f32 v[98:99], v[46:47], v[44:45] op_sel:[1,1] op_sel_hi:[0,1]
	s_delay_alu instid0(VALU_DEP_1) | instskip(SKIP_1) | instid1(VALU_DEP_2)
	v_pk_fma_f32 v[100:101], v[46:47], v[44:45], v[98:99] op_sel_hi:[1,0,1]
	v_pk_fma_f32 v[44:45], v[46:47], v[44:45], v[98:99] neg_lo:[0,0,1] neg_hi:[0,0,1]
	v_mov_b32_e32 v45, v101
	s_delay_alu instid0(VALU_DEP_1)
	v_pk_add_f32 v[42:43], v[42:43], v[44:45] neg_lo:[0,1] neg_hi:[0,1]
.LBB63_585:                             ;   in Loop: Header=BB63_3 Depth=1
	s_or_b32 exec_lo, exec_lo, s56
	s_barrier_signal -1
	s_barrier_wait -1
	s_and_saveexec_b32 s56, s97
; %bb.586:                              ;   in Loop: Header=BB63_3 Depth=1
	v_pk_add_f32 v[44:45], v[42:43], 0 neg_lo:[1,1] neg_hi:[1,1]
	ds_store_b64 v71, v[44:45]
; %bb.587:                              ;   in Loop: Header=BB63_3 Depth=1
	s_or_b32 exec_lo, exec_lo, s56
	s_wait_dscnt 0x0
	s_barrier_signal -1
	s_barrier_wait -1
	s_and_saveexec_b32 s56, s98
	s_cbranch_execz .LBB63_589
; %bb.588:                              ;   in Loop: Header=BB63_3 Depth=1
	ds_load_b64 v[44:45], v68 offset:13504
	ds_load_b64 v[46:47], v71
	s_wait_dscnt 0x0
	v_pk_mul_f32 v[98:99], v[46:47], v[44:45] op_sel:[1,1] op_sel_hi:[0,1]
	s_delay_alu instid0(VALU_DEP_1) | instskip(SKIP_1) | instid1(VALU_DEP_2)
	v_pk_fma_f32 v[100:101], v[46:47], v[44:45], v[98:99] op_sel_hi:[1,0,1]
	v_pk_fma_f32 v[44:45], v[46:47], v[44:45], v[98:99] neg_lo:[0,0,1] neg_hi:[0,0,1]
	v_mov_b32_e32 v45, v101
	s_delay_alu instid0(VALU_DEP_1)
	v_pk_add_f32 v[42:43], v[42:43], v[44:45] neg_lo:[0,1] neg_hi:[0,1]
.LBB63_589:                             ;   in Loop: Header=BB63_3 Depth=1
	s_or_b32 exec_lo, exec_lo, s56
	s_barrier_signal -1
	s_barrier_wait -1
	s_and_saveexec_b32 s56, s99
; %bb.590:                              ;   in Loop: Header=BB63_3 Depth=1
	v_pk_add_f32 v[44:45], v[42:43], 0 neg_lo:[1,1] neg_hi:[1,1]
	ds_store_b64 v71, v[44:45]
; %bb.591:                              ;   in Loop: Header=BB63_3 Depth=1
	s_or_b32 exec_lo, exec_lo, s56
	s_wait_dscnt 0x0
	;; [unrolled: 26-line block ×3, first 2 shown]
	s_barrier_signal -1
	s_barrier_wait -1
	s_barrier_signal -1
	s_barrier_wait -1
	s_and_saveexec_b32 s56, s4
; %bb.596:                              ;   in Loop: Header=BB63_3 Depth=1
	ds_store_b64 v73, v[42:43] offset:16064
; %bb.597:                              ;   in Loop: Header=BB63_3 Depth=1
	s_or_b32 exec_lo, exec_lo, s56
	s_wait_dscnt 0x0
	s_barrier_signal -1
	s_barrier_wait -1
	s_barrier_signal -1
	s_barrier_wait -1
	s_and_saveexec_b32 s56, s101
	s_cbranch_execz .LBB63_599
; %bb.598:                              ;   in Loop: Header=BB63_3 Depth=1
	ds_load_b64 v[42:43], v51 offset:14528
	s_wait_dscnt 0x0
	ds_store_b64 v52, v[42:43] offset:12512
	ds_load_b64 v[42:43], v51 offset:14536
	s_wait_dscnt 0x0
	ds_store_b64 v52, v[42:43] offset:13024
	;; [unrolled: 3-line block ×4, first 2 shown]
.LBB63_599:                             ;   in Loop: Header=BB63_3 Depth=1
	s_or_b32 exec_lo, exec_lo, s56
	s_wait_dscnt 0x0
	s_barrier_signal -1
	s_barrier_wait -1
	s_and_saveexec_b32 s56, s10
	s_cbranch_execz .LBB63_601
; %bb.600:                              ;   in Loop: Header=BB63_3 Depth=1
	ds_load_b64 v[42:43], v3 offset:14032
	v_add_nc_u32_e64 v2, 0x3000, 0
	ds_store_b64 v3, v[30:31] offset:14040
	s_wait_dscnt 0x1
	ds_store_2addr_b64 v2, v[30:31], v[42:43] offset0:154 offset1:155
.LBB63_601:                             ;   in Loop: Header=BB63_3 Depth=1
	s_or_b32 exec_lo, exec_lo, s56
	v_dual_mov_b32 v42, 0 :: v_dual_mov_b32 v43, 0
	s_wait_dscnt 0x0
	s_barrier_signal -1
	s_barrier_wait -1
	global_wb scope:SCOPE_DEV
	s_wait_storecnt 0x0
	global_inv scope:SCOPE_DEV
	s_and_saveexec_b32 s60, s2
	s_cbranch_execz .LBB63_605
; %bb.602:                              ;   in Loop: Header=BB63_3 Depth=1
	ds_load_b64 v[42:43], v66 offset:13504
	ds_load_b64 v[44:45], v56 offset:14032
	s_wait_dscnt 0x0
	v_pk_mul_f32 v[46:47], v[44:45], v[42:43] op_sel:[1,1] op_sel_hi:[0,1]
	s_delay_alu instid0(VALU_DEP_1) | instskip(SKIP_1) | instid1(VALU_DEP_2)
	v_pk_fma_f32 v[98:99], v[44:45], v[42:43], v[46:47] op_sel_hi:[1,0,1]
	v_pk_fma_f32 v[42:43], v[44:45], v[42:43], v[46:47] neg_lo:[0,0,1] neg_hi:[0,0,1]
	v_mov_b32_e32 v43, v99
	s_delay_alu instid0(VALU_DEP_1)
	v_pk_add_f32 v[42:43], v[42:43], 0 op_sel_hi:[1,0]
	s_and_saveexec_b32 s56, s12
	s_cbranch_execz .LBB63_604
; %bb.603:                              ;   in Loop: Header=BB63_3 Depth=1
	ds_load_b64 v[44:45], v52 offset:14016
	ds_load_b64 v[46:47], v3 offset:14040
	s_wait_dscnt 0x0
	v_pk_mul_f32 v[98:99], v[46:47], v[44:45] op_sel:[1,1] op_sel_hi:[0,1]
	s_delay_alu instid0(VALU_DEP_1) | instskip(SKIP_1) | instid1(VALU_DEP_2)
	v_pk_fma_f32 v[100:101], v[46:47], v[44:45], v[98:99] op_sel_hi:[1,0,1]
	v_pk_fma_f32 v[44:45], v[46:47], v[44:45], v[98:99] neg_lo:[0,0,1] neg_hi:[0,0,1]
	v_mov_b32_e32 v45, v101
	s_delay_alu instid0(VALU_DEP_1)
	v_pk_add_f32 v[42:43], v[42:43], v[44:45]
.LBB63_604:                             ;   in Loop: Header=BB63_3 Depth=1
	s_or_b32 exec_lo, exec_lo, s56
.LBB63_605:                             ;   in Loop: Header=BB63_3 Depth=1
	s_delay_alu instid0(SALU_CYCLE_1)
	s_or_b32 exec_lo, exec_lo, s60
	s_and_saveexec_b32 s56, s92
; %bb.606:                              ;   in Loop: Header=BB63_3 Depth=1
	s_delay_alu instid0(VALU_DEP_1)
	v_pk_add_f32 v[44:45], v[42:43], 0 neg_lo:[1,1] neg_hi:[1,1]
	ds_store_b64 v67, v[44:45]
; %bb.607:                              ;   in Loop: Header=BB63_3 Depth=1
	s_or_b32 exec_lo, exec_lo, s56
	s_wait_loadcnt_dscnt 0x0
	s_barrier_signal -1
	s_barrier_wait -1
	s_and_saveexec_b32 s56, s93
	s_cbranch_execz .LBB63_609
; %bb.608:                              ;   in Loop: Header=BB63_3 Depth=1
	ds_load_b64 v[44:45], v3 offset:12992
	ds_load_b64 v[46:47], v67
	s_wait_dscnt 0x0
	v_pk_mul_f32 v[98:99], v[46:47], v[44:45] op_sel_hi:[1,0]
	s_delay_alu instid0(VALU_DEP_1) | instskip(SKIP_1) | instid1(VALU_DEP_2)
	v_pk_fma_f32 v[100:101], v[46:47], v[44:45], v[98:99] op_sel:[1,1,0] op_sel_hi:[0,1,1]
	v_pk_fma_f32 v[44:45], v[46:47], v[44:45], v[98:99] op_sel:[1,1,0] op_sel_hi:[0,1,1] neg_lo:[0,0,1] neg_hi:[0,0,1]
	v_pk_add_f32 v[46:47], v[42:43], v[100:101] neg_lo:[0,1] neg_hi:[0,1]
	s_delay_alu instid0(VALU_DEP_2) | instskip(NEXT) | instid1(VALU_DEP_2)
	v_pk_add_f32 v[42:43], v[42:43], v[44:45]
	v_mov_b32_e32 v43, v47
.LBB63_609:                             ;   in Loop: Header=BB63_3 Depth=1
	s_or_b32 exec_lo, exec_lo, s56
	s_barrier_signal -1
	s_barrier_wait -1
	s_and_saveexec_b32 s56, s93
; %bb.610:                              ;   in Loop: Header=BB63_3 Depth=1
	v_pk_add_f32 v[44:45], v[42:43], 0 neg_lo:[1,1] neg_hi:[1,1]
	ds_store_b64 v67, v[44:45]
; %bb.611:                              ;   in Loop: Header=BB63_3 Depth=1
	s_or_b32 exec_lo, exec_lo, s56
	s_wait_dscnt 0x0
	s_barrier_signal -1
	s_barrier_wait -1
	s_barrier_signal -1
	s_barrier_wait -1
	s_and_saveexec_b32 s56, s2
; %bb.612:                              ;   in Loop: Header=BB63_3 Depth=1
	ds_store_b64 v69, v[42:43] offset:14016
; %bb.613:                              ;   in Loop: Header=BB63_3 Depth=1
	s_or_b32 exec_lo, exec_lo, s56
	s_wait_dscnt 0x0
	s_barrier_signal -1
	s_barrier_wait -1
	s_barrier_signal -1
	s_barrier_wait -1
	s_and_saveexec_b32 s56, s94
	s_cbranch_execz .LBB63_615
; %bb.614:                              ;   in Loop: Header=BB63_3 Depth=1
	ds_load_b64 v[42:43], v53 offset:13504
	s_wait_dscnt 0x0
	ds_store_b64 v52, v[42:43] offset:12496
	ds_load_b64 v[42:43], v53 offset:13512
	s_wait_dscnt 0x0
	ds_store_b64 v52, v[42:43] offset:13008
.LBB63_615:                             ;   in Loop: Header=BB63_3 Depth=1
	s_or_b32 exec_lo, exec_lo, s56
	s_wait_dscnt 0x0
	s_barrier_signal -1
	s_barrier_wait -1
	s_and_saveexec_b32 s56, s10
	s_cbranch_execz .LBB63_617
; %bb.616:                              ;   in Loop: Header=BB63_3 Depth=1
	ds_load_b64 v[42:43], v3 offset:12992
	v_add_nc_u32_e64 v2, 0x3000, 0
	ds_store_b64 v3, v[30:31] offset:13000
	s_wait_dscnt 0x1
	ds_store_2addr_b64 v2, v[30:31], v[42:43] offset0:24 offset1:25
.LBB63_617:                             ;   in Loop: Header=BB63_3 Depth=1
	s_or_b32 exec_lo, exec_lo, s56
	v_mov_b64_e32 v[42:43], 0
	s_wait_dscnt 0x0
	s_barrier_signal -1
	s_barrier_wait -1
	global_wb scope:SCOPE_DEV
	s_wait_storecnt 0x0
	global_inv scope:SCOPE_DEV
	s_and_saveexec_b32 s60, s5
	s_cbranch_execz .LBB63_627
; %bb.618:                              ;   in Loop: Header=BB63_3 Depth=1
	ds_load_b64 v[42:43], v70 offset:12416
	ds_load_b64 v[44:45], v61 offset:16064
	s_wait_dscnt 0x0
	v_dual_mul_f32 v2, v45, v43 :: v_dual_mul_f32 v5, v44, v43
	s_delay_alu instid0(VALU_DEP_1) | instskip(NEXT) | instid1(VALU_DEP_1)
	v_dual_fma_f32 v2, v44, v42, -v2 :: v_dual_fmac_f32 v5, v45, v42
	v_dual_add_f32 v42, 0, v2 :: v_dual_add_f32 v43, 0, v5
	s_and_saveexec_b32 s56, s15
	s_cbranch_execnz .LBB63_1104
; %bb.619:                              ;   in Loop: Header=BB63_3 Depth=1
	s_or_b32 exec_lo, exec_lo, s56
	s_and_saveexec_b32 s56, s16
	s_cbranch_execnz .LBB63_1105
.LBB63_620:                             ;   in Loop: Header=BB63_3 Depth=1
	s_or_b32 exec_lo, exec_lo, s56
	s_and_saveexec_b32 s56, s17
	s_cbranch_execnz .LBB63_1106
.LBB63_621:                             ;   in Loop: Header=BB63_3 Depth=1
	s_or_b32 exec_lo, exec_lo, s56
	s_and_saveexec_b32 s56, s18
	s_cbranch_execnz .LBB63_1107
.LBB63_622:                             ;   in Loop: Header=BB63_3 Depth=1
	s_or_b32 exec_lo, exec_lo, s56
	s_and_saveexec_b32 s56, s19
	s_cbranch_execnz .LBB63_1108
.LBB63_623:                             ;   in Loop: Header=BB63_3 Depth=1
	s_or_b32 exec_lo, exec_lo, s56
	s_and_saveexec_b32 s56, s4
	s_cbranch_execnz .LBB63_1109
.LBB63_624:                             ;   in Loop: Header=BB63_3 Depth=1
	s_or_b32 exec_lo, exec_lo, s56
	s_and_saveexec_b32 s56, s14
	s_cbranch_execz .LBB63_626
.LBB63_625:                             ;   in Loop: Header=BB63_3 Depth=1
	ds_load_b64 v[44:45], v54 offset:16000
	ds_load_b64 v[46:47], v3 offset:16120
	s_wait_dscnt 0x0
	v_pk_mul_f32 v[98:99], v[46:47], v[44:45] op_sel:[1,1] op_sel_hi:[0,1]
	s_delay_alu instid0(VALU_DEP_1) | instskip(SKIP_1) | instid1(VALU_DEP_2)
	v_pk_fma_f32 v[100:101], v[46:47], v[44:45], v[98:99] op_sel_hi:[1,0,1]
	v_pk_fma_f32 v[44:45], v[46:47], v[44:45], v[98:99] neg_lo:[0,0,1] neg_hi:[0,0,1]
	v_mov_b32_e32 v45, v101
	s_delay_alu instid0(VALU_DEP_1)
	v_pk_add_f32 v[42:43], v[42:43], v[44:45]
.LBB63_626:                             ;   in Loop: Header=BB63_3 Depth=1
	s_or_b32 exec_lo, exec_lo, s56
.LBB63_627:                             ;   in Loop: Header=BB63_3 Depth=1
	s_delay_alu instid0(SALU_CYCLE_1)
	s_or_b32 exec_lo, exec_lo, s60
	s_and_saveexec_b32 s56, s102
; %bb.628:                              ;   in Loop: Header=BB63_3 Depth=1
	s_delay_alu instid0(VALU_DEP_1)
	v_pk_add_f32 v[44:45], v[42:43], 0 neg_lo:[1,1] neg_hi:[1,1]
	ds_store_b64 v74, v[44:45]
; %bb.629:                              ;   in Loop: Header=BB63_3 Depth=1
	s_or_b32 exec_lo, exec_lo, s56
	s_wait_loadcnt_dscnt 0x0
	s_barrier_signal -1
	s_barrier_wait -1
	s_and_saveexec_b32 s56, s103
	s_cbranch_execz .LBB63_631
; %bb.630:                              ;   in Loop: Header=BB63_3 Depth=1
	ds_load_b64 v[44:45], v70 offset:11904
	ds_load_b64 v[46:47], v74
	s_wait_dscnt 0x0
	v_pk_mul_f32 v[98:99], v[46:47], v[44:45] op_sel:[1,1] op_sel_hi:[0,1]
	s_delay_alu instid0(VALU_DEP_1) | instskip(SKIP_1) | instid1(VALU_DEP_2)
	v_pk_fma_f32 v[100:101], v[46:47], v[44:45], v[98:99] op_sel_hi:[1,0,1]
	v_pk_fma_f32 v[44:45], v[46:47], v[44:45], v[98:99] neg_lo:[0,0,1] neg_hi:[0,0,1]
	v_mov_b32_e32 v45, v101
	s_delay_alu instid0(VALU_DEP_1)
	v_pk_add_f32 v[42:43], v[42:43], v[44:45] neg_lo:[0,1] neg_hi:[0,1]
.LBB63_631:                             ;   in Loop: Header=BB63_3 Depth=1
	s_or_b32 exec_lo, exec_lo, s56
	s_barrier_signal -1
	s_barrier_wait -1
	s_and_saveexec_b32 s56, s104
; %bb.632:                              ;   in Loop: Header=BB63_3 Depth=1
	v_pk_add_f32 v[44:45], v[42:43], 0 neg_lo:[1,1] neg_hi:[1,1]
	ds_store_b64 v74, v[44:45]
; %bb.633:                              ;   in Loop: Header=BB63_3 Depth=1
	s_or_b32 exec_lo, exec_lo, s56
	s_wait_dscnt 0x0
	s_barrier_signal -1
	s_barrier_wait -1
	s_and_saveexec_b32 s56, vcc_hi
	s_cbranch_execz .LBB63_635
; %bb.634:                              ;   in Loop: Header=BB63_3 Depth=1
	ds_load_b64 v[44:45], v70 offset:11392
	ds_load_b64 v[46:47], v74
	s_wait_dscnt 0x0
	v_dual_mul_f32 v2, v47, v45 :: v_dual_mul_f32 v5, v46, v45
	s_delay_alu instid0(VALU_DEP_1) | instskip(NEXT) | instid1(VALU_DEP_1)
	v_dual_fma_f32 v2, v46, v44, -v2 :: v_dual_fmac_f32 v5, v47, v44
	v_dual_sub_f32 v42, v42, v2 :: v_dual_sub_f32 v43, v43, v5
.LBB63_635:                             ;   in Loop: Header=BB63_3 Depth=1
	s_or_b32 exec_lo, exec_lo, s56
	s_barrier_signal -1
	s_barrier_wait -1
	s_and_saveexec_b32 s56, s38
; %bb.636:                              ;   in Loop: Header=BB63_3 Depth=1
	v_pk_add_f32 v[44:45], v[42:43], 0 neg_lo:[1,1] neg_hi:[1,1]
	ds_store_b64 v74, v[44:45]
; %bb.637:                              ;   in Loop: Header=BB63_3 Depth=1
	s_or_b32 exec_lo, exec_lo, s56
	s_wait_dscnt 0x0
	s_barrier_signal -1
	s_barrier_wait -1
	s_and_saveexec_b32 s56, s39
	s_cbranch_execz .LBB63_639
; %bb.638:                              ;   in Loop: Header=BB63_3 Depth=1
	ds_load_b64 v[44:45], v70 offset:10880
	ds_load_b64 v[46:47], v74
	s_wait_dscnt 0x0
	v_dual_mul_f32 v2, v47, v45 :: v_dual_mul_f32 v99, v46, v45
	s_delay_alu instid0(VALU_DEP_1) | instskip(NEXT) | instid1(VALU_DEP_1)
	v_dual_fma_f32 v98, v46, v44, -v2 :: v_dual_fmac_f32 v99, v47, v44
	v_pk_add_f32 v[42:43], v[42:43], v[98:99] neg_lo:[0,1] neg_hi:[0,1]
.LBB63_639:                             ;   in Loop: Header=BB63_3 Depth=1
	s_or_b32 exec_lo, exec_lo, s56
	s_barrier_signal -1
	s_barrier_wait -1
	s_and_saveexec_b32 s56, s40
; %bb.640:                              ;   in Loop: Header=BB63_3 Depth=1
	v_pk_add_f32 v[44:45], v[42:43], 0 neg_lo:[1,1] neg_hi:[1,1]
	ds_store_b64 v74, v[44:45]
; %bb.641:                              ;   in Loop: Header=BB63_3 Depth=1
	s_or_b32 exec_lo, exec_lo, s56
	s_wait_dscnt 0x0
	s_barrier_signal -1
	s_barrier_wait -1
	s_and_saveexec_b32 s56, s41
	s_cbranch_execz .LBB63_643
; %bb.642:                              ;   in Loop: Header=BB63_3 Depth=1
	ds_load_b64 v[44:45], v70 offset:10368
	ds_load_b64 v[46:47], v74
	s_wait_dscnt 0x0
	v_pk_mul_f32 v[98:99], v[46:47], v[44:45] op_sel:[1,1] op_sel_hi:[0,1]
	s_delay_alu instid0(VALU_DEP_1) | instskip(SKIP_1) | instid1(VALU_DEP_2)
	v_pk_fma_f32 v[100:101], v[46:47], v[44:45], v[98:99] op_sel_hi:[1,0,1]
	v_pk_fma_f32 v[44:45], v[46:47], v[44:45], v[98:99] neg_lo:[0,0,1] neg_hi:[0,0,1]
	v_mov_b32_e32 v45, v101
	s_delay_alu instid0(VALU_DEP_1)
	v_pk_add_f32 v[42:43], v[42:43], v[44:45] neg_lo:[0,1] neg_hi:[0,1]
.LBB63_643:                             ;   in Loop: Header=BB63_3 Depth=1
	s_or_b32 exec_lo, exec_lo, s56
	s_barrier_signal -1
	s_barrier_wait -1
	s_and_saveexec_b32 s56, s42
; %bb.644:                              ;   in Loop: Header=BB63_3 Depth=1
	v_pk_add_f32 v[44:45], v[42:43], 0 neg_lo:[1,1] neg_hi:[1,1]
	ds_store_b64 v74, v[44:45]
; %bb.645:                              ;   in Loop: Header=BB63_3 Depth=1
	s_or_b32 exec_lo, exec_lo, s56
	s_wait_dscnt 0x0
	s_barrier_signal -1
	s_barrier_wait -1
	s_and_saveexec_b32 s56, s43
	s_cbranch_execz .LBB63_647
; %bb.646:                              ;   in Loop: Header=BB63_3 Depth=1
	ds_load_b64 v[44:45], v70 offset:9856
	ds_load_b64 v[46:47], v74
	s_wait_dscnt 0x0
	v_pk_mul_f32 v[98:99], v[46:47], v[44:45] op_sel:[1,1] op_sel_hi:[0,1]
	s_delay_alu instid0(VALU_DEP_1) | instskip(SKIP_1) | instid1(VALU_DEP_2)
	v_pk_fma_f32 v[100:101], v[46:47], v[44:45], v[98:99] op_sel_hi:[1,0,1]
	v_pk_fma_f32 v[44:45], v[46:47], v[44:45], v[98:99] neg_lo:[0,0,1] neg_hi:[0,0,1]
	v_mov_b32_e32 v45, v101
	s_delay_alu instid0(VALU_DEP_1)
	v_pk_add_f32 v[42:43], v[42:43], v[44:45] neg_lo:[0,1] neg_hi:[0,1]
.LBB63_647:                             ;   in Loop: Header=BB63_3 Depth=1
	;; [unrolled: 26-line block ×4, first 2 shown]
	s_or_b32 exec_lo, exec_lo, s56
	s_barrier_signal -1
	s_barrier_wait -1
	s_and_saveexec_b32 s56, s47
; %bb.656:                              ;   in Loop: Header=BB63_3 Depth=1
	v_pk_add_f32 v[44:45], v[42:43], 0 neg_lo:[1,1] neg_hi:[1,1]
	ds_store_b64 v74, v[44:45]
; %bb.657:                              ;   in Loop: Header=BB63_3 Depth=1
	s_or_b32 exec_lo, exec_lo, s56
	s_wait_dscnt 0x0
	s_barrier_signal -1
	s_barrier_wait -1
	s_barrier_signal -1
	s_barrier_wait -1
	s_and_saveexec_b32 s56, s5
; %bb.658:                              ;   in Loop: Header=BB63_3 Depth=1
	ds_store_b64 v75, v[42:43] offset:16000
; %bb.659:                              ;   in Loop: Header=BB63_3 Depth=1
	s_or_b32 exec_lo, exec_lo, s56
	s_wait_dscnt 0x0
	s_barrier_signal -1
	s_barrier_wait -1
	s_barrier_signal -1
	s_barrier_wait -1
	s_and_saveexec_b32 s56, s48
	s_cbranch_execz .LBB63_661
; %bb.660:                              ;   in Loop: Header=BB63_3 Depth=1
	ds_load_b64 v[42:43], v55 offset:12416
	s_wait_dscnt 0x0
	ds_store_b64 v58, v[42:43] offset:8384
	ds_load_b64 v[42:43], v55 offset:12424
	s_wait_dscnt 0x0
	ds_store_b64 v58, v[42:43] offset:8896
	;; [unrolled: 3-line block ×8, first 2 shown]
.LBB63_661:                             ;   in Loop: Header=BB63_3 Depth=1
	s_or_b32 exec_lo, exec_lo, s56
	s_wait_dscnt 0x0
	s_barrier_signal -1
	s_barrier_wait -1
	s_and_saveexec_b32 s56, s10
	s_cbranch_execz .LBB63_663
; %bb.662:                              ;   in Loop: Header=BB63_3 Depth=1
	ds_load_b64 v[42:43], v3 offset:11952
	v_add_nc_u32_e64 v2, 0x2800, 0
	ds_store_b64 v3, v[30:31] offset:11960
	s_wait_dscnt 0x1
	ds_store_2addr_b64 v2, v[30:31], v[42:43] offset0:150 offset1:151
.LBB63_663:                             ;   in Loop: Header=BB63_3 Depth=1
	s_or_b32 exec_lo, exec_lo, s56
	v_dual_mov_b32 v42, 0 :: v_dual_mov_b32 v43, 0
	s_wait_dscnt 0x0
	s_barrier_signal -1
	s_barrier_wait -1
	global_wb scope:SCOPE_DEV
	s_wait_storecnt 0x0
	global_inv scope:SCOPE_DEV
	s_and_saveexec_b32 s60, s2
	s_cbranch_execz .LBB63_667
; %bb.664:                              ;   in Loop: Header=BB63_3 Depth=1
	ds_load_b64 v[42:43], v66 offset:11424
	ds_load_b64 v[44:45], v56 offset:11952
	s_wait_dscnt 0x0
	v_pk_mul_f32 v[46:47], v[44:45], v[42:43] op_sel:[1,1] op_sel_hi:[0,1]
	s_delay_alu instid0(VALU_DEP_1) | instskip(SKIP_1) | instid1(VALU_DEP_2)
	v_pk_fma_f32 v[98:99], v[44:45], v[42:43], v[46:47] op_sel_hi:[1,0,1]
	v_pk_fma_f32 v[42:43], v[44:45], v[42:43], v[46:47] neg_lo:[0,0,1] neg_hi:[0,0,1]
	v_mov_b32_e32 v43, v99
	s_delay_alu instid0(VALU_DEP_1)
	v_pk_add_f32 v[42:43], v[42:43], 0 op_sel_hi:[1,0]
	s_and_saveexec_b32 s56, s12
	s_cbranch_execz .LBB63_666
; %bb.665:                              ;   in Loop: Header=BB63_3 Depth=1
	ds_load_b64 v[44:45], v58 offset:11936
	ds_load_b64 v[46:47], v3 offset:11960
	s_wait_dscnt 0x0
	v_pk_mul_f32 v[98:99], v[46:47], v[44:45] op_sel:[1,1] op_sel_hi:[0,1]
	s_delay_alu instid0(VALU_DEP_1) | instskip(SKIP_1) | instid1(VALU_DEP_2)
	v_pk_fma_f32 v[100:101], v[46:47], v[44:45], v[98:99] op_sel_hi:[1,0,1]
	v_pk_fma_f32 v[44:45], v[46:47], v[44:45], v[98:99] neg_lo:[0,0,1] neg_hi:[0,0,1]
	v_mov_b32_e32 v45, v101
	s_delay_alu instid0(VALU_DEP_1)
	v_pk_add_f32 v[42:43], v[42:43], v[44:45]
.LBB63_666:                             ;   in Loop: Header=BB63_3 Depth=1
	s_or_b32 exec_lo, exec_lo, s56
.LBB63_667:                             ;   in Loop: Header=BB63_3 Depth=1
	s_delay_alu instid0(SALU_CYCLE_1)
	s_or_b32 exec_lo, exec_lo, s60
	s_and_saveexec_b32 s56, s92
; %bb.668:                              ;   in Loop: Header=BB63_3 Depth=1
	s_delay_alu instid0(VALU_DEP_1)
	v_pk_add_f32 v[44:45], v[42:43], 0 neg_lo:[1,1] neg_hi:[1,1]
	ds_store_b64 v67, v[44:45]
; %bb.669:                              ;   in Loop: Header=BB63_3 Depth=1
	s_or_b32 exec_lo, exec_lo, s56
	s_wait_loadcnt_dscnt 0x0
	s_barrier_signal -1
	s_barrier_wait -1
	s_and_saveexec_b32 s56, s93
	s_cbranch_execz .LBB63_671
; %bb.670:                              ;   in Loop: Header=BB63_3 Depth=1
	ds_load_b64 v[44:45], v3 offset:10912
	ds_load_b64 v[46:47], v67
	s_wait_dscnt 0x0
	v_pk_mul_f32 v[98:99], v[46:47], v[44:45] op_sel_hi:[1,0]
	s_delay_alu instid0(VALU_DEP_1) | instskip(SKIP_1) | instid1(VALU_DEP_2)
	v_pk_fma_f32 v[100:101], v[46:47], v[44:45], v[98:99] op_sel:[1,1,0] op_sel_hi:[0,1,1]
	v_pk_fma_f32 v[44:45], v[46:47], v[44:45], v[98:99] op_sel:[1,1,0] op_sel_hi:[0,1,1] neg_lo:[0,0,1] neg_hi:[0,0,1]
	v_pk_add_f32 v[46:47], v[42:43], v[100:101] neg_lo:[0,1] neg_hi:[0,1]
	s_delay_alu instid0(VALU_DEP_2) | instskip(NEXT) | instid1(VALU_DEP_2)
	v_pk_add_f32 v[42:43], v[42:43], v[44:45]
	v_mov_b32_e32 v43, v47
.LBB63_671:                             ;   in Loop: Header=BB63_3 Depth=1
	s_or_b32 exec_lo, exec_lo, s56
	s_barrier_signal -1
	s_barrier_wait -1
	s_and_saveexec_b32 s56, s93
; %bb.672:                              ;   in Loop: Header=BB63_3 Depth=1
	v_pk_add_f32 v[44:45], v[42:43], 0 neg_lo:[1,1] neg_hi:[1,1]
	ds_store_b64 v67, v[44:45]
; %bb.673:                              ;   in Loop: Header=BB63_3 Depth=1
	s_or_b32 exec_lo, exec_lo, s56
	s_wait_dscnt 0x0
	s_barrier_signal -1
	s_barrier_wait -1
	s_barrier_signal -1
	s_barrier_wait -1
	s_and_saveexec_b32 s56, s2
; %bb.674:                              ;   in Loop: Header=BB63_3 Depth=1
	ds_store_b64 v69, v[42:43] offset:11936
; %bb.675:                              ;   in Loop: Header=BB63_3 Depth=1
	s_or_b32 exec_lo, exec_lo, s56
	s_wait_dscnt 0x0
	s_barrier_signal -1
	s_barrier_wait -1
	s_barrier_signal -1
	s_barrier_wait -1
	s_and_saveexec_b32 s56, s94
	s_cbranch_execz .LBB63_677
; %bb.676:                              ;   in Loop: Header=BB63_3 Depth=1
	ds_load_b64 v[42:43], v59 offset:11424
	s_wait_dscnt 0x0
	ds_store_b64 v58, v[42:43] offset:10416
	ds_load_b64 v[42:43], v59 offset:11432
	s_wait_dscnt 0x0
	ds_store_b64 v58, v[42:43] offset:10928
.LBB63_677:                             ;   in Loop: Header=BB63_3 Depth=1
	s_or_b32 exec_lo, exec_lo, s56
	s_wait_dscnt 0x0
	s_barrier_signal -1
	s_barrier_wait -1
	s_and_saveexec_b32 s56, s10
	s_cbranch_execz .LBB63_679
; %bb.678:                              ;   in Loop: Header=BB63_3 Depth=1
	ds_load_b64 v[42:43], v3 offset:10912
	v_add_nc_u32_e64 v2, 0x2800, 0
	ds_store_b64 v3, v[30:31] offset:10920
	s_wait_dscnt 0x1
	ds_store_2addr_b64 v2, v[30:31], v[42:43] offset0:20 offset1:21
.LBB63_679:                             ;   in Loop: Header=BB63_3 Depth=1
	s_or_b32 exec_lo, exec_lo, s56
	v_mov_b64_e32 v[42:43], 0
	s_wait_dscnt 0x0
	s_barrier_signal -1
	s_barrier_wait -1
	global_wb scope:SCOPE_DEV
	s_wait_storecnt 0x0
	global_inv scope:SCOPE_DEV
	s_and_saveexec_b32 s60, s4
	s_cbranch_execz .LBB63_685
; %bb.680:                              ;   in Loop: Header=BB63_3 Depth=1
	ds_load_b64 v[42:43], v68 offset:10368
	ds_load_b64 v[44:45], v57 offset:11936
	s_wait_dscnt 0x0
	v_dual_mul_f32 v2, v45, v43 :: v_dual_mul_f32 v5, v44, v43
	s_delay_alu instid0(VALU_DEP_1) | instskip(NEXT) | instid1(VALU_DEP_1)
	v_dual_fma_f32 v2, v44, v42, -v2 :: v_dual_fmac_f32 v5, v45, v42
	v_dual_add_f32 v42, 0, v2 :: v_dual_add_f32 v43, 0, v5
	s_and_saveexec_b32 s56, s13
	s_cbranch_execnz .LBB63_1110
; %bb.681:                              ;   in Loop: Header=BB63_3 Depth=1
	s_or_b32 exec_lo, exec_lo, s56
	s_and_saveexec_b32 s56, s14
	s_cbranch_execnz .LBB63_1111
.LBB63_682:                             ;   in Loop: Header=BB63_3 Depth=1
	s_or_b32 exec_lo, exec_lo, s56
	s_and_saveexec_b32 s56, s2
	s_cbranch_execz .LBB63_684
.LBB63_683:                             ;   in Loop: Header=BB63_3 Depth=1
	ds_load_b64 v[44:45], v62 offset:11904
	ds_load_b64 v[46:47], v3 offset:11960
	s_wait_dscnt 0x0
	v_pk_mul_f32 v[98:99], v[46:47], v[44:45] op_sel:[1,1] op_sel_hi:[0,1]
	s_delay_alu instid0(VALU_DEP_1) | instskip(SKIP_1) | instid1(VALU_DEP_2)
	v_pk_fma_f32 v[100:101], v[46:47], v[44:45], v[98:99] op_sel_hi:[1,0,1]
	v_pk_fma_f32 v[44:45], v[46:47], v[44:45], v[98:99] neg_lo:[0,0,1] neg_hi:[0,0,1]
	v_mov_b32_e32 v45, v101
	s_delay_alu instid0(VALU_DEP_1)
	v_pk_add_f32 v[42:43], v[42:43], v[44:45]
.LBB63_684:                             ;   in Loop: Header=BB63_3 Depth=1
	s_or_b32 exec_lo, exec_lo, s56
.LBB63_685:                             ;   in Loop: Header=BB63_3 Depth=1
	s_delay_alu instid0(SALU_CYCLE_1)
	s_or_b32 exec_lo, exec_lo, s60
	s_and_saveexec_b32 s56, s95
; %bb.686:                              ;   in Loop: Header=BB63_3 Depth=1
	s_delay_alu instid0(VALU_DEP_1)
	v_pk_add_f32 v[44:45], v[42:43], 0 neg_lo:[1,1] neg_hi:[1,1]
	ds_store_b64 v71, v[44:45]
; %bb.687:                              ;   in Loop: Header=BB63_3 Depth=1
	s_or_b32 exec_lo, exec_lo, s56
	s_wait_loadcnt_dscnt 0x0
	s_barrier_signal -1
	s_barrier_wait -1
	s_and_saveexec_b32 s56, s96
	s_cbranch_execz .LBB63_689
; %bb.688:                              ;   in Loop: Header=BB63_3 Depth=1
	ds_load_b64 v[44:45], v68 offset:9856
	ds_load_b64 v[46:47], v71
	s_wait_dscnt 0x0
	v_pk_mul_f32 v[98:99], v[46:47], v[44:45] op_sel:[1,1] op_sel_hi:[0,1]
	s_delay_alu instid0(VALU_DEP_1) | instskip(SKIP_1) | instid1(VALU_DEP_2)
	v_pk_fma_f32 v[100:101], v[46:47], v[44:45], v[98:99] op_sel_hi:[1,0,1]
	v_pk_fma_f32 v[44:45], v[46:47], v[44:45], v[98:99] neg_lo:[0,0,1] neg_hi:[0,0,1]
	v_mov_b32_e32 v45, v101
	s_delay_alu instid0(VALU_DEP_1)
	v_pk_add_f32 v[42:43], v[42:43], v[44:45] neg_lo:[0,1] neg_hi:[0,1]
.LBB63_689:                             ;   in Loop: Header=BB63_3 Depth=1
	s_or_b32 exec_lo, exec_lo, s56
	s_barrier_signal -1
	s_barrier_wait -1
	s_and_saveexec_b32 s56, s97
; %bb.690:                              ;   in Loop: Header=BB63_3 Depth=1
	v_pk_add_f32 v[44:45], v[42:43], 0 neg_lo:[1,1] neg_hi:[1,1]
	ds_store_b64 v71, v[44:45]
; %bb.691:                              ;   in Loop: Header=BB63_3 Depth=1
	s_or_b32 exec_lo, exec_lo, s56
	s_wait_dscnt 0x0
	s_barrier_signal -1
	s_barrier_wait -1
	s_and_saveexec_b32 s56, s98
	s_cbranch_execz .LBB63_693
; %bb.692:                              ;   in Loop: Header=BB63_3 Depth=1
	ds_load_b64 v[44:45], v68 offset:9344
	ds_load_b64 v[46:47], v71
	s_wait_dscnt 0x0
	v_pk_mul_f32 v[98:99], v[46:47], v[44:45] op_sel:[1,1] op_sel_hi:[0,1]
	s_delay_alu instid0(VALU_DEP_1) | instskip(SKIP_1) | instid1(VALU_DEP_2)
	v_pk_fma_f32 v[100:101], v[46:47], v[44:45], v[98:99] op_sel_hi:[1,0,1]
	v_pk_fma_f32 v[44:45], v[46:47], v[44:45], v[98:99] neg_lo:[0,0,1] neg_hi:[0,0,1]
	v_mov_b32_e32 v45, v101
	s_delay_alu instid0(VALU_DEP_1)
	v_pk_add_f32 v[42:43], v[42:43], v[44:45] neg_lo:[0,1] neg_hi:[0,1]
.LBB63_693:                             ;   in Loop: Header=BB63_3 Depth=1
	s_or_b32 exec_lo, exec_lo, s56
	s_barrier_signal -1
	s_barrier_wait -1
	s_and_saveexec_b32 s56, s99
; %bb.694:                              ;   in Loop: Header=BB63_3 Depth=1
	v_pk_add_f32 v[44:45], v[42:43], 0 neg_lo:[1,1] neg_hi:[1,1]
	ds_store_b64 v71, v[44:45]
; %bb.695:                              ;   in Loop: Header=BB63_3 Depth=1
	s_or_b32 exec_lo, exec_lo, s56
	s_wait_dscnt 0x0
	;; [unrolled: 26-line block ×3, first 2 shown]
	s_barrier_signal -1
	s_barrier_wait -1
	s_barrier_signal -1
	s_barrier_wait -1
	s_and_saveexec_b32 s56, s4
; %bb.700:                              ;   in Loop: Header=BB63_3 Depth=1
	ds_store_b64 v73, v[42:43] offset:11904
; %bb.701:                              ;   in Loop: Header=BB63_3 Depth=1
	s_or_b32 exec_lo, exec_lo, s56
	s_wait_dscnt 0x0
	s_barrier_signal -1
	s_barrier_wait -1
	s_barrier_signal -1
	s_barrier_wait -1
	s_and_saveexec_b32 s56, s101
	s_cbranch_execz .LBB63_703
; %bb.702:                              ;   in Loop: Header=BB63_3 Depth=1
	ds_load_b64 v[42:43], v80 offset:10368
	s_wait_dscnt 0x0
	ds_store_b64 v82, v[42:43] offset:8352
	ds_load_b64 v[42:43], v80 offset:10376
	s_wait_dscnt 0x0
	ds_store_b64 v82, v[42:43] offset:8864
	;; [unrolled: 3-line block ×4, first 2 shown]
.LBB63_703:                             ;   in Loop: Header=BB63_3 Depth=1
	s_or_b32 exec_lo, exec_lo, s56
	s_wait_dscnt 0x0
	s_barrier_signal -1
	s_barrier_wait -1
	s_and_saveexec_b32 s56, s10
	s_cbranch_execz .LBB63_705
; %bb.704:                              ;   in Loop: Header=BB63_3 Depth=1
	ds_load_b64 v[42:43], v3 offset:9872
	v_add_nc_u32_e64 v2, 0x2000, 0
	ds_store_b64 v3, v[30:31] offset:9880
	s_wait_dscnt 0x1
	ds_store_2addr_b64 v2, v[30:31], v[42:43] offset0:146 offset1:147
.LBB63_705:                             ;   in Loop: Header=BB63_3 Depth=1
	s_or_b32 exec_lo, exec_lo, s56
	v_dual_mov_b32 v42, 0 :: v_dual_mov_b32 v43, 0
	s_wait_dscnt 0x0
	s_barrier_signal -1
	s_barrier_wait -1
	global_wb scope:SCOPE_DEV
	s_wait_storecnt 0x0
	global_inv scope:SCOPE_DEV
	s_and_saveexec_b32 s60, s2
	s_cbranch_execz .LBB63_709
; %bb.706:                              ;   in Loop: Header=BB63_3 Depth=1
	ds_load_b64 v[42:43], v66 offset:9344
	ds_load_b64 v[44:45], v56 offset:9872
	s_wait_dscnt 0x0
	v_pk_mul_f32 v[46:47], v[44:45], v[42:43] op_sel:[1,1] op_sel_hi:[0,1]
	s_delay_alu instid0(VALU_DEP_1) | instskip(SKIP_1) | instid1(VALU_DEP_2)
	v_pk_fma_f32 v[98:99], v[44:45], v[42:43], v[46:47] op_sel_hi:[1,0,1]
	v_pk_fma_f32 v[42:43], v[44:45], v[42:43], v[46:47] neg_lo:[0,0,1] neg_hi:[0,0,1]
	v_mov_b32_e32 v43, v99
	s_delay_alu instid0(VALU_DEP_1)
	v_pk_add_f32 v[42:43], v[42:43], 0 op_sel_hi:[1,0]
	s_and_saveexec_b32 s56, s12
	s_cbranch_execz .LBB63_708
; %bb.707:                              ;   in Loop: Header=BB63_3 Depth=1
	ds_load_b64 v[44:45], v82 offset:9856
	ds_load_b64 v[46:47], v3 offset:9880
	s_wait_dscnt 0x0
	v_pk_mul_f32 v[98:99], v[46:47], v[44:45] op_sel:[1,1] op_sel_hi:[0,1]
	s_delay_alu instid0(VALU_DEP_1) | instskip(SKIP_1) | instid1(VALU_DEP_2)
	v_pk_fma_f32 v[100:101], v[46:47], v[44:45], v[98:99] op_sel_hi:[1,0,1]
	v_pk_fma_f32 v[44:45], v[46:47], v[44:45], v[98:99] neg_lo:[0,0,1] neg_hi:[0,0,1]
	v_mov_b32_e32 v45, v101
	s_delay_alu instid0(VALU_DEP_1)
	v_pk_add_f32 v[42:43], v[42:43], v[44:45]
.LBB63_708:                             ;   in Loop: Header=BB63_3 Depth=1
	s_or_b32 exec_lo, exec_lo, s56
.LBB63_709:                             ;   in Loop: Header=BB63_3 Depth=1
	s_delay_alu instid0(SALU_CYCLE_1)
	s_or_b32 exec_lo, exec_lo, s60
	s_and_saveexec_b32 s56, s92
; %bb.710:                              ;   in Loop: Header=BB63_3 Depth=1
	s_delay_alu instid0(VALU_DEP_1)
	v_pk_add_f32 v[44:45], v[42:43], 0 neg_lo:[1,1] neg_hi:[1,1]
	ds_store_b64 v67, v[44:45]
; %bb.711:                              ;   in Loop: Header=BB63_3 Depth=1
	s_or_b32 exec_lo, exec_lo, s56
	s_wait_loadcnt_dscnt 0x0
	s_barrier_signal -1
	s_barrier_wait -1
	s_and_saveexec_b32 s56, s93
	s_cbranch_execz .LBB63_713
; %bb.712:                              ;   in Loop: Header=BB63_3 Depth=1
	ds_load_b64 v[44:45], v3 offset:8832
	ds_load_b64 v[46:47], v67
	s_wait_dscnt 0x0
	v_pk_mul_f32 v[98:99], v[46:47], v[44:45] op_sel_hi:[1,0]
	s_delay_alu instid0(VALU_DEP_1) | instskip(SKIP_1) | instid1(VALU_DEP_2)
	v_pk_fma_f32 v[100:101], v[46:47], v[44:45], v[98:99] op_sel:[1,1,0] op_sel_hi:[0,1,1]
	v_pk_fma_f32 v[44:45], v[46:47], v[44:45], v[98:99] op_sel:[1,1,0] op_sel_hi:[0,1,1] neg_lo:[0,0,1] neg_hi:[0,0,1]
	v_pk_add_f32 v[46:47], v[42:43], v[100:101] neg_lo:[0,1] neg_hi:[0,1]
	s_delay_alu instid0(VALU_DEP_2) | instskip(NEXT) | instid1(VALU_DEP_2)
	v_pk_add_f32 v[42:43], v[42:43], v[44:45]
	v_mov_b32_e32 v43, v47
.LBB63_713:                             ;   in Loop: Header=BB63_3 Depth=1
	s_or_b32 exec_lo, exec_lo, s56
	s_barrier_signal -1
	s_barrier_wait -1
	s_and_saveexec_b32 s56, s93
; %bb.714:                              ;   in Loop: Header=BB63_3 Depth=1
	v_pk_add_f32 v[44:45], v[42:43], 0 neg_lo:[1,1] neg_hi:[1,1]
	ds_store_b64 v67, v[44:45]
; %bb.715:                              ;   in Loop: Header=BB63_3 Depth=1
	s_or_b32 exec_lo, exec_lo, s56
	s_wait_dscnt 0x0
	s_barrier_signal -1
	s_barrier_wait -1
	s_barrier_signal -1
	s_barrier_wait -1
	s_and_saveexec_b32 s56, s2
; %bb.716:                              ;   in Loop: Header=BB63_3 Depth=1
	ds_store_b64 v69, v[42:43] offset:9856
; %bb.717:                              ;   in Loop: Header=BB63_3 Depth=1
	s_or_b32 exec_lo, exec_lo, s56
	s_wait_dscnt 0x0
	s_barrier_signal -1
	s_barrier_wait -1
	s_barrier_signal -1
	s_barrier_wait -1
	s_and_saveexec_b32 s56, s94
	s_cbranch_execz .LBB63_719
; %bb.718:                              ;   in Loop: Header=BB63_3 Depth=1
	ds_load_b64 v[42:43], v83 offset:9344
	s_wait_dscnt 0x0
	ds_store_b64 v82, v[42:43] offset:8336
	ds_load_b64 v[42:43], v83 offset:9352
	s_wait_dscnt 0x0
	ds_store_b64 v82, v[42:43] offset:8848
.LBB63_719:                             ;   in Loop: Header=BB63_3 Depth=1
	s_or_b32 exec_lo, exec_lo, s56
	s_wait_dscnt 0x0
	s_barrier_signal -1
	s_barrier_wait -1
	s_and_saveexec_b32 s56, s10
	s_cbranch_execz .LBB63_721
; %bb.720:                              ;   in Loop: Header=BB63_3 Depth=1
	ds_load_b64 v[42:43], v3 offset:8832
	v_add_nc_u32_e64 v2, 0x2000, 0
	ds_store_b64 v3, v[30:31] offset:8840
	s_wait_dscnt 0x1
	ds_store_2addr_b64 v2, v[30:31], v[42:43] offset0:16 offset1:17
.LBB63_721:                             ;   in Loop: Header=BB63_3 Depth=1
	s_or_b32 exec_lo, exec_lo, s56
	v_mov_b64_e32 v[42:43], 0
	s_wait_dscnt 0x0
	s_barrier_signal -1
	s_barrier_wait -1
	global_wb scope:SCOPE_DEV
	s_wait_storecnt 0x0
	global_inv scope:SCOPE_DEV
	s_and_saveexec_b32 s61, s6
	s_cbranch_execz .LBB63_749
; %bb.722:                              ;   in Loop: Header=BB63_3 Depth=1
	ds_load_b64 v[42:43], v72 offset:8192
	ds_load_b64 v[44:45], v63 offset:16000
	v_readlane_b32 s55, v107, 23
	s_wait_dscnt 0x0
	v_dual_mul_f32 v2, v45, v43 :: v_dual_mul_f32 v5, v44, v43
	s_delay_alu instid0(VALU_DEP_1) | instskip(NEXT) | instid1(VALU_DEP_1)
	v_dual_fma_f32 v2, v44, v42, -v2 :: v_dual_fmac_f32 v5, v45, v42
	v_dual_add_f32 v42, 0, v2 :: v_dual_add_f32 v43, 0, v5
	s_and_saveexec_b32 s56, s55
	s_cbranch_execz .LBB63_724
; %bb.723:                              ;   in Loop: Header=BB63_3 Depth=1
	ds_load_b64 v[44:45], v72 offset:8704
	ds_load_b64 v[46:47], v63 offset:16008
	s_wait_dscnt 0x0
	v_dual_mul_f32 v2, v47, v45 :: v_dual_mul_f32 v5, v46, v45
	s_delay_alu instid0(VALU_DEP_1) | instskip(NEXT) | instid1(VALU_DEP_1)
	v_dual_fma_f32 v2, v46, v44, -v2 :: v_dual_fmac_f32 v5, v47, v44
	v_dual_add_f32 v42, v42, v2 :: v_dual_add_f32 v43, v43, v5
.LBB63_724:                             ;   in Loop: Header=BB63_3 Depth=1
	s_or_b32 exec_lo, exec_lo, s56
	v_readlane_b32 s55, v107, 24
	s_and_saveexec_b32 s56, s55
	s_cbranch_execz .LBB63_726
; %bb.725:                              ;   in Loop: Header=BB63_3 Depth=1
	ds_load_b64 v[44:45], v72 offset:9216
	ds_load_b64 v[46:47], v63 offset:16016
	s_wait_dscnt 0x0
	v_dual_mul_f32 v2, v47, v45 :: v_dual_mul_f32 v5, v46, v45
	s_delay_alu instid0(VALU_DEP_1) | instskip(NEXT) | instid1(VALU_DEP_1)
	v_dual_fma_f32 v2, v46, v44, -v2 :: v_dual_fmac_f32 v5, v47, v44
	v_dual_add_f32 v42, v42, v2 :: v_dual_add_f32 v43, v43, v5
.LBB63_726:                             ;   in Loop: Header=BB63_3 Depth=1
	s_or_b32 exec_lo, exec_lo, s56
	v_readlane_b32 s55, v107, 25
	;; [unrolled: 13-line block ×10, first 2 shown]
	s_and_saveexec_b32 s56, s55
	s_cbranch_execnz .LBB63_1112
; %bb.743:                              ;   in Loop: Header=BB63_3 Depth=1
	s_or_b32 exec_lo, exec_lo, s56
	s_and_saveexec_b32 s56, s5
	s_cbranch_execnz .LBB63_1113
.LBB63_744:                             ;   in Loop: Header=BB63_3 Depth=1
	s_or_b32 exec_lo, exec_lo, s56
	s_and_saveexec_b32 s56, s16
	s_cbranch_execnz .LBB63_1114
.LBB63_745:                             ;   in Loop: Header=BB63_3 Depth=1
	s_or_b32 exec_lo, exec_lo, s56
	s_and_saveexec_b32 s56, s18
	s_cbranch_execnz .LBB63_1115
.LBB63_746:                             ;   in Loop: Header=BB63_3 Depth=1
	s_or_b32 exec_lo, exec_lo, s56
	s_and_saveexec_b32 s56, s4
	s_cbranch_execz .LBB63_748
.LBB63_747:                             ;   in Loop: Header=BB63_3 Depth=1
	ds_load_b64 v[44:45], v9 offset:15872
	ds_load_b64 v[46:47], v3 offset:16120
	s_wait_dscnt 0x0
	v_pk_mul_f32 v[98:99], v[46:47], v[44:45] op_sel:[1,1] op_sel_hi:[0,1]
	s_delay_alu instid0(VALU_DEP_1) | instskip(SKIP_1) | instid1(VALU_DEP_2)
	v_pk_fma_f32 v[100:101], v[46:47], v[44:45], v[98:99] op_sel_hi:[1,0,1]
	v_pk_fma_f32 v[44:45], v[46:47], v[44:45], v[98:99] neg_lo:[0,0,1] neg_hi:[0,0,1]
	v_mov_b32_e32 v45, v101
	s_delay_alu instid0(VALU_DEP_1)
	v_pk_add_f32 v[42:43], v[42:43], v[44:45]
.LBB63_748:                             ;   in Loop: Header=BB63_3 Depth=1
	s_or_b32 exec_lo, exec_lo, s56
.LBB63_749:                             ;   in Loop: Header=BB63_3 Depth=1
	s_delay_alu instid0(SALU_CYCLE_1)
	s_or_b32 exec_lo, exec_lo, s61
	v_readlane_b32 s55, v107, 1
	s_and_saveexec_b32 s56, s55
; %bb.750:                              ;   in Loop: Header=BB63_3 Depth=1
	v_pk_add_f32 v[44:45], v[42:43], 0 neg_lo:[1,1] neg_hi:[1,1]
	ds_store_b64 v76, v[44:45]
; %bb.751:                              ;   in Loop: Header=BB63_3 Depth=1
	s_or_b32 exec_lo, exec_lo, s56
	v_readlane_b32 s55, v107, 2
	s_wait_loadcnt_dscnt 0x0
	s_barrier_signal -1
	s_barrier_wait -1
	s_and_saveexec_b32 s56, s55
	s_cbranch_execz .LBB63_753
; %bb.752:                              ;   in Loop: Header=BB63_3 Depth=1
	ds_load_b64 v[44:45], v72 offset:7680
	ds_load_b64 v[46:47], v76
	s_wait_dscnt 0x0
	v_pk_mul_f32 v[98:99], v[46:47], v[44:45] op_sel:[1,1] op_sel_hi:[0,1]
	s_delay_alu instid0(VALU_DEP_1) | instskip(SKIP_1) | instid1(VALU_DEP_2)
	v_pk_fma_f32 v[100:101], v[46:47], v[44:45], v[98:99] op_sel_hi:[1,0,1]
	v_pk_fma_f32 v[44:45], v[46:47], v[44:45], v[98:99] neg_lo:[0,0,1] neg_hi:[0,0,1]
	v_mov_b32_e32 v45, v101
	s_delay_alu instid0(VALU_DEP_1)
	v_pk_add_f32 v[42:43], v[42:43], v[44:45] neg_lo:[0,1] neg_hi:[0,1]
.LBB63_753:                             ;   in Loop: Header=BB63_3 Depth=1
	s_or_b32 exec_lo, exec_lo, s56
	v_readlane_b32 s55, v107, 3
	s_barrier_signal -1
	s_barrier_wait -1
	s_and_saveexec_b32 s56, s55
; %bb.754:                              ;   in Loop: Header=BB63_3 Depth=1
	v_pk_add_f32 v[44:45], v[42:43], 0 neg_lo:[1,1] neg_hi:[1,1]
	ds_store_b64 v76, v[44:45]
; %bb.755:                              ;   in Loop: Header=BB63_3 Depth=1
	s_or_b32 exec_lo, exec_lo, s56
	v_readlane_b32 s55, v107, 4
	s_wait_dscnt 0x0
	s_barrier_signal -1
	s_barrier_wait -1
	s_and_saveexec_b32 s56, s55
	s_cbranch_execz .LBB63_757
; %bb.756:                              ;   in Loop: Header=BB63_3 Depth=1
	ds_load_b64 v[44:45], v72 offset:7168
	ds_load_b64 v[46:47], v76
	s_wait_dscnt 0x0
	v_pk_mul_f32 v[98:99], v[46:47], v[44:45] op_sel:[1,1] op_sel_hi:[0,1]
	s_delay_alu instid0(VALU_DEP_1) | instskip(SKIP_1) | instid1(VALU_DEP_2)
	v_pk_fma_f32 v[100:101], v[46:47], v[44:45], v[98:99] op_sel_hi:[1,0,1]
	v_pk_fma_f32 v[44:45], v[46:47], v[44:45], v[98:99] neg_lo:[0,0,1] neg_hi:[0,0,1]
	v_mov_b32_e32 v45, v101
	s_delay_alu instid0(VALU_DEP_1)
	v_pk_add_f32 v[42:43], v[42:43], v[44:45] neg_lo:[0,1] neg_hi:[0,1]
.LBB63_757:                             ;   in Loop: Header=BB63_3 Depth=1
	s_or_b32 exec_lo, exec_lo, s56
	v_readlane_b32 s55, v107, 5
	s_barrier_signal -1
	s_barrier_wait -1
	s_and_saveexec_b32 s56, s55
; %bb.758:                              ;   in Loop: Header=BB63_3 Depth=1
	v_pk_add_f32 v[44:45], v[42:43], 0 neg_lo:[1,1] neg_hi:[1,1]
	ds_store_b64 v76, v[44:45]
; %bb.759:                              ;   in Loop: Header=BB63_3 Depth=1
	s_or_b32 exec_lo, exec_lo, s56
	v_readlane_b32 s55, v107, 6
	s_wait_dscnt 0x0
	s_barrier_signal -1
	s_barrier_wait -1
	s_and_saveexec_b32 s56, s55
	s_cbranch_execz .LBB63_761
; %bb.760:                              ;   in Loop: Header=BB63_3 Depth=1
	ds_load_b64 v[44:45], v72 offset:6656
	ds_load_b64 v[46:47], v76
	s_wait_dscnt 0x0
	v_pk_mul_f32 v[98:99], v[46:47], v[44:45] op_sel:[1,1] op_sel_hi:[0,1]
	s_delay_alu instid0(VALU_DEP_1) | instskip(SKIP_1) | instid1(VALU_DEP_2)
	v_pk_fma_f32 v[100:101], v[46:47], v[44:45], v[98:99] op_sel_hi:[1,0,1]
	v_pk_fma_f32 v[44:45], v[46:47], v[44:45], v[98:99] neg_lo:[0,0,1] neg_hi:[0,0,1]
	v_mov_b32_e32 v45, v101
	s_delay_alu instid0(VALU_DEP_1)
	v_pk_add_f32 v[42:43], v[42:43], v[44:45] neg_lo:[0,1] neg_hi:[0,1]
.LBB63_761:                             ;   in Loop: Header=BB63_3 Depth=1
	s_or_b32 exec_lo, exec_lo, s56
	v_readlane_b32 s55, v107, 7
	s_barrier_signal -1
	s_barrier_wait -1
	s_and_saveexec_b32 s56, s55
; %bb.762:                              ;   in Loop: Header=BB63_3 Depth=1
	v_pk_add_f32 v[44:45], v[42:43], 0 neg_lo:[1,1] neg_hi:[1,1]
	ds_store_b64 v76, v[44:45]
; %bb.763:                              ;   in Loop: Header=BB63_3 Depth=1
	s_or_b32 exec_lo, exec_lo, s56
	s_wait_dscnt 0x0
	s_barrier_signal -1
	s_barrier_wait -1
	s_and_saveexec_b32 s56, s58
	s_cbranch_execz .LBB63_765
; %bb.764:                              ;   in Loop: Header=BB63_3 Depth=1
	ds_load_b64 v[44:45], v72 offset:6144
	ds_load_b64 v[46:47], v76
	s_wait_dscnt 0x0
	v_dual_mul_f32 v2, v47, v45 :: v_dual_mul_f32 v5, v46, v45
	s_delay_alu instid0(VALU_DEP_1) | instskip(NEXT) | instid1(VALU_DEP_1)
	v_dual_fma_f32 v2, v46, v44, -v2 :: v_dual_fmac_f32 v5, v47, v44
	v_dual_sub_f32 v42, v42, v2 :: v_dual_sub_f32 v43, v43, v5
.LBB63_765:                             ;   in Loop: Header=BB63_3 Depth=1
	s_or_b32 exec_lo, exec_lo, s56
	s_barrier_signal -1
	s_barrier_wait -1
	s_and_saveexec_b32 s56, s59
; %bb.766:                              ;   in Loop: Header=BB63_3 Depth=1
	v_pk_add_f32 v[44:45], v[42:43], 0 neg_lo:[1,1] neg_hi:[1,1]
	ds_store_b64 v76, v[44:45]
; %bb.767:                              ;   in Loop: Header=BB63_3 Depth=1
	s_or_b32 exec_lo, exec_lo, s56
	s_wait_dscnt 0x0
	s_barrier_signal -1
	s_barrier_wait -1
	s_and_saveexec_b32 s56, s20
	s_cbranch_execz .LBB63_769
; %bb.768:                              ;   in Loop: Header=BB63_3 Depth=1
	ds_load_b64 v[44:45], v72 offset:5632
	ds_load_b64 v[46:47], v76
	s_wait_dscnt 0x0
	v_dual_mul_f32 v2, v47, v45 :: v_dual_mul_f32 v99, v46, v45
	s_delay_alu instid0(VALU_DEP_1) | instskip(NEXT) | instid1(VALU_DEP_1)
	v_dual_fma_f32 v98, v46, v44, -v2 :: v_dual_fmac_f32 v99, v47, v44
	v_pk_add_f32 v[42:43], v[42:43], v[98:99] neg_lo:[0,1] neg_hi:[0,1]
.LBB63_769:                             ;   in Loop: Header=BB63_3 Depth=1
	s_or_b32 exec_lo, exec_lo, s56
	s_barrier_signal -1
	s_barrier_wait -1
	s_and_saveexec_b32 s56, s22
; %bb.770:                              ;   in Loop: Header=BB63_3 Depth=1
	v_pk_add_f32 v[44:45], v[42:43], 0 neg_lo:[1,1] neg_hi:[1,1]
	ds_store_b64 v76, v[44:45]
; %bb.771:                              ;   in Loop: Header=BB63_3 Depth=1
	s_or_b32 exec_lo, exec_lo, s56
	s_wait_dscnt 0x0
	s_barrier_signal -1
	s_barrier_wait -1
	s_and_saveexec_b32 s56, s24
	s_cbranch_execz .LBB63_773
; %bb.772:                              ;   in Loop: Header=BB63_3 Depth=1
	ds_load_b64 v[44:45], v72 offset:5120
	ds_load_b64 v[46:47], v76
	s_wait_dscnt 0x0
	v_pk_mul_f32 v[98:99], v[46:47], v[44:45] op_sel:[1,1] op_sel_hi:[0,1]
	s_delay_alu instid0(VALU_DEP_1) | instskip(SKIP_1) | instid1(VALU_DEP_2)
	v_pk_fma_f32 v[100:101], v[46:47], v[44:45], v[98:99] op_sel_hi:[1,0,1]
	v_pk_fma_f32 v[44:45], v[46:47], v[44:45], v[98:99] neg_lo:[0,0,1] neg_hi:[0,0,1]
	v_mov_b32_e32 v45, v101
	s_delay_alu instid0(VALU_DEP_1)
	v_pk_add_f32 v[42:43], v[42:43], v[44:45] neg_lo:[0,1] neg_hi:[0,1]
.LBB63_773:                             ;   in Loop: Header=BB63_3 Depth=1
	s_or_b32 exec_lo, exec_lo, s56
	s_barrier_signal -1
	s_barrier_wait -1
	s_and_saveexec_b32 s56, s26
; %bb.774:                              ;   in Loop: Header=BB63_3 Depth=1
	v_pk_add_f32 v[44:45], v[42:43], 0 neg_lo:[1,1] neg_hi:[1,1]
	ds_store_b64 v76, v[44:45]
; %bb.775:                              ;   in Loop: Header=BB63_3 Depth=1
	s_or_b32 exec_lo, exec_lo, s56
	s_wait_dscnt 0x0
	s_barrier_signal -1
	s_barrier_wait -1
	s_and_saveexec_b32 s56, s28
	s_cbranch_execz .LBB63_777
; %bb.776:                              ;   in Loop: Header=BB63_3 Depth=1
	ds_load_b64 v[44:45], v72 offset:4608
	ds_load_b64 v[46:47], v76
	s_wait_dscnt 0x0
	v_pk_mul_f32 v[98:99], v[46:47], v[44:45] op_sel:[1,1] op_sel_hi:[0,1]
	s_delay_alu instid0(VALU_DEP_1) | instskip(SKIP_1) | instid1(VALU_DEP_2)
	v_pk_fma_f32 v[100:101], v[46:47], v[44:45], v[98:99] op_sel_hi:[1,0,1]
	v_pk_fma_f32 v[44:45], v[46:47], v[44:45], v[98:99] neg_lo:[0,0,1] neg_hi:[0,0,1]
	v_mov_b32_e32 v45, v101
	s_delay_alu instid0(VALU_DEP_1)
	v_pk_add_f32 v[42:43], v[42:43], v[44:45] neg_lo:[0,1] neg_hi:[0,1]
.LBB63_777:                             ;   in Loop: Header=BB63_3 Depth=1
	;; [unrolled: 26-line block ×4, first 2 shown]
	s_or_b32 exec_lo, exec_lo, s56
	s_barrier_signal -1
	s_barrier_wait -1
	s_and_saveexec_b32 s56, s76
; %bb.786:                              ;   in Loop: Header=BB63_3 Depth=1
	v_pk_add_f32 v[44:45], v[42:43], 0 neg_lo:[1,1] neg_hi:[1,1]
	ds_store_b64 v76, v[44:45]
; %bb.787:                              ;   in Loop: Header=BB63_3 Depth=1
	s_or_b32 exec_lo, exec_lo, s56
	s_wait_dscnt 0x0
	s_barrier_signal -1
	s_barrier_wait -1
	s_and_saveexec_b32 s56, s77
	s_cbranch_execz .LBB63_789
; %bb.788:                              ;   in Loop: Header=BB63_3 Depth=1
	ds_load_b64 v[44:45], v72 offset:3072
	ds_load_b64 v[46:47], v76
	s_wait_dscnt 0x0
	v_dual_mul_f32 v2, v47, v45 :: v_dual_mul_f32 v5, v46, v45
	s_delay_alu instid0(VALU_DEP_1) | instskip(NEXT) | instid1(VALU_DEP_1)
	v_dual_fma_f32 v2, v46, v44, -v2 :: v_dual_fmac_f32 v5, v47, v44
	v_dual_sub_f32 v42, v42, v2 :: v_dual_sub_f32 v43, v43, v5
.LBB63_789:                             ;   in Loop: Header=BB63_3 Depth=1
	s_or_b32 exec_lo, exec_lo, s56
	s_barrier_signal -1
	s_barrier_wait -1
	s_and_saveexec_b32 s56, s66
; %bb.790:                              ;   in Loop: Header=BB63_3 Depth=1
	v_pk_add_f32 v[44:45], v[42:43], 0 neg_lo:[1,1] neg_hi:[1,1]
	ds_store_b64 v76, v[44:45]
; %bb.791:                              ;   in Loop: Header=BB63_3 Depth=1
	s_or_b32 exec_lo, exec_lo, s56
	s_wait_dscnt 0x0
	s_barrier_signal -1
	s_barrier_wait -1
	s_and_saveexec_b32 s56, s67
	s_cbranch_execz .LBB63_793
; %bb.792:                              ;   in Loop: Header=BB63_3 Depth=1
	ds_load_b64 v[44:45], v72 offset:2560
	ds_load_b64 v[46:47], v76
	s_wait_dscnt 0x0
	v_dual_mul_f32 v2, v47, v45 :: v_dual_mul_f32 v99, v46, v45
	s_delay_alu instid0(VALU_DEP_1) | instskip(NEXT) | instid1(VALU_DEP_1)
	v_dual_fma_f32 v98, v46, v44, -v2 :: v_dual_fmac_f32 v99, v47, v44
	v_pk_add_f32 v[42:43], v[42:43], v[98:99] neg_lo:[0,1] neg_hi:[0,1]
.LBB63_793:                             ;   in Loop: Header=BB63_3 Depth=1
	s_or_b32 exec_lo, exec_lo, s56
	s_barrier_signal -1
	s_barrier_wait -1
	s_and_saveexec_b32 s56, s21
; %bb.794:                              ;   in Loop: Header=BB63_3 Depth=1
	v_pk_add_f32 v[44:45], v[42:43], 0 neg_lo:[1,1] neg_hi:[1,1]
	ds_store_b64 v76, v[44:45]
; %bb.795:                              ;   in Loop: Header=BB63_3 Depth=1
	s_or_b32 exec_lo, exec_lo, s56
	s_wait_dscnt 0x0
	s_barrier_signal -1
	s_barrier_wait -1
	s_and_saveexec_b32 s56, s23
	s_cbranch_execz .LBB63_797
; %bb.796:                              ;   in Loop: Header=BB63_3 Depth=1
	ds_load_b64 v[44:45], v72 offset:2048
	ds_load_b64 v[46:47], v76
	s_wait_dscnt 0x0
	v_pk_mul_f32 v[98:99], v[46:47], v[44:45] op_sel:[1,1] op_sel_hi:[0,1]
	s_delay_alu instid0(VALU_DEP_1) | instskip(SKIP_1) | instid1(VALU_DEP_2)
	v_pk_fma_f32 v[100:101], v[46:47], v[44:45], v[98:99] op_sel_hi:[1,0,1]
	v_pk_fma_f32 v[44:45], v[46:47], v[44:45], v[98:99] neg_lo:[0,0,1] neg_hi:[0,0,1]
	v_mov_b32_e32 v45, v101
	s_delay_alu instid0(VALU_DEP_1)
	v_pk_add_f32 v[42:43], v[42:43], v[44:45] neg_lo:[0,1] neg_hi:[0,1]
.LBB63_797:                             ;   in Loop: Header=BB63_3 Depth=1
	s_or_b32 exec_lo, exec_lo, s56
	s_barrier_signal -1
	s_barrier_wait -1
	s_and_saveexec_b32 s56, s25
; %bb.798:                              ;   in Loop: Header=BB63_3 Depth=1
	v_pk_add_f32 v[44:45], v[42:43], 0 neg_lo:[1,1] neg_hi:[1,1]
	ds_store_b64 v76, v[44:45]
; %bb.799:                              ;   in Loop: Header=BB63_3 Depth=1
	s_or_b32 exec_lo, exec_lo, s56
	s_wait_dscnt 0x0
	s_barrier_signal -1
	s_barrier_wait -1
	s_and_saveexec_b32 s56, s27
	s_cbranch_execz .LBB63_801
; %bb.800:                              ;   in Loop: Header=BB63_3 Depth=1
	ds_load_b64 v[44:45], v72 offset:1536
	ds_load_b64 v[46:47], v76
	s_wait_dscnt 0x0
	v_pk_mul_f32 v[98:99], v[46:47], v[44:45] op_sel:[1,1] op_sel_hi:[0,1]
	s_delay_alu instid0(VALU_DEP_1) | instskip(SKIP_1) | instid1(VALU_DEP_2)
	v_pk_fma_f32 v[100:101], v[46:47], v[44:45], v[98:99] op_sel_hi:[1,0,1]
	v_pk_fma_f32 v[44:45], v[46:47], v[44:45], v[98:99] neg_lo:[0,0,1] neg_hi:[0,0,1]
	v_mov_b32_e32 v45, v101
	s_delay_alu instid0(VALU_DEP_1)
	v_pk_add_f32 v[42:43], v[42:43], v[44:45] neg_lo:[0,1] neg_hi:[0,1]
.LBB63_801:                             ;   in Loop: Header=BB63_3 Depth=1
	;; [unrolled: 26-line block ×4, first 2 shown]
	s_or_b32 exec_lo, exec_lo, s56
	s_barrier_signal -1
	s_barrier_wait -1
	s_and_saveexec_b32 s56, s50
; %bb.810:                              ;   in Loop: Header=BB63_3 Depth=1
	v_pk_add_f32 v[44:45], v[42:43], 0 neg_lo:[1,1] neg_hi:[1,1]
	ds_store_b64 v76, v[44:45]
; %bb.811:                              ;   in Loop: Header=BB63_3 Depth=1
	s_or_b32 exec_lo, exec_lo, s56
	s_wait_dscnt 0x0
	s_barrier_signal -1
	s_barrier_wait -1
	s_barrier_signal -1
	s_barrier_wait -1
	s_and_saveexec_b32 s56, s6
; %bb.812:                              ;   in Loop: Header=BB63_3 Depth=1
	ds_store_b64 v77, v[42:43] offset:15872
; %bb.813:                              ;   in Loop: Header=BB63_3 Depth=1
	s_or_b32 exec_lo, exec_lo, s56
	s_wait_dscnt 0x0
	s_barrier_signal -1
	s_barrier_wait -1
	s_barrier_signal -1
	s_barrier_wait -1
	s_and_saveexec_b32 s60, s52
	s_cbranch_execz .LBB63_815
; %bb.814:                              ;   in Loop: Header=BB63_3 Depth=1
	ds_load_b64 v[42:43], v49 offset:8192
	s_wait_dscnt 0x0
	ds_store_b64 v50, v[42:43] offset:128
	ds_load_b64 v[42:43], v49 offset:8200
	s_wait_dscnt 0x0
	ds_store_b64 v50, v[42:43] offset:640
	ds_load_b64 v[42:43], v49 offset:8208
	s_wait_dscnt 0x0
	ds_store_b64 v50, v[42:43] offset:1152
	ds_load_b64 v[42:43], v49 offset:8216
	s_wait_dscnt 0x0
	ds_store_b64 v50, v[42:43] offset:1664
	ds_load_b64 v[42:43], v49 offset:8224
	s_wait_dscnt 0x0
	ds_store_b64 v50, v[42:43] offset:2176
	ds_load_b64 v[42:43], v49 offset:8232
	s_wait_dscnt 0x0
	ds_store_b64 v50, v[42:43] offset:2688
	ds_load_b64 v[42:43], v49 offset:8240
	s_wait_dscnt 0x0
	ds_store_b64 v50, v[42:43] offset:3200
	ds_load_b64 v[42:43], v49 offset:8248
	s_wait_dscnt 0x0
	ds_store_b64 v50, v[42:43] offset:3712
	ds_load_b64 v[42:43], v49 offset:8256
	s_wait_dscnt 0x0
	ds_store_b64 v50, v[42:43] offset:4224
	ds_load_b64 v[42:43], v49 offset:8264
	s_wait_dscnt 0x0
	ds_store_b64 v50, v[42:43] offset:4736
	ds_load_b64 v[42:43], v49 offset:8272
	s_wait_dscnt 0x0
	ds_store_b64 v50, v[42:43] offset:5248
	ds_load_b64 v[42:43], v49 offset:8280
	s_wait_dscnt 0x0
	ds_store_b64 v50, v[42:43] offset:5760
	ds_load_b64 v[42:43], v49 offset:8288
	s_wait_dscnt 0x0
	ds_store_b64 v50, v[42:43] offset:6272
	ds_load_b64 v[42:43], v49 offset:8296
	s_wait_dscnt 0x0
	ds_store_b64 v50, v[42:43] offset:6784
	ds_load_b64 v[42:43], v49 offset:8304
	s_wait_dscnt 0x0
	ds_store_b64 v50, v[42:43] offset:7296
	ds_load_b64 v[42:43], v49 offset:8312
	s_wait_dscnt 0x0
	ds_store_b64 v50, v[42:43] offset:7808
.LBB63_815:                             ;   in Loop: Header=BB63_3 Depth=1
	s_or_b32 exec_lo, exec_lo, s60
	s_wait_dscnt 0x0
	s_barrier_signal -1
	s_barrier_wait -1
	s_and_saveexec_b32 s56, s10
	s_cbranch_execz .LBB63_817
; %bb.816:                              ;   in Loop: Header=BB63_3 Depth=1
	ds_load_b64 v[42:43], v3 offset:7792
	v_add_nc_u32_e64 v2, 0x1800, 0
	ds_store_b64 v3, v[30:31] offset:7800
	s_wait_dscnt 0x1
	ds_store_2addr_b64 v2, v[30:31], v[42:43] offset0:142 offset1:143
.LBB63_817:                             ;   in Loop: Header=BB63_3 Depth=1
	s_or_b32 exec_lo, exec_lo, s56
	v_dual_mov_b32 v42, 0 :: v_dual_mov_b32 v43, 0
	s_wait_dscnt 0x0
	s_barrier_signal -1
	s_barrier_wait -1
	global_wb scope:SCOPE_DEV
	s_wait_storecnt 0x0
	global_inv scope:SCOPE_DEV
	s_and_saveexec_b32 s60, s2
	s_cbranch_execz .LBB63_821
; %bb.818:                              ;   in Loop: Header=BB63_3 Depth=1
	ds_load_b64 v[42:43], v66 offset:7264
	ds_load_b64 v[44:45], v56 offset:7792
	s_wait_dscnt 0x0
	v_pk_mul_f32 v[46:47], v[44:45], v[42:43] op_sel:[1,1] op_sel_hi:[0,1]
	s_delay_alu instid0(VALU_DEP_1) | instskip(SKIP_1) | instid1(VALU_DEP_2)
	v_pk_fma_f32 v[98:99], v[44:45], v[42:43], v[46:47] op_sel_hi:[1,0,1]
	v_pk_fma_f32 v[42:43], v[44:45], v[42:43], v[46:47] neg_lo:[0,0,1] neg_hi:[0,0,1]
	v_mov_b32_e32 v43, v99
	s_delay_alu instid0(VALU_DEP_1)
	v_pk_add_f32 v[42:43], v[42:43], 0 op_sel_hi:[1,0]
	s_and_saveexec_b32 s56, s12
	s_cbranch_execz .LBB63_820
; %bb.819:                              ;   in Loop: Header=BB63_3 Depth=1
	ds_load_b64 v[44:45], v9 offset:7776
	ds_load_b64 v[46:47], v3 offset:7800
	s_wait_dscnt 0x0
	v_pk_mul_f32 v[98:99], v[46:47], v[44:45] op_sel:[1,1] op_sel_hi:[0,1]
	s_delay_alu instid0(VALU_DEP_1) | instskip(SKIP_1) | instid1(VALU_DEP_2)
	v_pk_fma_f32 v[100:101], v[46:47], v[44:45], v[98:99] op_sel_hi:[1,0,1]
	v_pk_fma_f32 v[44:45], v[46:47], v[44:45], v[98:99] neg_lo:[0,0,1] neg_hi:[0,0,1]
	v_mov_b32_e32 v45, v101
	s_delay_alu instid0(VALU_DEP_1)
	v_pk_add_f32 v[42:43], v[42:43], v[44:45]
.LBB63_820:                             ;   in Loop: Header=BB63_3 Depth=1
	s_or_b32 exec_lo, exec_lo, s56
.LBB63_821:                             ;   in Loop: Header=BB63_3 Depth=1
	s_delay_alu instid0(SALU_CYCLE_1)
	s_or_b32 exec_lo, exec_lo, s60
	s_and_saveexec_b32 s56, s92
; %bb.822:                              ;   in Loop: Header=BB63_3 Depth=1
	s_delay_alu instid0(VALU_DEP_1)
	v_pk_add_f32 v[44:45], v[42:43], 0 neg_lo:[1,1] neg_hi:[1,1]
	ds_store_b64 v67, v[44:45]
; %bb.823:                              ;   in Loop: Header=BB63_3 Depth=1
	s_or_b32 exec_lo, exec_lo, s56
	s_wait_loadcnt_dscnt 0x0
	s_barrier_signal -1
	s_barrier_wait -1
	s_and_saveexec_b32 s56, s93
	s_cbranch_execz .LBB63_825
; %bb.824:                              ;   in Loop: Header=BB63_3 Depth=1
	ds_load_b64 v[44:45], v3 offset:6752
	ds_load_b64 v[46:47], v67
	s_wait_dscnt 0x0
	v_pk_mul_f32 v[98:99], v[46:47], v[44:45] op_sel_hi:[1,0]
	s_delay_alu instid0(VALU_DEP_1) | instskip(SKIP_1) | instid1(VALU_DEP_2)
	v_pk_fma_f32 v[100:101], v[46:47], v[44:45], v[98:99] op_sel:[1,1,0] op_sel_hi:[0,1,1]
	v_pk_fma_f32 v[44:45], v[46:47], v[44:45], v[98:99] op_sel:[1,1,0] op_sel_hi:[0,1,1] neg_lo:[0,0,1] neg_hi:[0,0,1]
	v_pk_add_f32 v[46:47], v[42:43], v[100:101] neg_lo:[0,1] neg_hi:[0,1]
	s_delay_alu instid0(VALU_DEP_2) | instskip(NEXT) | instid1(VALU_DEP_2)
	v_pk_add_f32 v[42:43], v[42:43], v[44:45]
	v_mov_b32_e32 v43, v47
.LBB63_825:                             ;   in Loop: Header=BB63_3 Depth=1
	s_or_b32 exec_lo, exec_lo, s56
	s_barrier_signal -1
	s_barrier_wait -1
	s_and_saveexec_b32 s56, s93
; %bb.826:                              ;   in Loop: Header=BB63_3 Depth=1
	v_pk_add_f32 v[44:45], v[42:43], 0 neg_lo:[1,1] neg_hi:[1,1]
	ds_store_b64 v67, v[44:45]
; %bb.827:                              ;   in Loop: Header=BB63_3 Depth=1
	s_or_b32 exec_lo, exec_lo, s56
	s_wait_dscnt 0x0
	s_barrier_signal -1
	s_barrier_wait -1
	s_barrier_signal -1
	s_barrier_wait -1
	s_and_saveexec_b32 s56, s2
; %bb.828:                              ;   in Loop: Header=BB63_3 Depth=1
	ds_store_b64 v69, v[42:43] offset:7776
; %bb.829:                              ;   in Loop: Header=BB63_3 Depth=1
	s_or_b32 exec_lo, exec_lo, s56
	s_wait_dscnt 0x0
	s_barrier_signal -1
	s_barrier_wait -1
	s_barrier_signal -1
	s_barrier_wait -1
	s_and_saveexec_b32 s56, s94
	s_cbranch_execz .LBB63_831
; %bb.830:                              ;   in Loop: Header=BB63_3 Depth=1
	ds_load_b64 v[42:43], v49 offset:7264
	s_wait_dscnt 0x0
	ds_store_b64 v9, v[42:43] offset:6256
	ds_load_b64 v[42:43], v49 offset:7272
	s_wait_dscnt 0x0
	ds_store_b64 v9, v[42:43] offset:6768
.LBB63_831:                             ;   in Loop: Header=BB63_3 Depth=1
	s_or_b32 exec_lo, exec_lo, s56
	s_wait_dscnt 0x0
	s_barrier_signal -1
	s_barrier_wait -1
	s_and_saveexec_b32 s56, s10
	s_cbranch_execz .LBB63_833
; %bb.832:                              ;   in Loop: Header=BB63_3 Depth=1
	ds_load_b64 v[42:43], v3 offset:6752
	v_add_nc_u32_e64 v2, 0x1800, 0
	ds_store_b64 v3, v[30:31] offset:6760
	s_wait_dscnt 0x1
	ds_store_2addr_b64 v2, v[30:31], v[42:43] offset0:12 offset1:13
.LBB63_833:                             ;   in Loop: Header=BB63_3 Depth=1
	s_or_b32 exec_lo, exec_lo, s56
	v_mov_b64_e32 v[42:43], 0
	s_wait_dscnt 0x0
	s_barrier_signal -1
	s_barrier_wait -1
	global_wb scope:SCOPE_DEV
	s_wait_storecnt 0x0
	global_inv scope:SCOPE_DEV
	s_and_saveexec_b32 s60, s4
	s_cbranch_execz .LBB63_839
; %bb.834:                              ;   in Loop: Header=BB63_3 Depth=1
	ds_load_b64 v[42:43], v68 offset:6208
	ds_load_b64 v[44:45], v57 offset:7776
	s_wait_dscnt 0x0
	v_dual_mul_f32 v2, v45, v43 :: v_dual_mul_f32 v5, v44, v43
	s_delay_alu instid0(VALU_DEP_1) | instskip(NEXT) | instid1(VALU_DEP_1)
	v_dual_fma_f32 v2, v44, v42, -v2 :: v_dual_fmac_f32 v5, v45, v42
	v_dual_add_f32 v42, 0, v2 :: v_dual_add_f32 v43, 0, v5
	s_and_saveexec_b32 s56, s13
	s_cbranch_execnz .LBB63_1116
; %bb.835:                              ;   in Loop: Header=BB63_3 Depth=1
	s_or_b32 exec_lo, exec_lo, s56
	s_and_saveexec_b32 s56, s14
	s_cbranch_execnz .LBB63_1117
.LBB63_836:                             ;   in Loop: Header=BB63_3 Depth=1
	s_or_b32 exec_lo, exec_lo, s56
	s_and_saveexec_b32 s56, s2
	s_cbranch_execz .LBB63_838
.LBB63_837:                             ;   in Loop: Header=BB63_3 Depth=1
	ds_load_b64 v[44:45], v50 offset:7744
	ds_load_b64 v[46:47], v3 offset:7800
	s_wait_dscnt 0x0
	v_pk_mul_f32 v[98:99], v[46:47], v[44:45] op_sel:[1,1] op_sel_hi:[0,1]
	s_delay_alu instid0(VALU_DEP_1) | instskip(SKIP_1) | instid1(VALU_DEP_2)
	v_pk_fma_f32 v[100:101], v[46:47], v[44:45], v[98:99] op_sel_hi:[1,0,1]
	v_pk_fma_f32 v[44:45], v[46:47], v[44:45], v[98:99] neg_lo:[0,0,1] neg_hi:[0,0,1]
	v_mov_b32_e32 v45, v101
	s_delay_alu instid0(VALU_DEP_1)
	v_pk_add_f32 v[42:43], v[42:43], v[44:45]
.LBB63_838:                             ;   in Loop: Header=BB63_3 Depth=1
	s_or_b32 exec_lo, exec_lo, s56
.LBB63_839:                             ;   in Loop: Header=BB63_3 Depth=1
	s_delay_alu instid0(SALU_CYCLE_1)
	s_or_b32 exec_lo, exec_lo, s60
	s_and_saveexec_b32 s56, s95
; %bb.840:                              ;   in Loop: Header=BB63_3 Depth=1
	s_delay_alu instid0(VALU_DEP_1)
	v_pk_add_f32 v[44:45], v[42:43], 0 neg_lo:[1,1] neg_hi:[1,1]
	ds_store_b64 v71, v[44:45]
; %bb.841:                              ;   in Loop: Header=BB63_3 Depth=1
	s_or_b32 exec_lo, exec_lo, s56
	s_wait_loadcnt_dscnt 0x0
	s_barrier_signal -1
	s_barrier_wait -1
	s_and_saveexec_b32 s56, s96
	s_cbranch_execz .LBB63_843
; %bb.842:                              ;   in Loop: Header=BB63_3 Depth=1
	ds_load_b64 v[44:45], v68 offset:5696
	ds_load_b64 v[46:47], v71
	s_wait_dscnt 0x0
	v_pk_mul_f32 v[98:99], v[46:47], v[44:45] op_sel:[1,1] op_sel_hi:[0,1]
	s_delay_alu instid0(VALU_DEP_1) | instskip(SKIP_1) | instid1(VALU_DEP_2)
	v_pk_fma_f32 v[100:101], v[46:47], v[44:45], v[98:99] op_sel_hi:[1,0,1]
	v_pk_fma_f32 v[44:45], v[46:47], v[44:45], v[98:99] neg_lo:[0,0,1] neg_hi:[0,0,1]
	v_mov_b32_e32 v45, v101
	s_delay_alu instid0(VALU_DEP_1)
	v_pk_add_f32 v[42:43], v[42:43], v[44:45] neg_lo:[0,1] neg_hi:[0,1]
.LBB63_843:                             ;   in Loop: Header=BB63_3 Depth=1
	s_or_b32 exec_lo, exec_lo, s56
	s_barrier_signal -1
	s_barrier_wait -1
	s_and_saveexec_b32 s56, s97
; %bb.844:                              ;   in Loop: Header=BB63_3 Depth=1
	v_pk_add_f32 v[44:45], v[42:43], 0 neg_lo:[1,1] neg_hi:[1,1]
	ds_store_b64 v71, v[44:45]
; %bb.845:                              ;   in Loop: Header=BB63_3 Depth=1
	s_or_b32 exec_lo, exec_lo, s56
	s_wait_dscnt 0x0
	s_barrier_signal -1
	s_barrier_wait -1
	s_and_saveexec_b32 s56, s98
	s_cbranch_execz .LBB63_847
; %bb.846:                              ;   in Loop: Header=BB63_3 Depth=1
	ds_load_b64 v[44:45], v68 offset:5184
	ds_load_b64 v[46:47], v71
	s_wait_dscnt 0x0
	v_pk_mul_f32 v[98:99], v[46:47], v[44:45] op_sel:[1,1] op_sel_hi:[0,1]
	s_delay_alu instid0(VALU_DEP_1) | instskip(SKIP_1) | instid1(VALU_DEP_2)
	v_pk_fma_f32 v[100:101], v[46:47], v[44:45], v[98:99] op_sel_hi:[1,0,1]
	v_pk_fma_f32 v[44:45], v[46:47], v[44:45], v[98:99] neg_lo:[0,0,1] neg_hi:[0,0,1]
	v_mov_b32_e32 v45, v101
	s_delay_alu instid0(VALU_DEP_1)
	v_pk_add_f32 v[42:43], v[42:43], v[44:45] neg_lo:[0,1] neg_hi:[0,1]
.LBB63_847:                             ;   in Loop: Header=BB63_3 Depth=1
	s_or_b32 exec_lo, exec_lo, s56
	s_barrier_signal -1
	s_barrier_wait -1
	s_and_saveexec_b32 s56, s99
; %bb.848:                              ;   in Loop: Header=BB63_3 Depth=1
	v_pk_add_f32 v[44:45], v[42:43], 0 neg_lo:[1,1] neg_hi:[1,1]
	ds_store_b64 v71, v[44:45]
; %bb.849:                              ;   in Loop: Header=BB63_3 Depth=1
	s_or_b32 exec_lo, exec_lo, s56
	s_wait_dscnt 0x0
	;; [unrolled: 26-line block ×3, first 2 shown]
	s_barrier_signal -1
	s_barrier_wait -1
	s_barrier_signal -1
	s_barrier_wait -1
	s_and_saveexec_b32 s56, s4
; %bb.854:                              ;   in Loop: Header=BB63_3 Depth=1
	ds_store_b64 v73, v[42:43] offset:7744
; %bb.855:                              ;   in Loop: Header=BB63_3 Depth=1
	s_or_b32 exec_lo, exec_lo, s56
	s_wait_dscnt 0x0
	s_barrier_signal -1
	s_barrier_wait -1
	s_barrier_signal -1
	s_barrier_wait -1
	s_and_saveexec_b32 s56, s101
	s_cbranch_execz .LBB63_857
; %bb.856:                              ;   in Loop: Header=BB63_3 Depth=1
	ds_load_b64 v[42:43], v51 offset:6208
	s_wait_dscnt 0x0
	ds_store_b64 v52, v[42:43] offset:4192
	ds_load_b64 v[42:43], v51 offset:6216
	s_wait_dscnt 0x0
	ds_store_b64 v52, v[42:43] offset:4704
	;; [unrolled: 3-line block ×4, first 2 shown]
.LBB63_857:                             ;   in Loop: Header=BB63_3 Depth=1
	s_or_b32 exec_lo, exec_lo, s56
	s_wait_dscnt 0x0
	s_barrier_signal -1
	s_barrier_wait -1
	s_and_saveexec_b32 s56, s10
	s_cbranch_execz .LBB63_859
; %bb.858:                              ;   in Loop: Header=BB63_3 Depth=1
	ds_load_b64 v[42:43], v3 offset:5712
	v_add_nc_u32_e64 v2, 0x1000, 0
	ds_store_b64 v3, v[30:31] offset:5720
	s_wait_dscnt 0x1
	ds_store_2addr_b64 v2, v[30:31], v[42:43] offset0:138 offset1:139
.LBB63_859:                             ;   in Loop: Header=BB63_3 Depth=1
	s_or_b32 exec_lo, exec_lo, s56
	v_dual_mov_b32 v42, 0 :: v_dual_mov_b32 v43, 0
	s_wait_dscnt 0x0
	s_barrier_signal -1
	s_barrier_wait -1
	global_wb scope:SCOPE_DEV
	s_wait_storecnt 0x0
	global_inv scope:SCOPE_DEV
	s_and_saveexec_b32 s60, s2
	s_cbranch_execz .LBB63_863
; %bb.860:                              ;   in Loop: Header=BB63_3 Depth=1
	ds_load_b64 v[42:43], v66 offset:5184
	ds_load_b64 v[44:45], v56 offset:5712
	s_wait_dscnt 0x0
	v_pk_mul_f32 v[46:47], v[44:45], v[42:43] op_sel:[1,1] op_sel_hi:[0,1]
	s_delay_alu instid0(VALU_DEP_1) | instskip(SKIP_1) | instid1(VALU_DEP_2)
	v_pk_fma_f32 v[98:99], v[44:45], v[42:43], v[46:47] op_sel_hi:[1,0,1]
	v_pk_fma_f32 v[42:43], v[44:45], v[42:43], v[46:47] neg_lo:[0,0,1] neg_hi:[0,0,1]
	v_mov_b32_e32 v43, v99
	s_delay_alu instid0(VALU_DEP_1)
	v_pk_add_f32 v[42:43], v[42:43], 0 op_sel_hi:[1,0]
	s_and_saveexec_b32 s56, s12
	s_cbranch_execz .LBB63_862
; %bb.861:                              ;   in Loop: Header=BB63_3 Depth=1
	ds_load_b64 v[44:45], v52 offset:5696
	ds_load_b64 v[46:47], v3 offset:5720
	s_wait_dscnt 0x0
	v_pk_mul_f32 v[98:99], v[46:47], v[44:45] op_sel:[1,1] op_sel_hi:[0,1]
	s_delay_alu instid0(VALU_DEP_1) | instskip(SKIP_1) | instid1(VALU_DEP_2)
	v_pk_fma_f32 v[100:101], v[46:47], v[44:45], v[98:99] op_sel_hi:[1,0,1]
	v_pk_fma_f32 v[44:45], v[46:47], v[44:45], v[98:99] neg_lo:[0,0,1] neg_hi:[0,0,1]
	v_mov_b32_e32 v45, v101
	s_delay_alu instid0(VALU_DEP_1)
	v_pk_add_f32 v[42:43], v[42:43], v[44:45]
.LBB63_862:                             ;   in Loop: Header=BB63_3 Depth=1
	s_or_b32 exec_lo, exec_lo, s56
.LBB63_863:                             ;   in Loop: Header=BB63_3 Depth=1
	s_delay_alu instid0(SALU_CYCLE_1)
	s_or_b32 exec_lo, exec_lo, s60
	s_and_saveexec_b32 s56, s92
; %bb.864:                              ;   in Loop: Header=BB63_3 Depth=1
	s_delay_alu instid0(VALU_DEP_1)
	v_pk_add_f32 v[44:45], v[42:43], 0 neg_lo:[1,1] neg_hi:[1,1]
	ds_store_b64 v67, v[44:45]
; %bb.865:                              ;   in Loop: Header=BB63_3 Depth=1
	s_or_b32 exec_lo, exec_lo, s56
	s_wait_loadcnt_dscnt 0x0
	s_barrier_signal -1
	s_barrier_wait -1
	s_and_saveexec_b32 s56, s93
	s_cbranch_execz .LBB63_867
; %bb.866:                              ;   in Loop: Header=BB63_3 Depth=1
	ds_load_b64 v[44:45], v3 offset:4672
	ds_load_b64 v[46:47], v67
	s_wait_dscnt 0x0
	v_pk_mul_f32 v[98:99], v[46:47], v[44:45] op_sel_hi:[1,0]
	s_delay_alu instid0(VALU_DEP_1) | instskip(SKIP_1) | instid1(VALU_DEP_2)
	v_pk_fma_f32 v[100:101], v[46:47], v[44:45], v[98:99] op_sel:[1,1,0] op_sel_hi:[0,1,1]
	v_pk_fma_f32 v[44:45], v[46:47], v[44:45], v[98:99] op_sel:[1,1,0] op_sel_hi:[0,1,1] neg_lo:[0,0,1] neg_hi:[0,0,1]
	v_pk_add_f32 v[46:47], v[42:43], v[100:101] neg_lo:[0,1] neg_hi:[0,1]
	s_delay_alu instid0(VALU_DEP_2) | instskip(NEXT) | instid1(VALU_DEP_2)
	v_pk_add_f32 v[42:43], v[42:43], v[44:45]
	v_mov_b32_e32 v43, v47
.LBB63_867:                             ;   in Loop: Header=BB63_3 Depth=1
	s_or_b32 exec_lo, exec_lo, s56
	s_barrier_signal -1
	s_barrier_wait -1
	s_and_saveexec_b32 s56, s93
; %bb.868:                              ;   in Loop: Header=BB63_3 Depth=1
	v_pk_add_f32 v[44:45], v[42:43], 0 neg_lo:[1,1] neg_hi:[1,1]
	ds_store_b64 v67, v[44:45]
; %bb.869:                              ;   in Loop: Header=BB63_3 Depth=1
	s_or_b32 exec_lo, exec_lo, s56
	s_wait_dscnt 0x0
	s_barrier_signal -1
	s_barrier_wait -1
	s_barrier_signal -1
	s_barrier_wait -1
	s_and_saveexec_b32 s56, s2
; %bb.870:                              ;   in Loop: Header=BB63_3 Depth=1
	ds_store_b64 v69, v[42:43] offset:5696
; %bb.871:                              ;   in Loop: Header=BB63_3 Depth=1
	s_or_b32 exec_lo, exec_lo, s56
	s_wait_dscnt 0x0
	s_barrier_signal -1
	s_barrier_wait -1
	s_barrier_signal -1
	s_barrier_wait -1
	s_and_saveexec_b32 s56, s94
	s_cbranch_execz .LBB63_873
; %bb.872:                              ;   in Loop: Header=BB63_3 Depth=1
	ds_load_b64 v[42:43], v53 offset:5184
	s_wait_dscnt 0x0
	ds_store_b64 v52, v[42:43] offset:4176
	ds_load_b64 v[42:43], v53 offset:5192
	s_wait_dscnt 0x0
	ds_store_b64 v52, v[42:43] offset:4688
.LBB63_873:                             ;   in Loop: Header=BB63_3 Depth=1
	s_or_b32 exec_lo, exec_lo, s56
	s_wait_dscnt 0x0
	s_barrier_signal -1
	s_barrier_wait -1
	s_and_saveexec_b32 s56, s10
	s_cbranch_execz .LBB63_875
; %bb.874:                              ;   in Loop: Header=BB63_3 Depth=1
	ds_load_b64 v[42:43], v3 offset:4672
	v_add_nc_u32_e64 v2, 0x1000, 0
	ds_store_b64 v3, v[30:31] offset:4680
	s_wait_dscnt 0x1
	ds_store_2addr_b64 v2, v[30:31], v[42:43] offset0:8 offset1:9
.LBB63_875:                             ;   in Loop: Header=BB63_3 Depth=1
	s_or_b32 exec_lo, exec_lo, s56
	v_mov_b64_e32 v[42:43], 0
	s_wait_dscnt 0x0
	s_barrier_signal -1
	s_barrier_wait -1
	global_wb scope:SCOPE_DEV
	s_wait_storecnt 0x0
	global_inv scope:SCOPE_DEV
	s_and_saveexec_b32 s60, s5
	s_cbranch_execz .LBB63_885
; %bb.876:                              ;   in Loop: Header=BB63_3 Depth=1
	ds_load_b64 v[42:43], v70 offset:4096
	ds_load_b64 v[44:45], v61 offset:7744
	s_wait_dscnt 0x0
	v_dual_mul_f32 v2, v45, v43 :: v_dual_mul_f32 v5, v44, v43
	s_delay_alu instid0(VALU_DEP_1) | instskip(NEXT) | instid1(VALU_DEP_1)
	v_dual_fma_f32 v2, v44, v42, -v2 :: v_dual_fmac_f32 v5, v45, v42
	v_dual_add_f32 v42, 0, v2 :: v_dual_add_f32 v43, 0, v5
	s_and_saveexec_b32 s56, s15
	s_cbranch_execnz .LBB63_1118
; %bb.877:                              ;   in Loop: Header=BB63_3 Depth=1
	s_or_b32 exec_lo, exec_lo, s56
	s_and_saveexec_b32 s56, s16
	s_cbranch_execnz .LBB63_1119
.LBB63_878:                             ;   in Loop: Header=BB63_3 Depth=1
	s_or_b32 exec_lo, exec_lo, s56
	s_and_saveexec_b32 s56, s17
	s_cbranch_execnz .LBB63_1120
.LBB63_879:                             ;   in Loop: Header=BB63_3 Depth=1
	s_or_b32 exec_lo, exec_lo, s56
	s_and_saveexec_b32 s56, s18
	s_cbranch_execnz .LBB63_1121
.LBB63_880:                             ;   in Loop: Header=BB63_3 Depth=1
	s_or_b32 exec_lo, exec_lo, s56
	s_and_saveexec_b32 s56, s19
	s_cbranch_execnz .LBB63_1122
.LBB63_881:                             ;   in Loop: Header=BB63_3 Depth=1
	s_or_b32 exec_lo, exec_lo, s56
	s_and_saveexec_b32 s56, s4
	s_cbranch_execnz .LBB63_1123
.LBB63_882:                             ;   in Loop: Header=BB63_3 Depth=1
	s_or_b32 exec_lo, exec_lo, s56
	s_and_saveexec_b32 s56, s14
	s_cbranch_execz .LBB63_884
.LBB63_883:                             ;   in Loop: Header=BB63_3 Depth=1
	ds_load_b64 v[44:45], v54 offset:7680
	ds_load_b64 v[46:47], v3 offset:7800
	s_wait_dscnt 0x0
	v_pk_mul_f32 v[98:99], v[46:47], v[44:45] op_sel:[1,1] op_sel_hi:[0,1]
	s_delay_alu instid0(VALU_DEP_1) | instskip(SKIP_1) | instid1(VALU_DEP_2)
	v_pk_fma_f32 v[100:101], v[46:47], v[44:45], v[98:99] op_sel_hi:[1,0,1]
	v_pk_fma_f32 v[44:45], v[46:47], v[44:45], v[98:99] neg_lo:[0,0,1] neg_hi:[0,0,1]
	v_mov_b32_e32 v45, v101
	s_delay_alu instid0(VALU_DEP_1)
	v_pk_add_f32 v[42:43], v[42:43], v[44:45]
.LBB63_884:                             ;   in Loop: Header=BB63_3 Depth=1
	s_or_b32 exec_lo, exec_lo, s56
.LBB63_885:                             ;   in Loop: Header=BB63_3 Depth=1
	s_delay_alu instid0(SALU_CYCLE_1)
	s_or_b32 exec_lo, exec_lo, s60
	s_and_saveexec_b32 s56, s102
; %bb.886:                              ;   in Loop: Header=BB63_3 Depth=1
	s_delay_alu instid0(VALU_DEP_1)
	v_pk_add_f32 v[44:45], v[42:43], 0 neg_lo:[1,1] neg_hi:[1,1]
	ds_store_b64 v74, v[44:45]
; %bb.887:                              ;   in Loop: Header=BB63_3 Depth=1
	s_or_b32 exec_lo, exec_lo, s56
	s_wait_loadcnt_dscnt 0x0
	s_barrier_signal -1
	s_barrier_wait -1
	s_and_saveexec_b32 s56, s103
	s_cbranch_execz .LBB63_889
; %bb.888:                              ;   in Loop: Header=BB63_3 Depth=1
	ds_load_b64 v[44:45], v70 offset:3584
	ds_load_b64 v[46:47], v74
	s_wait_dscnt 0x0
	v_pk_mul_f32 v[98:99], v[46:47], v[44:45] op_sel:[1,1] op_sel_hi:[0,1]
	s_delay_alu instid0(VALU_DEP_1) | instskip(SKIP_1) | instid1(VALU_DEP_2)
	v_pk_fma_f32 v[100:101], v[46:47], v[44:45], v[98:99] op_sel_hi:[1,0,1]
	v_pk_fma_f32 v[44:45], v[46:47], v[44:45], v[98:99] neg_lo:[0,0,1] neg_hi:[0,0,1]
	v_mov_b32_e32 v45, v101
	s_delay_alu instid0(VALU_DEP_1)
	v_pk_add_f32 v[42:43], v[42:43], v[44:45] neg_lo:[0,1] neg_hi:[0,1]
.LBB63_889:                             ;   in Loop: Header=BB63_3 Depth=1
	s_or_b32 exec_lo, exec_lo, s56
	s_barrier_signal -1
	s_barrier_wait -1
	s_and_saveexec_b32 s56, s104
; %bb.890:                              ;   in Loop: Header=BB63_3 Depth=1
	v_pk_add_f32 v[44:45], v[42:43], 0 neg_lo:[1,1] neg_hi:[1,1]
	ds_store_b64 v74, v[44:45]
; %bb.891:                              ;   in Loop: Header=BB63_3 Depth=1
	s_or_b32 exec_lo, exec_lo, s56
	s_wait_dscnt 0x0
	s_barrier_signal -1
	s_barrier_wait -1
	s_and_saveexec_b32 s56, vcc_hi
	s_cbranch_execz .LBB63_893
; %bb.892:                              ;   in Loop: Header=BB63_3 Depth=1
	ds_load_b64 v[44:45], v70 offset:3072
	ds_load_b64 v[46:47], v74
	s_wait_dscnt 0x0
	v_dual_mul_f32 v2, v47, v45 :: v_dual_mul_f32 v5, v46, v45
	s_delay_alu instid0(VALU_DEP_1) | instskip(NEXT) | instid1(VALU_DEP_1)
	v_dual_fma_f32 v2, v46, v44, -v2 :: v_dual_fmac_f32 v5, v47, v44
	v_dual_sub_f32 v42, v42, v2 :: v_dual_sub_f32 v43, v43, v5
.LBB63_893:                             ;   in Loop: Header=BB63_3 Depth=1
	s_or_b32 exec_lo, exec_lo, s56
	s_barrier_signal -1
	s_barrier_wait -1
	s_and_saveexec_b32 s56, s38
; %bb.894:                              ;   in Loop: Header=BB63_3 Depth=1
	v_pk_add_f32 v[44:45], v[42:43], 0 neg_lo:[1,1] neg_hi:[1,1]
	ds_store_b64 v74, v[44:45]
; %bb.895:                              ;   in Loop: Header=BB63_3 Depth=1
	s_or_b32 exec_lo, exec_lo, s56
	s_wait_dscnt 0x0
	s_barrier_signal -1
	s_barrier_wait -1
	s_and_saveexec_b32 s56, s39
	s_cbranch_execz .LBB63_897
; %bb.896:                              ;   in Loop: Header=BB63_3 Depth=1
	ds_load_b64 v[44:45], v70 offset:2560
	ds_load_b64 v[46:47], v74
	s_wait_dscnt 0x0
	v_dual_mul_f32 v2, v47, v45 :: v_dual_mul_f32 v99, v46, v45
	s_delay_alu instid0(VALU_DEP_1) | instskip(NEXT) | instid1(VALU_DEP_1)
	v_dual_fma_f32 v98, v46, v44, -v2 :: v_dual_fmac_f32 v99, v47, v44
	v_pk_add_f32 v[42:43], v[42:43], v[98:99] neg_lo:[0,1] neg_hi:[0,1]
.LBB63_897:                             ;   in Loop: Header=BB63_3 Depth=1
	s_or_b32 exec_lo, exec_lo, s56
	s_barrier_signal -1
	s_barrier_wait -1
	s_and_saveexec_b32 s56, s40
; %bb.898:                              ;   in Loop: Header=BB63_3 Depth=1
	v_pk_add_f32 v[44:45], v[42:43], 0 neg_lo:[1,1] neg_hi:[1,1]
	ds_store_b64 v74, v[44:45]
; %bb.899:                              ;   in Loop: Header=BB63_3 Depth=1
	s_or_b32 exec_lo, exec_lo, s56
	s_wait_dscnt 0x0
	s_barrier_signal -1
	s_barrier_wait -1
	s_and_saveexec_b32 s56, s41
	s_cbranch_execz .LBB63_901
; %bb.900:                              ;   in Loop: Header=BB63_3 Depth=1
	ds_load_b64 v[44:45], v70 offset:2048
	ds_load_b64 v[46:47], v74
	s_wait_dscnt 0x0
	v_pk_mul_f32 v[98:99], v[46:47], v[44:45] op_sel:[1,1] op_sel_hi:[0,1]
	s_delay_alu instid0(VALU_DEP_1) | instskip(SKIP_1) | instid1(VALU_DEP_2)
	v_pk_fma_f32 v[100:101], v[46:47], v[44:45], v[98:99] op_sel_hi:[1,0,1]
	v_pk_fma_f32 v[44:45], v[46:47], v[44:45], v[98:99] neg_lo:[0,0,1] neg_hi:[0,0,1]
	v_mov_b32_e32 v45, v101
	s_delay_alu instid0(VALU_DEP_1)
	v_pk_add_f32 v[42:43], v[42:43], v[44:45] neg_lo:[0,1] neg_hi:[0,1]
.LBB63_901:                             ;   in Loop: Header=BB63_3 Depth=1
	s_or_b32 exec_lo, exec_lo, s56
	s_barrier_signal -1
	s_barrier_wait -1
	s_and_saveexec_b32 s56, s42
; %bb.902:                              ;   in Loop: Header=BB63_3 Depth=1
	v_pk_add_f32 v[44:45], v[42:43], 0 neg_lo:[1,1] neg_hi:[1,1]
	ds_store_b64 v74, v[44:45]
; %bb.903:                              ;   in Loop: Header=BB63_3 Depth=1
	s_or_b32 exec_lo, exec_lo, s56
	s_wait_dscnt 0x0
	s_barrier_signal -1
	s_barrier_wait -1
	s_and_saveexec_b32 s56, s43
	s_cbranch_execz .LBB63_905
; %bb.904:                              ;   in Loop: Header=BB63_3 Depth=1
	ds_load_b64 v[44:45], v70 offset:1536
	ds_load_b64 v[46:47], v74
	s_wait_dscnt 0x0
	v_pk_mul_f32 v[98:99], v[46:47], v[44:45] op_sel:[1,1] op_sel_hi:[0,1]
	s_delay_alu instid0(VALU_DEP_1) | instskip(SKIP_1) | instid1(VALU_DEP_2)
	v_pk_fma_f32 v[100:101], v[46:47], v[44:45], v[98:99] op_sel_hi:[1,0,1]
	v_pk_fma_f32 v[44:45], v[46:47], v[44:45], v[98:99] neg_lo:[0,0,1] neg_hi:[0,0,1]
	v_mov_b32_e32 v45, v101
	s_delay_alu instid0(VALU_DEP_1)
	v_pk_add_f32 v[42:43], v[42:43], v[44:45] neg_lo:[0,1] neg_hi:[0,1]
.LBB63_905:                             ;   in Loop: Header=BB63_3 Depth=1
	;; [unrolled: 26-line block ×4, first 2 shown]
	s_or_b32 exec_lo, exec_lo, s56
	s_barrier_signal -1
	s_barrier_wait -1
	s_and_saveexec_b32 s56, s47
; %bb.914:                              ;   in Loop: Header=BB63_3 Depth=1
	v_pk_add_f32 v[44:45], v[42:43], 0 neg_lo:[1,1] neg_hi:[1,1]
	ds_store_b64 v74, v[44:45]
; %bb.915:                              ;   in Loop: Header=BB63_3 Depth=1
	s_or_b32 exec_lo, exec_lo, s56
	s_wait_dscnt 0x0
	s_barrier_signal -1
	s_barrier_wait -1
	s_barrier_signal -1
	s_barrier_wait -1
	s_and_saveexec_b32 s56, s5
; %bb.916:                              ;   in Loop: Header=BB63_3 Depth=1
	ds_store_b64 v75, v[42:43] offset:7680
; %bb.917:                              ;   in Loop: Header=BB63_3 Depth=1
	s_or_b32 exec_lo, exec_lo, s56
	s_wait_dscnt 0x0
	s_barrier_signal -1
	s_barrier_wait -1
	s_barrier_signal -1
	s_barrier_wait -1
	s_and_saveexec_b32 s56, s48
	s_cbranch_execz .LBB63_919
; %bb.918:                              ;   in Loop: Header=BB63_3 Depth=1
	ds_load_b64 v[42:43], v55 offset:4096
	s_wait_dscnt 0x0
	ds_store_b64 v58, v[42:43] offset:64
	ds_load_b64 v[42:43], v55 offset:4104
	s_wait_dscnt 0x0
	ds_store_b64 v58, v[42:43] offset:576
	;; [unrolled: 3-line block ×8, first 2 shown]
.LBB63_919:                             ;   in Loop: Header=BB63_3 Depth=1
	s_or_b32 exec_lo, exec_lo, s56
	s_wait_dscnt 0x0
	s_barrier_signal -1
	s_barrier_wait -1
	s_and_saveexec_b32 s56, s10
	s_cbranch_execz .LBB63_921
; %bb.920:                              ;   in Loop: Header=BB63_3 Depth=1
	ds_load_b64 v[42:43], v3 offset:3632
	v_add_nc_u32_e64 v2, 0x800, 0
	ds_store_b64 v3, v[30:31] offset:3640
	s_wait_dscnt 0x1
	ds_store_2addr_b64 v2, v[30:31], v[42:43] offset0:134 offset1:135
.LBB63_921:                             ;   in Loop: Header=BB63_3 Depth=1
	s_or_b32 exec_lo, exec_lo, s56
	v_dual_mov_b32 v42, 0 :: v_dual_mov_b32 v43, 0
	s_wait_dscnt 0x0
	s_barrier_signal -1
	s_barrier_wait -1
	global_wb scope:SCOPE_DEV
	s_wait_storecnt 0x0
	global_inv scope:SCOPE_DEV
	s_and_saveexec_b32 s60, s2
	s_cbranch_execz .LBB63_925
; %bb.922:                              ;   in Loop: Header=BB63_3 Depth=1
	ds_load_b64 v[42:43], v66 offset:3104
	ds_load_b64 v[44:45], v56 offset:3632
	s_wait_dscnt 0x0
	v_pk_mul_f32 v[46:47], v[44:45], v[42:43] op_sel:[1,1] op_sel_hi:[0,1]
	s_delay_alu instid0(VALU_DEP_1) | instskip(SKIP_1) | instid1(VALU_DEP_2)
	v_pk_fma_f32 v[98:99], v[44:45], v[42:43], v[46:47] op_sel_hi:[1,0,1]
	v_pk_fma_f32 v[42:43], v[44:45], v[42:43], v[46:47] neg_lo:[0,0,1] neg_hi:[0,0,1]
	v_mov_b32_e32 v43, v99
	s_delay_alu instid0(VALU_DEP_1)
	v_pk_add_f32 v[42:43], v[42:43], 0 op_sel_hi:[1,0]
	s_and_saveexec_b32 s56, s12
	s_cbranch_execz .LBB63_924
; %bb.923:                              ;   in Loop: Header=BB63_3 Depth=1
	ds_load_b64 v[44:45], v58 offset:3616
	ds_load_b64 v[46:47], v3 offset:3640
	s_wait_dscnt 0x0
	v_pk_mul_f32 v[98:99], v[46:47], v[44:45] op_sel:[1,1] op_sel_hi:[0,1]
	s_delay_alu instid0(VALU_DEP_1) | instskip(SKIP_1) | instid1(VALU_DEP_2)
	v_pk_fma_f32 v[100:101], v[46:47], v[44:45], v[98:99] op_sel_hi:[1,0,1]
	v_pk_fma_f32 v[44:45], v[46:47], v[44:45], v[98:99] neg_lo:[0,0,1] neg_hi:[0,0,1]
	v_mov_b32_e32 v45, v101
	s_delay_alu instid0(VALU_DEP_1)
	v_pk_add_f32 v[42:43], v[42:43], v[44:45]
.LBB63_924:                             ;   in Loop: Header=BB63_3 Depth=1
	s_or_b32 exec_lo, exec_lo, s56
.LBB63_925:                             ;   in Loop: Header=BB63_3 Depth=1
	s_delay_alu instid0(SALU_CYCLE_1)
	s_or_b32 exec_lo, exec_lo, s60
	s_and_saveexec_b32 s56, s92
; %bb.926:                              ;   in Loop: Header=BB63_3 Depth=1
	s_delay_alu instid0(VALU_DEP_1)
	v_pk_add_f32 v[44:45], v[42:43], 0 neg_lo:[1,1] neg_hi:[1,1]
	ds_store_b64 v67, v[44:45]
; %bb.927:                              ;   in Loop: Header=BB63_3 Depth=1
	s_or_b32 exec_lo, exec_lo, s56
	s_wait_loadcnt_dscnt 0x0
	s_barrier_signal -1
	s_barrier_wait -1
	s_and_saveexec_b32 s56, s93
	s_cbranch_execz .LBB63_929
; %bb.928:                              ;   in Loop: Header=BB63_3 Depth=1
	ds_load_b64 v[44:45], v3 offset:2592
	ds_load_b64 v[46:47], v67
	s_wait_dscnt 0x0
	v_pk_mul_f32 v[98:99], v[46:47], v[44:45] op_sel_hi:[1,0]
	s_delay_alu instid0(VALU_DEP_1) | instskip(SKIP_1) | instid1(VALU_DEP_2)
	v_pk_fma_f32 v[100:101], v[46:47], v[44:45], v[98:99] op_sel:[1,1,0] op_sel_hi:[0,1,1]
	v_pk_fma_f32 v[44:45], v[46:47], v[44:45], v[98:99] op_sel:[1,1,0] op_sel_hi:[0,1,1] neg_lo:[0,0,1] neg_hi:[0,0,1]
	v_pk_add_f32 v[46:47], v[42:43], v[100:101] neg_lo:[0,1] neg_hi:[0,1]
	s_delay_alu instid0(VALU_DEP_2) | instskip(NEXT) | instid1(VALU_DEP_2)
	v_pk_add_f32 v[42:43], v[42:43], v[44:45]
	v_mov_b32_e32 v43, v47
.LBB63_929:                             ;   in Loop: Header=BB63_3 Depth=1
	s_or_b32 exec_lo, exec_lo, s56
	s_barrier_signal -1
	s_barrier_wait -1
	s_and_saveexec_b32 s56, s93
; %bb.930:                              ;   in Loop: Header=BB63_3 Depth=1
	v_pk_add_f32 v[44:45], v[42:43], 0 neg_lo:[1,1] neg_hi:[1,1]
	ds_store_b64 v67, v[44:45]
; %bb.931:                              ;   in Loop: Header=BB63_3 Depth=1
	s_or_b32 exec_lo, exec_lo, s56
	s_wait_dscnt 0x0
	s_barrier_signal -1
	s_barrier_wait -1
	s_barrier_signal -1
	s_barrier_wait -1
	s_and_saveexec_b32 s56, s2
; %bb.932:                              ;   in Loop: Header=BB63_3 Depth=1
	ds_store_b64 v69, v[42:43] offset:3616
; %bb.933:                              ;   in Loop: Header=BB63_3 Depth=1
	s_or_b32 exec_lo, exec_lo, s56
	s_wait_dscnt 0x0
	s_barrier_signal -1
	s_barrier_wait -1
	s_barrier_signal -1
	s_barrier_wait -1
	s_and_saveexec_b32 s56, s94
	s_cbranch_execz .LBB63_935
; %bb.934:                              ;   in Loop: Header=BB63_3 Depth=1
	ds_load_b64 v[42:43], v59 offset:3104
	s_wait_dscnt 0x0
	ds_store_b64 v58, v[42:43] offset:2096
	ds_load_b64 v[42:43], v59 offset:3112
	s_wait_dscnt 0x0
	ds_store_b64 v58, v[42:43] offset:2608
.LBB63_935:                             ;   in Loop: Header=BB63_3 Depth=1
	s_or_b32 exec_lo, exec_lo, s56
	s_wait_dscnt 0x0
	s_barrier_signal -1
	s_barrier_wait -1
	s_and_saveexec_b32 s56, s10
	s_cbranch_execz .LBB63_937
; %bb.936:                              ;   in Loop: Header=BB63_3 Depth=1
	ds_load_b64 v[42:43], v3 offset:2592
	v_add_nc_u32_e64 v2, 0x800, 0
	ds_store_b64 v3, v[30:31] offset:2600
	s_wait_dscnt 0x1
	ds_store_2addr_b64 v2, v[30:31], v[42:43] offset0:4 offset1:5
.LBB63_937:                             ;   in Loop: Header=BB63_3 Depth=1
	s_or_b32 exec_lo, exec_lo, s56
	v_mov_b64_e32 v[42:43], 0
	s_wait_dscnt 0x0
	s_barrier_signal -1
	s_barrier_wait -1
	global_wb scope:SCOPE_DEV
	s_wait_storecnt 0x0
	global_inv scope:SCOPE_DEV
	s_and_saveexec_b32 s60, s4
	s_cbranch_execz .LBB63_943
; %bb.938:                              ;   in Loop: Header=BB63_3 Depth=1
	ds_load_b64 v[42:43], v68 offset:2048
	ds_load_b64 v[44:45], v57 offset:3616
	s_wait_dscnt 0x0
	v_dual_mul_f32 v2, v45, v43 :: v_dual_mul_f32 v5, v44, v43
	s_delay_alu instid0(VALU_DEP_1) | instskip(NEXT) | instid1(VALU_DEP_1)
	v_dual_fma_f32 v2, v44, v42, -v2 :: v_dual_fmac_f32 v5, v45, v42
	v_dual_add_f32 v42, 0, v2 :: v_dual_add_f32 v43, 0, v5
	s_and_saveexec_b32 s56, s13
	s_cbranch_execnz .LBB63_1124
; %bb.939:                              ;   in Loop: Header=BB63_3 Depth=1
	s_or_b32 exec_lo, exec_lo, s56
	s_and_saveexec_b32 s56, s14
	s_cbranch_execnz .LBB63_1125
.LBB63_940:                             ;   in Loop: Header=BB63_3 Depth=1
	s_or_b32 exec_lo, exec_lo, s56
	s_and_saveexec_b32 s56, s2
	s_cbranch_execz .LBB63_942
.LBB63_941:                             ;   in Loop: Header=BB63_3 Depth=1
	ds_load_b64 v[44:45], v62 offset:3584
	ds_load_b64 v[46:47], v3 offset:3640
	s_wait_dscnt 0x0
	v_pk_mul_f32 v[98:99], v[46:47], v[44:45] op_sel:[1,1] op_sel_hi:[0,1]
	s_delay_alu instid0(VALU_DEP_1) | instskip(SKIP_1) | instid1(VALU_DEP_2)
	v_pk_fma_f32 v[100:101], v[46:47], v[44:45], v[98:99] op_sel_hi:[1,0,1]
	v_pk_fma_f32 v[44:45], v[46:47], v[44:45], v[98:99] neg_lo:[0,0,1] neg_hi:[0,0,1]
	v_mov_b32_e32 v45, v101
	s_delay_alu instid0(VALU_DEP_1)
	v_pk_add_f32 v[42:43], v[42:43], v[44:45]
.LBB63_942:                             ;   in Loop: Header=BB63_3 Depth=1
	s_or_b32 exec_lo, exec_lo, s56
.LBB63_943:                             ;   in Loop: Header=BB63_3 Depth=1
	s_delay_alu instid0(SALU_CYCLE_1)
	s_or_b32 exec_lo, exec_lo, s60
	s_and_saveexec_b32 s56, s95
; %bb.944:                              ;   in Loop: Header=BB63_3 Depth=1
	s_delay_alu instid0(VALU_DEP_1)
	v_pk_add_f32 v[44:45], v[42:43], 0 neg_lo:[1,1] neg_hi:[1,1]
	ds_store_b64 v71, v[44:45]
; %bb.945:                              ;   in Loop: Header=BB63_3 Depth=1
	s_or_b32 exec_lo, exec_lo, s56
	s_wait_loadcnt_dscnt 0x0
	s_barrier_signal -1
	s_barrier_wait -1
	s_and_saveexec_b32 s56, s96
	s_cbranch_execz .LBB63_947
; %bb.946:                              ;   in Loop: Header=BB63_3 Depth=1
	ds_load_b64 v[44:45], v68 offset:1536
	ds_load_b64 v[46:47], v71
	s_wait_dscnt 0x0
	v_pk_mul_f32 v[98:99], v[46:47], v[44:45] op_sel:[1,1] op_sel_hi:[0,1]
	s_delay_alu instid0(VALU_DEP_1) | instskip(SKIP_1) | instid1(VALU_DEP_2)
	v_pk_fma_f32 v[100:101], v[46:47], v[44:45], v[98:99] op_sel_hi:[1,0,1]
	v_pk_fma_f32 v[44:45], v[46:47], v[44:45], v[98:99] neg_lo:[0,0,1] neg_hi:[0,0,1]
	v_mov_b32_e32 v45, v101
	s_delay_alu instid0(VALU_DEP_1)
	v_pk_add_f32 v[42:43], v[42:43], v[44:45] neg_lo:[0,1] neg_hi:[0,1]
.LBB63_947:                             ;   in Loop: Header=BB63_3 Depth=1
	s_or_b32 exec_lo, exec_lo, s56
	s_barrier_signal -1
	s_barrier_wait -1
	s_and_saveexec_b32 s56, s97
; %bb.948:                              ;   in Loop: Header=BB63_3 Depth=1
	v_pk_add_f32 v[44:45], v[42:43], 0 neg_lo:[1,1] neg_hi:[1,1]
	ds_store_b64 v71, v[44:45]
; %bb.949:                              ;   in Loop: Header=BB63_3 Depth=1
	s_or_b32 exec_lo, exec_lo, s56
	s_wait_dscnt 0x0
	s_barrier_signal -1
	s_barrier_wait -1
	s_and_saveexec_b32 s56, s98
	s_cbranch_execz .LBB63_951
; %bb.950:                              ;   in Loop: Header=BB63_3 Depth=1
	ds_load_b64 v[44:45], v68 offset:1024
	ds_load_b64 v[46:47], v71
	s_wait_dscnt 0x0
	v_pk_mul_f32 v[98:99], v[46:47], v[44:45] op_sel:[1,1] op_sel_hi:[0,1]
	s_delay_alu instid0(VALU_DEP_1) | instskip(SKIP_1) | instid1(VALU_DEP_2)
	v_pk_fma_f32 v[100:101], v[46:47], v[44:45], v[98:99] op_sel_hi:[1,0,1]
	v_pk_fma_f32 v[44:45], v[46:47], v[44:45], v[98:99] neg_lo:[0,0,1] neg_hi:[0,0,1]
	v_mov_b32_e32 v45, v101
	s_delay_alu instid0(VALU_DEP_1)
	v_pk_add_f32 v[42:43], v[42:43], v[44:45] neg_lo:[0,1] neg_hi:[0,1]
.LBB63_951:                             ;   in Loop: Header=BB63_3 Depth=1
	s_or_b32 exec_lo, exec_lo, s56
	s_barrier_signal -1
	s_barrier_wait -1
	s_and_saveexec_b32 s56, s99
; %bb.952:                              ;   in Loop: Header=BB63_3 Depth=1
	v_pk_add_f32 v[44:45], v[42:43], 0 neg_lo:[1,1] neg_hi:[1,1]
	ds_store_b64 v71, v[44:45]
; %bb.953:                              ;   in Loop: Header=BB63_3 Depth=1
	s_or_b32 exec_lo, exec_lo, s56
	s_wait_dscnt 0x0
	;; [unrolled: 26-line block ×3, first 2 shown]
	s_barrier_signal -1
	s_barrier_wait -1
	s_barrier_signal -1
	s_barrier_wait -1
	s_and_saveexec_b32 s56, s4
; %bb.958:                              ;   in Loop: Header=BB63_3 Depth=1
	ds_store_b64 v73, v[42:43] offset:3584
; %bb.959:                              ;   in Loop: Header=BB63_3 Depth=1
	s_or_b32 exec_lo, exec_lo, s56
	s_wait_dscnt 0x0
	s_barrier_signal -1
	s_barrier_wait -1
	s_barrier_signal -1
	s_barrier_wait -1
	s_and_saveexec_b32 s56, s101
	s_cbranch_execz .LBB63_961
; %bb.960:                              ;   in Loop: Header=BB63_3 Depth=1
	ds_load_b64 v[42:43], v80 offset:2048
	s_wait_dscnt 0x0
	ds_store_b64 v82, v[42:43] offset:32
	ds_load_b64 v[42:43], v80 offset:2056
	s_wait_dscnt 0x0
	ds_store_b64 v82, v[42:43] offset:544
	;; [unrolled: 3-line block ×4, first 2 shown]
.LBB63_961:                             ;   in Loop: Header=BB63_3 Depth=1
	s_or_b32 exec_lo, exec_lo, s56
	s_wait_dscnt 0x0
	s_barrier_signal -1
	s_barrier_wait -1
	s_and_saveexec_b32 s56, s10
	s_cbranch_execz .LBB63_963
; %bb.962:                              ;   in Loop: Header=BB63_3 Depth=1
	ds_load_b64 v[42:43], v3 offset:1552
	ds_store_b64 v3, v[30:31] offset:1560
	s_wait_dscnt 0x1
	ds_store_2addr_b64 v3, v[30:31], v[42:43] offset0:130 offset1:131
.LBB63_963:                             ;   in Loop: Header=BB63_3 Depth=1
	s_or_b32 exec_lo, exec_lo, s56
	v_dual_mov_b32 v42, 0 :: v_dual_mov_b32 v43, 0
	s_wait_dscnt 0x0
	s_barrier_signal -1
	s_barrier_wait -1
	global_wb scope:SCOPE_DEV
	s_wait_storecnt 0x0
	global_inv scope:SCOPE_DEV
	s_and_saveexec_b32 s60, s2
	s_cbranch_execz .LBB63_967
; %bb.964:                              ;   in Loop: Header=BB63_3 Depth=1
	ds_load_b64 v[42:43], v66 offset:1024
	ds_load_b64 v[44:45], v56 offset:1552
	s_wait_dscnt 0x0
	v_pk_mul_f32 v[46:47], v[44:45], v[42:43] op_sel:[1,1] op_sel_hi:[0,1]
	s_delay_alu instid0(VALU_DEP_1) | instskip(SKIP_1) | instid1(VALU_DEP_2)
	v_pk_fma_f32 v[98:99], v[44:45], v[42:43], v[46:47] op_sel_hi:[1,0,1]
	v_pk_fma_f32 v[42:43], v[44:45], v[42:43], v[46:47] neg_lo:[0,0,1] neg_hi:[0,0,1]
	v_mov_b32_e32 v43, v99
	s_delay_alu instid0(VALU_DEP_1)
	v_pk_add_f32 v[42:43], v[42:43], 0 op_sel_hi:[1,0]
	s_and_saveexec_b32 s56, s12
	s_cbranch_execz .LBB63_966
; %bb.965:                              ;   in Loop: Header=BB63_3 Depth=1
	ds_load_b64 v[44:45], v82 offset:1536
	ds_load_b64 v[46:47], v3 offset:1560
	s_wait_dscnt 0x0
	v_pk_mul_f32 v[98:99], v[46:47], v[44:45] op_sel:[1,1] op_sel_hi:[0,1]
	s_delay_alu instid0(VALU_DEP_1) | instskip(SKIP_1) | instid1(VALU_DEP_2)
	v_pk_fma_f32 v[100:101], v[46:47], v[44:45], v[98:99] op_sel_hi:[1,0,1]
	v_pk_fma_f32 v[44:45], v[46:47], v[44:45], v[98:99] neg_lo:[0,0,1] neg_hi:[0,0,1]
	v_mov_b32_e32 v45, v101
	s_delay_alu instid0(VALU_DEP_1)
	v_pk_add_f32 v[42:43], v[42:43], v[44:45]
.LBB63_966:                             ;   in Loop: Header=BB63_3 Depth=1
	s_or_b32 exec_lo, exec_lo, s56
.LBB63_967:                             ;   in Loop: Header=BB63_3 Depth=1
	s_delay_alu instid0(SALU_CYCLE_1)
	s_or_b32 exec_lo, exec_lo, s60
	s_and_saveexec_b32 s56, s92
; %bb.968:                              ;   in Loop: Header=BB63_3 Depth=1
	s_delay_alu instid0(VALU_DEP_1)
	v_pk_add_f32 v[44:45], v[42:43], 0 neg_lo:[1,1] neg_hi:[1,1]
	ds_store_b64 v67, v[44:45]
; %bb.969:                              ;   in Loop: Header=BB63_3 Depth=1
	s_or_b32 exec_lo, exec_lo, s56
	s_wait_loadcnt_dscnt 0x0
	s_barrier_signal -1
	s_barrier_wait -1
	s_and_saveexec_b32 s56, s93
	s_cbranch_execz .LBB63_971
; %bb.970:                              ;   in Loop: Header=BB63_3 Depth=1
	ds_load_b64 v[44:45], v3 offset:512
	ds_load_b64 v[46:47], v67
	s_wait_dscnt 0x0
	v_pk_mul_f32 v[98:99], v[46:47], v[44:45] op_sel_hi:[1,0]
	s_delay_alu instid0(VALU_DEP_1) | instskip(SKIP_1) | instid1(VALU_DEP_2)
	v_pk_fma_f32 v[100:101], v[46:47], v[44:45], v[98:99] op_sel:[1,1,0] op_sel_hi:[0,1,1]
	v_pk_fma_f32 v[44:45], v[46:47], v[44:45], v[98:99] op_sel:[1,1,0] op_sel_hi:[0,1,1] neg_lo:[0,0,1] neg_hi:[0,0,1]
	v_pk_add_f32 v[46:47], v[42:43], v[100:101] neg_lo:[0,1] neg_hi:[0,1]
	s_delay_alu instid0(VALU_DEP_2) | instskip(NEXT) | instid1(VALU_DEP_2)
	v_pk_add_f32 v[42:43], v[42:43], v[44:45]
	v_mov_b32_e32 v43, v47
.LBB63_971:                             ;   in Loop: Header=BB63_3 Depth=1
	s_or_b32 exec_lo, exec_lo, s56
	s_barrier_signal -1
	s_barrier_wait -1
	s_and_saveexec_b32 s56, s93
; %bb.972:                              ;   in Loop: Header=BB63_3 Depth=1
	v_pk_add_f32 v[44:45], v[42:43], 0 neg_lo:[1,1] neg_hi:[1,1]
	ds_store_b64 v67, v[44:45]
; %bb.973:                              ;   in Loop: Header=BB63_3 Depth=1
	s_or_b32 exec_lo, exec_lo, s56
	s_wait_dscnt 0x0
	s_barrier_signal -1
	s_barrier_wait -1
	s_barrier_signal -1
	s_barrier_wait -1
	s_and_saveexec_b32 s56, s2
; %bb.974:                              ;   in Loop: Header=BB63_3 Depth=1
	ds_store_b64 v69, v[42:43] offset:1536
; %bb.975:                              ;   in Loop: Header=BB63_3 Depth=1
	s_or_b32 exec_lo, exec_lo, s56
	s_wait_dscnt 0x0
	s_barrier_signal -1
	s_barrier_wait -1
	s_barrier_signal -1
	s_barrier_wait -1
	s_and_saveexec_b32 s56, s94
	s_cbranch_execz .LBB63_977
; %bb.976:                              ;   in Loop: Header=BB63_3 Depth=1
	ds_load_b64 v[42:43], v83 offset:1024
	s_wait_dscnt 0x0
	ds_store_b64 v82, v[42:43] offset:16
	ds_load_b64 v[42:43], v83 offset:1032
	s_wait_dscnt 0x0
	ds_store_b64 v82, v[42:43] offset:528
.LBB63_977:                             ;   in Loop: Header=BB63_3 Depth=1
	s_or_b32 exec_lo, exec_lo, s56
	s_wait_dscnt 0x0
	s_barrier_signal -1
	s_barrier_wait -1
	s_and_saveexec_b32 s56, s10
	s_cbranch_execz .LBB63_979
; %bb.978:                              ;   in Loop: Header=BB63_3 Depth=1
	ds_load_b64 v[42:43], v3 offset:512
	ds_store_b64 v3, v[30:31] offset:520
	s_wait_dscnt 0x1
	ds_store_2addr_b64 v3, v[30:31], v[42:43] offset1:1
.LBB63_979:                             ;   in Loop: Header=BB63_3 Depth=1
	s_or_b32 exec_lo, exec_lo, s56
.LBB63_980:                             ;   in Loop: Header=BB63_3 Depth=1
	v_mov_b64_e32 v[42:43], 0
	s_mul_u64 s[60:61], s[70:71], s[72:73]
	s_wait_dscnt 0x0
	s_lshl_b64 s[60:61], s[60:61], 3
	s_barrier_signal -1
	s_add_nc_u64 s[82:83], s[64:65], s[60:61]
	s_barrier_wait -1
	s_and_saveexec_b32 s56, s53
	s_cbranch_execz .LBB63_982
; %bb.981:                              ;   in Loop: Header=BB63_3 Depth=1
	v_lshl_add_u64 v[42:43], v[14:15], 3, s[82:83]
	v_readlane_b32 s60, v107, 18
	v_readlane_b32 s61, v107, 19
	global_load_b64 v[42:43], v[42:43], off
	v_mov_b64_e32 v[44:45], s[60:61]
	v_readlane_b32 s60, v107, 20
	v_readlane_b32 s61, v107, 21
	s_delay_alu instid0(VALU_DEP_1) | instskip(SKIP_1) | instid1(VALU_DEP_4)
	v_mov_b64_e32 v[46:47], s[60:61]
	s_wait_loadcnt 0x0
	v_pk_mul_f32 v[44:45], v[44:45], v[42:43]
	s_delay_alu instid0(VALU_DEP_1)
	v_pk_fma_f32 v[42:43], v[46:47], v[42:43], v[44:45] op_sel:[0,0,1] op_sel_hi:[1,1,0] neg_lo:[1,0,0] neg_hi:[1,0,0]
.LBB63_982:                             ;   in Loop: Header=BB63_3 Depth=1
	s_or_b32 exec_lo, exec_lo, s56
	s_delay_alu instid0(SALU_CYCLE_1)
	s_and_not1_b32 vcc_lo, exec_lo, s54
	s_cbranch_vccnz .LBB63_1017
; %bb.983:                              ;   in Loop: Header=BB63_3 Depth=1
	v_mov_b32_e32 v5, -1
	s_lshl_b64 s[60:61], s[72:73], 2
	s_delay_alu instid0(SALU_CYCLE_1)
	s_add_nc_u64 s[84:85], s[74:75], s[60:61]
	s_mov_b32 s60, 0
	s_branch .LBB63_986
.LBB63_984:                             ;   in Loop: Header=BB63_986 Depth=2
	s_wait_xcnt 0x0
	ds_load_b64 v[44:45], v88 offset:384
	s_wait_loadcnt_dscnt 0x0
	v_pk_mul_f32 v[46:47], v[46:47], v[44:45] op_sel:[0,1] op_sel_hi:[0,0]
	s_delay_alu instid0(VALU_DEP_1) | instskip(SKIP_1) | instid1(VALU_DEP_2)
	v_pk_fma_f32 v[98:99], v[2:3], v[44:45], v[46:47] op_sel_hi:[0,1,1] neg_lo:[0,0,1] neg_hi:[0,0,1]
	v_pk_fma_f32 v[44:45], v[2:3], v[44:45], v[46:47]
	v_mov_b32_e32 v45, v99
	s_delay_alu instid0(VALU_DEP_1)
	v_pk_add_f32 v[42:43], v[42:43], v[44:45]
.LBB63_985:                             ;   in Loop: Header=BB63_986 Depth=2
	s_or_b32 exec_lo, exec_lo, s61
	s_add_co_i32 s60, s60, 1
	s_delay_alu instid0(SALU_CYCLE_1)
	s_cmp_eq_u32 s60, s88
	s_cbranch_scc1 .LBB63_1017
.LBB63_986:                             ;   Parent Loop BB63_3 Depth=1
                                        ; =>  This Loop Header: Depth=2
                                        ;       Child Loop BB63_988 Depth 3
	v_cmp_gt_i32_e32 vcc_lo, s60, v5
	s_and_b32 s61, s33, vcc_lo
	s_delay_alu instid0(SALU_CYCLE_1)
	s_and_saveexec_b32 s56, s61
	s_cbranch_execz .LBB63_989
; %bb.987:                              ;   in Loop: Header=BB63_986 Depth=2
	global_load_b32 v5, v3, s[84:85]
	s_wait_loadcnt 0x0
	v_cmp_le_i32_e32 vcc_lo, s60, v5
	s_cbranch_vccnz .LBB63_989
.LBB63_988:                             ;   Parent Loop BB63_3 Depth=1
                                        ;     Parent Loop BB63_986 Depth=2
                                        ; =>    This Inner Loop Header: Depth=3
	global_wb scope:SCOPE_DEV
	s_wait_storecnt 0x0
	global_inv scope:SCOPE_DEV
	global_load_b32 v5, v3, s[84:85]
	s_wait_loadcnt 0x0
	v_cmp_gt_i32_e32 vcc_lo, s60, v5
	s_cbranch_vccnz .LBB63_988
.LBB63_989:                             ;   in Loop: Header=BB63_986 Depth=2
	s_or_b32 exec_lo, exec_lo, s56
	s_lshl_b32 s61, s60, 6
	global_wb scope:SCOPE_DEV
	s_wait_storecnt 0x0
	global_inv scope:SCOPE_DEV
	s_wait_loadcnt 0x0
	s_barrier_signal -1
	s_barrier_wait -1
	s_and_saveexec_b32 s56, s34
	s_cbranch_execz .LBB63_994
; %bb.990:                              ;   in Loop: Header=BB63_986 Depth=2
	v_or_b32_e32 v2, s61, v8
	s_delay_alu instid0(VALU_DEP_1) | instskip(SKIP_1) | instid1(SALU_CYCLE_1)
	v_cmp_le_i32_e32 vcc_lo, s87, v2
	s_and_saveexec_b32 s57, vcc_lo
	s_xor_b32 vcc_lo, exec_lo, s57
; %bb.991:                              ;   in Loop: Header=BB63_986 Depth=2
	ds_store_b64 v91, v[28:29]
; %bb.992:                              ;   in Loop: Header=BB63_986 Depth=2
	s_and_not1_saveexec_b32 s55, vcc_lo
	s_cbranch_execz .LBB63_994
; %bb.993:                              ;   in Loop: Header=BB63_986 Depth=2
	v_mul_u64_e32 v[44:45], s[68:69], v[2:3]
	s_delay_alu instid0(VALU_DEP_1)
	v_lshl_add_u64 v[44:45], v[44:45], 3, s[82:83]
	global_load_b64 v[44:45], v[44:45], off
	s_wait_loadcnt 0x0
	ds_store_b64 v91, v[44:45]
.LBB63_994:                             ;   in Loop: Header=BB63_986 Depth=2
	s_or_b32 exec_lo, exec_lo, s56
	v_add_nc_u32_e32 v2, s61, v4
	v_cmp_ne_u32_e32 vcc_lo, s60, v7
	s_wait_dscnt 0x0
	s_barrier_signal -1
	s_barrier_wait -1
	v_cmp_gt_i32_e64 s61, s87, v2
	v_lshl_add_u64 v[44:45], v[2:3], 3, v[40:41]
	v_cndmask_b32_e64 v27, 0, 1, vcc_lo
	s_and_b32 s55, s61, s0
	s_delay_alu instid0(SALU_CYCLE_1)
	s_and_saveexec_b32 s61, s55
	s_cbranch_execz .LBB63_1000
; %bb.995:                              ;   in Loop: Header=BB63_986 Depth=2
	v_mov_b32_e32 v46, v32
	s_and_not1_b32 vcc_lo, exec_lo, vcc_lo
	s_cbranch_vccnz .LBB63_997
; %bb.996:                              ;   in Loop: Header=BB63_986 Depth=2
	global_load_b32 v46, v[44:45], off
.LBB63_997:                             ;   in Loop: Header=BB63_986 Depth=2
	v_cmp_ne_u32_e32 vcc_lo, 1, v27
	v_mov_b32_e32 v48, v33
	s_cbranch_vccnz .LBB63_999
; %bb.998:                              ;   in Loop: Header=BB63_986 Depth=2
	global_load_b32 v48, v[44:45], off offset:4
.LBB63_999:                             ;   in Loop: Header=BB63_986 Depth=2
	ds_load_b64 v[98:99], v88
	s_wait_loadcnt_dscnt 0x0
	v_pk_mul_f32 v[100:101], v[48:49], v[98:99] op_sel:[0,1] op_sel_hi:[0,0]
	s_delay_alu instid0(VALU_DEP_1) | instskip(SKIP_1) | instid1(VALU_DEP_2)
	v_pk_fma_f32 v[102:103], v[46:47], v[98:99], v[100:101] op_sel_hi:[0,1,1] neg_lo:[0,0,1] neg_hi:[0,0,1]
	v_pk_fma_f32 v[46:47], v[46:47], v[98:99], v[100:101]
	v_mov_b32_e32 v47, v103
	s_delay_alu instid0(VALU_DEP_1)
	v_pk_add_f32 v[42:43], v[42:43], v[46:47]
.LBB63_1000:                            ;   in Loop: Header=BB63_986 Depth=2
	s_or_b32 exec_lo, exec_lo, s61
	v_add_nc_u32_e32 v46, 16, v2
	s_delay_alu instid0(VALU_DEP_1) | instskip(SKIP_1) | instid1(SALU_CYCLE_1)
	v_cmp_gt_i32_e32 vcc_lo, s87, v46
	s_and_b32 s55, vcc_lo, s0
	s_and_saveexec_b32 s61, s55
	s_cbranch_execz .LBB63_1006
; %bb.1001:                             ;   in Loop: Header=BB63_986 Depth=2
	v_cmp_ne_u32_e32 vcc_lo, 1, v27
	v_mov_b32_e32 v46, v34
	s_cbranch_vccnz .LBB63_1003
; %bb.1002:                             ;   in Loop: Header=BB63_986 Depth=2
	global_load_b32 v46, v[44:45], off offset:128
.LBB63_1003:                            ;   in Loop: Header=BB63_986 Depth=2
	v_cmp_ne_u32_e32 vcc_lo, 1, v27
	v_mov_b32_e32 v47, v35
	s_cbranch_vccnz .LBB63_1005
; %bb.1004:                             ;   in Loop: Header=BB63_986 Depth=2
	global_load_b32 v47, v[44:45], off offset:132
.LBB63_1005:                            ;   in Loop: Header=BB63_986 Depth=2
	ds_load_b64 v[98:99], v88 offset:128
	s_wait_loadcnt 0x0
	v_dual_mov_b32 v100, v47 :: v_dual_mov_b32 v101, v46
	s_wait_dscnt 0x0
	v_dual_mul_f32 v48, v47, v98 :: v_dual_mul_f32 v102, v47, v99
	s_delay_alu instid0(VALU_DEP_1) | instskip(NEXT) | instid1(VALU_DEP_2)
	v_pk_fma_f32 v[100:101], v[100:101], v[98:99], v[48:49] op_sel_hi:[1,1,0] neg_lo:[0,0,1] neg_hi:[0,0,1]
	v_pk_fma_f32 v[46:47], v[46:47], v[98:99], v[102:103] op_sel_hi:[1,1,0]
	s_delay_alu instid0(VALU_DEP_2) | instskip(NEXT) | instid1(VALU_DEP_1)
	v_mov_b32_e32 v47, v101
	v_pk_add_f32 v[42:43], v[42:43], v[46:47]
.LBB63_1006:                            ;   in Loop: Header=BB63_986 Depth=2
	s_or_b32 exec_lo, exec_lo, s61
	v_add_nc_u32_e32 v46, 32, v2
	s_delay_alu instid0(VALU_DEP_1) | instskip(SKIP_1) | instid1(SALU_CYCLE_1)
	v_cmp_gt_i32_e32 vcc_lo, s87, v46
	s_and_b32 s55, vcc_lo, s0
	s_and_saveexec_b32 s61, s55
	s_cbranch_execz .LBB63_1012
; %bb.1007:                             ;   in Loop: Header=BB63_986 Depth=2
	v_cmp_ne_u32_e32 vcc_lo, 1, v27
	v_mov_b32_e32 v46, v36
	s_cbranch_vccnz .LBB63_1009
; %bb.1008:                             ;   in Loop: Header=BB63_986 Depth=2
	global_load_b32 v46, v[44:45], off offset:256
.LBB63_1009:                            ;   in Loop: Header=BB63_986 Depth=2
	v_cmp_ne_u32_e32 vcc_lo, 1, v27
	v_mov_b32_e32 v48, v37
	s_cbranch_vccnz .LBB63_1011
; %bb.1010:                             ;   in Loop: Header=BB63_986 Depth=2
	global_load_b32 v48, v[44:45], off offset:260
.LBB63_1011:                            ;   in Loop: Header=BB63_986 Depth=2
	ds_load_b64 v[98:99], v88 offset:256
	s_wait_loadcnt_dscnt 0x0
	v_pk_mul_f32 v[100:101], v[48:49], v[98:99] op_sel:[0,1] op_sel_hi:[0,0]
	s_delay_alu instid0(VALU_DEP_1) | instskip(SKIP_1) | instid1(VALU_DEP_2)
	v_pk_fma_f32 v[102:103], v[46:47], v[98:99], v[100:101] op_sel_hi:[0,1,1] neg_lo:[0,0,1] neg_hi:[0,0,1]
	v_pk_fma_f32 v[46:47], v[46:47], v[98:99], v[100:101]
	v_mov_b32_e32 v47, v103
	s_delay_alu instid0(VALU_DEP_1)
	v_pk_add_f32 v[42:43], v[42:43], v[46:47]
.LBB63_1012:                            ;   in Loop: Header=BB63_986 Depth=2
	s_or_b32 exec_lo, exec_lo, s61
	v_add_nc_u32_e32 v2, 48, v2
	s_delay_alu instid0(VALU_DEP_1) | instskip(SKIP_1) | instid1(SALU_CYCLE_1)
	v_cmp_gt_i32_e32 vcc_lo, s87, v2
	s_and_b32 s55, vcc_lo, s0
	s_and_saveexec_b32 s61, s55
	s_cbranch_execz .LBB63_985
; %bb.1013:                             ;   in Loop: Header=BB63_986 Depth=2
	v_cmp_ne_u32_e32 vcc_lo, 1, v27
	v_mov_b32_e32 v2, v38
	s_cbranch_vccnz .LBB63_1015
; %bb.1014:                             ;   in Loop: Header=BB63_986 Depth=2
	global_load_b32 v2, v[44:45], off offset:384
.LBB63_1015:                            ;   in Loop: Header=BB63_986 Depth=2
	v_cmp_ne_u32_e32 vcc_lo, 1, v27
	v_mov_b32_e32 v46, v39
	s_cbranch_vccnz .LBB63_984
; %bb.1016:                             ;   in Loop: Header=BB63_986 Depth=2
	global_load_b32 v46, v[44:45], off offset:388
	s_branch .LBB63_984
.LBB63_1017:                            ;   in Loop: Header=BB63_3 Depth=1
	ds_store_b64 v92, v[42:43]
	s_wait_dscnt 0x0
	s_barrier_signal -1
	s_barrier_wait -1
	s_and_saveexec_b32 s60, s3
	s_cbranch_execz .LBB63_1019
; %bb.1018:                             ;   in Loop: Header=BB63_3 Depth=1
	ds_load_2addr_stride64_b64 v[44:47], v93 offset0:1 offset1:2
	ds_load_2addr_stride64_b64 v[98:101], v93 offset0:3 offset1:4
	;; [unrolled: 1-line block ×3, first 2 shown]
	s_wait_dscnt 0x2
	v_pk_add_f32 v[40:41], v[42:43], v[44:45]
	s_delay_alu instid0(VALU_DEP_1) | instskip(SKIP_3) | instid1(VALU_DEP_1)
	v_pk_add_f32 v[44:45], v[40:41], v[46:47]
	ds_load_2addr_stride64_b64 v[40:43], v93 offset0:7 offset1:8
	s_wait_dscnt 0x2
	v_pk_add_f32 v[44:45], v[44:45], v[98:99]
	v_pk_add_f32 v[98:99], v[44:45], v[100:101]
	ds_load_2addr_stride64_b64 v[44:47], v93 offset0:9 offset1:10
	s_wait_dscnt 0x2
	v_pk_add_f32 v[98:99], v[98:99], v[102:103]
	s_delay_alu instid0(VALU_DEP_1) | instskip(SKIP_3) | instid1(VALU_DEP_1)
	v_pk_add_f32 v[102:103], v[98:99], v[104:105]
	ds_load_2addr_stride64_b64 v[98:101], v93 offset0:11 offset1:12
	s_wait_dscnt 0x2
	v_pk_add_f32 v[40:41], v[102:103], v[40:41]
	v_pk_add_f32 v[102:103], v[40:41], v[42:43]
	ds_load_2addr_stride64_b64 v[40:43], v93 offset0:13 offset1:14
	s_wait_dscnt 0x2
	v_pk_add_f32 v[44:45], v[102:103], v[44:45]
	s_delay_alu instid0(VALU_DEP_1) | instskip(SKIP_3) | instid1(VALU_DEP_1)
	v_pk_add_f32 v[44:45], v[44:45], v[46:47]
	ds_load_b64 v[46:47], v93 offset:7680
	s_wait_dscnt 0x2
	v_pk_add_f32 v[44:45], v[44:45], v[98:99]
	v_pk_add_f32 v[44:45], v[44:45], v[100:101]
	s_wait_dscnt 0x1
	s_delay_alu instid0(VALU_DEP_1) | instskip(NEXT) | instid1(VALU_DEP_1)
	v_pk_add_f32 v[40:41], v[44:45], v[40:41]
	v_pk_add_f32 v[40:41], v[40:41], v[42:43]
	s_wait_dscnt 0x0
	s_delay_alu instid0(VALU_DEP_1) | instskip(NEXT) | instid1(VALU_DEP_1)
	v_pk_add_f32 v[40:41], v[40:41], v[46:47]
	v_cndmask_b32_e64 v43, -v41, 0, s51
	s_delay_alu instid0(VALU_DEP_2)
	v_cndmask_b32_e64 v42, -v40, 0, s51
.LBB63_1019:                            ;   in Loop: Header=BB63_3 Depth=1
	s_or_b32 exec_lo, exec_lo, s60
	s_delay_alu instid0(SALU_CYCLE_1)
	s_and_not1_b32 vcc_lo, exec_lo, s91
	s_cbranch_vccnz .LBB63_1029
; %bb.1020:                             ;   in Loop: Header=BB63_3 Depth=1
	s_and_saveexec_b32 s56, s3
; %bb.1021:                             ;   in Loop: Header=BB63_3 Depth=1
	ds_store_b64 v95, v[42:43]
; %bb.1022:                             ;   in Loop: Header=BB63_3 Depth=1
	s_or_b32 exec_lo, exec_lo, s56
	v_mov_b64_e32 v[40:41], 0
	s_wait_dscnt 0x0
	s_barrier_signal -1
	s_barrier_wait -1
	s_and_saveexec_b32 s56, s1
	s_cbranch_execnz .LBB63_1068
; %bb.1023:                             ;   in Loop: Header=BB63_3 Depth=1
	s_or_b32 exec_lo, exec_lo, s56
	s_and_saveexec_b32 s56, s7
	s_cbranch_execnz .LBB63_1069
.LBB63_1024:                            ;   in Loop: Header=BB63_3 Depth=1
	s_or_b32 exec_lo, exec_lo, s56
	s_and_saveexec_b32 s56, s8
	s_cbranch_execnz .LBB63_1070
.LBB63_1025:                            ;   in Loop: Header=BB63_3 Depth=1
	s_or_b32 exec_lo, exec_lo, s56
	s_and_saveexec_b32 s56, s9
	s_cbranch_execz .LBB63_1027
.LBB63_1026:                            ;   in Loop: Header=BB63_3 Depth=1
	ds_load_b64 v[44:45], v94 offset:24576
	ds_load_b64 v[46:47], v88 offset:384
	s_wait_dscnt 0x0
	v_pk_mul_f32 v[98:99], v[46:47], v[44:45] op_sel:[1,1] op_sel_hi:[0,1]
	s_delay_alu instid0(VALU_DEP_1) | instskip(SKIP_1) | instid1(VALU_DEP_2)
	v_pk_fma_f32 v[100:101], v[46:47], v[44:45], v[98:99] op_sel_hi:[1,0,1]
	v_pk_fma_f32 v[44:45], v[46:47], v[44:45], v[98:99] neg_lo:[0,0,1] neg_hi:[0,0,1]
	v_mov_b32_e32 v45, v101
	s_delay_alu instid0(VALU_DEP_1)
	v_pk_add_f32 v[40:41], v[40:41], v[44:45]
.LBB63_1027:                            ;   in Loop: Header=BB63_3 Depth=1
	s_or_b32 exec_lo, exec_lo, s56
	s_mov_b32 s60, 0
	s_mov_b32 s61, 0
	ds_store_b64 v92, v[40:41]
	s_wait_dscnt 0x0
	s_barrier_signal -1
	s_barrier_wait -1
                                        ; implicit-def: $vgpr44_vgpr45
	s_and_saveexec_b32 s84, s3
	s_cbranch_execz .LBB63_1071
; %bb.1028:                             ;   in Loop: Header=BB63_3 Depth=1
	ds_load_2addr_stride64_b64 v[44:47], v93 offset0:1 offset1:2
	ds_load_2addr_stride64_b64 v[98:101], v93 offset0:3 offset1:4
	;; [unrolled: 1-line block ×3, first 2 shown]
	s_mov_b32 s61, exec_lo
	s_wait_dscnt 0x2
	v_pk_add_f32 v[40:41], v[40:41], v[44:45]
	s_delay_alu instid0(VALU_DEP_1) | instskip(SKIP_3) | instid1(VALU_DEP_1)
	v_pk_add_f32 v[40:41], v[40:41], v[46:47]
	ds_load_2addr_stride64_b64 v[44:47], v93 offset0:7 offset1:8
	s_wait_dscnt 0x2
	v_pk_add_f32 v[40:41], v[40:41], v[98:99]
	v_pk_add_f32 v[40:41], v[40:41], v[100:101]
	ds_load_2addr_stride64_b64 v[98:101], v93 offset0:9 offset1:10
	s_wait_dscnt 0x2
	v_pk_add_f32 v[40:41], v[40:41], v[102:103]
	s_delay_alu instid0(VALU_DEP_1) | instskip(SKIP_3) | instid1(VALU_DEP_1)
	v_pk_add_f32 v[40:41], v[40:41], v[104:105]
	ds_load_2addr_stride64_b64 v[102:105], v93 offset0:11 offset1:12
	s_wait_dscnt 0x2
	v_pk_add_f32 v[40:41], v[40:41], v[44:45]
	v_pk_add_f32 v[40:41], v[40:41], v[46:47]
	ds_load_2addr_stride64_b64 v[44:47], v93 offset0:13 offset1:14
	s_wait_dscnt 0x2
	v_pk_add_f32 v[40:41], v[40:41], v[98:99]
	ds_load_b64 v[98:99], v93 offset:7680
	v_pk_add_f32 v[40:41], v[40:41], v[100:101]
	s_wait_dscnt 0x2
	s_delay_alu instid0(VALU_DEP_1) | instskip(NEXT) | instid1(VALU_DEP_1)
	v_pk_add_f32 v[40:41], v[40:41], v[102:103]
	v_pk_add_f32 v[40:41], v[40:41], v[104:105]
	s_wait_dscnt 0x1
	s_delay_alu instid0(VALU_DEP_1) | instskip(NEXT) | instid1(VALU_DEP_1)
	v_pk_add_f32 v[40:41], v[40:41], v[44:45]
	v_pk_add_f32 v[40:41], v[40:41], v[46:47]
	s_wait_dscnt 0x0
	s_delay_alu instid0(VALU_DEP_1) | instskip(SKIP_1) | instid1(SALU_CYCLE_1)
	v_pk_add_f32 v[44:45], v[40:41], v[98:99]
	s_or_b32 exec_lo, exec_lo, s84
	s_and_b32 vcc_lo, exec_lo, s60
	s_cbranch_vccnz .LBB63_1030
	s_branch .LBB63_1072
.LBB63_1029:                            ;   in Loop: Header=BB63_3 Depth=1
	s_mov_b32 s61, 0
                                        ; implicit-def: $vgpr44_vgpr45
	s_cbranch_execz .LBB63_1072
.LBB63_1030:                            ;   in Loop: Header=BB63_3 Depth=1
	v_dual_mov_b32 v2, v6 :: v_dual_mov_b32 v5, v90
	s_mov_b32 s60, 0
	s_branch .LBB63_1032
.LBB63_1031:                            ;   in Loop: Header=BB63_1032 Depth=2
	s_or_b32 exec_lo, exec_lo, s56
	v_add_nc_u32_e32 v5, 0x800, v5
	v_add_nc_u32_e32 v2, -4, v2
	s_add_co_i32 s60, s60, 4
	s_delay_alu instid0(SALU_CYCLE_1)
	s_cmp_lg_u32 s60, 64
	s_barrier_signal -1
	s_barrier_wait -1
	s_cbranch_scc0 .LBB63_1048
.LBB63_1032:                            ;   Parent Loop BB63_3 Depth=1
                                        ; =>  This Inner Loop Header: Depth=2
	s_delay_alu instid0(VALU_DEP_1) | instskip(SKIP_1) | instid1(SALU_CYCLE_1)
	v_cmp_eq_u32_e32 vcc_lo, 0, v2
	s_and_b32 s55, s3, vcc_lo
	s_and_saveexec_b32 s56, s55
; %bb.1033:                             ;   in Loop: Header=BB63_1032 Depth=2
	ds_store_b64 v3, v[42:43] offset:41472
; %bb.1034:                             ;   in Loop: Header=BB63_1032 Depth=2
	s_or_b32 exec_lo, exec_lo, s56
	v_cmp_lt_u32_e32 vcc_lo, s60, v6
	s_wait_dscnt 0x0
	s_barrier_signal -1
	s_barrier_wait -1
	s_and_b32 s55, s3, vcc_lo
	s_delay_alu instid0(SALU_CYCLE_1)
	s_and_saveexec_b32 s56, s55
	s_cbranch_execz .LBB63_1036
; %bb.1035:                             ;   in Loop: Header=BB63_1032 Depth=2
	ds_load_b64 v[40:41], v5
	ds_load_b64 v[44:45], v3 offset:41472
	s_wait_dscnt 0x0
	v_pk_mul_f32 v[46:47], v[44:45], v[40:41] op_sel:[1,1] op_sel_hi:[0,1]
	s_delay_alu instid0(VALU_DEP_1) | instskip(SKIP_1) | instid1(VALU_DEP_2)
	v_pk_fma_f32 v[98:99], v[44:45], v[40:41], v[46:47] op_sel_hi:[1,0,1]
	v_pk_fma_f32 v[40:41], v[44:45], v[40:41], v[46:47] neg_lo:[0,0,1] neg_hi:[0,0,1]
	v_mov_b32_e32 v41, v99
	s_delay_alu instid0(VALU_DEP_1)
	v_pk_add_f32 v[42:43], v[42:43], v[40:41]
.LBB63_1036:                            ;   in Loop: Header=BB63_1032 Depth=2
	s_or_b32 exec_lo, exec_lo, s56
	s_or_b32 s56, s60, 1
	s_delay_alu instid0(SALU_CYCLE_1) | instskip(SKIP_3) | instid1(SALU_CYCLE_1)
	v_cmp_eq_u32_e32 vcc_lo, s56, v6
	s_barrier_signal -1
	s_barrier_wait -1
	s_and_b32 s55, s3, vcc_lo
	s_and_saveexec_b32 s84, s55
; %bb.1037:                             ;   in Loop: Header=BB63_1032 Depth=2
	ds_store_b64 v3, v[42:43] offset:41472
; %bb.1038:                             ;   in Loop: Header=BB63_1032 Depth=2
	s_or_b32 exec_lo, exec_lo, s84
	v_cmp_lt_u32_e32 vcc_lo, s56, v6
	s_wait_dscnt 0x0
	s_barrier_signal -1
	s_barrier_wait -1
	s_and_b32 s55, s3, vcc_lo
	s_delay_alu instid0(SALU_CYCLE_1)
	s_and_saveexec_b32 s56, s55
	s_cbranch_execz .LBB63_1040
; %bb.1039:                             ;   in Loop: Header=BB63_1032 Depth=2
	ds_load_b64 v[40:41], v5 offset:512
	ds_load_b64 v[44:45], v3 offset:41472
	s_wait_dscnt 0x0
	v_pk_mul_f32 v[46:47], v[44:45], v[40:41] op_sel:[1,1] op_sel_hi:[0,1]
	s_delay_alu instid0(VALU_DEP_1) | instskip(SKIP_1) | instid1(VALU_DEP_2)
	v_pk_fma_f32 v[98:99], v[44:45], v[40:41], v[46:47] op_sel_hi:[1,0,1]
	v_pk_fma_f32 v[40:41], v[44:45], v[40:41], v[46:47] neg_lo:[0,0,1] neg_hi:[0,0,1]
	v_mov_b32_e32 v41, v99
	s_delay_alu instid0(VALU_DEP_1)
	v_pk_add_f32 v[42:43], v[42:43], v[40:41]
.LBB63_1040:                            ;   in Loop: Header=BB63_1032 Depth=2
	s_or_b32 exec_lo, exec_lo, s56
	s_or_b32 s56, s60, 2
	s_delay_alu instid0(SALU_CYCLE_1) | instskip(SKIP_3) | instid1(SALU_CYCLE_1)
	v_cmp_eq_u32_e32 vcc_lo, s56, v6
	s_barrier_signal -1
	s_barrier_wait -1
	s_and_b32 s55, s3, vcc_lo
	s_and_saveexec_b32 s84, s55
; %bb.1041:                             ;   in Loop: Header=BB63_1032 Depth=2
	ds_store_b64 v3, v[42:43] offset:41472
; %bb.1042:                             ;   in Loop: Header=BB63_1032 Depth=2
	s_or_b32 exec_lo, exec_lo, s84
	v_cmp_lt_u32_e32 vcc_lo, s56, v6
	s_wait_dscnt 0x0
	s_barrier_signal -1
	s_barrier_wait -1
	s_and_b32 s55, s3, vcc_lo
	s_delay_alu instid0(SALU_CYCLE_1)
	s_and_saveexec_b32 s56, s55
	s_cbranch_execz .LBB63_1044
; %bb.1043:                             ;   in Loop: Header=BB63_1032 Depth=2
	ds_load_b64 v[40:41], v5 offset:1024
	ds_load_b64 v[44:45], v3 offset:41472
	s_wait_dscnt 0x0
	v_pk_mul_f32 v[46:47], v[44:45], v[40:41] op_sel:[1,1] op_sel_hi:[0,1]
	s_delay_alu instid0(VALU_DEP_1) | instskip(SKIP_1) | instid1(VALU_DEP_2)
	v_pk_fma_f32 v[98:99], v[44:45], v[40:41], v[46:47] op_sel_hi:[1,0,1]
	v_pk_fma_f32 v[40:41], v[44:45], v[40:41], v[46:47] neg_lo:[0,0,1] neg_hi:[0,0,1]
	v_mov_b32_e32 v41, v99
	s_delay_alu instid0(VALU_DEP_1)
	v_pk_add_f32 v[42:43], v[42:43], v[40:41]
.LBB63_1044:                            ;   in Loop: Header=BB63_1032 Depth=2
	s_or_b32 exec_lo, exec_lo, s56
	s_or_b32 s56, s60, 3
	s_delay_alu instid0(SALU_CYCLE_1) | instskip(SKIP_3) | instid1(SALU_CYCLE_1)
	v_cmp_eq_u32_e32 vcc_lo, s56, v6
	s_barrier_signal -1
	s_barrier_wait -1
	s_and_b32 s55, s3, vcc_lo
	s_and_saveexec_b32 s84, s55
; %bb.1045:                             ;   in Loop: Header=BB63_1032 Depth=2
	ds_store_b64 v3, v[42:43] offset:41472
; %bb.1046:                             ;   in Loop: Header=BB63_1032 Depth=2
	s_or_b32 exec_lo, exec_lo, s84
	v_cmp_lt_u32_e32 vcc_lo, s56, v6
	s_wait_dscnt 0x0
	s_barrier_signal -1
	s_barrier_wait -1
	s_and_b32 s55, s3, vcc_lo
	s_delay_alu instid0(SALU_CYCLE_1)
	s_and_saveexec_b32 s56, s55
	s_cbranch_execz .LBB63_1031
; %bb.1047:                             ;   in Loop: Header=BB63_1032 Depth=2
	ds_load_b64 v[40:41], v5 offset:1536
	ds_load_b64 v[44:45], v3 offset:41472
	s_wait_dscnt 0x0
	v_pk_mul_f32 v[46:47], v[44:45], v[40:41] op_sel:[1,1] op_sel_hi:[0,1]
	s_delay_alu instid0(VALU_DEP_1) | instskip(SKIP_1) | instid1(VALU_DEP_2)
	v_pk_fma_f32 v[98:99], v[44:45], v[40:41], v[46:47] op_sel_hi:[1,0,1]
	v_pk_fma_f32 v[40:41], v[44:45], v[40:41], v[46:47] neg_lo:[0,0,1] neg_hi:[0,0,1]
	v_mov_b32_e32 v41, v99
	s_delay_alu instid0(VALU_DEP_1)
	v_pk_add_f32 v[42:43], v[42:43], v[40:41]
	s_branch .LBB63_1031
.LBB63_1048:                            ;   in Loop: Header=BB63_3 Depth=1
	s_and_b32 vcc_lo, exec_lo, s90
	s_mov_b32 s56, -1
	s_cbranch_vccz .LBB63_1050
; %bb.1049:                             ;   in Loop: Header=BB63_3 Depth=1
	s_and_not1_b32 s55, s61, exec_lo
	s_and_b32 s57, s3, exec_lo
	s_mov_b32 s56, 0
	s_or_b32 s61, s55, s57
.LBB63_1050:                            ;   in Loop: Header=BB63_3 Depth=1
	s_and_not1_b32 vcc_lo, exec_lo, s56
	s_cbranch_vccnz .LBB63_1052
; %bb.1051:                             ;   in Loop: Header=BB63_3 Depth=1
	v_readlane_b32 s56, v107, 9
	s_and_not1_b32 s55, s61, exec_lo
	s_and_b32 s56, s56, exec_lo
	s_delay_alu instid0(SALU_CYCLE_1)
	s_or_b32 s61, s55, s56
.LBB63_1052:                            ;   in Loop: Header=BB63_3 Depth=1
	v_mov_b64_e32 v[40:41], v[0:1]
	s_and_saveexec_b32 s56, s61
	s_cbranch_execnz .LBB63_1073
	s_branch .LBB63_1074
.LBB63_1053:                            ;   in Loop: Header=BB63_3 Depth=1
	v_readlane_b32 s55, v107, 22
	s_and_saveexec_b32 s60, s55
; %bb.1054:                             ;   in Loop: Header=BB63_3 Depth=1
	ds_store_b64 v84, v[28:29]
; %bb.1055:                             ;   in Loop: Header=BB63_3 Depth=1
	s_or_b32 exec_lo, exec_lo, s60
	s_and_not1_saveexec_b32 s56, s56
	s_cbranch_execz .LBB63_16
.LBB63_1056:                            ;   in Loop: Header=BB63_3 Depth=1
	v_lshl_add_u64 v[44:45], v[24:25], 3, v[42:43]
	global_load_b64 v[44:45], v[44:45], off
	s_wait_loadcnt 0x0
	v_xor_b32_e32 v44, 0x80000000, v44
	ds_store_b64 v84, v[44:45]
	s_or_b32 exec_lo, exec_lo, s56
	s_and_saveexec_b32 s56, s7
	s_delay_alu instid0(SALU_CYCLE_1)
	s_xor_b32 s56, exec_lo, s56
	s_cbranch_execz .LBB63_17
.LBB63_1057:                            ;   in Loop: Header=BB63_3 Depth=1
	v_readlane_b32 s55, v106, 2
	s_and_saveexec_b32 s60, s55
; %bb.1058:                             ;   in Loop: Header=BB63_3 Depth=1
	ds_store_b64 v85, v[28:29]
; %bb.1059:                             ;   in Loop: Header=BB63_3 Depth=1
	s_or_b32 exec_lo, exec_lo, s60
	s_and_not1_saveexec_b32 s56, s56
	s_cbranch_execz .LBB63_18
.LBB63_1060:                            ;   in Loop: Header=BB63_3 Depth=1
	v_lshl_add_u64 v[44:45], v[16:17], 3, v[42:43]
	global_load_b64 v[44:45], v[44:45], off
	s_wait_loadcnt 0x0
	v_xor_b32_e32 v44, 0x80000000, v44
	ds_store_b64 v85, v[44:45]
	s_or_b32 exec_lo, exec_lo, s56
	s_and_saveexec_b32 s56, s8
	s_delay_alu instid0(SALU_CYCLE_1)
	s_xor_b32 s56, exec_lo, s56
	s_cbranch_execz .LBB63_19
.LBB63_1061:                            ;   in Loop: Header=BB63_3 Depth=1
	v_readlane_b32 s55, v106, 3
	s_and_saveexec_b32 s60, s55
; %bb.1062:                             ;   in Loop: Header=BB63_3 Depth=1
	ds_store_b64 v86, v[28:29]
; %bb.1063:                             ;   in Loop: Header=BB63_3 Depth=1
	s_or_b32 exec_lo, exec_lo, s60
	s_and_not1_saveexec_b32 s56, s56
	s_cbranch_execz .LBB63_20
.LBB63_1064:                            ;   in Loop: Header=BB63_3 Depth=1
	v_lshl_add_u64 v[44:45], v[18:19], 3, v[42:43]
	global_load_b64 v[44:45], v[44:45], off
	s_wait_loadcnt 0x0
	v_xor_b32_e32 v44, 0x80000000, v44
	ds_store_b64 v86, v[44:45]
	s_or_b32 exec_lo, exec_lo, s56
	s_and_saveexec_b32 s56, s9
	s_delay_alu instid0(SALU_CYCLE_1)
	s_xor_b32 s56, exec_lo, s56
	s_cbranch_execz .LBB63_21
.LBB63_1065:                            ;   in Loop: Header=BB63_3 Depth=1
	v_readlane_b32 s55, v106, 4
	s_and_saveexec_b32 s60, s55
; %bb.1066:                             ;   in Loop: Header=BB63_3 Depth=1
	ds_store_b64 v87, v[28:29]
; %bb.1067:                             ;   in Loop: Header=BB63_3 Depth=1
	s_or_b32 exec_lo, exec_lo, s60
	s_and_not1_saveexec_b32 s56, s56
	s_cbranch_execnz .LBB63_22
	s_branch .LBB63_23
.LBB63_1068:                            ;   in Loop: Header=BB63_3 Depth=1
	ds_load_b64 v[40:41], v94
	ds_load_b64 v[44:45], v88
	s_wait_dscnt 0x0
	v_dual_mul_f32 v2, v45, v41 :: v_dual_mul_f32 v5, v44, v41
	s_delay_alu instid0(VALU_DEP_1) | instskip(NEXT) | instid1(VALU_DEP_1)
	v_dual_fma_f32 v2, v44, v40, -v2 :: v_dual_fmac_f32 v5, v45, v40
	v_dual_add_f32 v40, 0, v2 :: v_dual_add_f32 v41, 0, v5
	s_or_b32 exec_lo, exec_lo, s56
	s_and_saveexec_b32 s56, s7
	s_cbranch_execz .LBB63_1024
.LBB63_1069:                            ;   in Loop: Header=BB63_3 Depth=1
	ds_load_b64 v[44:45], v94 offset:8192
	ds_load_b64 v[46:47], v88 offset:128
	s_wait_dscnt 0x0
	v_dual_mul_f32 v2, v47, v45 :: v_dual_mul_f32 v99, v46, v45
	s_delay_alu instid0(VALU_DEP_1) | instskip(NEXT) | instid1(VALU_DEP_1)
	v_dual_fma_f32 v98, v46, v44, -v2 :: v_dual_fmac_f32 v99, v47, v44
	v_pk_add_f32 v[40:41], v[40:41], v[98:99]
	s_or_b32 exec_lo, exec_lo, s56
	s_and_saveexec_b32 s56, s8
	s_cbranch_execz .LBB63_1025
.LBB63_1070:                            ;   in Loop: Header=BB63_3 Depth=1
	ds_load_b64 v[44:45], v94 offset:16384
	ds_load_b64 v[46:47], v88 offset:256
	s_wait_dscnt 0x0
	v_pk_mul_f32 v[98:99], v[46:47], v[44:45] op_sel:[1,1] op_sel_hi:[0,1]
	s_delay_alu instid0(VALU_DEP_1) | instskip(SKIP_1) | instid1(VALU_DEP_2)
	v_pk_fma_f32 v[100:101], v[46:47], v[44:45], v[98:99] op_sel_hi:[1,0,1]
	v_pk_fma_f32 v[44:45], v[46:47], v[44:45], v[98:99] neg_lo:[0,0,1] neg_hi:[0,0,1]
	v_mov_b32_e32 v45, v101
	s_delay_alu instid0(VALU_DEP_1)
	v_pk_add_f32 v[40:41], v[40:41], v[44:45]
	s_or_b32 exec_lo, exec_lo, s56
	s_and_saveexec_b32 s56, s9
	s_cbranch_execnz .LBB63_1026
	s_branch .LBB63_1027
.LBB63_1071:                            ;   in Loop: Header=BB63_3 Depth=1
	s_or_b32 exec_lo, exec_lo, s84
	s_delay_alu instid0(SALU_CYCLE_1)
	s_and_b32 vcc_lo, exec_lo, s60
	s_cbranch_vccnz .LBB63_1030
.LBB63_1072:                            ;   in Loop: Header=BB63_3 Depth=1
	v_mov_b64_e32 v[42:43], v[44:45]
	v_mov_b64_e32 v[40:41], v[22:23]
	s_and_saveexec_b32 s56, s61
	s_cbranch_execz .LBB63_1074
.LBB63_1073:                            ;   in Loop: Header=BB63_3 Depth=1
	s_delay_alu instid0(VALU_DEP_1)
	v_lshl_add_u64 v[40:41], v[40:41], 3, s[82:83]
	global_store_b64 v[40:41], v[42:43], off
.LBB63_1074:                            ;   in Loop: Header=BB63_3 Depth=1
	s_wait_xcnt 0x0
	s_or_b32 exec_lo, exec_lo, s56
	global_wb scope:SCOPE_DEV
	s_wait_storecnt 0x0
	global_inv scope:SCOPE_DEV
	s_wait_loadcnt 0x0
	s_barrier_signal -1
	s_barrier_wait -1
	s_and_saveexec_b32 s56, s33
	s_cbranch_execz .LBB63_2
; %bb.1075:                             ;   in Loop: Header=BB63_3 Depth=1
	s_lshl_b64 s[60:61], s[72:73], 2
	s_delay_alu instid0(SALU_CYCLE_1)
	s_add_nc_u64 s[60:61], s[74:75], s[60:61]
	global_load_b32 v2, v3, s[60:61]
	s_wait_loadcnt 0x0
	v_add_nc_u32_e32 v2, 1, v2
	global_store_b32 v3, v2, s[60:61]
	s_branch .LBB63_2
.LBB63_1076:                            ;   in Loop: Header=BB63_3 Depth=1
	ds_load_b64 v[44:45], v68 offset:31680
	ds_load_b64 v[46:47], v57 offset:32744
	s_wait_dscnt 0x0
	v_dual_mul_f32 v2, v47, v45 :: v_dual_mul_f32 v5, v46, v45
	s_delay_alu instid0(VALU_DEP_1) | instskip(NEXT) | instid1(VALU_DEP_1)
	v_dual_fma_f32 v2, v46, v44, -v2 :: v_dual_fmac_f32 v5, v47, v44
	v_dual_add_f32 v42, v42, v2 :: v_dual_add_f32 v43, v43, v5
	s_or_b32 exec_lo, exec_lo, s56
	s_and_saveexec_b32 s56, s14
	s_cbranch_execz .LBB63_72
.LBB63_1077:                            ;   in Loop: Header=BB63_3 Depth=1
	ds_load_b64 v[44:45], v68 offset:32192
	ds_load_b64 v[46:47], v57 offset:32752
	s_wait_dscnt 0x0
	v_dual_mul_f32 v2, v47, v45 :: v_dual_mul_f32 v99, v46, v45
	s_delay_alu instid0(VALU_DEP_1) | instskip(NEXT) | instid1(VALU_DEP_1)
	v_dual_fma_f32 v98, v46, v44, -v2 :: v_dual_fmac_f32 v99, v47, v44
	v_pk_add_f32 v[42:43], v[42:43], v[98:99]
	s_or_b32 exec_lo, exec_lo, s56
	s_and_saveexec_b32 s56, s2
	s_cbranch_execnz .LBB63_73
	s_branch .LBB63_74
.LBB63_1078:                            ;   in Loop: Header=BB63_3 Depth=1
	ds_load_b64 v[44:45], v70 offset:29568
	ds_load_b64 v[46:47], v61 offset:32712
	s_wait_dscnt 0x0
	v_dual_mul_f32 v2, v47, v45 :: v_dual_mul_f32 v5, v46, v45
	s_delay_alu instid0(VALU_DEP_1) | instskip(NEXT) | instid1(VALU_DEP_1)
	v_dual_fma_f32 v2, v46, v44, -v2 :: v_dual_fmac_f32 v5, v47, v44
	v_dual_add_f32 v42, v42, v2 :: v_dual_add_f32 v43, v43, v5
	s_or_b32 exec_lo, exec_lo, s56
	s_and_saveexec_b32 s56, s16
	s_cbranch_execz .LBB63_114
.LBB63_1079:                            ;   in Loop: Header=BB63_3 Depth=1
	ds_load_b64 v[44:45], v70 offset:30080
	ds_load_b64 v[46:47], v61 offset:32720
	s_wait_dscnt 0x0
	v_dual_mul_f32 v2, v47, v45 :: v_dual_mul_f32 v5, v46, v45
	s_delay_alu instid0(VALU_DEP_1) | instskip(NEXT) | instid1(VALU_DEP_1)
	v_dual_fma_f32 v2, v46, v44, -v2 :: v_dual_fmac_f32 v5, v47, v44
	v_dual_add_f32 v42, v42, v2 :: v_dual_add_f32 v43, v43, v5
	s_or_b32 exec_lo, exec_lo, s56
	s_and_saveexec_b32 s56, s17
	s_cbranch_execz .LBB63_115
.LBB63_1080:                            ;   in Loop: Header=BB63_3 Depth=1
	ds_load_b64 v[44:45], v70 offset:30592
	ds_load_b64 v[46:47], v61 offset:32728
	s_wait_dscnt 0x0
	v_dual_mul_f32 v2, v47, v45 :: v_dual_mul_f32 v5, v46, v45
	s_delay_alu instid0(VALU_DEP_1) | instskip(NEXT) | instid1(VALU_DEP_1)
	v_dual_fma_f32 v2, v46, v44, -v2 :: v_dual_fmac_f32 v5, v47, v44
	v_dual_add_f32 v42, v42, v2 :: v_dual_add_f32 v43, v43, v5
	s_or_b32 exec_lo, exec_lo, s56
	s_and_saveexec_b32 s56, s18
	s_cbranch_execz .LBB63_116
.LBB63_1081:                            ;   in Loop: Header=BB63_3 Depth=1
	ds_load_b64 v[44:45], v70 offset:31104
	ds_load_b64 v[46:47], v61 offset:32736
	s_wait_dscnt 0x0
	v_dual_mul_f32 v2, v47, v45 :: v_dual_mul_f32 v99, v46, v45
	s_delay_alu instid0(VALU_DEP_1) | instskip(NEXT) | instid1(VALU_DEP_1)
	v_dual_fma_f32 v98, v46, v44, -v2 :: v_dual_fmac_f32 v99, v47, v44
	v_pk_add_f32 v[42:43], v[42:43], v[98:99]
	s_or_b32 exec_lo, exec_lo, s56
	s_and_saveexec_b32 s56, s19
	s_cbranch_execz .LBB63_117
.LBB63_1082:                            ;   in Loop: Header=BB63_3 Depth=1
	ds_load_b64 v[44:45], v70 offset:31616
	ds_load_b64 v[46:47], v61 offset:32744
	s_wait_dscnt 0x0
	v_pk_mul_f32 v[98:99], v[46:47], v[44:45] op_sel:[1,1] op_sel_hi:[0,1]
	s_delay_alu instid0(VALU_DEP_1) | instskip(SKIP_1) | instid1(VALU_DEP_2)
	v_pk_fma_f32 v[100:101], v[46:47], v[44:45], v[98:99] op_sel_hi:[1,0,1]
	v_pk_fma_f32 v[44:45], v[46:47], v[44:45], v[98:99] neg_lo:[0,0,1] neg_hi:[0,0,1]
	v_mov_b32_e32 v45, v101
	s_delay_alu instid0(VALU_DEP_1)
	v_pk_add_f32 v[42:43], v[42:43], v[44:45]
	s_or_b32 exec_lo, exec_lo, s56
	s_and_saveexec_b32 s56, s4
	s_cbranch_execz .LBB63_118
.LBB63_1083:                            ;   in Loop: Header=BB63_3 Depth=1
	ds_load_b64 v[44:45], v70 offset:32128
	ds_load_b64 v[46:47], v61 offset:32752
	s_wait_dscnt 0x0
	v_pk_mul_f32 v[98:99], v[46:47], v[44:45] op_sel:[1,1] op_sel_hi:[0,1]
	s_delay_alu instid0(VALU_DEP_1) | instskip(SKIP_1) | instid1(VALU_DEP_2)
	v_pk_fma_f32 v[100:101], v[46:47], v[44:45], v[98:99] op_sel_hi:[1,0,1]
	v_pk_fma_f32 v[44:45], v[46:47], v[44:45], v[98:99] neg_lo:[0,0,1] neg_hi:[0,0,1]
	v_mov_b32_e32 v45, v101
	s_delay_alu instid0(VALU_DEP_1)
	v_pk_add_f32 v[42:43], v[42:43], v[44:45]
	s_or_b32 exec_lo, exec_lo, s56
	s_and_saveexec_b32 s56, s14
	s_cbranch_execnz .LBB63_119
	s_branch .LBB63_120
.LBB63_1084:                            ;   in Loop: Header=BB63_3 Depth=1
	ds_load_b64 v[44:45], v68 offset:27520
	ds_load_b64 v[46:47], v57 offset:28584
	s_wait_dscnt 0x0
	v_dual_mul_f32 v2, v47, v45 :: v_dual_mul_f32 v5, v46, v45
	s_delay_alu instid0(VALU_DEP_1) | instskip(NEXT) | instid1(VALU_DEP_1)
	v_dual_fma_f32 v2, v46, v44, -v2 :: v_dual_fmac_f32 v5, v47, v44
	v_dual_add_f32 v42, v42, v2 :: v_dual_add_f32 v43, v43, v5
	s_or_b32 exec_lo, exec_lo, s56
	s_and_saveexec_b32 s56, s14
	s_cbranch_execz .LBB63_176
.LBB63_1085:                            ;   in Loop: Header=BB63_3 Depth=1
	ds_load_b64 v[44:45], v68 offset:28032
	ds_load_b64 v[46:47], v57 offset:28592
	s_wait_dscnt 0x0
	v_dual_mul_f32 v2, v47, v45 :: v_dual_mul_f32 v99, v46, v45
	s_delay_alu instid0(VALU_DEP_1) | instskip(NEXT) | instid1(VALU_DEP_1)
	v_dual_fma_f32 v98, v46, v44, -v2 :: v_dual_fmac_f32 v99, v47, v44
	v_pk_add_f32 v[42:43], v[42:43], v[98:99]
	s_or_b32 exec_lo, exec_lo, s56
	s_and_saveexec_b32 s56, s2
	s_cbranch_execnz .LBB63_177
	s_branch .LBB63_178
.LBB63_1086:                            ;   in Loop: Header=BB63_3 Depth=1
	ds_load_b64 v[44:45], v72 offset:30464
	ds_load_b64 v[46:47], v63 offset:32728
	s_wait_dscnt 0x0
	v_dual_mul_f32 v2, v47, v45 :: v_dual_mul_f32 v5, v46, v45
	s_delay_alu instid0(VALU_DEP_1) | instskip(NEXT) | instid1(VALU_DEP_1)
	v_dual_fma_f32 v2, v46, v44, -v2 :: v_dual_fmac_f32 v5, v47, v44
	v_dual_add_f32 v42, v42, v2 :: v_dual_add_f32 v43, v43, v5
	s_or_b32 exec_lo, exec_lo, s56
	s_and_saveexec_b32 s56, s5
	s_cbranch_execz .LBB63_238
.LBB63_1087:                            ;   in Loop: Header=BB63_3 Depth=1
	ds_load_b64 v[44:45], v72 offset:30976
	ds_load_b64 v[46:47], v63 offset:32736
	s_wait_dscnt 0x0
	v_dual_mul_f32 v2, v47, v45 :: v_dual_mul_f32 v5, v46, v45
	s_delay_alu instid0(VALU_DEP_1) | instskip(NEXT) | instid1(VALU_DEP_1)
	v_dual_fma_f32 v2, v46, v44, -v2 :: v_dual_fmac_f32 v5, v47, v44
	v_dual_add_f32 v42, v42, v2 :: v_dual_add_f32 v43, v43, v5
	s_or_b32 exec_lo, exec_lo, s56
	s_and_saveexec_b32 s56, s16
	s_cbranch_execz .LBB63_239
.LBB63_1088:                            ;   in Loop: Header=BB63_3 Depth=1
	ds_load_b64 v[44:45], v72 offset:31488
	ds_load_b64 v[46:47], v63 offset:32744
	s_wait_dscnt 0x0
	v_dual_mul_f32 v2, v47, v45 :: v_dual_mul_f32 v5, v46, v45
	s_delay_alu instid0(VALU_DEP_1) | instskip(NEXT) | instid1(VALU_DEP_1)
	v_dual_fma_f32 v2, v46, v44, -v2 :: v_dual_fmac_f32 v5, v47, v44
	v_dual_add_f32 v42, v42, v2 :: v_dual_add_f32 v43, v43, v5
	s_or_b32 exec_lo, exec_lo, s56
	s_and_saveexec_b32 s56, s18
	s_cbranch_execz .LBB63_240
.LBB63_1089:                            ;   in Loop: Header=BB63_3 Depth=1
	ds_load_b64 v[44:45], v72 offset:32000
	ds_load_b64 v[46:47], v63 offset:32752
	s_wait_dscnt 0x0
	v_dual_mul_f32 v2, v47, v45 :: v_dual_mul_f32 v99, v46, v45
	s_delay_alu instid0(VALU_DEP_1) | instskip(NEXT) | instid1(VALU_DEP_1)
	v_dual_fma_f32 v98, v46, v44, -v2 :: v_dual_fmac_f32 v99, v47, v44
	v_pk_add_f32 v[42:43], v[42:43], v[98:99]
	s_or_b32 exec_lo, exec_lo, s56
	s_and_saveexec_b32 s56, s4
	s_cbranch_execnz .LBB63_241
	s_branch .LBB63_242
.LBB63_1090:                            ;   in Loop: Header=BB63_3 Depth=1
	ds_load_b64 v[44:45], v68 offset:23360
	ds_load_b64 v[46:47], v57 offset:24424
	s_wait_dscnt 0x0
	v_dual_mul_f32 v2, v47, v45 :: v_dual_mul_f32 v5, v46, v45
	s_delay_alu instid0(VALU_DEP_1) | instskip(NEXT) | instid1(VALU_DEP_1)
	v_dual_fma_f32 v2, v46, v44, -v2 :: v_dual_fmac_f32 v5, v47, v44
	v_dual_add_f32 v42, v42, v2 :: v_dual_add_f32 v43, v43, v5
	s_or_b32 exec_lo, exec_lo, s56
	s_and_saveexec_b32 s56, s14
	s_cbranch_execz .LBB63_330
.LBB63_1091:                            ;   in Loop: Header=BB63_3 Depth=1
	ds_load_b64 v[44:45], v68 offset:23872
	ds_load_b64 v[46:47], v57 offset:24432
	s_wait_dscnt 0x0
	v_dual_mul_f32 v2, v47, v45 :: v_dual_mul_f32 v99, v46, v45
	s_delay_alu instid0(VALU_DEP_1) | instskip(NEXT) | instid1(VALU_DEP_1)
	v_dual_fma_f32 v98, v46, v44, -v2 :: v_dual_fmac_f32 v99, v47, v44
	v_pk_add_f32 v[42:43], v[42:43], v[98:99]
	s_or_b32 exec_lo, exec_lo, s56
	s_and_saveexec_b32 s56, s2
	s_cbranch_execnz .LBB63_331
	s_branch .LBB63_332
.LBB63_1092:                            ;   in Loop: Header=BB63_3 Depth=1
	ds_load_b64 v[44:45], v70 offset:21248
	ds_load_b64 v[46:47], v61 offset:24392
	s_wait_dscnt 0x0
	v_dual_mul_f32 v2, v47, v45 :: v_dual_mul_f32 v5, v46, v45
	s_delay_alu instid0(VALU_DEP_1) | instskip(NEXT) | instid1(VALU_DEP_1)
	v_dual_fma_f32 v2, v46, v44, -v2 :: v_dual_fmac_f32 v5, v47, v44
	v_dual_add_f32 v42, v42, v2 :: v_dual_add_f32 v43, v43, v5
	s_or_b32 exec_lo, exec_lo, s56
	s_and_saveexec_b32 s56, s16
	s_cbranch_execz .LBB63_372
.LBB63_1093:                            ;   in Loop: Header=BB63_3 Depth=1
	ds_load_b64 v[44:45], v70 offset:21760
	ds_load_b64 v[46:47], v61 offset:24400
	s_wait_dscnt 0x0
	v_dual_mul_f32 v2, v47, v45 :: v_dual_mul_f32 v5, v46, v45
	s_delay_alu instid0(VALU_DEP_1) | instskip(NEXT) | instid1(VALU_DEP_1)
	v_dual_fma_f32 v2, v46, v44, -v2 :: v_dual_fmac_f32 v5, v47, v44
	v_dual_add_f32 v42, v42, v2 :: v_dual_add_f32 v43, v43, v5
	s_or_b32 exec_lo, exec_lo, s56
	s_and_saveexec_b32 s56, s17
	s_cbranch_execz .LBB63_373
.LBB63_1094:                            ;   in Loop: Header=BB63_3 Depth=1
	ds_load_b64 v[44:45], v70 offset:22272
	ds_load_b64 v[46:47], v61 offset:24408
	s_wait_dscnt 0x0
	v_dual_mul_f32 v2, v47, v45 :: v_dual_mul_f32 v5, v46, v45
	s_delay_alu instid0(VALU_DEP_1) | instskip(NEXT) | instid1(VALU_DEP_1)
	v_dual_fma_f32 v2, v46, v44, -v2 :: v_dual_fmac_f32 v5, v47, v44
	v_dual_add_f32 v42, v42, v2 :: v_dual_add_f32 v43, v43, v5
	s_or_b32 exec_lo, exec_lo, s56
	s_and_saveexec_b32 s56, s18
	s_cbranch_execz .LBB63_374
.LBB63_1095:                            ;   in Loop: Header=BB63_3 Depth=1
	ds_load_b64 v[44:45], v70 offset:22784
	ds_load_b64 v[46:47], v61 offset:24416
	s_wait_dscnt 0x0
	v_dual_mul_f32 v2, v47, v45 :: v_dual_mul_f32 v99, v46, v45
	s_delay_alu instid0(VALU_DEP_1) | instskip(NEXT) | instid1(VALU_DEP_1)
	v_dual_fma_f32 v98, v46, v44, -v2 :: v_dual_fmac_f32 v99, v47, v44
	v_pk_add_f32 v[42:43], v[42:43], v[98:99]
	s_or_b32 exec_lo, exec_lo, s56
	s_and_saveexec_b32 s56, s19
	s_cbranch_execz .LBB63_375
.LBB63_1096:                            ;   in Loop: Header=BB63_3 Depth=1
	ds_load_b64 v[44:45], v70 offset:23296
	ds_load_b64 v[46:47], v61 offset:24424
	s_wait_dscnt 0x0
	v_pk_mul_f32 v[98:99], v[46:47], v[44:45] op_sel:[1,1] op_sel_hi:[0,1]
	s_delay_alu instid0(VALU_DEP_1) | instskip(SKIP_1) | instid1(VALU_DEP_2)
	v_pk_fma_f32 v[100:101], v[46:47], v[44:45], v[98:99] op_sel_hi:[1,0,1]
	v_pk_fma_f32 v[44:45], v[46:47], v[44:45], v[98:99] neg_lo:[0,0,1] neg_hi:[0,0,1]
	v_mov_b32_e32 v45, v101
	s_delay_alu instid0(VALU_DEP_1)
	v_pk_add_f32 v[42:43], v[42:43], v[44:45]
	s_or_b32 exec_lo, exec_lo, s56
	s_and_saveexec_b32 s56, s4
	s_cbranch_execz .LBB63_376
.LBB63_1097:                            ;   in Loop: Header=BB63_3 Depth=1
	ds_load_b64 v[44:45], v70 offset:23808
	ds_load_b64 v[46:47], v61 offset:24432
	s_wait_dscnt 0x0
	v_pk_mul_f32 v[98:99], v[46:47], v[44:45] op_sel:[1,1] op_sel_hi:[0,1]
	s_delay_alu instid0(VALU_DEP_1) | instskip(SKIP_1) | instid1(VALU_DEP_2)
	v_pk_fma_f32 v[100:101], v[46:47], v[44:45], v[98:99] op_sel_hi:[1,0,1]
	v_pk_fma_f32 v[44:45], v[46:47], v[44:45], v[98:99] neg_lo:[0,0,1] neg_hi:[0,0,1]
	v_mov_b32_e32 v45, v101
	s_delay_alu instid0(VALU_DEP_1)
	v_pk_add_f32 v[42:43], v[42:43], v[44:45]
	s_or_b32 exec_lo, exec_lo, s56
	s_and_saveexec_b32 s56, s14
	s_cbranch_execnz .LBB63_377
	s_branch .LBB63_378
.LBB63_1098:                            ;   in Loop: Header=BB63_3 Depth=1
	ds_load_b64 v[44:45], v68 offset:19200
	ds_load_b64 v[46:47], v57 offset:20264
	s_wait_dscnt 0x0
	v_dual_mul_f32 v2, v47, v45 :: v_dual_mul_f32 v5, v46, v45
	s_delay_alu instid0(VALU_DEP_1) | instskip(NEXT) | instid1(VALU_DEP_1)
	v_dual_fma_f32 v2, v46, v44, -v2 :: v_dual_fmac_f32 v5, v47, v44
	v_dual_add_f32 v42, v42, v2 :: v_dual_add_f32 v43, v43, v5
	s_or_b32 exec_lo, exec_lo, s56
	s_and_saveexec_b32 s56, s14
	s_cbranch_execz .LBB63_434
.LBB63_1099:                            ;   in Loop: Header=BB63_3 Depth=1
	ds_load_b64 v[44:45], v68 offset:19712
	ds_load_b64 v[46:47], v57 offset:20272
	s_wait_dscnt 0x0
	v_dual_mul_f32 v2, v47, v45 :: v_dual_mul_f32 v99, v46, v45
	s_delay_alu instid0(VALU_DEP_1) | instskip(NEXT) | instid1(VALU_DEP_1)
	v_dual_fma_f32 v98, v46, v44, -v2 :: v_dual_fmac_f32 v99, v47, v44
	v_pk_add_f32 v[42:43], v[42:43], v[98:99]
	s_or_b32 exec_lo, exec_lo, s56
	s_and_saveexec_b32 s56, s2
	s_cbranch_execnz .LBB63_435
	s_branch .LBB63_436
.LBB63_1100:                            ;   in Loop: Header=BB63_3 Depth=1
	ds_load_b64 v[44:45], v64 offset:31232
	ds_load_b64 v[46:47], v65 offset:32744
	s_wait_dscnt 0x0
	v_pk_mul_f32 v[98:99], v[46:47], v[44:45] op_sel:[1,1] op_sel_hi:[0,1]
	s_delay_alu instid0(VALU_DEP_1) | instskip(SKIP_1) | instid1(VALU_DEP_2)
	v_pk_fma_f32 v[100:101], v[46:47], v[44:45], v[98:99] op_sel_hi:[1,0,1]
	v_pk_fma_f32 v[44:45], v[46:47], v[44:45], v[98:99] neg_lo:[0,0,1] neg_hi:[0,0,1]
	v_mov_b32_e32 v45, v101
	s_delay_alu instid0(VALU_DEP_1)
	v_pk_add_f32 v[42:43], v[42:43], v[44:45]
	s_or_b32 exec_lo, exec_lo, s56
	s_and_saveexec_b32 s56, s5
	s_cbranch_execz .LBB63_532
.LBB63_1101:                            ;   in Loop: Header=BB63_3 Depth=1
	ds_load_b64 v[44:45], v64 offset:31744
	ds_load_b64 v[46:47], v65 offset:32752
	s_wait_dscnt 0x0
	v_pk_mul_f32 v[98:99], v[46:47], v[44:45] op_sel:[1,1] op_sel_hi:[0,1]
	s_delay_alu instid0(VALU_DEP_1) | instskip(SKIP_1) | instid1(VALU_DEP_2)
	v_pk_fma_f32 v[100:101], v[46:47], v[44:45], v[98:99] op_sel_hi:[1,0,1]
	v_pk_fma_f32 v[44:45], v[46:47], v[44:45], v[98:99] neg_lo:[0,0,1] neg_hi:[0,0,1]
	v_mov_b32_e32 v45, v101
	s_delay_alu instid0(VALU_DEP_1) | instskip(SKIP_2) | instid1(SALU_CYCLE_1)
	v_pk_add_f32 v[42:43], v[42:43], v[44:45]
	s_or_b32 exec_lo, exec_lo, s56
	s_and_saveexec_b32 s56, s18
	s_xor_b32 s56, exec_lo, s56
	s_cbranch_execnz .LBB63_533
	s_branch .LBB63_534
.LBB63_1102:                            ;   in Loop: Header=BB63_3 Depth=1
	ds_load_b64 v[44:45], v68 offset:15040
	ds_load_b64 v[46:47], v57 offset:16104
	s_wait_dscnt 0x0
	v_dual_mul_f32 v2, v47, v45 :: v_dual_mul_f32 v5, v46, v45
	s_delay_alu instid0(VALU_DEP_1) | instskip(NEXT) | instid1(VALU_DEP_1)
	v_dual_fma_f32 v2, v46, v44, -v2 :: v_dual_fmac_f32 v5, v47, v44
	v_dual_add_f32 v42, v42, v2 :: v_dual_add_f32 v43, v43, v5
	s_or_b32 exec_lo, exec_lo, s56
	s_and_saveexec_b32 s56, s14
	s_cbranch_execz .LBB63_578
.LBB63_1103:                            ;   in Loop: Header=BB63_3 Depth=1
	ds_load_b64 v[44:45], v68 offset:15552
	ds_load_b64 v[46:47], v57 offset:16112
	s_wait_dscnt 0x0
	v_dual_mul_f32 v2, v47, v45 :: v_dual_mul_f32 v99, v46, v45
	s_delay_alu instid0(VALU_DEP_1) | instskip(NEXT) | instid1(VALU_DEP_1)
	v_dual_fma_f32 v98, v46, v44, -v2 :: v_dual_fmac_f32 v99, v47, v44
	v_pk_add_f32 v[42:43], v[42:43], v[98:99]
	s_or_b32 exec_lo, exec_lo, s56
	s_and_saveexec_b32 s56, s2
	s_cbranch_execnz .LBB63_579
	s_branch .LBB63_580
.LBB63_1104:                            ;   in Loop: Header=BB63_3 Depth=1
	ds_load_b64 v[44:45], v70 offset:12928
	ds_load_b64 v[46:47], v61 offset:16072
	s_wait_dscnt 0x0
	v_dual_mul_f32 v2, v47, v45 :: v_dual_mul_f32 v5, v46, v45
	s_delay_alu instid0(VALU_DEP_1) | instskip(NEXT) | instid1(VALU_DEP_1)
	v_dual_fma_f32 v2, v46, v44, -v2 :: v_dual_fmac_f32 v5, v47, v44
	v_dual_add_f32 v42, v42, v2 :: v_dual_add_f32 v43, v43, v5
	s_or_b32 exec_lo, exec_lo, s56
	s_and_saveexec_b32 s56, s16
	s_cbranch_execz .LBB63_620
.LBB63_1105:                            ;   in Loop: Header=BB63_3 Depth=1
	ds_load_b64 v[44:45], v70 offset:13440
	ds_load_b64 v[46:47], v61 offset:16080
	s_wait_dscnt 0x0
	v_dual_mul_f32 v2, v47, v45 :: v_dual_mul_f32 v5, v46, v45
	s_delay_alu instid0(VALU_DEP_1) | instskip(NEXT) | instid1(VALU_DEP_1)
	v_dual_fma_f32 v2, v46, v44, -v2 :: v_dual_fmac_f32 v5, v47, v44
	v_dual_add_f32 v42, v42, v2 :: v_dual_add_f32 v43, v43, v5
	s_or_b32 exec_lo, exec_lo, s56
	s_and_saveexec_b32 s56, s17
	s_cbranch_execz .LBB63_621
.LBB63_1106:                            ;   in Loop: Header=BB63_3 Depth=1
	ds_load_b64 v[44:45], v70 offset:13952
	ds_load_b64 v[46:47], v61 offset:16088
	s_wait_dscnt 0x0
	v_dual_mul_f32 v2, v47, v45 :: v_dual_mul_f32 v5, v46, v45
	s_delay_alu instid0(VALU_DEP_1) | instskip(NEXT) | instid1(VALU_DEP_1)
	v_dual_fma_f32 v2, v46, v44, -v2 :: v_dual_fmac_f32 v5, v47, v44
	v_dual_add_f32 v42, v42, v2 :: v_dual_add_f32 v43, v43, v5
	s_or_b32 exec_lo, exec_lo, s56
	s_and_saveexec_b32 s56, s18
	s_cbranch_execz .LBB63_622
.LBB63_1107:                            ;   in Loop: Header=BB63_3 Depth=1
	ds_load_b64 v[44:45], v70 offset:14464
	ds_load_b64 v[46:47], v61 offset:16096
	s_wait_dscnt 0x0
	v_dual_mul_f32 v2, v47, v45 :: v_dual_mul_f32 v99, v46, v45
	s_delay_alu instid0(VALU_DEP_1) | instskip(NEXT) | instid1(VALU_DEP_1)
	v_dual_fma_f32 v98, v46, v44, -v2 :: v_dual_fmac_f32 v99, v47, v44
	v_pk_add_f32 v[42:43], v[42:43], v[98:99]
	s_or_b32 exec_lo, exec_lo, s56
	s_and_saveexec_b32 s56, s19
	s_cbranch_execz .LBB63_623
.LBB63_1108:                            ;   in Loop: Header=BB63_3 Depth=1
	ds_load_b64 v[44:45], v70 offset:14976
	ds_load_b64 v[46:47], v61 offset:16104
	s_wait_dscnt 0x0
	v_pk_mul_f32 v[98:99], v[46:47], v[44:45] op_sel:[1,1] op_sel_hi:[0,1]
	s_delay_alu instid0(VALU_DEP_1) | instskip(SKIP_1) | instid1(VALU_DEP_2)
	v_pk_fma_f32 v[100:101], v[46:47], v[44:45], v[98:99] op_sel_hi:[1,0,1]
	v_pk_fma_f32 v[44:45], v[46:47], v[44:45], v[98:99] neg_lo:[0,0,1] neg_hi:[0,0,1]
	v_mov_b32_e32 v45, v101
	s_delay_alu instid0(VALU_DEP_1)
	v_pk_add_f32 v[42:43], v[42:43], v[44:45]
	s_or_b32 exec_lo, exec_lo, s56
	s_and_saveexec_b32 s56, s4
	s_cbranch_execz .LBB63_624
.LBB63_1109:                            ;   in Loop: Header=BB63_3 Depth=1
	ds_load_b64 v[44:45], v70 offset:15488
	ds_load_b64 v[46:47], v61 offset:16112
	s_wait_dscnt 0x0
	v_pk_mul_f32 v[98:99], v[46:47], v[44:45] op_sel:[1,1] op_sel_hi:[0,1]
	s_delay_alu instid0(VALU_DEP_1) | instskip(SKIP_1) | instid1(VALU_DEP_2)
	v_pk_fma_f32 v[100:101], v[46:47], v[44:45], v[98:99] op_sel_hi:[1,0,1]
	v_pk_fma_f32 v[44:45], v[46:47], v[44:45], v[98:99] neg_lo:[0,0,1] neg_hi:[0,0,1]
	v_mov_b32_e32 v45, v101
	s_delay_alu instid0(VALU_DEP_1)
	v_pk_add_f32 v[42:43], v[42:43], v[44:45]
	s_or_b32 exec_lo, exec_lo, s56
	s_and_saveexec_b32 s56, s14
	s_cbranch_execnz .LBB63_625
	s_branch .LBB63_626
.LBB63_1110:                            ;   in Loop: Header=BB63_3 Depth=1
	ds_load_b64 v[44:45], v68 offset:10880
	ds_load_b64 v[46:47], v57 offset:11944
	s_wait_dscnt 0x0
	v_dual_mul_f32 v2, v47, v45 :: v_dual_mul_f32 v5, v46, v45
	s_delay_alu instid0(VALU_DEP_1) | instskip(NEXT) | instid1(VALU_DEP_1)
	v_dual_fma_f32 v2, v46, v44, -v2 :: v_dual_fmac_f32 v5, v47, v44
	v_dual_add_f32 v42, v42, v2 :: v_dual_add_f32 v43, v43, v5
	s_or_b32 exec_lo, exec_lo, s56
	s_and_saveexec_b32 s56, s14
	s_cbranch_execz .LBB63_682
.LBB63_1111:                            ;   in Loop: Header=BB63_3 Depth=1
	ds_load_b64 v[44:45], v68 offset:11392
	ds_load_b64 v[46:47], v57 offset:11952
	s_wait_dscnt 0x0
	v_dual_mul_f32 v2, v47, v45 :: v_dual_mul_f32 v99, v46, v45
	s_delay_alu instid0(VALU_DEP_1) | instskip(NEXT) | instid1(VALU_DEP_1)
	v_dual_fma_f32 v98, v46, v44, -v2 :: v_dual_fmac_f32 v99, v47, v44
	v_pk_add_f32 v[42:43], v[42:43], v[98:99]
	s_or_b32 exec_lo, exec_lo, s56
	s_and_saveexec_b32 s56, s2
	s_cbranch_execnz .LBB63_683
	s_branch .LBB63_684
.LBB63_1112:                            ;   in Loop: Header=BB63_3 Depth=1
	ds_load_b64 v[44:45], v72 offset:13824
	ds_load_b64 v[46:47], v63 offset:16088
	s_wait_dscnt 0x0
	v_dual_mul_f32 v2, v47, v45 :: v_dual_mul_f32 v5, v46, v45
	s_delay_alu instid0(VALU_DEP_1) | instskip(NEXT) | instid1(VALU_DEP_1)
	v_dual_fma_f32 v2, v46, v44, -v2 :: v_dual_fmac_f32 v5, v47, v44
	v_dual_add_f32 v42, v42, v2 :: v_dual_add_f32 v43, v43, v5
	s_or_b32 exec_lo, exec_lo, s56
	s_and_saveexec_b32 s56, s5
	s_cbranch_execz .LBB63_744
.LBB63_1113:                            ;   in Loop: Header=BB63_3 Depth=1
	ds_load_b64 v[44:45], v72 offset:14336
	ds_load_b64 v[46:47], v63 offset:16096
	s_wait_dscnt 0x0
	v_dual_mul_f32 v2, v47, v45 :: v_dual_mul_f32 v5, v46, v45
	s_delay_alu instid0(VALU_DEP_1) | instskip(NEXT) | instid1(VALU_DEP_1)
	v_dual_fma_f32 v2, v46, v44, -v2 :: v_dual_fmac_f32 v5, v47, v44
	v_dual_add_f32 v42, v42, v2 :: v_dual_add_f32 v43, v43, v5
	s_or_b32 exec_lo, exec_lo, s56
	s_and_saveexec_b32 s56, s16
	s_cbranch_execz .LBB63_745
.LBB63_1114:                            ;   in Loop: Header=BB63_3 Depth=1
	ds_load_b64 v[44:45], v72 offset:14848
	ds_load_b64 v[46:47], v63 offset:16104
	s_wait_dscnt 0x0
	v_dual_mul_f32 v2, v47, v45 :: v_dual_mul_f32 v5, v46, v45
	s_delay_alu instid0(VALU_DEP_1) | instskip(NEXT) | instid1(VALU_DEP_1)
	v_dual_fma_f32 v2, v46, v44, -v2 :: v_dual_fmac_f32 v5, v47, v44
	v_dual_add_f32 v42, v42, v2 :: v_dual_add_f32 v43, v43, v5
	s_or_b32 exec_lo, exec_lo, s56
	s_and_saveexec_b32 s56, s18
	s_cbranch_execz .LBB63_746
.LBB63_1115:                            ;   in Loop: Header=BB63_3 Depth=1
	ds_load_b64 v[44:45], v72 offset:15360
	ds_load_b64 v[46:47], v63 offset:16112
	s_wait_dscnt 0x0
	v_dual_mul_f32 v2, v47, v45 :: v_dual_mul_f32 v99, v46, v45
	s_delay_alu instid0(VALU_DEP_1) | instskip(NEXT) | instid1(VALU_DEP_1)
	v_dual_fma_f32 v98, v46, v44, -v2 :: v_dual_fmac_f32 v99, v47, v44
	v_pk_add_f32 v[42:43], v[42:43], v[98:99]
	s_or_b32 exec_lo, exec_lo, s56
	s_and_saveexec_b32 s56, s4
	s_cbranch_execnz .LBB63_747
	s_branch .LBB63_748
.LBB63_1116:                            ;   in Loop: Header=BB63_3 Depth=1
	ds_load_b64 v[44:45], v68 offset:6720
	ds_load_b64 v[46:47], v57 offset:7784
	s_wait_dscnt 0x0
	v_dual_mul_f32 v2, v47, v45 :: v_dual_mul_f32 v5, v46, v45
	s_delay_alu instid0(VALU_DEP_1) | instskip(NEXT) | instid1(VALU_DEP_1)
	v_dual_fma_f32 v2, v46, v44, -v2 :: v_dual_fmac_f32 v5, v47, v44
	v_dual_add_f32 v42, v42, v2 :: v_dual_add_f32 v43, v43, v5
	s_or_b32 exec_lo, exec_lo, s56
	s_and_saveexec_b32 s56, s14
	s_cbranch_execz .LBB63_836
.LBB63_1117:                            ;   in Loop: Header=BB63_3 Depth=1
	ds_load_b64 v[44:45], v68 offset:7232
	ds_load_b64 v[46:47], v57 offset:7792
	s_wait_dscnt 0x0
	v_dual_mul_f32 v2, v47, v45 :: v_dual_mul_f32 v99, v46, v45
	s_delay_alu instid0(VALU_DEP_1) | instskip(NEXT) | instid1(VALU_DEP_1)
	v_dual_fma_f32 v98, v46, v44, -v2 :: v_dual_fmac_f32 v99, v47, v44
	v_pk_add_f32 v[42:43], v[42:43], v[98:99]
	s_or_b32 exec_lo, exec_lo, s56
	s_and_saveexec_b32 s56, s2
	s_cbranch_execnz .LBB63_837
	s_branch .LBB63_838
.LBB63_1118:                            ;   in Loop: Header=BB63_3 Depth=1
	ds_load_b64 v[44:45], v70 offset:4608
	ds_load_b64 v[46:47], v61 offset:7752
	s_wait_dscnt 0x0
	v_dual_mul_f32 v2, v47, v45 :: v_dual_mul_f32 v5, v46, v45
	s_delay_alu instid0(VALU_DEP_1) | instskip(NEXT) | instid1(VALU_DEP_1)
	v_dual_fma_f32 v2, v46, v44, -v2 :: v_dual_fmac_f32 v5, v47, v44
	v_dual_add_f32 v42, v42, v2 :: v_dual_add_f32 v43, v43, v5
	s_or_b32 exec_lo, exec_lo, s56
	s_and_saveexec_b32 s56, s16
	s_cbranch_execz .LBB63_878
.LBB63_1119:                            ;   in Loop: Header=BB63_3 Depth=1
	ds_load_b64 v[44:45], v70 offset:5120
	ds_load_b64 v[46:47], v61 offset:7760
	s_wait_dscnt 0x0
	v_dual_mul_f32 v2, v47, v45 :: v_dual_mul_f32 v5, v46, v45
	s_delay_alu instid0(VALU_DEP_1) | instskip(NEXT) | instid1(VALU_DEP_1)
	v_dual_fma_f32 v2, v46, v44, -v2 :: v_dual_fmac_f32 v5, v47, v44
	v_dual_add_f32 v42, v42, v2 :: v_dual_add_f32 v43, v43, v5
	s_or_b32 exec_lo, exec_lo, s56
	s_and_saveexec_b32 s56, s17
	s_cbranch_execz .LBB63_879
.LBB63_1120:                            ;   in Loop: Header=BB63_3 Depth=1
	ds_load_b64 v[44:45], v70 offset:5632
	ds_load_b64 v[46:47], v61 offset:7768
	s_wait_dscnt 0x0
	v_dual_mul_f32 v2, v47, v45 :: v_dual_mul_f32 v5, v46, v45
	s_delay_alu instid0(VALU_DEP_1) | instskip(NEXT) | instid1(VALU_DEP_1)
	v_dual_fma_f32 v2, v46, v44, -v2 :: v_dual_fmac_f32 v5, v47, v44
	v_dual_add_f32 v42, v42, v2 :: v_dual_add_f32 v43, v43, v5
	s_or_b32 exec_lo, exec_lo, s56
	s_and_saveexec_b32 s56, s18
	s_cbranch_execz .LBB63_880
.LBB63_1121:                            ;   in Loop: Header=BB63_3 Depth=1
	ds_load_b64 v[44:45], v70 offset:6144
	ds_load_b64 v[46:47], v61 offset:7776
	s_wait_dscnt 0x0
	v_dual_mul_f32 v2, v47, v45 :: v_dual_mul_f32 v99, v46, v45
	s_delay_alu instid0(VALU_DEP_1) | instskip(NEXT) | instid1(VALU_DEP_1)
	v_dual_fma_f32 v98, v46, v44, -v2 :: v_dual_fmac_f32 v99, v47, v44
	v_pk_add_f32 v[42:43], v[42:43], v[98:99]
	s_or_b32 exec_lo, exec_lo, s56
	s_and_saveexec_b32 s56, s19
	s_cbranch_execz .LBB63_881
.LBB63_1122:                            ;   in Loop: Header=BB63_3 Depth=1
	ds_load_b64 v[44:45], v70 offset:6656
	ds_load_b64 v[46:47], v61 offset:7784
	s_wait_dscnt 0x0
	v_pk_mul_f32 v[98:99], v[46:47], v[44:45] op_sel:[1,1] op_sel_hi:[0,1]
	s_delay_alu instid0(VALU_DEP_1) | instskip(SKIP_1) | instid1(VALU_DEP_2)
	v_pk_fma_f32 v[100:101], v[46:47], v[44:45], v[98:99] op_sel_hi:[1,0,1]
	v_pk_fma_f32 v[44:45], v[46:47], v[44:45], v[98:99] neg_lo:[0,0,1] neg_hi:[0,0,1]
	v_mov_b32_e32 v45, v101
	s_delay_alu instid0(VALU_DEP_1)
	v_pk_add_f32 v[42:43], v[42:43], v[44:45]
	s_or_b32 exec_lo, exec_lo, s56
	s_and_saveexec_b32 s56, s4
	s_cbranch_execz .LBB63_882
.LBB63_1123:                            ;   in Loop: Header=BB63_3 Depth=1
	ds_load_b64 v[44:45], v70 offset:7168
	ds_load_b64 v[46:47], v61 offset:7792
	s_wait_dscnt 0x0
	v_pk_mul_f32 v[98:99], v[46:47], v[44:45] op_sel:[1,1] op_sel_hi:[0,1]
	s_delay_alu instid0(VALU_DEP_1) | instskip(SKIP_1) | instid1(VALU_DEP_2)
	v_pk_fma_f32 v[100:101], v[46:47], v[44:45], v[98:99] op_sel_hi:[1,0,1]
	v_pk_fma_f32 v[44:45], v[46:47], v[44:45], v[98:99] neg_lo:[0,0,1] neg_hi:[0,0,1]
	v_mov_b32_e32 v45, v101
	s_delay_alu instid0(VALU_DEP_1)
	v_pk_add_f32 v[42:43], v[42:43], v[44:45]
	s_or_b32 exec_lo, exec_lo, s56
	s_and_saveexec_b32 s56, s14
	s_cbranch_execnz .LBB63_883
	s_branch .LBB63_884
.LBB63_1124:                            ;   in Loop: Header=BB63_3 Depth=1
	ds_load_b64 v[44:45], v68 offset:2560
	ds_load_b64 v[46:47], v57 offset:3624
	s_wait_dscnt 0x0
	v_dual_mul_f32 v2, v47, v45 :: v_dual_mul_f32 v5, v46, v45
	s_delay_alu instid0(VALU_DEP_1) | instskip(NEXT) | instid1(VALU_DEP_1)
	v_dual_fma_f32 v2, v46, v44, -v2 :: v_dual_fmac_f32 v5, v47, v44
	v_dual_add_f32 v42, v42, v2 :: v_dual_add_f32 v43, v43, v5
	s_or_b32 exec_lo, exec_lo, s56
	s_and_saveexec_b32 s56, s14
	s_cbranch_execz .LBB63_940
.LBB63_1125:                            ;   in Loop: Header=BB63_3 Depth=1
	ds_load_b64 v[44:45], v68 offset:3072
	ds_load_b64 v[46:47], v57 offset:3632
	s_wait_dscnt 0x0
	v_dual_mul_f32 v2, v47, v45 :: v_dual_mul_f32 v99, v46, v45
	s_delay_alu instid0(VALU_DEP_1) | instskip(NEXT) | instid1(VALU_DEP_1)
	v_dual_fma_f32 v98, v46, v44, -v2 :: v_dual_fmac_f32 v99, v47, v44
	v_pk_add_f32 v[42:43], v[42:43], v[98:99]
	s_or_b32 exec_lo, exec_lo, s56
	s_and_saveexec_b32 s56, s2
	s_cbranch_execnz .LBB63_941
	s_branch .LBB63_942
.LBB63_1126:
	s_endpgm
	.section	.rodata,"a",@progbits
	.p2align	6, 0x0
	.amdhsa_kernel _ZL19rocblas_trsv_deviceILi64ELi16ELb0ELb1ELb1ELb1E19rocblas_complex_numIfES1_PKS1_PS1_EviT7_lllT6_T8_lllPii
		.amdhsa_group_segment_fixed_size 41480
		.amdhsa_private_segment_fixed_size 0
		.amdhsa_kernarg_size 352
		.amdhsa_user_sgpr_count 2
		.amdhsa_user_sgpr_dispatch_ptr 0
		.amdhsa_user_sgpr_queue_ptr 0
		.amdhsa_user_sgpr_kernarg_segment_ptr 1
		.amdhsa_user_sgpr_dispatch_id 0
		.amdhsa_user_sgpr_kernarg_preload_length 0
		.amdhsa_user_sgpr_kernarg_preload_offset 0
		.amdhsa_user_sgpr_private_segment_size 0
		.amdhsa_wavefront_size32 1
		.amdhsa_uses_dynamic_stack 0
		.amdhsa_enable_private_segment 0
		.amdhsa_system_sgpr_workgroup_id_x 1
		.amdhsa_system_sgpr_workgroup_id_y 0
		.amdhsa_system_sgpr_workgroup_id_z 1
		.amdhsa_system_sgpr_workgroup_info 0
		.amdhsa_system_vgpr_workitem_id 1
		.amdhsa_next_free_vgpr 108
		.amdhsa_next_free_sgpr 105
		.amdhsa_named_barrier_count 0
		.amdhsa_reserve_vcc 1
		.amdhsa_float_round_mode_32 0
		.amdhsa_float_round_mode_16_64 0
		.amdhsa_float_denorm_mode_32 3
		.amdhsa_float_denorm_mode_16_64 3
		.amdhsa_fp16_overflow 0
		.amdhsa_memory_ordered 1
		.amdhsa_forward_progress 1
		.amdhsa_inst_pref_size 255
		.amdhsa_round_robin_scheduling 0
		.amdhsa_exception_fp_ieee_invalid_op 0
		.amdhsa_exception_fp_denorm_src 0
		.amdhsa_exception_fp_ieee_div_zero 0
		.amdhsa_exception_fp_ieee_overflow 0
		.amdhsa_exception_fp_ieee_underflow 0
		.amdhsa_exception_fp_ieee_inexact 0
		.amdhsa_exception_int_div_zero 0
	.end_amdhsa_kernel
	.section	.text._ZL19rocblas_trsv_deviceILi64ELi16ELb0ELb1ELb1ELb1E19rocblas_complex_numIfES1_PKS1_PS1_EviT7_lllT6_T8_lllPii,"axG",@progbits,_ZL19rocblas_trsv_deviceILi64ELi16ELb0ELb1ELb1ELb1E19rocblas_complex_numIfES1_PKS1_PS1_EviT7_lllT6_T8_lllPii,comdat
.Lfunc_end63:
	.size	_ZL19rocblas_trsv_deviceILi64ELi16ELb0ELb1ELb1ELb1E19rocblas_complex_numIfES1_PKS1_PS1_EviT7_lllT6_T8_lllPii, .Lfunc_end63-_ZL19rocblas_trsv_deviceILi64ELi16ELb0ELb1ELb1ELb1E19rocblas_complex_numIfES1_PKS1_PS1_EviT7_lllT6_T8_lllPii
                                        ; -- End function
	.set _ZL19rocblas_trsv_deviceILi64ELi16ELb0ELb1ELb1ELb1E19rocblas_complex_numIfES1_PKS1_PS1_EviT7_lllT6_T8_lllPii.num_vgpr, 108
	.set _ZL19rocblas_trsv_deviceILi64ELi16ELb0ELb1ELb1ELb1E19rocblas_complex_numIfES1_PKS1_PS1_EviT7_lllT6_T8_lllPii.num_agpr, 0
	.set _ZL19rocblas_trsv_deviceILi64ELi16ELb0ELb1ELb1ELb1E19rocblas_complex_numIfES1_PKS1_PS1_EviT7_lllT6_T8_lllPii.numbered_sgpr, 105
	.set _ZL19rocblas_trsv_deviceILi64ELi16ELb0ELb1ELb1ELb1E19rocblas_complex_numIfES1_PKS1_PS1_EviT7_lllT6_T8_lllPii.num_named_barrier, 0
	.set _ZL19rocblas_trsv_deviceILi64ELi16ELb0ELb1ELb1ELb1E19rocblas_complex_numIfES1_PKS1_PS1_EviT7_lllT6_T8_lllPii.private_seg_size, 0
	.set _ZL19rocblas_trsv_deviceILi64ELi16ELb0ELb1ELb1ELb1E19rocblas_complex_numIfES1_PKS1_PS1_EviT7_lllT6_T8_lllPii.uses_vcc, 1
	.set _ZL19rocblas_trsv_deviceILi64ELi16ELb0ELb1ELb1ELb1E19rocblas_complex_numIfES1_PKS1_PS1_EviT7_lllT6_T8_lllPii.uses_flat_scratch, 0
	.set _ZL19rocblas_trsv_deviceILi64ELi16ELb0ELb1ELb1ELb1E19rocblas_complex_numIfES1_PKS1_PS1_EviT7_lllT6_T8_lllPii.has_dyn_sized_stack, 0
	.set _ZL19rocblas_trsv_deviceILi64ELi16ELb0ELb1ELb1ELb1E19rocblas_complex_numIfES1_PKS1_PS1_EviT7_lllT6_T8_lllPii.has_recursion, 0
	.set _ZL19rocblas_trsv_deviceILi64ELi16ELb0ELb1ELb1ELb1E19rocblas_complex_numIfES1_PKS1_PS1_EviT7_lllT6_T8_lllPii.has_indirect_call, 0
	.section	.AMDGPU.csdata,"",@progbits
; Kernel info:
; codeLenInByte = 41304
; TotalNumSgprs: 107
; NumVgprs: 108
; ScratchSize: 0
; MemoryBound: 0
; FloatMode: 240
; IeeeMode: 1
; LDSByteSize: 41480 bytes/workgroup (compile time only)
; SGPRBlocks: 0
; VGPRBlocks: 6
; NumSGPRsForWavesPerEU: 107
; NumVGPRsForWavesPerEU: 108
; NamedBarCnt: 0
; Occupancy: 9
; WaveLimiterHint : 0
; COMPUTE_PGM_RSRC2:SCRATCH_EN: 0
; COMPUTE_PGM_RSRC2:USER_SGPR: 2
; COMPUTE_PGM_RSRC2:TRAP_HANDLER: 0
; COMPUTE_PGM_RSRC2:TGID_X_EN: 1
; COMPUTE_PGM_RSRC2:TGID_Y_EN: 0
; COMPUTE_PGM_RSRC2:TGID_Z_EN: 1
; COMPUTE_PGM_RSRC2:TIDIG_COMP_CNT: 1
	.section	.text._ZL19rocblas_trsv_deviceILi64ELi16ELb0ELb0ELb0ELb0E19rocblas_complex_numIfES1_PKS1_PS1_EviT7_lllT6_T8_lllPii,"axG",@progbits,_ZL19rocblas_trsv_deviceILi64ELi16ELb0ELb0ELb0ELb0E19rocblas_complex_numIfES1_PKS1_PS1_EviT7_lllT6_T8_lllPii,comdat
	.globl	_ZL19rocblas_trsv_deviceILi64ELi16ELb0ELb0ELb0ELb0E19rocblas_complex_numIfES1_PKS1_PS1_EviT7_lllT6_T8_lllPii ; -- Begin function _ZL19rocblas_trsv_deviceILi64ELi16ELb0ELb0ELb0ELb0E19rocblas_complex_numIfES1_PKS1_PS1_EviT7_lllT6_T8_lllPii
	.p2align	8
	.type	_ZL19rocblas_trsv_deviceILi64ELi16ELb0ELb0ELb0ELb0E19rocblas_complex_numIfES1_PKS1_PS1_EviT7_lllT6_T8_lllPii,@function
_ZL19rocblas_trsv_deviceILi64ELi16ELb0ELb0ELb0ELb0E19rocblas_complex_numIfES1_PKS1_PS1_EviT7_lllT6_T8_lllPii: ; @_ZL19rocblas_trsv_deviceILi64ELi16ELb0ELb0ELb0ELb0E19rocblas_complex_numIfES1_PKS1_PS1_EviT7_lllT6_T8_lllPii
; %bb.0:
	s_load_b32 s104, s[0:1], 0x58
	s_bfe_u32 s2, ttmp6, 0x40014
	s_lshr_b32 s3, ttmp7, 16
	s_add_co_i32 s2, s2, 1
	s_bfe_u32 s5, ttmp6, 0x40008
	s_mul_i32 s4, s3, s2
	s_getreg_b32 s2, hwreg(HW_REG_IB_STS2, 6, 4)
	s_add_co_i32 s5, s5, s4
	s_cmp_eq_u32 s2, 0
	s_mov_b32 s85, 0
	s_cselect_b32 s84, s3, s5
	s_wait_kmcnt 0x0
	s_cmp_ge_u32 s84, s104
	s_cbranch_scc1 .LBB64_1098
; %bb.1:
	s_clause 0x5
	s_load_b256 s[68:75], s[0:1], 0x8
	s_load_b256 s[76:83], s[0:1], 0x30
	s_load_b32 s3, s[0:1], 0x6c
	s_load_b32 s43, s[0:1], 0x60
	;; [unrolled: 1-line block ×3, first 2 shown]
	s_load_b64 s[88:89], s[0:1], 0x50
	s_bfe_u32 s4, ttmp6, 0x4000c
	s_load_b64 s[16:17], s[0:1], 0x28
	s_add_co_i32 s4, s4, 1
	s_wait_xcnt 0x0
	s_and_b32 s0, ttmp6, 15
	s_mul_i32 s1, ttmp9, s4
	v_bfe_u32 v38, v0, 10, 10
	s_add_co_i32 s6, s0, s1
                                        ; implicit-def: $vgpr86 : SGPR spill to VGPR lane
	v_and_b32_e32 v2, 0x3ff, v0
	v_dual_mov_b32 v5, 0 :: v_dual_lshrrev_b32 v1, 10, v0
	s_delay_alu instid0(VALU_DEP_3) | instskip(NEXT) | instid1(VALU_DEP_3)
	v_dual_add_nc_u32 v32, 16, v38 :: v_dual_add_nc_u32 v33, 32, v38
	v_lshl_add_u32 v30, v38, 6, v2
	s_delay_alu instid0(VALU_DEP_3)
	v_mov_b32_e32 v3, v5
	s_wait_kmcnt 0x0
	s_lshl_b64 s[0:1], s[70:71], 3
	s_lshl_b64 s[4:5], s[78:79], 3
	s_cmp_eq_u32 s2, 0
	s_add_nc_u64 s[0:1], s[68:69], s[0:1]
	s_cselect_b32 vcc_hi, ttmp9, s6
	s_add_co_i32 s2, s86, -1
	s_ashr_i32 s87, s86, 31
	s_and_b32 s6, s3, 0xffff
	s_ashr_i32 s3, s2, 31
	s_lshr_b32 s7, s87, 26
	s_lshr_b32 s3, s3, 26
	s_add_co_i32 s7, s86, s7
	s_add_co_i32 s43, s43, -1
	s_add_co_i32 s2, s2, s3
	s_and_not1_b32 s7, s7, 63
	s_sub_co_i32 s12, s43, vcc_hi
	s_ashr_i32 s2, s2, 6
	s_sub_co_i32 s14, s86, s7
	s_cmp_eq_u32 s2, s12
	v_lshrrev_b32_e32 v12, 1, v30
	s_cselect_b32 s2, -1, 0
	s_cmp_lg_u32 s14, 0
	v_bitop3_b32 v31, v0, v1, 0x3ff bitop3:0xa8
	s_cselect_b32 s3, -1, 0
	v_mad_u32_u24 v4, v38, s6, v2
	s_and_b32 s7, s3, s2
	s_mov_b32 s19, s17
	s_xor_b32 s44, s7, -1
	s_cmp_lg_u32 vcc_hi, 0
                                        ; implicit-def: $vgpr85 : SGPR spill to VGPR lane
	v_lshl_add_u32 v66, v38, 3, 0xa000
	s_cselect_b32 s2, -1, 0
	s_lshl_b32 s8, s12, 6
	v_writelane_b32 v86, s2, 0
	v_add_nc_u32_e32 v20, s8, v38
	s_add_nc_u64 s[2:3], s[72:73], 1
	v_add_nc_u32_e32 v6, s8, v2
	v_mad_nc_u64_u32 v[16:17], s2, s8, v[2:3]
	v_writelane_b32 v86, s0, 1
	v_add_nc_u32_e32 v10, 64, v20
	v_lshlrev_b32_e32 v1, 9, v12
	s_ashr_i32 s9, s8, 31
	v_lshl_add_u32 v3, v12, 3, 0x8000
	v_writelane_b32 v86, s1, 2
	v_ashrrev_i32_e32 v11, 31, v10
	s_add_nc_u64 s[0:1], s[76:77], s[4:5]
	s_cmp_gt_i32 vcc_hi, 4
	v_dual_sub_nc_u32 v40, 0, v1 :: v_dual_lshlrev_b32 v41, 3, v2
	v_writelane_b32 v86, s0, 3
	v_mul_u64_e32 v[8:9], s[72:73], v[10:11]
	v_dual_ashrrev_i32 v7, 31, v6 :: v_dual_bitop2_b32 v11, 1, v0 bitop3:0x40
	v_and_b32_e32 v12, 3, v0
	v_writelane_b32 v86, s1, 4
	s_mul_i32 s0, s3, s8
	s_mul_i32 s1, s2, s9
	v_lshlrev_b32_e32 v39, 3, v11
	v_add3_u32 v17, s1, s0, v17
	v_cmp_gt_u32_e64 s0, 4, v30
	v_cmp_eq_u32_e32 vcc_lo, 1, v11
	v_cmp_eq_u32_e64 s1, 0, v11
	v_lshrrev_b32_e32 v11, 2, v30
	s_cselect_b32 s2, -1, 0
	v_sub_nc_u32_e32 v42, v39, v1
	s_and_b32 s46, s2, s44
	s_and_b32 s47, vcc_lo, s0
	s_and_b32 s48, s1, s0
	v_cmp_gt_u32_e64 s1, 16, v30
	v_cmp_eq_u32_e32 vcc_lo, 3, v12
	v_cmp_ne_u32_e64 s2, 3, v12
	v_dual_lshlrev_b32 v1, 9, v11 :: v_dual_lshlrev_b32 v44, 3, v12
	v_cmp_eq_u32_e64 s3, 2, v12
	s_and_b32 s49, vcc_lo, s1
	v_cmp_gt_u32_e32 vcc_lo, 2, v12
	v_cmp_eq_u32_e64 s4, 1, v12
	s_and_b32 s50, s2, s1
	v_cmp_eq_u32_e64 s2, 0, v12
	v_dual_lshlrev_b32 v12, 6, v30 :: v_dual_bitop2_b32 v13, 7, v0 bitop3:0x40
	s_and_b32 s51, s3, s1
	s_and_b32 s52, vcc_lo, s1
	s_and_b32 s54, s2, s1
	v_cmp_gt_u32_e64 s2, 64, v30
	v_cmp_eq_u32_e32 vcc_lo, 7, v13
	v_cmp_ne_u32_e64 s3, 7, v13
	v_lshl_add_u32 v43, v11, 3, 0x8000
	s_and_b32 s53, s4, s1
	v_and_b32_e32 v11, 0x1fff8, v30
	s_and_b32 s55, vcc_lo, s2
	s_and_b32 s56, s3, s2
	v_cmp_eq_u32_e32 vcc_lo, 5, v13
	v_cmp_gt_u32_e64 s3, 5, v13
	v_cmp_eq_u32_e64 s4, 6, v13
	v_dual_sub_nc_u32 v45, 0, v1 :: v_dual_sub_nc_u32 v46, v44, v1
	s_and_b32 s59, vcc_lo, s2
	v_cmp_gt_u32_e32 vcc_lo, 4, v13
	s_and_b32 s60, s3, s2
	v_cmp_gt_u32_e64 s3, 3, v13
	v_dual_mov_b32 v26, 0 :: v_dual_add_nc_u32 v47, 0x8000, v11
	v_and_b32_e32 v1, 0x7ffe00, v12
	v_dual_lshlrev_b32 v48, 3, v13 :: v_dual_lshrrev_b32 v11, 4, v30
	v_cmp_gt_u32_e64 s5, 6, v13
	s_and_b32 s57, s4, s2
	v_cmp_eq_u32_e64 s4, 4, v13
	s_and_b32 s62, vcc_lo, s2
	v_cmp_eq_u32_e32 vcc_lo, 2, v13
	s_and_b32 s64, s3, s2
	v_cmp_eq_u32_e64 s3, 1, v13
	v_dual_sub_nc_u32 v50, v48, v1 :: v_dual_bitop2_b32 v12, 15, v0 bitop3:0x40
	s_and_b32 s58, s5, s2
	v_cmp_eq_u32_e64 s5, 3, v13
	s_and_b32 s61, s4, s2
	v_cmp_gt_u32_e64 s4, 2, v13
	s_and_b32 s65, vcc_lo, s2
	s_and_b32 s67, s3, s2
	v_cmp_gt_u32_e64 s3, 0x100, v30
	v_cmp_eq_u32_e32 vcc_lo, 15, v12
	s_and_b32 s63, s5, s2
	v_cmp_eq_u32_e64 s5, 0, v13
	s_and_b32 s66, s4, s2
	v_cmp_ne_u32_e64 s4, 15, v12
	s_and_b32 s10, vcc_lo, s3
	v_cmp_gt_u32_e64 s6, 14, v12
	v_writelane_b32 v86, s10, 5
	s_and_b32 s68, s5, s2
	v_cmp_eq_u32_e64 s5, 14, v12
	s_and_b32 s4, s4, s3
	v_cmp_eq_u32_e32 vcc_lo, 13, v12
	v_writelane_b32 v86, s4, 6
	v_sub_nc_u32_e32 v49, 0, v1
	s_and_b32 s4, s5, s3
	v_dual_lshlrev_b32 v1, 9, v11 :: v_dual_lshlrev_b32 v52, 3, v12
	v_writelane_b32 v86, s4, 7
	s_and_b32 s4, s6, s3
	s_and_b32 s5, vcc_lo, s3
	v_cmp_eq_u32_e32 vcc_lo, 12, v12
	v_cmp_eq_u32_e64 s6, 11, v12
	v_writelane_b32 v86, s4, 8
	v_cmp_gt_u32_e64 s4, 13, v12
	v_lshl_add_u32 v51, v11, 3, 0x8000
	s_and_b32 s25, vcc_lo, s3
	v_cmp_eq_u32_e32 vcc_lo, 10, v12
	v_writelane_b32 v86, s5, 9
	s_and_b32 s23, s4, s3
	v_cmp_gt_u32_e64 s4, 11, v12
	v_cmp_gt_u32_e64 s5, 12, v12
	s_and_b32 s34, vcc_lo, s3
	v_cmp_eq_u32_e32 vcc_lo, 8, v12
	s_and_b32 s29, s6, s3
	s_and_b32 s31, s4, s3
	v_cmp_gt_u32_e64 s4, 10, v12
	s_and_b32 s27, s5, s3
	s_and_b32 s41, vcc_lo, s3
	v_cmp_eq_u32_e32 vcc_lo, 7, v12
	v_cmp_eq_u32_e64 s5, 9, v12
	s_and_b32 s38, s4, s3
	v_cmp_gt_u32_e64 s4, 8, v12
	v_cmp_gt_u32_e64 s6, 9, v12
	s_and_b32 s93, vcc_lo, s3
	v_cmp_eq_u32_e32 vcc_lo, 5, v12
	s_and_b32 s39, s5, s3
	s_and_b32 s92, s4, s3
	v_cmp_gt_u32_e64 s4, 6, v12
	v_cmp_gt_u32_e64 s5, 7, v12
	s_and_b32 s24, vcc_lo, s3
	v_cmp_eq_u32_e32 vcc_lo, 3, v12
	s_and_b32 s40, s6, s3
	s_and_b32 s42, s4, s3
	v_cmp_gt_u32_e64 s4, 5, v12
	v_cmp_eq_u32_e64 s6, 6, v12
	s_and_b32 s90, s5, s3
	v_cmp_eq_u32_e64 s5, 4, v12
	s_and_b32 s33, vcc_lo, s3
	s_and_b32 s26, s4, s3
	v_cmp_gt_u32_e64 s4, 3, v12
	v_cmp_eq_u32_e32 vcc_lo, 2, v12
	s_and_b32 s91, s6, s3
	v_cmp_gt_u32_e64 s6, 4, v12
	s_and_b32 s28, s5, s3
	s_and_b32 s45, s4, s3
	v_cmp_eq_u32_e64 s4, 0, v12
	v_cmp_gt_u32_e64 s5, 2, v12
	s_and_b32 s78, vcc_lo, s3
	v_cmp_le_i32_e32 vcc_lo, s14, v2
	s_and_b32 s30, s6, s3
	v_cmp_eq_u32_e64 s6, 1, v12
	v_dual_sub_nc_u32 v53, 0, v1 :: v_dual_lshrrev_b32 v11, 5, v30
	s_and_b32 s77, s4, s3
	v_dual_sub_nc_u32 v55, v52, v1 :: v_dual_bitop2_b32 v54, 31, v0 bitop3:0x40
	v_cmp_eq_u32_e64 s4, 0, v38
	s_and_b32 s79, s5, s3
	s_movk_i32 s5, 0x7c00
	s_and_b32 s69, vcc_lo, s7
	s_and_b32 s76, s6, s3
	v_mad_u32_u24 v58, 0x208, v2, s5
	s_xor_b32 s5, s69, -1
	v_cmp_gt_i32_e64 s6, s14, v2
	v_dual_lshlrev_b32 v12, 9, v11 :: v_dual_lshlrev_b32 v57, 3, v54
	s_and_b32 s10, s4, s5
	s_xor_b32 s18, s17, 0x80000000
	s_cmp_gt_i32 vcc_hi, 0
	v_cmp_gt_i32_e64 s5, s86, v6
	s_cselect_b32 s11, -1, 0
	v_cmp_gt_i32_e64 s7, s86, v10
	s_and_b32 s6, s4, s6
	v_dual_sub_nc_u32 v59, 0, v12 :: v_dual_sub_nc_u32 v60, v57, v12
	v_add_nc_u32_e32 v12, 0x50, v20
	v_writelane_b32 v86, s6, 10
	s_and_b32 s6, s5, s7
	v_add_nc_u32_e32 v14, 0x60, v20
	v_cmp_le_u32_e64 s7, v38, v2
	v_mbcnt_lo_u32_b32 v10, -1, 0
	v_writelane_b32 v86, s6, 11
	v_cmp_gt_i32_e64 s6, s86, v12
	v_add_nc_u64_e32 v[0:1], s[8:9], v[4:5]
	v_cmp_le_i32_e64 s8, s14, v33
	v_lshlrev_b32_e32 v27, 20, v10
	v_lshl_add_u32 v56, v11, 3, 0x8000
	s_and_b32 s6, s5, s6
	v_lshlrev_b32_e32 v11, 9, v2
	v_writelane_b32 v86, s6, 12
	v_cmp_gt_i32_e64 s6, s86, v14
	v_add_nc_u64_e32 v[18:19], src_flat_scratch_base_lo, v[26:27]
	v_dual_mov_b32 v26, 8 :: v_dual_add_nc_u32 v34, 48, v38
	v_sub_nc_u32_e32 v62, 0, v11
	s_and_b32 s6, s5, s6
	s_mov_b32 s17, s16
	v_writelane_b32 v86, s6, 13
	v_cmp_le_i32_e64 s6, s14, v38
	v_cmp_le_i32_e64 s9, s14, v34
	v_writelane_b32 v85, s16, 0
	v_add_max_i32_e64 v35, 0x70, v20, v6
	v_writelane_b32 v86, s7, 14
	s_or_b32 s6, s6, vcc_lo
	v_dual_lshlrev_b32 v28, 9, v54 :: v_dual_add_nc_u32 v70, v66, v41
	s_or_b32 s6, s6, s7
	v_cmp_le_i32_e64 s7, s14, v32
	v_writelane_b32 v86, s6, 15
	v_writelane_b32 v85, s17, 1
	v_dual_add_nc_u32 v73, v57, v28 :: v_dual_bitop2_b32 v36, v32, v2 bitop3:0x54
	s_or_b32 s6, s7, vcc_lo
	v_cmp_le_u32_e64 s7, v32, v2
	v_or_b32_e32 v37, v33, v2
	v_or_b32_e32 v75, v34, v2
                                        ; implicit-def: $vgpr84 : SGPR spill to VGPR lane
	v_mul_u64_e32 v[0:1], s[80:81], v[0:1]
	v_mul_u64_e32 v[24:25], s[80:81], v[6:7]
	v_writelane_b32 v86, s7, 16
	s_or_b32 s6, s6, s7
	v_cmp_le_u32_e64 s7, v33, v2
	v_mul_u32_u24_e32 v61, 0x208, v2
	v_mad_nc_u64_u32 v[12:13], s72, v32, v[16:17]
	v_writelane_b32 v86, s6, 17
	s_or_b32 s6, s8, vcc_lo
	v_cmp_ne_u32_e64 s8, v2, v33
	s_or_b32 s6, s6, s7
	v_sub_nc_u32_e32 v22, v61, v11
	v_writelane_b32 v86, s7, 18
	v_cmp_le_u32_e64 s7, v34, v2
	v_mad_nc_u64_u32 v[10:11], s72, v38, v[16:17]
	v_mad_nc_u64_u32 v[14:15], s72, v33, v[16:17]
	;; [unrolled: 1-line block ×3, first 2 shown]
	v_writelane_b32 v86, s6, 19
	s_or_b32 s6, s9, vcc_lo
	v_cmp_ne_u32_e64 s9, v2, v34
	s_or_b32 s6, s6, s7
	v_add_nc_u64_e32 v[20:21], src_flat_scratch_base_lo, v[26:27]
	v_writelane_b32 v86, s7, 20
	v_cmp_ne_u32_e64 s7, v2, v32
	v_mov_b32_e32 v26, 16
	v_lshl_add_u32 v63, v32, 9, v22
	v_lshl_add_u32 v64, v33, 9, v22
	v_writelane_b32 v86, s6, 21
	v_cmp_ne_u32_e64 s6, v2, v38
	v_add_nc_u64_e32 v[22:23], src_flat_scratch_base_lo, v[26:27]
	v_mov_b32_e32 v26, 24
	v_mad_u32 v11, s73, v38, v11
	v_mad_u32 v13, s73, v32, v13
	v_writelane_b32 v86, s6, 22
	s_or_b32 s6, vcc_lo, s6
	v_mad_u32 v15, s73, v33, v15
	v_mad_u32 v17, s73, v34, v17
	v_add_nc_u64_e32 v[26:27], src_flat_scratch_base_lo, v[26:27]
	v_writelane_b32 v86, s6, 23
	s_or_b32 s6, vcc_lo, s7
	v_mov_b64_e32 v[28:29], 0
	v_lshl_add_u32 v65, v4, 3, 0xa000
	v_lshl_add_u32 v67, v30, 3, 0x8000
	v_writelane_b32 v86, s7, 24
	v_or_b32_e32 v68, 0x8000, v41
	v_lshl_add_u32 v69, v38, 9, v41
	v_lshl_add_u32 v71, v34, 9, v41
	v_or_b32_e32 v72, 0x3c00, v57
	v_writelane_b32 v86, s6, 25
	s_or_b32 s6, vcc_lo, s8
	v_subrev_nc_u32_e32 v74, 31, v54
	v_cmp_eq_u32_e64 s14, 0, v31
	v_cmp_gt_u32_e64 s15, 2, v30
	v_writelane_b32 v86, s8, 26
	v_cmp_gt_u32_e64 s16, 12, v30
	v_cmp_gt_u32_e64 s17, 8, v30
	v_cmp_gt_u32_e64 s20, 40, v30
	v_cmp_gt_u32_e64 s21, 32, v30
	v_writelane_b32 v86, s6, 27
	s_or_b32 s6, vcc_lo, s9
	v_cmp_lt_u32_e32 vcc_lo, 0x3ff, v30
	v_cmp_gt_u32_e64 s22, 24, v30
	v_cmp_gt_u32_e64 s35, 0x400, v30
	v_writelane_b32 v86, s9, 28
	v_cmp_eq_u32_e64 s36, 0, v4
	v_cmp_gt_u32_e64 s37, 64, v4
	s_add_co_i32 s12, s12, 1
	s_xor_b32 s8, vcc_lo, -1
	v_writelane_b32 v86, s6, 29
	v_cmp_gt_u32_e64 s6, 0xf0, v30
	s_lshl_b64 s[94:95], s[72:73], 7
	s_lshl_b64 s[96:97], s[72:73], 8
	s_mul_u64 s[98:99], s[72:73], 0x180
	v_writelane_b32 v86, s18, 30
	v_writelane_b32 v85, s6, 2
	v_cmp_gt_u32_e64 s6, 0xe0, v30
	v_writelane_b32 v86, s19, 31
	v_cmp_gt_u32_e64 s18, 56, v30
	s_delay_alu instid0(VALU_DEP_3) | instskip(SKIP_2) | instid1(VALU_DEP_2)
	v_writelane_b32 v85, s6, 3
	v_cmp_gt_u32_e64 s6, 0xd0, v30
	v_cmp_gt_u32_e64 s19, 48, v30
	v_writelane_b32 v85, s6, 4
	v_cmp_gt_u32_e64 s6, 0xc0, v30
	s_delay_alu instid0(VALU_DEP_1) | instskip(SKIP_1) | instid1(VALU_DEP_1)
	v_writelane_b32 v85, s6, 5
	v_cmp_gt_u32_e64 s6, 0xb0, v30
	v_writelane_b32 v85, s6, 6
	v_cmp_gt_u32_e64 s6, 0xa0, v30
	s_delay_alu instid0(VALU_DEP_1) | instskip(SKIP_1) | instid1(VALU_DEP_1)
	v_writelane_b32 v85, s6, 7
	;; [unrolled: 5-line block ×4, first 2 shown]
	v_cmp_gt_u32_e64 s6, 0x50, v30
	v_writelane_b32 v85, s6, 12
	v_cmp_le_u32_e64 s6, v2, v38
	s_delay_alu instid0(VALU_DEP_1) | instskip(SKIP_1) | instid1(VALU_DEP_1)
	v_writelane_b32 v85, s6, 13
	v_cmp_le_u32_e64 s6, v2, v32
	v_writelane_b32 v85, s6, 14
	v_cmp_le_u32_e64 s6, v2, v33
	s_delay_alu instid0(VALU_DEP_1) | instskip(SKIP_1) | instid1(VALU_DEP_1)
	v_writelane_b32 v85, s6, 15
	v_cmp_le_u32_e64 s6, v2, v34
	v_writelane_b32 v85, s6, 16
	v_cmp_le_i32_e64 s6, s86, v35
	s_delay_alu instid0(VALU_DEP_1) | instskip(SKIP_1) | instid1(VALU_DEP_1)
	v_writelane_b32 v85, s6, 17
	v_cmp_gt_u32_e64 s6, 64, v31
	v_writelane_b32 v85, s6, 18
	v_cmp_gt_u32_e64 s6, 64, v36
	s_delay_alu instid0(VALU_DEP_1) | instskip(SKIP_1) | instid1(VALU_DEP_1)
	v_writelane_b32 v85, s6, 19
	v_cmp_gt_u32_e64 s6, 64, v37
	v_writelane_b32 v85, s6, 20
	v_cmp_gt_u32_e64 s6, 64, v75
	;; [unrolled: 5-line block ×13, first 2 shown]
	s_delay_alu instid0(VALU_DEP_1) | instskip(SKIP_1) | instid1(VALU_DEP_1)
	v_writelane_b32 v84, s6, 11
	v_cmp_gt_u32_e64 s6, 0x120, v30
	v_writelane_b32 v84, s6, 12
	s_branch .LBB64_3
.LBB64_2:                               ;   in Loop: Header=BB64_3 Depth=1
	s_wait_xcnt 0x0
	s_or_b32 exec_lo, exec_lo, s6
	s_add_co_i32 s84, s84, 0x10000
	global_wb scope:SCOPE_DEV
	s_wait_storecnt 0x0
	global_inv scope:SCOPE_DEV
	s_cmp_lt_u32 s84, s104
	s_cbranch_scc0 .LBB64_1098
.LBB64_3:                               ; =>This Loop Header: Depth=1
                                        ;     Child Loop BB64_588 Depth 2
                                        ;     Child Loop BB64_996 Depth 2
                                        ;       Child Loop BB64_998 Depth 3
                                        ;     Child Loop BB64_1030 Depth 2
	v_readlane_b32 s6, v86, 0
	s_mul_u64 s[70:71], s[74:75], s[84:85]
	s_delay_alu instid0(SALU_CYCLE_1)
	s_lshl_b64 s[70:71], s[70:71], 3
	s_and_not1_b32 vcc_lo, exec_lo, s6
	v_readlane_b32 s6, v86, 1
	v_readlane_b32 s7, v86, 2
	s_add_nc_u64 s[70:71], s[6:7], s[70:71]
	s_cbranch_vccnz .LBB64_15
; %bb.4:                                ;   in Loop: Header=BB64_3 Depth=1
	v_lshl_add_u64 v[30:31], v[8:9], 3, s[70:71]
	v_dual_mov_b32 v32, 0 :: v_dual_mov_b32 v34, 0
	v_mov_b32_e32 v35, 0
	v_readlane_b32 s7, v86, 11
	s_delay_alu instid0(VALU_DEP_4)
	v_lshl_add_u64 v[30:31], v[6:7], 3, v[30:31]
	s_barrier_signal -1
	s_barrier_wait -1
	s_and_saveexec_b32 s6, s7
	s_cbranch_execz .LBB64_6
; %bb.5:                                ;   in Loop: Header=BB64_3 Depth=1
	global_load_b64 v[34:35], v[30:31], off
.LBB64_6:                               ;   in Loop: Header=BB64_3 Depth=1
	s_wait_xcnt 0x0
	s_or_b32 exec_lo, exec_lo, s6
	v_mov_b32_e32 v33, 0
	v_readlane_b32 s7, v86, 12
	s_wait_loadcnt 0x0
	scratch_store_b64 off, v[34:35], off
	s_wait_storecnt 0x0
	s_barrier_signal -1
	s_barrier_wait -1
	s_wait_xcnt 0x0
	s_and_saveexec_b32 s6, s7
	s_cbranch_execz .LBB64_8
; %bb.7:                                ;   in Loop: Header=BB64_3 Depth=1
	v_add_nc_u64_e32 v[32:33], s[94:95], v[30:31]
	global_load_b64 v[32:33], v[32:33], off
.LBB64_8:                               ;   in Loop: Header=BB64_3 Depth=1
	s_wait_xcnt 0x0
	s_or_b32 exec_lo, exec_lo, s6
	s_wait_loadcnt 0x0
	scratch_store_b64 off, v[32:33], off offset:8
	s_wait_xcnt 0x0
	v_dual_mov_b32 v32, 0 :: v_dual_mov_b32 v33, 0
	v_readlane_b32 s7, v86, 13
	s_wait_storecnt 0x0
	s_barrier_signal -1
	s_barrier_wait -1
	s_and_saveexec_b32 s6, s7
	s_cbranch_execz .LBB64_10
; %bb.9:                                ;   in Loop: Header=BB64_3 Depth=1
	v_add_nc_u64_e32 v[32:33], s[96:97], v[30:31]
	global_load_b64 v[32:33], v[32:33], off
.LBB64_10:                              ;   in Loop: Header=BB64_3 Depth=1
	s_wait_xcnt 0x0
	s_or_b32 exec_lo, exec_lo, s6
	v_readlane_b32 s7, v85, 17
	s_wait_loadcnt 0x0
	scratch_store_b64 off, v[32:33], off offset:16
	s_wait_storecnt 0x0
	s_barrier_signal -1
	s_barrier_wait -1
	s_wait_xcnt 0x0
	s_and_saveexec_b32 s6, s7
	s_delay_alu instid0(SALU_CYCLE_1)
	s_xor_b32 s6, exec_lo, s6
	s_cbranch_execz .LBB64_12
; %bb.11:                               ;   in Loop: Header=BB64_3 Depth=1
	scratch_store_b64 off, v[28:29], off offset:24
                                        ; implicit-def: $vgpr30_vgpr31
.LBB64_12:                              ;   in Loop: Header=BB64_3 Depth=1
	s_wait_xcnt 0x0
	s_and_not1_saveexec_b32 s6, s6
	s_cbranch_execz .LBB64_14
; %bb.13:                               ;   in Loop: Header=BB64_3 Depth=1
	v_add_nc_u64_e32 v[30:31], s[98:99], v[30:31]
	global_load_b64 v[30:31], v[30:31], off
	s_wait_loadcnt 0x0
	scratch_store_b64 off, v[30:31], off offset:24
.LBB64_14:                              ;   in Loop: Header=BB64_3 Depth=1
	s_wait_xcnt 0x0
	s_or_b32 exec_lo, exec_lo, s6
.LBB64_15:                              ;   in Loop: Header=BB64_3 Depth=1
	s_delay_alu instid0(SALU_CYCLE_1)
	s_and_not1_b32 vcc_lo, exec_lo, s44
	s_mov_b32 s6, -1
	s_cbranch_vccnz .LBB64_73
; %bb.16:                               ;   in Loop: Header=BB64_3 Depth=1
	v_readlane_b32 s7, v86, 14
	s_and_saveexec_b32 s6, s7
	s_delay_alu instid0(SALU_CYCLE_1)
	s_xor_b32 s100, exec_lo, s6
	s_cbranch_execz .LBB64_28
; %bb.17:                               ;   in Loop: Header=BB64_3 Depth=1
	v_readlane_b32 s7, v86, 22
	s_and_saveexec_b32 s6, s7
	s_delay_alu instid0(SALU_CYCLE_1)
	s_xor_b32 s6, exec_lo, s6
	s_cbranch_execz .LBB64_21
; %bb.18:                               ;   in Loop: Header=BB64_3 Depth=1
	v_readlane_b32 s7, v85, 18
	s_and_saveexec_b32 s9, s7
; %bb.19:                               ;   in Loop: Header=BB64_3 Depth=1
	ds_store_b64 v69, v[28:29]
; %bb.20:                               ;   in Loop: Header=BB64_3 Depth=1
	s_or_b32 exec_lo, exec_lo, s9
.LBB64_21:                              ;   in Loop: Header=BB64_3 Depth=1
	s_and_not1_saveexec_b32 s101, s6
	s_cbranch_execz .LBB64_27
; %bb.22:                               ;   in Loop: Header=BB64_3 Depth=1
	v_lshl_add_u64 v[30:31], v[10:11], 3, s[70:71]
	s_mov_b32 s9, exec_lo
                                        ; implicit-def: $vgpr32_vgpr33
	global_load_b64 v[30:31], v[30:31], off
	s_wait_loadcnt 0x0
	s_wait_xcnt 0x0
	v_cmpx_ngt_f32_e64 |v30|, |v31|
	s_xor_b32 s9, exec_lo, s9
	s_cbranch_execz .LBB64_24
; %bb.23:                               ;   in Loop: Header=BB64_3 Depth=1
	v_div_scale_f32 v32, null, v31, v31, v30
	v_div_scale_f32 v35, vcc_lo, v30, v31, v30
	s_delay_alu instid0(VALU_DEP_2) | instskip(SKIP_1) | instid1(TRANS32_DEP_1)
	v_rcp_f32_e32 v33, v32
	v_nop
	v_fma_f32 v34, -v32, v33, 1.0
	s_delay_alu instid0(VALU_DEP_1) | instskip(NEXT) | instid1(VALU_DEP_1)
	v_fmac_f32_e32 v33, v34, v33
	v_mul_f32_e32 v34, v35, v33
	s_delay_alu instid0(VALU_DEP_1) | instskip(NEXT) | instid1(VALU_DEP_1)
	v_fma_f32 v36, -v32, v34, v35
	v_fmac_f32_e32 v34, v36, v33
	s_delay_alu instid0(VALU_DEP_1) | instskip(NEXT) | instid1(VALU_DEP_1)
	v_fma_f32 v32, -v32, v34, v35
	v_div_fmas_f32 v32, v32, v33, v34
	s_delay_alu instid0(VALU_DEP_1) | instskip(NEXT) | instid1(VALU_DEP_1)
	v_div_fixup_f32 v32, v32, v31, v30
	v_fmac_f32_e32 v31, v30, v32
	s_delay_alu instid0(VALU_DEP_1) | instskip(SKIP_1) | instid1(VALU_DEP_2)
	v_div_scale_f32 v30, null, v31, v31, 1.0
	v_div_scale_f32 v35, vcc_lo, 1.0, v31, 1.0
	v_rcp_f32_e32 v33, v30
	v_nop
	s_delay_alu instid0(TRANS32_DEP_1) | instskip(NEXT) | instid1(VALU_DEP_1)
	v_fma_f32 v34, -v30, v33, 1.0
	v_fmac_f32_e32 v33, v34, v33
	s_delay_alu instid0(VALU_DEP_1) | instskip(NEXT) | instid1(VALU_DEP_1)
	v_mul_f32_e32 v34, v35, v33
	v_fma_f32 v36, -v30, v34, v35
	s_delay_alu instid0(VALU_DEP_1) | instskip(NEXT) | instid1(VALU_DEP_1)
	v_fmac_f32_e32 v34, v36, v33
	v_fma_f32 v30, -v30, v34, v35
	s_delay_alu instid0(VALU_DEP_1) | instskip(NEXT) | instid1(VALU_DEP_1)
	v_div_fmas_f32 v30, v30, v33, v34
	v_div_fixup_f32 v30, v30, v31, 1.0
	s_delay_alu instid0(VALU_DEP_1)
	v_mul_f32_e32 v32, v32, v30
	v_xor_b32_e32 v33, 0x80000000, v30
                                        ; implicit-def: $vgpr30_vgpr31
.LBB64_24:                              ;   in Loop: Header=BB64_3 Depth=1
	s_and_not1_saveexec_b32 s9, s9
	s_cbranch_execz .LBB64_26
; %bb.25:                               ;   in Loop: Header=BB64_3 Depth=1
	v_div_scale_f32 v32, null, v30, v30, v31
	v_div_scale_f32 v35, vcc_lo, v31, v30, v31
	s_delay_alu instid0(VALU_DEP_2) | instskip(SKIP_1) | instid1(TRANS32_DEP_1)
	v_rcp_f32_e32 v33, v32
	v_nop
	v_fma_f32 v34, -v32, v33, 1.0
	s_delay_alu instid0(VALU_DEP_1) | instskip(NEXT) | instid1(VALU_DEP_1)
	v_fmac_f32_e32 v33, v34, v33
	v_mul_f32_e32 v34, v35, v33
	s_delay_alu instid0(VALU_DEP_1) | instskip(NEXT) | instid1(VALU_DEP_1)
	v_fma_f32 v36, -v32, v34, v35
	v_fmac_f32_e32 v34, v36, v33
	s_delay_alu instid0(VALU_DEP_1) | instskip(NEXT) | instid1(VALU_DEP_1)
	v_fma_f32 v32, -v32, v34, v35
	v_div_fmas_f32 v32, v32, v33, v34
	s_delay_alu instid0(VALU_DEP_1) | instskip(NEXT) | instid1(VALU_DEP_1)
	v_div_fixup_f32 v33, v32, v30, v31
	v_fmac_f32_e32 v30, v31, v33
	s_delay_alu instid0(VALU_DEP_1) | instskip(NEXT) | instid1(VALU_DEP_1)
	v_div_scale_f32 v31, null, v30, v30, 1.0
	v_rcp_f32_e32 v32, v31
	v_nop
	s_delay_alu instid0(TRANS32_DEP_1) | instskip(NEXT) | instid1(VALU_DEP_1)
	v_fma_f32 v34, -v31, v32, 1.0
	v_fmac_f32_e32 v32, v34, v32
	v_div_scale_f32 v34, vcc_lo, 1.0, v30, 1.0
	s_delay_alu instid0(VALU_DEP_1) | instskip(NEXT) | instid1(VALU_DEP_1)
	v_mul_f32_e32 v35, v34, v32
	v_fma_f32 v36, -v31, v35, v34
	s_delay_alu instid0(VALU_DEP_1) | instskip(NEXT) | instid1(VALU_DEP_1)
	v_fmac_f32_e32 v35, v36, v32
	v_fma_f32 v31, -v31, v35, v34
	s_delay_alu instid0(VALU_DEP_1) | instskip(NEXT) | instid1(VALU_DEP_1)
	v_div_fmas_f32 v31, v31, v32, v35
	v_div_fixup_f32 v32, v31, v30, 1.0
	s_delay_alu instid0(VALU_DEP_1)
	v_mul_f32_e64 v33, v33, -v32
.LBB64_26:                              ;   in Loop: Header=BB64_3 Depth=1
	s_or_b32 exec_lo, exec_lo, s9
	ds_store_b64 v69, v[32:33]
.LBB64_27:                              ;   in Loop: Header=BB64_3 Depth=1
	s_or_b32 exec_lo, exec_lo, s101
.LBB64_28:                              ;   in Loop: Header=BB64_3 Depth=1
	s_and_not1_saveexec_b32 s6, s100
	s_cbranch_execz .LBB64_30
; %bb.29:                               ;   in Loop: Header=BB64_3 Depth=1
	v_lshl_add_u64 v[30:31], v[10:11], 3, s[70:71]
	global_load_b64 v[30:31], v[30:31], off
	s_wait_loadcnt 0x0
	s_wait_xcnt 0x0
	v_pk_add_f32 v[30:31], v[30:31], 0 neg_lo:[1,1] neg_hi:[1,1]
	ds_store_b64 v69, v[30:31]
.LBB64_30:                              ;   in Loop: Header=BB64_3 Depth=1
	s_or_b32 exec_lo, exec_lo, s6
	v_readlane_b32 s7, v86, 16
	s_and_saveexec_b32 s6, s7
	s_delay_alu instid0(SALU_CYCLE_1)
	s_xor_b32 s100, exec_lo, s6
	s_cbranch_execz .LBB64_42
; %bb.31:                               ;   in Loop: Header=BB64_3 Depth=1
	v_readlane_b32 s7, v86, 24
	s_and_saveexec_b32 s6, s7
	s_delay_alu instid0(SALU_CYCLE_1)
	s_xor_b32 s6, exec_lo, s6
	s_cbranch_execz .LBB64_35
; %bb.32:                               ;   in Loop: Header=BB64_3 Depth=1
	v_readlane_b32 s7, v85, 19
	s_and_saveexec_b32 s9, s7
; %bb.33:                               ;   in Loop: Header=BB64_3 Depth=1
	ds_store_b64 v63, v[28:29]
; %bb.34:                               ;   in Loop: Header=BB64_3 Depth=1
	s_or_b32 exec_lo, exec_lo, s9
.LBB64_35:                              ;   in Loop: Header=BB64_3 Depth=1
	s_and_not1_saveexec_b32 s101, s6
	s_cbranch_execz .LBB64_41
; %bb.36:                               ;   in Loop: Header=BB64_3 Depth=1
	v_lshl_add_u64 v[30:31], v[12:13], 3, s[70:71]
	s_mov_b32 s9, exec_lo
                                        ; implicit-def: $vgpr32_vgpr33
	global_load_b64 v[30:31], v[30:31], off
	s_wait_loadcnt 0x0
	s_wait_xcnt 0x0
	v_cmpx_ngt_f32_e64 |v30|, |v31|
	s_xor_b32 s9, exec_lo, s9
	s_cbranch_execz .LBB64_38
; %bb.37:                               ;   in Loop: Header=BB64_3 Depth=1
	v_div_scale_f32 v32, null, v31, v31, v30
	v_div_scale_f32 v35, vcc_lo, v30, v31, v30
	s_delay_alu instid0(VALU_DEP_2) | instskip(SKIP_1) | instid1(TRANS32_DEP_1)
	v_rcp_f32_e32 v33, v32
	v_nop
	v_fma_f32 v34, -v32, v33, 1.0
	s_delay_alu instid0(VALU_DEP_1) | instskip(NEXT) | instid1(VALU_DEP_1)
	v_fmac_f32_e32 v33, v34, v33
	v_mul_f32_e32 v34, v35, v33
	s_delay_alu instid0(VALU_DEP_1) | instskip(NEXT) | instid1(VALU_DEP_1)
	v_fma_f32 v36, -v32, v34, v35
	v_fmac_f32_e32 v34, v36, v33
	s_delay_alu instid0(VALU_DEP_1) | instskip(NEXT) | instid1(VALU_DEP_1)
	v_fma_f32 v32, -v32, v34, v35
	v_div_fmas_f32 v32, v32, v33, v34
	s_delay_alu instid0(VALU_DEP_1) | instskip(NEXT) | instid1(VALU_DEP_1)
	v_div_fixup_f32 v32, v32, v31, v30
	v_fmac_f32_e32 v31, v30, v32
	s_delay_alu instid0(VALU_DEP_1) | instskip(SKIP_1) | instid1(VALU_DEP_2)
	v_div_scale_f32 v30, null, v31, v31, 1.0
	v_div_scale_f32 v35, vcc_lo, 1.0, v31, 1.0
	v_rcp_f32_e32 v33, v30
	v_nop
	s_delay_alu instid0(TRANS32_DEP_1) | instskip(NEXT) | instid1(VALU_DEP_1)
	v_fma_f32 v34, -v30, v33, 1.0
	v_fmac_f32_e32 v33, v34, v33
	s_delay_alu instid0(VALU_DEP_1) | instskip(NEXT) | instid1(VALU_DEP_1)
	v_mul_f32_e32 v34, v35, v33
	v_fma_f32 v36, -v30, v34, v35
	s_delay_alu instid0(VALU_DEP_1) | instskip(NEXT) | instid1(VALU_DEP_1)
	v_fmac_f32_e32 v34, v36, v33
	v_fma_f32 v30, -v30, v34, v35
	s_delay_alu instid0(VALU_DEP_1) | instskip(NEXT) | instid1(VALU_DEP_1)
	v_div_fmas_f32 v30, v30, v33, v34
	v_div_fixup_f32 v30, v30, v31, 1.0
	s_delay_alu instid0(VALU_DEP_1)
	v_mul_f32_e32 v32, v32, v30
	v_xor_b32_e32 v33, 0x80000000, v30
                                        ; implicit-def: $vgpr30_vgpr31
.LBB64_38:                              ;   in Loop: Header=BB64_3 Depth=1
	s_and_not1_saveexec_b32 s9, s9
	s_cbranch_execz .LBB64_40
; %bb.39:                               ;   in Loop: Header=BB64_3 Depth=1
	v_div_scale_f32 v32, null, v30, v30, v31
	v_div_scale_f32 v35, vcc_lo, v31, v30, v31
	s_delay_alu instid0(VALU_DEP_2) | instskip(SKIP_1) | instid1(TRANS32_DEP_1)
	v_rcp_f32_e32 v33, v32
	v_nop
	v_fma_f32 v34, -v32, v33, 1.0
	s_delay_alu instid0(VALU_DEP_1) | instskip(NEXT) | instid1(VALU_DEP_1)
	v_fmac_f32_e32 v33, v34, v33
	v_mul_f32_e32 v34, v35, v33
	s_delay_alu instid0(VALU_DEP_1) | instskip(NEXT) | instid1(VALU_DEP_1)
	v_fma_f32 v36, -v32, v34, v35
	v_fmac_f32_e32 v34, v36, v33
	s_delay_alu instid0(VALU_DEP_1) | instskip(NEXT) | instid1(VALU_DEP_1)
	v_fma_f32 v32, -v32, v34, v35
	v_div_fmas_f32 v32, v32, v33, v34
	s_delay_alu instid0(VALU_DEP_1) | instskip(NEXT) | instid1(VALU_DEP_1)
	v_div_fixup_f32 v33, v32, v30, v31
	v_fmac_f32_e32 v30, v31, v33
	s_delay_alu instid0(VALU_DEP_1) | instskip(NEXT) | instid1(VALU_DEP_1)
	v_div_scale_f32 v31, null, v30, v30, 1.0
	v_rcp_f32_e32 v32, v31
	v_nop
	s_delay_alu instid0(TRANS32_DEP_1) | instskip(NEXT) | instid1(VALU_DEP_1)
	v_fma_f32 v34, -v31, v32, 1.0
	v_fmac_f32_e32 v32, v34, v32
	v_div_scale_f32 v34, vcc_lo, 1.0, v30, 1.0
	s_delay_alu instid0(VALU_DEP_1) | instskip(NEXT) | instid1(VALU_DEP_1)
	v_mul_f32_e32 v35, v34, v32
	v_fma_f32 v36, -v31, v35, v34
	s_delay_alu instid0(VALU_DEP_1) | instskip(NEXT) | instid1(VALU_DEP_1)
	v_fmac_f32_e32 v35, v36, v32
	v_fma_f32 v31, -v31, v35, v34
	s_delay_alu instid0(VALU_DEP_1) | instskip(NEXT) | instid1(VALU_DEP_1)
	v_div_fmas_f32 v31, v31, v32, v35
	v_div_fixup_f32 v32, v31, v30, 1.0
	s_delay_alu instid0(VALU_DEP_1)
	v_mul_f32_e64 v33, v33, -v32
.LBB64_40:                              ;   in Loop: Header=BB64_3 Depth=1
	s_or_b32 exec_lo, exec_lo, s9
	ds_store_b64 v63, v[32:33]
.LBB64_41:                              ;   in Loop: Header=BB64_3 Depth=1
	s_or_b32 exec_lo, exec_lo, s101
.LBB64_42:                              ;   in Loop: Header=BB64_3 Depth=1
	s_and_not1_saveexec_b32 s6, s100
	s_cbranch_execz .LBB64_44
; %bb.43:                               ;   in Loop: Header=BB64_3 Depth=1
	v_lshl_add_u64 v[30:31], v[12:13], 3, s[70:71]
	global_load_b64 v[30:31], v[30:31], off
	s_wait_loadcnt 0x0
	s_wait_xcnt 0x0
	v_pk_add_f32 v[30:31], v[30:31], 0 neg_lo:[1,1] neg_hi:[1,1]
	ds_store_b64 v63, v[30:31]
.LBB64_44:                              ;   in Loop: Header=BB64_3 Depth=1
	s_or_b32 exec_lo, exec_lo, s6
	v_readlane_b32 s7, v86, 18
	s_and_saveexec_b32 s6, s7
	s_delay_alu instid0(SALU_CYCLE_1)
	s_xor_b32 s100, exec_lo, s6
	s_cbranch_execz .LBB64_56
; %bb.45:                               ;   in Loop: Header=BB64_3 Depth=1
	v_readlane_b32 s7, v86, 26
	s_and_saveexec_b32 s6, s7
	s_delay_alu instid0(SALU_CYCLE_1)
	s_xor_b32 s6, exec_lo, s6
	s_cbranch_execz .LBB64_49
; %bb.46:                               ;   in Loop: Header=BB64_3 Depth=1
	v_readlane_b32 s7, v85, 20
	s_and_saveexec_b32 s9, s7
; %bb.47:                               ;   in Loop: Header=BB64_3 Depth=1
	ds_store_b64 v64, v[28:29]
; %bb.48:                               ;   in Loop: Header=BB64_3 Depth=1
	s_or_b32 exec_lo, exec_lo, s9
.LBB64_49:                              ;   in Loop: Header=BB64_3 Depth=1
	s_and_not1_saveexec_b32 s101, s6
	s_cbranch_execz .LBB64_55
; %bb.50:                               ;   in Loop: Header=BB64_3 Depth=1
	v_lshl_add_u64 v[30:31], v[14:15], 3, s[70:71]
	s_mov_b32 s9, exec_lo
                                        ; implicit-def: $vgpr32_vgpr33
	global_load_b64 v[30:31], v[30:31], off
	s_wait_loadcnt 0x0
	s_wait_xcnt 0x0
	v_cmpx_ngt_f32_e64 |v30|, |v31|
	s_xor_b32 s9, exec_lo, s9
	s_cbranch_execz .LBB64_52
; %bb.51:                               ;   in Loop: Header=BB64_3 Depth=1
	v_div_scale_f32 v32, null, v31, v31, v30
	v_div_scale_f32 v35, vcc_lo, v30, v31, v30
	s_delay_alu instid0(VALU_DEP_2) | instskip(SKIP_1) | instid1(TRANS32_DEP_1)
	v_rcp_f32_e32 v33, v32
	v_nop
	v_fma_f32 v34, -v32, v33, 1.0
	s_delay_alu instid0(VALU_DEP_1) | instskip(NEXT) | instid1(VALU_DEP_1)
	v_fmac_f32_e32 v33, v34, v33
	v_mul_f32_e32 v34, v35, v33
	s_delay_alu instid0(VALU_DEP_1) | instskip(NEXT) | instid1(VALU_DEP_1)
	v_fma_f32 v36, -v32, v34, v35
	v_fmac_f32_e32 v34, v36, v33
	s_delay_alu instid0(VALU_DEP_1) | instskip(NEXT) | instid1(VALU_DEP_1)
	v_fma_f32 v32, -v32, v34, v35
	v_div_fmas_f32 v32, v32, v33, v34
	s_delay_alu instid0(VALU_DEP_1) | instskip(NEXT) | instid1(VALU_DEP_1)
	v_div_fixup_f32 v32, v32, v31, v30
	v_fmac_f32_e32 v31, v30, v32
	s_delay_alu instid0(VALU_DEP_1) | instskip(SKIP_1) | instid1(VALU_DEP_2)
	v_div_scale_f32 v30, null, v31, v31, 1.0
	v_div_scale_f32 v35, vcc_lo, 1.0, v31, 1.0
	v_rcp_f32_e32 v33, v30
	v_nop
	s_delay_alu instid0(TRANS32_DEP_1) | instskip(NEXT) | instid1(VALU_DEP_1)
	v_fma_f32 v34, -v30, v33, 1.0
	v_fmac_f32_e32 v33, v34, v33
	s_delay_alu instid0(VALU_DEP_1) | instskip(NEXT) | instid1(VALU_DEP_1)
	v_mul_f32_e32 v34, v35, v33
	v_fma_f32 v36, -v30, v34, v35
	s_delay_alu instid0(VALU_DEP_1) | instskip(NEXT) | instid1(VALU_DEP_1)
	v_fmac_f32_e32 v34, v36, v33
	v_fma_f32 v30, -v30, v34, v35
	s_delay_alu instid0(VALU_DEP_1) | instskip(NEXT) | instid1(VALU_DEP_1)
	v_div_fmas_f32 v30, v30, v33, v34
	v_div_fixup_f32 v30, v30, v31, 1.0
	s_delay_alu instid0(VALU_DEP_1)
	v_mul_f32_e32 v32, v32, v30
	v_xor_b32_e32 v33, 0x80000000, v30
                                        ; implicit-def: $vgpr30_vgpr31
.LBB64_52:                              ;   in Loop: Header=BB64_3 Depth=1
	s_and_not1_saveexec_b32 s9, s9
	s_cbranch_execz .LBB64_54
; %bb.53:                               ;   in Loop: Header=BB64_3 Depth=1
	v_div_scale_f32 v32, null, v30, v30, v31
	v_div_scale_f32 v35, vcc_lo, v31, v30, v31
	s_delay_alu instid0(VALU_DEP_2) | instskip(SKIP_1) | instid1(TRANS32_DEP_1)
	v_rcp_f32_e32 v33, v32
	v_nop
	v_fma_f32 v34, -v32, v33, 1.0
	s_delay_alu instid0(VALU_DEP_1) | instskip(NEXT) | instid1(VALU_DEP_1)
	v_fmac_f32_e32 v33, v34, v33
	v_mul_f32_e32 v34, v35, v33
	s_delay_alu instid0(VALU_DEP_1) | instskip(NEXT) | instid1(VALU_DEP_1)
	v_fma_f32 v36, -v32, v34, v35
	v_fmac_f32_e32 v34, v36, v33
	s_delay_alu instid0(VALU_DEP_1) | instskip(NEXT) | instid1(VALU_DEP_1)
	v_fma_f32 v32, -v32, v34, v35
	v_div_fmas_f32 v32, v32, v33, v34
	s_delay_alu instid0(VALU_DEP_1) | instskip(NEXT) | instid1(VALU_DEP_1)
	v_div_fixup_f32 v33, v32, v30, v31
	v_fmac_f32_e32 v30, v31, v33
	s_delay_alu instid0(VALU_DEP_1) | instskip(NEXT) | instid1(VALU_DEP_1)
	v_div_scale_f32 v31, null, v30, v30, 1.0
	v_rcp_f32_e32 v32, v31
	v_nop
	s_delay_alu instid0(TRANS32_DEP_1) | instskip(NEXT) | instid1(VALU_DEP_1)
	v_fma_f32 v34, -v31, v32, 1.0
	v_fmac_f32_e32 v32, v34, v32
	v_div_scale_f32 v34, vcc_lo, 1.0, v30, 1.0
	s_delay_alu instid0(VALU_DEP_1) | instskip(NEXT) | instid1(VALU_DEP_1)
	v_mul_f32_e32 v35, v34, v32
	v_fma_f32 v36, -v31, v35, v34
	s_delay_alu instid0(VALU_DEP_1) | instskip(NEXT) | instid1(VALU_DEP_1)
	v_fmac_f32_e32 v35, v36, v32
	v_fma_f32 v31, -v31, v35, v34
	s_delay_alu instid0(VALU_DEP_1) | instskip(NEXT) | instid1(VALU_DEP_1)
	v_div_fmas_f32 v31, v31, v32, v35
	v_div_fixup_f32 v32, v31, v30, 1.0
	s_delay_alu instid0(VALU_DEP_1)
	v_mul_f32_e64 v33, v33, -v32
.LBB64_54:                              ;   in Loop: Header=BB64_3 Depth=1
	s_or_b32 exec_lo, exec_lo, s9
	ds_store_b64 v64, v[32:33]
.LBB64_55:                              ;   in Loop: Header=BB64_3 Depth=1
	s_or_b32 exec_lo, exec_lo, s101
.LBB64_56:                              ;   in Loop: Header=BB64_3 Depth=1
	s_and_not1_saveexec_b32 s6, s100
	s_cbranch_execz .LBB64_58
; %bb.57:                               ;   in Loop: Header=BB64_3 Depth=1
	v_lshl_add_u64 v[30:31], v[14:15], 3, s[70:71]
	global_load_b64 v[30:31], v[30:31], off
	s_wait_loadcnt 0x0
	s_wait_xcnt 0x0
	v_pk_add_f32 v[30:31], v[30:31], 0 neg_lo:[1,1] neg_hi:[1,1]
	ds_store_b64 v64, v[30:31]
.LBB64_58:                              ;   in Loop: Header=BB64_3 Depth=1
	s_or_b32 exec_lo, exec_lo, s6
	v_readlane_b32 s7, v86, 20
	s_and_saveexec_b32 s6, s7
	s_delay_alu instid0(SALU_CYCLE_1)
	s_xor_b32 s100, exec_lo, s6
	s_cbranch_execz .LBB64_70
; %bb.59:                               ;   in Loop: Header=BB64_3 Depth=1
	v_readlane_b32 s7, v86, 28
	s_and_saveexec_b32 s6, s7
	s_delay_alu instid0(SALU_CYCLE_1)
	s_xor_b32 s6, exec_lo, s6
	s_cbranch_execz .LBB64_63
; %bb.60:                               ;   in Loop: Header=BB64_3 Depth=1
	v_readlane_b32 s7, v85, 21
	s_and_saveexec_b32 s9, s7
; %bb.61:                               ;   in Loop: Header=BB64_3 Depth=1
	ds_store_b64 v71, v[28:29]
; %bb.62:                               ;   in Loop: Header=BB64_3 Depth=1
	s_or_b32 exec_lo, exec_lo, s9
.LBB64_63:                              ;   in Loop: Header=BB64_3 Depth=1
	s_and_not1_saveexec_b32 s101, s6
	s_cbranch_execz .LBB64_69
; %bb.64:                               ;   in Loop: Header=BB64_3 Depth=1
	v_lshl_add_u64 v[30:31], v[16:17], 3, s[70:71]
	s_mov_b32 s9, exec_lo
                                        ; implicit-def: $vgpr32_vgpr33
	global_load_b64 v[30:31], v[30:31], off
	s_wait_loadcnt 0x0
	s_wait_xcnt 0x0
	v_cmpx_ngt_f32_e64 |v30|, |v31|
	s_xor_b32 s9, exec_lo, s9
	s_cbranch_execz .LBB64_66
; %bb.65:                               ;   in Loop: Header=BB64_3 Depth=1
	v_div_scale_f32 v32, null, v31, v31, v30
	v_div_scale_f32 v35, vcc_lo, v30, v31, v30
	s_delay_alu instid0(VALU_DEP_2) | instskip(SKIP_1) | instid1(TRANS32_DEP_1)
	v_rcp_f32_e32 v33, v32
	v_nop
	v_fma_f32 v34, -v32, v33, 1.0
	s_delay_alu instid0(VALU_DEP_1) | instskip(NEXT) | instid1(VALU_DEP_1)
	v_fmac_f32_e32 v33, v34, v33
	v_mul_f32_e32 v34, v35, v33
	s_delay_alu instid0(VALU_DEP_1) | instskip(NEXT) | instid1(VALU_DEP_1)
	v_fma_f32 v36, -v32, v34, v35
	v_fmac_f32_e32 v34, v36, v33
	s_delay_alu instid0(VALU_DEP_1) | instskip(NEXT) | instid1(VALU_DEP_1)
	v_fma_f32 v32, -v32, v34, v35
	v_div_fmas_f32 v32, v32, v33, v34
	s_delay_alu instid0(VALU_DEP_1) | instskip(NEXT) | instid1(VALU_DEP_1)
	v_div_fixup_f32 v32, v32, v31, v30
	v_fmac_f32_e32 v31, v30, v32
	s_delay_alu instid0(VALU_DEP_1) | instskip(SKIP_1) | instid1(VALU_DEP_2)
	v_div_scale_f32 v30, null, v31, v31, 1.0
	v_div_scale_f32 v35, vcc_lo, 1.0, v31, 1.0
	v_rcp_f32_e32 v33, v30
	v_nop
	s_delay_alu instid0(TRANS32_DEP_1) | instskip(NEXT) | instid1(VALU_DEP_1)
	v_fma_f32 v34, -v30, v33, 1.0
	v_fmac_f32_e32 v33, v34, v33
	s_delay_alu instid0(VALU_DEP_1) | instskip(NEXT) | instid1(VALU_DEP_1)
	v_mul_f32_e32 v34, v35, v33
	v_fma_f32 v36, -v30, v34, v35
	s_delay_alu instid0(VALU_DEP_1) | instskip(NEXT) | instid1(VALU_DEP_1)
	v_fmac_f32_e32 v34, v36, v33
	v_fma_f32 v30, -v30, v34, v35
	s_delay_alu instid0(VALU_DEP_1) | instskip(NEXT) | instid1(VALU_DEP_1)
	v_div_fmas_f32 v30, v30, v33, v34
	v_div_fixup_f32 v30, v30, v31, 1.0
	s_delay_alu instid0(VALU_DEP_1)
	v_mul_f32_e32 v32, v32, v30
	v_xor_b32_e32 v33, 0x80000000, v30
                                        ; implicit-def: $vgpr30_vgpr31
.LBB64_66:                              ;   in Loop: Header=BB64_3 Depth=1
	s_and_not1_saveexec_b32 s9, s9
	s_cbranch_execz .LBB64_68
; %bb.67:                               ;   in Loop: Header=BB64_3 Depth=1
	v_div_scale_f32 v32, null, v30, v30, v31
	v_div_scale_f32 v35, vcc_lo, v31, v30, v31
	s_delay_alu instid0(VALU_DEP_2) | instskip(SKIP_1) | instid1(TRANS32_DEP_1)
	v_rcp_f32_e32 v33, v32
	v_nop
	v_fma_f32 v34, -v32, v33, 1.0
	s_delay_alu instid0(VALU_DEP_1) | instskip(NEXT) | instid1(VALU_DEP_1)
	v_fmac_f32_e32 v33, v34, v33
	v_mul_f32_e32 v34, v35, v33
	s_delay_alu instid0(VALU_DEP_1) | instskip(NEXT) | instid1(VALU_DEP_1)
	v_fma_f32 v36, -v32, v34, v35
	v_fmac_f32_e32 v34, v36, v33
	s_delay_alu instid0(VALU_DEP_1) | instskip(NEXT) | instid1(VALU_DEP_1)
	v_fma_f32 v32, -v32, v34, v35
	v_div_fmas_f32 v32, v32, v33, v34
	s_delay_alu instid0(VALU_DEP_1) | instskip(NEXT) | instid1(VALU_DEP_1)
	v_div_fixup_f32 v33, v32, v30, v31
	v_fmac_f32_e32 v30, v31, v33
	s_delay_alu instid0(VALU_DEP_1) | instskip(NEXT) | instid1(VALU_DEP_1)
	v_div_scale_f32 v31, null, v30, v30, 1.0
	v_rcp_f32_e32 v32, v31
	v_nop
	s_delay_alu instid0(TRANS32_DEP_1) | instskip(NEXT) | instid1(VALU_DEP_1)
	v_fma_f32 v34, -v31, v32, 1.0
	v_fmac_f32_e32 v32, v34, v32
	v_div_scale_f32 v34, vcc_lo, 1.0, v30, 1.0
	s_delay_alu instid0(VALU_DEP_1) | instskip(NEXT) | instid1(VALU_DEP_1)
	v_mul_f32_e32 v35, v34, v32
	v_fma_f32 v36, -v31, v35, v34
	s_delay_alu instid0(VALU_DEP_1) | instskip(NEXT) | instid1(VALU_DEP_1)
	v_fmac_f32_e32 v35, v36, v32
	v_fma_f32 v31, -v31, v35, v34
	s_delay_alu instid0(VALU_DEP_1) | instskip(NEXT) | instid1(VALU_DEP_1)
	v_div_fmas_f32 v31, v31, v32, v35
	v_div_fixup_f32 v32, v31, v30, 1.0
	s_delay_alu instid0(VALU_DEP_1)
	v_mul_f32_e64 v33, v33, -v32
.LBB64_68:                              ;   in Loop: Header=BB64_3 Depth=1
	s_or_b32 exec_lo, exec_lo, s9
	ds_store_b64 v71, v[32:33]
.LBB64_69:                              ;   in Loop: Header=BB64_3 Depth=1
	s_or_b32 exec_lo, exec_lo, s101
.LBB64_70:                              ;   in Loop: Header=BB64_3 Depth=1
	s_and_not1_saveexec_b32 s6, s100
	s_cbranch_execz .LBB64_72
; %bb.71:                               ;   in Loop: Header=BB64_3 Depth=1
	v_lshl_add_u64 v[30:31], v[16:17], 3, s[70:71]
	global_load_b64 v[30:31], v[30:31], off
	s_wait_loadcnt 0x0
	s_wait_xcnt 0x0
	v_pk_add_f32 v[30:31], v[30:31], 0 neg_lo:[1,1] neg_hi:[1,1]
	ds_store_b64 v71, v[30:31]
.LBB64_72:                              ;   in Loop: Header=BB64_3 Depth=1
	s_or_b32 exec_lo, exec_lo, s6
	s_mov_b32 s6, 0
.LBB64_73:                              ;   in Loop: Header=BB64_3 Depth=1
	s_delay_alu instid0(SALU_CYCLE_1)
	s_and_b32 vcc_lo, exec_lo, s6
	s_cbranch_vccz .LBB64_131
; %bb.74:                               ;   in Loop: Header=BB64_3 Depth=1
	v_readlane_b32 s7, v86, 15
	s_and_saveexec_b32 s6, s7
	s_delay_alu instid0(SALU_CYCLE_1)
	s_xor_b32 s100, exec_lo, s6
	s_cbranch_execz .LBB64_86
; %bb.75:                               ;   in Loop: Header=BB64_3 Depth=1
	v_readlane_b32 s7, v86, 23
	s_and_saveexec_b32 s6, s7
	s_delay_alu instid0(SALU_CYCLE_1)
	s_xor_b32 s6, exec_lo, s6
	s_cbranch_execz .LBB64_79
; %bb.76:                               ;   in Loop: Header=BB64_3 Depth=1
	v_readlane_b32 s7, v85, 18
	s_and_saveexec_b32 s9, s7
; %bb.77:                               ;   in Loop: Header=BB64_3 Depth=1
	ds_store_b64 v69, v[28:29]
; %bb.78:                               ;   in Loop: Header=BB64_3 Depth=1
	s_or_b32 exec_lo, exec_lo, s9
.LBB64_79:                              ;   in Loop: Header=BB64_3 Depth=1
	s_and_not1_saveexec_b32 s101, s6
	s_cbranch_execz .LBB64_85
; %bb.80:                               ;   in Loop: Header=BB64_3 Depth=1
	v_lshl_add_u64 v[30:31], v[10:11], 3, s[70:71]
	s_mov_b32 s9, exec_lo
                                        ; implicit-def: $vgpr32_vgpr33
	global_load_b64 v[30:31], v[30:31], off
	s_wait_loadcnt 0x0
	s_wait_xcnt 0x0
	v_cmpx_ngt_f32_e64 |v30|, |v31|
	s_xor_b32 s9, exec_lo, s9
	s_cbranch_execz .LBB64_82
; %bb.81:                               ;   in Loop: Header=BB64_3 Depth=1
	v_div_scale_f32 v32, null, v31, v31, v30
	v_div_scale_f32 v35, vcc_lo, v30, v31, v30
	s_delay_alu instid0(VALU_DEP_2) | instskip(SKIP_1) | instid1(TRANS32_DEP_1)
	v_rcp_f32_e32 v33, v32
	v_nop
	v_fma_f32 v34, -v32, v33, 1.0
	s_delay_alu instid0(VALU_DEP_1) | instskip(NEXT) | instid1(VALU_DEP_1)
	v_fmac_f32_e32 v33, v34, v33
	v_mul_f32_e32 v34, v35, v33
	s_delay_alu instid0(VALU_DEP_1) | instskip(NEXT) | instid1(VALU_DEP_1)
	v_fma_f32 v36, -v32, v34, v35
	v_fmac_f32_e32 v34, v36, v33
	s_delay_alu instid0(VALU_DEP_1) | instskip(NEXT) | instid1(VALU_DEP_1)
	v_fma_f32 v32, -v32, v34, v35
	v_div_fmas_f32 v32, v32, v33, v34
	s_delay_alu instid0(VALU_DEP_1) | instskip(NEXT) | instid1(VALU_DEP_1)
	v_div_fixup_f32 v32, v32, v31, v30
	v_fmac_f32_e32 v31, v30, v32
	s_delay_alu instid0(VALU_DEP_1) | instskip(SKIP_1) | instid1(VALU_DEP_2)
	v_div_scale_f32 v30, null, v31, v31, 1.0
	v_div_scale_f32 v35, vcc_lo, 1.0, v31, 1.0
	v_rcp_f32_e32 v33, v30
	v_nop
	s_delay_alu instid0(TRANS32_DEP_1) | instskip(NEXT) | instid1(VALU_DEP_1)
	v_fma_f32 v34, -v30, v33, 1.0
	v_fmac_f32_e32 v33, v34, v33
	s_delay_alu instid0(VALU_DEP_1) | instskip(NEXT) | instid1(VALU_DEP_1)
	v_mul_f32_e32 v34, v35, v33
	v_fma_f32 v36, -v30, v34, v35
	s_delay_alu instid0(VALU_DEP_1) | instskip(NEXT) | instid1(VALU_DEP_1)
	v_fmac_f32_e32 v34, v36, v33
	v_fma_f32 v30, -v30, v34, v35
	s_delay_alu instid0(VALU_DEP_1) | instskip(NEXT) | instid1(VALU_DEP_1)
	v_div_fmas_f32 v30, v30, v33, v34
	v_div_fixup_f32 v30, v30, v31, 1.0
	s_delay_alu instid0(VALU_DEP_1)
	v_mul_f32_e32 v32, v32, v30
	v_xor_b32_e32 v33, 0x80000000, v30
                                        ; implicit-def: $vgpr30_vgpr31
.LBB64_82:                              ;   in Loop: Header=BB64_3 Depth=1
	s_and_not1_saveexec_b32 s9, s9
	s_cbranch_execz .LBB64_84
; %bb.83:                               ;   in Loop: Header=BB64_3 Depth=1
	v_div_scale_f32 v32, null, v30, v30, v31
	v_div_scale_f32 v35, vcc_lo, v31, v30, v31
	s_delay_alu instid0(VALU_DEP_2) | instskip(SKIP_1) | instid1(TRANS32_DEP_1)
	v_rcp_f32_e32 v33, v32
	v_nop
	v_fma_f32 v34, -v32, v33, 1.0
	s_delay_alu instid0(VALU_DEP_1) | instskip(NEXT) | instid1(VALU_DEP_1)
	v_fmac_f32_e32 v33, v34, v33
	v_mul_f32_e32 v34, v35, v33
	s_delay_alu instid0(VALU_DEP_1) | instskip(NEXT) | instid1(VALU_DEP_1)
	v_fma_f32 v36, -v32, v34, v35
	v_fmac_f32_e32 v34, v36, v33
	s_delay_alu instid0(VALU_DEP_1) | instskip(NEXT) | instid1(VALU_DEP_1)
	v_fma_f32 v32, -v32, v34, v35
	v_div_fmas_f32 v32, v32, v33, v34
	s_delay_alu instid0(VALU_DEP_1) | instskip(NEXT) | instid1(VALU_DEP_1)
	v_div_fixup_f32 v33, v32, v30, v31
	v_fmac_f32_e32 v30, v31, v33
	s_delay_alu instid0(VALU_DEP_1) | instskip(NEXT) | instid1(VALU_DEP_1)
	v_div_scale_f32 v31, null, v30, v30, 1.0
	v_rcp_f32_e32 v32, v31
	v_nop
	s_delay_alu instid0(TRANS32_DEP_1) | instskip(NEXT) | instid1(VALU_DEP_1)
	v_fma_f32 v34, -v31, v32, 1.0
	v_fmac_f32_e32 v32, v34, v32
	v_div_scale_f32 v34, vcc_lo, 1.0, v30, 1.0
	s_delay_alu instid0(VALU_DEP_1) | instskip(NEXT) | instid1(VALU_DEP_1)
	v_mul_f32_e32 v35, v34, v32
	v_fma_f32 v36, -v31, v35, v34
	s_delay_alu instid0(VALU_DEP_1) | instskip(NEXT) | instid1(VALU_DEP_1)
	v_fmac_f32_e32 v35, v36, v32
	v_fma_f32 v31, -v31, v35, v34
	s_delay_alu instid0(VALU_DEP_1) | instskip(NEXT) | instid1(VALU_DEP_1)
	v_div_fmas_f32 v31, v31, v32, v35
	v_div_fixup_f32 v32, v31, v30, 1.0
	s_delay_alu instid0(VALU_DEP_1)
	v_mul_f32_e64 v33, v33, -v32
.LBB64_84:                              ;   in Loop: Header=BB64_3 Depth=1
	s_or_b32 exec_lo, exec_lo, s9
	ds_store_b64 v69, v[32:33]
.LBB64_85:                              ;   in Loop: Header=BB64_3 Depth=1
	s_or_b32 exec_lo, exec_lo, s101
.LBB64_86:                              ;   in Loop: Header=BB64_3 Depth=1
	s_and_not1_saveexec_b32 s6, s100
	s_cbranch_execz .LBB64_88
; %bb.87:                               ;   in Loop: Header=BB64_3 Depth=1
	v_lshl_add_u64 v[30:31], v[10:11], 3, s[70:71]
	global_load_b64 v[30:31], v[30:31], off
	s_wait_loadcnt 0x0
	s_wait_xcnt 0x0
	v_pk_add_f32 v[30:31], v[30:31], 0 neg_lo:[1,1] neg_hi:[1,1]
	ds_store_b64 v69, v[30:31]
.LBB64_88:                              ;   in Loop: Header=BB64_3 Depth=1
	s_or_b32 exec_lo, exec_lo, s6
	v_readlane_b32 s7, v86, 17
	s_and_saveexec_b32 s6, s7
	s_delay_alu instid0(SALU_CYCLE_1)
	s_xor_b32 s100, exec_lo, s6
	s_cbranch_execz .LBB64_100
; %bb.89:                               ;   in Loop: Header=BB64_3 Depth=1
	v_readlane_b32 s7, v86, 25
	s_and_saveexec_b32 s6, s7
	s_delay_alu instid0(SALU_CYCLE_1)
	s_xor_b32 s6, exec_lo, s6
	s_cbranch_execz .LBB64_93
; %bb.90:                               ;   in Loop: Header=BB64_3 Depth=1
	v_readlane_b32 s7, v85, 19
	s_and_saveexec_b32 s9, s7
; %bb.91:                               ;   in Loop: Header=BB64_3 Depth=1
	ds_store_b64 v63, v[28:29]
; %bb.92:                               ;   in Loop: Header=BB64_3 Depth=1
	s_or_b32 exec_lo, exec_lo, s9
.LBB64_93:                              ;   in Loop: Header=BB64_3 Depth=1
	s_and_not1_saveexec_b32 s101, s6
	s_cbranch_execz .LBB64_99
; %bb.94:                               ;   in Loop: Header=BB64_3 Depth=1
	v_lshl_add_u64 v[30:31], v[12:13], 3, s[70:71]
	s_mov_b32 s9, exec_lo
                                        ; implicit-def: $vgpr32_vgpr33
	global_load_b64 v[30:31], v[30:31], off
	s_wait_loadcnt 0x0
	s_wait_xcnt 0x0
	v_cmpx_ngt_f32_e64 |v30|, |v31|
	s_xor_b32 s9, exec_lo, s9
	s_cbranch_execz .LBB64_96
; %bb.95:                               ;   in Loop: Header=BB64_3 Depth=1
	v_div_scale_f32 v32, null, v31, v31, v30
	v_div_scale_f32 v35, vcc_lo, v30, v31, v30
	s_delay_alu instid0(VALU_DEP_2) | instskip(SKIP_1) | instid1(TRANS32_DEP_1)
	v_rcp_f32_e32 v33, v32
	v_nop
	v_fma_f32 v34, -v32, v33, 1.0
	s_delay_alu instid0(VALU_DEP_1) | instskip(NEXT) | instid1(VALU_DEP_1)
	v_fmac_f32_e32 v33, v34, v33
	v_mul_f32_e32 v34, v35, v33
	s_delay_alu instid0(VALU_DEP_1) | instskip(NEXT) | instid1(VALU_DEP_1)
	v_fma_f32 v36, -v32, v34, v35
	v_fmac_f32_e32 v34, v36, v33
	s_delay_alu instid0(VALU_DEP_1) | instskip(NEXT) | instid1(VALU_DEP_1)
	v_fma_f32 v32, -v32, v34, v35
	v_div_fmas_f32 v32, v32, v33, v34
	s_delay_alu instid0(VALU_DEP_1) | instskip(NEXT) | instid1(VALU_DEP_1)
	v_div_fixup_f32 v32, v32, v31, v30
	v_fmac_f32_e32 v31, v30, v32
	s_delay_alu instid0(VALU_DEP_1) | instskip(SKIP_1) | instid1(VALU_DEP_2)
	v_div_scale_f32 v30, null, v31, v31, 1.0
	v_div_scale_f32 v35, vcc_lo, 1.0, v31, 1.0
	v_rcp_f32_e32 v33, v30
	v_nop
	s_delay_alu instid0(TRANS32_DEP_1) | instskip(NEXT) | instid1(VALU_DEP_1)
	v_fma_f32 v34, -v30, v33, 1.0
	v_fmac_f32_e32 v33, v34, v33
	s_delay_alu instid0(VALU_DEP_1) | instskip(NEXT) | instid1(VALU_DEP_1)
	v_mul_f32_e32 v34, v35, v33
	v_fma_f32 v36, -v30, v34, v35
	s_delay_alu instid0(VALU_DEP_1) | instskip(NEXT) | instid1(VALU_DEP_1)
	v_fmac_f32_e32 v34, v36, v33
	v_fma_f32 v30, -v30, v34, v35
	s_delay_alu instid0(VALU_DEP_1) | instskip(NEXT) | instid1(VALU_DEP_1)
	v_div_fmas_f32 v30, v30, v33, v34
	v_div_fixup_f32 v30, v30, v31, 1.0
	s_delay_alu instid0(VALU_DEP_1)
	v_mul_f32_e32 v32, v32, v30
	v_xor_b32_e32 v33, 0x80000000, v30
                                        ; implicit-def: $vgpr30_vgpr31
.LBB64_96:                              ;   in Loop: Header=BB64_3 Depth=1
	s_and_not1_saveexec_b32 s9, s9
	s_cbranch_execz .LBB64_98
; %bb.97:                               ;   in Loop: Header=BB64_3 Depth=1
	v_div_scale_f32 v32, null, v30, v30, v31
	v_div_scale_f32 v35, vcc_lo, v31, v30, v31
	s_delay_alu instid0(VALU_DEP_2) | instskip(SKIP_1) | instid1(TRANS32_DEP_1)
	v_rcp_f32_e32 v33, v32
	v_nop
	v_fma_f32 v34, -v32, v33, 1.0
	s_delay_alu instid0(VALU_DEP_1) | instskip(NEXT) | instid1(VALU_DEP_1)
	v_fmac_f32_e32 v33, v34, v33
	v_mul_f32_e32 v34, v35, v33
	s_delay_alu instid0(VALU_DEP_1) | instskip(NEXT) | instid1(VALU_DEP_1)
	v_fma_f32 v36, -v32, v34, v35
	v_fmac_f32_e32 v34, v36, v33
	s_delay_alu instid0(VALU_DEP_1) | instskip(NEXT) | instid1(VALU_DEP_1)
	v_fma_f32 v32, -v32, v34, v35
	v_div_fmas_f32 v32, v32, v33, v34
	s_delay_alu instid0(VALU_DEP_1) | instskip(NEXT) | instid1(VALU_DEP_1)
	v_div_fixup_f32 v33, v32, v30, v31
	v_fmac_f32_e32 v30, v31, v33
	s_delay_alu instid0(VALU_DEP_1) | instskip(NEXT) | instid1(VALU_DEP_1)
	v_div_scale_f32 v31, null, v30, v30, 1.0
	v_rcp_f32_e32 v32, v31
	v_nop
	s_delay_alu instid0(TRANS32_DEP_1) | instskip(NEXT) | instid1(VALU_DEP_1)
	v_fma_f32 v34, -v31, v32, 1.0
	v_fmac_f32_e32 v32, v34, v32
	v_div_scale_f32 v34, vcc_lo, 1.0, v30, 1.0
	s_delay_alu instid0(VALU_DEP_1) | instskip(NEXT) | instid1(VALU_DEP_1)
	v_mul_f32_e32 v35, v34, v32
	v_fma_f32 v36, -v31, v35, v34
	s_delay_alu instid0(VALU_DEP_1) | instskip(NEXT) | instid1(VALU_DEP_1)
	v_fmac_f32_e32 v35, v36, v32
	v_fma_f32 v31, -v31, v35, v34
	s_delay_alu instid0(VALU_DEP_1) | instskip(NEXT) | instid1(VALU_DEP_1)
	v_div_fmas_f32 v31, v31, v32, v35
	v_div_fixup_f32 v32, v31, v30, 1.0
	s_delay_alu instid0(VALU_DEP_1)
	v_mul_f32_e64 v33, v33, -v32
.LBB64_98:                              ;   in Loop: Header=BB64_3 Depth=1
	s_or_b32 exec_lo, exec_lo, s9
	ds_store_b64 v63, v[32:33]
.LBB64_99:                              ;   in Loop: Header=BB64_3 Depth=1
	s_or_b32 exec_lo, exec_lo, s101
.LBB64_100:                             ;   in Loop: Header=BB64_3 Depth=1
	s_and_not1_saveexec_b32 s6, s100
	s_cbranch_execz .LBB64_102
; %bb.101:                              ;   in Loop: Header=BB64_3 Depth=1
	v_lshl_add_u64 v[30:31], v[12:13], 3, s[70:71]
	global_load_b64 v[30:31], v[30:31], off
	s_wait_loadcnt 0x0
	s_wait_xcnt 0x0
	v_pk_add_f32 v[30:31], v[30:31], 0 neg_lo:[1,1] neg_hi:[1,1]
	ds_store_b64 v63, v[30:31]
.LBB64_102:                             ;   in Loop: Header=BB64_3 Depth=1
	s_or_b32 exec_lo, exec_lo, s6
	v_readlane_b32 s7, v86, 19
	s_and_saveexec_b32 s6, s7
	s_delay_alu instid0(SALU_CYCLE_1)
	s_xor_b32 s100, exec_lo, s6
	s_cbranch_execz .LBB64_114
; %bb.103:                              ;   in Loop: Header=BB64_3 Depth=1
	v_readlane_b32 s7, v86, 27
	s_and_saveexec_b32 s6, s7
	s_delay_alu instid0(SALU_CYCLE_1)
	s_xor_b32 s6, exec_lo, s6
	s_cbranch_execz .LBB64_107
; %bb.104:                              ;   in Loop: Header=BB64_3 Depth=1
	v_readlane_b32 s7, v85, 20
	s_and_saveexec_b32 s9, s7
; %bb.105:                              ;   in Loop: Header=BB64_3 Depth=1
	ds_store_b64 v64, v[28:29]
; %bb.106:                              ;   in Loop: Header=BB64_3 Depth=1
	s_or_b32 exec_lo, exec_lo, s9
.LBB64_107:                             ;   in Loop: Header=BB64_3 Depth=1
	s_and_not1_saveexec_b32 s101, s6
	s_cbranch_execz .LBB64_113
; %bb.108:                              ;   in Loop: Header=BB64_3 Depth=1
	v_lshl_add_u64 v[30:31], v[14:15], 3, s[70:71]
	s_mov_b32 s9, exec_lo
                                        ; implicit-def: $vgpr32_vgpr33
	global_load_b64 v[30:31], v[30:31], off
	s_wait_loadcnt 0x0
	s_wait_xcnt 0x0
	v_cmpx_ngt_f32_e64 |v30|, |v31|
	s_xor_b32 s9, exec_lo, s9
	s_cbranch_execz .LBB64_110
; %bb.109:                              ;   in Loop: Header=BB64_3 Depth=1
	v_div_scale_f32 v32, null, v31, v31, v30
	v_div_scale_f32 v35, vcc_lo, v30, v31, v30
	s_delay_alu instid0(VALU_DEP_2) | instskip(SKIP_1) | instid1(TRANS32_DEP_1)
	v_rcp_f32_e32 v33, v32
	v_nop
	v_fma_f32 v34, -v32, v33, 1.0
	s_delay_alu instid0(VALU_DEP_1) | instskip(NEXT) | instid1(VALU_DEP_1)
	v_fmac_f32_e32 v33, v34, v33
	v_mul_f32_e32 v34, v35, v33
	s_delay_alu instid0(VALU_DEP_1) | instskip(NEXT) | instid1(VALU_DEP_1)
	v_fma_f32 v36, -v32, v34, v35
	v_fmac_f32_e32 v34, v36, v33
	s_delay_alu instid0(VALU_DEP_1) | instskip(NEXT) | instid1(VALU_DEP_1)
	v_fma_f32 v32, -v32, v34, v35
	v_div_fmas_f32 v32, v32, v33, v34
	s_delay_alu instid0(VALU_DEP_1) | instskip(NEXT) | instid1(VALU_DEP_1)
	v_div_fixup_f32 v32, v32, v31, v30
	v_fmac_f32_e32 v31, v30, v32
	s_delay_alu instid0(VALU_DEP_1) | instskip(SKIP_1) | instid1(VALU_DEP_2)
	v_div_scale_f32 v30, null, v31, v31, 1.0
	v_div_scale_f32 v35, vcc_lo, 1.0, v31, 1.0
	v_rcp_f32_e32 v33, v30
	v_nop
	s_delay_alu instid0(TRANS32_DEP_1) | instskip(NEXT) | instid1(VALU_DEP_1)
	v_fma_f32 v34, -v30, v33, 1.0
	v_fmac_f32_e32 v33, v34, v33
	s_delay_alu instid0(VALU_DEP_1) | instskip(NEXT) | instid1(VALU_DEP_1)
	v_mul_f32_e32 v34, v35, v33
	v_fma_f32 v36, -v30, v34, v35
	s_delay_alu instid0(VALU_DEP_1) | instskip(NEXT) | instid1(VALU_DEP_1)
	v_fmac_f32_e32 v34, v36, v33
	v_fma_f32 v30, -v30, v34, v35
	s_delay_alu instid0(VALU_DEP_1) | instskip(NEXT) | instid1(VALU_DEP_1)
	v_div_fmas_f32 v30, v30, v33, v34
	v_div_fixup_f32 v30, v30, v31, 1.0
	s_delay_alu instid0(VALU_DEP_1)
	v_mul_f32_e32 v32, v32, v30
	v_xor_b32_e32 v33, 0x80000000, v30
                                        ; implicit-def: $vgpr30_vgpr31
.LBB64_110:                             ;   in Loop: Header=BB64_3 Depth=1
	s_and_not1_saveexec_b32 s9, s9
	s_cbranch_execz .LBB64_112
; %bb.111:                              ;   in Loop: Header=BB64_3 Depth=1
	v_div_scale_f32 v32, null, v30, v30, v31
	v_div_scale_f32 v35, vcc_lo, v31, v30, v31
	s_delay_alu instid0(VALU_DEP_2) | instskip(SKIP_1) | instid1(TRANS32_DEP_1)
	v_rcp_f32_e32 v33, v32
	v_nop
	v_fma_f32 v34, -v32, v33, 1.0
	s_delay_alu instid0(VALU_DEP_1) | instskip(NEXT) | instid1(VALU_DEP_1)
	v_fmac_f32_e32 v33, v34, v33
	v_mul_f32_e32 v34, v35, v33
	s_delay_alu instid0(VALU_DEP_1) | instskip(NEXT) | instid1(VALU_DEP_1)
	v_fma_f32 v36, -v32, v34, v35
	v_fmac_f32_e32 v34, v36, v33
	s_delay_alu instid0(VALU_DEP_1) | instskip(NEXT) | instid1(VALU_DEP_1)
	v_fma_f32 v32, -v32, v34, v35
	v_div_fmas_f32 v32, v32, v33, v34
	s_delay_alu instid0(VALU_DEP_1) | instskip(NEXT) | instid1(VALU_DEP_1)
	v_div_fixup_f32 v33, v32, v30, v31
	v_fmac_f32_e32 v30, v31, v33
	s_delay_alu instid0(VALU_DEP_1) | instskip(NEXT) | instid1(VALU_DEP_1)
	v_div_scale_f32 v31, null, v30, v30, 1.0
	v_rcp_f32_e32 v32, v31
	v_nop
	s_delay_alu instid0(TRANS32_DEP_1) | instskip(NEXT) | instid1(VALU_DEP_1)
	v_fma_f32 v34, -v31, v32, 1.0
	v_fmac_f32_e32 v32, v34, v32
	v_div_scale_f32 v34, vcc_lo, 1.0, v30, 1.0
	s_delay_alu instid0(VALU_DEP_1) | instskip(NEXT) | instid1(VALU_DEP_1)
	v_mul_f32_e32 v35, v34, v32
	v_fma_f32 v36, -v31, v35, v34
	s_delay_alu instid0(VALU_DEP_1) | instskip(NEXT) | instid1(VALU_DEP_1)
	v_fmac_f32_e32 v35, v36, v32
	v_fma_f32 v31, -v31, v35, v34
	s_delay_alu instid0(VALU_DEP_1) | instskip(NEXT) | instid1(VALU_DEP_1)
	v_div_fmas_f32 v31, v31, v32, v35
	v_div_fixup_f32 v32, v31, v30, 1.0
	s_delay_alu instid0(VALU_DEP_1)
	v_mul_f32_e64 v33, v33, -v32
.LBB64_112:                             ;   in Loop: Header=BB64_3 Depth=1
	s_or_b32 exec_lo, exec_lo, s9
	ds_store_b64 v64, v[32:33]
.LBB64_113:                             ;   in Loop: Header=BB64_3 Depth=1
	s_or_b32 exec_lo, exec_lo, s101
.LBB64_114:                             ;   in Loop: Header=BB64_3 Depth=1
	s_and_not1_saveexec_b32 s6, s100
	s_cbranch_execz .LBB64_116
; %bb.115:                              ;   in Loop: Header=BB64_3 Depth=1
	v_lshl_add_u64 v[30:31], v[14:15], 3, s[70:71]
	global_load_b64 v[30:31], v[30:31], off
	s_wait_loadcnt 0x0
	s_wait_xcnt 0x0
	v_pk_add_f32 v[30:31], v[30:31], 0 neg_lo:[1,1] neg_hi:[1,1]
	ds_store_b64 v64, v[30:31]
.LBB64_116:                             ;   in Loop: Header=BB64_3 Depth=1
	s_or_b32 exec_lo, exec_lo, s6
	v_readlane_b32 s7, v86, 21
	s_and_saveexec_b32 s6, s7
	s_delay_alu instid0(SALU_CYCLE_1)
	s_xor_b32 s100, exec_lo, s6
	s_cbranch_execz .LBB64_128
; %bb.117:                              ;   in Loop: Header=BB64_3 Depth=1
	v_readlane_b32 s7, v86, 29
	s_and_saveexec_b32 s6, s7
	s_delay_alu instid0(SALU_CYCLE_1)
	s_xor_b32 s6, exec_lo, s6
	s_cbranch_execz .LBB64_121
; %bb.118:                              ;   in Loop: Header=BB64_3 Depth=1
	v_readlane_b32 s7, v85, 21
	s_and_saveexec_b32 s9, s7
; %bb.119:                              ;   in Loop: Header=BB64_3 Depth=1
	ds_store_b64 v71, v[28:29]
; %bb.120:                              ;   in Loop: Header=BB64_3 Depth=1
	s_or_b32 exec_lo, exec_lo, s9
.LBB64_121:                             ;   in Loop: Header=BB64_3 Depth=1
	s_and_not1_saveexec_b32 s101, s6
	s_cbranch_execz .LBB64_127
; %bb.122:                              ;   in Loop: Header=BB64_3 Depth=1
	v_lshl_add_u64 v[30:31], v[16:17], 3, s[70:71]
	s_mov_b32 s9, exec_lo
                                        ; implicit-def: $vgpr32_vgpr33
	global_load_b64 v[30:31], v[30:31], off
	s_wait_loadcnt 0x0
	s_wait_xcnt 0x0
	v_cmpx_ngt_f32_e64 |v30|, |v31|
	s_xor_b32 s9, exec_lo, s9
	s_cbranch_execz .LBB64_124
; %bb.123:                              ;   in Loop: Header=BB64_3 Depth=1
	v_div_scale_f32 v32, null, v31, v31, v30
	v_div_scale_f32 v35, vcc_lo, v30, v31, v30
	s_delay_alu instid0(VALU_DEP_2) | instskip(SKIP_1) | instid1(TRANS32_DEP_1)
	v_rcp_f32_e32 v33, v32
	v_nop
	v_fma_f32 v34, -v32, v33, 1.0
	s_delay_alu instid0(VALU_DEP_1) | instskip(NEXT) | instid1(VALU_DEP_1)
	v_fmac_f32_e32 v33, v34, v33
	v_mul_f32_e32 v34, v35, v33
	s_delay_alu instid0(VALU_DEP_1) | instskip(NEXT) | instid1(VALU_DEP_1)
	v_fma_f32 v36, -v32, v34, v35
	v_fmac_f32_e32 v34, v36, v33
	s_delay_alu instid0(VALU_DEP_1) | instskip(NEXT) | instid1(VALU_DEP_1)
	v_fma_f32 v32, -v32, v34, v35
	v_div_fmas_f32 v32, v32, v33, v34
	s_delay_alu instid0(VALU_DEP_1) | instskip(NEXT) | instid1(VALU_DEP_1)
	v_div_fixup_f32 v32, v32, v31, v30
	v_fmac_f32_e32 v31, v30, v32
	s_delay_alu instid0(VALU_DEP_1) | instskip(SKIP_1) | instid1(VALU_DEP_2)
	v_div_scale_f32 v30, null, v31, v31, 1.0
	v_div_scale_f32 v35, vcc_lo, 1.0, v31, 1.0
	v_rcp_f32_e32 v33, v30
	v_nop
	s_delay_alu instid0(TRANS32_DEP_1) | instskip(NEXT) | instid1(VALU_DEP_1)
	v_fma_f32 v34, -v30, v33, 1.0
	v_fmac_f32_e32 v33, v34, v33
	s_delay_alu instid0(VALU_DEP_1) | instskip(NEXT) | instid1(VALU_DEP_1)
	v_mul_f32_e32 v34, v35, v33
	v_fma_f32 v36, -v30, v34, v35
	s_delay_alu instid0(VALU_DEP_1) | instskip(NEXT) | instid1(VALU_DEP_1)
	v_fmac_f32_e32 v34, v36, v33
	v_fma_f32 v30, -v30, v34, v35
	s_delay_alu instid0(VALU_DEP_1) | instskip(NEXT) | instid1(VALU_DEP_1)
	v_div_fmas_f32 v30, v30, v33, v34
	v_div_fixup_f32 v30, v30, v31, 1.0
	s_delay_alu instid0(VALU_DEP_1)
	v_mul_f32_e32 v32, v32, v30
	v_xor_b32_e32 v33, 0x80000000, v30
                                        ; implicit-def: $vgpr30_vgpr31
.LBB64_124:                             ;   in Loop: Header=BB64_3 Depth=1
	s_and_not1_saveexec_b32 s9, s9
	s_cbranch_execz .LBB64_126
; %bb.125:                              ;   in Loop: Header=BB64_3 Depth=1
	v_div_scale_f32 v32, null, v30, v30, v31
	v_div_scale_f32 v35, vcc_lo, v31, v30, v31
	s_delay_alu instid0(VALU_DEP_2) | instskip(SKIP_1) | instid1(TRANS32_DEP_1)
	v_rcp_f32_e32 v33, v32
	v_nop
	v_fma_f32 v34, -v32, v33, 1.0
	s_delay_alu instid0(VALU_DEP_1) | instskip(NEXT) | instid1(VALU_DEP_1)
	v_fmac_f32_e32 v33, v34, v33
	v_mul_f32_e32 v34, v35, v33
	s_delay_alu instid0(VALU_DEP_1) | instskip(NEXT) | instid1(VALU_DEP_1)
	v_fma_f32 v36, -v32, v34, v35
	v_fmac_f32_e32 v34, v36, v33
	s_delay_alu instid0(VALU_DEP_1) | instskip(NEXT) | instid1(VALU_DEP_1)
	v_fma_f32 v32, -v32, v34, v35
	v_div_fmas_f32 v32, v32, v33, v34
	s_delay_alu instid0(VALU_DEP_1) | instskip(NEXT) | instid1(VALU_DEP_1)
	v_div_fixup_f32 v33, v32, v30, v31
	v_fmac_f32_e32 v30, v31, v33
	s_delay_alu instid0(VALU_DEP_1) | instskip(NEXT) | instid1(VALU_DEP_1)
	v_div_scale_f32 v31, null, v30, v30, 1.0
	v_rcp_f32_e32 v32, v31
	v_nop
	s_delay_alu instid0(TRANS32_DEP_1) | instskip(NEXT) | instid1(VALU_DEP_1)
	v_fma_f32 v34, -v31, v32, 1.0
	v_fmac_f32_e32 v32, v34, v32
	v_div_scale_f32 v34, vcc_lo, 1.0, v30, 1.0
	s_delay_alu instid0(VALU_DEP_1) | instskip(NEXT) | instid1(VALU_DEP_1)
	v_mul_f32_e32 v35, v34, v32
	v_fma_f32 v36, -v31, v35, v34
	s_delay_alu instid0(VALU_DEP_1) | instskip(NEXT) | instid1(VALU_DEP_1)
	v_fmac_f32_e32 v35, v36, v32
	v_fma_f32 v31, -v31, v35, v34
	s_delay_alu instid0(VALU_DEP_1) | instskip(NEXT) | instid1(VALU_DEP_1)
	v_div_fmas_f32 v31, v31, v32, v35
	v_div_fixup_f32 v32, v31, v30, 1.0
	s_delay_alu instid0(VALU_DEP_1)
	v_mul_f32_e64 v33, v33, -v32
.LBB64_126:                             ;   in Loop: Header=BB64_3 Depth=1
	s_or_b32 exec_lo, exec_lo, s9
	ds_store_b64 v71, v[32:33]
.LBB64_127:                             ;   in Loop: Header=BB64_3 Depth=1
	s_or_b32 exec_lo, exec_lo, s101
.LBB64_128:                             ;   in Loop: Header=BB64_3 Depth=1
	s_and_not1_saveexec_b32 s6, s100
	s_cbranch_execz .LBB64_130
; %bb.129:                              ;   in Loop: Header=BB64_3 Depth=1
	v_lshl_add_u64 v[30:31], v[16:17], 3, s[70:71]
	global_load_b64 v[30:31], v[30:31], off
	s_wait_loadcnt 0x0
	s_wait_xcnt 0x0
	v_pk_add_f32 v[30:31], v[30:31], 0 neg_lo:[1,1] neg_hi:[1,1]
	ds_store_b64 v71, v[30:31]
.LBB64_130:                             ;   in Loop: Header=BB64_3 Depth=1
	s_or_b32 exec_lo, exec_lo, s6
.LBB64_131:                             ;   in Loop: Header=BB64_3 Depth=1
	s_delay_alu instid0(SALU_CYCLE_1)
	s_and_not1_b32 vcc_lo, exec_lo, s46
	s_wait_storecnt_dscnt 0x0
	s_barrier_signal -1
	s_barrier_wait -1
	s_cbranch_vccnz .LBB64_991
; %bb.132:                              ;   in Loop: Header=BB64_3 Depth=1
	s_and_saveexec_b32 s6, s14
	s_cbranch_execz .LBB64_134
; %bb.133:                              ;   in Loop: Header=BB64_3 Depth=1
	v_add_nc_u32_e64 v30, 0x1f0, 0
	ds_load_b64 v[34:35], v5 offset:32760
	ds_load_2addr_stride64_b64 v[30:33], v30 offset0:62 offset1:63
	s_wait_dscnt 0x0
	v_dual_mul_f32 v37, v35, v31 :: v_dual_mul_f32 v36, v34, v31
	s_delay_alu instid0(VALU_DEP_1) | instskip(NEXT) | instid1(VALU_DEP_2)
	v_xor_b32_e32 v76, 0x80000000, v37
	v_fmac_f32_e32 v36, v35, v30
	s_delay_alu instid0(VALU_DEP_2) | instskip(NEXT) | instid1(VALU_DEP_2)
	v_fmac_f32_e32 v76, v34, v30
	v_pk_mul_f32 v[30:31], v[36:37], v[32:33] op_sel:[0,1] op_sel_hi:[0,0]
	s_delay_alu instid0(VALU_DEP_1) | instskip(SKIP_1) | instid1(VALU_DEP_2)
	v_pk_fma_f32 v[34:35], v[76:77], v[32:33], v[30:31] op_sel_hi:[0,1,1]
	v_pk_fma_f32 v[30:31], v[76:77], v[32:33], v[30:31] neg_lo:[0,0,1] neg_hi:[0,0,1]
	v_mov_b32_e32 v31, v35
	ds_store_b64 v5, v[30:31] offset:32752
.LBB64_134:                             ;   in Loop: Header=BB64_3 Depth=1
	s_or_b32 exec_lo, exec_lo, s6
	v_dual_mov_b32 v30, 0 :: v_dual_mov_b32 v31, 0
	s_wait_dscnt 0x0
	s_barrier_signal -1
	s_barrier_wait -1
	global_wb scope:SCOPE_DEV
	s_wait_storecnt 0x0
	global_inv scope:SCOPE_DEV
	s_and_saveexec_b32 s9, s0
	s_cbranch_execz .LBB64_138
; %bb.135:                              ;   in Loop: Header=BB64_3 Depth=1
	ds_load_b64 v[30:31], v39 offset:32224
	ds_load_b64 v[32:33], v40 offset:32752
	s_wait_dscnt 0x0
	v_pk_mul_f32 v[34:35], v[32:33], v[30:31] op_sel:[1,1] op_sel_hi:[0,1]
	s_delay_alu instid0(VALU_DEP_1) | instskip(SKIP_1) | instid1(VALU_DEP_2)
	v_pk_fma_f32 v[36:37], v[32:33], v[30:31], v[34:35] op_sel_hi:[1,0,1]
	v_pk_fma_f32 v[30:31], v[32:33], v[30:31], v[34:35] neg_lo:[0,0,1] neg_hi:[0,0,1]
	v_mov_b32_e32 v31, v37
	s_delay_alu instid0(VALU_DEP_1)
	v_pk_add_f32 v[30:31], v[30:31], 0 op_sel_hi:[1,0]
	s_and_saveexec_b32 s6, s15
	s_cbranch_execz .LBB64_137
; %bb.136:                              ;   in Loop: Header=BB64_3 Depth=1
	ds_load_b64 v[32:33], v41 offset:32736
	ds_load_b64 v[34:35], v5 offset:32760
	s_wait_dscnt 0x0
	v_pk_mul_f32 v[36:37], v[34:35], v[32:33] op_sel:[1,1] op_sel_hi:[0,1]
	s_delay_alu instid0(VALU_DEP_1) | instskip(SKIP_1) | instid1(VALU_DEP_2)
	v_pk_fma_f32 v[76:77], v[34:35], v[32:33], v[36:37] op_sel_hi:[1,0,1]
	v_pk_fma_f32 v[32:33], v[34:35], v[32:33], v[36:37] neg_lo:[0,0,1] neg_hi:[0,0,1]
	v_mov_b32_e32 v33, v77
	s_delay_alu instid0(VALU_DEP_1)
	v_pk_add_f32 v[30:31], v[30:31], v[32:33]
.LBB64_137:                             ;   in Loop: Header=BB64_3 Depth=1
	s_or_b32 exec_lo, exec_lo, s6
.LBB64_138:                             ;   in Loop: Header=BB64_3 Depth=1
	s_delay_alu instid0(SALU_CYCLE_1)
	s_or_b32 exec_lo, exec_lo, s9
	s_and_saveexec_b32 s6, s47
	s_cbranch_execz .LBB64_140
; %bb.139:                              ;   in Loop: Header=BB64_3 Depth=1
	ds_load_b64 v[32:33], v5 offset:31720
	s_wait_dscnt 0x0
	v_pk_mul_f32 v[34:35], v[30:31], v[32:33] op_sel:[1,1] op_sel_hi:[1,0]
	s_delay_alu instid0(VALU_DEP_1) | instskip(SKIP_1) | instid1(VALU_DEP_2)
	v_pk_fma_f32 v[36:37], v[30:31], v[32:33], v[34:35] op_sel_hi:[0,1,1]
	v_pk_fma_f32 v[30:31], v[30:31], v[32:33], v[34:35] neg_lo:[0,0,1] neg_hi:[0,0,1]
	v_mov_b32_e32 v31, v37
	s_delay_alu instid0(VALU_DEP_1)
	v_pk_add_f32 v[32:33], v[30:31], 0 neg_lo:[1,1] neg_hi:[1,1]
	ds_store_b64 v3, v[32:33]
.LBB64_140:                             ;   in Loop: Header=BB64_3 Depth=1
	s_or_b32 exec_lo, exec_lo, s6
	s_wait_loadcnt_dscnt 0x0
	s_barrier_signal -1
	s_barrier_wait -1
	s_and_saveexec_b32 s6, s48
	s_cbranch_execz .LBB64_142
; %bb.141:                              ;   in Loop: Header=BB64_3 Depth=1
	ds_load_b64 v[32:33], v5 offset:31712
	ds_load_b64 v[34:35], v3
	s_wait_dscnt 0x0
	v_pk_mul_f32 v[36:37], v[34:35], v[32:33] op_sel:[1,1] op_sel_hi:[0,1]
	s_delay_alu instid0(VALU_DEP_1) | instskip(SKIP_1) | instid1(VALU_DEP_2)
	v_pk_fma_f32 v[76:77], v[34:35], v[32:33], v[36:37] op_sel_hi:[1,0,1]
	v_pk_fma_f32 v[32:33], v[34:35], v[32:33], v[36:37] neg_lo:[0,0,1] neg_hi:[0,0,1]
	v_mov_b32_e32 v33, v77
	s_delay_alu instid0(VALU_DEP_1)
	v_pk_add_f32 v[30:31], v[30:31], v[32:33] neg_lo:[0,1] neg_hi:[0,1]
.LBB64_142:                             ;   in Loop: Header=BB64_3 Depth=1
	s_or_b32 exec_lo, exec_lo, s6
	s_barrier_signal -1
	s_barrier_wait -1
	s_and_saveexec_b32 s6, s48
	s_cbranch_execz .LBB64_144
; %bb.143:                              ;   in Loop: Header=BB64_3 Depth=1
	ds_load_b64 v[32:33], v5 offset:31200
	s_wait_dscnt 0x0
	v_pk_mul_f32 v[34:35], v[30:31], v[32:33] op_sel:[1,1] op_sel_hi:[1,0]
	s_delay_alu instid0(VALU_DEP_1) | instskip(SKIP_1) | instid1(VALU_DEP_2)
	v_pk_fma_f32 v[36:37], v[30:31], v[32:33], v[34:35] op_sel_hi:[0,1,1]
	v_pk_fma_f32 v[30:31], v[30:31], v[32:33], v[34:35] neg_lo:[0,0,1] neg_hi:[0,0,1]
	v_mov_b32_e32 v31, v37
	s_delay_alu instid0(VALU_DEP_1)
	v_pk_add_f32 v[32:33], v[30:31], 0 neg_lo:[1,1] neg_hi:[1,1]
	ds_store_b64 v3, v[32:33]
.LBB64_144:                             ;   in Loop: Header=BB64_3 Depth=1
	s_or_b32 exec_lo, exec_lo, s6
	s_wait_dscnt 0x0
	s_barrier_signal -1
	s_barrier_wait -1
	s_barrier_signal -1
	s_barrier_wait -1
	s_and_saveexec_b32 s6, s0
; %bb.145:                              ;   in Loop: Header=BB64_3 Depth=1
	ds_store_b64 v42, v[30:31] offset:32736
; %bb.146:                              ;   in Loop: Header=BB64_3 Depth=1
	s_or_b32 exec_lo, exec_lo, s6
	s_wait_dscnt 0x0
	s_barrier_signal -1
	s_barrier_wait -1
	s_barrier_signal -1
	s_barrier_wait -1
	s_and_saveexec_b32 s6, s14
	s_cbranch_execz .LBB64_148
; %bb.147:                              ;   in Loop: Header=BB64_3 Depth=1
	v_add_nc_u32_e64 v30, 0x1e0, 0
	ds_load_b64 v[34:35], v5 offset:31720
	ds_load_2addr_stride64_b64 v[30:33], v30 offset0:60 offset1:61
	s_wait_dscnt 0x0
	v_dual_mul_f32 v37, v35, v31 :: v_dual_mul_f32 v36, v34, v31
	s_delay_alu instid0(VALU_DEP_1) | instskip(NEXT) | instid1(VALU_DEP_2)
	v_xor_b32_e32 v76, 0x80000000, v37
	v_fmac_f32_e32 v36, v35, v30
	s_delay_alu instid0(VALU_DEP_2) | instskip(NEXT) | instid1(VALU_DEP_2)
	v_fmac_f32_e32 v76, v34, v30
	v_pk_mul_f32 v[30:31], v[36:37], v[32:33] op_sel:[0,1] op_sel_hi:[0,0]
	s_delay_alu instid0(VALU_DEP_1) | instskip(SKIP_1) | instid1(VALU_DEP_2)
	v_pk_fma_f32 v[34:35], v[76:77], v[32:33], v[30:31] op_sel_hi:[0,1,1]
	v_pk_fma_f32 v[30:31], v[76:77], v[32:33], v[30:31] neg_lo:[0,0,1] neg_hi:[0,0,1]
	v_mov_b32_e32 v31, v35
	ds_store_b64 v5, v[30:31] offset:31712
.LBB64_148:                             ;   in Loop: Header=BB64_3 Depth=1
	s_or_b32 exec_lo, exec_lo, s6
	v_mov_b64_e32 v[30:31], 0
	s_wait_dscnt 0x0
	s_barrier_signal -1
	s_barrier_wait -1
	global_wb scope:SCOPE_DEV
	s_wait_storecnt 0x0
	global_inv scope:SCOPE_DEV
	s_and_saveexec_b32 s100, s1
	s_cbranch_execz .LBB64_154
; %bb.149:                              ;   in Loop: Header=BB64_3 Depth=1
	ds_load_b64 v[30:31], v44 offset:31168
	ds_load_b64 v[32:33], v45 offset:32736
	s_wait_dscnt 0x0
	v_dual_mul_f32 v34, v33, v31 :: v_dual_mul_f32 v31, v32, v31
	s_delay_alu instid0(VALU_DEP_1) | instskip(NEXT) | instid1(VALU_DEP_1)
	v_dual_fma_f32 v32, v32, v30, -v34 :: v_dual_fmac_f32 v31, v33, v30
	v_dual_add_f32 v30, 0, v32 :: v_dual_add_f32 v31, 0, v31
	s_and_saveexec_b32 s6, s16
	s_cbranch_execnz .LBB64_1048
; %bb.150:                              ;   in Loop: Header=BB64_3 Depth=1
	s_or_b32 exec_lo, exec_lo, s6
	s_and_saveexec_b32 s6, s17
	s_cbranch_execnz .LBB64_1049
.LBB64_151:                             ;   in Loop: Header=BB64_3 Depth=1
	s_or_b32 exec_lo, exec_lo, s6
	s_and_saveexec_b32 s6, s0
	s_cbranch_execz .LBB64_153
.LBB64_152:                             ;   in Loop: Header=BB64_3 Depth=1
	ds_load_b64 v[32:33], v41 offset:32704
	ds_load_b64 v[34:35], v5 offset:32760
	s_wait_dscnt 0x0
	v_dual_mul_f32 v36, v35, v33 :: v_dual_mul_f32 v33, v34, v33
	s_delay_alu instid0(VALU_DEP_1) | instskip(NEXT) | instid1(VALU_DEP_1)
	v_dual_fma_f32 v34, v34, v32, -v36 :: v_dual_fmac_f32 v33, v35, v32
	v_dual_add_f32 v30, v30, v34 :: v_dual_add_f32 v31, v31, v33
.LBB64_153:                             ;   in Loop: Header=BB64_3 Depth=1
	s_or_b32 exec_lo, exec_lo, s6
.LBB64_154:                             ;   in Loop: Header=BB64_3 Depth=1
	s_delay_alu instid0(SALU_CYCLE_1)
	s_or_b32 exec_lo, exec_lo, s100
	s_and_saveexec_b32 s6, s49
	s_cbranch_execz .LBB64_156
; %bb.155:                              ;   in Loop: Header=BB64_3 Depth=1
	ds_load_b64 v[32:33], v5 offset:30680
	s_wait_dscnt 0x0
	v_dual_mul_f32 v34, v31, v32 :: v_dual_mul_f32 v36, v31, v33
	s_delay_alu instid0(VALU_DEP_1) | instskip(NEXT) | instid1(VALU_DEP_2)
	v_pk_fma_f32 v[34:35], v[30:31], v[32:33], v[34:35] op_sel:[1,0,0] op_sel_hi:[0,1,0]
	v_pk_fma_f32 v[30:31], v[30:31], v[32:33], v[36:37] op_sel_hi:[1,1,0] neg_lo:[0,0,1] neg_hi:[0,0,1]
	s_delay_alu instid0(VALU_DEP_2) | instskip(NEXT) | instid1(VALU_DEP_1)
	v_mov_b32_e32 v31, v35
	v_pk_add_f32 v[32:33], v[30:31], 0 neg_lo:[1,1] neg_hi:[1,1]
	ds_store_b64 v43, v[32:33]
.LBB64_156:                             ;   in Loop: Header=BB64_3 Depth=1
	s_or_b32 exec_lo, exec_lo, s6
	s_wait_loadcnt_dscnt 0x0
	s_barrier_signal -1
	s_barrier_wait -1
	s_and_saveexec_b32 s6, s50
	s_cbranch_execz .LBB64_158
; %bb.157:                              ;   in Loop: Header=BB64_3 Depth=1
	ds_load_b64 v[32:33], v44 offset:30656
	ds_load_b64 v[34:35], v43
	s_wait_dscnt 0x0
	v_pk_mul_f32 v[36:37], v[34:35], v[32:33] op_sel:[1,1] op_sel_hi:[0,1]
	s_delay_alu instid0(VALU_DEP_1) | instskip(SKIP_1) | instid1(VALU_DEP_2)
	v_pk_fma_f32 v[76:77], v[34:35], v[32:33], v[36:37] op_sel_hi:[1,0,1]
	v_pk_fma_f32 v[32:33], v[34:35], v[32:33], v[36:37] neg_lo:[0,0,1] neg_hi:[0,0,1]
	v_mov_b32_e32 v33, v77
	s_delay_alu instid0(VALU_DEP_1)
	v_pk_add_f32 v[30:31], v[30:31], v[32:33] neg_lo:[0,1] neg_hi:[0,1]
.LBB64_158:                             ;   in Loop: Header=BB64_3 Depth=1
	s_or_b32 exec_lo, exec_lo, s6
	s_barrier_signal -1
	s_barrier_wait -1
	s_and_saveexec_b32 s6, s51
	s_cbranch_execz .LBB64_160
; %bb.159:                              ;   in Loop: Header=BB64_3 Depth=1
	ds_load_b64 v[32:33], v5 offset:30160
	s_wait_dscnt 0x0
	v_pk_mul_f32 v[34:35], v[30:31], v[32:33] op_sel:[1,1] op_sel_hi:[1,0]
	s_delay_alu instid0(VALU_DEP_1) | instskip(SKIP_1) | instid1(VALU_DEP_2)
	v_pk_fma_f32 v[36:37], v[30:31], v[32:33], v[34:35] op_sel_hi:[0,1,1]
	v_pk_fma_f32 v[30:31], v[30:31], v[32:33], v[34:35] neg_lo:[0,0,1] neg_hi:[0,0,1]
	v_mov_b32_e32 v31, v37
	s_delay_alu instid0(VALU_DEP_1)
	v_pk_add_f32 v[32:33], v[30:31], 0 neg_lo:[1,1] neg_hi:[1,1]
	ds_store_b64 v43, v[32:33]
.LBB64_160:                             ;   in Loop: Header=BB64_3 Depth=1
	s_or_b32 exec_lo, exec_lo, s6
	s_wait_dscnt 0x0
	s_barrier_signal -1
	s_barrier_wait -1
	s_and_saveexec_b32 s6, s52
	s_cbranch_execz .LBB64_162
; %bb.161:                              ;   in Loop: Header=BB64_3 Depth=1
	ds_load_b64 v[32:33], v44 offset:30144
	ds_load_b64 v[34:35], v43
	s_wait_dscnt 0x0
	v_pk_mul_f32 v[36:37], v[34:35], v[32:33] op_sel:[1,1] op_sel_hi:[0,1]
	s_delay_alu instid0(VALU_DEP_1) | instskip(SKIP_1) | instid1(VALU_DEP_2)
	v_pk_fma_f32 v[76:77], v[34:35], v[32:33], v[36:37] op_sel_hi:[1,0,1]
	v_pk_fma_f32 v[32:33], v[34:35], v[32:33], v[36:37] neg_lo:[0,0,1] neg_hi:[0,0,1]
	v_mov_b32_e32 v33, v77
	s_delay_alu instid0(VALU_DEP_1)
	v_pk_add_f32 v[30:31], v[30:31], v[32:33] neg_lo:[0,1] neg_hi:[0,1]
.LBB64_162:                             ;   in Loop: Header=BB64_3 Depth=1
	s_or_b32 exec_lo, exec_lo, s6
	s_barrier_signal -1
	s_barrier_wait -1
	s_and_saveexec_b32 s6, s53
	s_cbranch_execz .LBB64_164
; %bb.163:                              ;   in Loop: Header=BB64_3 Depth=1
	ds_load_b64 v[32:33], v5 offset:29640
	s_wait_dscnt 0x0
	v_pk_mul_f32 v[34:35], v[30:31], v[32:33] op_sel:[1,1] op_sel_hi:[1,0]
	s_delay_alu instid0(VALU_DEP_1) | instskip(SKIP_1) | instid1(VALU_DEP_2)
	v_pk_fma_f32 v[36:37], v[30:31], v[32:33], v[34:35] op_sel_hi:[0,1,1]
	v_pk_fma_f32 v[30:31], v[30:31], v[32:33], v[34:35] neg_lo:[0,0,1] neg_hi:[0,0,1]
	v_mov_b32_e32 v31, v37
	s_delay_alu instid0(VALU_DEP_1)
	v_pk_add_f32 v[32:33], v[30:31], 0 neg_lo:[1,1] neg_hi:[1,1]
	ds_store_b64 v43, v[32:33]
.LBB64_164:                             ;   in Loop: Header=BB64_3 Depth=1
	s_or_b32 exec_lo, exec_lo, s6
	s_wait_dscnt 0x0
	;; [unrolled: 35-line block ×3, first 2 shown]
	s_barrier_signal -1
	s_barrier_wait -1
	s_barrier_signal -1
	s_barrier_wait -1
	s_and_saveexec_b32 s6, s1
; %bb.169:                              ;   in Loop: Header=BB64_3 Depth=1
	ds_store_b64 v46, v[30:31] offset:32704
; %bb.170:                              ;   in Loop: Header=BB64_3 Depth=1
	s_or_b32 exec_lo, exec_lo, s6
	s_wait_dscnt 0x0
	s_barrier_signal -1
	s_barrier_wait -1
	s_barrier_signal -1
	s_barrier_wait -1
	s_and_saveexec_b32 s6, s14
	s_cbranch_execz .LBB64_172
; %bb.171:                              ;   in Loop: Header=BB64_3 Depth=1
	v_add_nc_u32_e64 v30, 0x1d0, 0
	ds_load_b64 v[34:35], v5 offset:30680
	ds_load_2addr_stride64_b64 v[30:33], v30 offset0:58 offset1:59
	s_wait_dscnt 0x0
	v_dual_mul_f32 v37, v35, v31 :: v_dual_mul_f32 v36, v34, v31
	s_delay_alu instid0(VALU_DEP_1) | instskip(NEXT) | instid1(VALU_DEP_2)
	v_xor_b32_e32 v76, 0x80000000, v37
	v_fmac_f32_e32 v36, v35, v30
	s_delay_alu instid0(VALU_DEP_2) | instskip(NEXT) | instid1(VALU_DEP_2)
	v_fmac_f32_e32 v76, v34, v30
	v_pk_mul_f32 v[30:31], v[36:37], v[32:33] op_sel:[0,1] op_sel_hi:[0,0]
	s_delay_alu instid0(VALU_DEP_1) | instskip(SKIP_1) | instid1(VALU_DEP_2)
	v_pk_fma_f32 v[34:35], v[76:77], v[32:33], v[30:31] op_sel_hi:[0,1,1]
	v_pk_fma_f32 v[30:31], v[76:77], v[32:33], v[30:31] neg_lo:[0,0,1] neg_hi:[0,0,1]
	v_mov_b32_e32 v31, v35
	ds_store_b64 v5, v[30:31] offset:30672
.LBB64_172:                             ;   in Loop: Header=BB64_3 Depth=1
	s_or_b32 exec_lo, exec_lo, s6
	v_dual_mov_b32 v30, 0 :: v_dual_mov_b32 v31, 0
	s_wait_dscnt 0x0
	s_barrier_signal -1
	s_barrier_wait -1
	global_wb scope:SCOPE_DEV
	s_wait_storecnt 0x0
	global_inv scope:SCOPE_DEV
	s_and_saveexec_b32 s9, s0
	s_cbranch_execz .LBB64_176
; %bb.173:                              ;   in Loop: Header=BB64_3 Depth=1
	ds_load_b64 v[30:31], v39 offset:30144
	ds_load_b64 v[32:33], v40 offset:30672
	s_wait_dscnt 0x0
	v_pk_mul_f32 v[34:35], v[32:33], v[30:31] op_sel:[1,1] op_sel_hi:[0,1]
	s_delay_alu instid0(VALU_DEP_1) | instskip(SKIP_1) | instid1(VALU_DEP_2)
	v_pk_fma_f32 v[36:37], v[32:33], v[30:31], v[34:35] op_sel_hi:[1,0,1]
	v_pk_fma_f32 v[30:31], v[32:33], v[30:31], v[34:35] neg_lo:[0,0,1] neg_hi:[0,0,1]
	v_mov_b32_e32 v31, v37
	s_delay_alu instid0(VALU_DEP_1)
	v_pk_add_f32 v[30:31], v[30:31], 0 op_sel_hi:[1,0]
	s_and_saveexec_b32 s6, s15
	s_cbranch_execz .LBB64_175
; %bb.174:                              ;   in Loop: Header=BB64_3 Depth=1
	ds_load_b64 v[32:33], v41 offset:30656
	ds_load_b64 v[34:35], v5 offset:30680
	s_wait_dscnt 0x0
	v_pk_mul_f32 v[36:37], v[34:35], v[32:33] op_sel:[1,1] op_sel_hi:[0,1]
	s_delay_alu instid0(VALU_DEP_1) | instskip(SKIP_1) | instid1(VALU_DEP_2)
	v_pk_fma_f32 v[76:77], v[34:35], v[32:33], v[36:37] op_sel_hi:[1,0,1]
	v_pk_fma_f32 v[32:33], v[34:35], v[32:33], v[36:37] neg_lo:[0,0,1] neg_hi:[0,0,1]
	v_mov_b32_e32 v33, v77
	s_delay_alu instid0(VALU_DEP_1)
	v_pk_add_f32 v[30:31], v[30:31], v[32:33]
.LBB64_175:                             ;   in Loop: Header=BB64_3 Depth=1
	s_or_b32 exec_lo, exec_lo, s6
.LBB64_176:                             ;   in Loop: Header=BB64_3 Depth=1
	s_delay_alu instid0(SALU_CYCLE_1)
	s_or_b32 exec_lo, exec_lo, s9
	s_and_saveexec_b32 s6, s47
	s_cbranch_execz .LBB64_178
; %bb.177:                              ;   in Loop: Header=BB64_3 Depth=1
	ds_load_b64 v[32:33], v5 offset:29640
	s_wait_dscnt 0x0
	v_pk_mul_f32 v[34:35], v[30:31], v[32:33] op_sel:[1,1] op_sel_hi:[1,0]
	s_delay_alu instid0(VALU_DEP_1) | instskip(SKIP_1) | instid1(VALU_DEP_2)
	v_pk_fma_f32 v[36:37], v[30:31], v[32:33], v[34:35] op_sel_hi:[0,1,1]
	v_pk_fma_f32 v[30:31], v[30:31], v[32:33], v[34:35] neg_lo:[0,0,1] neg_hi:[0,0,1]
	v_mov_b32_e32 v31, v37
	s_delay_alu instid0(VALU_DEP_1)
	v_pk_add_f32 v[32:33], v[30:31], 0 neg_lo:[1,1] neg_hi:[1,1]
	ds_store_b64 v3, v[32:33]
.LBB64_178:                             ;   in Loop: Header=BB64_3 Depth=1
	s_or_b32 exec_lo, exec_lo, s6
	s_wait_loadcnt_dscnt 0x0
	s_barrier_signal -1
	s_barrier_wait -1
	s_and_saveexec_b32 s6, s48
	s_cbranch_execz .LBB64_180
; %bb.179:                              ;   in Loop: Header=BB64_3 Depth=1
	ds_load_b64 v[32:33], v5 offset:29632
	ds_load_b64 v[34:35], v3
	s_wait_dscnt 0x0
	v_pk_mul_f32 v[36:37], v[34:35], v[32:33] op_sel:[1,1] op_sel_hi:[0,1]
	s_delay_alu instid0(VALU_DEP_1) | instskip(SKIP_1) | instid1(VALU_DEP_2)
	v_pk_fma_f32 v[76:77], v[34:35], v[32:33], v[36:37] op_sel_hi:[1,0,1]
	v_pk_fma_f32 v[32:33], v[34:35], v[32:33], v[36:37] neg_lo:[0,0,1] neg_hi:[0,0,1]
	v_mov_b32_e32 v33, v77
	s_delay_alu instid0(VALU_DEP_1)
	v_pk_add_f32 v[30:31], v[30:31], v[32:33] neg_lo:[0,1] neg_hi:[0,1]
.LBB64_180:                             ;   in Loop: Header=BB64_3 Depth=1
	s_or_b32 exec_lo, exec_lo, s6
	s_barrier_signal -1
	s_barrier_wait -1
	s_and_saveexec_b32 s6, s48
	s_cbranch_execz .LBB64_182
; %bb.181:                              ;   in Loop: Header=BB64_3 Depth=1
	ds_load_b64 v[32:33], v5 offset:29120
	s_wait_dscnt 0x0
	v_pk_mul_f32 v[34:35], v[30:31], v[32:33] op_sel:[1,1] op_sel_hi:[1,0]
	s_delay_alu instid0(VALU_DEP_1) | instskip(SKIP_1) | instid1(VALU_DEP_2)
	v_pk_fma_f32 v[36:37], v[30:31], v[32:33], v[34:35] op_sel_hi:[0,1,1]
	v_pk_fma_f32 v[30:31], v[30:31], v[32:33], v[34:35] neg_lo:[0,0,1] neg_hi:[0,0,1]
	v_mov_b32_e32 v31, v37
	s_delay_alu instid0(VALU_DEP_1)
	v_pk_add_f32 v[32:33], v[30:31], 0 neg_lo:[1,1] neg_hi:[1,1]
	ds_store_b64 v3, v[32:33]
.LBB64_182:                             ;   in Loop: Header=BB64_3 Depth=1
	s_or_b32 exec_lo, exec_lo, s6
	s_wait_dscnt 0x0
	s_barrier_signal -1
	s_barrier_wait -1
	s_barrier_signal -1
	s_barrier_wait -1
	s_and_saveexec_b32 s6, s0
; %bb.183:                              ;   in Loop: Header=BB64_3 Depth=1
	ds_store_b64 v42, v[30:31] offset:30656
; %bb.184:                              ;   in Loop: Header=BB64_3 Depth=1
	s_or_b32 exec_lo, exec_lo, s6
	s_wait_dscnt 0x0
	s_barrier_signal -1
	s_barrier_wait -1
	s_barrier_signal -1
	s_barrier_wait -1
	s_and_saveexec_b32 s6, s14
	s_cbranch_execz .LBB64_186
; %bb.185:                              ;   in Loop: Header=BB64_3 Depth=1
	v_add_nc_u32_e64 v30, 0x1c0, 0
	ds_load_b64 v[34:35], v5 offset:29640
	ds_load_2addr_stride64_b64 v[30:33], v30 offset0:56 offset1:57
	s_wait_dscnt 0x0
	v_dual_mul_f32 v37, v35, v31 :: v_dual_mul_f32 v36, v34, v31
	s_delay_alu instid0(VALU_DEP_1) | instskip(NEXT) | instid1(VALU_DEP_2)
	v_xor_b32_e32 v76, 0x80000000, v37
	v_fmac_f32_e32 v36, v35, v30
	s_delay_alu instid0(VALU_DEP_2) | instskip(NEXT) | instid1(VALU_DEP_2)
	v_fmac_f32_e32 v76, v34, v30
	v_pk_mul_f32 v[30:31], v[36:37], v[32:33] op_sel:[0,1] op_sel_hi:[0,0]
	s_delay_alu instid0(VALU_DEP_1) | instskip(SKIP_1) | instid1(VALU_DEP_2)
	v_pk_fma_f32 v[34:35], v[76:77], v[32:33], v[30:31] op_sel_hi:[0,1,1]
	v_pk_fma_f32 v[30:31], v[76:77], v[32:33], v[30:31] neg_lo:[0,0,1] neg_hi:[0,0,1]
	v_mov_b32_e32 v31, v35
	ds_store_b64 v5, v[30:31] offset:29632
.LBB64_186:                             ;   in Loop: Header=BB64_3 Depth=1
	s_or_b32 exec_lo, exec_lo, s6
	v_mov_b64_e32 v[30:31], 0
	s_wait_dscnt 0x0
	s_barrier_signal -1
	s_barrier_wait -1
	global_wb scope:SCOPE_DEV
	s_wait_storecnt 0x0
	global_inv scope:SCOPE_DEV
	s_and_saveexec_b32 s100, s2
	s_cbranch_execz .LBB64_196
; %bb.187:                              ;   in Loop: Header=BB64_3 Depth=1
	ds_load_b64 v[30:31], v48 offset:29056
	ds_load_b64 v[32:33], v49 offset:32704
	s_wait_dscnt 0x0
	v_dual_mul_f32 v34, v33, v31 :: v_dual_mul_f32 v31, v32, v31
	s_delay_alu instid0(VALU_DEP_1) | instskip(NEXT) | instid1(VALU_DEP_1)
	v_dual_fma_f32 v32, v32, v30, -v34 :: v_dual_fmac_f32 v31, v33, v30
	v_dual_add_f32 v30, 0, v32 :: v_dual_add_f32 v31, 0, v31
	s_and_saveexec_b32 s6, s18
	s_cbranch_execnz .LBB64_1050
; %bb.188:                              ;   in Loop: Header=BB64_3 Depth=1
	s_or_b32 exec_lo, exec_lo, s6
	s_and_saveexec_b32 s6, s19
	s_cbranch_execnz .LBB64_1051
.LBB64_189:                             ;   in Loop: Header=BB64_3 Depth=1
	s_or_b32 exec_lo, exec_lo, s6
	s_and_saveexec_b32 s6, s20
	s_cbranch_execnz .LBB64_1052
.LBB64_190:                             ;   in Loop: Header=BB64_3 Depth=1
	s_or_b32 exec_lo, exec_lo, s6
	s_and_saveexec_b32 s6, s21
	s_cbranch_execnz .LBB64_1053
.LBB64_191:                             ;   in Loop: Header=BB64_3 Depth=1
	s_or_b32 exec_lo, exec_lo, s6
	s_and_saveexec_b32 s6, s22
	s_cbranch_execnz .LBB64_1054
.LBB64_192:                             ;   in Loop: Header=BB64_3 Depth=1
	s_or_b32 exec_lo, exec_lo, s6
	s_and_saveexec_b32 s6, s1
	s_cbranch_execnz .LBB64_1055
.LBB64_193:                             ;   in Loop: Header=BB64_3 Depth=1
	s_or_b32 exec_lo, exec_lo, s6
	s_and_saveexec_b32 s6, s17
	s_cbranch_execz .LBB64_195
.LBB64_194:                             ;   in Loop: Header=BB64_3 Depth=1
	ds_load_b64 v[32:33], v41 offset:32640
	ds_load_b64 v[34:35], v5 offset:32760
	s_wait_dscnt 0x0
	v_dual_mul_f32 v36, v35, v33 :: v_dual_mul_f32 v37, v34, v33
	s_delay_alu instid0(VALU_DEP_1) | instskip(NEXT) | instid1(VALU_DEP_1)
	v_dual_fma_f32 v36, v34, v32, -v36 :: v_dual_fmac_f32 v37, v35, v32
	v_pk_add_f32 v[30:31], v[30:31], v[36:37]
.LBB64_195:                             ;   in Loop: Header=BB64_3 Depth=1
	s_or_b32 exec_lo, exec_lo, s6
.LBB64_196:                             ;   in Loop: Header=BB64_3 Depth=1
	s_delay_alu instid0(SALU_CYCLE_1)
	s_or_b32 exec_lo, exec_lo, s100
	s_and_saveexec_b32 s6, s55
	s_cbranch_execz .LBB64_198
; %bb.197:                              ;   in Loop: Header=BB64_3 Depth=1
	ds_load_b64 v[32:33], v5 offset:28600
	s_wait_dscnt 0x0
	v_pk_mul_f32 v[34:35], v[30:31], v[32:33] op_sel:[1,1] op_sel_hi:[1,0]
	s_delay_alu instid0(VALU_DEP_1) | instskip(SKIP_1) | instid1(VALU_DEP_2)
	v_pk_fma_f32 v[36:37], v[30:31], v[32:33], v[34:35] op_sel_hi:[0,1,1]
	v_pk_fma_f32 v[30:31], v[30:31], v[32:33], v[34:35] neg_lo:[0,0,1] neg_hi:[0,0,1]
	v_mov_b32_e32 v31, v37
	s_delay_alu instid0(VALU_DEP_1)
	v_pk_add_f32 v[32:33], v[30:31], 0 neg_lo:[1,1] neg_hi:[1,1]
	ds_store_b64 v47, v[32:33]
.LBB64_198:                             ;   in Loop: Header=BB64_3 Depth=1
	s_or_b32 exec_lo, exec_lo, s6
	s_wait_loadcnt_dscnt 0x0
	s_barrier_signal -1
	s_barrier_wait -1
	s_and_saveexec_b32 s6, s56
	s_cbranch_execz .LBB64_200
; %bb.199:                              ;   in Loop: Header=BB64_3 Depth=1
	ds_load_b64 v[32:33], v48 offset:28544
	ds_load_b64 v[34:35], v47
	s_wait_dscnt 0x0
	v_pk_mul_f32 v[36:37], v[34:35], v[32:33] op_sel:[1,1] op_sel_hi:[0,1]
	s_delay_alu instid0(VALU_DEP_1) | instskip(SKIP_1) | instid1(VALU_DEP_2)
	v_pk_fma_f32 v[76:77], v[34:35], v[32:33], v[36:37] op_sel_hi:[1,0,1]
	v_pk_fma_f32 v[32:33], v[34:35], v[32:33], v[36:37] neg_lo:[0,0,1] neg_hi:[0,0,1]
	v_mov_b32_e32 v33, v77
	s_delay_alu instid0(VALU_DEP_1)
	v_pk_add_f32 v[30:31], v[30:31], v[32:33] neg_lo:[0,1] neg_hi:[0,1]
.LBB64_200:                             ;   in Loop: Header=BB64_3 Depth=1
	s_or_b32 exec_lo, exec_lo, s6
	s_barrier_signal -1
	s_barrier_wait -1
	s_and_saveexec_b32 s6, s57
	s_cbranch_execz .LBB64_202
; %bb.201:                              ;   in Loop: Header=BB64_3 Depth=1
	ds_load_b64 v[32:33], v5 offset:28080
	s_wait_dscnt 0x0
	v_pk_mul_f32 v[34:35], v[30:31], v[32:33] op_sel:[1,1] op_sel_hi:[1,0]
	s_delay_alu instid0(VALU_DEP_1) | instskip(SKIP_1) | instid1(VALU_DEP_2)
	v_pk_fma_f32 v[36:37], v[30:31], v[32:33], v[34:35] op_sel_hi:[0,1,1]
	v_pk_fma_f32 v[30:31], v[30:31], v[32:33], v[34:35] neg_lo:[0,0,1] neg_hi:[0,0,1]
	v_mov_b32_e32 v31, v37
	s_delay_alu instid0(VALU_DEP_1)
	v_pk_add_f32 v[32:33], v[30:31], 0 neg_lo:[1,1] neg_hi:[1,1]
	ds_store_b64 v47, v[32:33]
.LBB64_202:                             ;   in Loop: Header=BB64_3 Depth=1
	s_or_b32 exec_lo, exec_lo, s6
	s_wait_dscnt 0x0
	s_barrier_signal -1
	s_barrier_wait -1
	s_and_saveexec_b32 s6, s58
	s_cbranch_execz .LBB64_204
; %bb.203:                              ;   in Loop: Header=BB64_3 Depth=1
	ds_load_b64 v[32:33], v48 offset:28032
	ds_load_b64 v[34:35], v47
	s_wait_dscnt 0x0
	v_pk_mul_f32 v[36:37], v[34:35], v[32:33] op_sel:[1,1] op_sel_hi:[0,1]
	s_delay_alu instid0(VALU_DEP_1) | instskip(SKIP_1) | instid1(VALU_DEP_2)
	v_pk_fma_f32 v[76:77], v[34:35], v[32:33], v[36:37] op_sel_hi:[1,0,1]
	v_pk_fma_f32 v[32:33], v[34:35], v[32:33], v[36:37] neg_lo:[0,0,1] neg_hi:[0,0,1]
	v_mov_b32_e32 v33, v77
	s_delay_alu instid0(VALU_DEP_1)
	v_pk_add_f32 v[30:31], v[30:31], v[32:33] neg_lo:[0,1] neg_hi:[0,1]
.LBB64_204:                             ;   in Loop: Header=BB64_3 Depth=1
	s_or_b32 exec_lo, exec_lo, s6
	s_barrier_signal -1
	s_barrier_wait -1
	s_and_saveexec_b32 s6, s59
	s_cbranch_execz .LBB64_206
; %bb.205:                              ;   in Loop: Header=BB64_3 Depth=1
	ds_load_b64 v[32:33], v5 offset:27560
	s_wait_dscnt 0x0
	v_pk_mul_f32 v[34:35], v[30:31], v[32:33] op_sel:[1,1] op_sel_hi:[1,0]
	s_delay_alu instid0(VALU_DEP_1) | instskip(SKIP_1) | instid1(VALU_DEP_2)
	v_pk_fma_f32 v[36:37], v[30:31], v[32:33], v[34:35] op_sel_hi:[0,1,1]
	v_pk_fma_f32 v[30:31], v[30:31], v[32:33], v[34:35] neg_lo:[0,0,1] neg_hi:[0,0,1]
	v_mov_b32_e32 v31, v37
	s_delay_alu instid0(VALU_DEP_1)
	v_pk_add_f32 v[32:33], v[30:31], 0 neg_lo:[1,1] neg_hi:[1,1]
	ds_store_b64 v47, v[32:33]
.LBB64_206:                             ;   in Loop: Header=BB64_3 Depth=1
	s_or_b32 exec_lo, exec_lo, s6
	s_wait_dscnt 0x0
	s_barrier_signal -1
	s_barrier_wait -1
	s_and_saveexec_b32 s6, s60
	s_cbranch_execz .LBB64_208
; %bb.207:                              ;   in Loop: Header=BB64_3 Depth=1
	ds_load_b64 v[32:33], v48 offset:27520
	ds_load_b64 v[34:35], v47
	s_wait_dscnt 0x0
	v_pk_mul_f32 v[36:37], v[34:35], v[32:33] op_sel:[1,1] op_sel_hi:[0,1]
	s_delay_alu instid0(VALU_DEP_1) | instskip(SKIP_1) | instid1(VALU_DEP_2)
	v_pk_fma_f32 v[76:77], v[34:35], v[32:33], v[36:37] op_sel_hi:[1,0,1]
	v_pk_fma_f32 v[32:33], v[34:35], v[32:33], v[36:37] neg_lo:[0,0,1] neg_hi:[0,0,1]
	v_mov_b32_e32 v33, v77
	s_delay_alu instid0(VALU_DEP_1)
	v_pk_add_f32 v[30:31], v[30:31], v[32:33] neg_lo:[0,1] neg_hi:[0,1]
.LBB64_208:                             ;   in Loop: Header=BB64_3 Depth=1
	s_or_b32 exec_lo, exec_lo, s6
	s_barrier_signal -1
	s_barrier_wait -1
	s_and_saveexec_b32 s6, s61
	s_cbranch_execz .LBB64_210
; %bb.209:                              ;   in Loop: Header=BB64_3 Depth=1
	ds_load_b64 v[32:33], v5 offset:27040
	s_wait_dscnt 0x0
	v_pk_mul_f32 v[34:35], v[30:31], v[32:33]
	v_pk_mul_f32 v[30:31], v[30:31], v[32:33] op_sel:[1,0] op_sel_hi:[0,1]
	s_delay_alu instid0(VALU_DEP_1) | instskip(NEXT) | instid1(VALU_DEP_3)
	v_dual_mov_b32 v32, v34 :: v_dual_mov_b32 v33, v30
	v_mov_b32_e32 v30, v35
	s_delay_alu instid0(VALU_DEP_1) | instskip(SKIP_1) | instid1(VALU_DEP_2)
	v_pk_add_f32 v[34:35], v[32:33], v[30:31]
	v_pk_add_f32 v[30:31], v[32:33], v[30:31] neg_lo:[0,1] neg_hi:[0,1]
	v_mov_b32_e32 v31, v35
	s_delay_alu instid0(VALU_DEP_1)
	v_pk_add_f32 v[32:33], v[30:31], 0 neg_lo:[1,1] neg_hi:[1,1]
	ds_store_b64 v47, v[32:33]
.LBB64_210:                             ;   in Loop: Header=BB64_3 Depth=1
	s_or_b32 exec_lo, exec_lo, s6
	s_wait_dscnt 0x0
	s_barrier_signal -1
	s_barrier_wait -1
	s_and_saveexec_b32 s6, s62
	s_cbranch_execz .LBB64_212
; %bb.211:                              ;   in Loop: Header=BB64_3 Depth=1
	ds_load_b64 v[32:33], v48 offset:27008
	ds_load_b64 v[34:35], v47
	s_wait_dscnt 0x0
	v_dual_mul_f32 v36, v35, v33 :: v_dual_mul_f32 v33, v34, v33
	s_delay_alu instid0(VALU_DEP_1) | instskip(NEXT) | instid1(VALU_DEP_1)
	v_dual_fma_f32 v34, v34, v32, -v36 :: v_dual_fmac_f32 v33, v35, v32
	v_dual_sub_f32 v30, v30, v34 :: v_dual_sub_f32 v31, v31, v33
.LBB64_212:                             ;   in Loop: Header=BB64_3 Depth=1
	s_or_b32 exec_lo, exec_lo, s6
	s_barrier_signal -1
	s_barrier_wait -1
	s_and_saveexec_b32 s6, s63
	s_cbranch_execz .LBB64_214
; %bb.213:                              ;   in Loop: Header=BB64_3 Depth=1
	ds_load_b64 v[32:33], v5 offset:26520
	s_wait_dscnt 0x0
	v_dual_mul_f32 v34, v31, v32 :: v_dual_mul_f32 v36, v31, v33
	s_delay_alu instid0(VALU_DEP_1) | instskip(NEXT) | instid1(VALU_DEP_2)
	v_pk_fma_f32 v[34:35], v[30:31], v[32:33], v[34:35] op_sel:[1,0,0] op_sel_hi:[0,1,0]
	v_pk_fma_f32 v[30:31], v[30:31], v[32:33], v[36:37] op_sel_hi:[1,1,0] neg_lo:[0,0,1] neg_hi:[0,0,1]
	s_delay_alu instid0(VALU_DEP_2) | instskip(NEXT) | instid1(VALU_DEP_1)
	v_mov_b32_e32 v31, v35
	v_pk_add_f32 v[32:33], v[30:31], 0 neg_lo:[1,1] neg_hi:[1,1]
	ds_store_b64 v47, v[32:33]
.LBB64_214:                             ;   in Loop: Header=BB64_3 Depth=1
	s_or_b32 exec_lo, exec_lo, s6
	s_wait_dscnt 0x0
	s_barrier_signal -1
	s_barrier_wait -1
	s_and_saveexec_b32 s6, s64
	s_cbranch_execz .LBB64_216
; %bb.215:                              ;   in Loop: Header=BB64_3 Depth=1
	ds_load_b64 v[32:33], v48 offset:26496
	ds_load_b64 v[34:35], v47
	s_wait_dscnt 0x0
	v_pk_mul_f32 v[36:37], v[34:35], v[32:33] op_sel:[1,1] op_sel_hi:[0,1]
	s_delay_alu instid0(VALU_DEP_1) | instskip(SKIP_1) | instid1(VALU_DEP_2)
	v_pk_fma_f32 v[76:77], v[34:35], v[32:33], v[36:37] op_sel_hi:[1,0,1]
	v_pk_fma_f32 v[32:33], v[34:35], v[32:33], v[36:37] neg_lo:[0,0,1] neg_hi:[0,0,1]
	v_mov_b32_e32 v33, v77
	s_delay_alu instid0(VALU_DEP_1)
	v_pk_add_f32 v[30:31], v[30:31], v[32:33] neg_lo:[0,1] neg_hi:[0,1]
.LBB64_216:                             ;   in Loop: Header=BB64_3 Depth=1
	s_or_b32 exec_lo, exec_lo, s6
	s_barrier_signal -1
	s_barrier_wait -1
	s_and_saveexec_b32 s6, s65
	s_cbranch_execz .LBB64_218
; %bb.217:                              ;   in Loop: Header=BB64_3 Depth=1
	ds_load_b64 v[32:33], v5 offset:26000
	s_wait_dscnt 0x0
	v_pk_mul_f32 v[34:35], v[30:31], v[32:33] op_sel:[1,1] op_sel_hi:[1,0]
	s_delay_alu instid0(VALU_DEP_1) | instskip(SKIP_1) | instid1(VALU_DEP_2)
	v_pk_fma_f32 v[36:37], v[30:31], v[32:33], v[34:35] op_sel_hi:[0,1,1]
	v_pk_fma_f32 v[30:31], v[30:31], v[32:33], v[34:35] neg_lo:[0,0,1] neg_hi:[0,0,1]
	v_mov_b32_e32 v31, v37
	s_delay_alu instid0(VALU_DEP_1)
	v_pk_add_f32 v[32:33], v[30:31], 0 neg_lo:[1,1] neg_hi:[1,1]
	ds_store_b64 v47, v[32:33]
.LBB64_218:                             ;   in Loop: Header=BB64_3 Depth=1
	s_or_b32 exec_lo, exec_lo, s6
	s_wait_dscnt 0x0
	s_barrier_signal -1
	s_barrier_wait -1
	s_and_saveexec_b32 s6, s66
	s_cbranch_execz .LBB64_220
; %bb.219:                              ;   in Loop: Header=BB64_3 Depth=1
	ds_load_b64 v[32:33], v48 offset:25984
	ds_load_b64 v[34:35], v47
	s_wait_dscnt 0x0
	v_pk_mul_f32 v[36:37], v[34:35], v[32:33] op_sel:[1,1] op_sel_hi:[0,1]
	s_delay_alu instid0(VALU_DEP_1) | instskip(SKIP_1) | instid1(VALU_DEP_2)
	v_pk_fma_f32 v[76:77], v[34:35], v[32:33], v[36:37] op_sel_hi:[1,0,1]
	v_pk_fma_f32 v[32:33], v[34:35], v[32:33], v[36:37] neg_lo:[0,0,1] neg_hi:[0,0,1]
	v_mov_b32_e32 v33, v77
	s_delay_alu instid0(VALU_DEP_1)
	v_pk_add_f32 v[30:31], v[30:31], v[32:33] neg_lo:[0,1] neg_hi:[0,1]
.LBB64_220:                             ;   in Loop: Header=BB64_3 Depth=1
	s_or_b32 exec_lo, exec_lo, s6
	s_barrier_signal -1
	s_barrier_wait -1
	s_and_saveexec_b32 s6, s67
	s_cbranch_execz .LBB64_222
; %bb.221:                              ;   in Loop: Header=BB64_3 Depth=1
	ds_load_b64 v[32:33], v5 offset:25480
	s_wait_dscnt 0x0
	v_pk_mul_f32 v[34:35], v[30:31], v[32:33] op_sel:[1,1] op_sel_hi:[1,0]
	s_delay_alu instid0(VALU_DEP_1) | instskip(SKIP_1) | instid1(VALU_DEP_2)
	v_pk_fma_f32 v[36:37], v[30:31], v[32:33], v[34:35] op_sel_hi:[0,1,1]
	v_pk_fma_f32 v[30:31], v[30:31], v[32:33], v[34:35] neg_lo:[0,0,1] neg_hi:[0,0,1]
	v_mov_b32_e32 v31, v37
	s_delay_alu instid0(VALU_DEP_1)
	v_pk_add_f32 v[32:33], v[30:31], 0 neg_lo:[1,1] neg_hi:[1,1]
	ds_store_b64 v47, v[32:33]
.LBB64_222:                             ;   in Loop: Header=BB64_3 Depth=1
	;; [unrolled: 35-line block ×3, first 2 shown]
	s_or_b32 exec_lo, exec_lo, s6
	s_wait_dscnt 0x0
	s_barrier_signal -1
	s_barrier_wait -1
	s_barrier_signal -1
	s_barrier_wait -1
	s_and_saveexec_b32 s6, s2
; %bb.227:                              ;   in Loop: Header=BB64_3 Depth=1
	ds_store_b64 v50, v[30:31] offset:32640
; %bb.228:                              ;   in Loop: Header=BB64_3 Depth=1
	s_or_b32 exec_lo, exec_lo, s6
	s_wait_dscnt 0x0
	s_barrier_signal -1
	s_barrier_wait -1
	s_barrier_signal -1
	s_barrier_wait -1
	s_and_saveexec_b32 s6, s14
	s_cbranch_execz .LBB64_230
; %bb.229:                              ;   in Loop: Header=BB64_3 Depth=1
	v_add_nc_u32_e64 v30, 0x1b0, 0
	ds_load_b64 v[34:35], v5 offset:28600
	ds_load_2addr_stride64_b64 v[30:33], v30 offset0:54 offset1:55
	s_wait_dscnt 0x0
	v_dual_mul_f32 v37, v35, v31 :: v_dual_mul_f32 v36, v34, v31
	s_delay_alu instid0(VALU_DEP_1) | instskip(NEXT) | instid1(VALU_DEP_2)
	v_xor_b32_e32 v76, 0x80000000, v37
	v_fmac_f32_e32 v36, v35, v30
	s_delay_alu instid0(VALU_DEP_2) | instskip(NEXT) | instid1(VALU_DEP_2)
	v_fmac_f32_e32 v76, v34, v30
	v_pk_mul_f32 v[30:31], v[36:37], v[32:33] op_sel:[0,1] op_sel_hi:[0,0]
	s_delay_alu instid0(VALU_DEP_1) | instskip(SKIP_1) | instid1(VALU_DEP_2)
	v_pk_fma_f32 v[34:35], v[76:77], v[32:33], v[30:31] op_sel_hi:[0,1,1]
	v_pk_fma_f32 v[30:31], v[76:77], v[32:33], v[30:31] neg_lo:[0,0,1] neg_hi:[0,0,1]
	v_mov_b32_e32 v31, v35
	ds_store_b64 v5, v[30:31] offset:28592
.LBB64_230:                             ;   in Loop: Header=BB64_3 Depth=1
	s_or_b32 exec_lo, exec_lo, s6
	v_dual_mov_b32 v30, 0 :: v_dual_mov_b32 v31, 0
	s_wait_dscnt 0x0
	s_barrier_signal -1
	s_barrier_wait -1
	global_wb scope:SCOPE_DEV
	s_wait_storecnt 0x0
	global_inv scope:SCOPE_DEV
	s_and_saveexec_b32 s9, s0
	s_cbranch_execz .LBB64_234
; %bb.231:                              ;   in Loop: Header=BB64_3 Depth=1
	ds_load_b64 v[30:31], v39 offset:28064
	ds_load_b64 v[32:33], v40 offset:28592
	s_wait_dscnt 0x0
	v_pk_mul_f32 v[34:35], v[32:33], v[30:31] op_sel:[1,1] op_sel_hi:[0,1]
	s_delay_alu instid0(VALU_DEP_1) | instskip(SKIP_1) | instid1(VALU_DEP_2)
	v_pk_fma_f32 v[36:37], v[32:33], v[30:31], v[34:35] op_sel_hi:[1,0,1]
	v_pk_fma_f32 v[30:31], v[32:33], v[30:31], v[34:35] neg_lo:[0,0,1] neg_hi:[0,0,1]
	v_mov_b32_e32 v31, v37
	s_delay_alu instid0(VALU_DEP_1)
	v_pk_add_f32 v[30:31], v[30:31], 0 op_sel_hi:[1,0]
	s_and_saveexec_b32 s6, s15
	s_cbranch_execz .LBB64_233
; %bb.232:                              ;   in Loop: Header=BB64_3 Depth=1
	ds_load_b64 v[32:33], v41 offset:28576
	ds_load_b64 v[34:35], v5 offset:28600
	s_wait_dscnt 0x0
	v_pk_mul_f32 v[36:37], v[34:35], v[32:33] op_sel:[1,1] op_sel_hi:[0,1]
	s_delay_alu instid0(VALU_DEP_1) | instskip(SKIP_1) | instid1(VALU_DEP_2)
	v_pk_fma_f32 v[76:77], v[34:35], v[32:33], v[36:37] op_sel_hi:[1,0,1]
	v_pk_fma_f32 v[32:33], v[34:35], v[32:33], v[36:37] neg_lo:[0,0,1] neg_hi:[0,0,1]
	v_mov_b32_e32 v33, v77
	s_delay_alu instid0(VALU_DEP_1)
	v_pk_add_f32 v[30:31], v[30:31], v[32:33]
.LBB64_233:                             ;   in Loop: Header=BB64_3 Depth=1
	s_or_b32 exec_lo, exec_lo, s6
.LBB64_234:                             ;   in Loop: Header=BB64_3 Depth=1
	s_delay_alu instid0(SALU_CYCLE_1)
	s_or_b32 exec_lo, exec_lo, s9
	s_and_saveexec_b32 s6, s47
	s_cbranch_execz .LBB64_236
; %bb.235:                              ;   in Loop: Header=BB64_3 Depth=1
	ds_load_b64 v[32:33], v5 offset:27560
	s_wait_dscnt 0x0
	v_pk_mul_f32 v[34:35], v[30:31], v[32:33] op_sel:[1,1] op_sel_hi:[1,0]
	s_delay_alu instid0(VALU_DEP_1) | instskip(SKIP_1) | instid1(VALU_DEP_2)
	v_pk_fma_f32 v[36:37], v[30:31], v[32:33], v[34:35] op_sel_hi:[0,1,1]
	v_pk_fma_f32 v[30:31], v[30:31], v[32:33], v[34:35] neg_lo:[0,0,1] neg_hi:[0,0,1]
	v_mov_b32_e32 v31, v37
	s_delay_alu instid0(VALU_DEP_1)
	v_pk_add_f32 v[32:33], v[30:31], 0 neg_lo:[1,1] neg_hi:[1,1]
	ds_store_b64 v3, v[32:33]
.LBB64_236:                             ;   in Loop: Header=BB64_3 Depth=1
	s_or_b32 exec_lo, exec_lo, s6
	s_wait_loadcnt_dscnt 0x0
	s_barrier_signal -1
	s_barrier_wait -1
	s_and_saveexec_b32 s6, s48
	s_cbranch_execz .LBB64_238
; %bb.237:                              ;   in Loop: Header=BB64_3 Depth=1
	ds_load_b64 v[32:33], v5 offset:27552
	ds_load_b64 v[34:35], v3
	s_wait_dscnt 0x0
	v_pk_mul_f32 v[36:37], v[34:35], v[32:33] op_sel:[1,1] op_sel_hi:[0,1]
	s_delay_alu instid0(VALU_DEP_1) | instskip(SKIP_1) | instid1(VALU_DEP_2)
	v_pk_fma_f32 v[76:77], v[34:35], v[32:33], v[36:37] op_sel_hi:[1,0,1]
	v_pk_fma_f32 v[32:33], v[34:35], v[32:33], v[36:37] neg_lo:[0,0,1] neg_hi:[0,0,1]
	v_mov_b32_e32 v33, v77
	s_delay_alu instid0(VALU_DEP_1)
	v_pk_add_f32 v[30:31], v[30:31], v[32:33] neg_lo:[0,1] neg_hi:[0,1]
.LBB64_238:                             ;   in Loop: Header=BB64_3 Depth=1
	s_or_b32 exec_lo, exec_lo, s6
	s_barrier_signal -1
	s_barrier_wait -1
	s_and_saveexec_b32 s6, s48
	s_cbranch_execz .LBB64_240
; %bb.239:                              ;   in Loop: Header=BB64_3 Depth=1
	ds_load_b64 v[32:33], v5 offset:27040
	s_wait_dscnt 0x0
	v_pk_mul_f32 v[34:35], v[30:31], v[32:33] op_sel:[1,1] op_sel_hi:[1,0]
	s_delay_alu instid0(VALU_DEP_1) | instskip(SKIP_1) | instid1(VALU_DEP_2)
	v_pk_fma_f32 v[36:37], v[30:31], v[32:33], v[34:35] op_sel_hi:[0,1,1]
	v_pk_fma_f32 v[30:31], v[30:31], v[32:33], v[34:35] neg_lo:[0,0,1] neg_hi:[0,0,1]
	v_mov_b32_e32 v31, v37
	s_delay_alu instid0(VALU_DEP_1)
	v_pk_add_f32 v[32:33], v[30:31], 0 neg_lo:[1,1] neg_hi:[1,1]
	ds_store_b64 v3, v[32:33]
.LBB64_240:                             ;   in Loop: Header=BB64_3 Depth=1
	s_or_b32 exec_lo, exec_lo, s6
	s_wait_dscnt 0x0
	s_barrier_signal -1
	s_barrier_wait -1
	s_barrier_signal -1
	s_barrier_wait -1
	s_and_saveexec_b32 s6, s0
; %bb.241:                              ;   in Loop: Header=BB64_3 Depth=1
	ds_store_b64 v42, v[30:31] offset:28576
; %bb.242:                              ;   in Loop: Header=BB64_3 Depth=1
	s_or_b32 exec_lo, exec_lo, s6
	s_wait_dscnt 0x0
	s_barrier_signal -1
	s_barrier_wait -1
	s_barrier_signal -1
	s_barrier_wait -1
	s_and_saveexec_b32 s6, s14
	s_cbranch_execz .LBB64_244
; %bb.243:                              ;   in Loop: Header=BB64_3 Depth=1
	v_add_nc_u32_e64 v30, 0x1a0, 0
	ds_load_b64 v[34:35], v5 offset:27560
	ds_load_2addr_stride64_b64 v[30:33], v30 offset0:52 offset1:53
	s_wait_dscnt 0x0
	v_dual_mul_f32 v37, v35, v31 :: v_dual_mul_f32 v36, v34, v31
	s_delay_alu instid0(VALU_DEP_1) | instskip(NEXT) | instid1(VALU_DEP_2)
	v_xor_b32_e32 v76, 0x80000000, v37
	v_fmac_f32_e32 v36, v35, v30
	s_delay_alu instid0(VALU_DEP_2) | instskip(NEXT) | instid1(VALU_DEP_2)
	v_fmac_f32_e32 v76, v34, v30
	v_pk_mul_f32 v[30:31], v[36:37], v[32:33] op_sel:[0,1] op_sel_hi:[0,0]
	s_delay_alu instid0(VALU_DEP_1) | instskip(SKIP_1) | instid1(VALU_DEP_2)
	v_pk_fma_f32 v[34:35], v[76:77], v[32:33], v[30:31] op_sel_hi:[0,1,1]
	v_pk_fma_f32 v[30:31], v[76:77], v[32:33], v[30:31] neg_lo:[0,0,1] neg_hi:[0,0,1]
	v_mov_b32_e32 v31, v35
	ds_store_b64 v5, v[30:31] offset:27552
.LBB64_244:                             ;   in Loop: Header=BB64_3 Depth=1
	s_or_b32 exec_lo, exec_lo, s6
	v_mov_b64_e32 v[30:31], 0
	s_wait_dscnt 0x0
	s_barrier_signal -1
	s_barrier_wait -1
	global_wb scope:SCOPE_DEV
	s_wait_storecnt 0x0
	global_inv scope:SCOPE_DEV
	s_and_saveexec_b32 s100, s1
	s_cbranch_execz .LBB64_250
; %bb.245:                              ;   in Loop: Header=BB64_3 Depth=1
	ds_load_b64 v[30:31], v44 offset:27008
	ds_load_b64 v[32:33], v45 offset:28576
	s_wait_dscnt 0x0
	v_dual_mul_f32 v34, v33, v31 :: v_dual_mul_f32 v31, v32, v31
	s_delay_alu instid0(VALU_DEP_1) | instskip(NEXT) | instid1(VALU_DEP_1)
	v_dual_fma_f32 v32, v32, v30, -v34 :: v_dual_fmac_f32 v31, v33, v30
	v_dual_add_f32 v30, 0, v32 :: v_dual_add_f32 v31, 0, v31
	s_and_saveexec_b32 s6, s16
	s_cbranch_execnz .LBB64_1056
; %bb.246:                              ;   in Loop: Header=BB64_3 Depth=1
	s_or_b32 exec_lo, exec_lo, s6
	s_and_saveexec_b32 s6, s17
	s_cbranch_execnz .LBB64_1057
.LBB64_247:                             ;   in Loop: Header=BB64_3 Depth=1
	s_or_b32 exec_lo, exec_lo, s6
	s_and_saveexec_b32 s6, s0
	s_cbranch_execz .LBB64_249
.LBB64_248:                             ;   in Loop: Header=BB64_3 Depth=1
	ds_load_b64 v[32:33], v41 offset:28544
	ds_load_b64 v[34:35], v5 offset:28600
	s_wait_dscnt 0x0
	v_dual_mul_f32 v36, v35, v33 :: v_dual_mul_f32 v33, v34, v33
	s_delay_alu instid0(VALU_DEP_1) | instskip(NEXT) | instid1(VALU_DEP_1)
	v_dual_fma_f32 v34, v34, v32, -v36 :: v_dual_fmac_f32 v33, v35, v32
	v_dual_add_f32 v30, v30, v34 :: v_dual_add_f32 v31, v31, v33
.LBB64_249:                             ;   in Loop: Header=BB64_3 Depth=1
	s_or_b32 exec_lo, exec_lo, s6
.LBB64_250:                             ;   in Loop: Header=BB64_3 Depth=1
	s_delay_alu instid0(SALU_CYCLE_1)
	s_or_b32 exec_lo, exec_lo, s100
	s_and_saveexec_b32 s6, s49
	s_cbranch_execz .LBB64_252
; %bb.251:                              ;   in Loop: Header=BB64_3 Depth=1
	ds_load_b64 v[32:33], v5 offset:26520
	s_wait_dscnt 0x0
	v_dual_mul_f32 v34, v31, v32 :: v_dual_mul_f32 v36, v31, v33
	s_delay_alu instid0(VALU_DEP_1) | instskip(NEXT) | instid1(VALU_DEP_2)
	v_pk_fma_f32 v[34:35], v[30:31], v[32:33], v[34:35] op_sel:[1,0,0] op_sel_hi:[0,1,0]
	v_pk_fma_f32 v[30:31], v[30:31], v[32:33], v[36:37] op_sel_hi:[1,1,0] neg_lo:[0,0,1] neg_hi:[0,0,1]
	s_delay_alu instid0(VALU_DEP_2) | instskip(NEXT) | instid1(VALU_DEP_1)
	v_mov_b32_e32 v31, v35
	v_pk_add_f32 v[32:33], v[30:31], 0 neg_lo:[1,1] neg_hi:[1,1]
	ds_store_b64 v43, v[32:33]
.LBB64_252:                             ;   in Loop: Header=BB64_3 Depth=1
	s_or_b32 exec_lo, exec_lo, s6
	s_wait_loadcnt_dscnt 0x0
	s_barrier_signal -1
	s_barrier_wait -1
	s_and_saveexec_b32 s6, s50
	s_cbranch_execz .LBB64_254
; %bb.253:                              ;   in Loop: Header=BB64_3 Depth=1
	ds_load_b64 v[32:33], v44 offset:26496
	ds_load_b64 v[34:35], v43
	s_wait_dscnt 0x0
	v_pk_mul_f32 v[36:37], v[34:35], v[32:33] op_sel:[1,1] op_sel_hi:[0,1]
	s_delay_alu instid0(VALU_DEP_1) | instskip(SKIP_1) | instid1(VALU_DEP_2)
	v_pk_fma_f32 v[76:77], v[34:35], v[32:33], v[36:37] op_sel_hi:[1,0,1]
	v_pk_fma_f32 v[32:33], v[34:35], v[32:33], v[36:37] neg_lo:[0,0,1] neg_hi:[0,0,1]
	v_mov_b32_e32 v33, v77
	s_delay_alu instid0(VALU_DEP_1)
	v_pk_add_f32 v[30:31], v[30:31], v[32:33] neg_lo:[0,1] neg_hi:[0,1]
.LBB64_254:                             ;   in Loop: Header=BB64_3 Depth=1
	s_or_b32 exec_lo, exec_lo, s6
	s_barrier_signal -1
	s_barrier_wait -1
	s_and_saveexec_b32 s6, s51
	s_cbranch_execz .LBB64_256
; %bb.255:                              ;   in Loop: Header=BB64_3 Depth=1
	ds_load_b64 v[32:33], v5 offset:26000
	s_wait_dscnt 0x0
	v_pk_mul_f32 v[34:35], v[30:31], v[32:33] op_sel:[1,1] op_sel_hi:[1,0]
	s_delay_alu instid0(VALU_DEP_1) | instskip(SKIP_1) | instid1(VALU_DEP_2)
	v_pk_fma_f32 v[36:37], v[30:31], v[32:33], v[34:35] op_sel_hi:[0,1,1]
	v_pk_fma_f32 v[30:31], v[30:31], v[32:33], v[34:35] neg_lo:[0,0,1] neg_hi:[0,0,1]
	v_mov_b32_e32 v31, v37
	s_delay_alu instid0(VALU_DEP_1)
	v_pk_add_f32 v[32:33], v[30:31], 0 neg_lo:[1,1] neg_hi:[1,1]
	ds_store_b64 v43, v[32:33]
.LBB64_256:                             ;   in Loop: Header=BB64_3 Depth=1
	s_or_b32 exec_lo, exec_lo, s6
	s_wait_dscnt 0x0
	s_barrier_signal -1
	s_barrier_wait -1
	s_and_saveexec_b32 s6, s52
	s_cbranch_execz .LBB64_258
; %bb.257:                              ;   in Loop: Header=BB64_3 Depth=1
	ds_load_b64 v[32:33], v44 offset:25984
	ds_load_b64 v[34:35], v43
	s_wait_dscnt 0x0
	v_pk_mul_f32 v[36:37], v[34:35], v[32:33] op_sel:[1,1] op_sel_hi:[0,1]
	s_delay_alu instid0(VALU_DEP_1) | instskip(SKIP_1) | instid1(VALU_DEP_2)
	v_pk_fma_f32 v[76:77], v[34:35], v[32:33], v[36:37] op_sel_hi:[1,0,1]
	v_pk_fma_f32 v[32:33], v[34:35], v[32:33], v[36:37] neg_lo:[0,0,1] neg_hi:[0,0,1]
	v_mov_b32_e32 v33, v77
	s_delay_alu instid0(VALU_DEP_1)
	v_pk_add_f32 v[30:31], v[30:31], v[32:33] neg_lo:[0,1] neg_hi:[0,1]
.LBB64_258:                             ;   in Loop: Header=BB64_3 Depth=1
	s_or_b32 exec_lo, exec_lo, s6
	s_barrier_signal -1
	s_barrier_wait -1
	s_and_saveexec_b32 s6, s53
	s_cbranch_execz .LBB64_260
; %bb.259:                              ;   in Loop: Header=BB64_3 Depth=1
	ds_load_b64 v[32:33], v5 offset:25480
	s_wait_dscnt 0x0
	v_pk_mul_f32 v[34:35], v[30:31], v[32:33] op_sel:[1,1] op_sel_hi:[1,0]
	s_delay_alu instid0(VALU_DEP_1) | instskip(SKIP_1) | instid1(VALU_DEP_2)
	v_pk_fma_f32 v[36:37], v[30:31], v[32:33], v[34:35] op_sel_hi:[0,1,1]
	v_pk_fma_f32 v[30:31], v[30:31], v[32:33], v[34:35] neg_lo:[0,0,1] neg_hi:[0,0,1]
	v_mov_b32_e32 v31, v37
	s_delay_alu instid0(VALU_DEP_1)
	v_pk_add_f32 v[32:33], v[30:31], 0 neg_lo:[1,1] neg_hi:[1,1]
	ds_store_b64 v43, v[32:33]
.LBB64_260:                             ;   in Loop: Header=BB64_3 Depth=1
	s_or_b32 exec_lo, exec_lo, s6
	s_wait_dscnt 0x0
	;; [unrolled: 35-line block ×3, first 2 shown]
	s_barrier_signal -1
	s_barrier_wait -1
	s_barrier_signal -1
	s_barrier_wait -1
	s_and_saveexec_b32 s6, s1
; %bb.265:                              ;   in Loop: Header=BB64_3 Depth=1
	ds_store_b64 v46, v[30:31] offset:28544
; %bb.266:                              ;   in Loop: Header=BB64_3 Depth=1
	s_or_b32 exec_lo, exec_lo, s6
	s_wait_dscnt 0x0
	s_barrier_signal -1
	s_barrier_wait -1
	s_barrier_signal -1
	s_barrier_wait -1
	s_and_saveexec_b32 s6, s14
	s_cbranch_execz .LBB64_268
; %bb.267:                              ;   in Loop: Header=BB64_3 Depth=1
	v_add_nc_u32_e64 v30, 0x190, 0
	ds_load_b64 v[34:35], v5 offset:26520
	ds_load_2addr_stride64_b64 v[30:33], v30 offset0:50 offset1:51
	s_wait_dscnt 0x0
	v_dual_mul_f32 v37, v35, v31 :: v_dual_mul_f32 v36, v34, v31
	s_delay_alu instid0(VALU_DEP_1) | instskip(NEXT) | instid1(VALU_DEP_2)
	v_xor_b32_e32 v76, 0x80000000, v37
	v_fmac_f32_e32 v36, v35, v30
	s_delay_alu instid0(VALU_DEP_2) | instskip(NEXT) | instid1(VALU_DEP_2)
	v_fmac_f32_e32 v76, v34, v30
	v_pk_mul_f32 v[30:31], v[36:37], v[32:33] op_sel:[0,1] op_sel_hi:[0,0]
	s_delay_alu instid0(VALU_DEP_1) | instskip(SKIP_1) | instid1(VALU_DEP_2)
	v_pk_fma_f32 v[34:35], v[76:77], v[32:33], v[30:31] op_sel_hi:[0,1,1]
	v_pk_fma_f32 v[30:31], v[76:77], v[32:33], v[30:31] neg_lo:[0,0,1] neg_hi:[0,0,1]
	v_mov_b32_e32 v31, v35
	ds_store_b64 v5, v[30:31] offset:26512
.LBB64_268:                             ;   in Loop: Header=BB64_3 Depth=1
	s_or_b32 exec_lo, exec_lo, s6
	v_dual_mov_b32 v30, 0 :: v_dual_mov_b32 v31, 0
	s_wait_dscnt 0x0
	s_barrier_signal -1
	s_barrier_wait -1
	global_wb scope:SCOPE_DEV
	s_wait_storecnt 0x0
	global_inv scope:SCOPE_DEV
	s_and_saveexec_b32 s9, s0
	s_cbranch_execz .LBB64_272
; %bb.269:                              ;   in Loop: Header=BB64_3 Depth=1
	ds_load_b64 v[30:31], v39 offset:25984
	ds_load_b64 v[32:33], v40 offset:26512
	s_wait_dscnt 0x0
	v_pk_mul_f32 v[34:35], v[32:33], v[30:31] op_sel:[1,1] op_sel_hi:[0,1]
	s_delay_alu instid0(VALU_DEP_1) | instskip(SKIP_1) | instid1(VALU_DEP_2)
	v_pk_fma_f32 v[36:37], v[32:33], v[30:31], v[34:35] op_sel_hi:[1,0,1]
	v_pk_fma_f32 v[30:31], v[32:33], v[30:31], v[34:35] neg_lo:[0,0,1] neg_hi:[0,0,1]
	v_mov_b32_e32 v31, v37
	s_delay_alu instid0(VALU_DEP_1)
	v_pk_add_f32 v[30:31], v[30:31], 0 op_sel_hi:[1,0]
	s_and_saveexec_b32 s6, s15
	s_cbranch_execz .LBB64_271
; %bb.270:                              ;   in Loop: Header=BB64_3 Depth=1
	ds_load_b64 v[32:33], v41 offset:26496
	ds_load_b64 v[34:35], v5 offset:26520
	s_wait_dscnt 0x0
	v_pk_mul_f32 v[36:37], v[34:35], v[32:33] op_sel:[1,1] op_sel_hi:[0,1]
	s_delay_alu instid0(VALU_DEP_1) | instskip(SKIP_1) | instid1(VALU_DEP_2)
	v_pk_fma_f32 v[76:77], v[34:35], v[32:33], v[36:37] op_sel_hi:[1,0,1]
	v_pk_fma_f32 v[32:33], v[34:35], v[32:33], v[36:37] neg_lo:[0,0,1] neg_hi:[0,0,1]
	v_mov_b32_e32 v33, v77
	s_delay_alu instid0(VALU_DEP_1)
	v_pk_add_f32 v[30:31], v[30:31], v[32:33]
.LBB64_271:                             ;   in Loop: Header=BB64_3 Depth=1
	s_or_b32 exec_lo, exec_lo, s6
.LBB64_272:                             ;   in Loop: Header=BB64_3 Depth=1
	s_delay_alu instid0(SALU_CYCLE_1)
	s_or_b32 exec_lo, exec_lo, s9
	s_and_saveexec_b32 s6, s47
	s_cbranch_execz .LBB64_274
; %bb.273:                              ;   in Loop: Header=BB64_3 Depth=1
	ds_load_b64 v[32:33], v5 offset:25480
	s_wait_dscnt 0x0
	v_pk_mul_f32 v[34:35], v[30:31], v[32:33] op_sel:[1,1] op_sel_hi:[1,0]
	s_delay_alu instid0(VALU_DEP_1) | instskip(SKIP_1) | instid1(VALU_DEP_2)
	v_pk_fma_f32 v[36:37], v[30:31], v[32:33], v[34:35] op_sel_hi:[0,1,1]
	v_pk_fma_f32 v[30:31], v[30:31], v[32:33], v[34:35] neg_lo:[0,0,1] neg_hi:[0,0,1]
	v_mov_b32_e32 v31, v37
	s_delay_alu instid0(VALU_DEP_1)
	v_pk_add_f32 v[32:33], v[30:31], 0 neg_lo:[1,1] neg_hi:[1,1]
	ds_store_b64 v3, v[32:33]
.LBB64_274:                             ;   in Loop: Header=BB64_3 Depth=1
	s_or_b32 exec_lo, exec_lo, s6
	s_wait_loadcnt_dscnt 0x0
	s_barrier_signal -1
	s_barrier_wait -1
	s_and_saveexec_b32 s6, s48
	s_cbranch_execz .LBB64_276
; %bb.275:                              ;   in Loop: Header=BB64_3 Depth=1
	ds_load_b64 v[32:33], v5 offset:25472
	ds_load_b64 v[34:35], v3
	s_wait_dscnt 0x0
	v_pk_mul_f32 v[36:37], v[34:35], v[32:33] op_sel:[1,1] op_sel_hi:[0,1]
	s_delay_alu instid0(VALU_DEP_1) | instskip(SKIP_1) | instid1(VALU_DEP_2)
	v_pk_fma_f32 v[76:77], v[34:35], v[32:33], v[36:37] op_sel_hi:[1,0,1]
	v_pk_fma_f32 v[32:33], v[34:35], v[32:33], v[36:37] neg_lo:[0,0,1] neg_hi:[0,0,1]
	v_mov_b32_e32 v33, v77
	s_delay_alu instid0(VALU_DEP_1)
	v_pk_add_f32 v[30:31], v[30:31], v[32:33] neg_lo:[0,1] neg_hi:[0,1]
.LBB64_276:                             ;   in Loop: Header=BB64_3 Depth=1
	s_or_b32 exec_lo, exec_lo, s6
	s_barrier_signal -1
	s_barrier_wait -1
	s_and_saveexec_b32 s6, s48
	s_cbranch_execz .LBB64_278
; %bb.277:                              ;   in Loop: Header=BB64_3 Depth=1
	ds_load_b64 v[32:33], v5 offset:24960
	s_wait_dscnt 0x0
	v_pk_mul_f32 v[34:35], v[30:31], v[32:33] op_sel:[1,1] op_sel_hi:[1,0]
	s_delay_alu instid0(VALU_DEP_1) | instskip(SKIP_1) | instid1(VALU_DEP_2)
	v_pk_fma_f32 v[36:37], v[30:31], v[32:33], v[34:35] op_sel_hi:[0,1,1]
	v_pk_fma_f32 v[30:31], v[30:31], v[32:33], v[34:35] neg_lo:[0,0,1] neg_hi:[0,0,1]
	v_mov_b32_e32 v31, v37
	s_delay_alu instid0(VALU_DEP_1)
	v_pk_add_f32 v[32:33], v[30:31], 0 neg_lo:[1,1] neg_hi:[1,1]
	ds_store_b64 v3, v[32:33]
.LBB64_278:                             ;   in Loop: Header=BB64_3 Depth=1
	s_or_b32 exec_lo, exec_lo, s6
	s_wait_dscnt 0x0
	s_barrier_signal -1
	s_barrier_wait -1
	s_barrier_signal -1
	s_barrier_wait -1
	s_and_saveexec_b32 s6, s0
; %bb.279:                              ;   in Loop: Header=BB64_3 Depth=1
	ds_store_b64 v42, v[30:31] offset:26496
; %bb.280:                              ;   in Loop: Header=BB64_3 Depth=1
	s_or_b32 exec_lo, exec_lo, s6
	s_wait_dscnt 0x0
	s_barrier_signal -1
	s_barrier_wait -1
	s_barrier_signal -1
	s_barrier_wait -1
	s_and_saveexec_b32 s6, s14
	s_cbranch_execz .LBB64_282
; %bb.281:                              ;   in Loop: Header=BB64_3 Depth=1
	v_add_nc_u32_e64 v30, 0x180, 0
	ds_load_b64 v[34:35], v5 offset:25480
	ds_load_2addr_stride64_b64 v[30:33], v30 offset0:48 offset1:49
	s_wait_dscnt 0x0
	v_dual_mul_f32 v37, v35, v31 :: v_dual_mul_f32 v36, v34, v31
	s_delay_alu instid0(VALU_DEP_1) | instskip(NEXT) | instid1(VALU_DEP_2)
	v_xor_b32_e32 v76, 0x80000000, v37
	v_fmac_f32_e32 v36, v35, v30
	s_delay_alu instid0(VALU_DEP_2) | instskip(NEXT) | instid1(VALU_DEP_2)
	v_fmac_f32_e32 v76, v34, v30
	v_pk_mul_f32 v[30:31], v[36:37], v[32:33] op_sel:[0,1] op_sel_hi:[0,0]
	s_delay_alu instid0(VALU_DEP_1) | instskip(SKIP_1) | instid1(VALU_DEP_2)
	v_pk_fma_f32 v[34:35], v[76:77], v[32:33], v[30:31] op_sel_hi:[0,1,1]
	v_pk_fma_f32 v[30:31], v[76:77], v[32:33], v[30:31] neg_lo:[0,0,1] neg_hi:[0,0,1]
	v_mov_b32_e32 v31, v35
	ds_store_b64 v5, v[30:31] offset:25472
.LBB64_282:                             ;   in Loop: Header=BB64_3 Depth=1
	s_or_b32 exec_lo, exec_lo, s6
	v_mov_b64_e32 v[30:31], 0
	s_wait_dscnt 0x0
	s_barrier_signal -1
	s_barrier_wait -1
	global_wb scope:SCOPE_DEV
	s_wait_storecnt 0x0
	global_inv scope:SCOPE_DEV
	s_and_saveexec_b32 s100, s3
	s_cbranch_execz .LBB64_310
; %bb.283:                              ;   in Loop: Header=BB64_3 Depth=1
	ds_load_b64 v[30:31], v52 offset:24832
	ds_load_b64 v[32:33], v53 offset:32640
	v_readlane_b32 s7, v85, 2
	s_wait_dscnt 0x0
	v_dual_mul_f32 v34, v33, v31 :: v_dual_mul_f32 v31, v32, v31
	s_delay_alu instid0(VALU_DEP_1) | instskip(NEXT) | instid1(VALU_DEP_1)
	v_dual_fma_f32 v32, v32, v30, -v34 :: v_dual_fmac_f32 v31, v33, v30
	v_dual_add_f32 v30, 0, v32 :: v_dual_add_f32 v31, 0, v31
	s_and_saveexec_b32 s6, s7
	s_cbranch_execz .LBB64_285
; %bb.284:                              ;   in Loop: Header=BB64_3 Depth=1
	ds_load_b64 v[32:33], v52 offset:25344
	ds_load_b64 v[34:35], v53 offset:32648
	s_wait_dscnt 0x0
	v_dual_mul_f32 v36, v35, v33 :: v_dual_mul_f32 v33, v34, v33
	s_delay_alu instid0(VALU_DEP_1) | instskip(NEXT) | instid1(VALU_DEP_1)
	v_dual_fma_f32 v34, v34, v32, -v36 :: v_dual_fmac_f32 v33, v35, v32
	v_dual_add_f32 v30, v30, v34 :: v_dual_add_f32 v31, v31, v33
.LBB64_285:                             ;   in Loop: Header=BB64_3 Depth=1
	s_or_b32 exec_lo, exec_lo, s6
	v_readlane_b32 s7, v85, 3
	s_and_saveexec_b32 s6, s7
	s_cbranch_execz .LBB64_287
; %bb.286:                              ;   in Loop: Header=BB64_3 Depth=1
	ds_load_b64 v[32:33], v52 offset:25856
	ds_load_b64 v[34:35], v53 offset:32656
	s_wait_dscnt 0x0
	v_dual_mul_f32 v36, v35, v33 :: v_dual_mul_f32 v33, v34, v33
	s_delay_alu instid0(VALU_DEP_1) | instskip(NEXT) | instid1(VALU_DEP_1)
	v_dual_fma_f32 v34, v34, v32, -v36 :: v_dual_fmac_f32 v33, v35, v32
	v_dual_add_f32 v30, v30, v34 :: v_dual_add_f32 v31, v31, v33
.LBB64_287:                             ;   in Loop: Header=BB64_3 Depth=1
	s_or_b32 exec_lo, exec_lo, s6
	v_readlane_b32 s7, v85, 4
	;; [unrolled: 13-line block ×10, first 2 shown]
	s_and_saveexec_b32 s6, s7
	s_cbranch_execnz .LBB64_1058
; %bb.304:                              ;   in Loop: Header=BB64_3 Depth=1
	s_or_b32 exec_lo, exec_lo, s6
	s_and_saveexec_b32 s6, s2
	s_cbranch_execnz .LBB64_1059
.LBB64_305:                             ;   in Loop: Header=BB64_3 Depth=1
	s_or_b32 exec_lo, exec_lo, s6
	s_and_saveexec_b32 s6, s19
	s_cbranch_execnz .LBB64_1060
.LBB64_306:                             ;   in Loop: Header=BB64_3 Depth=1
	s_or_b32 exec_lo, exec_lo, s6
	s_and_saveexec_b32 s6, s21
	s_cbranch_execnz .LBB64_1061
.LBB64_307:                             ;   in Loop: Header=BB64_3 Depth=1
	s_or_b32 exec_lo, exec_lo, s6
	s_and_saveexec_b32 s6, s1
	s_cbranch_execz .LBB64_309
.LBB64_308:                             ;   in Loop: Header=BB64_3 Depth=1
	ds_load_b64 v[32:33], v41 offset:32512
	ds_load_b64 v[34:35], v5 offset:32760
	s_wait_dscnt 0x0
	v_dual_mul_f32 v36, v35, v33 :: v_dual_mul_f32 v37, v34, v33
	s_delay_alu instid0(VALU_DEP_1) | instskip(NEXT) | instid1(VALU_DEP_1)
	v_dual_fma_f32 v36, v34, v32, -v36 :: v_dual_fmac_f32 v37, v35, v32
	v_pk_add_f32 v[30:31], v[30:31], v[36:37]
.LBB64_309:                             ;   in Loop: Header=BB64_3 Depth=1
	s_or_b32 exec_lo, exec_lo, s6
.LBB64_310:                             ;   in Loop: Header=BB64_3 Depth=1
	s_delay_alu instid0(SALU_CYCLE_1)
	s_or_b32 exec_lo, exec_lo, s100
	v_readlane_b32 s7, v86, 5
	s_and_saveexec_b32 s6, s7
	s_cbranch_execz .LBB64_312
; %bb.311:                              ;   in Loop: Header=BB64_3 Depth=1
	ds_load_b64 v[32:33], v5 offset:24440
	s_wait_dscnt 0x0
	v_pk_mul_f32 v[34:35], v[30:31], v[32:33] op_sel:[1,1] op_sel_hi:[1,0]
	s_delay_alu instid0(VALU_DEP_1) | instskip(SKIP_1) | instid1(VALU_DEP_2)
	v_pk_fma_f32 v[36:37], v[30:31], v[32:33], v[34:35] op_sel_hi:[0,1,1]
	v_pk_fma_f32 v[30:31], v[30:31], v[32:33], v[34:35] neg_lo:[0,0,1] neg_hi:[0,0,1]
	v_mov_b32_e32 v31, v37
	s_delay_alu instid0(VALU_DEP_1)
	v_pk_add_f32 v[32:33], v[30:31], 0 neg_lo:[1,1] neg_hi:[1,1]
	ds_store_b64 v51, v[32:33]
.LBB64_312:                             ;   in Loop: Header=BB64_3 Depth=1
	s_or_b32 exec_lo, exec_lo, s6
	v_readlane_b32 s7, v86, 6
	s_wait_loadcnt_dscnt 0x0
	s_barrier_signal -1
	s_barrier_wait -1
	s_and_saveexec_b32 s6, s7
	s_cbranch_execz .LBB64_314
; %bb.313:                              ;   in Loop: Header=BB64_3 Depth=1
	ds_load_b64 v[32:33], v52 offset:24320
	ds_load_b64 v[34:35], v51
	s_wait_dscnt 0x0
	v_pk_mul_f32 v[36:37], v[34:35], v[32:33] op_sel:[1,1] op_sel_hi:[0,1]
	s_delay_alu instid0(VALU_DEP_1) | instskip(SKIP_1) | instid1(VALU_DEP_2)
	v_pk_fma_f32 v[76:77], v[34:35], v[32:33], v[36:37] op_sel_hi:[1,0,1]
	v_pk_fma_f32 v[32:33], v[34:35], v[32:33], v[36:37] neg_lo:[0,0,1] neg_hi:[0,0,1]
	v_mov_b32_e32 v33, v77
	s_delay_alu instid0(VALU_DEP_1)
	v_pk_add_f32 v[30:31], v[30:31], v[32:33] neg_lo:[0,1] neg_hi:[0,1]
.LBB64_314:                             ;   in Loop: Header=BB64_3 Depth=1
	s_or_b32 exec_lo, exec_lo, s6
	v_readlane_b32 s7, v86, 7
	s_barrier_signal -1
	s_barrier_wait -1
	s_and_saveexec_b32 s6, s7
	s_cbranch_execz .LBB64_316
; %bb.315:                              ;   in Loop: Header=BB64_3 Depth=1
	ds_load_b64 v[32:33], v5 offset:23920
	s_wait_dscnt 0x0
	v_pk_mul_f32 v[34:35], v[30:31], v[32:33] op_sel:[1,1] op_sel_hi:[1,0]
	s_delay_alu instid0(VALU_DEP_1) | instskip(SKIP_1) | instid1(VALU_DEP_2)
	v_pk_fma_f32 v[36:37], v[30:31], v[32:33], v[34:35] op_sel_hi:[0,1,1]
	v_pk_fma_f32 v[30:31], v[30:31], v[32:33], v[34:35] neg_lo:[0,0,1] neg_hi:[0,0,1]
	v_mov_b32_e32 v31, v37
	s_delay_alu instid0(VALU_DEP_1)
	v_pk_add_f32 v[32:33], v[30:31], 0 neg_lo:[1,1] neg_hi:[1,1]
	ds_store_b64 v51, v[32:33]
.LBB64_316:                             ;   in Loop: Header=BB64_3 Depth=1
	s_or_b32 exec_lo, exec_lo, s6
	v_readlane_b32 s7, v86, 8
	s_wait_dscnt 0x0
	s_barrier_signal -1
	s_barrier_wait -1
	s_and_saveexec_b32 s6, s7
	s_cbranch_execz .LBB64_318
; %bb.317:                              ;   in Loop: Header=BB64_3 Depth=1
	ds_load_b64 v[32:33], v52 offset:23808
	ds_load_b64 v[34:35], v51
	s_wait_dscnt 0x0
	v_pk_mul_f32 v[36:37], v[34:35], v[32:33] op_sel:[1,1] op_sel_hi:[0,1]
	s_delay_alu instid0(VALU_DEP_1) | instskip(SKIP_1) | instid1(VALU_DEP_2)
	v_pk_fma_f32 v[76:77], v[34:35], v[32:33], v[36:37] op_sel_hi:[1,0,1]
	v_pk_fma_f32 v[32:33], v[34:35], v[32:33], v[36:37] neg_lo:[0,0,1] neg_hi:[0,0,1]
	v_mov_b32_e32 v33, v77
	s_delay_alu instid0(VALU_DEP_1)
	v_pk_add_f32 v[30:31], v[30:31], v[32:33] neg_lo:[0,1] neg_hi:[0,1]
.LBB64_318:                             ;   in Loop: Header=BB64_3 Depth=1
	s_or_b32 exec_lo, exec_lo, s6
	v_readlane_b32 s7, v86, 9
	s_barrier_signal -1
	s_barrier_wait -1
	s_and_saveexec_b32 s6, s7
	s_cbranch_execz .LBB64_320
; %bb.319:                              ;   in Loop: Header=BB64_3 Depth=1
	ds_load_b64 v[32:33], v5 offset:23400
	s_wait_dscnt 0x0
	v_pk_mul_f32 v[34:35], v[30:31], v[32:33] op_sel:[1,1] op_sel_hi:[1,0]
	s_delay_alu instid0(VALU_DEP_1) | instskip(SKIP_1) | instid1(VALU_DEP_2)
	v_pk_fma_f32 v[36:37], v[30:31], v[32:33], v[34:35] op_sel_hi:[0,1,1]
	v_pk_fma_f32 v[30:31], v[30:31], v[32:33], v[34:35] neg_lo:[0,0,1] neg_hi:[0,0,1]
	v_mov_b32_e32 v31, v37
	s_delay_alu instid0(VALU_DEP_1)
	v_pk_add_f32 v[32:33], v[30:31], 0 neg_lo:[1,1] neg_hi:[1,1]
	ds_store_b64 v51, v[32:33]
.LBB64_320:                             ;   in Loop: Header=BB64_3 Depth=1
	s_or_b32 exec_lo, exec_lo, s6
	s_wait_dscnt 0x0
	s_barrier_signal -1
	s_barrier_wait -1
	s_and_saveexec_b32 s6, s23
	s_cbranch_execz .LBB64_322
; %bb.321:                              ;   in Loop: Header=BB64_3 Depth=1
	ds_load_b64 v[32:33], v52 offset:23296
	ds_load_b64 v[34:35], v51
	s_wait_dscnt 0x0
	v_pk_mul_f32 v[36:37], v[34:35], v[32:33] op_sel:[1,1] op_sel_hi:[0,1]
	s_delay_alu instid0(VALU_DEP_1) | instskip(SKIP_1) | instid1(VALU_DEP_2)
	v_pk_fma_f32 v[76:77], v[34:35], v[32:33], v[36:37] op_sel_hi:[1,0,1]
	v_pk_fma_f32 v[32:33], v[34:35], v[32:33], v[36:37] neg_lo:[0,0,1] neg_hi:[0,0,1]
	v_mov_b32_e32 v33, v77
	s_delay_alu instid0(VALU_DEP_1)
	v_pk_add_f32 v[30:31], v[30:31], v[32:33] neg_lo:[0,1] neg_hi:[0,1]
.LBB64_322:                             ;   in Loop: Header=BB64_3 Depth=1
	s_or_b32 exec_lo, exec_lo, s6
	s_delay_alu instid0(VALU_DEP_1)
	v_dual_mov_b32 v32, v31 :: v_dual_mov_b32 v33, v30
	s_barrier_signal -1
	s_barrier_wait -1
	s_and_saveexec_b32 s6, s25
	s_cbranch_execz .LBB64_324
; %bb.323:                              ;   in Loop: Header=BB64_3 Depth=1
	ds_load_b64 v[34:35], v5 offset:22880
	s_wait_dscnt 0x0
	v_dual_mul_f32 v36, v33, v35 :: v_dual_mul_f32 v76, v31, v35
	s_delay_alu instid0(VALU_DEP_1) | instskip(NEXT) | instid1(VALU_DEP_2)
	v_pk_fma_f32 v[32:33], v[32:33], v[34:35], v[36:37] op_sel_hi:[1,1,0]
	v_pk_fma_f32 v[30:31], v[30:31], v[34:35], v[76:77] op_sel_hi:[1,1,0] neg_lo:[0,0,1] neg_hi:[0,0,1]
	s_delay_alu instid0(VALU_DEP_1) | instskip(NEXT) | instid1(VALU_DEP_1)
	v_dual_mov_b32 v31, v32 :: v_dual_mov_b32 v33, v30
	v_pk_add_f32 v[34:35], v[30:31], 0 neg_lo:[1,1] neg_hi:[1,1]
	ds_store_b64 v51, v[34:35]
.LBB64_324:                             ;   in Loop: Header=BB64_3 Depth=1
	s_or_b32 exec_lo, exec_lo, s6
	s_wait_dscnt 0x0
	s_barrier_signal -1
	s_barrier_wait -1
	s_and_saveexec_b32 s6, s27
	s_cbranch_execz .LBB64_326
; %bb.325:                              ;   in Loop: Header=BB64_3 Depth=1
	ds_load_b64 v[30:31], v52 offset:22784
	ds_load_b64 v[34:35], v51
	s_wait_dscnt 0x0
	v_dual_mul_f32 v37, v35, v31 :: v_dual_mul_f32 v36, v34, v31
	s_delay_alu instid0(VALU_DEP_1) | instskip(NEXT) | instid1(VALU_DEP_1)
	v_dual_fma_f32 v37, v34, v30, -v37 :: v_dual_fmac_f32 v36, v35, v30
	v_pk_add_f32 v[32:33], v[32:33], v[36:37] neg_lo:[0,1] neg_hi:[0,1]
.LBB64_326:                             ;   in Loop: Header=BB64_3 Depth=1
	s_or_b32 exec_lo, exec_lo, s6
	s_barrier_signal -1
	s_barrier_wait -1
	s_and_saveexec_b32 s6, s29
	s_cbranch_execz .LBB64_328
; %bb.327:                              ;   in Loop: Header=BB64_3 Depth=1
	ds_load_b64 v[30:31], v5 offset:22360
	s_wait_dscnt 0x0
	v_pk_mul_f32 v[34:35], v[32:33], v[30:31] op_sel_hi:[0,1]
	s_delay_alu instid0(VALU_DEP_1) | instskip(SKIP_1) | instid1(VALU_DEP_2)
	v_pk_fma_f32 v[36:37], v[32:33], v[30:31], v[34:35] op_sel:[1,1,0] op_sel_hi:[1,0,1] neg_lo:[0,0,1] neg_hi:[0,0,1]
	v_pk_fma_f32 v[32:33], v[32:33], v[30:31], v[34:35] op_sel:[1,1,0] op_sel_hi:[1,0,1]
	v_mov_b32_e32 v33, v37
	s_delay_alu instid0(VALU_DEP_2)
	v_xor_b32_e32 v31, 0x80000000, v32
	v_xor_b32_e32 v30, 0x80000000, v37
	ds_store_b64 v51, v[30:31]
.LBB64_328:                             ;   in Loop: Header=BB64_3 Depth=1
	s_or_b32 exec_lo, exec_lo, s6
	s_wait_dscnt 0x0
	s_barrier_signal -1
	s_barrier_wait -1
	s_and_saveexec_b32 s6, s31
	s_cbranch_execz .LBB64_330
; %bb.329:                              ;   in Loop: Header=BB64_3 Depth=1
	ds_load_b64 v[30:31], v52 offset:22272
	ds_load_b64 v[34:35], v51
	s_wait_dscnt 0x0
	v_pk_mul_f32 v[36:37], v[34:35], v[30:31] op_sel:[0,1]
	s_delay_alu instid0(VALU_DEP_1) | instskip(SKIP_1) | instid1(VALU_DEP_2)
	v_pk_fma_f32 v[76:77], v[34:35], v[30:31], v[36:37] op_sel:[1,0,0] op_sel_hi:[0,0,1] neg_lo:[0,0,1] neg_hi:[0,0,1]
	v_pk_fma_f32 v[30:31], v[34:35], v[30:31], v[36:37] op_sel:[1,0,0] op_sel_hi:[0,1,1]
	v_mov_b32_e32 v31, v77
	s_delay_alu instid0(VALU_DEP_1)
	v_pk_add_f32 v[32:33], v[32:33], v[30:31] neg_lo:[0,1] neg_hi:[0,1]
.LBB64_330:                             ;   in Loop: Header=BB64_3 Depth=1
	s_or_b32 exec_lo, exec_lo, s6
	s_barrier_signal -1
	s_barrier_wait -1
	s_and_saveexec_b32 s6, s34
	s_cbranch_execz .LBB64_332
; %bb.331:                              ;   in Loop: Header=BB64_3 Depth=1
	ds_load_b64 v[30:31], v5 offset:21840
	s_wait_dscnt 0x0
	v_pk_mul_f32 v[34:35], v[32:33], v[30:31] op_sel_hi:[0,1]
	s_delay_alu instid0(VALU_DEP_1) | instskip(SKIP_1) | instid1(VALU_DEP_2)
	v_pk_fma_f32 v[36:37], v[32:33], v[30:31], v[34:35] op_sel:[1,1,0] op_sel_hi:[1,0,1] neg_lo:[0,0,1] neg_hi:[0,0,1]
	v_pk_fma_f32 v[32:33], v[32:33], v[30:31], v[34:35] op_sel:[1,1,0] op_sel_hi:[1,0,1]
	v_mov_b32_e32 v33, v37
	s_delay_alu instid0(VALU_DEP_2)
	v_xor_b32_e32 v31, 0x80000000, v32
	v_xor_b32_e32 v30, 0x80000000, v37
	ds_store_b64 v51, v[30:31]
.LBB64_332:                             ;   in Loop: Header=BB64_3 Depth=1
	s_or_b32 exec_lo, exec_lo, s6
	s_wait_dscnt 0x0
	s_barrier_signal -1
	s_barrier_wait -1
	s_and_saveexec_b32 s6, s38
	s_cbranch_execz .LBB64_334
; %bb.333:                              ;   in Loop: Header=BB64_3 Depth=1
	ds_load_b64 v[30:31], v52 offset:21760
	ds_load_b64 v[34:35], v51
	s_wait_dscnt 0x0
	v_pk_mul_f32 v[36:37], v[34:35], v[30:31] op_sel:[0,1]
	s_delay_alu instid0(VALU_DEP_1) | instskip(SKIP_1) | instid1(VALU_DEP_2)
	v_pk_fma_f32 v[76:77], v[34:35], v[30:31], v[36:37] op_sel:[1,0,0] op_sel_hi:[0,0,1] neg_lo:[0,0,1] neg_hi:[0,0,1]
	v_pk_fma_f32 v[30:31], v[34:35], v[30:31], v[36:37] op_sel:[1,0,0] op_sel_hi:[0,1,1]
	v_mov_b32_e32 v31, v77
	s_delay_alu instid0(VALU_DEP_1)
	v_pk_add_f32 v[32:33], v[32:33], v[30:31] neg_lo:[0,1] neg_hi:[0,1]
.LBB64_334:                             ;   in Loop: Header=BB64_3 Depth=1
	;; [unrolled: 36-line block ×3, first 2 shown]
	s_or_b32 exec_lo, exec_lo, s6
	s_delay_alu instid0(VALU_DEP_1)
	v_dual_mov_b32 v30, v33 :: v_dual_mov_b32 v31, v32
	s_barrier_signal -1
	s_barrier_wait -1
	s_and_saveexec_b32 s6, s41
	s_cbranch_execz .LBB64_340
; %bb.339:                              ;   in Loop: Header=BB64_3 Depth=1
	ds_load_b64 v[34:35], v5 offset:20800
	s_wait_dscnt 0x0
	v_dual_mul_f32 v36, v32, v34 :: v_dual_mul_f32 v76, v31, v35
	s_delay_alu instid0(VALU_DEP_1) | instskip(NEXT) | instid1(VALU_DEP_2)
	v_pk_fma_f32 v[32:33], v[32:33], v[34:35], v[36:37] op_sel_hi:[1,1,0]
	v_pk_fma_f32 v[30:31], v[30:31], v[34:35], v[76:77] op_sel_hi:[1,1,0] neg_lo:[0,0,1] neg_hi:[0,0,1]
	s_delay_alu instid0(VALU_DEP_2) | instskip(NEXT) | instid1(VALU_DEP_1)
	v_mov_b32_e32 v31, v33
	v_pk_add_f32 v[32:33], v[30:31], 0 neg_lo:[1,1] neg_hi:[1,1]
	ds_store_b64 v51, v[32:33]
.LBB64_340:                             ;   in Loop: Header=BB64_3 Depth=1
	s_or_b32 exec_lo, exec_lo, s6
	s_wait_dscnt 0x0
	s_barrier_signal -1
	s_barrier_wait -1
	s_and_saveexec_b32 s6, s92
	s_cbranch_execz .LBB64_342
; %bb.341:                              ;   in Loop: Header=BB64_3 Depth=1
	ds_load_b64 v[32:33], v52 offset:20736
	ds_load_b64 v[34:35], v51
	s_wait_dscnt 0x0
	v_dual_mul_f32 v36, v35, v33 :: v_dual_mul_f32 v37, v34, v33
	s_delay_alu instid0(VALU_DEP_1) | instskip(NEXT) | instid1(VALU_DEP_1)
	v_dual_fma_f32 v36, v34, v32, -v36 :: v_dual_fmac_f32 v37, v35, v32
	v_pk_add_f32 v[30:31], v[30:31], v[36:37] neg_lo:[0,1] neg_hi:[0,1]
.LBB64_342:                             ;   in Loop: Header=BB64_3 Depth=1
	s_or_b32 exec_lo, exec_lo, s6
	s_barrier_signal -1
	s_barrier_wait -1
	s_and_saveexec_b32 s6, s93
	s_cbranch_execz .LBB64_344
; %bb.343:                              ;   in Loop: Header=BB64_3 Depth=1
	ds_load_b64 v[32:33], v5 offset:20280
	s_wait_dscnt 0x0
	v_pk_mul_f32 v[34:35], v[30:31], v[32:33] op_sel:[1,1] op_sel_hi:[1,0]
	s_delay_alu instid0(VALU_DEP_1) | instskip(SKIP_1) | instid1(VALU_DEP_2)
	v_pk_fma_f32 v[36:37], v[30:31], v[32:33], v[34:35] op_sel_hi:[0,1,1]
	v_pk_fma_f32 v[30:31], v[30:31], v[32:33], v[34:35] neg_lo:[0,0,1] neg_hi:[0,0,1]
	v_mov_b32_e32 v31, v37
	s_delay_alu instid0(VALU_DEP_1)
	v_pk_add_f32 v[32:33], v[30:31], 0 neg_lo:[1,1] neg_hi:[1,1]
	ds_store_b64 v51, v[32:33]
.LBB64_344:                             ;   in Loop: Header=BB64_3 Depth=1
	s_or_b32 exec_lo, exec_lo, s6
	s_wait_dscnt 0x0
	s_barrier_signal -1
	s_barrier_wait -1
	s_and_saveexec_b32 s6, s90
	s_cbranch_execz .LBB64_346
; %bb.345:                              ;   in Loop: Header=BB64_3 Depth=1
	ds_load_b64 v[32:33], v52 offset:20224
	ds_load_b64 v[34:35], v51
	s_wait_dscnt 0x0
	v_pk_mul_f32 v[36:37], v[34:35], v[32:33] op_sel:[1,1] op_sel_hi:[0,1]
	s_delay_alu instid0(VALU_DEP_1) | instskip(SKIP_1) | instid1(VALU_DEP_2)
	v_pk_fma_f32 v[76:77], v[34:35], v[32:33], v[36:37] op_sel_hi:[1,0,1]
	v_pk_fma_f32 v[32:33], v[34:35], v[32:33], v[36:37] neg_lo:[0,0,1] neg_hi:[0,0,1]
	v_mov_b32_e32 v33, v77
	s_delay_alu instid0(VALU_DEP_1)
	v_pk_add_f32 v[30:31], v[30:31], v[32:33] neg_lo:[0,1] neg_hi:[0,1]
.LBB64_346:                             ;   in Loop: Header=BB64_3 Depth=1
	s_or_b32 exec_lo, exec_lo, s6
	s_barrier_signal -1
	s_barrier_wait -1
	s_and_saveexec_b32 s6, s91
	s_cbranch_execz .LBB64_348
; %bb.347:                              ;   in Loop: Header=BB64_3 Depth=1
	ds_load_b64 v[32:33], v5 offset:19760
	s_wait_dscnt 0x0
	v_pk_mul_f32 v[34:35], v[30:31], v[32:33] op_sel:[1,1] op_sel_hi:[1,0]
	s_delay_alu instid0(VALU_DEP_1) | instskip(SKIP_1) | instid1(VALU_DEP_2)
	v_pk_fma_f32 v[36:37], v[30:31], v[32:33], v[34:35] op_sel_hi:[0,1,1]
	v_pk_fma_f32 v[30:31], v[30:31], v[32:33], v[34:35] neg_lo:[0,0,1] neg_hi:[0,0,1]
	v_mov_b32_e32 v31, v37
	s_delay_alu instid0(VALU_DEP_1)
	v_pk_add_f32 v[32:33], v[30:31], 0 neg_lo:[1,1] neg_hi:[1,1]
	ds_store_b64 v51, v[32:33]
.LBB64_348:                             ;   in Loop: Header=BB64_3 Depth=1
	s_or_b32 exec_lo, exec_lo, s6
	s_wait_dscnt 0x0
	s_barrier_signal -1
	s_barrier_wait -1
	s_and_saveexec_b32 s6, s42
	s_cbranch_execz .LBB64_350
; %bb.349:                              ;   in Loop: Header=BB64_3 Depth=1
	ds_load_b64 v[32:33], v52 offset:19712
	ds_load_b64 v[34:35], v51
	s_wait_dscnt 0x0
	v_pk_mul_f32 v[36:37], v[34:35], v[32:33] op_sel:[1,1] op_sel_hi:[0,1]
	s_delay_alu instid0(VALU_DEP_1) | instskip(SKIP_1) | instid1(VALU_DEP_2)
	v_pk_fma_f32 v[76:77], v[34:35], v[32:33], v[36:37] op_sel_hi:[1,0,1]
	v_pk_fma_f32 v[32:33], v[34:35], v[32:33], v[36:37] neg_lo:[0,0,1] neg_hi:[0,0,1]
	v_mov_b32_e32 v33, v77
	s_delay_alu instid0(VALU_DEP_1)
	v_pk_add_f32 v[30:31], v[30:31], v[32:33] neg_lo:[0,1] neg_hi:[0,1]
.LBB64_350:                             ;   in Loop: Header=BB64_3 Depth=1
	s_or_b32 exec_lo, exec_lo, s6
	s_barrier_signal -1
	s_barrier_wait -1
	s_and_saveexec_b32 s6, s24
	s_cbranch_execz .LBB64_352
; %bb.351:                              ;   in Loop: Header=BB64_3 Depth=1
	ds_load_b64 v[32:33], v5 offset:19240
	s_wait_dscnt 0x0
	v_pk_mul_f32 v[34:35], v[30:31], v[32:33] op_sel:[1,1] op_sel_hi:[1,0]
	s_delay_alu instid0(VALU_DEP_1) | instskip(SKIP_1) | instid1(VALU_DEP_2)
	v_pk_fma_f32 v[36:37], v[30:31], v[32:33], v[34:35] op_sel_hi:[0,1,1]
	v_pk_fma_f32 v[30:31], v[30:31], v[32:33], v[34:35] neg_lo:[0,0,1] neg_hi:[0,0,1]
	v_mov_b32_e32 v31, v37
	s_delay_alu instid0(VALU_DEP_1)
	v_pk_add_f32 v[32:33], v[30:31], 0 neg_lo:[1,1] neg_hi:[1,1]
	ds_store_b64 v51, v[32:33]
.LBB64_352:                             ;   in Loop: Header=BB64_3 Depth=1
	s_or_b32 exec_lo, exec_lo, s6
	s_wait_dscnt 0x0
	s_barrier_signal -1
	s_barrier_wait -1
	s_and_saveexec_b32 s6, s26
	s_cbranch_execz .LBB64_354
; %bb.353:                              ;   in Loop: Header=BB64_3 Depth=1
	ds_load_b64 v[32:33], v52 offset:19200
	ds_load_b64 v[34:35], v51
	s_wait_dscnt 0x0
	v_pk_mul_f32 v[36:37], v[34:35], v[32:33] op_sel:[1,1] op_sel_hi:[0,1]
	s_delay_alu instid0(VALU_DEP_1) | instskip(SKIP_1) | instid1(VALU_DEP_2)
	v_pk_fma_f32 v[76:77], v[34:35], v[32:33], v[36:37] op_sel_hi:[1,0,1]
	v_pk_fma_f32 v[32:33], v[34:35], v[32:33], v[36:37] neg_lo:[0,0,1] neg_hi:[0,0,1]
	v_mov_b32_e32 v33, v77
	s_delay_alu instid0(VALU_DEP_1)
	v_pk_add_f32 v[30:31], v[30:31], v[32:33] neg_lo:[0,1] neg_hi:[0,1]
.LBB64_354:                             ;   in Loop: Header=BB64_3 Depth=1
	s_or_b32 exec_lo, exec_lo, s6
	s_barrier_signal -1
	s_barrier_wait -1
	s_and_saveexec_b32 s6, s28
	s_cbranch_execz .LBB64_356
; %bb.355:                              ;   in Loop: Header=BB64_3 Depth=1
	ds_load_b64 v[32:33], v5 offset:18720
	s_wait_dscnt 0x0
	v_pk_mul_f32 v[34:35], v[30:31], v[32:33]
	v_pk_mul_f32 v[30:31], v[30:31], v[32:33] op_sel:[1,0] op_sel_hi:[0,1]
	s_delay_alu instid0(VALU_DEP_1) | instskip(NEXT) | instid1(VALU_DEP_3)
	v_dual_mov_b32 v32, v34 :: v_dual_mov_b32 v33, v30
	v_mov_b32_e32 v30, v35
	s_delay_alu instid0(VALU_DEP_1) | instskip(SKIP_1) | instid1(VALU_DEP_2)
	v_pk_add_f32 v[34:35], v[32:33], v[30:31]
	v_pk_add_f32 v[30:31], v[32:33], v[30:31] neg_lo:[0,1] neg_hi:[0,1]
	v_mov_b32_e32 v31, v35
	s_delay_alu instid0(VALU_DEP_1)
	v_pk_add_f32 v[32:33], v[30:31], 0 neg_lo:[1,1] neg_hi:[1,1]
	ds_store_b64 v51, v[32:33]
.LBB64_356:                             ;   in Loop: Header=BB64_3 Depth=1
	s_or_b32 exec_lo, exec_lo, s6
	s_wait_dscnt 0x0
	s_barrier_signal -1
	s_barrier_wait -1
	s_and_saveexec_b32 s6, s30
	s_cbranch_execz .LBB64_358
; %bb.357:                              ;   in Loop: Header=BB64_3 Depth=1
	ds_load_b64 v[32:33], v52 offset:18688
	ds_load_b64 v[34:35], v51
	s_wait_dscnt 0x0
	v_dual_mul_f32 v36, v35, v33 :: v_dual_mul_f32 v33, v34, v33
	s_delay_alu instid0(VALU_DEP_1) | instskip(NEXT) | instid1(VALU_DEP_1)
	v_dual_fma_f32 v34, v34, v32, -v36 :: v_dual_fmac_f32 v33, v35, v32
	v_dual_sub_f32 v30, v30, v34 :: v_dual_sub_f32 v31, v31, v33
.LBB64_358:                             ;   in Loop: Header=BB64_3 Depth=1
	s_or_b32 exec_lo, exec_lo, s6
	s_barrier_signal -1
	s_barrier_wait -1
	s_and_saveexec_b32 s6, s33
	s_cbranch_execz .LBB64_360
; %bb.359:                              ;   in Loop: Header=BB64_3 Depth=1
	ds_load_b64 v[32:33], v5 offset:18200
	s_wait_dscnt 0x0
	v_dual_mul_f32 v34, v31, v32 :: v_dual_mul_f32 v36, v31, v33
	s_delay_alu instid0(VALU_DEP_1) | instskip(NEXT) | instid1(VALU_DEP_2)
	v_pk_fma_f32 v[34:35], v[30:31], v[32:33], v[34:35] op_sel:[1,0,0] op_sel_hi:[0,1,0]
	v_pk_fma_f32 v[30:31], v[30:31], v[32:33], v[36:37] op_sel_hi:[1,1,0] neg_lo:[0,0,1] neg_hi:[0,0,1]
	s_delay_alu instid0(VALU_DEP_2) | instskip(NEXT) | instid1(VALU_DEP_1)
	v_mov_b32_e32 v31, v35
	v_pk_add_f32 v[32:33], v[30:31], 0 neg_lo:[1,1] neg_hi:[1,1]
	ds_store_b64 v51, v[32:33]
.LBB64_360:                             ;   in Loop: Header=BB64_3 Depth=1
	s_or_b32 exec_lo, exec_lo, s6
	s_wait_dscnt 0x0
	s_barrier_signal -1
	s_barrier_wait -1
	s_and_saveexec_b32 s6, s45
	s_cbranch_execz .LBB64_362
; %bb.361:                              ;   in Loop: Header=BB64_3 Depth=1
	ds_load_b64 v[32:33], v52 offset:18176
	ds_load_b64 v[34:35], v51
	s_wait_dscnt 0x0
	v_pk_mul_f32 v[36:37], v[34:35], v[32:33] op_sel:[1,1] op_sel_hi:[0,1]
	s_delay_alu instid0(VALU_DEP_1) | instskip(SKIP_1) | instid1(VALU_DEP_2)
	v_pk_fma_f32 v[76:77], v[34:35], v[32:33], v[36:37] op_sel_hi:[1,0,1]
	v_pk_fma_f32 v[32:33], v[34:35], v[32:33], v[36:37] neg_lo:[0,0,1] neg_hi:[0,0,1]
	v_mov_b32_e32 v33, v77
	s_delay_alu instid0(VALU_DEP_1)
	v_pk_add_f32 v[30:31], v[30:31], v[32:33] neg_lo:[0,1] neg_hi:[0,1]
.LBB64_362:                             ;   in Loop: Header=BB64_3 Depth=1
	s_or_b32 exec_lo, exec_lo, s6
	s_barrier_signal -1
	s_barrier_wait -1
	s_and_saveexec_b32 s6, s78
	s_cbranch_execz .LBB64_364
; %bb.363:                              ;   in Loop: Header=BB64_3 Depth=1
	ds_load_b64 v[32:33], v5 offset:17680
	s_wait_dscnt 0x0
	v_pk_mul_f32 v[34:35], v[30:31], v[32:33] op_sel:[1,1] op_sel_hi:[1,0]
	s_delay_alu instid0(VALU_DEP_1) | instskip(SKIP_1) | instid1(VALU_DEP_2)
	v_pk_fma_f32 v[36:37], v[30:31], v[32:33], v[34:35] op_sel_hi:[0,1,1]
	v_pk_fma_f32 v[30:31], v[30:31], v[32:33], v[34:35] neg_lo:[0,0,1] neg_hi:[0,0,1]
	v_mov_b32_e32 v31, v37
	s_delay_alu instid0(VALU_DEP_1)
	v_pk_add_f32 v[32:33], v[30:31], 0 neg_lo:[1,1] neg_hi:[1,1]
	ds_store_b64 v51, v[32:33]
.LBB64_364:                             ;   in Loop: Header=BB64_3 Depth=1
	s_or_b32 exec_lo, exec_lo, s6
	s_wait_dscnt 0x0
	s_barrier_signal -1
	s_barrier_wait -1
	s_and_saveexec_b32 s6, s79
	s_cbranch_execz .LBB64_366
; %bb.365:                              ;   in Loop: Header=BB64_3 Depth=1
	ds_load_b64 v[32:33], v52 offset:17664
	ds_load_b64 v[34:35], v51
	s_wait_dscnt 0x0
	v_pk_mul_f32 v[36:37], v[34:35], v[32:33] op_sel:[1,1] op_sel_hi:[0,1]
	s_delay_alu instid0(VALU_DEP_1) | instskip(SKIP_1) | instid1(VALU_DEP_2)
	v_pk_fma_f32 v[76:77], v[34:35], v[32:33], v[36:37] op_sel_hi:[1,0,1]
	v_pk_fma_f32 v[32:33], v[34:35], v[32:33], v[36:37] neg_lo:[0,0,1] neg_hi:[0,0,1]
	v_mov_b32_e32 v33, v77
	s_delay_alu instid0(VALU_DEP_1)
	v_pk_add_f32 v[30:31], v[30:31], v[32:33] neg_lo:[0,1] neg_hi:[0,1]
.LBB64_366:                             ;   in Loop: Header=BB64_3 Depth=1
	s_or_b32 exec_lo, exec_lo, s6
	s_barrier_signal -1
	s_barrier_wait -1
	s_and_saveexec_b32 s6, s76
	s_cbranch_execz .LBB64_368
; %bb.367:                              ;   in Loop: Header=BB64_3 Depth=1
	ds_load_b64 v[32:33], v5 offset:17160
	s_wait_dscnt 0x0
	v_pk_mul_f32 v[34:35], v[30:31], v[32:33] op_sel:[1,1] op_sel_hi:[1,0]
	s_delay_alu instid0(VALU_DEP_1) | instskip(SKIP_1) | instid1(VALU_DEP_2)
	v_pk_fma_f32 v[36:37], v[30:31], v[32:33], v[34:35] op_sel_hi:[0,1,1]
	v_pk_fma_f32 v[30:31], v[30:31], v[32:33], v[34:35] neg_lo:[0,0,1] neg_hi:[0,0,1]
	v_mov_b32_e32 v31, v37
	s_delay_alu instid0(VALU_DEP_1)
	v_pk_add_f32 v[32:33], v[30:31], 0 neg_lo:[1,1] neg_hi:[1,1]
	ds_store_b64 v51, v[32:33]
.LBB64_368:                             ;   in Loop: Header=BB64_3 Depth=1
	;; [unrolled: 35-line block ×3, first 2 shown]
	s_or_b32 exec_lo, exec_lo, s6
	s_wait_dscnt 0x0
	s_barrier_signal -1
	s_barrier_wait -1
	s_barrier_signal -1
	s_barrier_wait -1
	s_and_saveexec_b32 s6, s3
; %bb.373:                              ;   in Loop: Header=BB64_3 Depth=1
	ds_store_b64 v55, v[30:31] offset:32512
; %bb.374:                              ;   in Loop: Header=BB64_3 Depth=1
	s_or_b32 exec_lo, exec_lo, s6
	s_wait_dscnt 0x0
	s_barrier_signal -1
	s_barrier_wait -1
	s_barrier_signal -1
	s_barrier_wait -1
	s_and_saveexec_b32 s6, s14
	s_cbranch_execz .LBB64_376
; %bb.375:                              ;   in Loop: Header=BB64_3 Depth=1
	v_add_nc_u32_e64 v30, 0x170, 0
	ds_load_b64 v[34:35], v5 offset:24440
	ds_load_2addr_stride64_b64 v[30:33], v30 offset0:46 offset1:47
	s_wait_dscnt 0x0
	v_dual_mul_f32 v37, v35, v31 :: v_dual_mul_f32 v36, v34, v31
	s_delay_alu instid0(VALU_DEP_1) | instskip(NEXT) | instid1(VALU_DEP_2)
	v_xor_b32_e32 v76, 0x80000000, v37
	v_fmac_f32_e32 v36, v35, v30
	s_delay_alu instid0(VALU_DEP_2) | instskip(NEXT) | instid1(VALU_DEP_2)
	v_fmac_f32_e32 v76, v34, v30
	v_pk_mul_f32 v[30:31], v[36:37], v[32:33] op_sel:[0,1] op_sel_hi:[0,0]
	s_delay_alu instid0(VALU_DEP_1) | instskip(SKIP_1) | instid1(VALU_DEP_2)
	v_pk_fma_f32 v[34:35], v[76:77], v[32:33], v[30:31] op_sel_hi:[0,1,1]
	v_pk_fma_f32 v[30:31], v[76:77], v[32:33], v[30:31] neg_lo:[0,0,1] neg_hi:[0,0,1]
	v_mov_b32_e32 v31, v35
	ds_store_b64 v5, v[30:31] offset:24432
.LBB64_376:                             ;   in Loop: Header=BB64_3 Depth=1
	s_or_b32 exec_lo, exec_lo, s6
	v_dual_mov_b32 v30, 0 :: v_dual_mov_b32 v31, 0
	s_wait_dscnt 0x0
	s_barrier_signal -1
	s_barrier_wait -1
	global_wb scope:SCOPE_DEV
	s_wait_storecnt 0x0
	global_inv scope:SCOPE_DEV
	s_and_saveexec_b32 s9, s0
	s_cbranch_execz .LBB64_380
; %bb.377:                              ;   in Loop: Header=BB64_3 Depth=1
	ds_load_b64 v[30:31], v39 offset:23904
	ds_load_b64 v[32:33], v40 offset:24432
	s_wait_dscnt 0x0
	v_pk_mul_f32 v[34:35], v[32:33], v[30:31] op_sel:[1,1] op_sel_hi:[0,1]
	s_delay_alu instid0(VALU_DEP_1) | instskip(SKIP_1) | instid1(VALU_DEP_2)
	v_pk_fma_f32 v[36:37], v[32:33], v[30:31], v[34:35] op_sel_hi:[1,0,1]
	v_pk_fma_f32 v[30:31], v[32:33], v[30:31], v[34:35] neg_lo:[0,0,1] neg_hi:[0,0,1]
	v_mov_b32_e32 v31, v37
	s_delay_alu instid0(VALU_DEP_1)
	v_pk_add_f32 v[30:31], v[30:31], 0 op_sel_hi:[1,0]
	s_and_saveexec_b32 s6, s15
	s_cbranch_execz .LBB64_379
; %bb.378:                              ;   in Loop: Header=BB64_3 Depth=1
	ds_load_b64 v[32:33], v41 offset:24416
	ds_load_b64 v[34:35], v5 offset:24440
	s_wait_dscnt 0x0
	v_pk_mul_f32 v[36:37], v[34:35], v[32:33] op_sel:[1,1] op_sel_hi:[0,1]
	s_delay_alu instid0(VALU_DEP_1) | instskip(SKIP_1) | instid1(VALU_DEP_2)
	v_pk_fma_f32 v[76:77], v[34:35], v[32:33], v[36:37] op_sel_hi:[1,0,1]
	v_pk_fma_f32 v[32:33], v[34:35], v[32:33], v[36:37] neg_lo:[0,0,1] neg_hi:[0,0,1]
	v_mov_b32_e32 v33, v77
	s_delay_alu instid0(VALU_DEP_1)
	v_pk_add_f32 v[30:31], v[30:31], v[32:33]
.LBB64_379:                             ;   in Loop: Header=BB64_3 Depth=1
	s_or_b32 exec_lo, exec_lo, s6
.LBB64_380:                             ;   in Loop: Header=BB64_3 Depth=1
	s_delay_alu instid0(SALU_CYCLE_1)
	s_or_b32 exec_lo, exec_lo, s9
	s_and_saveexec_b32 s6, s47
	s_cbranch_execz .LBB64_382
; %bb.381:                              ;   in Loop: Header=BB64_3 Depth=1
	ds_load_b64 v[32:33], v5 offset:23400
	s_wait_dscnt 0x0
	v_pk_mul_f32 v[34:35], v[30:31], v[32:33] op_sel:[1,1] op_sel_hi:[1,0]
	s_delay_alu instid0(VALU_DEP_1) | instskip(SKIP_1) | instid1(VALU_DEP_2)
	v_pk_fma_f32 v[36:37], v[30:31], v[32:33], v[34:35] op_sel_hi:[0,1,1]
	v_pk_fma_f32 v[30:31], v[30:31], v[32:33], v[34:35] neg_lo:[0,0,1] neg_hi:[0,0,1]
	v_mov_b32_e32 v31, v37
	s_delay_alu instid0(VALU_DEP_1)
	v_pk_add_f32 v[32:33], v[30:31], 0 neg_lo:[1,1] neg_hi:[1,1]
	ds_store_b64 v3, v[32:33]
.LBB64_382:                             ;   in Loop: Header=BB64_3 Depth=1
	s_or_b32 exec_lo, exec_lo, s6
	s_wait_loadcnt_dscnt 0x0
	s_barrier_signal -1
	s_barrier_wait -1
	s_and_saveexec_b32 s6, s48
	s_cbranch_execz .LBB64_384
; %bb.383:                              ;   in Loop: Header=BB64_3 Depth=1
	ds_load_b64 v[32:33], v5 offset:23392
	ds_load_b64 v[34:35], v3
	s_wait_dscnt 0x0
	v_pk_mul_f32 v[36:37], v[34:35], v[32:33] op_sel:[1,1] op_sel_hi:[0,1]
	s_delay_alu instid0(VALU_DEP_1) | instskip(SKIP_1) | instid1(VALU_DEP_2)
	v_pk_fma_f32 v[76:77], v[34:35], v[32:33], v[36:37] op_sel_hi:[1,0,1]
	v_pk_fma_f32 v[32:33], v[34:35], v[32:33], v[36:37] neg_lo:[0,0,1] neg_hi:[0,0,1]
	v_mov_b32_e32 v33, v77
	s_delay_alu instid0(VALU_DEP_1)
	v_pk_add_f32 v[30:31], v[30:31], v[32:33] neg_lo:[0,1] neg_hi:[0,1]
.LBB64_384:                             ;   in Loop: Header=BB64_3 Depth=1
	s_or_b32 exec_lo, exec_lo, s6
	s_barrier_signal -1
	s_barrier_wait -1
	s_and_saveexec_b32 s6, s48
	s_cbranch_execz .LBB64_386
; %bb.385:                              ;   in Loop: Header=BB64_3 Depth=1
	ds_load_b64 v[32:33], v5 offset:22880
	s_wait_dscnt 0x0
	v_pk_mul_f32 v[34:35], v[30:31], v[32:33] op_sel:[1,1] op_sel_hi:[1,0]
	s_delay_alu instid0(VALU_DEP_1) | instskip(SKIP_1) | instid1(VALU_DEP_2)
	v_pk_fma_f32 v[36:37], v[30:31], v[32:33], v[34:35] op_sel_hi:[0,1,1]
	v_pk_fma_f32 v[30:31], v[30:31], v[32:33], v[34:35] neg_lo:[0,0,1] neg_hi:[0,0,1]
	v_mov_b32_e32 v31, v37
	s_delay_alu instid0(VALU_DEP_1)
	v_pk_add_f32 v[32:33], v[30:31], 0 neg_lo:[1,1] neg_hi:[1,1]
	ds_store_b64 v3, v[32:33]
.LBB64_386:                             ;   in Loop: Header=BB64_3 Depth=1
	s_or_b32 exec_lo, exec_lo, s6
	s_wait_dscnt 0x0
	s_barrier_signal -1
	s_barrier_wait -1
	s_barrier_signal -1
	s_barrier_wait -1
	s_and_saveexec_b32 s6, s0
; %bb.387:                              ;   in Loop: Header=BB64_3 Depth=1
	ds_store_b64 v42, v[30:31] offset:24416
; %bb.388:                              ;   in Loop: Header=BB64_3 Depth=1
	s_or_b32 exec_lo, exec_lo, s6
	s_wait_dscnt 0x0
	s_barrier_signal -1
	s_barrier_wait -1
	s_barrier_signal -1
	s_barrier_wait -1
	s_and_saveexec_b32 s6, s14
	s_cbranch_execz .LBB64_390
; %bb.389:                              ;   in Loop: Header=BB64_3 Depth=1
	v_add_nc_u32_e64 v30, 0x160, 0
	ds_load_b64 v[34:35], v5 offset:23400
	ds_load_2addr_stride64_b64 v[30:33], v30 offset0:44 offset1:45
	s_wait_dscnt 0x0
	v_dual_mul_f32 v37, v35, v31 :: v_dual_mul_f32 v36, v34, v31
	s_delay_alu instid0(VALU_DEP_1) | instskip(NEXT) | instid1(VALU_DEP_2)
	v_xor_b32_e32 v76, 0x80000000, v37
	v_fmac_f32_e32 v36, v35, v30
	s_delay_alu instid0(VALU_DEP_2) | instskip(NEXT) | instid1(VALU_DEP_2)
	v_fmac_f32_e32 v76, v34, v30
	v_pk_mul_f32 v[30:31], v[36:37], v[32:33] op_sel:[0,1] op_sel_hi:[0,0]
	s_delay_alu instid0(VALU_DEP_1) | instskip(SKIP_1) | instid1(VALU_DEP_2)
	v_pk_fma_f32 v[34:35], v[76:77], v[32:33], v[30:31] op_sel_hi:[0,1,1]
	v_pk_fma_f32 v[30:31], v[76:77], v[32:33], v[30:31] neg_lo:[0,0,1] neg_hi:[0,0,1]
	v_mov_b32_e32 v31, v35
	ds_store_b64 v5, v[30:31] offset:23392
.LBB64_390:                             ;   in Loop: Header=BB64_3 Depth=1
	s_or_b32 exec_lo, exec_lo, s6
	v_mov_b64_e32 v[30:31], 0
	s_wait_dscnt 0x0
	s_barrier_signal -1
	s_barrier_wait -1
	global_wb scope:SCOPE_DEV
	s_wait_storecnt 0x0
	global_inv scope:SCOPE_DEV
	s_and_saveexec_b32 s100, s1
	s_cbranch_execz .LBB64_396
; %bb.391:                              ;   in Loop: Header=BB64_3 Depth=1
	ds_load_b64 v[30:31], v44 offset:22848
	ds_load_b64 v[32:33], v45 offset:24416
	s_wait_dscnt 0x0
	v_dual_mul_f32 v34, v33, v31 :: v_dual_mul_f32 v31, v32, v31
	s_delay_alu instid0(VALU_DEP_1) | instskip(NEXT) | instid1(VALU_DEP_1)
	v_dual_fma_f32 v32, v32, v30, -v34 :: v_dual_fmac_f32 v31, v33, v30
	v_dual_add_f32 v30, 0, v32 :: v_dual_add_f32 v31, 0, v31
	s_and_saveexec_b32 s6, s16
	s_cbranch_execnz .LBB64_1062
; %bb.392:                              ;   in Loop: Header=BB64_3 Depth=1
	s_or_b32 exec_lo, exec_lo, s6
	s_and_saveexec_b32 s6, s17
	s_cbranch_execnz .LBB64_1063
.LBB64_393:                             ;   in Loop: Header=BB64_3 Depth=1
	s_or_b32 exec_lo, exec_lo, s6
	s_and_saveexec_b32 s6, s0
	s_cbranch_execz .LBB64_395
.LBB64_394:                             ;   in Loop: Header=BB64_3 Depth=1
	ds_load_b64 v[32:33], v41 offset:24384
	ds_load_b64 v[34:35], v5 offset:24440
	s_wait_dscnt 0x0
	v_dual_mul_f32 v36, v35, v33 :: v_dual_mul_f32 v33, v34, v33
	s_delay_alu instid0(VALU_DEP_1) | instskip(NEXT) | instid1(VALU_DEP_1)
	v_dual_fma_f32 v34, v34, v32, -v36 :: v_dual_fmac_f32 v33, v35, v32
	v_dual_add_f32 v30, v30, v34 :: v_dual_add_f32 v31, v31, v33
.LBB64_395:                             ;   in Loop: Header=BB64_3 Depth=1
	s_or_b32 exec_lo, exec_lo, s6
.LBB64_396:                             ;   in Loop: Header=BB64_3 Depth=1
	s_delay_alu instid0(SALU_CYCLE_1)
	s_or_b32 exec_lo, exec_lo, s100
	s_and_saveexec_b32 s6, s49
	s_cbranch_execz .LBB64_398
; %bb.397:                              ;   in Loop: Header=BB64_3 Depth=1
	ds_load_b64 v[32:33], v5 offset:22360
	s_wait_dscnt 0x0
	v_dual_mul_f32 v34, v31, v32 :: v_dual_mul_f32 v36, v31, v33
	s_delay_alu instid0(VALU_DEP_1) | instskip(NEXT) | instid1(VALU_DEP_2)
	v_pk_fma_f32 v[34:35], v[30:31], v[32:33], v[34:35] op_sel:[1,0,0] op_sel_hi:[0,1,0]
	v_pk_fma_f32 v[30:31], v[30:31], v[32:33], v[36:37] op_sel_hi:[1,1,0] neg_lo:[0,0,1] neg_hi:[0,0,1]
	s_delay_alu instid0(VALU_DEP_2) | instskip(NEXT) | instid1(VALU_DEP_1)
	v_mov_b32_e32 v31, v35
	v_pk_add_f32 v[32:33], v[30:31], 0 neg_lo:[1,1] neg_hi:[1,1]
	ds_store_b64 v43, v[32:33]
.LBB64_398:                             ;   in Loop: Header=BB64_3 Depth=1
	s_or_b32 exec_lo, exec_lo, s6
	s_wait_loadcnt_dscnt 0x0
	s_barrier_signal -1
	s_barrier_wait -1
	s_and_saveexec_b32 s6, s50
	s_cbranch_execz .LBB64_400
; %bb.399:                              ;   in Loop: Header=BB64_3 Depth=1
	ds_load_b64 v[32:33], v44 offset:22336
	ds_load_b64 v[34:35], v43
	s_wait_dscnt 0x0
	v_pk_mul_f32 v[36:37], v[34:35], v[32:33] op_sel:[1,1] op_sel_hi:[0,1]
	s_delay_alu instid0(VALU_DEP_1) | instskip(SKIP_1) | instid1(VALU_DEP_2)
	v_pk_fma_f32 v[76:77], v[34:35], v[32:33], v[36:37] op_sel_hi:[1,0,1]
	v_pk_fma_f32 v[32:33], v[34:35], v[32:33], v[36:37] neg_lo:[0,0,1] neg_hi:[0,0,1]
	v_mov_b32_e32 v33, v77
	s_delay_alu instid0(VALU_DEP_1)
	v_pk_add_f32 v[30:31], v[30:31], v[32:33] neg_lo:[0,1] neg_hi:[0,1]
.LBB64_400:                             ;   in Loop: Header=BB64_3 Depth=1
	s_or_b32 exec_lo, exec_lo, s6
	s_barrier_signal -1
	s_barrier_wait -1
	s_and_saveexec_b32 s6, s51
	s_cbranch_execz .LBB64_402
; %bb.401:                              ;   in Loop: Header=BB64_3 Depth=1
	ds_load_b64 v[32:33], v5 offset:21840
	s_wait_dscnt 0x0
	v_pk_mul_f32 v[34:35], v[30:31], v[32:33] op_sel:[1,1] op_sel_hi:[1,0]
	s_delay_alu instid0(VALU_DEP_1) | instskip(SKIP_1) | instid1(VALU_DEP_2)
	v_pk_fma_f32 v[36:37], v[30:31], v[32:33], v[34:35] op_sel_hi:[0,1,1]
	v_pk_fma_f32 v[30:31], v[30:31], v[32:33], v[34:35] neg_lo:[0,0,1] neg_hi:[0,0,1]
	v_mov_b32_e32 v31, v37
	s_delay_alu instid0(VALU_DEP_1)
	v_pk_add_f32 v[32:33], v[30:31], 0 neg_lo:[1,1] neg_hi:[1,1]
	ds_store_b64 v43, v[32:33]
.LBB64_402:                             ;   in Loop: Header=BB64_3 Depth=1
	s_or_b32 exec_lo, exec_lo, s6
	s_wait_dscnt 0x0
	s_barrier_signal -1
	s_barrier_wait -1
	s_and_saveexec_b32 s6, s52
	s_cbranch_execz .LBB64_404
; %bb.403:                              ;   in Loop: Header=BB64_3 Depth=1
	ds_load_b64 v[32:33], v44 offset:21824
	ds_load_b64 v[34:35], v43
	s_wait_dscnt 0x0
	v_pk_mul_f32 v[36:37], v[34:35], v[32:33] op_sel:[1,1] op_sel_hi:[0,1]
	s_delay_alu instid0(VALU_DEP_1) | instskip(SKIP_1) | instid1(VALU_DEP_2)
	v_pk_fma_f32 v[76:77], v[34:35], v[32:33], v[36:37] op_sel_hi:[1,0,1]
	v_pk_fma_f32 v[32:33], v[34:35], v[32:33], v[36:37] neg_lo:[0,0,1] neg_hi:[0,0,1]
	v_mov_b32_e32 v33, v77
	s_delay_alu instid0(VALU_DEP_1)
	v_pk_add_f32 v[30:31], v[30:31], v[32:33] neg_lo:[0,1] neg_hi:[0,1]
.LBB64_404:                             ;   in Loop: Header=BB64_3 Depth=1
	s_or_b32 exec_lo, exec_lo, s6
	s_barrier_signal -1
	s_barrier_wait -1
	s_and_saveexec_b32 s6, s53
	s_cbranch_execz .LBB64_406
; %bb.405:                              ;   in Loop: Header=BB64_3 Depth=1
	ds_load_b64 v[32:33], v5 offset:21320
	s_wait_dscnt 0x0
	v_pk_mul_f32 v[34:35], v[30:31], v[32:33] op_sel:[1,1] op_sel_hi:[1,0]
	s_delay_alu instid0(VALU_DEP_1) | instskip(SKIP_1) | instid1(VALU_DEP_2)
	v_pk_fma_f32 v[36:37], v[30:31], v[32:33], v[34:35] op_sel_hi:[0,1,1]
	v_pk_fma_f32 v[30:31], v[30:31], v[32:33], v[34:35] neg_lo:[0,0,1] neg_hi:[0,0,1]
	v_mov_b32_e32 v31, v37
	s_delay_alu instid0(VALU_DEP_1)
	v_pk_add_f32 v[32:33], v[30:31], 0 neg_lo:[1,1] neg_hi:[1,1]
	ds_store_b64 v43, v[32:33]
.LBB64_406:                             ;   in Loop: Header=BB64_3 Depth=1
	s_or_b32 exec_lo, exec_lo, s6
	s_wait_dscnt 0x0
	;; [unrolled: 35-line block ×3, first 2 shown]
	s_barrier_signal -1
	s_barrier_wait -1
	s_barrier_signal -1
	s_barrier_wait -1
	s_and_saveexec_b32 s6, s1
; %bb.411:                              ;   in Loop: Header=BB64_3 Depth=1
	ds_store_b64 v46, v[30:31] offset:24384
; %bb.412:                              ;   in Loop: Header=BB64_3 Depth=1
	s_or_b32 exec_lo, exec_lo, s6
	s_wait_dscnt 0x0
	s_barrier_signal -1
	s_barrier_wait -1
	s_barrier_signal -1
	s_barrier_wait -1
	s_and_saveexec_b32 s6, s14
	s_cbranch_execz .LBB64_414
; %bb.413:                              ;   in Loop: Header=BB64_3 Depth=1
	v_add_nc_u32_e64 v30, 0x150, 0
	ds_load_b64 v[34:35], v5 offset:22360
	ds_load_2addr_stride64_b64 v[30:33], v30 offset0:42 offset1:43
	s_wait_dscnt 0x0
	v_dual_mul_f32 v37, v35, v31 :: v_dual_mul_f32 v36, v34, v31
	s_delay_alu instid0(VALU_DEP_1) | instskip(NEXT) | instid1(VALU_DEP_2)
	v_xor_b32_e32 v76, 0x80000000, v37
	v_fmac_f32_e32 v36, v35, v30
	s_delay_alu instid0(VALU_DEP_2) | instskip(NEXT) | instid1(VALU_DEP_2)
	v_fmac_f32_e32 v76, v34, v30
	v_pk_mul_f32 v[30:31], v[36:37], v[32:33] op_sel:[0,1] op_sel_hi:[0,0]
	s_delay_alu instid0(VALU_DEP_1) | instskip(SKIP_1) | instid1(VALU_DEP_2)
	v_pk_fma_f32 v[34:35], v[76:77], v[32:33], v[30:31] op_sel_hi:[0,1,1]
	v_pk_fma_f32 v[30:31], v[76:77], v[32:33], v[30:31] neg_lo:[0,0,1] neg_hi:[0,0,1]
	v_mov_b32_e32 v31, v35
	ds_store_b64 v5, v[30:31] offset:22352
.LBB64_414:                             ;   in Loop: Header=BB64_3 Depth=1
	s_or_b32 exec_lo, exec_lo, s6
	v_dual_mov_b32 v30, 0 :: v_dual_mov_b32 v31, 0
	s_wait_dscnt 0x0
	s_barrier_signal -1
	s_barrier_wait -1
	global_wb scope:SCOPE_DEV
	s_wait_storecnt 0x0
	global_inv scope:SCOPE_DEV
	s_and_saveexec_b32 s9, s0
	s_cbranch_execz .LBB64_418
; %bb.415:                              ;   in Loop: Header=BB64_3 Depth=1
	ds_load_b64 v[30:31], v39 offset:21824
	ds_load_b64 v[32:33], v40 offset:22352
	s_wait_dscnt 0x0
	v_pk_mul_f32 v[34:35], v[32:33], v[30:31] op_sel:[1,1] op_sel_hi:[0,1]
	s_delay_alu instid0(VALU_DEP_1) | instskip(SKIP_1) | instid1(VALU_DEP_2)
	v_pk_fma_f32 v[36:37], v[32:33], v[30:31], v[34:35] op_sel_hi:[1,0,1]
	v_pk_fma_f32 v[30:31], v[32:33], v[30:31], v[34:35] neg_lo:[0,0,1] neg_hi:[0,0,1]
	v_mov_b32_e32 v31, v37
	s_delay_alu instid0(VALU_DEP_1)
	v_pk_add_f32 v[30:31], v[30:31], 0 op_sel_hi:[1,0]
	s_and_saveexec_b32 s6, s15
	s_cbranch_execz .LBB64_417
; %bb.416:                              ;   in Loop: Header=BB64_3 Depth=1
	ds_load_b64 v[32:33], v41 offset:22336
	ds_load_b64 v[34:35], v5 offset:22360
	s_wait_dscnt 0x0
	v_pk_mul_f32 v[36:37], v[34:35], v[32:33] op_sel:[1,1] op_sel_hi:[0,1]
	s_delay_alu instid0(VALU_DEP_1) | instskip(SKIP_1) | instid1(VALU_DEP_2)
	v_pk_fma_f32 v[76:77], v[34:35], v[32:33], v[36:37] op_sel_hi:[1,0,1]
	v_pk_fma_f32 v[32:33], v[34:35], v[32:33], v[36:37] neg_lo:[0,0,1] neg_hi:[0,0,1]
	v_mov_b32_e32 v33, v77
	s_delay_alu instid0(VALU_DEP_1)
	v_pk_add_f32 v[30:31], v[30:31], v[32:33]
.LBB64_417:                             ;   in Loop: Header=BB64_3 Depth=1
	s_or_b32 exec_lo, exec_lo, s6
.LBB64_418:                             ;   in Loop: Header=BB64_3 Depth=1
	s_delay_alu instid0(SALU_CYCLE_1)
	s_or_b32 exec_lo, exec_lo, s9
	s_and_saveexec_b32 s6, s47
	s_cbranch_execz .LBB64_420
; %bb.419:                              ;   in Loop: Header=BB64_3 Depth=1
	ds_load_b64 v[32:33], v5 offset:21320
	s_wait_dscnt 0x0
	v_pk_mul_f32 v[34:35], v[30:31], v[32:33] op_sel:[1,1] op_sel_hi:[1,0]
	s_delay_alu instid0(VALU_DEP_1) | instskip(SKIP_1) | instid1(VALU_DEP_2)
	v_pk_fma_f32 v[36:37], v[30:31], v[32:33], v[34:35] op_sel_hi:[0,1,1]
	v_pk_fma_f32 v[30:31], v[30:31], v[32:33], v[34:35] neg_lo:[0,0,1] neg_hi:[0,0,1]
	v_mov_b32_e32 v31, v37
	s_delay_alu instid0(VALU_DEP_1)
	v_pk_add_f32 v[32:33], v[30:31], 0 neg_lo:[1,1] neg_hi:[1,1]
	ds_store_b64 v3, v[32:33]
.LBB64_420:                             ;   in Loop: Header=BB64_3 Depth=1
	s_or_b32 exec_lo, exec_lo, s6
	s_wait_loadcnt_dscnt 0x0
	s_barrier_signal -1
	s_barrier_wait -1
	s_and_saveexec_b32 s6, s48
	s_cbranch_execz .LBB64_422
; %bb.421:                              ;   in Loop: Header=BB64_3 Depth=1
	ds_load_b64 v[32:33], v5 offset:21312
	ds_load_b64 v[34:35], v3
	s_wait_dscnt 0x0
	v_pk_mul_f32 v[36:37], v[34:35], v[32:33] op_sel:[1,1] op_sel_hi:[0,1]
	s_delay_alu instid0(VALU_DEP_1) | instskip(SKIP_1) | instid1(VALU_DEP_2)
	v_pk_fma_f32 v[76:77], v[34:35], v[32:33], v[36:37] op_sel_hi:[1,0,1]
	v_pk_fma_f32 v[32:33], v[34:35], v[32:33], v[36:37] neg_lo:[0,0,1] neg_hi:[0,0,1]
	v_mov_b32_e32 v33, v77
	s_delay_alu instid0(VALU_DEP_1)
	v_pk_add_f32 v[30:31], v[30:31], v[32:33] neg_lo:[0,1] neg_hi:[0,1]
.LBB64_422:                             ;   in Loop: Header=BB64_3 Depth=1
	s_or_b32 exec_lo, exec_lo, s6
	s_barrier_signal -1
	s_barrier_wait -1
	s_and_saveexec_b32 s6, s48
	s_cbranch_execz .LBB64_424
; %bb.423:                              ;   in Loop: Header=BB64_3 Depth=1
	ds_load_b64 v[32:33], v5 offset:20800
	s_wait_dscnt 0x0
	v_pk_mul_f32 v[34:35], v[30:31], v[32:33] op_sel:[1,1] op_sel_hi:[1,0]
	s_delay_alu instid0(VALU_DEP_1) | instskip(SKIP_1) | instid1(VALU_DEP_2)
	v_pk_fma_f32 v[36:37], v[30:31], v[32:33], v[34:35] op_sel_hi:[0,1,1]
	v_pk_fma_f32 v[30:31], v[30:31], v[32:33], v[34:35] neg_lo:[0,0,1] neg_hi:[0,0,1]
	v_mov_b32_e32 v31, v37
	s_delay_alu instid0(VALU_DEP_1)
	v_pk_add_f32 v[32:33], v[30:31], 0 neg_lo:[1,1] neg_hi:[1,1]
	ds_store_b64 v3, v[32:33]
.LBB64_424:                             ;   in Loop: Header=BB64_3 Depth=1
	s_or_b32 exec_lo, exec_lo, s6
	s_wait_dscnt 0x0
	s_barrier_signal -1
	s_barrier_wait -1
	s_barrier_signal -1
	s_barrier_wait -1
	s_and_saveexec_b32 s6, s0
; %bb.425:                              ;   in Loop: Header=BB64_3 Depth=1
	ds_store_b64 v42, v[30:31] offset:22336
; %bb.426:                              ;   in Loop: Header=BB64_3 Depth=1
	s_or_b32 exec_lo, exec_lo, s6
	s_wait_dscnt 0x0
	s_barrier_signal -1
	s_barrier_wait -1
	s_barrier_signal -1
	s_barrier_wait -1
	s_and_saveexec_b32 s6, s14
	s_cbranch_execz .LBB64_428
; %bb.427:                              ;   in Loop: Header=BB64_3 Depth=1
	v_add_nc_u32_e64 v30, 0x140, 0
	ds_load_b64 v[34:35], v5 offset:21320
	ds_load_2addr_stride64_b64 v[30:33], v30 offset0:40 offset1:41
	s_wait_dscnt 0x0
	v_dual_mul_f32 v37, v35, v31 :: v_dual_mul_f32 v36, v34, v31
	s_delay_alu instid0(VALU_DEP_1) | instskip(NEXT) | instid1(VALU_DEP_2)
	v_xor_b32_e32 v76, 0x80000000, v37
	v_fmac_f32_e32 v36, v35, v30
	s_delay_alu instid0(VALU_DEP_2) | instskip(NEXT) | instid1(VALU_DEP_2)
	v_fmac_f32_e32 v76, v34, v30
	v_pk_mul_f32 v[30:31], v[36:37], v[32:33] op_sel:[0,1] op_sel_hi:[0,0]
	s_delay_alu instid0(VALU_DEP_1) | instskip(SKIP_1) | instid1(VALU_DEP_2)
	v_pk_fma_f32 v[34:35], v[76:77], v[32:33], v[30:31] op_sel_hi:[0,1,1]
	v_pk_fma_f32 v[30:31], v[76:77], v[32:33], v[30:31] neg_lo:[0,0,1] neg_hi:[0,0,1]
	v_mov_b32_e32 v31, v35
	ds_store_b64 v5, v[30:31] offset:21312
.LBB64_428:                             ;   in Loop: Header=BB64_3 Depth=1
	s_or_b32 exec_lo, exec_lo, s6
	v_mov_b64_e32 v[30:31], 0
	s_wait_dscnt 0x0
	s_barrier_signal -1
	s_barrier_wait -1
	global_wb scope:SCOPE_DEV
	s_wait_storecnt 0x0
	global_inv scope:SCOPE_DEV
	s_and_saveexec_b32 s100, s2
	s_cbranch_execz .LBB64_438
; %bb.429:                              ;   in Loop: Header=BB64_3 Depth=1
	ds_load_b64 v[30:31], v48 offset:20736
	ds_load_b64 v[32:33], v49 offset:24384
	s_wait_dscnt 0x0
	v_dual_mul_f32 v34, v33, v31 :: v_dual_mul_f32 v31, v32, v31
	s_delay_alu instid0(VALU_DEP_1) | instskip(NEXT) | instid1(VALU_DEP_1)
	v_dual_fma_f32 v32, v32, v30, -v34 :: v_dual_fmac_f32 v31, v33, v30
	v_dual_add_f32 v30, 0, v32 :: v_dual_add_f32 v31, 0, v31
	s_and_saveexec_b32 s6, s18
	s_cbranch_execnz .LBB64_1064
; %bb.430:                              ;   in Loop: Header=BB64_3 Depth=1
	s_or_b32 exec_lo, exec_lo, s6
	s_and_saveexec_b32 s6, s19
	s_cbranch_execnz .LBB64_1065
.LBB64_431:                             ;   in Loop: Header=BB64_3 Depth=1
	s_or_b32 exec_lo, exec_lo, s6
	s_and_saveexec_b32 s6, s20
	s_cbranch_execnz .LBB64_1066
.LBB64_432:                             ;   in Loop: Header=BB64_3 Depth=1
	s_or_b32 exec_lo, exec_lo, s6
	s_and_saveexec_b32 s6, s21
	s_cbranch_execnz .LBB64_1067
.LBB64_433:                             ;   in Loop: Header=BB64_3 Depth=1
	s_or_b32 exec_lo, exec_lo, s6
	s_and_saveexec_b32 s6, s22
	s_cbranch_execnz .LBB64_1068
.LBB64_434:                             ;   in Loop: Header=BB64_3 Depth=1
	s_or_b32 exec_lo, exec_lo, s6
	s_and_saveexec_b32 s6, s1
	s_cbranch_execnz .LBB64_1069
.LBB64_435:                             ;   in Loop: Header=BB64_3 Depth=1
	s_or_b32 exec_lo, exec_lo, s6
	s_and_saveexec_b32 s6, s17
	s_cbranch_execz .LBB64_437
.LBB64_436:                             ;   in Loop: Header=BB64_3 Depth=1
	ds_load_b64 v[32:33], v41 offset:24320
	ds_load_b64 v[34:35], v5 offset:24440
	s_wait_dscnt 0x0
	v_dual_mul_f32 v36, v35, v33 :: v_dual_mul_f32 v37, v34, v33
	s_delay_alu instid0(VALU_DEP_1) | instskip(NEXT) | instid1(VALU_DEP_1)
	v_dual_fma_f32 v36, v34, v32, -v36 :: v_dual_fmac_f32 v37, v35, v32
	v_pk_add_f32 v[30:31], v[30:31], v[36:37]
.LBB64_437:                             ;   in Loop: Header=BB64_3 Depth=1
	s_or_b32 exec_lo, exec_lo, s6
.LBB64_438:                             ;   in Loop: Header=BB64_3 Depth=1
	s_delay_alu instid0(SALU_CYCLE_1)
	s_or_b32 exec_lo, exec_lo, s100
	s_and_saveexec_b32 s6, s55
	s_cbranch_execz .LBB64_440
; %bb.439:                              ;   in Loop: Header=BB64_3 Depth=1
	ds_load_b64 v[32:33], v5 offset:20280
	s_wait_dscnt 0x0
	v_pk_mul_f32 v[34:35], v[30:31], v[32:33] op_sel:[1,1] op_sel_hi:[1,0]
	s_delay_alu instid0(VALU_DEP_1) | instskip(SKIP_1) | instid1(VALU_DEP_2)
	v_pk_fma_f32 v[36:37], v[30:31], v[32:33], v[34:35] op_sel_hi:[0,1,1]
	v_pk_fma_f32 v[30:31], v[30:31], v[32:33], v[34:35] neg_lo:[0,0,1] neg_hi:[0,0,1]
	v_mov_b32_e32 v31, v37
	s_delay_alu instid0(VALU_DEP_1)
	v_pk_add_f32 v[32:33], v[30:31], 0 neg_lo:[1,1] neg_hi:[1,1]
	ds_store_b64 v47, v[32:33]
.LBB64_440:                             ;   in Loop: Header=BB64_3 Depth=1
	s_or_b32 exec_lo, exec_lo, s6
	s_wait_loadcnt_dscnt 0x0
	s_barrier_signal -1
	s_barrier_wait -1
	s_and_saveexec_b32 s6, s56
	s_cbranch_execz .LBB64_442
; %bb.441:                              ;   in Loop: Header=BB64_3 Depth=1
	ds_load_b64 v[32:33], v48 offset:20224
	ds_load_b64 v[34:35], v47
	s_wait_dscnt 0x0
	v_pk_mul_f32 v[36:37], v[34:35], v[32:33] op_sel:[1,1] op_sel_hi:[0,1]
	s_delay_alu instid0(VALU_DEP_1) | instskip(SKIP_1) | instid1(VALU_DEP_2)
	v_pk_fma_f32 v[76:77], v[34:35], v[32:33], v[36:37] op_sel_hi:[1,0,1]
	v_pk_fma_f32 v[32:33], v[34:35], v[32:33], v[36:37] neg_lo:[0,0,1] neg_hi:[0,0,1]
	v_mov_b32_e32 v33, v77
	s_delay_alu instid0(VALU_DEP_1)
	v_pk_add_f32 v[30:31], v[30:31], v[32:33] neg_lo:[0,1] neg_hi:[0,1]
.LBB64_442:                             ;   in Loop: Header=BB64_3 Depth=1
	s_or_b32 exec_lo, exec_lo, s6
	s_barrier_signal -1
	s_barrier_wait -1
	s_and_saveexec_b32 s6, s57
	s_cbranch_execz .LBB64_444
; %bb.443:                              ;   in Loop: Header=BB64_3 Depth=1
	ds_load_b64 v[32:33], v5 offset:19760
	s_wait_dscnt 0x0
	v_pk_mul_f32 v[34:35], v[30:31], v[32:33] op_sel:[1,1] op_sel_hi:[1,0]
	s_delay_alu instid0(VALU_DEP_1) | instskip(SKIP_1) | instid1(VALU_DEP_2)
	v_pk_fma_f32 v[36:37], v[30:31], v[32:33], v[34:35] op_sel_hi:[0,1,1]
	v_pk_fma_f32 v[30:31], v[30:31], v[32:33], v[34:35] neg_lo:[0,0,1] neg_hi:[0,0,1]
	v_mov_b32_e32 v31, v37
	s_delay_alu instid0(VALU_DEP_1)
	v_pk_add_f32 v[32:33], v[30:31], 0 neg_lo:[1,1] neg_hi:[1,1]
	ds_store_b64 v47, v[32:33]
.LBB64_444:                             ;   in Loop: Header=BB64_3 Depth=1
	s_or_b32 exec_lo, exec_lo, s6
	s_wait_dscnt 0x0
	s_barrier_signal -1
	s_barrier_wait -1
	s_and_saveexec_b32 s6, s58
	s_cbranch_execz .LBB64_446
; %bb.445:                              ;   in Loop: Header=BB64_3 Depth=1
	ds_load_b64 v[32:33], v48 offset:19712
	ds_load_b64 v[34:35], v47
	s_wait_dscnt 0x0
	v_pk_mul_f32 v[36:37], v[34:35], v[32:33] op_sel:[1,1] op_sel_hi:[0,1]
	s_delay_alu instid0(VALU_DEP_1) | instskip(SKIP_1) | instid1(VALU_DEP_2)
	v_pk_fma_f32 v[76:77], v[34:35], v[32:33], v[36:37] op_sel_hi:[1,0,1]
	v_pk_fma_f32 v[32:33], v[34:35], v[32:33], v[36:37] neg_lo:[0,0,1] neg_hi:[0,0,1]
	v_mov_b32_e32 v33, v77
	s_delay_alu instid0(VALU_DEP_1)
	v_pk_add_f32 v[30:31], v[30:31], v[32:33] neg_lo:[0,1] neg_hi:[0,1]
.LBB64_446:                             ;   in Loop: Header=BB64_3 Depth=1
	s_or_b32 exec_lo, exec_lo, s6
	s_barrier_signal -1
	s_barrier_wait -1
	s_and_saveexec_b32 s6, s59
	s_cbranch_execz .LBB64_448
; %bb.447:                              ;   in Loop: Header=BB64_3 Depth=1
	ds_load_b64 v[32:33], v5 offset:19240
	s_wait_dscnt 0x0
	v_pk_mul_f32 v[34:35], v[30:31], v[32:33] op_sel:[1,1] op_sel_hi:[1,0]
	s_delay_alu instid0(VALU_DEP_1) | instskip(SKIP_1) | instid1(VALU_DEP_2)
	v_pk_fma_f32 v[36:37], v[30:31], v[32:33], v[34:35] op_sel_hi:[0,1,1]
	v_pk_fma_f32 v[30:31], v[30:31], v[32:33], v[34:35] neg_lo:[0,0,1] neg_hi:[0,0,1]
	v_mov_b32_e32 v31, v37
	s_delay_alu instid0(VALU_DEP_1)
	v_pk_add_f32 v[32:33], v[30:31], 0 neg_lo:[1,1] neg_hi:[1,1]
	ds_store_b64 v47, v[32:33]
.LBB64_448:                             ;   in Loop: Header=BB64_3 Depth=1
	s_or_b32 exec_lo, exec_lo, s6
	s_wait_dscnt 0x0
	s_barrier_signal -1
	s_barrier_wait -1
	s_and_saveexec_b32 s6, s60
	s_cbranch_execz .LBB64_450
; %bb.449:                              ;   in Loop: Header=BB64_3 Depth=1
	ds_load_b64 v[32:33], v48 offset:19200
	ds_load_b64 v[34:35], v47
	s_wait_dscnt 0x0
	v_pk_mul_f32 v[36:37], v[34:35], v[32:33] op_sel:[1,1] op_sel_hi:[0,1]
	s_delay_alu instid0(VALU_DEP_1) | instskip(SKIP_1) | instid1(VALU_DEP_2)
	v_pk_fma_f32 v[76:77], v[34:35], v[32:33], v[36:37] op_sel_hi:[1,0,1]
	v_pk_fma_f32 v[32:33], v[34:35], v[32:33], v[36:37] neg_lo:[0,0,1] neg_hi:[0,0,1]
	v_mov_b32_e32 v33, v77
	s_delay_alu instid0(VALU_DEP_1)
	v_pk_add_f32 v[30:31], v[30:31], v[32:33] neg_lo:[0,1] neg_hi:[0,1]
.LBB64_450:                             ;   in Loop: Header=BB64_3 Depth=1
	s_or_b32 exec_lo, exec_lo, s6
	s_barrier_signal -1
	s_barrier_wait -1
	s_and_saveexec_b32 s6, s61
	s_cbranch_execz .LBB64_452
; %bb.451:                              ;   in Loop: Header=BB64_3 Depth=1
	ds_load_b64 v[32:33], v5 offset:18720
	s_wait_dscnt 0x0
	v_pk_mul_f32 v[34:35], v[30:31], v[32:33]
	v_pk_mul_f32 v[30:31], v[30:31], v[32:33] op_sel:[1,0] op_sel_hi:[0,1]
	s_delay_alu instid0(VALU_DEP_1) | instskip(NEXT) | instid1(VALU_DEP_3)
	v_dual_mov_b32 v32, v34 :: v_dual_mov_b32 v33, v30
	v_mov_b32_e32 v30, v35
	s_delay_alu instid0(VALU_DEP_1) | instskip(SKIP_1) | instid1(VALU_DEP_2)
	v_pk_add_f32 v[34:35], v[32:33], v[30:31]
	v_pk_add_f32 v[30:31], v[32:33], v[30:31] neg_lo:[0,1] neg_hi:[0,1]
	v_mov_b32_e32 v31, v35
	s_delay_alu instid0(VALU_DEP_1)
	v_pk_add_f32 v[32:33], v[30:31], 0 neg_lo:[1,1] neg_hi:[1,1]
	ds_store_b64 v47, v[32:33]
.LBB64_452:                             ;   in Loop: Header=BB64_3 Depth=1
	s_or_b32 exec_lo, exec_lo, s6
	s_wait_dscnt 0x0
	s_barrier_signal -1
	s_barrier_wait -1
	s_and_saveexec_b32 s6, s62
	s_cbranch_execz .LBB64_454
; %bb.453:                              ;   in Loop: Header=BB64_3 Depth=1
	ds_load_b64 v[32:33], v48 offset:18688
	ds_load_b64 v[34:35], v47
	s_wait_dscnt 0x0
	v_dual_mul_f32 v36, v35, v33 :: v_dual_mul_f32 v33, v34, v33
	s_delay_alu instid0(VALU_DEP_1) | instskip(NEXT) | instid1(VALU_DEP_1)
	v_dual_fma_f32 v34, v34, v32, -v36 :: v_dual_fmac_f32 v33, v35, v32
	v_dual_sub_f32 v30, v30, v34 :: v_dual_sub_f32 v31, v31, v33
.LBB64_454:                             ;   in Loop: Header=BB64_3 Depth=1
	s_or_b32 exec_lo, exec_lo, s6
	s_barrier_signal -1
	s_barrier_wait -1
	s_and_saveexec_b32 s6, s63
	s_cbranch_execz .LBB64_456
; %bb.455:                              ;   in Loop: Header=BB64_3 Depth=1
	ds_load_b64 v[32:33], v5 offset:18200
	s_wait_dscnt 0x0
	v_dual_mul_f32 v34, v31, v32 :: v_dual_mul_f32 v36, v31, v33
	s_delay_alu instid0(VALU_DEP_1) | instskip(NEXT) | instid1(VALU_DEP_2)
	v_pk_fma_f32 v[34:35], v[30:31], v[32:33], v[34:35] op_sel:[1,0,0] op_sel_hi:[0,1,0]
	v_pk_fma_f32 v[30:31], v[30:31], v[32:33], v[36:37] op_sel_hi:[1,1,0] neg_lo:[0,0,1] neg_hi:[0,0,1]
	s_delay_alu instid0(VALU_DEP_2) | instskip(NEXT) | instid1(VALU_DEP_1)
	v_mov_b32_e32 v31, v35
	v_pk_add_f32 v[32:33], v[30:31], 0 neg_lo:[1,1] neg_hi:[1,1]
	ds_store_b64 v47, v[32:33]
.LBB64_456:                             ;   in Loop: Header=BB64_3 Depth=1
	s_or_b32 exec_lo, exec_lo, s6
	s_wait_dscnt 0x0
	s_barrier_signal -1
	s_barrier_wait -1
	s_and_saveexec_b32 s6, s64
	s_cbranch_execz .LBB64_458
; %bb.457:                              ;   in Loop: Header=BB64_3 Depth=1
	ds_load_b64 v[32:33], v48 offset:18176
	ds_load_b64 v[34:35], v47
	s_wait_dscnt 0x0
	v_pk_mul_f32 v[36:37], v[34:35], v[32:33] op_sel:[1,1] op_sel_hi:[0,1]
	s_delay_alu instid0(VALU_DEP_1) | instskip(SKIP_1) | instid1(VALU_DEP_2)
	v_pk_fma_f32 v[76:77], v[34:35], v[32:33], v[36:37] op_sel_hi:[1,0,1]
	v_pk_fma_f32 v[32:33], v[34:35], v[32:33], v[36:37] neg_lo:[0,0,1] neg_hi:[0,0,1]
	v_mov_b32_e32 v33, v77
	s_delay_alu instid0(VALU_DEP_1)
	v_pk_add_f32 v[30:31], v[30:31], v[32:33] neg_lo:[0,1] neg_hi:[0,1]
.LBB64_458:                             ;   in Loop: Header=BB64_3 Depth=1
	s_or_b32 exec_lo, exec_lo, s6
	s_barrier_signal -1
	s_barrier_wait -1
	s_and_saveexec_b32 s6, s65
	s_cbranch_execz .LBB64_460
; %bb.459:                              ;   in Loop: Header=BB64_3 Depth=1
	ds_load_b64 v[32:33], v5 offset:17680
	s_wait_dscnt 0x0
	v_pk_mul_f32 v[34:35], v[30:31], v[32:33] op_sel:[1,1] op_sel_hi:[1,0]
	s_delay_alu instid0(VALU_DEP_1) | instskip(SKIP_1) | instid1(VALU_DEP_2)
	v_pk_fma_f32 v[36:37], v[30:31], v[32:33], v[34:35] op_sel_hi:[0,1,1]
	v_pk_fma_f32 v[30:31], v[30:31], v[32:33], v[34:35] neg_lo:[0,0,1] neg_hi:[0,0,1]
	v_mov_b32_e32 v31, v37
	s_delay_alu instid0(VALU_DEP_1)
	v_pk_add_f32 v[32:33], v[30:31], 0 neg_lo:[1,1] neg_hi:[1,1]
	ds_store_b64 v47, v[32:33]
.LBB64_460:                             ;   in Loop: Header=BB64_3 Depth=1
	s_or_b32 exec_lo, exec_lo, s6
	s_wait_dscnt 0x0
	s_barrier_signal -1
	s_barrier_wait -1
	s_and_saveexec_b32 s6, s66
	s_cbranch_execz .LBB64_462
; %bb.461:                              ;   in Loop: Header=BB64_3 Depth=1
	ds_load_b64 v[32:33], v48 offset:17664
	ds_load_b64 v[34:35], v47
	s_wait_dscnt 0x0
	v_pk_mul_f32 v[36:37], v[34:35], v[32:33] op_sel:[1,1] op_sel_hi:[0,1]
	s_delay_alu instid0(VALU_DEP_1) | instskip(SKIP_1) | instid1(VALU_DEP_2)
	v_pk_fma_f32 v[76:77], v[34:35], v[32:33], v[36:37] op_sel_hi:[1,0,1]
	v_pk_fma_f32 v[32:33], v[34:35], v[32:33], v[36:37] neg_lo:[0,0,1] neg_hi:[0,0,1]
	v_mov_b32_e32 v33, v77
	s_delay_alu instid0(VALU_DEP_1)
	v_pk_add_f32 v[30:31], v[30:31], v[32:33] neg_lo:[0,1] neg_hi:[0,1]
.LBB64_462:                             ;   in Loop: Header=BB64_3 Depth=1
	s_or_b32 exec_lo, exec_lo, s6
	s_barrier_signal -1
	s_barrier_wait -1
	s_and_saveexec_b32 s6, s67
	s_cbranch_execz .LBB64_464
; %bb.463:                              ;   in Loop: Header=BB64_3 Depth=1
	ds_load_b64 v[32:33], v5 offset:17160
	s_wait_dscnt 0x0
	v_pk_mul_f32 v[34:35], v[30:31], v[32:33] op_sel:[1,1] op_sel_hi:[1,0]
	s_delay_alu instid0(VALU_DEP_1) | instskip(SKIP_1) | instid1(VALU_DEP_2)
	v_pk_fma_f32 v[36:37], v[30:31], v[32:33], v[34:35] op_sel_hi:[0,1,1]
	v_pk_fma_f32 v[30:31], v[30:31], v[32:33], v[34:35] neg_lo:[0,0,1] neg_hi:[0,0,1]
	v_mov_b32_e32 v31, v37
	s_delay_alu instid0(VALU_DEP_1)
	v_pk_add_f32 v[32:33], v[30:31], 0 neg_lo:[1,1] neg_hi:[1,1]
	ds_store_b64 v47, v[32:33]
.LBB64_464:                             ;   in Loop: Header=BB64_3 Depth=1
	;; [unrolled: 35-line block ×3, first 2 shown]
	s_or_b32 exec_lo, exec_lo, s6
	s_wait_dscnt 0x0
	s_barrier_signal -1
	s_barrier_wait -1
	s_barrier_signal -1
	s_barrier_wait -1
	s_and_saveexec_b32 s6, s2
; %bb.469:                              ;   in Loop: Header=BB64_3 Depth=1
	ds_store_b64 v50, v[30:31] offset:24320
; %bb.470:                              ;   in Loop: Header=BB64_3 Depth=1
	s_or_b32 exec_lo, exec_lo, s6
	s_wait_dscnt 0x0
	s_barrier_signal -1
	s_barrier_wait -1
	s_barrier_signal -1
	s_barrier_wait -1
	s_and_saveexec_b32 s6, s14
	s_cbranch_execz .LBB64_472
; %bb.471:                              ;   in Loop: Header=BB64_3 Depth=1
	v_add_nc_u32_e64 v30, 0x130, 0
	ds_load_b64 v[34:35], v5 offset:20280
	ds_load_2addr_stride64_b64 v[30:33], v30 offset0:38 offset1:39
	s_wait_dscnt 0x0
	v_dual_mul_f32 v37, v35, v31 :: v_dual_mul_f32 v36, v34, v31
	s_delay_alu instid0(VALU_DEP_1) | instskip(NEXT) | instid1(VALU_DEP_2)
	v_xor_b32_e32 v76, 0x80000000, v37
	v_fmac_f32_e32 v36, v35, v30
	s_delay_alu instid0(VALU_DEP_2) | instskip(NEXT) | instid1(VALU_DEP_2)
	v_fmac_f32_e32 v76, v34, v30
	v_pk_mul_f32 v[30:31], v[36:37], v[32:33] op_sel:[0,1] op_sel_hi:[0,0]
	s_delay_alu instid0(VALU_DEP_1) | instskip(SKIP_1) | instid1(VALU_DEP_2)
	v_pk_fma_f32 v[34:35], v[76:77], v[32:33], v[30:31] op_sel_hi:[0,1,1]
	v_pk_fma_f32 v[30:31], v[76:77], v[32:33], v[30:31] neg_lo:[0,0,1] neg_hi:[0,0,1]
	v_mov_b32_e32 v31, v35
	ds_store_b64 v5, v[30:31] offset:20272
.LBB64_472:                             ;   in Loop: Header=BB64_3 Depth=1
	s_or_b32 exec_lo, exec_lo, s6
	v_dual_mov_b32 v30, 0 :: v_dual_mov_b32 v31, 0
	s_wait_dscnt 0x0
	s_barrier_signal -1
	s_barrier_wait -1
	global_wb scope:SCOPE_DEV
	s_wait_storecnt 0x0
	global_inv scope:SCOPE_DEV
	s_and_saveexec_b32 s9, s0
	s_cbranch_execz .LBB64_476
; %bb.473:                              ;   in Loop: Header=BB64_3 Depth=1
	ds_load_b64 v[30:31], v39 offset:19744
	ds_load_b64 v[32:33], v40 offset:20272
	s_wait_dscnt 0x0
	v_pk_mul_f32 v[34:35], v[32:33], v[30:31] op_sel:[1,1] op_sel_hi:[0,1]
	s_delay_alu instid0(VALU_DEP_1) | instskip(SKIP_1) | instid1(VALU_DEP_2)
	v_pk_fma_f32 v[36:37], v[32:33], v[30:31], v[34:35] op_sel_hi:[1,0,1]
	v_pk_fma_f32 v[30:31], v[32:33], v[30:31], v[34:35] neg_lo:[0,0,1] neg_hi:[0,0,1]
	v_mov_b32_e32 v31, v37
	s_delay_alu instid0(VALU_DEP_1)
	v_pk_add_f32 v[30:31], v[30:31], 0 op_sel_hi:[1,0]
	s_and_saveexec_b32 s6, s15
	s_cbranch_execz .LBB64_475
; %bb.474:                              ;   in Loop: Header=BB64_3 Depth=1
	ds_load_b64 v[32:33], v41 offset:20256
	ds_load_b64 v[34:35], v5 offset:20280
	s_wait_dscnt 0x0
	v_pk_mul_f32 v[36:37], v[34:35], v[32:33] op_sel:[1,1] op_sel_hi:[0,1]
	s_delay_alu instid0(VALU_DEP_1) | instskip(SKIP_1) | instid1(VALU_DEP_2)
	v_pk_fma_f32 v[76:77], v[34:35], v[32:33], v[36:37] op_sel_hi:[1,0,1]
	v_pk_fma_f32 v[32:33], v[34:35], v[32:33], v[36:37] neg_lo:[0,0,1] neg_hi:[0,0,1]
	v_mov_b32_e32 v33, v77
	s_delay_alu instid0(VALU_DEP_1)
	v_pk_add_f32 v[30:31], v[30:31], v[32:33]
.LBB64_475:                             ;   in Loop: Header=BB64_3 Depth=1
	s_or_b32 exec_lo, exec_lo, s6
.LBB64_476:                             ;   in Loop: Header=BB64_3 Depth=1
	s_delay_alu instid0(SALU_CYCLE_1)
	s_or_b32 exec_lo, exec_lo, s9
	s_and_saveexec_b32 s6, s47
	s_cbranch_execz .LBB64_478
; %bb.477:                              ;   in Loop: Header=BB64_3 Depth=1
	ds_load_b64 v[32:33], v5 offset:19240
	s_wait_dscnt 0x0
	v_pk_mul_f32 v[34:35], v[30:31], v[32:33] op_sel:[1,1] op_sel_hi:[1,0]
	s_delay_alu instid0(VALU_DEP_1) | instskip(SKIP_1) | instid1(VALU_DEP_2)
	v_pk_fma_f32 v[36:37], v[30:31], v[32:33], v[34:35] op_sel_hi:[0,1,1]
	v_pk_fma_f32 v[30:31], v[30:31], v[32:33], v[34:35] neg_lo:[0,0,1] neg_hi:[0,0,1]
	v_mov_b32_e32 v31, v37
	s_delay_alu instid0(VALU_DEP_1)
	v_pk_add_f32 v[32:33], v[30:31], 0 neg_lo:[1,1] neg_hi:[1,1]
	ds_store_b64 v3, v[32:33]
.LBB64_478:                             ;   in Loop: Header=BB64_3 Depth=1
	s_or_b32 exec_lo, exec_lo, s6
	s_wait_loadcnt_dscnt 0x0
	s_barrier_signal -1
	s_barrier_wait -1
	s_and_saveexec_b32 s6, s48
	s_cbranch_execz .LBB64_480
; %bb.479:                              ;   in Loop: Header=BB64_3 Depth=1
	ds_load_b64 v[32:33], v5 offset:19232
	ds_load_b64 v[34:35], v3
	s_wait_dscnt 0x0
	v_pk_mul_f32 v[36:37], v[34:35], v[32:33] op_sel:[1,1] op_sel_hi:[0,1]
	s_delay_alu instid0(VALU_DEP_1) | instskip(SKIP_1) | instid1(VALU_DEP_2)
	v_pk_fma_f32 v[76:77], v[34:35], v[32:33], v[36:37] op_sel_hi:[1,0,1]
	v_pk_fma_f32 v[32:33], v[34:35], v[32:33], v[36:37] neg_lo:[0,0,1] neg_hi:[0,0,1]
	v_mov_b32_e32 v33, v77
	s_delay_alu instid0(VALU_DEP_1)
	v_pk_add_f32 v[30:31], v[30:31], v[32:33] neg_lo:[0,1] neg_hi:[0,1]
.LBB64_480:                             ;   in Loop: Header=BB64_3 Depth=1
	s_or_b32 exec_lo, exec_lo, s6
	s_barrier_signal -1
	s_barrier_wait -1
	s_and_saveexec_b32 s6, s48
	s_cbranch_execz .LBB64_482
; %bb.481:                              ;   in Loop: Header=BB64_3 Depth=1
	ds_load_b64 v[32:33], v5 offset:18720
	s_wait_dscnt 0x0
	v_pk_mul_f32 v[34:35], v[30:31], v[32:33] op_sel:[1,1] op_sel_hi:[1,0]
	s_delay_alu instid0(VALU_DEP_1) | instskip(SKIP_1) | instid1(VALU_DEP_2)
	v_pk_fma_f32 v[36:37], v[30:31], v[32:33], v[34:35] op_sel_hi:[0,1,1]
	v_pk_fma_f32 v[30:31], v[30:31], v[32:33], v[34:35] neg_lo:[0,0,1] neg_hi:[0,0,1]
	v_mov_b32_e32 v31, v37
	s_delay_alu instid0(VALU_DEP_1)
	v_pk_add_f32 v[32:33], v[30:31], 0 neg_lo:[1,1] neg_hi:[1,1]
	ds_store_b64 v3, v[32:33]
.LBB64_482:                             ;   in Loop: Header=BB64_3 Depth=1
	s_or_b32 exec_lo, exec_lo, s6
	s_wait_dscnt 0x0
	s_barrier_signal -1
	s_barrier_wait -1
	s_barrier_signal -1
	s_barrier_wait -1
	s_and_saveexec_b32 s6, s0
; %bb.483:                              ;   in Loop: Header=BB64_3 Depth=1
	ds_store_b64 v42, v[30:31] offset:20256
; %bb.484:                              ;   in Loop: Header=BB64_3 Depth=1
	s_or_b32 exec_lo, exec_lo, s6
	s_wait_dscnt 0x0
	s_barrier_signal -1
	s_barrier_wait -1
	s_barrier_signal -1
	s_barrier_wait -1
	s_and_saveexec_b32 s6, s14
	s_cbranch_execz .LBB64_486
; %bb.485:                              ;   in Loop: Header=BB64_3 Depth=1
	v_add_nc_u32_e64 v30, 0x120, 0
	ds_load_b64 v[34:35], v5 offset:19240
	ds_load_2addr_stride64_b64 v[30:33], v30 offset0:36 offset1:37
	s_wait_dscnt 0x0
	v_dual_mul_f32 v37, v35, v31 :: v_dual_mul_f32 v36, v34, v31
	s_delay_alu instid0(VALU_DEP_1) | instskip(NEXT) | instid1(VALU_DEP_2)
	v_xor_b32_e32 v76, 0x80000000, v37
	v_fmac_f32_e32 v36, v35, v30
	s_delay_alu instid0(VALU_DEP_2) | instskip(NEXT) | instid1(VALU_DEP_2)
	v_fmac_f32_e32 v76, v34, v30
	v_pk_mul_f32 v[30:31], v[36:37], v[32:33] op_sel:[0,1] op_sel_hi:[0,0]
	s_delay_alu instid0(VALU_DEP_1) | instskip(SKIP_1) | instid1(VALU_DEP_2)
	v_pk_fma_f32 v[34:35], v[76:77], v[32:33], v[30:31] op_sel_hi:[0,1,1]
	v_pk_fma_f32 v[30:31], v[76:77], v[32:33], v[30:31] neg_lo:[0,0,1] neg_hi:[0,0,1]
	v_mov_b32_e32 v31, v35
	ds_store_b64 v5, v[30:31] offset:19232
.LBB64_486:                             ;   in Loop: Header=BB64_3 Depth=1
	s_or_b32 exec_lo, exec_lo, s6
	v_mov_b64_e32 v[30:31], 0
	s_wait_dscnt 0x0
	s_barrier_signal -1
	s_barrier_wait -1
	global_wb scope:SCOPE_DEV
	s_wait_storecnt 0x0
	global_inv scope:SCOPE_DEV
	s_and_saveexec_b32 s100, s1
	s_cbranch_execz .LBB64_492
; %bb.487:                              ;   in Loop: Header=BB64_3 Depth=1
	ds_load_b64 v[30:31], v44 offset:18688
	ds_load_b64 v[32:33], v45 offset:20256
	s_wait_dscnt 0x0
	v_dual_mul_f32 v34, v33, v31 :: v_dual_mul_f32 v31, v32, v31
	s_delay_alu instid0(VALU_DEP_1) | instskip(NEXT) | instid1(VALU_DEP_1)
	v_dual_fma_f32 v32, v32, v30, -v34 :: v_dual_fmac_f32 v31, v33, v30
	v_dual_add_f32 v30, 0, v32 :: v_dual_add_f32 v31, 0, v31
	s_and_saveexec_b32 s6, s16
	s_cbranch_execnz .LBB64_1070
; %bb.488:                              ;   in Loop: Header=BB64_3 Depth=1
	s_or_b32 exec_lo, exec_lo, s6
	s_and_saveexec_b32 s6, s17
	s_cbranch_execnz .LBB64_1071
.LBB64_489:                             ;   in Loop: Header=BB64_3 Depth=1
	s_or_b32 exec_lo, exec_lo, s6
	s_and_saveexec_b32 s6, s0
	s_cbranch_execz .LBB64_491
.LBB64_490:                             ;   in Loop: Header=BB64_3 Depth=1
	ds_load_b64 v[32:33], v41 offset:20224
	ds_load_b64 v[34:35], v5 offset:20280
	s_wait_dscnt 0x0
	v_dual_mul_f32 v36, v35, v33 :: v_dual_mul_f32 v33, v34, v33
	s_delay_alu instid0(VALU_DEP_1) | instskip(NEXT) | instid1(VALU_DEP_1)
	v_dual_fma_f32 v34, v34, v32, -v36 :: v_dual_fmac_f32 v33, v35, v32
	v_dual_add_f32 v30, v30, v34 :: v_dual_add_f32 v31, v31, v33
.LBB64_491:                             ;   in Loop: Header=BB64_3 Depth=1
	s_or_b32 exec_lo, exec_lo, s6
.LBB64_492:                             ;   in Loop: Header=BB64_3 Depth=1
	s_delay_alu instid0(SALU_CYCLE_1)
	s_or_b32 exec_lo, exec_lo, s100
	s_and_saveexec_b32 s6, s49
	s_cbranch_execz .LBB64_494
; %bb.493:                              ;   in Loop: Header=BB64_3 Depth=1
	ds_load_b64 v[32:33], v5 offset:18200
	s_wait_dscnt 0x0
	v_dual_mul_f32 v34, v31, v32 :: v_dual_mul_f32 v36, v31, v33
	s_delay_alu instid0(VALU_DEP_1) | instskip(NEXT) | instid1(VALU_DEP_2)
	v_pk_fma_f32 v[34:35], v[30:31], v[32:33], v[34:35] op_sel:[1,0,0] op_sel_hi:[0,1,0]
	v_pk_fma_f32 v[30:31], v[30:31], v[32:33], v[36:37] op_sel_hi:[1,1,0] neg_lo:[0,0,1] neg_hi:[0,0,1]
	s_delay_alu instid0(VALU_DEP_2) | instskip(NEXT) | instid1(VALU_DEP_1)
	v_mov_b32_e32 v31, v35
	v_pk_add_f32 v[32:33], v[30:31], 0 neg_lo:[1,1] neg_hi:[1,1]
	ds_store_b64 v43, v[32:33]
.LBB64_494:                             ;   in Loop: Header=BB64_3 Depth=1
	s_or_b32 exec_lo, exec_lo, s6
	s_wait_loadcnt_dscnt 0x0
	s_barrier_signal -1
	s_barrier_wait -1
	s_and_saveexec_b32 s6, s50
	s_cbranch_execz .LBB64_496
; %bb.495:                              ;   in Loop: Header=BB64_3 Depth=1
	ds_load_b64 v[32:33], v44 offset:18176
	ds_load_b64 v[34:35], v43
	s_wait_dscnt 0x0
	v_pk_mul_f32 v[36:37], v[34:35], v[32:33] op_sel:[1,1] op_sel_hi:[0,1]
	s_delay_alu instid0(VALU_DEP_1) | instskip(SKIP_1) | instid1(VALU_DEP_2)
	v_pk_fma_f32 v[76:77], v[34:35], v[32:33], v[36:37] op_sel_hi:[1,0,1]
	v_pk_fma_f32 v[32:33], v[34:35], v[32:33], v[36:37] neg_lo:[0,0,1] neg_hi:[0,0,1]
	v_mov_b32_e32 v33, v77
	s_delay_alu instid0(VALU_DEP_1)
	v_pk_add_f32 v[30:31], v[30:31], v[32:33] neg_lo:[0,1] neg_hi:[0,1]
.LBB64_496:                             ;   in Loop: Header=BB64_3 Depth=1
	s_or_b32 exec_lo, exec_lo, s6
	s_barrier_signal -1
	s_barrier_wait -1
	s_and_saveexec_b32 s6, s51
	s_cbranch_execz .LBB64_498
; %bb.497:                              ;   in Loop: Header=BB64_3 Depth=1
	ds_load_b64 v[32:33], v5 offset:17680
	s_wait_dscnt 0x0
	v_pk_mul_f32 v[34:35], v[30:31], v[32:33] op_sel:[1,1] op_sel_hi:[1,0]
	s_delay_alu instid0(VALU_DEP_1) | instskip(SKIP_1) | instid1(VALU_DEP_2)
	v_pk_fma_f32 v[36:37], v[30:31], v[32:33], v[34:35] op_sel_hi:[0,1,1]
	v_pk_fma_f32 v[30:31], v[30:31], v[32:33], v[34:35] neg_lo:[0,0,1] neg_hi:[0,0,1]
	v_mov_b32_e32 v31, v37
	s_delay_alu instid0(VALU_DEP_1)
	v_pk_add_f32 v[32:33], v[30:31], 0 neg_lo:[1,1] neg_hi:[1,1]
	ds_store_b64 v43, v[32:33]
.LBB64_498:                             ;   in Loop: Header=BB64_3 Depth=1
	s_or_b32 exec_lo, exec_lo, s6
	s_wait_dscnt 0x0
	s_barrier_signal -1
	s_barrier_wait -1
	s_and_saveexec_b32 s6, s52
	s_cbranch_execz .LBB64_500
; %bb.499:                              ;   in Loop: Header=BB64_3 Depth=1
	ds_load_b64 v[32:33], v44 offset:17664
	ds_load_b64 v[34:35], v43
	s_wait_dscnt 0x0
	v_pk_mul_f32 v[36:37], v[34:35], v[32:33] op_sel:[1,1] op_sel_hi:[0,1]
	s_delay_alu instid0(VALU_DEP_1) | instskip(SKIP_1) | instid1(VALU_DEP_2)
	v_pk_fma_f32 v[76:77], v[34:35], v[32:33], v[36:37] op_sel_hi:[1,0,1]
	v_pk_fma_f32 v[32:33], v[34:35], v[32:33], v[36:37] neg_lo:[0,0,1] neg_hi:[0,0,1]
	v_mov_b32_e32 v33, v77
	s_delay_alu instid0(VALU_DEP_1)
	v_pk_add_f32 v[30:31], v[30:31], v[32:33] neg_lo:[0,1] neg_hi:[0,1]
.LBB64_500:                             ;   in Loop: Header=BB64_3 Depth=1
	s_or_b32 exec_lo, exec_lo, s6
	s_barrier_signal -1
	s_barrier_wait -1
	s_and_saveexec_b32 s6, s53
	s_cbranch_execz .LBB64_502
; %bb.501:                              ;   in Loop: Header=BB64_3 Depth=1
	ds_load_b64 v[32:33], v5 offset:17160
	s_wait_dscnt 0x0
	v_pk_mul_f32 v[34:35], v[30:31], v[32:33] op_sel:[1,1] op_sel_hi:[1,0]
	s_delay_alu instid0(VALU_DEP_1) | instskip(SKIP_1) | instid1(VALU_DEP_2)
	v_pk_fma_f32 v[36:37], v[30:31], v[32:33], v[34:35] op_sel_hi:[0,1,1]
	v_pk_fma_f32 v[30:31], v[30:31], v[32:33], v[34:35] neg_lo:[0,0,1] neg_hi:[0,0,1]
	v_mov_b32_e32 v31, v37
	s_delay_alu instid0(VALU_DEP_1)
	v_pk_add_f32 v[32:33], v[30:31], 0 neg_lo:[1,1] neg_hi:[1,1]
	ds_store_b64 v43, v[32:33]
.LBB64_502:                             ;   in Loop: Header=BB64_3 Depth=1
	s_or_b32 exec_lo, exec_lo, s6
	s_wait_dscnt 0x0
	;; [unrolled: 35-line block ×3, first 2 shown]
	s_barrier_signal -1
	s_barrier_wait -1
	s_barrier_signal -1
	s_barrier_wait -1
	s_and_saveexec_b32 s6, s1
; %bb.507:                              ;   in Loop: Header=BB64_3 Depth=1
	ds_store_b64 v46, v[30:31] offset:20224
; %bb.508:                              ;   in Loop: Header=BB64_3 Depth=1
	s_or_b32 exec_lo, exec_lo, s6
	s_wait_dscnt 0x0
	s_barrier_signal -1
	s_barrier_wait -1
	s_barrier_signal -1
	s_barrier_wait -1
	s_and_saveexec_b32 s6, s14
	s_cbranch_execz .LBB64_510
; %bb.509:                              ;   in Loop: Header=BB64_3 Depth=1
	v_add_nc_u32_e64 v30, 0x110, 0
	ds_load_b64 v[34:35], v5 offset:18200
	ds_load_2addr_stride64_b64 v[30:33], v30 offset0:34 offset1:35
	s_wait_dscnt 0x0
	v_dual_mul_f32 v37, v35, v31 :: v_dual_mul_f32 v36, v34, v31
	s_delay_alu instid0(VALU_DEP_1) | instskip(NEXT) | instid1(VALU_DEP_2)
	v_xor_b32_e32 v76, 0x80000000, v37
	v_fmac_f32_e32 v36, v35, v30
	s_delay_alu instid0(VALU_DEP_2) | instskip(NEXT) | instid1(VALU_DEP_2)
	v_fmac_f32_e32 v76, v34, v30
	v_pk_mul_f32 v[30:31], v[36:37], v[32:33] op_sel:[0,1] op_sel_hi:[0,0]
	s_delay_alu instid0(VALU_DEP_1) | instskip(SKIP_1) | instid1(VALU_DEP_2)
	v_pk_fma_f32 v[34:35], v[76:77], v[32:33], v[30:31] op_sel_hi:[0,1,1]
	v_pk_fma_f32 v[30:31], v[76:77], v[32:33], v[30:31] neg_lo:[0,0,1] neg_hi:[0,0,1]
	v_mov_b32_e32 v31, v35
	ds_store_b64 v5, v[30:31] offset:18192
.LBB64_510:                             ;   in Loop: Header=BB64_3 Depth=1
	s_or_b32 exec_lo, exec_lo, s6
	v_dual_mov_b32 v30, 0 :: v_dual_mov_b32 v31, 0
	s_wait_dscnt 0x0
	s_barrier_signal -1
	s_barrier_wait -1
	global_wb scope:SCOPE_DEV
	s_wait_storecnt 0x0
	global_inv scope:SCOPE_DEV
	s_and_saveexec_b32 s9, s0
	s_cbranch_execz .LBB64_514
; %bb.511:                              ;   in Loop: Header=BB64_3 Depth=1
	ds_load_b64 v[30:31], v39 offset:17664
	ds_load_b64 v[32:33], v40 offset:18192
	s_wait_dscnt 0x0
	v_pk_mul_f32 v[34:35], v[32:33], v[30:31] op_sel:[1,1] op_sel_hi:[0,1]
	s_delay_alu instid0(VALU_DEP_1) | instskip(SKIP_1) | instid1(VALU_DEP_2)
	v_pk_fma_f32 v[36:37], v[32:33], v[30:31], v[34:35] op_sel_hi:[1,0,1]
	v_pk_fma_f32 v[30:31], v[32:33], v[30:31], v[34:35] neg_lo:[0,0,1] neg_hi:[0,0,1]
	v_mov_b32_e32 v31, v37
	s_delay_alu instid0(VALU_DEP_1)
	v_pk_add_f32 v[30:31], v[30:31], 0 op_sel_hi:[1,0]
	s_and_saveexec_b32 s6, s15
	s_cbranch_execz .LBB64_513
; %bb.512:                              ;   in Loop: Header=BB64_3 Depth=1
	ds_load_b64 v[32:33], v41 offset:18176
	ds_load_b64 v[34:35], v5 offset:18200
	s_wait_dscnt 0x0
	v_pk_mul_f32 v[36:37], v[34:35], v[32:33] op_sel:[1,1] op_sel_hi:[0,1]
	s_delay_alu instid0(VALU_DEP_1) | instskip(SKIP_1) | instid1(VALU_DEP_2)
	v_pk_fma_f32 v[76:77], v[34:35], v[32:33], v[36:37] op_sel_hi:[1,0,1]
	v_pk_fma_f32 v[32:33], v[34:35], v[32:33], v[36:37] neg_lo:[0,0,1] neg_hi:[0,0,1]
	v_mov_b32_e32 v33, v77
	s_delay_alu instid0(VALU_DEP_1)
	v_pk_add_f32 v[30:31], v[30:31], v[32:33]
.LBB64_513:                             ;   in Loop: Header=BB64_3 Depth=1
	s_or_b32 exec_lo, exec_lo, s6
.LBB64_514:                             ;   in Loop: Header=BB64_3 Depth=1
	s_delay_alu instid0(SALU_CYCLE_1)
	s_or_b32 exec_lo, exec_lo, s9
	s_and_saveexec_b32 s6, s47
	s_cbranch_execz .LBB64_516
; %bb.515:                              ;   in Loop: Header=BB64_3 Depth=1
	ds_load_b64 v[32:33], v5 offset:17160
	s_wait_dscnt 0x0
	v_pk_mul_f32 v[34:35], v[30:31], v[32:33] op_sel:[1,1] op_sel_hi:[1,0]
	s_delay_alu instid0(VALU_DEP_1) | instskip(SKIP_1) | instid1(VALU_DEP_2)
	v_pk_fma_f32 v[36:37], v[30:31], v[32:33], v[34:35] op_sel_hi:[0,1,1]
	v_pk_fma_f32 v[30:31], v[30:31], v[32:33], v[34:35] neg_lo:[0,0,1] neg_hi:[0,0,1]
	v_mov_b32_e32 v31, v37
	s_delay_alu instid0(VALU_DEP_1)
	v_pk_add_f32 v[32:33], v[30:31], 0 neg_lo:[1,1] neg_hi:[1,1]
	ds_store_b64 v3, v[32:33]
.LBB64_516:                             ;   in Loop: Header=BB64_3 Depth=1
	s_or_b32 exec_lo, exec_lo, s6
	s_wait_loadcnt_dscnt 0x0
	s_barrier_signal -1
	s_barrier_wait -1
	s_and_saveexec_b32 s6, s48
	s_cbranch_execz .LBB64_518
; %bb.517:                              ;   in Loop: Header=BB64_3 Depth=1
	ds_load_b64 v[32:33], v5 offset:17152
	ds_load_b64 v[34:35], v3
	s_wait_dscnt 0x0
	v_pk_mul_f32 v[36:37], v[34:35], v[32:33] op_sel:[1,1] op_sel_hi:[0,1]
	s_delay_alu instid0(VALU_DEP_1) | instskip(SKIP_1) | instid1(VALU_DEP_2)
	v_pk_fma_f32 v[76:77], v[34:35], v[32:33], v[36:37] op_sel_hi:[1,0,1]
	v_pk_fma_f32 v[32:33], v[34:35], v[32:33], v[36:37] neg_lo:[0,0,1] neg_hi:[0,0,1]
	v_mov_b32_e32 v33, v77
	s_delay_alu instid0(VALU_DEP_1)
	v_pk_add_f32 v[30:31], v[30:31], v[32:33] neg_lo:[0,1] neg_hi:[0,1]
.LBB64_518:                             ;   in Loop: Header=BB64_3 Depth=1
	s_or_b32 exec_lo, exec_lo, s6
	s_barrier_signal -1
	s_barrier_wait -1
	s_and_saveexec_b32 s6, s48
	s_cbranch_execz .LBB64_520
; %bb.519:                              ;   in Loop: Header=BB64_3 Depth=1
	ds_load_b64 v[32:33], v5 offset:16640
	s_wait_dscnt 0x0
	v_pk_mul_f32 v[34:35], v[30:31], v[32:33] op_sel:[1,1] op_sel_hi:[1,0]
	s_delay_alu instid0(VALU_DEP_1) | instskip(SKIP_1) | instid1(VALU_DEP_2)
	v_pk_fma_f32 v[36:37], v[30:31], v[32:33], v[34:35] op_sel_hi:[0,1,1]
	v_pk_fma_f32 v[30:31], v[30:31], v[32:33], v[34:35] neg_lo:[0,0,1] neg_hi:[0,0,1]
	v_mov_b32_e32 v31, v37
	s_delay_alu instid0(VALU_DEP_1)
	v_pk_add_f32 v[32:33], v[30:31], 0 neg_lo:[1,1] neg_hi:[1,1]
	ds_store_b64 v3, v[32:33]
.LBB64_520:                             ;   in Loop: Header=BB64_3 Depth=1
	s_or_b32 exec_lo, exec_lo, s6
	s_wait_dscnt 0x0
	s_barrier_signal -1
	s_barrier_wait -1
	s_barrier_signal -1
	s_barrier_wait -1
	s_and_saveexec_b32 s6, s0
; %bb.521:                              ;   in Loop: Header=BB64_3 Depth=1
	ds_store_b64 v42, v[30:31] offset:18176
; %bb.522:                              ;   in Loop: Header=BB64_3 Depth=1
	s_or_b32 exec_lo, exec_lo, s6
	s_wait_dscnt 0x0
	s_barrier_signal -1
	s_barrier_wait -1
	s_barrier_signal -1
	s_barrier_wait -1
	s_and_saveexec_b32 s6, s14
	s_cbranch_execz .LBB64_524
; %bb.523:                              ;   in Loop: Header=BB64_3 Depth=1
	v_add_nc_u32_e64 v30, 0x100, 0
	ds_load_b64 v[34:35], v5 offset:17160
	ds_load_2addr_stride64_b64 v[30:33], v30 offset0:32 offset1:33
	s_wait_dscnt 0x0
	v_dual_mul_f32 v37, v35, v31 :: v_dual_mul_f32 v36, v34, v31
	s_delay_alu instid0(VALU_DEP_1) | instskip(NEXT) | instid1(VALU_DEP_2)
	v_xor_b32_e32 v76, 0x80000000, v37
	v_fmac_f32_e32 v36, v35, v30
	s_delay_alu instid0(VALU_DEP_2) | instskip(NEXT) | instid1(VALU_DEP_2)
	v_fmac_f32_e32 v76, v34, v30
	v_pk_mul_f32 v[30:31], v[36:37], v[32:33] op_sel:[0,1] op_sel_hi:[0,0]
	s_delay_alu instid0(VALU_DEP_1) | instskip(SKIP_1) | instid1(VALU_DEP_2)
	v_pk_fma_f32 v[34:35], v[76:77], v[32:33], v[30:31] op_sel_hi:[0,1,1]
	v_pk_fma_f32 v[30:31], v[76:77], v[32:33], v[30:31] neg_lo:[0,0,1] neg_hi:[0,0,1]
	v_mov_b32_e32 v31, v35
	ds_store_b64 v5, v[30:31] offset:17152
.LBB64_524:                             ;   in Loop: Header=BB64_3 Depth=1
	s_or_b32 exec_lo, exec_lo, s6
	v_mov_b64_e32 v[30:31], 0
	s_wait_dscnt 0x0
	s_barrier_signal -1
	s_barrier_wait -1
	global_wb scope:SCOPE_DEV
	s_wait_storecnt 0x0
	global_inv scope:SCOPE_DEV
	s_and_saveexec_b32 s100, s35
	s_cbranch_execz .LBB64_586
; %bb.525:                              ;   in Loop: Header=BB64_3 Depth=1
	ds_load_b64 v[30:31], v57 offset:16384
	ds_load_b64 v[32:33], v59 offset:32512
	v_readlane_b32 s7, v85, 22
	s_wait_dscnt 0x0
	v_dual_mul_f32 v34, v33, v31 :: v_dual_mul_f32 v31, v32, v31
	s_delay_alu instid0(VALU_DEP_1) | instskip(NEXT) | instid1(VALU_DEP_1)
	v_dual_fma_f32 v32, v32, v30, -v34 :: v_dual_fmac_f32 v31, v33, v30
	v_dual_add_f32 v30, 0, v32 :: v_dual_add_f32 v31, 0, v31
	s_and_saveexec_b32 s6, s7
	s_cbranch_execz .LBB64_527
; %bb.526:                              ;   in Loop: Header=BB64_3 Depth=1
	ds_load_b64 v[32:33], v57 offset:16896
	ds_load_b64 v[34:35], v59 offset:32520
	s_wait_dscnt 0x0
	v_dual_mul_f32 v36, v35, v33 :: v_dual_mul_f32 v33, v34, v33
	s_delay_alu instid0(VALU_DEP_1) | instskip(NEXT) | instid1(VALU_DEP_1)
	v_dual_fma_f32 v34, v34, v32, -v36 :: v_dual_fmac_f32 v33, v35, v32
	v_dual_add_f32 v30, v30, v34 :: v_dual_add_f32 v31, v31, v33
.LBB64_527:                             ;   in Loop: Header=BB64_3 Depth=1
	s_or_b32 exec_lo, exec_lo, s6
	v_readlane_b32 s7, v85, 23
	s_and_saveexec_b32 s6, s7
	s_cbranch_execz .LBB64_529
; %bb.528:                              ;   in Loop: Header=BB64_3 Depth=1
	ds_load_b64 v[32:33], v57 offset:17408
	ds_load_b64 v[34:35], v59 offset:32528
	s_wait_dscnt 0x0
	v_dual_mul_f32 v36, v35, v33 :: v_dual_mul_f32 v33, v34, v33
	s_delay_alu instid0(VALU_DEP_1) | instskip(NEXT) | instid1(VALU_DEP_1)
	v_dual_fma_f32 v34, v34, v32, -v36 :: v_dual_fmac_f32 v33, v35, v32
	v_dual_add_f32 v30, v30, v34 :: v_dual_add_f32 v31, v31, v33
.LBB64_529:                             ;   in Loop: Header=BB64_3 Depth=1
	s_or_b32 exec_lo, exec_lo, s6
	v_readlane_b32 s7, v85, 24
	;; [unrolled: 13-line block ×22, first 2 shown]
	s_and_saveexec_b32 s6, s7
	s_cbranch_execz .LBB64_571
; %bb.570:                              ;   in Loop: Header=BB64_3 Depth=1
	ds_load_b64 v[32:33], v57 offset:28160
	ds_load_b64 v[34:35], v59 offset:32696
	s_wait_dscnt 0x0
	v_dual_mul_f32 v36, v35, v33 :: v_dual_mul_f32 v33, v34, v33
	s_delay_alu instid0(VALU_DEP_1) | instskip(NEXT) | instid1(VALU_DEP_1)
	v_dual_fma_f32 v34, v34, v32, -v36 :: v_dual_fmac_f32 v33, v35, v32
	v_dual_add_f32 v30, v30, v34 :: v_dual_add_f32 v31, v31, v33
.LBB64_571:                             ;   in Loop: Header=BB64_3 Depth=1
	s_or_b32 exec_lo, exec_lo, s6
	s_and_saveexec_b32 s6, s3
	s_cbranch_execz .LBB64_573
; %bb.572:                              ;   in Loop: Header=BB64_3 Depth=1
	ds_load_b64 v[32:33], v57 offset:28672
	ds_load_b64 v[34:35], v59 offset:32704
	s_wait_dscnt 0x0
	v_dual_mul_f32 v36, v35, v33 :: v_dual_mul_f32 v33, v34, v33
	s_delay_alu instid0(VALU_DEP_1) | instskip(NEXT) | instid1(VALU_DEP_1)
	v_dual_fma_f32 v34, v34, v32, -v36 :: v_dual_fmac_f32 v33, v35, v32
	v_dual_add_f32 v30, v30, v34 :: v_dual_add_f32 v31, v31, v33
.LBB64_573:                             ;   in Loop: Header=BB64_3 Depth=1
	s_or_b32 exec_lo, exec_lo, s6
	v_readlane_b32 s7, v85, 3
	s_and_saveexec_b32 s6, s7
	s_cbranch_execz .LBB64_575
; %bb.574:                              ;   in Loop: Header=BB64_3 Depth=1
	ds_load_b64 v[32:33], v57 offset:29184
	ds_load_b64 v[34:35], v59 offset:32712
	s_wait_dscnt 0x0
	v_dual_mul_f32 v36, v35, v33 :: v_dual_mul_f32 v33, v34, v33
	s_delay_alu instid0(VALU_DEP_1) | instskip(NEXT) | instid1(VALU_DEP_1)
	v_dual_fma_f32 v34, v34, v32, -v36 :: v_dual_fmac_f32 v33, v35, v32
	v_dual_add_f32 v30, v30, v34 :: v_dual_add_f32 v31, v31, v33
.LBB64_575:                             ;   in Loop: Header=BB64_3 Depth=1
	s_or_b32 exec_lo, exec_lo, s6
	v_readlane_b32 s7, v85, 5
	;; [unrolled: 13-line block ×4, first 2 shown]
	s_and_saveexec_b32 s6, s7
	s_cbranch_execz .LBB64_581
; %bb.580:                              ;   in Loop: Header=BB64_3 Depth=1
	ds_load_b64 v[32:33], v57 offset:30720
	ds_load_b64 v[34:35], v59 offset:32736
	s_wait_dscnt 0x0
	v_dual_mul_f32 v36, v35, v33 :: v_dual_mul_f32 v37, v34, v33
	s_delay_alu instid0(VALU_DEP_1) | instskip(NEXT) | instid1(VALU_DEP_1)
	v_dual_fma_f32 v36, v34, v32, -v36 :: v_dual_fmac_f32 v37, v35, v32
	v_pk_add_f32 v[30:31], v[30:31], v[36:37]
.LBB64_581:                             ;   in Loop: Header=BB64_3 Depth=1
	s_or_b32 exec_lo, exec_lo, s6
	v_readlane_b32 s7, v85, 11
	s_and_saveexec_b32 s6, s7
	s_cbranch_execnz .LBB64_1072
; %bb.582:                              ;   in Loop: Header=BB64_3 Depth=1
	s_or_b32 exec_lo, exec_lo, s6
	s_and_saveexec_b32 s6, s2
	s_cbranch_execnz .LBB64_1073
.LBB64_583:                             ;   in Loop: Header=BB64_3 Depth=1
	s_or_b32 exec_lo, exec_lo, s6
	s_and_saveexec_b32 s6, s21
	s_delay_alu instid0(SALU_CYCLE_1)
	s_xor_b32 s6, exec_lo, s6
	s_cbranch_execz .LBB64_585
.LBB64_584:                             ;   in Loop: Header=BB64_3 Depth=1
	ds_load_b64 v[32:33], v57 offset:32256
	ds_load_b64 v[34:35], v59 offset:32760
	s_wait_dscnt 0x0
	v_pk_mul_f32 v[36:37], v[34:35], v[32:33] op_sel:[1,1] op_sel_hi:[0,1]
	s_delay_alu instid0(VALU_DEP_1) | instskip(SKIP_1) | instid1(VALU_DEP_2)
	v_pk_fma_f32 v[76:77], v[34:35], v[32:33], v[36:37] op_sel_hi:[1,0,1]
	v_pk_fma_f32 v[32:33], v[34:35], v[32:33], v[36:37] neg_lo:[0,0,1] neg_hi:[0,0,1]
	v_mov_b32_e32 v33, v77
	s_delay_alu instid0(VALU_DEP_1)
	v_pk_add_f32 v[30:31], v[30:31], v[32:33]
.LBB64_585:                             ;   in Loop: Header=BB64_3 Depth=1
	s_or_b32 exec_lo, exec_lo, s6
.LBB64_586:                             ;   in Loop: Header=BB64_3 Depth=1
	s_delay_alu instid0(SALU_CYCLE_1)
	s_or_b32 exec_lo, exec_lo, s100
	v_dual_mov_b32 v32, v74 :: v_dual_mov_b32 v33, v72
	s_mov_b32 s100, 31
	s_branch .LBB64_588
.LBB64_587:                             ;   in Loop: Header=BB64_588 Depth=2
	s_or_b32 exec_lo, exec_lo, s6
	v_add_nc_u32_e32 v33, 0xfffffc00, v33
	v_add_nc_u32_e32 v32, 2, v32
	s_add_co_i32 s100, s100, -2
	s_cmp_eq_u32 s101, 0
	s_barrier_signal -1
	s_barrier_wait -1
	s_cbranch_scc1 .LBB64_596
.LBB64_588:                             ;   Parent Loop BB64_3 Depth=1
                                        ; =>  This Inner Loop Header: Depth=2
	s_delay_alu instid0(VALU_DEP_1) | instskip(SKIP_1) | instid1(SALU_CYCLE_1)
	v_cmp_eq_u32_e32 vcc_lo, 0, v32
	s_and_b32 s9, s8, vcc_lo
	s_and_saveexec_b32 s6, s9
	s_cbranch_execz .LBB64_590
; %bb.589:                              ;   in Loop: Header=BB64_588 Depth=2
	ds_load_b64 v[34:35], v73
	s_wait_dscnt 0x0
	v_pk_mul_f32 v[36:37], v[30:31], v[34:35] op_sel:[1,1] op_sel_hi:[1,0]
	s_delay_alu instid0(VALU_DEP_1) | instskip(SKIP_1) | instid1(VALU_DEP_2)
	v_pk_fma_f32 v[76:77], v[30:31], v[34:35], v[36:37] op_sel_hi:[0,1,1]
	v_pk_fma_f32 v[30:31], v[30:31], v[34:35], v[36:37] neg_lo:[0,0,1] neg_hi:[0,0,1]
	v_mov_b32_e32 v31, v77
	s_delay_alu instid0(VALU_DEP_1)
	v_pk_add_f32 v[34:35], v[30:31], 0 neg_lo:[1,1] neg_hi:[1,1]
	ds_store_b64 v56, v[34:35]
.LBB64_590:                             ;   in Loop: Header=BB64_588 Depth=2
	s_or_b32 exec_lo, exec_lo, s6
	v_cmp_gt_u32_e32 vcc_lo, s100, v54
	s_wait_loadcnt_dscnt 0x0
	s_barrier_signal -1
	s_barrier_wait -1
	s_and_b32 s9, s8, vcc_lo
	s_delay_alu instid0(SALU_CYCLE_1)
	s_and_saveexec_b32 s6, s9
	s_cbranch_execz .LBB64_592
; %bb.591:                              ;   in Loop: Header=BB64_588 Depth=2
	ds_load_b64 v[34:35], v33 offset:512
	ds_load_b64 v[36:37], v56
	s_wait_dscnt 0x0
	v_pk_mul_f32 v[76:77], v[36:37], v[34:35] op_sel:[1,1] op_sel_hi:[0,1]
	s_delay_alu instid0(VALU_DEP_1) | instskip(SKIP_1) | instid1(VALU_DEP_2)
	v_pk_fma_f32 v[78:79], v[36:37], v[34:35], v[76:77] op_sel_hi:[1,0,1]
	v_pk_fma_f32 v[34:35], v[36:37], v[34:35], v[76:77] neg_lo:[0,0,1] neg_hi:[0,0,1]
	v_mov_b32_e32 v35, v79
	s_delay_alu instid0(VALU_DEP_1)
	v_pk_add_f32 v[30:31], v[30:31], v[34:35] neg_lo:[0,1] neg_hi:[0,1]
.LBB64_592:                             ;   in Loop: Header=BB64_588 Depth=2
	s_or_b32 exec_lo, exec_lo, s6
	s_add_co_i32 s101, s100, -1
	s_delay_alu instid0(SALU_CYCLE_1) | instskip(SKIP_3) | instid1(SALU_CYCLE_1)
	v_cmp_eq_u32_e32 vcc_lo, s101, v54
	s_barrier_signal -1
	s_barrier_wait -1
	s_and_b32 s9, s8, vcc_lo
	s_and_saveexec_b32 s6, s9
	s_cbranch_execz .LBB64_594
; %bb.593:                              ;   in Loop: Header=BB64_588 Depth=2
	ds_load_b64 v[34:35], v73
	s_wait_dscnt 0x0
	v_pk_mul_f32 v[36:37], v[30:31], v[34:35] op_sel:[1,1] op_sel_hi:[1,0]
	s_delay_alu instid0(VALU_DEP_1) | instskip(SKIP_1) | instid1(VALU_DEP_2)
	v_pk_fma_f32 v[76:77], v[30:31], v[34:35], v[36:37] op_sel_hi:[0,1,1]
	v_pk_fma_f32 v[30:31], v[30:31], v[34:35], v[36:37] neg_lo:[0,0,1] neg_hi:[0,0,1]
	v_mov_b32_e32 v31, v77
	s_delay_alu instid0(VALU_DEP_1)
	v_pk_add_f32 v[34:35], v[30:31], 0 neg_lo:[1,1] neg_hi:[1,1]
	ds_store_b64 v56, v[34:35]
.LBB64_594:                             ;   in Loop: Header=BB64_588 Depth=2
	s_or_b32 exec_lo, exec_lo, s6
	v_cmp_gt_u32_e32 vcc_lo, s101, v54
	s_wait_dscnt 0x0
	s_barrier_signal -1
	s_barrier_wait -1
	s_and_b32 s9, s8, vcc_lo
	s_delay_alu instid0(SALU_CYCLE_1)
	s_and_saveexec_b32 s6, s9
	s_cbranch_execz .LBB64_587
; %bb.595:                              ;   in Loop: Header=BB64_588 Depth=2
	ds_load_b64 v[34:35], v33
	ds_load_b64 v[36:37], v56
	s_wait_dscnt 0x0
	v_pk_mul_f32 v[76:77], v[36:37], v[34:35] op_sel:[1,1] op_sel_hi:[0,1]
	s_delay_alu instid0(VALU_DEP_1) | instskip(SKIP_1) | instid1(VALU_DEP_2)
	v_pk_fma_f32 v[78:79], v[36:37], v[34:35], v[76:77] op_sel_hi:[1,0,1]
	v_pk_fma_f32 v[34:35], v[36:37], v[34:35], v[76:77] neg_lo:[0,0,1] neg_hi:[0,0,1]
	v_mov_b32_e32 v35, v79
	s_delay_alu instid0(VALU_DEP_1)
	v_pk_add_f32 v[30:31], v[30:31], v[34:35] neg_lo:[0,1] neg_hi:[0,1]
	s_branch .LBB64_587
.LBB64_596:                             ;   in Loop: Header=BB64_3 Depth=1
	s_and_saveexec_b32 s6, s35
; %bb.597:                              ;   in Loop: Header=BB64_3 Depth=1
	ds_store_b64 v60, v[30:31] offset:32256
; %bb.598:                              ;   in Loop: Header=BB64_3 Depth=1
	s_or_b32 exec_lo, exec_lo, s6
	s_wait_dscnt 0x0
	s_barrier_signal -1
	s_barrier_wait -1
	s_barrier_signal -1
	s_barrier_wait -1
	s_and_saveexec_b32 s6, s14
	s_cbranch_execz .LBB64_600
; %bb.599:                              ;   in Loop: Header=BB64_3 Depth=1
	v_add_nc_u32_e64 v30, 0xf0, 0
	ds_load_b64 v[34:35], v5 offset:16120
	ds_load_2addr_stride64_b64 v[30:33], v30 offset0:30 offset1:31
	s_wait_dscnt 0x0
	v_dual_mul_f32 v37, v35, v31 :: v_dual_mul_f32 v36, v34, v31
	s_delay_alu instid0(VALU_DEP_1) | instskip(NEXT) | instid1(VALU_DEP_2)
	v_xor_b32_e32 v76, 0x80000000, v37
	v_fmac_f32_e32 v36, v35, v30
	s_delay_alu instid0(VALU_DEP_2) | instskip(NEXT) | instid1(VALU_DEP_2)
	v_fmac_f32_e32 v76, v34, v30
	v_pk_mul_f32 v[30:31], v[36:37], v[32:33] op_sel:[0,1] op_sel_hi:[0,0]
	s_delay_alu instid0(VALU_DEP_1) | instskip(SKIP_1) | instid1(VALU_DEP_2)
	v_pk_fma_f32 v[34:35], v[76:77], v[32:33], v[30:31] op_sel_hi:[0,1,1]
	v_pk_fma_f32 v[30:31], v[76:77], v[32:33], v[30:31] neg_lo:[0,0,1] neg_hi:[0,0,1]
	v_mov_b32_e32 v31, v35
	ds_store_b64 v5, v[30:31] offset:16112
.LBB64_600:                             ;   in Loop: Header=BB64_3 Depth=1
	s_or_b32 exec_lo, exec_lo, s6
	v_dual_mov_b32 v30, 0 :: v_dual_mov_b32 v31, 0
	s_wait_dscnt 0x0
	s_barrier_signal -1
	s_barrier_wait -1
	global_wb scope:SCOPE_DEV
	s_wait_storecnt 0x0
	global_inv scope:SCOPE_DEV
	s_and_saveexec_b32 s9, s0
	s_cbranch_execz .LBB64_604
; %bb.601:                              ;   in Loop: Header=BB64_3 Depth=1
	ds_load_b64 v[30:31], v39 offset:15584
	ds_load_b64 v[32:33], v40 offset:16112
	s_wait_dscnt 0x0
	v_pk_mul_f32 v[34:35], v[32:33], v[30:31] op_sel:[1,1] op_sel_hi:[0,1]
	s_delay_alu instid0(VALU_DEP_1) | instskip(SKIP_1) | instid1(VALU_DEP_2)
	v_pk_fma_f32 v[36:37], v[32:33], v[30:31], v[34:35] op_sel_hi:[1,0,1]
	v_pk_fma_f32 v[30:31], v[32:33], v[30:31], v[34:35] neg_lo:[0,0,1] neg_hi:[0,0,1]
	v_mov_b32_e32 v31, v37
	s_delay_alu instid0(VALU_DEP_1)
	v_pk_add_f32 v[30:31], v[30:31], 0 op_sel_hi:[1,0]
	s_and_saveexec_b32 s6, s15
	s_cbranch_execz .LBB64_603
; %bb.602:                              ;   in Loop: Header=BB64_3 Depth=1
	ds_load_b64 v[32:33], v41 offset:16096
	ds_load_b64 v[34:35], v5 offset:16120
	s_wait_dscnt 0x0
	v_pk_mul_f32 v[36:37], v[34:35], v[32:33] op_sel:[1,1] op_sel_hi:[0,1]
	s_delay_alu instid0(VALU_DEP_1) | instskip(SKIP_1) | instid1(VALU_DEP_2)
	v_pk_fma_f32 v[76:77], v[34:35], v[32:33], v[36:37] op_sel_hi:[1,0,1]
	v_pk_fma_f32 v[32:33], v[34:35], v[32:33], v[36:37] neg_lo:[0,0,1] neg_hi:[0,0,1]
	v_mov_b32_e32 v33, v77
	s_delay_alu instid0(VALU_DEP_1)
	v_pk_add_f32 v[30:31], v[30:31], v[32:33]
.LBB64_603:                             ;   in Loop: Header=BB64_3 Depth=1
	s_or_b32 exec_lo, exec_lo, s6
.LBB64_604:                             ;   in Loop: Header=BB64_3 Depth=1
	s_delay_alu instid0(SALU_CYCLE_1)
	s_or_b32 exec_lo, exec_lo, s9
	s_and_saveexec_b32 s6, s47
	s_cbranch_execz .LBB64_606
; %bb.605:                              ;   in Loop: Header=BB64_3 Depth=1
	ds_load_b64 v[32:33], v5 offset:15080
	s_wait_dscnt 0x0
	v_pk_mul_f32 v[34:35], v[30:31], v[32:33] op_sel:[1,1] op_sel_hi:[1,0]
	s_delay_alu instid0(VALU_DEP_1) | instskip(SKIP_1) | instid1(VALU_DEP_2)
	v_pk_fma_f32 v[36:37], v[30:31], v[32:33], v[34:35] op_sel_hi:[0,1,1]
	v_pk_fma_f32 v[30:31], v[30:31], v[32:33], v[34:35] neg_lo:[0,0,1] neg_hi:[0,0,1]
	v_mov_b32_e32 v31, v37
	s_delay_alu instid0(VALU_DEP_1)
	v_pk_add_f32 v[32:33], v[30:31], 0 neg_lo:[1,1] neg_hi:[1,1]
	ds_store_b64 v3, v[32:33]
.LBB64_606:                             ;   in Loop: Header=BB64_3 Depth=1
	s_or_b32 exec_lo, exec_lo, s6
	s_wait_loadcnt_dscnt 0x0
	s_barrier_signal -1
	s_barrier_wait -1
	s_and_saveexec_b32 s6, s48
	s_cbranch_execz .LBB64_608
; %bb.607:                              ;   in Loop: Header=BB64_3 Depth=1
	ds_load_b64 v[32:33], v5 offset:15072
	ds_load_b64 v[34:35], v3
	s_wait_dscnt 0x0
	v_pk_mul_f32 v[36:37], v[34:35], v[32:33] op_sel:[1,1] op_sel_hi:[0,1]
	s_delay_alu instid0(VALU_DEP_1) | instskip(SKIP_1) | instid1(VALU_DEP_2)
	v_pk_fma_f32 v[76:77], v[34:35], v[32:33], v[36:37] op_sel_hi:[1,0,1]
	v_pk_fma_f32 v[32:33], v[34:35], v[32:33], v[36:37] neg_lo:[0,0,1] neg_hi:[0,0,1]
	v_mov_b32_e32 v33, v77
	s_delay_alu instid0(VALU_DEP_1)
	v_pk_add_f32 v[30:31], v[30:31], v[32:33] neg_lo:[0,1] neg_hi:[0,1]
.LBB64_608:                             ;   in Loop: Header=BB64_3 Depth=1
	s_or_b32 exec_lo, exec_lo, s6
	s_barrier_signal -1
	s_barrier_wait -1
	s_and_saveexec_b32 s6, s48
	s_cbranch_execz .LBB64_610
; %bb.609:                              ;   in Loop: Header=BB64_3 Depth=1
	ds_load_b64 v[32:33], v5 offset:14560
	s_wait_dscnt 0x0
	v_pk_mul_f32 v[34:35], v[30:31], v[32:33] op_sel:[1,1] op_sel_hi:[1,0]
	s_delay_alu instid0(VALU_DEP_1) | instskip(SKIP_1) | instid1(VALU_DEP_2)
	v_pk_fma_f32 v[36:37], v[30:31], v[32:33], v[34:35] op_sel_hi:[0,1,1]
	v_pk_fma_f32 v[30:31], v[30:31], v[32:33], v[34:35] neg_lo:[0,0,1] neg_hi:[0,0,1]
	v_mov_b32_e32 v31, v37
	s_delay_alu instid0(VALU_DEP_1)
	v_pk_add_f32 v[32:33], v[30:31], 0 neg_lo:[1,1] neg_hi:[1,1]
	ds_store_b64 v3, v[32:33]
.LBB64_610:                             ;   in Loop: Header=BB64_3 Depth=1
	s_or_b32 exec_lo, exec_lo, s6
	s_wait_dscnt 0x0
	s_barrier_signal -1
	s_barrier_wait -1
	s_barrier_signal -1
	s_barrier_wait -1
	s_and_saveexec_b32 s6, s0
; %bb.611:                              ;   in Loop: Header=BB64_3 Depth=1
	ds_store_b64 v42, v[30:31] offset:16096
; %bb.612:                              ;   in Loop: Header=BB64_3 Depth=1
	s_or_b32 exec_lo, exec_lo, s6
	s_wait_dscnt 0x0
	s_barrier_signal -1
	s_barrier_wait -1
	s_barrier_signal -1
	s_barrier_wait -1
	s_and_saveexec_b32 s6, s14
	s_cbranch_execz .LBB64_614
; %bb.613:                              ;   in Loop: Header=BB64_3 Depth=1
	v_add_nc_u32_e64 v30, 0xe0, 0
	ds_load_b64 v[34:35], v5 offset:15080
	ds_load_2addr_stride64_b64 v[30:33], v30 offset0:28 offset1:29
	s_wait_dscnt 0x0
	v_dual_mul_f32 v37, v35, v31 :: v_dual_mul_f32 v36, v34, v31
	s_delay_alu instid0(VALU_DEP_1) | instskip(NEXT) | instid1(VALU_DEP_2)
	v_xor_b32_e32 v76, 0x80000000, v37
	v_fmac_f32_e32 v36, v35, v30
	s_delay_alu instid0(VALU_DEP_2) | instskip(NEXT) | instid1(VALU_DEP_2)
	v_fmac_f32_e32 v76, v34, v30
	v_pk_mul_f32 v[30:31], v[36:37], v[32:33] op_sel:[0,1] op_sel_hi:[0,0]
	s_delay_alu instid0(VALU_DEP_1) | instskip(SKIP_1) | instid1(VALU_DEP_2)
	v_pk_fma_f32 v[34:35], v[76:77], v[32:33], v[30:31] op_sel_hi:[0,1,1]
	v_pk_fma_f32 v[30:31], v[76:77], v[32:33], v[30:31] neg_lo:[0,0,1] neg_hi:[0,0,1]
	v_mov_b32_e32 v31, v35
	ds_store_b64 v5, v[30:31] offset:15072
.LBB64_614:                             ;   in Loop: Header=BB64_3 Depth=1
	s_or_b32 exec_lo, exec_lo, s6
	v_mov_b64_e32 v[30:31], 0
	s_wait_dscnt 0x0
	s_barrier_signal -1
	s_barrier_wait -1
	global_wb scope:SCOPE_DEV
	s_wait_storecnt 0x0
	global_inv scope:SCOPE_DEV
	s_and_saveexec_b32 s100, s1
	s_cbranch_execz .LBB64_620
; %bb.615:                              ;   in Loop: Header=BB64_3 Depth=1
	ds_load_b64 v[30:31], v44 offset:14528
	ds_load_b64 v[32:33], v45 offset:16096
	s_wait_dscnt 0x0
	v_dual_mul_f32 v34, v33, v31 :: v_dual_mul_f32 v31, v32, v31
	s_delay_alu instid0(VALU_DEP_1) | instskip(NEXT) | instid1(VALU_DEP_1)
	v_dual_fma_f32 v32, v32, v30, -v34 :: v_dual_fmac_f32 v31, v33, v30
	v_dual_add_f32 v30, 0, v32 :: v_dual_add_f32 v31, 0, v31
	s_and_saveexec_b32 s6, s16
	s_cbranch_execnz .LBB64_1074
; %bb.616:                              ;   in Loop: Header=BB64_3 Depth=1
	s_or_b32 exec_lo, exec_lo, s6
	s_and_saveexec_b32 s6, s17
	s_cbranch_execnz .LBB64_1075
.LBB64_617:                             ;   in Loop: Header=BB64_3 Depth=1
	s_or_b32 exec_lo, exec_lo, s6
	s_and_saveexec_b32 s6, s0
	s_cbranch_execz .LBB64_619
.LBB64_618:                             ;   in Loop: Header=BB64_3 Depth=1
	ds_load_b64 v[32:33], v41 offset:16064
	ds_load_b64 v[34:35], v5 offset:16120
	s_wait_dscnt 0x0
	v_dual_mul_f32 v36, v35, v33 :: v_dual_mul_f32 v33, v34, v33
	s_delay_alu instid0(VALU_DEP_1) | instskip(NEXT) | instid1(VALU_DEP_1)
	v_dual_fma_f32 v34, v34, v32, -v36 :: v_dual_fmac_f32 v33, v35, v32
	v_dual_add_f32 v30, v30, v34 :: v_dual_add_f32 v31, v31, v33
.LBB64_619:                             ;   in Loop: Header=BB64_3 Depth=1
	s_or_b32 exec_lo, exec_lo, s6
.LBB64_620:                             ;   in Loop: Header=BB64_3 Depth=1
	s_delay_alu instid0(SALU_CYCLE_1)
	s_or_b32 exec_lo, exec_lo, s100
	s_and_saveexec_b32 s6, s49
	s_cbranch_execz .LBB64_622
; %bb.621:                              ;   in Loop: Header=BB64_3 Depth=1
	ds_load_b64 v[32:33], v5 offset:14040
	s_wait_dscnt 0x0
	v_dual_mul_f32 v34, v31, v32 :: v_dual_mul_f32 v36, v31, v33
	s_delay_alu instid0(VALU_DEP_1) | instskip(NEXT) | instid1(VALU_DEP_2)
	v_pk_fma_f32 v[34:35], v[30:31], v[32:33], v[34:35] op_sel:[1,0,0] op_sel_hi:[0,1,0]
	v_pk_fma_f32 v[30:31], v[30:31], v[32:33], v[36:37] op_sel_hi:[1,1,0] neg_lo:[0,0,1] neg_hi:[0,0,1]
	s_delay_alu instid0(VALU_DEP_2) | instskip(NEXT) | instid1(VALU_DEP_1)
	v_mov_b32_e32 v31, v35
	v_pk_add_f32 v[32:33], v[30:31], 0 neg_lo:[1,1] neg_hi:[1,1]
	ds_store_b64 v43, v[32:33]
.LBB64_622:                             ;   in Loop: Header=BB64_3 Depth=1
	s_or_b32 exec_lo, exec_lo, s6
	s_wait_loadcnt_dscnt 0x0
	s_barrier_signal -1
	s_barrier_wait -1
	s_and_saveexec_b32 s6, s50
	s_cbranch_execz .LBB64_624
; %bb.623:                              ;   in Loop: Header=BB64_3 Depth=1
	ds_load_b64 v[32:33], v44 offset:14016
	ds_load_b64 v[34:35], v43
	s_wait_dscnt 0x0
	v_pk_mul_f32 v[36:37], v[34:35], v[32:33] op_sel:[1,1] op_sel_hi:[0,1]
	s_delay_alu instid0(VALU_DEP_1) | instskip(SKIP_1) | instid1(VALU_DEP_2)
	v_pk_fma_f32 v[76:77], v[34:35], v[32:33], v[36:37] op_sel_hi:[1,0,1]
	v_pk_fma_f32 v[32:33], v[34:35], v[32:33], v[36:37] neg_lo:[0,0,1] neg_hi:[0,0,1]
	v_mov_b32_e32 v33, v77
	s_delay_alu instid0(VALU_DEP_1)
	v_pk_add_f32 v[30:31], v[30:31], v[32:33] neg_lo:[0,1] neg_hi:[0,1]
.LBB64_624:                             ;   in Loop: Header=BB64_3 Depth=1
	s_or_b32 exec_lo, exec_lo, s6
	s_barrier_signal -1
	s_barrier_wait -1
	s_and_saveexec_b32 s6, s51
	s_cbranch_execz .LBB64_626
; %bb.625:                              ;   in Loop: Header=BB64_3 Depth=1
	ds_load_b64 v[32:33], v5 offset:13520
	s_wait_dscnt 0x0
	v_pk_mul_f32 v[34:35], v[30:31], v[32:33] op_sel:[1,1] op_sel_hi:[1,0]
	s_delay_alu instid0(VALU_DEP_1) | instskip(SKIP_1) | instid1(VALU_DEP_2)
	v_pk_fma_f32 v[36:37], v[30:31], v[32:33], v[34:35] op_sel_hi:[0,1,1]
	v_pk_fma_f32 v[30:31], v[30:31], v[32:33], v[34:35] neg_lo:[0,0,1] neg_hi:[0,0,1]
	v_mov_b32_e32 v31, v37
	s_delay_alu instid0(VALU_DEP_1)
	v_pk_add_f32 v[32:33], v[30:31], 0 neg_lo:[1,1] neg_hi:[1,1]
	ds_store_b64 v43, v[32:33]
.LBB64_626:                             ;   in Loop: Header=BB64_3 Depth=1
	s_or_b32 exec_lo, exec_lo, s6
	s_wait_dscnt 0x0
	s_barrier_signal -1
	s_barrier_wait -1
	s_and_saveexec_b32 s6, s52
	s_cbranch_execz .LBB64_628
; %bb.627:                              ;   in Loop: Header=BB64_3 Depth=1
	ds_load_b64 v[32:33], v44 offset:13504
	ds_load_b64 v[34:35], v43
	s_wait_dscnt 0x0
	v_pk_mul_f32 v[36:37], v[34:35], v[32:33] op_sel:[1,1] op_sel_hi:[0,1]
	s_delay_alu instid0(VALU_DEP_1) | instskip(SKIP_1) | instid1(VALU_DEP_2)
	v_pk_fma_f32 v[76:77], v[34:35], v[32:33], v[36:37] op_sel_hi:[1,0,1]
	v_pk_fma_f32 v[32:33], v[34:35], v[32:33], v[36:37] neg_lo:[0,0,1] neg_hi:[0,0,1]
	v_mov_b32_e32 v33, v77
	s_delay_alu instid0(VALU_DEP_1)
	v_pk_add_f32 v[30:31], v[30:31], v[32:33] neg_lo:[0,1] neg_hi:[0,1]
.LBB64_628:                             ;   in Loop: Header=BB64_3 Depth=1
	s_or_b32 exec_lo, exec_lo, s6
	s_barrier_signal -1
	s_barrier_wait -1
	s_and_saveexec_b32 s6, s53
	s_cbranch_execz .LBB64_630
; %bb.629:                              ;   in Loop: Header=BB64_3 Depth=1
	ds_load_b64 v[32:33], v5 offset:13000
	s_wait_dscnt 0x0
	v_pk_mul_f32 v[34:35], v[30:31], v[32:33] op_sel:[1,1] op_sel_hi:[1,0]
	s_delay_alu instid0(VALU_DEP_1) | instskip(SKIP_1) | instid1(VALU_DEP_2)
	v_pk_fma_f32 v[36:37], v[30:31], v[32:33], v[34:35] op_sel_hi:[0,1,1]
	v_pk_fma_f32 v[30:31], v[30:31], v[32:33], v[34:35] neg_lo:[0,0,1] neg_hi:[0,0,1]
	v_mov_b32_e32 v31, v37
	s_delay_alu instid0(VALU_DEP_1)
	v_pk_add_f32 v[32:33], v[30:31], 0 neg_lo:[1,1] neg_hi:[1,1]
	ds_store_b64 v43, v[32:33]
.LBB64_630:                             ;   in Loop: Header=BB64_3 Depth=1
	s_or_b32 exec_lo, exec_lo, s6
	s_wait_dscnt 0x0
	;; [unrolled: 35-line block ×3, first 2 shown]
	s_barrier_signal -1
	s_barrier_wait -1
	s_barrier_signal -1
	s_barrier_wait -1
	s_and_saveexec_b32 s6, s1
; %bb.635:                              ;   in Loop: Header=BB64_3 Depth=1
	ds_store_b64 v46, v[30:31] offset:16064
; %bb.636:                              ;   in Loop: Header=BB64_3 Depth=1
	s_or_b32 exec_lo, exec_lo, s6
	s_wait_dscnt 0x0
	s_barrier_signal -1
	s_barrier_wait -1
	s_barrier_signal -1
	s_barrier_wait -1
	s_and_saveexec_b32 s6, s14
	s_cbranch_execz .LBB64_638
; %bb.637:                              ;   in Loop: Header=BB64_3 Depth=1
	v_add_nc_u32_e64 v30, 0xd0, 0
	ds_load_b64 v[34:35], v5 offset:14040
	ds_load_2addr_stride64_b64 v[30:33], v30 offset0:26 offset1:27
	s_wait_dscnt 0x0
	v_dual_mul_f32 v37, v35, v31 :: v_dual_mul_f32 v36, v34, v31
	s_delay_alu instid0(VALU_DEP_1) | instskip(NEXT) | instid1(VALU_DEP_2)
	v_xor_b32_e32 v76, 0x80000000, v37
	v_fmac_f32_e32 v36, v35, v30
	s_delay_alu instid0(VALU_DEP_2) | instskip(NEXT) | instid1(VALU_DEP_2)
	v_fmac_f32_e32 v76, v34, v30
	v_pk_mul_f32 v[30:31], v[36:37], v[32:33] op_sel:[0,1] op_sel_hi:[0,0]
	s_delay_alu instid0(VALU_DEP_1) | instskip(SKIP_1) | instid1(VALU_DEP_2)
	v_pk_fma_f32 v[34:35], v[76:77], v[32:33], v[30:31] op_sel_hi:[0,1,1]
	v_pk_fma_f32 v[30:31], v[76:77], v[32:33], v[30:31] neg_lo:[0,0,1] neg_hi:[0,0,1]
	v_mov_b32_e32 v31, v35
	ds_store_b64 v5, v[30:31] offset:14032
.LBB64_638:                             ;   in Loop: Header=BB64_3 Depth=1
	s_or_b32 exec_lo, exec_lo, s6
	v_dual_mov_b32 v30, 0 :: v_dual_mov_b32 v31, 0
	s_wait_dscnt 0x0
	s_barrier_signal -1
	s_barrier_wait -1
	global_wb scope:SCOPE_DEV
	s_wait_storecnt 0x0
	global_inv scope:SCOPE_DEV
	s_and_saveexec_b32 s9, s0
	s_cbranch_execz .LBB64_642
; %bb.639:                              ;   in Loop: Header=BB64_3 Depth=1
	ds_load_b64 v[30:31], v39 offset:13504
	ds_load_b64 v[32:33], v40 offset:14032
	s_wait_dscnt 0x0
	v_pk_mul_f32 v[34:35], v[32:33], v[30:31] op_sel:[1,1] op_sel_hi:[0,1]
	s_delay_alu instid0(VALU_DEP_1) | instskip(SKIP_1) | instid1(VALU_DEP_2)
	v_pk_fma_f32 v[36:37], v[32:33], v[30:31], v[34:35] op_sel_hi:[1,0,1]
	v_pk_fma_f32 v[30:31], v[32:33], v[30:31], v[34:35] neg_lo:[0,0,1] neg_hi:[0,0,1]
	v_mov_b32_e32 v31, v37
	s_delay_alu instid0(VALU_DEP_1)
	v_pk_add_f32 v[30:31], v[30:31], 0 op_sel_hi:[1,0]
	s_and_saveexec_b32 s6, s15
	s_cbranch_execz .LBB64_641
; %bb.640:                              ;   in Loop: Header=BB64_3 Depth=1
	ds_load_b64 v[32:33], v41 offset:14016
	ds_load_b64 v[34:35], v5 offset:14040
	s_wait_dscnt 0x0
	v_pk_mul_f32 v[36:37], v[34:35], v[32:33] op_sel:[1,1] op_sel_hi:[0,1]
	s_delay_alu instid0(VALU_DEP_1) | instskip(SKIP_1) | instid1(VALU_DEP_2)
	v_pk_fma_f32 v[76:77], v[34:35], v[32:33], v[36:37] op_sel_hi:[1,0,1]
	v_pk_fma_f32 v[32:33], v[34:35], v[32:33], v[36:37] neg_lo:[0,0,1] neg_hi:[0,0,1]
	v_mov_b32_e32 v33, v77
	s_delay_alu instid0(VALU_DEP_1)
	v_pk_add_f32 v[30:31], v[30:31], v[32:33]
.LBB64_641:                             ;   in Loop: Header=BB64_3 Depth=1
	s_or_b32 exec_lo, exec_lo, s6
.LBB64_642:                             ;   in Loop: Header=BB64_3 Depth=1
	s_delay_alu instid0(SALU_CYCLE_1)
	s_or_b32 exec_lo, exec_lo, s9
	s_and_saveexec_b32 s6, s47
	s_cbranch_execz .LBB64_644
; %bb.643:                              ;   in Loop: Header=BB64_3 Depth=1
	ds_load_b64 v[32:33], v5 offset:13000
	s_wait_dscnt 0x0
	v_pk_mul_f32 v[34:35], v[30:31], v[32:33] op_sel:[1,1] op_sel_hi:[1,0]
	s_delay_alu instid0(VALU_DEP_1) | instskip(SKIP_1) | instid1(VALU_DEP_2)
	v_pk_fma_f32 v[36:37], v[30:31], v[32:33], v[34:35] op_sel_hi:[0,1,1]
	v_pk_fma_f32 v[30:31], v[30:31], v[32:33], v[34:35] neg_lo:[0,0,1] neg_hi:[0,0,1]
	v_mov_b32_e32 v31, v37
	s_delay_alu instid0(VALU_DEP_1)
	v_pk_add_f32 v[32:33], v[30:31], 0 neg_lo:[1,1] neg_hi:[1,1]
	ds_store_b64 v3, v[32:33]
.LBB64_644:                             ;   in Loop: Header=BB64_3 Depth=1
	s_or_b32 exec_lo, exec_lo, s6
	s_wait_loadcnt_dscnt 0x0
	s_barrier_signal -1
	s_barrier_wait -1
	s_and_saveexec_b32 s6, s48
	s_cbranch_execz .LBB64_646
; %bb.645:                              ;   in Loop: Header=BB64_3 Depth=1
	ds_load_b64 v[32:33], v5 offset:12992
	ds_load_b64 v[34:35], v3
	s_wait_dscnt 0x0
	v_pk_mul_f32 v[36:37], v[34:35], v[32:33] op_sel:[1,1] op_sel_hi:[0,1]
	s_delay_alu instid0(VALU_DEP_1) | instskip(SKIP_1) | instid1(VALU_DEP_2)
	v_pk_fma_f32 v[76:77], v[34:35], v[32:33], v[36:37] op_sel_hi:[1,0,1]
	v_pk_fma_f32 v[32:33], v[34:35], v[32:33], v[36:37] neg_lo:[0,0,1] neg_hi:[0,0,1]
	v_mov_b32_e32 v33, v77
	s_delay_alu instid0(VALU_DEP_1)
	v_pk_add_f32 v[30:31], v[30:31], v[32:33] neg_lo:[0,1] neg_hi:[0,1]
.LBB64_646:                             ;   in Loop: Header=BB64_3 Depth=1
	s_or_b32 exec_lo, exec_lo, s6
	s_barrier_signal -1
	s_barrier_wait -1
	s_and_saveexec_b32 s6, s48
	s_cbranch_execz .LBB64_648
; %bb.647:                              ;   in Loop: Header=BB64_3 Depth=1
	ds_load_b64 v[32:33], v5 offset:12480
	s_wait_dscnt 0x0
	v_pk_mul_f32 v[34:35], v[30:31], v[32:33] op_sel:[1,1] op_sel_hi:[1,0]
	s_delay_alu instid0(VALU_DEP_1) | instskip(SKIP_1) | instid1(VALU_DEP_2)
	v_pk_fma_f32 v[36:37], v[30:31], v[32:33], v[34:35] op_sel_hi:[0,1,1]
	v_pk_fma_f32 v[30:31], v[30:31], v[32:33], v[34:35] neg_lo:[0,0,1] neg_hi:[0,0,1]
	v_mov_b32_e32 v31, v37
	s_delay_alu instid0(VALU_DEP_1)
	v_pk_add_f32 v[32:33], v[30:31], 0 neg_lo:[1,1] neg_hi:[1,1]
	ds_store_b64 v3, v[32:33]
.LBB64_648:                             ;   in Loop: Header=BB64_3 Depth=1
	s_or_b32 exec_lo, exec_lo, s6
	s_wait_dscnt 0x0
	s_barrier_signal -1
	s_barrier_wait -1
	s_barrier_signal -1
	s_barrier_wait -1
	s_and_saveexec_b32 s6, s0
; %bb.649:                              ;   in Loop: Header=BB64_3 Depth=1
	ds_store_b64 v42, v[30:31] offset:14016
; %bb.650:                              ;   in Loop: Header=BB64_3 Depth=1
	s_or_b32 exec_lo, exec_lo, s6
	s_wait_dscnt 0x0
	s_barrier_signal -1
	s_barrier_wait -1
	s_barrier_signal -1
	s_barrier_wait -1
	s_and_saveexec_b32 s6, s14
	s_cbranch_execz .LBB64_652
; %bb.651:                              ;   in Loop: Header=BB64_3 Depth=1
	v_add_nc_u32_e64 v30, 0xc0, 0
	ds_load_b64 v[34:35], v5 offset:13000
	ds_load_2addr_stride64_b64 v[30:33], v30 offset0:24 offset1:25
	s_wait_dscnt 0x0
	v_dual_mul_f32 v37, v35, v31 :: v_dual_mul_f32 v36, v34, v31
	s_delay_alu instid0(VALU_DEP_1) | instskip(NEXT) | instid1(VALU_DEP_2)
	v_xor_b32_e32 v76, 0x80000000, v37
	v_fmac_f32_e32 v36, v35, v30
	s_delay_alu instid0(VALU_DEP_2) | instskip(NEXT) | instid1(VALU_DEP_2)
	v_fmac_f32_e32 v76, v34, v30
	v_pk_mul_f32 v[30:31], v[36:37], v[32:33] op_sel:[0,1] op_sel_hi:[0,0]
	s_delay_alu instid0(VALU_DEP_1) | instskip(SKIP_1) | instid1(VALU_DEP_2)
	v_pk_fma_f32 v[34:35], v[76:77], v[32:33], v[30:31] op_sel_hi:[0,1,1]
	v_pk_fma_f32 v[30:31], v[76:77], v[32:33], v[30:31] neg_lo:[0,0,1] neg_hi:[0,0,1]
	v_mov_b32_e32 v31, v35
	ds_store_b64 v5, v[30:31] offset:12992
.LBB64_652:                             ;   in Loop: Header=BB64_3 Depth=1
	s_or_b32 exec_lo, exec_lo, s6
	v_mov_b64_e32 v[30:31], 0
	s_wait_dscnt 0x0
	s_barrier_signal -1
	s_barrier_wait -1
	global_wb scope:SCOPE_DEV
	s_wait_storecnt 0x0
	global_inv scope:SCOPE_DEV
	s_and_saveexec_b32 s100, s2
	s_cbranch_execz .LBB64_662
; %bb.653:                              ;   in Loop: Header=BB64_3 Depth=1
	ds_load_b64 v[30:31], v48 offset:12416
	ds_load_b64 v[32:33], v49 offset:16064
	s_wait_dscnt 0x0
	v_dual_mul_f32 v34, v33, v31 :: v_dual_mul_f32 v31, v32, v31
	s_delay_alu instid0(VALU_DEP_1) | instskip(NEXT) | instid1(VALU_DEP_1)
	v_dual_fma_f32 v32, v32, v30, -v34 :: v_dual_fmac_f32 v31, v33, v30
	v_dual_add_f32 v30, 0, v32 :: v_dual_add_f32 v31, 0, v31
	s_and_saveexec_b32 s6, s18
	s_cbranch_execnz .LBB64_1076
; %bb.654:                              ;   in Loop: Header=BB64_3 Depth=1
	s_or_b32 exec_lo, exec_lo, s6
	s_and_saveexec_b32 s6, s19
	s_cbranch_execnz .LBB64_1077
.LBB64_655:                             ;   in Loop: Header=BB64_3 Depth=1
	s_or_b32 exec_lo, exec_lo, s6
	s_and_saveexec_b32 s6, s20
	s_cbranch_execnz .LBB64_1078
.LBB64_656:                             ;   in Loop: Header=BB64_3 Depth=1
	s_or_b32 exec_lo, exec_lo, s6
	s_and_saveexec_b32 s6, s21
	s_cbranch_execnz .LBB64_1079
.LBB64_657:                             ;   in Loop: Header=BB64_3 Depth=1
	s_or_b32 exec_lo, exec_lo, s6
	s_and_saveexec_b32 s6, s22
	s_cbranch_execnz .LBB64_1080
.LBB64_658:                             ;   in Loop: Header=BB64_3 Depth=1
	s_or_b32 exec_lo, exec_lo, s6
	s_and_saveexec_b32 s6, s1
	s_cbranch_execnz .LBB64_1081
.LBB64_659:                             ;   in Loop: Header=BB64_3 Depth=1
	s_or_b32 exec_lo, exec_lo, s6
	s_and_saveexec_b32 s6, s17
	s_cbranch_execz .LBB64_661
.LBB64_660:                             ;   in Loop: Header=BB64_3 Depth=1
	ds_load_b64 v[32:33], v41 offset:16000
	ds_load_b64 v[34:35], v5 offset:16120
	s_wait_dscnt 0x0
	v_dual_mul_f32 v36, v35, v33 :: v_dual_mul_f32 v37, v34, v33
	s_delay_alu instid0(VALU_DEP_1) | instskip(NEXT) | instid1(VALU_DEP_1)
	v_dual_fma_f32 v36, v34, v32, -v36 :: v_dual_fmac_f32 v37, v35, v32
	v_pk_add_f32 v[30:31], v[30:31], v[36:37]
.LBB64_661:                             ;   in Loop: Header=BB64_3 Depth=1
	s_or_b32 exec_lo, exec_lo, s6
.LBB64_662:                             ;   in Loop: Header=BB64_3 Depth=1
	s_delay_alu instid0(SALU_CYCLE_1)
	s_or_b32 exec_lo, exec_lo, s100
	s_and_saveexec_b32 s6, s55
	s_cbranch_execz .LBB64_664
; %bb.663:                              ;   in Loop: Header=BB64_3 Depth=1
	ds_load_b64 v[32:33], v5 offset:11960
	s_wait_dscnt 0x0
	v_pk_mul_f32 v[34:35], v[30:31], v[32:33] op_sel:[1,1] op_sel_hi:[1,0]
	s_delay_alu instid0(VALU_DEP_1) | instskip(SKIP_1) | instid1(VALU_DEP_2)
	v_pk_fma_f32 v[36:37], v[30:31], v[32:33], v[34:35] op_sel_hi:[0,1,1]
	v_pk_fma_f32 v[30:31], v[30:31], v[32:33], v[34:35] neg_lo:[0,0,1] neg_hi:[0,0,1]
	v_mov_b32_e32 v31, v37
	s_delay_alu instid0(VALU_DEP_1)
	v_pk_add_f32 v[32:33], v[30:31], 0 neg_lo:[1,1] neg_hi:[1,1]
	ds_store_b64 v47, v[32:33]
.LBB64_664:                             ;   in Loop: Header=BB64_3 Depth=1
	s_or_b32 exec_lo, exec_lo, s6
	s_wait_loadcnt_dscnt 0x0
	s_barrier_signal -1
	s_barrier_wait -1
	s_and_saveexec_b32 s6, s56
	s_cbranch_execz .LBB64_666
; %bb.665:                              ;   in Loop: Header=BB64_3 Depth=1
	ds_load_b64 v[32:33], v48 offset:11904
	ds_load_b64 v[34:35], v47
	s_wait_dscnt 0x0
	v_pk_mul_f32 v[36:37], v[34:35], v[32:33] op_sel:[1,1] op_sel_hi:[0,1]
	s_delay_alu instid0(VALU_DEP_1) | instskip(SKIP_1) | instid1(VALU_DEP_2)
	v_pk_fma_f32 v[76:77], v[34:35], v[32:33], v[36:37] op_sel_hi:[1,0,1]
	v_pk_fma_f32 v[32:33], v[34:35], v[32:33], v[36:37] neg_lo:[0,0,1] neg_hi:[0,0,1]
	v_mov_b32_e32 v33, v77
	s_delay_alu instid0(VALU_DEP_1)
	v_pk_add_f32 v[30:31], v[30:31], v[32:33] neg_lo:[0,1] neg_hi:[0,1]
.LBB64_666:                             ;   in Loop: Header=BB64_3 Depth=1
	s_or_b32 exec_lo, exec_lo, s6
	s_barrier_signal -1
	s_barrier_wait -1
	s_and_saveexec_b32 s6, s57
	s_cbranch_execz .LBB64_668
; %bb.667:                              ;   in Loop: Header=BB64_3 Depth=1
	ds_load_b64 v[32:33], v5 offset:11440
	s_wait_dscnt 0x0
	v_pk_mul_f32 v[34:35], v[30:31], v[32:33] op_sel:[1,1] op_sel_hi:[1,0]
	s_delay_alu instid0(VALU_DEP_1) | instskip(SKIP_1) | instid1(VALU_DEP_2)
	v_pk_fma_f32 v[36:37], v[30:31], v[32:33], v[34:35] op_sel_hi:[0,1,1]
	v_pk_fma_f32 v[30:31], v[30:31], v[32:33], v[34:35] neg_lo:[0,0,1] neg_hi:[0,0,1]
	v_mov_b32_e32 v31, v37
	s_delay_alu instid0(VALU_DEP_1)
	v_pk_add_f32 v[32:33], v[30:31], 0 neg_lo:[1,1] neg_hi:[1,1]
	ds_store_b64 v47, v[32:33]
.LBB64_668:                             ;   in Loop: Header=BB64_3 Depth=1
	s_or_b32 exec_lo, exec_lo, s6
	s_wait_dscnt 0x0
	s_barrier_signal -1
	s_barrier_wait -1
	s_and_saveexec_b32 s6, s58
	s_cbranch_execz .LBB64_670
; %bb.669:                              ;   in Loop: Header=BB64_3 Depth=1
	ds_load_b64 v[32:33], v48 offset:11392
	ds_load_b64 v[34:35], v47
	s_wait_dscnt 0x0
	v_pk_mul_f32 v[36:37], v[34:35], v[32:33] op_sel:[1,1] op_sel_hi:[0,1]
	s_delay_alu instid0(VALU_DEP_1) | instskip(SKIP_1) | instid1(VALU_DEP_2)
	v_pk_fma_f32 v[76:77], v[34:35], v[32:33], v[36:37] op_sel_hi:[1,0,1]
	v_pk_fma_f32 v[32:33], v[34:35], v[32:33], v[36:37] neg_lo:[0,0,1] neg_hi:[0,0,1]
	v_mov_b32_e32 v33, v77
	s_delay_alu instid0(VALU_DEP_1)
	v_pk_add_f32 v[30:31], v[30:31], v[32:33] neg_lo:[0,1] neg_hi:[0,1]
.LBB64_670:                             ;   in Loop: Header=BB64_3 Depth=1
	s_or_b32 exec_lo, exec_lo, s6
	s_barrier_signal -1
	s_barrier_wait -1
	s_and_saveexec_b32 s6, s59
	s_cbranch_execz .LBB64_672
; %bb.671:                              ;   in Loop: Header=BB64_3 Depth=1
	ds_load_b64 v[32:33], v5 offset:10920
	s_wait_dscnt 0x0
	v_pk_mul_f32 v[34:35], v[30:31], v[32:33] op_sel:[1,1] op_sel_hi:[1,0]
	s_delay_alu instid0(VALU_DEP_1) | instskip(SKIP_1) | instid1(VALU_DEP_2)
	v_pk_fma_f32 v[36:37], v[30:31], v[32:33], v[34:35] op_sel_hi:[0,1,1]
	v_pk_fma_f32 v[30:31], v[30:31], v[32:33], v[34:35] neg_lo:[0,0,1] neg_hi:[0,0,1]
	v_mov_b32_e32 v31, v37
	s_delay_alu instid0(VALU_DEP_1)
	v_pk_add_f32 v[32:33], v[30:31], 0 neg_lo:[1,1] neg_hi:[1,1]
	ds_store_b64 v47, v[32:33]
.LBB64_672:                             ;   in Loop: Header=BB64_3 Depth=1
	s_or_b32 exec_lo, exec_lo, s6
	s_wait_dscnt 0x0
	s_barrier_signal -1
	s_barrier_wait -1
	s_and_saveexec_b32 s6, s60
	s_cbranch_execz .LBB64_674
; %bb.673:                              ;   in Loop: Header=BB64_3 Depth=1
	ds_load_b64 v[32:33], v48 offset:10880
	ds_load_b64 v[34:35], v47
	s_wait_dscnt 0x0
	v_pk_mul_f32 v[36:37], v[34:35], v[32:33] op_sel:[1,1] op_sel_hi:[0,1]
	s_delay_alu instid0(VALU_DEP_1) | instskip(SKIP_1) | instid1(VALU_DEP_2)
	v_pk_fma_f32 v[76:77], v[34:35], v[32:33], v[36:37] op_sel_hi:[1,0,1]
	v_pk_fma_f32 v[32:33], v[34:35], v[32:33], v[36:37] neg_lo:[0,0,1] neg_hi:[0,0,1]
	v_mov_b32_e32 v33, v77
	s_delay_alu instid0(VALU_DEP_1)
	v_pk_add_f32 v[30:31], v[30:31], v[32:33] neg_lo:[0,1] neg_hi:[0,1]
.LBB64_674:                             ;   in Loop: Header=BB64_3 Depth=1
	s_or_b32 exec_lo, exec_lo, s6
	s_barrier_signal -1
	s_barrier_wait -1
	s_and_saveexec_b32 s6, s61
	s_cbranch_execz .LBB64_676
; %bb.675:                              ;   in Loop: Header=BB64_3 Depth=1
	ds_load_b64 v[32:33], v5 offset:10400
	s_wait_dscnt 0x0
	v_pk_mul_f32 v[34:35], v[30:31], v[32:33]
	v_pk_mul_f32 v[30:31], v[30:31], v[32:33] op_sel:[1,0] op_sel_hi:[0,1]
	s_delay_alu instid0(VALU_DEP_1) | instskip(NEXT) | instid1(VALU_DEP_3)
	v_dual_mov_b32 v32, v34 :: v_dual_mov_b32 v33, v30
	v_mov_b32_e32 v30, v35
	s_delay_alu instid0(VALU_DEP_1) | instskip(SKIP_1) | instid1(VALU_DEP_2)
	v_pk_add_f32 v[34:35], v[32:33], v[30:31]
	v_pk_add_f32 v[30:31], v[32:33], v[30:31] neg_lo:[0,1] neg_hi:[0,1]
	v_mov_b32_e32 v31, v35
	s_delay_alu instid0(VALU_DEP_1)
	v_pk_add_f32 v[32:33], v[30:31], 0 neg_lo:[1,1] neg_hi:[1,1]
	ds_store_b64 v47, v[32:33]
.LBB64_676:                             ;   in Loop: Header=BB64_3 Depth=1
	s_or_b32 exec_lo, exec_lo, s6
	s_wait_dscnt 0x0
	s_barrier_signal -1
	s_barrier_wait -1
	s_and_saveexec_b32 s6, s62
	s_cbranch_execz .LBB64_678
; %bb.677:                              ;   in Loop: Header=BB64_3 Depth=1
	ds_load_b64 v[32:33], v48 offset:10368
	ds_load_b64 v[34:35], v47
	s_wait_dscnt 0x0
	v_dual_mul_f32 v36, v35, v33 :: v_dual_mul_f32 v33, v34, v33
	s_delay_alu instid0(VALU_DEP_1) | instskip(NEXT) | instid1(VALU_DEP_1)
	v_dual_fma_f32 v34, v34, v32, -v36 :: v_dual_fmac_f32 v33, v35, v32
	v_dual_sub_f32 v30, v30, v34 :: v_dual_sub_f32 v31, v31, v33
.LBB64_678:                             ;   in Loop: Header=BB64_3 Depth=1
	s_or_b32 exec_lo, exec_lo, s6
	s_barrier_signal -1
	s_barrier_wait -1
	s_and_saveexec_b32 s6, s63
	s_cbranch_execz .LBB64_680
; %bb.679:                              ;   in Loop: Header=BB64_3 Depth=1
	ds_load_b64 v[32:33], v5 offset:9880
	s_wait_dscnt 0x0
	v_dual_mul_f32 v34, v31, v32 :: v_dual_mul_f32 v36, v31, v33
	s_delay_alu instid0(VALU_DEP_1) | instskip(NEXT) | instid1(VALU_DEP_2)
	v_pk_fma_f32 v[34:35], v[30:31], v[32:33], v[34:35] op_sel:[1,0,0] op_sel_hi:[0,1,0]
	v_pk_fma_f32 v[30:31], v[30:31], v[32:33], v[36:37] op_sel_hi:[1,1,0] neg_lo:[0,0,1] neg_hi:[0,0,1]
	s_delay_alu instid0(VALU_DEP_2) | instskip(NEXT) | instid1(VALU_DEP_1)
	v_mov_b32_e32 v31, v35
	v_pk_add_f32 v[32:33], v[30:31], 0 neg_lo:[1,1] neg_hi:[1,1]
	ds_store_b64 v47, v[32:33]
.LBB64_680:                             ;   in Loop: Header=BB64_3 Depth=1
	s_or_b32 exec_lo, exec_lo, s6
	s_wait_dscnt 0x0
	s_barrier_signal -1
	s_barrier_wait -1
	s_and_saveexec_b32 s6, s64
	s_cbranch_execz .LBB64_682
; %bb.681:                              ;   in Loop: Header=BB64_3 Depth=1
	ds_load_b64 v[32:33], v48 offset:9856
	ds_load_b64 v[34:35], v47
	s_wait_dscnt 0x0
	v_pk_mul_f32 v[36:37], v[34:35], v[32:33] op_sel:[1,1] op_sel_hi:[0,1]
	s_delay_alu instid0(VALU_DEP_1) | instskip(SKIP_1) | instid1(VALU_DEP_2)
	v_pk_fma_f32 v[76:77], v[34:35], v[32:33], v[36:37] op_sel_hi:[1,0,1]
	v_pk_fma_f32 v[32:33], v[34:35], v[32:33], v[36:37] neg_lo:[0,0,1] neg_hi:[0,0,1]
	v_mov_b32_e32 v33, v77
	s_delay_alu instid0(VALU_DEP_1)
	v_pk_add_f32 v[30:31], v[30:31], v[32:33] neg_lo:[0,1] neg_hi:[0,1]
.LBB64_682:                             ;   in Loop: Header=BB64_3 Depth=1
	s_or_b32 exec_lo, exec_lo, s6
	s_barrier_signal -1
	s_barrier_wait -1
	s_and_saveexec_b32 s6, s65
	s_cbranch_execz .LBB64_684
; %bb.683:                              ;   in Loop: Header=BB64_3 Depth=1
	ds_load_b64 v[32:33], v5 offset:9360
	s_wait_dscnt 0x0
	v_pk_mul_f32 v[34:35], v[30:31], v[32:33] op_sel:[1,1] op_sel_hi:[1,0]
	s_delay_alu instid0(VALU_DEP_1) | instskip(SKIP_1) | instid1(VALU_DEP_2)
	v_pk_fma_f32 v[36:37], v[30:31], v[32:33], v[34:35] op_sel_hi:[0,1,1]
	v_pk_fma_f32 v[30:31], v[30:31], v[32:33], v[34:35] neg_lo:[0,0,1] neg_hi:[0,0,1]
	v_mov_b32_e32 v31, v37
	s_delay_alu instid0(VALU_DEP_1)
	v_pk_add_f32 v[32:33], v[30:31], 0 neg_lo:[1,1] neg_hi:[1,1]
	ds_store_b64 v47, v[32:33]
.LBB64_684:                             ;   in Loop: Header=BB64_3 Depth=1
	s_or_b32 exec_lo, exec_lo, s6
	s_wait_dscnt 0x0
	s_barrier_signal -1
	s_barrier_wait -1
	s_and_saveexec_b32 s6, s66
	s_cbranch_execz .LBB64_686
; %bb.685:                              ;   in Loop: Header=BB64_3 Depth=1
	ds_load_b64 v[32:33], v48 offset:9344
	ds_load_b64 v[34:35], v47
	s_wait_dscnt 0x0
	v_pk_mul_f32 v[36:37], v[34:35], v[32:33] op_sel:[1,1] op_sel_hi:[0,1]
	s_delay_alu instid0(VALU_DEP_1) | instskip(SKIP_1) | instid1(VALU_DEP_2)
	v_pk_fma_f32 v[76:77], v[34:35], v[32:33], v[36:37] op_sel_hi:[1,0,1]
	v_pk_fma_f32 v[32:33], v[34:35], v[32:33], v[36:37] neg_lo:[0,0,1] neg_hi:[0,0,1]
	v_mov_b32_e32 v33, v77
	s_delay_alu instid0(VALU_DEP_1)
	v_pk_add_f32 v[30:31], v[30:31], v[32:33] neg_lo:[0,1] neg_hi:[0,1]
.LBB64_686:                             ;   in Loop: Header=BB64_3 Depth=1
	s_or_b32 exec_lo, exec_lo, s6
	s_barrier_signal -1
	s_barrier_wait -1
	s_and_saveexec_b32 s6, s67
	s_cbranch_execz .LBB64_688
; %bb.687:                              ;   in Loop: Header=BB64_3 Depth=1
	ds_load_b64 v[32:33], v5 offset:8840
	s_wait_dscnt 0x0
	v_pk_mul_f32 v[34:35], v[30:31], v[32:33] op_sel:[1,1] op_sel_hi:[1,0]
	s_delay_alu instid0(VALU_DEP_1) | instskip(SKIP_1) | instid1(VALU_DEP_2)
	v_pk_fma_f32 v[36:37], v[30:31], v[32:33], v[34:35] op_sel_hi:[0,1,1]
	v_pk_fma_f32 v[30:31], v[30:31], v[32:33], v[34:35] neg_lo:[0,0,1] neg_hi:[0,0,1]
	v_mov_b32_e32 v31, v37
	s_delay_alu instid0(VALU_DEP_1)
	v_pk_add_f32 v[32:33], v[30:31], 0 neg_lo:[1,1] neg_hi:[1,1]
	ds_store_b64 v47, v[32:33]
.LBB64_688:                             ;   in Loop: Header=BB64_3 Depth=1
	;; [unrolled: 35-line block ×3, first 2 shown]
	s_or_b32 exec_lo, exec_lo, s6
	s_wait_dscnt 0x0
	s_barrier_signal -1
	s_barrier_wait -1
	s_barrier_signal -1
	s_barrier_wait -1
	s_and_saveexec_b32 s6, s2
; %bb.693:                              ;   in Loop: Header=BB64_3 Depth=1
	ds_store_b64 v50, v[30:31] offset:16000
; %bb.694:                              ;   in Loop: Header=BB64_3 Depth=1
	s_or_b32 exec_lo, exec_lo, s6
	s_wait_dscnt 0x0
	s_barrier_signal -1
	s_barrier_wait -1
	s_barrier_signal -1
	s_barrier_wait -1
	s_and_saveexec_b32 s6, s14
	s_cbranch_execz .LBB64_696
; %bb.695:                              ;   in Loop: Header=BB64_3 Depth=1
	v_add_nc_u32_e64 v30, 0xb0, 0
	ds_load_b64 v[34:35], v5 offset:11960
	ds_load_2addr_stride64_b64 v[30:33], v30 offset0:22 offset1:23
	s_wait_dscnt 0x0
	v_dual_mul_f32 v37, v35, v31 :: v_dual_mul_f32 v36, v34, v31
	s_delay_alu instid0(VALU_DEP_1) | instskip(NEXT) | instid1(VALU_DEP_2)
	v_xor_b32_e32 v76, 0x80000000, v37
	v_fmac_f32_e32 v36, v35, v30
	s_delay_alu instid0(VALU_DEP_2) | instskip(NEXT) | instid1(VALU_DEP_2)
	v_fmac_f32_e32 v76, v34, v30
	v_pk_mul_f32 v[30:31], v[36:37], v[32:33] op_sel:[0,1] op_sel_hi:[0,0]
	s_delay_alu instid0(VALU_DEP_1) | instskip(SKIP_1) | instid1(VALU_DEP_2)
	v_pk_fma_f32 v[34:35], v[76:77], v[32:33], v[30:31] op_sel_hi:[0,1,1]
	v_pk_fma_f32 v[30:31], v[76:77], v[32:33], v[30:31] neg_lo:[0,0,1] neg_hi:[0,0,1]
	v_mov_b32_e32 v31, v35
	ds_store_b64 v5, v[30:31] offset:11952
.LBB64_696:                             ;   in Loop: Header=BB64_3 Depth=1
	s_or_b32 exec_lo, exec_lo, s6
	v_dual_mov_b32 v30, 0 :: v_dual_mov_b32 v31, 0
	s_wait_dscnt 0x0
	s_barrier_signal -1
	s_barrier_wait -1
	global_wb scope:SCOPE_DEV
	s_wait_storecnt 0x0
	global_inv scope:SCOPE_DEV
	s_and_saveexec_b32 s9, s0
	s_cbranch_execz .LBB64_700
; %bb.697:                              ;   in Loop: Header=BB64_3 Depth=1
	ds_load_b64 v[30:31], v39 offset:11424
	ds_load_b64 v[32:33], v40 offset:11952
	s_wait_dscnt 0x0
	v_pk_mul_f32 v[34:35], v[32:33], v[30:31] op_sel:[1,1] op_sel_hi:[0,1]
	s_delay_alu instid0(VALU_DEP_1) | instskip(SKIP_1) | instid1(VALU_DEP_2)
	v_pk_fma_f32 v[36:37], v[32:33], v[30:31], v[34:35] op_sel_hi:[1,0,1]
	v_pk_fma_f32 v[30:31], v[32:33], v[30:31], v[34:35] neg_lo:[0,0,1] neg_hi:[0,0,1]
	v_mov_b32_e32 v31, v37
	s_delay_alu instid0(VALU_DEP_1)
	v_pk_add_f32 v[30:31], v[30:31], 0 op_sel_hi:[1,0]
	s_and_saveexec_b32 s6, s15
	s_cbranch_execz .LBB64_699
; %bb.698:                              ;   in Loop: Header=BB64_3 Depth=1
	ds_load_b64 v[32:33], v41 offset:11936
	ds_load_b64 v[34:35], v5 offset:11960
	s_wait_dscnt 0x0
	v_pk_mul_f32 v[36:37], v[34:35], v[32:33] op_sel:[1,1] op_sel_hi:[0,1]
	s_delay_alu instid0(VALU_DEP_1) | instskip(SKIP_1) | instid1(VALU_DEP_2)
	v_pk_fma_f32 v[76:77], v[34:35], v[32:33], v[36:37] op_sel_hi:[1,0,1]
	v_pk_fma_f32 v[32:33], v[34:35], v[32:33], v[36:37] neg_lo:[0,0,1] neg_hi:[0,0,1]
	v_mov_b32_e32 v33, v77
	s_delay_alu instid0(VALU_DEP_1)
	v_pk_add_f32 v[30:31], v[30:31], v[32:33]
.LBB64_699:                             ;   in Loop: Header=BB64_3 Depth=1
	s_or_b32 exec_lo, exec_lo, s6
.LBB64_700:                             ;   in Loop: Header=BB64_3 Depth=1
	s_delay_alu instid0(SALU_CYCLE_1)
	s_or_b32 exec_lo, exec_lo, s9
	s_and_saveexec_b32 s6, s47
	s_cbranch_execz .LBB64_702
; %bb.701:                              ;   in Loop: Header=BB64_3 Depth=1
	ds_load_b64 v[32:33], v5 offset:10920
	s_wait_dscnt 0x0
	v_pk_mul_f32 v[34:35], v[30:31], v[32:33] op_sel:[1,1] op_sel_hi:[1,0]
	s_delay_alu instid0(VALU_DEP_1) | instskip(SKIP_1) | instid1(VALU_DEP_2)
	v_pk_fma_f32 v[36:37], v[30:31], v[32:33], v[34:35] op_sel_hi:[0,1,1]
	v_pk_fma_f32 v[30:31], v[30:31], v[32:33], v[34:35] neg_lo:[0,0,1] neg_hi:[0,0,1]
	v_mov_b32_e32 v31, v37
	s_delay_alu instid0(VALU_DEP_1)
	v_pk_add_f32 v[32:33], v[30:31], 0 neg_lo:[1,1] neg_hi:[1,1]
	ds_store_b64 v3, v[32:33]
.LBB64_702:                             ;   in Loop: Header=BB64_3 Depth=1
	s_or_b32 exec_lo, exec_lo, s6
	s_wait_loadcnt_dscnt 0x0
	s_barrier_signal -1
	s_barrier_wait -1
	s_and_saveexec_b32 s6, s48
	s_cbranch_execz .LBB64_704
; %bb.703:                              ;   in Loop: Header=BB64_3 Depth=1
	ds_load_b64 v[32:33], v5 offset:10912
	ds_load_b64 v[34:35], v3
	s_wait_dscnt 0x0
	v_pk_mul_f32 v[36:37], v[34:35], v[32:33] op_sel:[1,1] op_sel_hi:[0,1]
	s_delay_alu instid0(VALU_DEP_1) | instskip(SKIP_1) | instid1(VALU_DEP_2)
	v_pk_fma_f32 v[76:77], v[34:35], v[32:33], v[36:37] op_sel_hi:[1,0,1]
	v_pk_fma_f32 v[32:33], v[34:35], v[32:33], v[36:37] neg_lo:[0,0,1] neg_hi:[0,0,1]
	v_mov_b32_e32 v33, v77
	s_delay_alu instid0(VALU_DEP_1)
	v_pk_add_f32 v[30:31], v[30:31], v[32:33] neg_lo:[0,1] neg_hi:[0,1]
.LBB64_704:                             ;   in Loop: Header=BB64_3 Depth=1
	s_or_b32 exec_lo, exec_lo, s6
	s_barrier_signal -1
	s_barrier_wait -1
	s_and_saveexec_b32 s6, s48
	s_cbranch_execz .LBB64_706
; %bb.705:                              ;   in Loop: Header=BB64_3 Depth=1
	ds_load_b64 v[32:33], v5 offset:10400
	s_wait_dscnt 0x0
	v_pk_mul_f32 v[34:35], v[30:31], v[32:33] op_sel:[1,1] op_sel_hi:[1,0]
	s_delay_alu instid0(VALU_DEP_1) | instskip(SKIP_1) | instid1(VALU_DEP_2)
	v_pk_fma_f32 v[36:37], v[30:31], v[32:33], v[34:35] op_sel_hi:[0,1,1]
	v_pk_fma_f32 v[30:31], v[30:31], v[32:33], v[34:35] neg_lo:[0,0,1] neg_hi:[0,0,1]
	v_mov_b32_e32 v31, v37
	s_delay_alu instid0(VALU_DEP_1)
	v_pk_add_f32 v[32:33], v[30:31], 0 neg_lo:[1,1] neg_hi:[1,1]
	ds_store_b64 v3, v[32:33]
.LBB64_706:                             ;   in Loop: Header=BB64_3 Depth=1
	s_or_b32 exec_lo, exec_lo, s6
	s_wait_dscnt 0x0
	s_barrier_signal -1
	s_barrier_wait -1
	s_barrier_signal -1
	s_barrier_wait -1
	s_and_saveexec_b32 s6, s0
; %bb.707:                              ;   in Loop: Header=BB64_3 Depth=1
	ds_store_b64 v42, v[30:31] offset:11936
; %bb.708:                              ;   in Loop: Header=BB64_3 Depth=1
	s_or_b32 exec_lo, exec_lo, s6
	s_wait_dscnt 0x0
	s_barrier_signal -1
	s_barrier_wait -1
	s_barrier_signal -1
	s_barrier_wait -1
	s_and_saveexec_b32 s6, s14
	s_cbranch_execz .LBB64_710
; %bb.709:                              ;   in Loop: Header=BB64_3 Depth=1
	v_add_nc_u32_e64 v30, 0xa0, 0
	ds_load_b64 v[34:35], v5 offset:10920
	ds_load_2addr_stride64_b64 v[30:33], v30 offset0:20 offset1:21
	s_wait_dscnt 0x0
	v_dual_mul_f32 v37, v35, v31 :: v_dual_mul_f32 v36, v34, v31
	s_delay_alu instid0(VALU_DEP_1) | instskip(NEXT) | instid1(VALU_DEP_2)
	v_xor_b32_e32 v76, 0x80000000, v37
	v_fmac_f32_e32 v36, v35, v30
	s_delay_alu instid0(VALU_DEP_2) | instskip(NEXT) | instid1(VALU_DEP_2)
	v_fmac_f32_e32 v76, v34, v30
	v_pk_mul_f32 v[30:31], v[36:37], v[32:33] op_sel:[0,1] op_sel_hi:[0,0]
	s_delay_alu instid0(VALU_DEP_1) | instskip(SKIP_1) | instid1(VALU_DEP_2)
	v_pk_fma_f32 v[34:35], v[76:77], v[32:33], v[30:31] op_sel_hi:[0,1,1]
	v_pk_fma_f32 v[30:31], v[76:77], v[32:33], v[30:31] neg_lo:[0,0,1] neg_hi:[0,0,1]
	v_mov_b32_e32 v31, v35
	ds_store_b64 v5, v[30:31] offset:10912
.LBB64_710:                             ;   in Loop: Header=BB64_3 Depth=1
	s_or_b32 exec_lo, exec_lo, s6
	v_mov_b64_e32 v[30:31], 0
	s_wait_dscnt 0x0
	s_barrier_signal -1
	s_barrier_wait -1
	global_wb scope:SCOPE_DEV
	s_wait_storecnt 0x0
	global_inv scope:SCOPE_DEV
	s_and_saveexec_b32 s100, s1
	s_cbranch_execz .LBB64_716
; %bb.711:                              ;   in Loop: Header=BB64_3 Depth=1
	ds_load_b64 v[30:31], v44 offset:10368
	ds_load_b64 v[32:33], v45 offset:11936
	s_wait_dscnt 0x0
	v_dual_mul_f32 v34, v33, v31 :: v_dual_mul_f32 v31, v32, v31
	s_delay_alu instid0(VALU_DEP_1) | instskip(NEXT) | instid1(VALU_DEP_1)
	v_dual_fma_f32 v32, v32, v30, -v34 :: v_dual_fmac_f32 v31, v33, v30
	v_dual_add_f32 v30, 0, v32 :: v_dual_add_f32 v31, 0, v31
	s_and_saveexec_b32 s6, s16
	s_cbranch_execnz .LBB64_1082
; %bb.712:                              ;   in Loop: Header=BB64_3 Depth=1
	s_or_b32 exec_lo, exec_lo, s6
	s_and_saveexec_b32 s6, s17
	s_cbranch_execnz .LBB64_1083
.LBB64_713:                             ;   in Loop: Header=BB64_3 Depth=1
	s_or_b32 exec_lo, exec_lo, s6
	s_and_saveexec_b32 s6, s0
	s_cbranch_execz .LBB64_715
.LBB64_714:                             ;   in Loop: Header=BB64_3 Depth=1
	ds_load_b64 v[32:33], v41 offset:11904
	ds_load_b64 v[34:35], v5 offset:11960
	s_wait_dscnt 0x0
	v_dual_mul_f32 v36, v35, v33 :: v_dual_mul_f32 v33, v34, v33
	s_delay_alu instid0(VALU_DEP_1) | instskip(NEXT) | instid1(VALU_DEP_1)
	v_dual_fma_f32 v34, v34, v32, -v36 :: v_dual_fmac_f32 v33, v35, v32
	v_dual_add_f32 v30, v30, v34 :: v_dual_add_f32 v31, v31, v33
.LBB64_715:                             ;   in Loop: Header=BB64_3 Depth=1
	s_or_b32 exec_lo, exec_lo, s6
.LBB64_716:                             ;   in Loop: Header=BB64_3 Depth=1
	s_delay_alu instid0(SALU_CYCLE_1)
	s_or_b32 exec_lo, exec_lo, s100
	s_and_saveexec_b32 s6, s49
	s_cbranch_execz .LBB64_718
; %bb.717:                              ;   in Loop: Header=BB64_3 Depth=1
	ds_load_b64 v[32:33], v5 offset:9880
	s_wait_dscnt 0x0
	v_dual_mul_f32 v34, v31, v32 :: v_dual_mul_f32 v36, v31, v33
	s_delay_alu instid0(VALU_DEP_1) | instskip(NEXT) | instid1(VALU_DEP_2)
	v_pk_fma_f32 v[34:35], v[30:31], v[32:33], v[34:35] op_sel:[1,0,0] op_sel_hi:[0,1,0]
	v_pk_fma_f32 v[30:31], v[30:31], v[32:33], v[36:37] op_sel_hi:[1,1,0] neg_lo:[0,0,1] neg_hi:[0,0,1]
	s_delay_alu instid0(VALU_DEP_2) | instskip(NEXT) | instid1(VALU_DEP_1)
	v_mov_b32_e32 v31, v35
	v_pk_add_f32 v[32:33], v[30:31], 0 neg_lo:[1,1] neg_hi:[1,1]
	ds_store_b64 v43, v[32:33]
.LBB64_718:                             ;   in Loop: Header=BB64_3 Depth=1
	s_or_b32 exec_lo, exec_lo, s6
	s_wait_loadcnt_dscnt 0x0
	s_barrier_signal -1
	s_barrier_wait -1
	s_and_saveexec_b32 s6, s50
	s_cbranch_execz .LBB64_720
; %bb.719:                              ;   in Loop: Header=BB64_3 Depth=1
	ds_load_b64 v[32:33], v44 offset:9856
	ds_load_b64 v[34:35], v43
	s_wait_dscnt 0x0
	v_pk_mul_f32 v[36:37], v[34:35], v[32:33] op_sel:[1,1] op_sel_hi:[0,1]
	s_delay_alu instid0(VALU_DEP_1) | instskip(SKIP_1) | instid1(VALU_DEP_2)
	v_pk_fma_f32 v[76:77], v[34:35], v[32:33], v[36:37] op_sel_hi:[1,0,1]
	v_pk_fma_f32 v[32:33], v[34:35], v[32:33], v[36:37] neg_lo:[0,0,1] neg_hi:[0,0,1]
	v_mov_b32_e32 v33, v77
	s_delay_alu instid0(VALU_DEP_1)
	v_pk_add_f32 v[30:31], v[30:31], v[32:33] neg_lo:[0,1] neg_hi:[0,1]
.LBB64_720:                             ;   in Loop: Header=BB64_3 Depth=1
	s_or_b32 exec_lo, exec_lo, s6
	s_barrier_signal -1
	s_barrier_wait -1
	s_and_saveexec_b32 s6, s51
	s_cbranch_execz .LBB64_722
; %bb.721:                              ;   in Loop: Header=BB64_3 Depth=1
	ds_load_b64 v[32:33], v5 offset:9360
	s_wait_dscnt 0x0
	v_pk_mul_f32 v[34:35], v[30:31], v[32:33] op_sel:[1,1] op_sel_hi:[1,0]
	s_delay_alu instid0(VALU_DEP_1) | instskip(SKIP_1) | instid1(VALU_DEP_2)
	v_pk_fma_f32 v[36:37], v[30:31], v[32:33], v[34:35] op_sel_hi:[0,1,1]
	v_pk_fma_f32 v[30:31], v[30:31], v[32:33], v[34:35] neg_lo:[0,0,1] neg_hi:[0,0,1]
	v_mov_b32_e32 v31, v37
	s_delay_alu instid0(VALU_DEP_1)
	v_pk_add_f32 v[32:33], v[30:31], 0 neg_lo:[1,1] neg_hi:[1,1]
	ds_store_b64 v43, v[32:33]
.LBB64_722:                             ;   in Loop: Header=BB64_3 Depth=1
	s_or_b32 exec_lo, exec_lo, s6
	s_wait_dscnt 0x0
	s_barrier_signal -1
	s_barrier_wait -1
	s_and_saveexec_b32 s6, s52
	s_cbranch_execz .LBB64_724
; %bb.723:                              ;   in Loop: Header=BB64_3 Depth=1
	ds_load_b64 v[32:33], v44 offset:9344
	ds_load_b64 v[34:35], v43
	s_wait_dscnt 0x0
	v_pk_mul_f32 v[36:37], v[34:35], v[32:33] op_sel:[1,1] op_sel_hi:[0,1]
	s_delay_alu instid0(VALU_DEP_1) | instskip(SKIP_1) | instid1(VALU_DEP_2)
	v_pk_fma_f32 v[76:77], v[34:35], v[32:33], v[36:37] op_sel_hi:[1,0,1]
	v_pk_fma_f32 v[32:33], v[34:35], v[32:33], v[36:37] neg_lo:[0,0,1] neg_hi:[0,0,1]
	v_mov_b32_e32 v33, v77
	s_delay_alu instid0(VALU_DEP_1)
	v_pk_add_f32 v[30:31], v[30:31], v[32:33] neg_lo:[0,1] neg_hi:[0,1]
.LBB64_724:                             ;   in Loop: Header=BB64_3 Depth=1
	s_or_b32 exec_lo, exec_lo, s6
	s_barrier_signal -1
	s_barrier_wait -1
	s_and_saveexec_b32 s6, s53
	s_cbranch_execz .LBB64_726
; %bb.725:                              ;   in Loop: Header=BB64_3 Depth=1
	ds_load_b64 v[32:33], v5 offset:8840
	s_wait_dscnt 0x0
	v_pk_mul_f32 v[34:35], v[30:31], v[32:33] op_sel:[1,1] op_sel_hi:[1,0]
	s_delay_alu instid0(VALU_DEP_1) | instskip(SKIP_1) | instid1(VALU_DEP_2)
	v_pk_fma_f32 v[36:37], v[30:31], v[32:33], v[34:35] op_sel_hi:[0,1,1]
	v_pk_fma_f32 v[30:31], v[30:31], v[32:33], v[34:35] neg_lo:[0,0,1] neg_hi:[0,0,1]
	v_mov_b32_e32 v31, v37
	s_delay_alu instid0(VALU_DEP_1)
	v_pk_add_f32 v[32:33], v[30:31], 0 neg_lo:[1,1] neg_hi:[1,1]
	ds_store_b64 v43, v[32:33]
.LBB64_726:                             ;   in Loop: Header=BB64_3 Depth=1
	s_or_b32 exec_lo, exec_lo, s6
	s_wait_dscnt 0x0
	;; [unrolled: 35-line block ×3, first 2 shown]
	s_barrier_signal -1
	s_barrier_wait -1
	s_barrier_signal -1
	s_barrier_wait -1
	s_and_saveexec_b32 s6, s1
; %bb.731:                              ;   in Loop: Header=BB64_3 Depth=1
	ds_store_b64 v46, v[30:31] offset:11904
; %bb.732:                              ;   in Loop: Header=BB64_3 Depth=1
	s_or_b32 exec_lo, exec_lo, s6
	s_wait_dscnt 0x0
	s_barrier_signal -1
	s_barrier_wait -1
	s_barrier_signal -1
	s_barrier_wait -1
	s_and_saveexec_b32 s6, s14
	s_cbranch_execz .LBB64_734
; %bb.733:                              ;   in Loop: Header=BB64_3 Depth=1
	v_add_nc_u32_e64 v30, 0x90, 0
	ds_load_b64 v[34:35], v5 offset:9880
	ds_load_2addr_stride64_b64 v[30:33], v30 offset0:18 offset1:19
	s_wait_dscnt 0x0
	v_dual_mul_f32 v37, v35, v31 :: v_dual_mul_f32 v36, v34, v31
	s_delay_alu instid0(VALU_DEP_1) | instskip(NEXT) | instid1(VALU_DEP_2)
	v_xor_b32_e32 v76, 0x80000000, v37
	v_fmac_f32_e32 v36, v35, v30
	s_delay_alu instid0(VALU_DEP_2) | instskip(NEXT) | instid1(VALU_DEP_2)
	v_fmac_f32_e32 v76, v34, v30
	v_pk_mul_f32 v[30:31], v[36:37], v[32:33] op_sel:[0,1] op_sel_hi:[0,0]
	s_delay_alu instid0(VALU_DEP_1) | instskip(SKIP_1) | instid1(VALU_DEP_2)
	v_pk_fma_f32 v[34:35], v[76:77], v[32:33], v[30:31] op_sel_hi:[0,1,1]
	v_pk_fma_f32 v[30:31], v[76:77], v[32:33], v[30:31] neg_lo:[0,0,1] neg_hi:[0,0,1]
	v_mov_b32_e32 v31, v35
	ds_store_b64 v5, v[30:31] offset:9872
.LBB64_734:                             ;   in Loop: Header=BB64_3 Depth=1
	s_or_b32 exec_lo, exec_lo, s6
	v_dual_mov_b32 v30, 0 :: v_dual_mov_b32 v31, 0
	s_wait_dscnt 0x0
	s_barrier_signal -1
	s_barrier_wait -1
	global_wb scope:SCOPE_DEV
	s_wait_storecnt 0x0
	global_inv scope:SCOPE_DEV
	s_and_saveexec_b32 s9, s0
	s_cbranch_execz .LBB64_738
; %bb.735:                              ;   in Loop: Header=BB64_3 Depth=1
	ds_load_b64 v[30:31], v39 offset:9344
	ds_load_b64 v[32:33], v40 offset:9872
	s_wait_dscnt 0x0
	v_pk_mul_f32 v[34:35], v[32:33], v[30:31] op_sel:[1,1] op_sel_hi:[0,1]
	s_delay_alu instid0(VALU_DEP_1) | instskip(SKIP_1) | instid1(VALU_DEP_2)
	v_pk_fma_f32 v[36:37], v[32:33], v[30:31], v[34:35] op_sel_hi:[1,0,1]
	v_pk_fma_f32 v[30:31], v[32:33], v[30:31], v[34:35] neg_lo:[0,0,1] neg_hi:[0,0,1]
	v_mov_b32_e32 v31, v37
	s_delay_alu instid0(VALU_DEP_1)
	v_pk_add_f32 v[30:31], v[30:31], 0 op_sel_hi:[1,0]
	s_and_saveexec_b32 s6, s15
	s_cbranch_execz .LBB64_737
; %bb.736:                              ;   in Loop: Header=BB64_3 Depth=1
	ds_load_b64 v[32:33], v41 offset:9856
	ds_load_b64 v[34:35], v5 offset:9880
	s_wait_dscnt 0x0
	v_pk_mul_f32 v[36:37], v[34:35], v[32:33] op_sel:[1,1] op_sel_hi:[0,1]
	s_delay_alu instid0(VALU_DEP_1) | instskip(SKIP_1) | instid1(VALU_DEP_2)
	v_pk_fma_f32 v[76:77], v[34:35], v[32:33], v[36:37] op_sel_hi:[1,0,1]
	v_pk_fma_f32 v[32:33], v[34:35], v[32:33], v[36:37] neg_lo:[0,0,1] neg_hi:[0,0,1]
	v_mov_b32_e32 v33, v77
	s_delay_alu instid0(VALU_DEP_1)
	v_pk_add_f32 v[30:31], v[30:31], v[32:33]
.LBB64_737:                             ;   in Loop: Header=BB64_3 Depth=1
	s_or_b32 exec_lo, exec_lo, s6
.LBB64_738:                             ;   in Loop: Header=BB64_3 Depth=1
	s_delay_alu instid0(SALU_CYCLE_1)
	s_or_b32 exec_lo, exec_lo, s9
	s_and_saveexec_b32 s6, s47
	s_cbranch_execz .LBB64_740
; %bb.739:                              ;   in Loop: Header=BB64_3 Depth=1
	ds_load_b64 v[32:33], v5 offset:8840
	s_wait_dscnt 0x0
	v_pk_mul_f32 v[34:35], v[30:31], v[32:33] op_sel:[1,1] op_sel_hi:[1,0]
	s_delay_alu instid0(VALU_DEP_1) | instskip(SKIP_1) | instid1(VALU_DEP_2)
	v_pk_fma_f32 v[36:37], v[30:31], v[32:33], v[34:35] op_sel_hi:[0,1,1]
	v_pk_fma_f32 v[30:31], v[30:31], v[32:33], v[34:35] neg_lo:[0,0,1] neg_hi:[0,0,1]
	v_mov_b32_e32 v31, v37
	s_delay_alu instid0(VALU_DEP_1)
	v_pk_add_f32 v[32:33], v[30:31], 0 neg_lo:[1,1] neg_hi:[1,1]
	ds_store_b64 v3, v[32:33]
.LBB64_740:                             ;   in Loop: Header=BB64_3 Depth=1
	s_or_b32 exec_lo, exec_lo, s6
	s_wait_loadcnt_dscnt 0x0
	s_barrier_signal -1
	s_barrier_wait -1
	s_and_saveexec_b32 s6, s48
	s_cbranch_execz .LBB64_742
; %bb.741:                              ;   in Loop: Header=BB64_3 Depth=1
	ds_load_b64 v[32:33], v5 offset:8832
	ds_load_b64 v[34:35], v3
	s_wait_dscnt 0x0
	v_pk_mul_f32 v[36:37], v[34:35], v[32:33] op_sel:[1,1] op_sel_hi:[0,1]
	s_delay_alu instid0(VALU_DEP_1) | instskip(SKIP_1) | instid1(VALU_DEP_2)
	v_pk_fma_f32 v[76:77], v[34:35], v[32:33], v[36:37] op_sel_hi:[1,0,1]
	v_pk_fma_f32 v[32:33], v[34:35], v[32:33], v[36:37] neg_lo:[0,0,1] neg_hi:[0,0,1]
	v_mov_b32_e32 v33, v77
	s_delay_alu instid0(VALU_DEP_1)
	v_pk_add_f32 v[30:31], v[30:31], v[32:33] neg_lo:[0,1] neg_hi:[0,1]
.LBB64_742:                             ;   in Loop: Header=BB64_3 Depth=1
	s_or_b32 exec_lo, exec_lo, s6
	s_barrier_signal -1
	s_barrier_wait -1
	s_and_saveexec_b32 s6, s48
	s_cbranch_execz .LBB64_744
; %bb.743:                              ;   in Loop: Header=BB64_3 Depth=1
	ds_load_b64 v[32:33], v5 offset:8320
	s_wait_dscnt 0x0
	v_pk_mul_f32 v[34:35], v[30:31], v[32:33] op_sel:[1,1] op_sel_hi:[1,0]
	s_delay_alu instid0(VALU_DEP_1) | instskip(SKIP_1) | instid1(VALU_DEP_2)
	v_pk_fma_f32 v[36:37], v[30:31], v[32:33], v[34:35] op_sel_hi:[0,1,1]
	v_pk_fma_f32 v[30:31], v[30:31], v[32:33], v[34:35] neg_lo:[0,0,1] neg_hi:[0,0,1]
	v_mov_b32_e32 v31, v37
	s_delay_alu instid0(VALU_DEP_1)
	v_pk_add_f32 v[32:33], v[30:31], 0 neg_lo:[1,1] neg_hi:[1,1]
	ds_store_b64 v3, v[32:33]
.LBB64_744:                             ;   in Loop: Header=BB64_3 Depth=1
	s_or_b32 exec_lo, exec_lo, s6
	s_wait_dscnt 0x0
	s_barrier_signal -1
	s_barrier_wait -1
	s_barrier_signal -1
	s_barrier_wait -1
	s_and_saveexec_b32 s6, s0
; %bb.745:                              ;   in Loop: Header=BB64_3 Depth=1
	ds_store_b64 v42, v[30:31] offset:9856
; %bb.746:                              ;   in Loop: Header=BB64_3 Depth=1
	s_or_b32 exec_lo, exec_lo, s6
	s_wait_dscnt 0x0
	s_barrier_signal -1
	s_barrier_wait -1
	s_barrier_signal -1
	s_barrier_wait -1
	s_and_saveexec_b32 s6, s14
	s_cbranch_execz .LBB64_748
; %bb.747:                              ;   in Loop: Header=BB64_3 Depth=1
	v_add_nc_u32_e64 v30, 0x80, 0
	ds_load_b64 v[34:35], v5 offset:8840
	ds_load_2addr_stride64_b64 v[30:33], v30 offset0:16 offset1:17
	s_wait_dscnt 0x0
	v_dual_mul_f32 v37, v35, v31 :: v_dual_mul_f32 v36, v34, v31
	s_delay_alu instid0(VALU_DEP_1) | instskip(NEXT) | instid1(VALU_DEP_2)
	v_xor_b32_e32 v76, 0x80000000, v37
	v_fmac_f32_e32 v36, v35, v30
	s_delay_alu instid0(VALU_DEP_2) | instskip(NEXT) | instid1(VALU_DEP_2)
	v_fmac_f32_e32 v76, v34, v30
	v_pk_mul_f32 v[30:31], v[36:37], v[32:33] op_sel:[0,1] op_sel_hi:[0,0]
	s_delay_alu instid0(VALU_DEP_1) | instskip(SKIP_1) | instid1(VALU_DEP_2)
	v_pk_fma_f32 v[34:35], v[76:77], v[32:33], v[30:31] op_sel_hi:[0,1,1]
	v_pk_fma_f32 v[30:31], v[76:77], v[32:33], v[30:31] neg_lo:[0,0,1] neg_hi:[0,0,1]
	v_mov_b32_e32 v31, v35
	ds_store_b64 v5, v[30:31] offset:8832
.LBB64_748:                             ;   in Loop: Header=BB64_3 Depth=1
	s_or_b32 exec_lo, exec_lo, s6
	v_mov_b64_e32 v[30:31], 0
	s_wait_dscnt 0x0
	s_barrier_signal -1
	s_barrier_wait -1
	global_wb scope:SCOPE_DEV
	s_wait_storecnt 0x0
	global_inv scope:SCOPE_DEV
	s_and_saveexec_b32 s100, s3
	s_cbranch_execz .LBB64_776
; %bb.749:                              ;   in Loop: Header=BB64_3 Depth=1
	ds_load_b64 v[30:31], v52 offset:8192
	ds_load_b64 v[32:33], v53 offset:16000
	v_readlane_b32 s7, v85, 2
	s_wait_dscnt 0x0
	v_dual_mul_f32 v34, v33, v31 :: v_dual_mul_f32 v31, v32, v31
	s_delay_alu instid0(VALU_DEP_1) | instskip(NEXT) | instid1(VALU_DEP_1)
	v_dual_fma_f32 v32, v32, v30, -v34 :: v_dual_fmac_f32 v31, v33, v30
	v_dual_add_f32 v30, 0, v32 :: v_dual_add_f32 v31, 0, v31
	s_and_saveexec_b32 s6, s7
	s_cbranch_execz .LBB64_751
; %bb.750:                              ;   in Loop: Header=BB64_3 Depth=1
	ds_load_b64 v[32:33], v52 offset:8704
	ds_load_b64 v[34:35], v53 offset:16008
	s_wait_dscnt 0x0
	v_dual_mul_f32 v36, v35, v33 :: v_dual_mul_f32 v33, v34, v33
	s_delay_alu instid0(VALU_DEP_1) | instskip(NEXT) | instid1(VALU_DEP_1)
	v_dual_fma_f32 v34, v34, v32, -v36 :: v_dual_fmac_f32 v33, v35, v32
	v_dual_add_f32 v30, v30, v34 :: v_dual_add_f32 v31, v31, v33
.LBB64_751:                             ;   in Loop: Header=BB64_3 Depth=1
	s_or_b32 exec_lo, exec_lo, s6
	v_readlane_b32 s7, v85, 3
	s_and_saveexec_b32 s6, s7
	s_cbranch_execz .LBB64_753
; %bb.752:                              ;   in Loop: Header=BB64_3 Depth=1
	ds_load_b64 v[32:33], v52 offset:9216
	ds_load_b64 v[34:35], v53 offset:16016
	s_wait_dscnt 0x0
	v_dual_mul_f32 v36, v35, v33 :: v_dual_mul_f32 v33, v34, v33
	s_delay_alu instid0(VALU_DEP_1) | instskip(NEXT) | instid1(VALU_DEP_1)
	v_dual_fma_f32 v34, v34, v32, -v36 :: v_dual_fmac_f32 v33, v35, v32
	v_dual_add_f32 v30, v30, v34 :: v_dual_add_f32 v31, v31, v33
.LBB64_753:                             ;   in Loop: Header=BB64_3 Depth=1
	s_or_b32 exec_lo, exec_lo, s6
	v_readlane_b32 s7, v85, 4
	;; [unrolled: 13-line block ×10, first 2 shown]
	s_and_saveexec_b32 s6, s7
	s_cbranch_execnz .LBB64_1084
; %bb.770:                              ;   in Loop: Header=BB64_3 Depth=1
	s_or_b32 exec_lo, exec_lo, s6
	s_and_saveexec_b32 s6, s2
	s_cbranch_execnz .LBB64_1085
.LBB64_771:                             ;   in Loop: Header=BB64_3 Depth=1
	s_or_b32 exec_lo, exec_lo, s6
	s_and_saveexec_b32 s6, s19
	s_cbranch_execnz .LBB64_1086
.LBB64_772:                             ;   in Loop: Header=BB64_3 Depth=1
	s_or_b32 exec_lo, exec_lo, s6
	s_and_saveexec_b32 s6, s21
	s_cbranch_execnz .LBB64_1087
.LBB64_773:                             ;   in Loop: Header=BB64_3 Depth=1
	s_or_b32 exec_lo, exec_lo, s6
	s_and_saveexec_b32 s6, s1
	s_cbranch_execz .LBB64_775
.LBB64_774:                             ;   in Loop: Header=BB64_3 Depth=1
	ds_load_b64 v[32:33], v41 offset:15872
	ds_load_b64 v[34:35], v5 offset:16120
	s_wait_dscnt 0x0
	v_dual_mul_f32 v36, v35, v33 :: v_dual_mul_f32 v37, v34, v33
	s_delay_alu instid0(VALU_DEP_1) | instskip(NEXT) | instid1(VALU_DEP_1)
	v_dual_fma_f32 v36, v34, v32, -v36 :: v_dual_fmac_f32 v37, v35, v32
	v_pk_add_f32 v[30:31], v[30:31], v[36:37]
.LBB64_775:                             ;   in Loop: Header=BB64_3 Depth=1
	s_or_b32 exec_lo, exec_lo, s6
.LBB64_776:                             ;   in Loop: Header=BB64_3 Depth=1
	s_delay_alu instid0(SALU_CYCLE_1)
	s_or_b32 exec_lo, exec_lo, s100
	v_readlane_b32 s7, v86, 5
	s_and_saveexec_b32 s6, s7
	s_cbranch_execz .LBB64_778
; %bb.777:                              ;   in Loop: Header=BB64_3 Depth=1
	ds_load_b64 v[32:33], v5 offset:7800
	s_wait_dscnt 0x0
	v_pk_mul_f32 v[34:35], v[30:31], v[32:33] op_sel:[1,1] op_sel_hi:[1,0]
	s_delay_alu instid0(VALU_DEP_1) | instskip(SKIP_1) | instid1(VALU_DEP_2)
	v_pk_fma_f32 v[36:37], v[30:31], v[32:33], v[34:35] op_sel_hi:[0,1,1]
	v_pk_fma_f32 v[30:31], v[30:31], v[32:33], v[34:35] neg_lo:[0,0,1] neg_hi:[0,0,1]
	v_mov_b32_e32 v31, v37
	s_delay_alu instid0(VALU_DEP_1)
	v_pk_add_f32 v[32:33], v[30:31], 0 neg_lo:[1,1] neg_hi:[1,1]
	ds_store_b64 v51, v[32:33]
.LBB64_778:                             ;   in Loop: Header=BB64_3 Depth=1
	s_or_b32 exec_lo, exec_lo, s6
	v_readlane_b32 s7, v86, 6
	s_wait_loadcnt_dscnt 0x0
	s_barrier_signal -1
	s_barrier_wait -1
	s_and_saveexec_b32 s6, s7
	s_cbranch_execz .LBB64_780
; %bb.779:                              ;   in Loop: Header=BB64_3 Depth=1
	ds_load_b64 v[32:33], v52 offset:7680
	ds_load_b64 v[34:35], v51
	s_wait_dscnt 0x0
	v_pk_mul_f32 v[36:37], v[34:35], v[32:33] op_sel:[1,1] op_sel_hi:[0,1]
	s_delay_alu instid0(VALU_DEP_1) | instskip(SKIP_1) | instid1(VALU_DEP_2)
	v_pk_fma_f32 v[76:77], v[34:35], v[32:33], v[36:37] op_sel_hi:[1,0,1]
	v_pk_fma_f32 v[32:33], v[34:35], v[32:33], v[36:37] neg_lo:[0,0,1] neg_hi:[0,0,1]
	v_mov_b32_e32 v33, v77
	s_delay_alu instid0(VALU_DEP_1)
	v_pk_add_f32 v[30:31], v[30:31], v[32:33] neg_lo:[0,1] neg_hi:[0,1]
.LBB64_780:                             ;   in Loop: Header=BB64_3 Depth=1
	s_or_b32 exec_lo, exec_lo, s6
	v_readlane_b32 s7, v86, 7
	s_barrier_signal -1
	s_barrier_wait -1
	s_and_saveexec_b32 s6, s7
	s_cbranch_execz .LBB64_782
; %bb.781:                              ;   in Loop: Header=BB64_3 Depth=1
	ds_load_b64 v[32:33], v5 offset:7280
	s_wait_dscnt 0x0
	v_pk_mul_f32 v[34:35], v[30:31], v[32:33] op_sel:[1,1] op_sel_hi:[1,0]
	s_delay_alu instid0(VALU_DEP_1) | instskip(SKIP_1) | instid1(VALU_DEP_2)
	v_pk_fma_f32 v[36:37], v[30:31], v[32:33], v[34:35] op_sel_hi:[0,1,1]
	v_pk_fma_f32 v[30:31], v[30:31], v[32:33], v[34:35] neg_lo:[0,0,1] neg_hi:[0,0,1]
	v_mov_b32_e32 v31, v37
	s_delay_alu instid0(VALU_DEP_1)
	v_pk_add_f32 v[32:33], v[30:31], 0 neg_lo:[1,1] neg_hi:[1,1]
	ds_store_b64 v51, v[32:33]
.LBB64_782:                             ;   in Loop: Header=BB64_3 Depth=1
	s_or_b32 exec_lo, exec_lo, s6
	v_readlane_b32 s7, v86, 8
	s_wait_dscnt 0x0
	s_barrier_signal -1
	s_barrier_wait -1
	s_and_saveexec_b32 s6, s7
	s_cbranch_execz .LBB64_784
; %bb.783:                              ;   in Loop: Header=BB64_3 Depth=1
	ds_load_b64 v[32:33], v52 offset:7168
	ds_load_b64 v[34:35], v51
	s_wait_dscnt 0x0
	v_pk_mul_f32 v[36:37], v[34:35], v[32:33] op_sel:[1,1] op_sel_hi:[0,1]
	s_delay_alu instid0(VALU_DEP_1) | instskip(SKIP_1) | instid1(VALU_DEP_2)
	v_pk_fma_f32 v[76:77], v[34:35], v[32:33], v[36:37] op_sel_hi:[1,0,1]
	v_pk_fma_f32 v[32:33], v[34:35], v[32:33], v[36:37] neg_lo:[0,0,1] neg_hi:[0,0,1]
	v_mov_b32_e32 v33, v77
	s_delay_alu instid0(VALU_DEP_1)
	v_pk_add_f32 v[30:31], v[30:31], v[32:33] neg_lo:[0,1] neg_hi:[0,1]
.LBB64_784:                             ;   in Loop: Header=BB64_3 Depth=1
	s_or_b32 exec_lo, exec_lo, s6
	v_readlane_b32 s7, v86, 9
	s_barrier_signal -1
	s_barrier_wait -1
	s_and_saveexec_b32 s6, s7
	s_cbranch_execz .LBB64_786
; %bb.785:                              ;   in Loop: Header=BB64_3 Depth=1
	ds_load_b64 v[32:33], v5 offset:6760
	s_wait_dscnt 0x0
	v_pk_mul_f32 v[34:35], v[30:31], v[32:33] op_sel:[1,1] op_sel_hi:[1,0]
	s_delay_alu instid0(VALU_DEP_1) | instskip(SKIP_1) | instid1(VALU_DEP_2)
	v_pk_fma_f32 v[36:37], v[30:31], v[32:33], v[34:35] op_sel_hi:[0,1,1]
	v_pk_fma_f32 v[30:31], v[30:31], v[32:33], v[34:35] neg_lo:[0,0,1] neg_hi:[0,0,1]
	v_mov_b32_e32 v31, v37
	s_delay_alu instid0(VALU_DEP_1)
	v_pk_add_f32 v[32:33], v[30:31], 0 neg_lo:[1,1] neg_hi:[1,1]
	ds_store_b64 v51, v[32:33]
.LBB64_786:                             ;   in Loop: Header=BB64_3 Depth=1
	s_or_b32 exec_lo, exec_lo, s6
	s_wait_dscnt 0x0
	s_barrier_signal -1
	s_barrier_wait -1
	s_and_saveexec_b32 s6, s23
	s_cbranch_execz .LBB64_788
; %bb.787:                              ;   in Loop: Header=BB64_3 Depth=1
	ds_load_b64 v[32:33], v52 offset:6656
	ds_load_b64 v[34:35], v51
	s_wait_dscnt 0x0
	v_pk_mul_f32 v[36:37], v[34:35], v[32:33] op_sel:[1,1] op_sel_hi:[0,1]
	s_delay_alu instid0(VALU_DEP_1) | instskip(SKIP_1) | instid1(VALU_DEP_2)
	v_pk_fma_f32 v[76:77], v[34:35], v[32:33], v[36:37] op_sel_hi:[1,0,1]
	v_pk_fma_f32 v[32:33], v[34:35], v[32:33], v[36:37] neg_lo:[0,0,1] neg_hi:[0,0,1]
	v_mov_b32_e32 v33, v77
	s_delay_alu instid0(VALU_DEP_1)
	v_pk_add_f32 v[30:31], v[30:31], v[32:33] neg_lo:[0,1] neg_hi:[0,1]
.LBB64_788:                             ;   in Loop: Header=BB64_3 Depth=1
	s_or_b32 exec_lo, exec_lo, s6
	s_delay_alu instid0(VALU_DEP_1)
	v_dual_mov_b32 v32, v31 :: v_dual_mov_b32 v33, v30
	s_barrier_signal -1
	s_barrier_wait -1
	s_and_saveexec_b32 s6, s25
	s_cbranch_execz .LBB64_790
; %bb.789:                              ;   in Loop: Header=BB64_3 Depth=1
	ds_load_b64 v[34:35], v5 offset:6240
	s_wait_dscnt 0x0
	v_dual_mul_f32 v36, v33, v35 :: v_dual_mul_f32 v76, v31, v35
	s_delay_alu instid0(VALU_DEP_1) | instskip(NEXT) | instid1(VALU_DEP_2)
	v_pk_fma_f32 v[32:33], v[32:33], v[34:35], v[36:37] op_sel_hi:[1,1,0]
	v_pk_fma_f32 v[30:31], v[30:31], v[34:35], v[76:77] op_sel_hi:[1,1,0] neg_lo:[0,0,1] neg_hi:[0,0,1]
	s_delay_alu instid0(VALU_DEP_1) | instskip(NEXT) | instid1(VALU_DEP_1)
	v_dual_mov_b32 v31, v32 :: v_dual_mov_b32 v33, v30
	v_pk_add_f32 v[34:35], v[30:31], 0 neg_lo:[1,1] neg_hi:[1,1]
	ds_store_b64 v51, v[34:35]
.LBB64_790:                             ;   in Loop: Header=BB64_3 Depth=1
	s_or_b32 exec_lo, exec_lo, s6
	s_wait_dscnt 0x0
	s_barrier_signal -1
	s_barrier_wait -1
	s_and_saveexec_b32 s6, s27
	s_cbranch_execz .LBB64_792
; %bb.791:                              ;   in Loop: Header=BB64_3 Depth=1
	ds_load_b64 v[30:31], v52 offset:6144
	ds_load_b64 v[34:35], v51
	s_wait_dscnt 0x0
	v_dual_mul_f32 v37, v35, v31 :: v_dual_mul_f32 v36, v34, v31
	s_delay_alu instid0(VALU_DEP_1) | instskip(NEXT) | instid1(VALU_DEP_1)
	v_dual_fma_f32 v37, v34, v30, -v37 :: v_dual_fmac_f32 v36, v35, v30
	v_pk_add_f32 v[32:33], v[32:33], v[36:37] neg_lo:[0,1] neg_hi:[0,1]
.LBB64_792:                             ;   in Loop: Header=BB64_3 Depth=1
	s_or_b32 exec_lo, exec_lo, s6
	s_barrier_signal -1
	s_barrier_wait -1
	s_and_saveexec_b32 s6, s29
	s_cbranch_execz .LBB64_794
; %bb.793:                              ;   in Loop: Header=BB64_3 Depth=1
	ds_load_b64 v[30:31], v5 offset:5720
	s_wait_dscnt 0x0
	v_pk_mul_f32 v[34:35], v[32:33], v[30:31] op_sel_hi:[0,1]
	s_delay_alu instid0(VALU_DEP_1) | instskip(SKIP_1) | instid1(VALU_DEP_2)
	v_pk_fma_f32 v[36:37], v[32:33], v[30:31], v[34:35] op_sel:[1,1,0] op_sel_hi:[1,0,1] neg_lo:[0,0,1] neg_hi:[0,0,1]
	v_pk_fma_f32 v[32:33], v[32:33], v[30:31], v[34:35] op_sel:[1,1,0] op_sel_hi:[1,0,1]
	v_mov_b32_e32 v33, v37
	s_delay_alu instid0(VALU_DEP_2)
	v_xor_b32_e32 v31, 0x80000000, v32
	v_xor_b32_e32 v30, 0x80000000, v37
	ds_store_b64 v51, v[30:31]
.LBB64_794:                             ;   in Loop: Header=BB64_3 Depth=1
	s_or_b32 exec_lo, exec_lo, s6
	s_wait_dscnt 0x0
	s_barrier_signal -1
	s_barrier_wait -1
	s_and_saveexec_b32 s6, s31
	s_cbranch_execz .LBB64_796
; %bb.795:                              ;   in Loop: Header=BB64_3 Depth=1
	ds_load_b64 v[30:31], v52 offset:5632
	ds_load_b64 v[34:35], v51
	s_wait_dscnt 0x0
	v_pk_mul_f32 v[36:37], v[34:35], v[30:31] op_sel:[0,1]
	s_delay_alu instid0(VALU_DEP_1) | instskip(SKIP_1) | instid1(VALU_DEP_2)
	v_pk_fma_f32 v[76:77], v[34:35], v[30:31], v[36:37] op_sel:[1,0,0] op_sel_hi:[0,0,1] neg_lo:[0,0,1] neg_hi:[0,0,1]
	v_pk_fma_f32 v[30:31], v[34:35], v[30:31], v[36:37] op_sel:[1,0,0] op_sel_hi:[0,1,1]
	v_mov_b32_e32 v31, v77
	s_delay_alu instid0(VALU_DEP_1)
	v_pk_add_f32 v[32:33], v[32:33], v[30:31] neg_lo:[0,1] neg_hi:[0,1]
.LBB64_796:                             ;   in Loop: Header=BB64_3 Depth=1
	s_or_b32 exec_lo, exec_lo, s6
	s_barrier_signal -1
	s_barrier_wait -1
	s_and_saveexec_b32 s6, s34
	s_cbranch_execz .LBB64_798
; %bb.797:                              ;   in Loop: Header=BB64_3 Depth=1
	ds_load_b64 v[30:31], v5 offset:5200
	s_wait_dscnt 0x0
	v_pk_mul_f32 v[34:35], v[32:33], v[30:31] op_sel_hi:[0,1]
	s_delay_alu instid0(VALU_DEP_1) | instskip(SKIP_1) | instid1(VALU_DEP_2)
	v_pk_fma_f32 v[36:37], v[32:33], v[30:31], v[34:35] op_sel:[1,1,0] op_sel_hi:[1,0,1] neg_lo:[0,0,1] neg_hi:[0,0,1]
	v_pk_fma_f32 v[32:33], v[32:33], v[30:31], v[34:35] op_sel:[1,1,0] op_sel_hi:[1,0,1]
	v_mov_b32_e32 v33, v37
	s_delay_alu instid0(VALU_DEP_2)
	v_xor_b32_e32 v31, 0x80000000, v32
	v_xor_b32_e32 v30, 0x80000000, v37
	ds_store_b64 v51, v[30:31]
.LBB64_798:                             ;   in Loop: Header=BB64_3 Depth=1
	s_or_b32 exec_lo, exec_lo, s6
	s_wait_dscnt 0x0
	s_barrier_signal -1
	s_barrier_wait -1
	s_and_saveexec_b32 s6, s38
	s_cbranch_execz .LBB64_800
; %bb.799:                              ;   in Loop: Header=BB64_3 Depth=1
	ds_load_b64 v[30:31], v52 offset:5120
	ds_load_b64 v[34:35], v51
	s_wait_dscnt 0x0
	v_pk_mul_f32 v[36:37], v[34:35], v[30:31] op_sel:[0,1]
	s_delay_alu instid0(VALU_DEP_1) | instskip(SKIP_1) | instid1(VALU_DEP_2)
	v_pk_fma_f32 v[76:77], v[34:35], v[30:31], v[36:37] op_sel:[1,0,0] op_sel_hi:[0,0,1] neg_lo:[0,0,1] neg_hi:[0,0,1]
	v_pk_fma_f32 v[30:31], v[34:35], v[30:31], v[36:37] op_sel:[1,0,0] op_sel_hi:[0,1,1]
	v_mov_b32_e32 v31, v77
	s_delay_alu instid0(VALU_DEP_1)
	v_pk_add_f32 v[32:33], v[32:33], v[30:31] neg_lo:[0,1] neg_hi:[0,1]
.LBB64_800:                             ;   in Loop: Header=BB64_3 Depth=1
	s_or_b32 exec_lo, exec_lo, s6
	s_barrier_signal -1
	s_barrier_wait -1
	s_and_saveexec_b32 s6, s39
	s_cbranch_execz .LBB64_802
; %bb.801:                              ;   in Loop: Header=BB64_3 Depth=1
	ds_load_b64 v[30:31], v5 offset:4680
	s_wait_dscnt 0x0
	v_pk_mul_f32 v[34:35], v[32:33], v[30:31] op_sel_hi:[0,1]
	s_delay_alu instid0(VALU_DEP_1) | instskip(SKIP_1) | instid1(VALU_DEP_2)
	v_pk_fma_f32 v[36:37], v[32:33], v[30:31], v[34:35] op_sel:[1,1,0] op_sel_hi:[1,0,1] neg_lo:[0,0,1] neg_hi:[0,0,1]
	v_pk_fma_f32 v[32:33], v[32:33], v[30:31], v[34:35] op_sel:[1,1,0] op_sel_hi:[1,0,1]
	v_mov_b32_e32 v33, v37
	s_delay_alu instid0(VALU_DEP_2)
	v_xor_b32_e32 v31, 0x80000000, v32
	v_xor_b32_e32 v30, 0x80000000, v37
	ds_store_b64 v51, v[30:31]
.LBB64_802:                             ;   in Loop: Header=BB64_3 Depth=1
	s_or_b32 exec_lo, exec_lo, s6
	s_wait_dscnt 0x0
	s_barrier_signal -1
	s_barrier_wait -1
	s_and_saveexec_b32 s6, s40
	s_cbranch_execz .LBB64_804
; %bb.803:                              ;   in Loop: Header=BB64_3 Depth=1
	ds_load_b64 v[30:31], v52 offset:4608
	ds_load_b64 v[34:35], v51
	s_wait_dscnt 0x0
	v_pk_mul_f32 v[36:37], v[34:35], v[30:31] op_sel:[0,1]
	s_delay_alu instid0(VALU_DEP_1) | instskip(SKIP_1) | instid1(VALU_DEP_2)
	v_pk_fma_f32 v[76:77], v[34:35], v[30:31], v[36:37] op_sel:[1,0,0] op_sel_hi:[0,0,1] neg_lo:[0,0,1] neg_hi:[0,0,1]
	v_pk_fma_f32 v[30:31], v[34:35], v[30:31], v[36:37] op_sel:[1,0,0] op_sel_hi:[0,1,1]
	v_mov_b32_e32 v31, v77
	s_delay_alu instid0(VALU_DEP_1)
	v_pk_add_f32 v[32:33], v[32:33], v[30:31] neg_lo:[0,1] neg_hi:[0,1]
.LBB64_804:                             ;   in Loop: Header=BB64_3 Depth=1
	s_or_b32 exec_lo, exec_lo, s6
	s_delay_alu instid0(VALU_DEP_1)
	v_dual_mov_b32 v30, v33 :: v_dual_mov_b32 v31, v32
	s_barrier_signal -1
	s_barrier_wait -1
	s_and_saveexec_b32 s6, s41
	s_cbranch_execz .LBB64_806
; %bb.805:                              ;   in Loop: Header=BB64_3 Depth=1
	ds_load_b64 v[34:35], v5 offset:4160
	s_wait_dscnt 0x0
	v_dual_mul_f32 v36, v32, v34 :: v_dual_mul_f32 v76, v31, v35
	s_delay_alu instid0(VALU_DEP_1) | instskip(NEXT) | instid1(VALU_DEP_2)
	v_pk_fma_f32 v[32:33], v[32:33], v[34:35], v[36:37] op_sel_hi:[1,1,0]
	v_pk_fma_f32 v[30:31], v[30:31], v[34:35], v[76:77] op_sel_hi:[1,1,0] neg_lo:[0,0,1] neg_hi:[0,0,1]
	s_delay_alu instid0(VALU_DEP_2) | instskip(NEXT) | instid1(VALU_DEP_1)
	v_mov_b32_e32 v31, v33
	v_pk_add_f32 v[32:33], v[30:31], 0 neg_lo:[1,1] neg_hi:[1,1]
	ds_store_b64 v51, v[32:33]
.LBB64_806:                             ;   in Loop: Header=BB64_3 Depth=1
	s_or_b32 exec_lo, exec_lo, s6
	s_wait_dscnt 0x0
	s_barrier_signal -1
	s_barrier_wait -1
	s_and_saveexec_b32 s6, s92
	s_cbranch_execz .LBB64_808
; %bb.807:                              ;   in Loop: Header=BB64_3 Depth=1
	ds_load_b64 v[32:33], v52 offset:4096
	ds_load_b64 v[34:35], v51
	s_wait_dscnt 0x0
	v_dual_mul_f32 v36, v35, v33 :: v_dual_mul_f32 v37, v34, v33
	s_delay_alu instid0(VALU_DEP_1) | instskip(NEXT) | instid1(VALU_DEP_1)
	v_dual_fma_f32 v36, v34, v32, -v36 :: v_dual_fmac_f32 v37, v35, v32
	v_pk_add_f32 v[30:31], v[30:31], v[36:37] neg_lo:[0,1] neg_hi:[0,1]
.LBB64_808:                             ;   in Loop: Header=BB64_3 Depth=1
	s_or_b32 exec_lo, exec_lo, s6
	s_barrier_signal -1
	s_barrier_wait -1
	s_and_saveexec_b32 s6, s93
	s_cbranch_execz .LBB64_810
; %bb.809:                              ;   in Loop: Header=BB64_3 Depth=1
	ds_load_b64 v[32:33], v5 offset:3640
	s_wait_dscnt 0x0
	v_pk_mul_f32 v[34:35], v[30:31], v[32:33] op_sel:[1,1] op_sel_hi:[1,0]
	s_delay_alu instid0(VALU_DEP_1) | instskip(SKIP_1) | instid1(VALU_DEP_2)
	v_pk_fma_f32 v[36:37], v[30:31], v[32:33], v[34:35] op_sel_hi:[0,1,1]
	v_pk_fma_f32 v[30:31], v[30:31], v[32:33], v[34:35] neg_lo:[0,0,1] neg_hi:[0,0,1]
	v_mov_b32_e32 v31, v37
	s_delay_alu instid0(VALU_DEP_1)
	v_pk_add_f32 v[32:33], v[30:31], 0 neg_lo:[1,1] neg_hi:[1,1]
	ds_store_b64 v51, v[32:33]
.LBB64_810:                             ;   in Loop: Header=BB64_3 Depth=1
	s_or_b32 exec_lo, exec_lo, s6
	s_wait_dscnt 0x0
	s_barrier_signal -1
	s_barrier_wait -1
	s_and_saveexec_b32 s6, s90
	s_cbranch_execz .LBB64_812
; %bb.811:                              ;   in Loop: Header=BB64_3 Depth=1
	ds_load_b64 v[32:33], v52 offset:3584
	ds_load_b64 v[34:35], v51
	s_wait_dscnt 0x0
	v_pk_mul_f32 v[36:37], v[34:35], v[32:33] op_sel:[1,1] op_sel_hi:[0,1]
	s_delay_alu instid0(VALU_DEP_1) | instskip(SKIP_1) | instid1(VALU_DEP_2)
	v_pk_fma_f32 v[76:77], v[34:35], v[32:33], v[36:37] op_sel_hi:[1,0,1]
	v_pk_fma_f32 v[32:33], v[34:35], v[32:33], v[36:37] neg_lo:[0,0,1] neg_hi:[0,0,1]
	v_mov_b32_e32 v33, v77
	s_delay_alu instid0(VALU_DEP_1)
	v_pk_add_f32 v[30:31], v[30:31], v[32:33] neg_lo:[0,1] neg_hi:[0,1]
.LBB64_812:                             ;   in Loop: Header=BB64_3 Depth=1
	s_or_b32 exec_lo, exec_lo, s6
	s_barrier_signal -1
	s_barrier_wait -1
	s_and_saveexec_b32 s6, s91
	s_cbranch_execz .LBB64_814
; %bb.813:                              ;   in Loop: Header=BB64_3 Depth=1
	ds_load_b64 v[32:33], v5 offset:3120
	s_wait_dscnt 0x0
	v_pk_mul_f32 v[34:35], v[30:31], v[32:33] op_sel:[1,1] op_sel_hi:[1,0]
	s_delay_alu instid0(VALU_DEP_1) | instskip(SKIP_1) | instid1(VALU_DEP_2)
	v_pk_fma_f32 v[36:37], v[30:31], v[32:33], v[34:35] op_sel_hi:[0,1,1]
	v_pk_fma_f32 v[30:31], v[30:31], v[32:33], v[34:35] neg_lo:[0,0,1] neg_hi:[0,0,1]
	v_mov_b32_e32 v31, v37
	s_delay_alu instid0(VALU_DEP_1)
	v_pk_add_f32 v[32:33], v[30:31], 0 neg_lo:[1,1] neg_hi:[1,1]
	ds_store_b64 v51, v[32:33]
.LBB64_814:                             ;   in Loop: Header=BB64_3 Depth=1
	s_or_b32 exec_lo, exec_lo, s6
	s_wait_dscnt 0x0
	s_barrier_signal -1
	s_barrier_wait -1
	s_and_saveexec_b32 s6, s42
	s_cbranch_execz .LBB64_816
; %bb.815:                              ;   in Loop: Header=BB64_3 Depth=1
	ds_load_b64 v[32:33], v52 offset:3072
	ds_load_b64 v[34:35], v51
	s_wait_dscnt 0x0
	v_pk_mul_f32 v[36:37], v[34:35], v[32:33] op_sel:[1,1] op_sel_hi:[0,1]
	s_delay_alu instid0(VALU_DEP_1) | instskip(SKIP_1) | instid1(VALU_DEP_2)
	v_pk_fma_f32 v[76:77], v[34:35], v[32:33], v[36:37] op_sel_hi:[1,0,1]
	v_pk_fma_f32 v[32:33], v[34:35], v[32:33], v[36:37] neg_lo:[0,0,1] neg_hi:[0,0,1]
	v_mov_b32_e32 v33, v77
	s_delay_alu instid0(VALU_DEP_1)
	v_pk_add_f32 v[30:31], v[30:31], v[32:33] neg_lo:[0,1] neg_hi:[0,1]
.LBB64_816:                             ;   in Loop: Header=BB64_3 Depth=1
	s_or_b32 exec_lo, exec_lo, s6
	s_barrier_signal -1
	s_barrier_wait -1
	s_and_saveexec_b32 s6, s24
	s_cbranch_execz .LBB64_818
; %bb.817:                              ;   in Loop: Header=BB64_3 Depth=1
	ds_load_b64 v[32:33], v5 offset:2600
	s_wait_dscnt 0x0
	v_pk_mul_f32 v[34:35], v[30:31], v[32:33] op_sel:[1,1] op_sel_hi:[1,0]
	s_delay_alu instid0(VALU_DEP_1) | instskip(SKIP_1) | instid1(VALU_DEP_2)
	v_pk_fma_f32 v[36:37], v[30:31], v[32:33], v[34:35] op_sel_hi:[0,1,1]
	v_pk_fma_f32 v[30:31], v[30:31], v[32:33], v[34:35] neg_lo:[0,0,1] neg_hi:[0,0,1]
	v_mov_b32_e32 v31, v37
	s_delay_alu instid0(VALU_DEP_1)
	v_pk_add_f32 v[32:33], v[30:31], 0 neg_lo:[1,1] neg_hi:[1,1]
	ds_store_b64 v51, v[32:33]
.LBB64_818:                             ;   in Loop: Header=BB64_3 Depth=1
	s_or_b32 exec_lo, exec_lo, s6
	s_wait_dscnt 0x0
	s_barrier_signal -1
	s_barrier_wait -1
	s_and_saveexec_b32 s6, s26
	s_cbranch_execz .LBB64_820
; %bb.819:                              ;   in Loop: Header=BB64_3 Depth=1
	ds_load_b64 v[32:33], v52 offset:2560
	ds_load_b64 v[34:35], v51
	s_wait_dscnt 0x0
	v_pk_mul_f32 v[36:37], v[34:35], v[32:33] op_sel:[1,1] op_sel_hi:[0,1]
	s_delay_alu instid0(VALU_DEP_1) | instskip(SKIP_1) | instid1(VALU_DEP_2)
	v_pk_fma_f32 v[76:77], v[34:35], v[32:33], v[36:37] op_sel_hi:[1,0,1]
	v_pk_fma_f32 v[32:33], v[34:35], v[32:33], v[36:37] neg_lo:[0,0,1] neg_hi:[0,0,1]
	v_mov_b32_e32 v33, v77
	s_delay_alu instid0(VALU_DEP_1)
	v_pk_add_f32 v[30:31], v[30:31], v[32:33] neg_lo:[0,1] neg_hi:[0,1]
.LBB64_820:                             ;   in Loop: Header=BB64_3 Depth=1
	s_or_b32 exec_lo, exec_lo, s6
	s_barrier_signal -1
	s_barrier_wait -1
	s_and_saveexec_b32 s6, s28
	s_cbranch_execz .LBB64_822
; %bb.821:                              ;   in Loop: Header=BB64_3 Depth=1
	ds_load_b64 v[32:33], v5 offset:2080
	s_wait_dscnt 0x0
	v_pk_mul_f32 v[34:35], v[30:31], v[32:33]
	v_pk_mul_f32 v[30:31], v[30:31], v[32:33] op_sel:[1,0] op_sel_hi:[0,1]
	s_delay_alu instid0(VALU_DEP_1) | instskip(NEXT) | instid1(VALU_DEP_3)
	v_dual_mov_b32 v32, v34 :: v_dual_mov_b32 v33, v30
	v_mov_b32_e32 v30, v35
	s_delay_alu instid0(VALU_DEP_1) | instskip(SKIP_1) | instid1(VALU_DEP_2)
	v_pk_add_f32 v[34:35], v[32:33], v[30:31]
	v_pk_add_f32 v[30:31], v[32:33], v[30:31] neg_lo:[0,1] neg_hi:[0,1]
	v_mov_b32_e32 v31, v35
	s_delay_alu instid0(VALU_DEP_1)
	v_pk_add_f32 v[32:33], v[30:31], 0 neg_lo:[1,1] neg_hi:[1,1]
	ds_store_b64 v51, v[32:33]
.LBB64_822:                             ;   in Loop: Header=BB64_3 Depth=1
	s_or_b32 exec_lo, exec_lo, s6
	s_wait_dscnt 0x0
	s_barrier_signal -1
	s_barrier_wait -1
	s_and_saveexec_b32 s6, s30
	s_cbranch_execz .LBB64_824
; %bb.823:                              ;   in Loop: Header=BB64_3 Depth=1
	ds_load_b64 v[32:33], v52 offset:2048
	ds_load_b64 v[34:35], v51
	s_wait_dscnt 0x0
	v_dual_mul_f32 v36, v35, v33 :: v_dual_mul_f32 v33, v34, v33
	s_delay_alu instid0(VALU_DEP_1) | instskip(NEXT) | instid1(VALU_DEP_1)
	v_dual_fma_f32 v34, v34, v32, -v36 :: v_dual_fmac_f32 v33, v35, v32
	v_dual_sub_f32 v30, v30, v34 :: v_dual_sub_f32 v31, v31, v33
.LBB64_824:                             ;   in Loop: Header=BB64_3 Depth=1
	s_or_b32 exec_lo, exec_lo, s6
	s_barrier_signal -1
	s_barrier_wait -1
	s_and_saveexec_b32 s6, s33
	s_cbranch_execz .LBB64_826
; %bb.825:                              ;   in Loop: Header=BB64_3 Depth=1
	ds_load_b64 v[32:33], v5 offset:1560
	s_wait_dscnt 0x0
	v_dual_mul_f32 v34, v31, v32 :: v_dual_mul_f32 v36, v31, v33
	s_delay_alu instid0(VALU_DEP_1) | instskip(NEXT) | instid1(VALU_DEP_2)
	v_pk_fma_f32 v[34:35], v[30:31], v[32:33], v[34:35] op_sel:[1,0,0] op_sel_hi:[0,1,0]
	v_pk_fma_f32 v[30:31], v[30:31], v[32:33], v[36:37] op_sel_hi:[1,1,0] neg_lo:[0,0,1] neg_hi:[0,0,1]
	s_delay_alu instid0(VALU_DEP_2) | instskip(NEXT) | instid1(VALU_DEP_1)
	v_mov_b32_e32 v31, v35
	v_pk_add_f32 v[32:33], v[30:31], 0 neg_lo:[1,1] neg_hi:[1,1]
	ds_store_b64 v51, v[32:33]
.LBB64_826:                             ;   in Loop: Header=BB64_3 Depth=1
	s_or_b32 exec_lo, exec_lo, s6
	s_wait_dscnt 0x0
	s_barrier_signal -1
	s_barrier_wait -1
	s_and_saveexec_b32 s6, s45
	s_cbranch_execz .LBB64_828
; %bb.827:                              ;   in Loop: Header=BB64_3 Depth=1
	ds_load_b64 v[32:33], v52 offset:1536
	ds_load_b64 v[34:35], v51
	s_wait_dscnt 0x0
	v_pk_mul_f32 v[36:37], v[34:35], v[32:33] op_sel:[1,1] op_sel_hi:[0,1]
	s_delay_alu instid0(VALU_DEP_1) | instskip(SKIP_1) | instid1(VALU_DEP_2)
	v_pk_fma_f32 v[76:77], v[34:35], v[32:33], v[36:37] op_sel_hi:[1,0,1]
	v_pk_fma_f32 v[32:33], v[34:35], v[32:33], v[36:37] neg_lo:[0,0,1] neg_hi:[0,0,1]
	v_mov_b32_e32 v33, v77
	s_delay_alu instid0(VALU_DEP_1)
	v_pk_add_f32 v[30:31], v[30:31], v[32:33] neg_lo:[0,1] neg_hi:[0,1]
.LBB64_828:                             ;   in Loop: Header=BB64_3 Depth=1
	s_or_b32 exec_lo, exec_lo, s6
	s_barrier_signal -1
	s_barrier_wait -1
	s_and_saveexec_b32 s6, s78
	s_cbranch_execz .LBB64_830
; %bb.829:                              ;   in Loop: Header=BB64_3 Depth=1
	ds_load_b64 v[32:33], v5 offset:1040
	s_wait_dscnt 0x0
	v_pk_mul_f32 v[34:35], v[30:31], v[32:33] op_sel:[1,1] op_sel_hi:[1,0]
	s_delay_alu instid0(VALU_DEP_1) | instskip(SKIP_1) | instid1(VALU_DEP_2)
	v_pk_fma_f32 v[36:37], v[30:31], v[32:33], v[34:35] op_sel_hi:[0,1,1]
	v_pk_fma_f32 v[30:31], v[30:31], v[32:33], v[34:35] neg_lo:[0,0,1] neg_hi:[0,0,1]
	v_mov_b32_e32 v31, v37
	s_delay_alu instid0(VALU_DEP_1)
	v_pk_add_f32 v[32:33], v[30:31], 0 neg_lo:[1,1] neg_hi:[1,1]
	ds_store_b64 v51, v[32:33]
.LBB64_830:                             ;   in Loop: Header=BB64_3 Depth=1
	s_or_b32 exec_lo, exec_lo, s6
	s_wait_dscnt 0x0
	s_barrier_signal -1
	s_barrier_wait -1
	s_and_saveexec_b32 s6, s79
	s_cbranch_execz .LBB64_832
; %bb.831:                              ;   in Loop: Header=BB64_3 Depth=1
	ds_load_b64 v[32:33], v52 offset:1024
	ds_load_b64 v[34:35], v51
	s_wait_dscnt 0x0
	v_pk_mul_f32 v[36:37], v[34:35], v[32:33] op_sel:[1,1] op_sel_hi:[0,1]
	s_delay_alu instid0(VALU_DEP_1) | instskip(SKIP_1) | instid1(VALU_DEP_2)
	v_pk_fma_f32 v[76:77], v[34:35], v[32:33], v[36:37] op_sel_hi:[1,0,1]
	v_pk_fma_f32 v[32:33], v[34:35], v[32:33], v[36:37] neg_lo:[0,0,1] neg_hi:[0,0,1]
	v_mov_b32_e32 v33, v77
	s_delay_alu instid0(VALU_DEP_1)
	v_pk_add_f32 v[30:31], v[30:31], v[32:33] neg_lo:[0,1] neg_hi:[0,1]
.LBB64_832:                             ;   in Loop: Header=BB64_3 Depth=1
	s_or_b32 exec_lo, exec_lo, s6
	s_barrier_signal -1
	s_barrier_wait -1
	s_and_saveexec_b32 s6, s76
	s_cbranch_execz .LBB64_834
; %bb.833:                              ;   in Loop: Header=BB64_3 Depth=1
	ds_load_b64 v[32:33], v5 offset:520
	s_wait_dscnt 0x0
	v_pk_mul_f32 v[34:35], v[30:31], v[32:33] op_sel:[1,1] op_sel_hi:[1,0]
	s_delay_alu instid0(VALU_DEP_1) | instskip(SKIP_1) | instid1(VALU_DEP_2)
	v_pk_fma_f32 v[36:37], v[30:31], v[32:33], v[34:35] op_sel_hi:[0,1,1]
	v_pk_fma_f32 v[30:31], v[30:31], v[32:33], v[34:35] neg_lo:[0,0,1] neg_hi:[0,0,1]
	v_mov_b32_e32 v31, v37
	s_delay_alu instid0(VALU_DEP_1)
	v_pk_add_f32 v[32:33], v[30:31], 0 neg_lo:[1,1] neg_hi:[1,1]
	ds_store_b64 v51, v[32:33]
.LBB64_834:                             ;   in Loop: Header=BB64_3 Depth=1
	s_or_b32 exec_lo, exec_lo, s6
	s_wait_dscnt 0x0
	s_barrier_signal -1
	s_barrier_wait -1
	s_and_saveexec_b32 s6, s77
	s_cbranch_execz .LBB64_836
; %bb.835:                              ;   in Loop: Header=BB64_3 Depth=1
	ds_load_b64 v[32:33], v5 offset:512
	ds_load_b64 v[34:35], v51
	s_wait_dscnt 0x0
	v_pk_mul_f32 v[36:37], v[34:35], v[32:33] op_sel:[1,1] op_sel_hi:[0,1]
	s_delay_alu instid0(VALU_DEP_1) | instskip(SKIP_1) | instid1(VALU_DEP_2)
	v_pk_fma_f32 v[76:77], v[34:35], v[32:33], v[36:37] op_sel_hi:[1,0,1]
	v_pk_fma_f32 v[32:33], v[34:35], v[32:33], v[36:37] neg_lo:[0,0,1] neg_hi:[0,0,1]
	v_mov_b32_e32 v33, v77
	s_delay_alu instid0(VALU_DEP_1)
	v_pk_add_f32 v[30:31], v[30:31], v[32:33] neg_lo:[0,1] neg_hi:[0,1]
.LBB64_836:                             ;   in Loop: Header=BB64_3 Depth=1
	s_or_b32 exec_lo, exec_lo, s6
	s_barrier_signal -1
	s_barrier_wait -1
	s_and_saveexec_b32 s6, s77
	s_cbranch_execz .LBB64_838
; %bb.837:                              ;   in Loop: Header=BB64_3 Depth=1
	ds_load_b64 v[32:33], v5
	s_wait_dscnt 0x0
	v_pk_mul_f32 v[34:35], v[30:31], v[32:33] op_sel:[1,1] op_sel_hi:[1,0]
	s_delay_alu instid0(VALU_DEP_1) | instskip(SKIP_1) | instid1(VALU_DEP_2)
	v_pk_fma_f32 v[36:37], v[30:31], v[32:33], v[34:35] op_sel_hi:[0,1,1]
	v_pk_fma_f32 v[30:31], v[30:31], v[32:33], v[34:35] neg_lo:[0,0,1] neg_hi:[0,0,1]
	v_mov_b32_e32 v31, v37
	s_delay_alu instid0(VALU_DEP_1)
	v_pk_add_f32 v[32:33], v[30:31], 0 neg_lo:[1,1] neg_hi:[1,1]
	ds_store_b64 v51, v[32:33]
.LBB64_838:                             ;   in Loop: Header=BB64_3 Depth=1
	s_or_b32 exec_lo, exec_lo, s6
	s_wait_dscnt 0x0
	s_barrier_signal -1
	s_barrier_wait -1
	s_barrier_signal -1
	s_barrier_wait -1
	s_and_saveexec_b32 s6, s3
; %bb.839:                              ;   in Loop: Header=BB64_3 Depth=1
	ds_store_b64 v55, v[30:31] offset:15872
; %bb.840:                              ;   in Loop: Header=BB64_3 Depth=1
	s_or_b32 exec_lo, exec_lo, s6
	s_wait_dscnt 0x0
	s_barrier_signal -1
	s_barrier_wait -1
	s_barrier_signal -1
	s_barrier_wait -1
	s_and_saveexec_b32 s6, s14
	s_cbranch_execz .LBB64_842
; %bb.841:                              ;   in Loop: Header=BB64_3 Depth=1
	v_add_nc_u32_e64 v30, 0x70, 0
	ds_load_b64 v[34:35], v5 offset:7800
	ds_load_2addr_stride64_b64 v[30:33], v30 offset0:14 offset1:15
	s_wait_dscnt 0x0
	v_dual_mul_f32 v37, v35, v31 :: v_dual_mul_f32 v36, v34, v31
	s_delay_alu instid0(VALU_DEP_1) | instskip(NEXT) | instid1(VALU_DEP_2)
	v_xor_b32_e32 v76, 0x80000000, v37
	v_fmac_f32_e32 v36, v35, v30
	s_delay_alu instid0(VALU_DEP_2) | instskip(NEXT) | instid1(VALU_DEP_2)
	v_fmac_f32_e32 v76, v34, v30
	v_pk_mul_f32 v[30:31], v[36:37], v[32:33] op_sel:[0,1] op_sel_hi:[0,0]
	s_delay_alu instid0(VALU_DEP_1) | instskip(SKIP_1) | instid1(VALU_DEP_2)
	v_pk_fma_f32 v[34:35], v[76:77], v[32:33], v[30:31] op_sel_hi:[0,1,1]
	v_pk_fma_f32 v[30:31], v[76:77], v[32:33], v[30:31] neg_lo:[0,0,1] neg_hi:[0,0,1]
	v_mov_b32_e32 v31, v35
	ds_store_b64 v5, v[30:31] offset:7792
.LBB64_842:                             ;   in Loop: Header=BB64_3 Depth=1
	s_or_b32 exec_lo, exec_lo, s6
	v_dual_mov_b32 v30, 0 :: v_dual_mov_b32 v31, 0
	s_wait_dscnt 0x0
	s_barrier_signal -1
	s_barrier_wait -1
	global_wb scope:SCOPE_DEV
	s_wait_storecnt 0x0
	global_inv scope:SCOPE_DEV
	s_and_saveexec_b32 s9, s0
	s_cbranch_execz .LBB64_846
; %bb.843:                              ;   in Loop: Header=BB64_3 Depth=1
	ds_load_b64 v[30:31], v39 offset:7264
	ds_load_b64 v[32:33], v40 offset:7792
	s_wait_dscnt 0x0
	v_pk_mul_f32 v[34:35], v[32:33], v[30:31] op_sel:[1,1] op_sel_hi:[0,1]
	s_delay_alu instid0(VALU_DEP_1) | instskip(SKIP_1) | instid1(VALU_DEP_2)
	v_pk_fma_f32 v[36:37], v[32:33], v[30:31], v[34:35] op_sel_hi:[1,0,1]
	v_pk_fma_f32 v[30:31], v[32:33], v[30:31], v[34:35] neg_lo:[0,0,1] neg_hi:[0,0,1]
	v_mov_b32_e32 v31, v37
	s_delay_alu instid0(VALU_DEP_1)
	v_pk_add_f32 v[30:31], v[30:31], 0 op_sel_hi:[1,0]
	s_and_saveexec_b32 s6, s15
	s_cbranch_execz .LBB64_845
; %bb.844:                              ;   in Loop: Header=BB64_3 Depth=1
	ds_load_b64 v[32:33], v41 offset:7776
	ds_load_b64 v[34:35], v5 offset:7800
	s_wait_dscnt 0x0
	v_pk_mul_f32 v[36:37], v[34:35], v[32:33] op_sel:[1,1] op_sel_hi:[0,1]
	s_delay_alu instid0(VALU_DEP_1) | instskip(SKIP_1) | instid1(VALU_DEP_2)
	v_pk_fma_f32 v[76:77], v[34:35], v[32:33], v[36:37] op_sel_hi:[1,0,1]
	v_pk_fma_f32 v[32:33], v[34:35], v[32:33], v[36:37] neg_lo:[0,0,1] neg_hi:[0,0,1]
	v_mov_b32_e32 v33, v77
	s_delay_alu instid0(VALU_DEP_1)
	v_pk_add_f32 v[30:31], v[30:31], v[32:33]
.LBB64_845:                             ;   in Loop: Header=BB64_3 Depth=1
	s_or_b32 exec_lo, exec_lo, s6
.LBB64_846:                             ;   in Loop: Header=BB64_3 Depth=1
	s_delay_alu instid0(SALU_CYCLE_1)
	s_or_b32 exec_lo, exec_lo, s9
	s_and_saveexec_b32 s6, s47
	s_cbranch_execz .LBB64_848
; %bb.847:                              ;   in Loop: Header=BB64_3 Depth=1
	ds_load_b64 v[32:33], v5 offset:6760
	s_wait_dscnt 0x0
	v_pk_mul_f32 v[34:35], v[30:31], v[32:33] op_sel:[1,1] op_sel_hi:[1,0]
	s_delay_alu instid0(VALU_DEP_1) | instskip(SKIP_1) | instid1(VALU_DEP_2)
	v_pk_fma_f32 v[36:37], v[30:31], v[32:33], v[34:35] op_sel_hi:[0,1,1]
	v_pk_fma_f32 v[30:31], v[30:31], v[32:33], v[34:35] neg_lo:[0,0,1] neg_hi:[0,0,1]
	v_mov_b32_e32 v31, v37
	s_delay_alu instid0(VALU_DEP_1)
	v_pk_add_f32 v[32:33], v[30:31], 0 neg_lo:[1,1] neg_hi:[1,1]
	ds_store_b64 v3, v[32:33]
.LBB64_848:                             ;   in Loop: Header=BB64_3 Depth=1
	s_or_b32 exec_lo, exec_lo, s6
	s_wait_loadcnt_dscnt 0x0
	s_barrier_signal -1
	s_barrier_wait -1
	s_and_saveexec_b32 s6, s48
	s_cbranch_execz .LBB64_850
; %bb.849:                              ;   in Loop: Header=BB64_3 Depth=1
	ds_load_b64 v[32:33], v5 offset:6752
	ds_load_b64 v[34:35], v3
	s_wait_dscnt 0x0
	v_pk_mul_f32 v[36:37], v[34:35], v[32:33] op_sel:[1,1] op_sel_hi:[0,1]
	s_delay_alu instid0(VALU_DEP_1) | instskip(SKIP_1) | instid1(VALU_DEP_2)
	v_pk_fma_f32 v[76:77], v[34:35], v[32:33], v[36:37] op_sel_hi:[1,0,1]
	v_pk_fma_f32 v[32:33], v[34:35], v[32:33], v[36:37] neg_lo:[0,0,1] neg_hi:[0,0,1]
	v_mov_b32_e32 v33, v77
	s_delay_alu instid0(VALU_DEP_1)
	v_pk_add_f32 v[30:31], v[30:31], v[32:33] neg_lo:[0,1] neg_hi:[0,1]
.LBB64_850:                             ;   in Loop: Header=BB64_3 Depth=1
	s_or_b32 exec_lo, exec_lo, s6
	s_barrier_signal -1
	s_barrier_wait -1
	s_and_saveexec_b32 s6, s48
	s_cbranch_execz .LBB64_852
; %bb.851:                              ;   in Loop: Header=BB64_3 Depth=1
	ds_load_b64 v[32:33], v5 offset:6240
	s_wait_dscnt 0x0
	v_pk_mul_f32 v[34:35], v[30:31], v[32:33] op_sel:[1,1] op_sel_hi:[1,0]
	s_delay_alu instid0(VALU_DEP_1) | instskip(SKIP_1) | instid1(VALU_DEP_2)
	v_pk_fma_f32 v[36:37], v[30:31], v[32:33], v[34:35] op_sel_hi:[0,1,1]
	v_pk_fma_f32 v[30:31], v[30:31], v[32:33], v[34:35] neg_lo:[0,0,1] neg_hi:[0,0,1]
	v_mov_b32_e32 v31, v37
	s_delay_alu instid0(VALU_DEP_1)
	v_pk_add_f32 v[32:33], v[30:31], 0 neg_lo:[1,1] neg_hi:[1,1]
	ds_store_b64 v3, v[32:33]
.LBB64_852:                             ;   in Loop: Header=BB64_3 Depth=1
	s_or_b32 exec_lo, exec_lo, s6
	s_wait_dscnt 0x0
	s_barrier_signal -1
	s_barrier_wait -1
	s_barrier_signal -1
	s_barrier_wait -1
	s_and_saveexec_b32 s6, s0
; %bb.853:                              ;   in Loop: Header=BB64_3 Depth=1
	ds_store_b64 v42, v[30:31] offset:7776
; %bb.854:                              ;   in Loop: Header=BB64_3 Depth=1
	s_or_b32 exec_lo, exec_lo, s6
	s_wait_dscnt 0x0
	s_barrier_signal -1
	s_barrier_wait -1
	s_barrier_signal -1
	s_barrier_wait -1
	s_and_saveexec_b32 s6, s14
	s_cbranch_execz .LBB64_856
; %bb.855:                              ;   in Loop: Header=BB64_3 Depth=1
	v_add_nc_u32_e64 v30, 0x60, 0
	ds_load_b64 v[34:35], v5 offset:6760
	ds_load_2addr_stride64_b64 v[30:33], v30 offset0:12 offset1:13
	s_wait_dscnt 0x0
	v_dual_mul_f32 v37, v35, v31 :: v_dual_mul_f32 v36, v34, v31
	s_delay_alu instid0(VALU_DEP_1) | instskip(NEXT) | instid1(VALU_DEP_2)
	v_xor_b32_e32 v76, 0x80000000, v37
	v_fmac_f32_e32 v36, v35, v30
	s_delay_alu instid0(VALU_DEP_2) | instskip(NEXT) | instid1(VALU_DEP_2)
	v_fmac_f32_e32 v76, v34, v30
	v_pk_mul_f32 v[30:31], v[36:37], v[32:33] op_sel:[0,1] op_sel_hi:[0,0]
	s_delay_alu instid0(VALU_DEP_1) | instskip(SKIP_1) | instid1(VALU_DEP_2)
	v_pk_fma_f32 v[34:35], v[76:77], v[32:33], v[30:31] op_sel_hi:[0,1,1]
	v_pk_fma_f32 v[30:31], v[76:77], v[32:33], v[30:31] neg_lo:[0,0,1] neg_hi:[0,0,1]
	v_mov_b32_e32 v31, v35
	ds_store_b64 v5, v[30:31] offset:6752
.LBB64_856:                             ;   in Loop: Header=BB64_3 Depth=1
	s_or_b32 exec_lo, exec_lo, s6
	v_mov_b64_e32 v[30:31], 0
	s_wait_dscnt 0x0
	s_barrier_signal -1
	s_barrier_wait -1
	global_wb scope:SCOPE_DEV
	s_wait_storecnt 0x0
	global_inv scope:SCOPE_DEV
	s_and_saveexec_b32 s100, s1
	s_cbranch_execz .LBB64_862
; %bb.857:                              ;   in Loop: Header=BB64_3 Depth=1
	ds_load_b64 v[30:31], v44 offset:6208
	ds_load_b64 v[32:33], v45 offset:7776
	s_wait_dscnt 0x0
	v_dual_mul_f32 v34, v33, v31 :: v_dual_mul_f32 v31, v32, v31
	s_delay_alu instid0(VALU_DEP_1) | instskip(NEXT) | instid1(VALU_DEP_1)
	v_dual_fma_f32 v32, v32, v30, -v34 :: v_dual_fmac_f32 v31, v33, v30
	v_dual_add_f32 v30, 0, v32 :: v_dual_add_f32 v31, 0, v31
	s_and_saveexec_b32 s6, s16
	s_cbranch_execnz .LBB64_1088
; %bb.858:                              ;   in Loop: Header=BB64_3 Depth=1
	s_or_b32 exec_lo, exec_lo, s6
	s_and_saveexec_b32 s6, s17
	s_cbranch_execnz .LBB64_1089
.LBB64_859:                             ;   in Loop: Header=BB64_3 Depth=1
	s_or_b32 exec_lo, exec_lo, s6
	s_and_saveexec_b32 s6, s0
	s_cbranch_execz .LBB64_861
.LBB64_860:                             ;   in Loop: Header=BB64_3 Depth=1
	ds_load_b64 v[32:33], v41 offset:7744
	ds_load_b64 v[34:35], v5 offset:7800
	s_wait_dscnt 0x0
	v_dual_mul_f32 v36, v35, v33 :: v_dual_mul_f32 v33, v34, v33
	s_delay_alu instid0(VALU_DEP_1) | instskip(NEXT) | instid1(VALU_DEP_1)
	v_dual_fma_f32 v34, v34, v32, -v36 :: v_dual_fmac_f32 v33, v35, v32
	v_dual_add_f32 v30, v30, v34 :: v_dual_add_f32 v31, v31, v33
.LBB64_861:                             ;   in Loop: Header=BB64_3 Depth=1
	s_or_b32 exec_lo, exec_lo, s6
.LBB64_862:                             ;   in Loop: Header=BB64_3 Depth=1
	s_delay_alu instid0(SALU_CYCLE_1)
	s_or_b32 exec_lo, exec_lo, s100
	s_and_saveexec_b32 s6, s49
	s_cbranch_execz .LBB64_864
; %bb.863:                              ;   in Loop: Header=BB64_3 Depth=1
	ds_load_b64 v[32:33], v5 offset:5720
	s_wait_dscnt 0x0
	v_dual_mul_f32 v34, v31, v32 :: v_dual_mul_f32 v36, v31, v33
	s_delay_alu instid0(VALU_DEP_1) | instskip(NEXT) | instid1(VALU_DEP_2)
	v_pk_fma_f32 v[34:35], v[30:31], v[32:33], v[34:35] op_sel:[1,0,0] op_sel_hi:[0,1,0]
	v_pk_fma_f32 v[30:31], v[30:31], v[32:33], v[36:37] op_sel_hi:[1,1,0] neg_lo:[0,0,1] neg_hi:[0,0,1]
	s_delay_alu instid0(VALU_DEP_2) | instskip(NEXT) | instid1(VALU_DEP_1)
	v_mov_b32_e32 v31, v35
	v_pk_add_f32 v[32:33], v[30:31], 0 neg_lo:[1,1] neg_hi:[1,1]
	ds_store_b64 v43, v[32:33]
.LBB64_864:                             ;   in Loop: Header=BB64_3 Depth=1
	s_or_b32 exec_lo, exec_lo, s6
	s_wait_loadcnt_dscnt 0x0
	s_barrier_signal -1
	s_barrier_wait -1
	s_and_saveexec_b32 s6, s50
	s_cbranch_execz .LBB64_866
; %bb.865:                              ;   in Loop: Header=BB64_3 Depth=1
	ds_load_b64 v[32:33], v44 offset:5696
	ds_load_b64 v[34:35], v43
	s_wait_dscnt 0x0
	v_pk_mul_f32 v[36:37], v[34:35], v[32:33] op_sel:[1,1] op_sel_hi:[0,1]
	s_delay_alu instid0(VALU_DEP_1) | instskip(SKIP_1) | instid1(VALU_DEP_2)
	v_pk_fma_f32 v[76:77], v[34:35], v[32:33], v[36:37] op_sel_hi:[1,0,1]
	v_pk_fma_f32 v[32:33], v[34:35], v[32:33], v[36:37] neg_lo:[0,0,1] neg_hi:[0,0,1]
	v_mov_b32_e32 v33, v77
	s_delay_alu instid0(VALU_DEP_1)
	v_pk_add_f32 v[30:31], v[30:31], v[32:33] neg_lo:[0,1] neg_hi:[0,1]
.LBB64_866:                             ;   in Loop: Header=BB64_3 Depth=1
	s_or_b32 exec_lo, exec_lo, s6
	s_barrier_signal -1
	s_barrier_wait -1
	s_and_saveexec_b32 s6, s51
	s_cbranch_execz .LBB64_868
; %bb.867:                              ;   in Loop: Header=BB64_3 Depth=1
	ds_load_b64 v[32:33], v5 offset:5200
	s_wait_dscnt 0x0
	v_pk_mul_f32 v[34:35], v[30:31], v[32:33] op_sel:[1,1] op_sel_hi:[1,0]
	s_delay_alu instid0(VALU_DEP_1) | instskip(SKIP_1) | instid1(VALU_DEP_2)
	v_pk_fma_f32 v[36:37], v[30:31], v[32:33], v[34:35] op_sel_hi:[0,1,1]
	v_pk_fma_f32 v[30:31], v[30:31], v[32:33], v[34:35] neg_lo:[0,0,1] neg_hi:[0,0,1]
	v_mov_b32_e32 v31, v37
	s_delay_alu instid0(VALU_DEP_1)
	v_pk_add_f32 v[32:33], v[30:31], 0 neg_lo:[1,1] neg_hi:[1,1]
	ds_store_b64 v43, v[32:33]
.LBB64_868:                             ;   in Loop: Header=BB64_3 Depth=1
	s_or_b32 exec_lo, exec_lo, s6
	s_wait_dscnt 0x0
	s_barrier_signal -1
	s_barrier_wait -1
	s_and_saveexec_b32 s6, s52
	s_cbranch_execz .LBB64_870
; %bb.869:                              ;   in Loop: Header=BB64_3 Depth=1
	ds_load_b64 v[32:33], v44 offset:5184
	ds_load_b64 v[34:35], v43
	s_wait_dscnt 0x0
	v_pk_mul_f32 v[36:37], v[34:35], v[32:33] op_sel:[1,1] op_sel_hi:[0,1]
	s_delay_alu instid0(VALU_DEP_1) | instskip(SKIP_1) | instid1(VALU_DEP_2)
	v_pk_fma_f32 v[76:77], v[34:35], v[32:33], v[36:37] op_sel_hi:[1,0,1]
	v_pk_fma_f32 v[32:33], v[34:35], v[32:33], v[36:37] neg_lo:[0,0,1] neg_hi:[0,0,1]
	v_mov_b32_e32 v33, v77
	s_delay_alu instid0(VALU_DEP_1)
	v_pk_add_f32 v[30:31], v[30:31], v[32:33] neg_lo:[0,1] neg_hi:[0,1]
.LBB64_870:                             ;   in Loop: Header=BB64_3 Depth=1
	s_or_b32 exec_lo, exec_lo, s6
	s_barrier_signal -1
	s_barrier_wait -1
	s_and_saveexec_b32 s6, s53
	s_cbranch_execz .LBB64_872
; %bb.871:                              ;   in Loop: Header=BB64_3 Depth=1
	ds_load_b64 v[32:33], v5 offset:4680
	s_wait_dscnt 0x0
	v_pk_mul_f32 v[34:35], v[30:31], v[32:33] op_sel:[1,1] op_sel_hi:[1,0]
	s_delay_alu instid0(VALU_DEP_1) | instskip(SKIP_1) | instid1(VALU_DEP_2)
	v_pk_fma_f32 v[36:37], v[30:31], v[32:33], v[34:35] op_sel_hi:[0,1,1]
	v_pk_fma_f32 v[30:31], v[30:31], v[32:33], v[34:35] neg_lo:[0,0,1] neg_hi:[0,0,1]
	v_mov_b32_e32 v31, v37
	s_delay_alu instid0(VALU_DEP_1)
	v_pk_add_f32 v[32:33], v[30:31], 0 neg_lo:[1,1] neg_hi:[1,1]
	ds_store_b64 v43, v[32:33]
.LBB64_872:                             ;   in Loop: Header=BB64_3 Depth=1
	s_or_b32 exec_lo, exec_lo, s6
	s_wait_dscnt 0x0
	;; [unrolled: 35-line block ×3, first 2 shown]
	s_barrier_signal -1
	s_barrier_wait -1
	s_barrier_signal -1
	s_barrier_wait -1
	s_and_saveexec_b32 s6, s1
; %bb.877:                              ;   in Loop: Header=BB64_3 Depth=1
	ds_store_b64 v46, v[30:31] offset:7744
; %bb.878:                              ;   in Loop: Header=BB64_3 Depth=1
	s_or_b32 exec_lo, exec_lo, s6
	s_wait_dscnt 0x0
	s_barrier_signal -1
	s_barrier_wait -1
	s_barrier_signal -1
	s_barrier_wait -1
	s_and_saveexec_b32 s6, s14
	s_cbranch_execz .LBB64_880
; %bb.879:                              ;   in Loop: Header=BB64_3 Depth=1
	v_add_nc_u32_e64 v30, 0x50, 0
	ds_load_b64 v[34:35], v5 offset:5720
	ds_load_2addr_stride64_b64 v[30:33], v30 offset0:10 offset1:11
	s_wait_dscnt 0x0
	v_dual_mul_f32 v37, v35, v31 :: v_dual_mul_f32 v36, v34, v31
	s_delay_alu instid0(VALU_DEP_1) | instskip(NEXT) | instid1(VALU_DEP_2)
	v_xor_b32_e32 v76, 0x80000000, v37
	v_fmac_f32_e32 v36, v35, v30
	s_delay_alu instid0(VALU_DEP_2) | instskip(NEXT) | instid1(VALU_DEP_2)
	v_fmac_f32_e32 v76, v34, v30
	v_pk_mul_f32 v[30:31], v[36:37], v[32:33] op_sel:[0,1] op_sel_hi:[0,0]
	s_delay_alu instid0(VALU_DEP_1) | instskip(SKIP_1) | instid1(VALU_DEP_2)
	v_pk_fma_f32 v[34:35], v[76:77], v[32:33], v[30:31] op_sel_hi:[0,1,1]
	v_pk_fma_f32 v[30:31], v[76:77], v[32:33], v[30:31] neg_lo:[0,0,1] neg_hi:[0,0,1]
	v_mov_b32_e32 v31, v35
	ds_store_b64 v5, v[30:31] offset:5712
.LBB64_880:                             ;   in Loop: Header=BB64_3 Depth=1
	s_or_b32 exec_lo, exec_lo, s6
	v_dual_mov_b32 v30, 0 :: v_dual_mov_b32 v31, 0
	s_wait_dscnt 0x0
	s_barrier_signal -1
	s_barrier_wait -1
	global_wb scope:SCOPE_DEV
	s_wait_storecnt 0x0
	global_inv scope:SCOPE_DEV
	s_and_saveexec_b32 s9, s0
	s_cbranch_execz .LBB64_884
; %bb.881:                              ;   in Loop: Header=BB64_3 Depth=1
	ds_load_b64 v[30:31], v39 offset:5184
	ds_load_b64 v[32:33], v40 offset:5712
	s_wait_dscnt 0x0
	v_pk_mul_f32 v[34:35], v[32:33], v[30:31] op_sel:[1,1] op_sel_hi:[0,1]
	s_delay_alu instid0(VALU_DEP_1) | instskip(SKIP_1) | instid1(VALU_DEP_2)
	v_pk_fma_f32 v[36:37], v[32:33], v[30:31], v[34:35] op_sel_hi:[1,0,1]
	v_pk_fma_f32 v[30:31], v[32:33], v[30:31], v[34:35] neg_lo:[0,0,1] neg_hi:[0,0,1]
	v_mov_b32_e32 v31, v37
	s_delay_alu instid0(VALU_DEP_1)
	v_pk_add_f32 v[30:31], v[30:31], 0 op_sel_hi:[1,0]
	s_and_saveexec_b32 s6, s15
	s_cbranch_execz .LBB64_883
; %bb.882:                              ;   in Loop: Header=BB64_3 Depth=1
	ds_load_b64 v[32:33], v41 offset:5696
	ds_load_b64 v[34:35], v5 offset:5720
	s_wait_dscnt 0x0
	v_pk_mul_f32 v[36:37], v[34:35], v[32:33] op_sel:[1,1] op_sel_hi:[0,1]
	s_delay_alu instid0(VALU_DEP_1) | instskip(SKIP_1) | instid1(VALU_DEP_2)
	v_pk_fma_f32 v[76:77], v[34:35], v[32:33], v[36:37] op_sel_hi:[1,0,1]
	v_pk_fma_f32 v[32:33], v[34:35], v[32:33], v[36:37] neg_lo:[0,0,1] neg_hi:[0,0,1]
	v_mov_b32_e32 v33, v77
	s_delay_alu instid0(VALU_DEP_1)
	v_pk_add_f32 v[30:31], v[30:31], v[32:33]
.LBB64_883:                             ;   in Loop: Header=BB64_3 Depth=1
	s_or_b32 exec_lo, exec_lo, s6
.LBB64_884:                             ;   in Loop: Header=BB64_3 Depth=1
	s_delay_alu instid0(SALU_CYCLE_1)
	s_or_b32 exec_lo, exec_lo, s9
	s_and_saveexec_b32 s6, s47
	s_cbranch_execz .LBB64_886
; %bb.885:                              ;   in Loop: Header=BB64_3 Depth=1
	ds_load_b64 v[32:33], v5 offset:4680
	s_wait_dscnt 0x0
	v_pk_mul_f32 v[34:35], v[30:31], v[32:33] op_sel:[1,1] op_sel_hi:[1,0]
	s_delay_alu instid0(VALU_DEP_1) | instskip(SKIP_1) | instid1(VALU_DEP_2)
	v_pk_fma_f32 v[36:37], v[30:31], v[32:33], v[34:35] op_sel_hi:[0,1,1]
	v_pk_fma_f32 v[30:31], v[30:31], v[32:33], v[34:35] neg_lo:[0,0,1] neg_hi:[0,0,1]
	v_mov_b32_e32 v31, v37
	s_delay_alu instid0(VALU_DEP_1)
	v_pk_add_f32 v[32:33], v[30:31], 0 neg_lo:[1,1] neg_hi:[1,1]
	ds_store_b64 v3, v[32:33]
.LBB64_886:                             ;   in Loop: Header=BB64_3 Depth=1
	s_or_b32 exec_lo, exec_lo, s6
	s_wait_loadcnt_dscnt 0x0
	s_barrier_signal -1
	s_barrier_wait -1
	s_and_saveexec_b32 s6, s48
	s_cbranch_execz .LBB64_888
; %bb.887:                              ;   in Loop: Header=BB64_3 Depth=1
	ds_load_b64 v[32:33], v5 offset:4672
	ds_load_b64 v[34:35], v3
	s_wait_dscnt 0x0
	v_pk_mul_f32 v[36:37], v[34:35], v[32:33] op_sel:[1,1] op_sel_hi:[0,1]
	s_delay_alu instid0(VALU_DEP_1) | instskip(SKIP_1) | instid1(VALU_DEP_2)
	v_pk_fma_f32 v[76:77], v[34:35], v[32:33], v[36:37] op_sel_hi:[1,0,1]
	v_pk_fma_f32 v[32:33], v[34:35], v[32:33], v[36:37] neg_lo:[0,0,1] neg_hi:[0,0,1]
	v_mov_b32_e32 v33, v77
	s_delay_alu instid0(VALU_DEP_1)
	v_pk_add_f32 v[30:31], v[30:31], v[32:33] neg_lo:[0,1] neg_hi:[0,1]
.LBB64_888:                             ;   in Loop: Header=BB64_3 Depth=1
	s_or_b32 exec_lo, exec_lo, s6
	s_barrier_signal -1
	s_barrier_wait -1
	s_and_saveexec_b32 s6, s48
	s_cbranch_execz .LBB64_890
; %bb.889:                              ;   in Loop: Header=BB64_3 Depth=1
	ds_load_b64 v[32:33], v5 offset:4160
	s_wait_dscnt 0x0
	v_pk_mul_f32 v[34:35], v[30:31], v[32:33] op_sel:[1,1] op_sel_hi:[1,0]
	s_delay_alu instid0(VALU_DEP_1) | instskip(SKIP_1) | instid1(VALU_DEP_2)
	v_pk_fma_f32 v[36:37], v[30:31], v[32:33], v[34:35] op_sel_hi:[0,1,1]
	v_pk_fma_f32 v[30:31], v[30:31], v[32:33], v[34:35] neg_lo:[0,0,1] neg_hi:[0,0,1]
	v_mov_b32_e32 v31, v37
	s_delay_alu instid0(VALU_DEP_1)
	v_pk_add_f32 v[32:33], v[30:31], 0 neg_lo:[1,1] neg_hi:[1,1]
	ds_store_b64 v3, v[32:33]
.LBB64_890:                             ;   in Loop: Header=BB64_3 Depth=1
	s_or_b32 exec_lo, exec_lo, s6
	s_wait_dscnt 0x0
	s_barrier_signal -1
	s_barrier_wait -1
	s_barrier_signal -1
	s_barrier_wait -1
	s_and_saveexec_b32 s6, s0
; %bb.891:                              ;   in Loop: Header=BB64_3 Depth=1
	ds_store_b64 v42, v[30:31] offset:5696
; %bb.892:                              ;   in Loop: Header=BB64_3 Depth=1
	s_or_b32 exec_lo, exec_lo, s6
	s_wait_dscnt 0x0
	s_barrier_signal -1
	s_barrier_wait -1
	s_barrier_signal -1
	s_barrier_wait -1
	s_and_saveexec_b32 s6, s14
	s_cbranch_execz .LBB64_894
; %bb.893:                              ;   in Loop: Header=BB64_3 Depth=1
	v_add_nc_u32_e64 v30, 64, 0
	ds_load_b64 v[34:35], v5 offset:4680
	ds_load_2addr_stride64_b64 v[30:33], v30 offset0:8 offset1:9
	s_wait_dscnt 0x0
	v_dual_mul_f32 v37, v35, v31 :: v_dual_mul_f32 v36, v34, v31
	s_delay_alu instid0(VALU_DEP_1) | instskip(NEXT) | instid1(VALU_DEP_2)
	v_xor_b32_e32 v76, 0x80000000, v37
	v_fmac_f32_e32 v36, v35, v30
	s_delay_alu instid0(VALU_DEP_2) | instskip(NEXT) | instid1(VALU_DEP_2)
	v_fmac_f32_e32 v76, v34, v30
	v_pk_mul_f32 v[30:31], v[36:37], v[32:33] op_sel:[0,1] op_sel_hi:[0,0]
	s_delay_alu instid0(VALU_DEP_1) | instskip(SKIP_1) | instid1(VALU_DEP_2)
	v_pk_fma_f32 v[34:35], v[76:77], v[32:33], v[30:31] op_sel_hi:[0,1,1]
	v_pk_fma_f32 v[30:31], v[76:77], v[32:33], v[30:31] neg_lo:[0,0,1] neg_hi:[0,0,1]
	v_mov_b32_e32 v31, v35
	ds_store_b64 v5, v[30:31] offset:4672
.LBB64_894:                             ;   in Loop: Header=BB64_3 Depth=1
	s_or_b32 exec_lo, exec_lo, s6
	v_mov_b64_e32 v[30:31], 0
	s_wait_dscnt 0x0
	s_barrier_signal -1
	s_barrier_wait -1
	global_wb scope:SCOPE_DEV
	s_wait_storecnt 0x0
	global_inv scope:SCOPE_DEV
	s_and_saveexec_b32 s100, s2
	s_cbranch_execz .LBB64_904
; %bb.895:                              ;   in Loop: Header=BB64_3 Depth=1
	ds_load_b64 v[30:31], v48 offset:4096
	ds_load_b64 v[32:33], v49 offset:7744
	s_wait_dscnt 0x0
	v_dual_mul_f32 v34, v33, v31 :: v_dual_mul_f32 v31, v32, v31
	s_delay_alu instid0(VALU_DEP_1) | instskip(NEXT) | instid1(VALU_DEP_1)
	v_dual_fma_f32 v32, v32, v30, -v34 :: v_dual_fmac_f32 v31, v33, v30
	v_dual_add_f32 v30, 0, v32 :: v_dual_add_f32 v31, 0, v31
	s_and_saveexec_b32 s6, s18
	s_cbranch_execnz .LBB64_1090
; %bb.896:                              ;   in Loop: Header=BB64_3 Depth=1
	s_or_b32 exec_lo, exec_lo, s6
	s_and_saveexec_b32 s6, s19
	s_cbranch_execnz .LBB64_1091
.LBB64_897:                             ;   in Loop: Header=BB64_3 Depth=1
	s_or_b32 exec_lo, exec_lo, s6
	s_and_saveexec_b32 s6, s20
	s_cbranch_execnz .LBB64_1092
.LBB64_898:                             ;   in Loop: Header=BB64_3 Depth=1
	s_or_b32 exec_lo, exec_lo, s6
	s_and_saveexec_b32 s6, s21
	s_cbranch_execnz .LBB64_1093
.LBB64_899:                             ;   in Loop: Header=BB64_3 Depth=1
	s_or_b32 exec_lo, exec_lo, s6
	s_and_saveexec_b32 s6, s22
	s_cbranch_execnz .LBB64_1094
.LBB64_900:                             ;   in Loop: Header=BB64_3 Depth=1
	s_or_b32 exec_lo, exec_lo, s6
	s_and_saveexec_b32 s6, s1
	s_cbranch_execnz .LBB64_1095
.LBB64_901:                             ;   in Loop: Header=BB64_3 Depth=1
	s_or_b32 exec_lo, exec_lo, s6
	s_and_saveexec_b32 s6, s17
	s_cbranch_execz .LBB64_903
.LBB64_902:                             ;   in Loop: Header=BB64_3 Depth=1
	ds_load_b64 v[32:33], v41 offset:7680
	ds_load_b64 v[34:35], v5 offset:7800
	s_wait_dscnt 0x0
	v_dual_mul_f32 v36, v35, v33 :: v_dual_mul_f32 v37, v34, v33
	s_delay_alu instid0(VALU_DEP_1) | instskip(NEXT) | instid1(VALU_DEP_1)
	v_dual_fma_f32 v36, v34, v32, -v36 :: v_dual_fmac_f32 v37, v35, v32
	v_pk_add_f32 v[30:31], v[30:31], v[36:37]
.LBB64_903:                             ;   in Loop: Header=BB64_3 Depth=1
	s_or_b32 exec_lo, exec_lo, s6
.LBB64_904:                             ;   in Loop: Header=BB64_3 Depth=1
	s_delay_alu instid0(SALU_CYCLE_1)
	s_or_b32 exec_lo, exec_lo, s100
	s_and_saveexec_b32 s6, s55
	s_cbranch_execz .LBB64_906
; %bb.905:                              ;   in Loop: Header=BB64_3 Depth=1
	ds_load_b64 v[32:33], v5 offset:3640
	s_wait_dscnt 0x0
	v_pk_mul_f32 v[34:35], v[30:31], v[32:33] op_sel:[1,1] op_sel_hi:[1,0]
	s_delay_alu instid0(VALU_DEP_1) | instskip(SKIP_1) | instid1(VALU_DEP_2)
	v_pk_fma_f32 v[36:37], v[30:31], v[32:33], v[34:35] op_sel_hi:[0,1,1]
	v_pk_fma_f32 v[30:31], v[30:31], v[32:33], v[34:35] neg_lo:[0,0,1] neg_hi:[0,0,1]
	v_mov_b32_e32 v31, v37
	s_delay_alu instid0(VALU_DEP_1)
	v_pk_add_f32 v[32:33], v[30:31], 0 neg_lo:[1,1] neg_hi:[1,1]
	ds_store_b64 v47, v[32:33]
.LBB64_906:                             ;   in Loop: Header=BB64_3 Depth=1
	s_or_b32 exec_lo, exec_lo, s6
	s_wait_loadcnt_dscnt 0x0
	s_barrier_signal -1
	s_barrier_wait -1
	s_and_saveexec_b32 s6, s56
	s_cbranch_execz .LBB64_908
; %bb.907:                              ;   in Loop: Header=BB64_3 Depth=1
	ds_load_b64 v[32:33], v48 offset:3584
	ds_load_b64 v[34:35], v47
	s_wait_dscnt 0x0
	v_pk_mul_f32 v[36:37], v[34:35], v[32:33] op_sel:[1,1] op_sel_hi:[0,1]
	s_delay_alu instid0(VALU_DEP_1) | instskip(SKIP_1) | instid1(VALU_DEP_2)
	v_pk_fma_f32 v[76:77], v[34:35], v[32:33], v[36:37] op_sel_hi:[1,0,1]
	v_pk_fma_f32 v[32:33], v[34:35], v[32:33], v[36:37] neg_lo:[0,0,1] neg_hi:[0,0,1]
	v_mov_b32_e32 v33, v77
	s_delay_alu instid0(VALU_DEP_1)
	v_pk_add_f32 v[30:31], v[30:31], v[32:33] neg_lo:[0,1] neg_hi:[0,1]
.LBB64_908:                             ;   in Loop: Header=BB64_3 Depth=1
	s_or_b32 exec_lo, exec_lo, s6
	s_barrier_signal -1
	s_barrier_wait -1
	s_and_saveexec_b32 s6, s57
	s_cbranch_execz .LBB64_910
; %bb.909:                              ;   in Loop: Header=BB64_3 Depth=1
	ds_load_b64 v[32:33], v5 offset:3120
	s_wait_dscnt 0x0
	v_pk_mul_f32 v[34:35], v[30:31], v[32:33] op_sel:[1,1] op_sel_hi:[1,0]
	s_delay_alu instid0(VALU_DEP_1) | instskip(SKIP_1) | instid1(VALU_DEP_2)
	v_pk_fma_f32 v[36:37], v[30:31], v[32:33], v[34:35] op_sel_hi:[0,1,1]
	v_pk_fma_f32 v[30:31], v[30:31], v[32:33], v[34:35] neg_lo:[0,0,1] neg_hi:[0,0,1]
	v_mov_b32_e32 v31, v37
	s_delay_alu instid0(VALU_DEP_1)
	v_pk_add_f32 v[32:33], v[30:31], 0 neg_lo:[1,1] neg_hi:[1,1]
	ds_store_b64 v47, v[32:33]
.LBB64_910:                             ;   in Loop: Header=BB64_3 Depth=1
	s_or_b32 exec_lo, exec_lo, s6
	s_wait_dscnt 0x0
	s_barrier_signal -1
	s_barrier_wait -1
	s_and_saveexec_b32 s6, s58
	s_cbranch_execz .LBB64_912
; %bb.911:                              ;   in Loop: Header=BB64_3 Depth=1
	ds_load_b64 v[32:33], v48 offset:3072
	ds_load_b64 v[34:35], v47
	s_wait_dscnt 0x0
	v_pk_mul_f32 v[36:37], v[34:35], v[32:33] op_sel:[1,1] op_sel_hi:[0,1]
	s_delay_alu instid0(VALU_DEP_1) | instskip(SKIP_1) | instid1(VALU_DEP_2)
	v_pk_fma_f32 v[76:77], v[34:35], v[32:33], v[36:37] op_sel_hi:[1,0,1]
	v_pk_fma_f32 v[32:33], v[34:35], v[32:33], v[36:37] neg_lo:[0,0,1] neg_hi:[0,0,1]
	v_mov_b32_e32 v33, v77
	s_delay_alu instid0(VALU_DEP_1)
	v_pk_add_f32 v[30:31], v[30:31], v[32:33] neg_lo:[0,1] neg_hi:[0,1]
.LBB64_912:                             ;   in Loop: Header=BB64_3 Depth=1
	s_or_b32 exec_lo, exec_lo, s6
	s_barrier_signal -1
	s_barrier_wait -1
	s_and_saveexec_b32 s6, s59
	s_cbranch_execz .LBB64_914
; %bb.913:                              ;   in Loop: Header=BB64_3 Depth=1
	ds_load_b64 v[32:33], v5 offset:2600
	s_wait_dscnt 0x0
	v_pk_mul_f32 v[34:35], v[30:31], v[32:33] op_sel:[1,1] op_sel_hi:[1,0]
	s_delay_alu instid0(VALU_DEP_1) | instskip(SKIP_1) | instid1(VALU_DEP_2)
	v_pk_fma_f32 v[36:37], v[30:31], v[32:33], v[34:35] op_sel_hi:[0,1,1]
	v_pk_fma_f32 v[30:31], v[30:31], v[32:33], v[34:35] neg_lo:[0,0,1] neg_hi:[0,0,1]
	v_mov_b32_e32 v31, v37
	s_delay_alu instid0(VALU_DEP_1)
	v_pk_add_f32 v[32:33], v[30:31], 0 neg_lo:[1,1] neg_hi:[1,1]
	ds_store_b64 v47, v[32:33]
.LBB64_914:                             ;   in Loop: Header=BB64_3 Depth=1
	s_or_b32 exec_lo, exec_lo, s6
	s_wait_dscnt 0x0
	s_barrier_signal -1
	s_barrier_wait -1
	s_and_saveexec_b32 s6, s60
	s_cbranch_execz .LBB64_916
; %bb.915:                              ;   in Loop: Header=BB64_3 Depth=1
	ds_load_b64 v[32:33], v48 offset:2560
	ds_load_b64 v[34:35], v47
	s_wait_dscnt 0x0
	v_pk_mul_f32 v[36:37], v[34:35], v[32:33] op_sel:[1,1] op_sel_hi:[0,1]
	s_delay_alu instid0(VALU_DEP_1) | instskip(SKIP_1) | instid1(VALU_DEP_2)
	v_pk_fma_f32 v[76:77], v[34:35], v[32:33], v[36:37] op_sel_hi:[1,0,1]
	v_pk_fma_f32 v[32:33], v[34:35], v[32:33], v[36:37] neg_lo:[0,0,1] neg_hi:[0,0,1]
	v_mov_b32_e32 v33, v77
	s_delay_alu instid0(VALU_DEP_1)
	v_pk_add_f32 v[30:31], v[30:31], v[32:33] neg_lo:[0,1] neg_hi:[0,1]
.LBB64_916:                             ;   in Loop: Header=BB64_3 Depth=1
	s_or_b32 exec_lo, exec_lo, s6
	s_barrier_signal -1
	s_barrier_wait -1
	s_and_saveexec_b32 s6, s61
	s_cbranch_execz .LBB64_918
; %bb.917:                              ;   in Loop: Header=BB64_3 Depth=1
	ds_load_b64 v[32:33], v5 offset:2080
	s_wait_dscnt 0x0
	v_pk_mul_f32 v[34:35], v[30:31], v[32:33]
	v_pk_mul_f32 v[30:31], v[30:31], v[32:33] op_sel:[1,0] op_sel_hi:[0,1]
	s_delay_alu instid0(VALU_DEP_1) | instskip(NEXT) | instid1(VALU_DEP_3)
	v_dual_mov_b32 v32, v34 :: v_dual_mov_b32 v33, v30
	v_mov_b32_e32 v30, v35
	s_delay_alu instid0(VALU_DEP_1) | instskip(SKIP_1) | instid1(VALU_DEP_2)
	v_pk_add_f32 v[34:35], v[32:33], v[30:31]
	v_pk_add_f32 v[30:31], v[32:33], v[30:31] neg_lo:[0,1] neg_hi:[0,1]
	v_mov_b32_e32 v31, v35
	s_delay_alu instid0(VALU_DEP_1)
	v_pk_add_f32 v[32:33], v[30:31], 0 neg_lo:[1,1] neg_hi:[1,1]
	ds_store_b64 v47, v[32:33]
.LBB64_918:                             ;   in Loop: Header=BB64_3 Depth=1
	s_or_b32 exec_lo, exec_lo, s6
	s_wait_dscnt 0x0
	s_barrier_signal -1
	s_barrier_wait -1
	s_and_saveexec_b32 s6, s62
	s_cbranch_execz .LBB64_920
; %bb.919:                              ;   in Loop: Header=BB64_3 Depth=1
	ds_load_b64 v[32:33], v48 offset:2048
	ds_load_b64 v[34:35], v47
	s_wait_dscnt 0x0
	v_dual_mul_f32 v36, v35, v33 :: v_dual_mul_f32 v33, v34, v33
	s_delay_alu instid0(VALU_DEP_1) | instskip(NEXT) | instid1(VALU_DEP_1)
	v_dual_fma_f32 v34, v34, v32, -v36 :: v_dual_fmac_f32 v33, v35, v32
	v_dual_sub_f32 v30, v30, v34 :: v_dual_sub_f32 v31, v31, v33
.LBB64_920:                             ;   in Loop: Header=BB64_3 Depth=1
	s_or_b32 exec_lo, exec_lo, s6
	s_barrier_signal -1
	s_barrier_wait -1
	s_and_saveexec_b32 s6, s63
	s_cbranch_execz .LBB64_922
; %bb.921:                              ;   in Loop: Header=BB64_3 Depth=1
	ds_load_b64 v[32:33], v5 offset:1560
	s_wait_dscnt 0x0
	v_dual_mul_f32 v34, v31, v32 :: v_dual_mul_f32 v36, v31, v33
	s_delay_alu instid0(VALU_DEP_1) | instskip(NEXT) | instid1(VALU_DEP_2)
	v_pk_fma_f32 v[34:35], v[30:31], v[32:33], v[34:35] op_sel:[1,0,0] op_sel_hi:[0,1,0]
	v_pk_fma_f32 v[30:31], v[30:31], v[32:33], v[36:37] op_sel_hi:[1,1,0] neg_lo:[0,0,1] neg_hi:[0,0,1]
	s_delay_alu instid0(VALU_DEP_2) | instskip(NEXT) | instid1(VALU_DEP_1)
	v_mov_b32_e32 v31, v35
	v_pk_add_f32 v[32:33], v[30:31], 0 neg_lo:[1,1] neg_hi:[1,1]
	ds_store_b64 v47, v[32:33]
.LBB64_922:                             ;   in Loop: Header=BB64_3 Depth=1
	s_or_b32 exec_lo, exec_lo, s6
	s_wait_dscnt 0x0
	s_barrier_signal -1
	s_barrier_wait -1
	s_and_saveexec_b32 s6, s64
	s_cbranch_execz .LBB64_924
; %bb.923:                              ;   in Loop: Header=BB64_3 Depth=1
	ds_load_b64 v[32:33], v48 offset:1536
	ds_load_b64 v[34:35], v47
	s_wait_dscnt 0x0
	v_pk_mul_f32 v[36:37], v[34:35], v[32:33] op_sel:[1,1] op_sel_hi:[0,1]
	s_delay_alu instid0(VALU_DEP_1) | instskip(SKIP_1) | instid1(VALU_DEP_2)
	v_pk_fma_f32 v[76:77], v[34:35], v[32:33], v[36:37] op_sel_hi:[1,0,1]
	v_pk_fma_f32 v[32:33], v[34:35], v[32:33], v[36:37] neg_lo:[0,0,1] neg_hi:[0,0,1]
	v_mov_b32_e32 v33, v77
	s_delay_alu instid0(VALU_DEP_1)
	v_pk_add_f32 v[30:31], v[30:31], v[32:33] neg_lo:[0,1] neg_hi:[0,1]
.LBB64_924:                             ;   in Loop: Header=BB64_3 Depth=1
	s_or_b32 exec_lo, exec_lo, s6
	s_barrier_signal -1
	s_barrier_wait -1
	s_and_saveexec_b32 s6, s65
	s_cbranch_execz .LBB64_926
; %bb.925:                              ;   in Loop: Header=BB64_3 Depth=1
	ds_load_b64 v[32:33], v5 offset:1040
	s_wait_dscnt 0x0
	v_pk_mul_f32 v[34:35], v[30:31], v[32:33] op_sel:[1,1] op_sel_hi:[1,0]
	s_delay_alu instid0(VALU_DEP_1) | instskip(SKIP_1) | instid1(VALU_DEP_2)
	v_pk_fma_f32 v[36:37], v[30:31], v[32:33], v[34:35] op_sel_hi:[0,1,1]
	v_pk_fma_f32 v[30:31], v[30:31], v[32:33], v[34:35] neg_lo:[0,0,1] neg_hi:[0,0,1]
	v_mov_b32_e32 v31, v37
	s_delay_alu instid0(VALU_DEP_1)
	v_pk_add_f32 v[32:33], v[30:31], 0 neg_lo:[1,1] neg_hi:[1,1]
	ds_store_b64 v47, v[32:33]
.LBB64_926:                             ;   in Loop: Header=BB64_3 Depth=1
	s_or_b32 exec_lo, exec_lo, s6
	s_wait_dscnt 0x0
	s_barrier_signal -1
	s_barrier_wait -1
	s_and_saveexec_b32 s6, s66
	s_cbranch_execz .LBB64_928
; %bb.927:                              ;   in Loop: Header=BB64_3 Depth=1
	ds_load_b64 v[32:33], v48 offset:1024
	ds_load_b64 v[34:35], v47
	s_wait_dscnt 0x0
	v_pk_mul_f32 v[36:37], v[34:35], v[32:33] op_sel:[1,1] op_sel_hi:[0,1]
	s_delay_alu instid0(VALU_DEP_1) | instskip(SKIP_1) | instid1(VALU_DEP_2)
	v_pk_fma_f32 v[76:77], v[34:35], v[32:33], v[36:37] op_sel_hi:[1,0,1]
	v_pk_fma_f32 v[32:33], v[34:35], v[32:33], v[36:37] neg_lo:[0,0,1] neg_hi:[0,0,1]
	v_mov_b32_e32 v33, v77
	s_delay_alu instid0(VALU_DEP_1)
	v_pk_add_f32 v[30:31], v[30:31], v[32:33] neg_lo:[0,1] neg_hi:[0,1]
.LBB64_928:                             ;   in Loop: Header=BB64_3 Depth=1
	s_or_b32 exec_lo, exec_lo, s6
	s_barrier_signal -1
	s_barrier_wait -1
	s_and_saveexec_b32 s6, s67
	s_cbranch_execz .LBB64_930
; %bb.929:                              ;   in Loop: Header=BB64_3 Depth=1
	ds_load_b64 v[32:33], v5 offset:520
	s_wait_dscnt 0x0
	v_pk_mul_f32 v[34:35], v[30:31], v[32:33] op_sel:[1,1] op_sel_hi:[1,0]
	s_delay_alu instid0(VALU_DEP_1) | instskip(SKIP_1) | instid1(VALU_DEP_2)
	v_pk_fma_f32 v[36:37], v[30:31], v[32:33], v[34:35] op_sel_hi:[0,1,1]
	v_pk_fma_f32 v[30:31], v[30:31], v[32:33], v[34:35] neg_lo:[0,0,1] neg_hi:[0,0,1]
	v_mov_b32_e32 v31, v37
	s_delay_alu instid0(VALU_DEP_1)
	v_pk_add_f32 v[32:33], v[30:31], 0 neg_lo:[1,1] neg_hi:[1,1]
	ds_store_b64 v47, v[32:33]
.LBB64_930:                             ;   in Loop: Header=BB64_3 Depth=1
	s_or_b32 exec_lo, exec_lo, s6
	s_wait_dscnt 0x0
	s_barrier_signal -1
	s_barrier_wait -1
	s_and_saveexec_b32 s6, s68
	s_cbranch_execz .LBB64_932
; %bb.931:                              ;   in Loop: Header=BB64_3 Depth=1
	ds_load_b64 v[32:33], v5 offset:512
	ds_load_b64 v[34:35], v47
	s_wait_dscnt 0x0
	v_pk_mul_f32 v[36:37], v[34:35], v[32:33] op_sel:[1,1] op_sel_hi:[0,1]
	s_delay_alu instid0(VALU_DEP_1) | instskip(SKIP_1) | instid1(VALU_DEP_2)
	v_pk_fma_f32 v[76:77], v[34:35], v[32:33], v[36:37] op_sel_hi:[1,0,1]
	v_pk_fma_f32 v[32:33], v[34:35], v[32:33], v[36:37] neg_lo:[0,0,1] neg_hi:[0,0,1]
	v_mov_b32_e32 v33, v77
	s_delay_alu instid0(VALU_DEP_1)
	v_pk_add_f32 v[30:31], v[30:31], v[32:33] neg_lo:[0,1] neg_hi:[0,1]
.LBB64_932:                             ;   in Loop: Header=BB64_3 Depth=1
	s_or_b32 exec_lo, exec_lo, s6
	s_barrier_signal -1
	s_barrier_wait -1
	s_and_saveexec_b32 s6, s68
	s_cbranch_execz .LBB64_934
; %bb.933:                              ;   in Loop: Header=BB64_3 Depth=1
	ds_load_b64 v[32:33], v5
	s_wait_dscnt 0x0
	v_pk_mul_f32 v[34:35], v[30:31], v[32:33] op_sel:[1,1] op_sel_hi:[1,0]
	s_delay_alu instid0(VALU_DEP_1) | instskip(SKIP_1) | instid1(VALU_DEP_2)
	v_pk_fma_f32 v[36:37], v[30:31], v[32:33], v[34:35] op_sel_hi:[0,1,1]
	v_pk_fma_f32 v[30:31], v[30:31], v[32:33], v[34:35] neg_lo:[0,0,1] neg_hi:[0,0,1]
	v_mov_b32_e32 v31, v37
	s_delay_alu instid0(VALU_DEP_1)
	v_pk_add_f32 v[32:33], v[30:31], 0 neg_lo:[1,1] neg_hi:[1,1]
	ds_store_b64 v47, v[32:33]
.LBB64_934:                             ;   in Loop: Header=BB64_3 Depth=1
	s_or_b32 exec_lo, exec_lo, s6
	s_wait_dscnt 0x0
	s_barrier_signal -1
	s_barrier_wait -1
	s_barrier_signal -1
	s_barrier_wait -1
	s_and_saveexec_b32 s6, s2
; %bb.935:                              ;   in Loop: Header=BB64_3 Depth=1
	ds_store_b64 v50, v[30:31] offset:7680
; %bb.936:                              ;   in Loop: Header=BB64_3 Depth=1
	s_or_b32 exec_lo, exec_lo, s6
	s_wait_dscnt 0x0
	s_barrier_signal -1
	s_barrier_wait -1
	s_barrier_signal -1
	s_barrier_wait -1
	s_and_saveexec_b32 s6, s14
	s_cbranch_execz .LBB64_938
; %bb.937:                              ;   in Loop: Header=BB64_3 Depth=1
	v_add_nc_u32_e64 v30, 48, 0
	ds_load_b64 v[34:35], v5 offset:3640
	ds_load_2addr_stride64_b64 v[30:33], v30 offset0:6 offset1:7
	s_wait_dscnt 0x0
	v_dual_mul_f32 v37, v35, v31 :: v_dual_mul_f32 v36, v34, v31
	s_delay_alu instid0(VALU_DEP_1) | instskip(NEXT) | instid1(VALU_DEP_2)
	v_xor_b32_e32 v76, 0x80000000, v37
	v_fmac_f32_e32 v36, v35, v30
	s_delay_alu instid0(VALU_DEP_2) | instskip(NEXT) | instid1(VALU_DEP_2)
	v_fmac_f32_e32 v76, v34, v30
	v_pk_mul_f32 v[30:31], v[36:37], v[32:33] op_sel:[0,1] op_sel_hi:[0,0]
	s_delay_alu instid0(VALU_DEP_1) | instskip(SKIP_1) | instid1(VALU_DEP_2)
	v_pk_fma_f32 v[34:35], v[76:77], v[32:33], v[30:31] op_sel_hi:[0,1,1]
	v_pk_fma_f32 v[30:31], v[76:77], v[32:33], v[30:31] neg_lo:[0,0,1] neg_hi:[0,0,1]
	v_mov_b32_e32 v31, v35
	ds_store_b64 v5, v[30:31] offset:3632
.LBB64_938:                             ;   in Loop: Header=BB64_3 Depth=1
	s_or_b32 exec_lo, exec_lo, s6
	v_dual_mov_b32 v30, 0 :: v_dual_mov_b32 v31, 0
	s_wait_dscnt 0x0
	s_barrier_signal -1
	s_barrier_wait -1
	global_wb scope:SCOPE_DEV
	s_wait_storecnt 0x0
	global_inv scope:SCOPE_DEV
	s_and_saveexec_b32 s9, s0
	s_cbranch_execz .LBB64_942
; %bb.939:                              ;   in Loop: Header=BB64_3 Depth=1
	ds_load_b64 v[30:31], v39 offset:3104
	ds_load_b64 v[32:33], v40 offset:3632
	s_wait_dscnt 0x0
	v_pk_mul_f32 v[34:35], v[32:33], v[30:31] op_sel:[1,1] op_sel_hi:[0,1]
	s_delay_alu instid0(VALU_DEP_1) | instskip(SKIP_1) | instid1(VALU_DEP_2)
	v_pk_fma_f32 v[36:37], v[32:33], v[30:31], v[34:35] op_sel_hi:[1,0,1]
	v_pk_fma_f32 v[30:31], v[32:33], v[30:31], v[34:35] neg_lo:[0,0,1] neg_hi:[0,0,1]
	v_mov_b32_e32 v31, v37
	s_delay_alu instid0(VALU_DEP_1)
	v_pk_add_f32 v[30:31], v[30:31], 0 op_sel_hi:[1,0]
	s_and_saveexec_b32 s6, s15
	s_cbranch_execz .LBB64_941
; %bb.940:                              ;   in Loop: Header=BB64_3 Depth=1
	ds_load_b64 v[32:33], v41 offset:3616
	ds_load_b64 v[34:35], v5 offset:3640
	s_wait_dscnt 0x0
	v_pk_mul_f32 v[36:37], v[34:35], v[32:33] op_sel:[1,1] op_sel_hi:[0,1]
	s_delay_alu instid0(VALU_DEP_1) | instskip(SKIP_1) | instid1(VALU_DEP_2)
	v_pk_fma_f32 v[76:77], v[34:35], v[32:33], v[36:37] op_sel_hi:[1,0,1]
	v_pk_fma_f32 v[32:33], v[34:35], v[32:33], v[36:37] neg_lo:[0,0,1] neg_hi:[0,0,1]
	v_mov_b32_e32 v33, v77
	s_delay_alu instid0(VALU_DEP_1)
	v_pk_add_f32 v[30:31], v[30:31], v[32:33]
.LBB64_941:                             ;   in Loop: Header=BB64_3 Depth=1
	s_or_b32 exec_lo, exec_lo, s6
.LBB64_942:                             ;   in Loop: Header=BB64_3 Depth=1
	s_delay_alu instid0(SALU_CYCLE_1)
	s_or_b32 exec_lo, exec_lo, s9
	s_and_saveexec_b32 s6, s47
	s_cbranch_execz .LBB64_944
; %bb.943:                              ;   in Loop: Header=BB64_3 Depth=1
	ds_load_b64 v[32:33], v5 offset:2600
	s_wait_dscnt 0x0
	v_pk_mul_f32 v[34:35], v[30:31], v[32:33] op_sel:[1,1] op_sel_hi:[1,0]
	s_delay_alu instid0(VALU_DEP_1) | instskip(SKIP_1) | instid1(VALU_DEP_2)
	v_pk_fma_f32 v[36:37], v[30:31], v[32:33], v[34:35] op_sel_hi:[0,1,1]
	v_pk_fma_f32 v[30:31], v[30:31], v[32:33], v[34:35] neg_lo:[0,0,1] neg_hi:[0,0,1]
	v_mov_b32_e32 v31, v37
	s_delay_alu instid0(VALU_DEP_1)
	v_pk_add_f32 v[32:33], v[30:31], 0 neg_lo:[1,1] neg_hi:[1,1]
	ds_store_b64 v3, v[32:33]
.LBB64_944:                             ;   in Loop: Header=BB64_3 Depth=1
	s_or_b32 exec_lo, exec_lo, s6
	s_wait_loadcnt_dscnt 0x0
	s_barrier_signal -1
	s_barrier_wait -1
	s_and_saveexec_b32 s6, s48
	s_cbranch_execz .LBB64_946
; %bb.945:                              ;   in Loop: Header=BB64_3 Depth=1
	ds_load_b64 v[32:33], v5 offset:2592
	ds_load_b64 v[34:35], v3
	s_wait_dscnt 0x0
	v_pk_mul_f32 v[36:37], v[34:35], v[32:33] op_sel:[1,1] op_sel_hi:[0,1]
	s_delay_alu instid0(VALU_DEP_1) | instskip(SKIP_1) | instid1(VALU_DEP_2)
	v_pk_fma_f32 v[76:77], v[34:35], v[32:33], v[36:37] op_sel_hi:[1,0,1]
	v_pk_fma_f32 v[32:33], v[34:35], v[32:33], v[36:37] neg_lo:[0,0,1] neg_hi:[0,0,1]
	v_mov_b32_e32 v33, v77
	s_delay_alu instid0(VALU_DEP_1)
	v_pk_add_f32 v[30:31], v[30:31], v[32:33] neg_lo:[0,1] neg_hi:[0,1]
.LBB64_946:                             ;   in Loop: Header=BB64_3 Depth=1
	s_or_b32 exec_lo, exec_lo, s6
	s_barrier_signal -1
	s_barrier_wait -1
	s_and_saveexec_b32 s6, s48
	s_cbranch_execz .LBB64_948
; %bb.947:                              ;   in Loop: Header=BB64_3 Depth=1
	ds_load_b64 v[32:33], v5 offset:2080
	s_wait_dscnt 0x0
	v_pk_mul_f32 v[34:35], v[30:31], v[32:33] op_sel:[1,1] op_sel_hi:[1,0]
	s_delay_alu instid0(VALU_DEP_1) | instskip(SKIP_1) | instid1(VALU_DEP_2)
	v_pk_fma_f32 v[36:37], v[30:31], v[32:33], v[34:35] op_sel_hi:[0,1,1]
	v_pk_fma_f32 v[30:31], v[30:31], v[32:33], v[34:35] neg_lo:[0,0,1] neg_hi:[0,0,1]
	v_mov_b32_e32 v31, v37
	s_delay_alu instid0(VALU_DEP_1)
	v_pk_add_f32 v[32:33], v[30:31], 0 neg_lo:[1,1] neg_hi:[1,1]
	ds_store_b64 v3, v[32:33]
.LBB64_948:                             ;   in Loop: Header=BB64_3 Depth=1
	s_or_b32 exec_lo, exec_lo, s6
	s_wait_dscnt 0x0
	s_barrier_signal -1
	s_barrier_wait -1
	s_barrier_signal -1
	s_barrier_wait -1
	s_and_saveexec_b32 s6, s0
; %bb.949:                              ;   in Loop: Header=BB64_3 Depth=1
	ds_store_b64 v42, v[30:31] offset:3616
; %bb.950:                              ;   in Loop: Header=BB64_3 Depth=1
	s_or_b32 exec_lo, exec_lo, s6
	s_wait_dscnt 0x0
	s_barrier_signal -1
	s_barrier_wait -1
	s_barrier_signal -1
	s_barrier_wait -1
	s_and_saveexec_b32 s6, s14
	s_cbranch_execz .LBB64_952
; %bb.951:                              ;   in Loop: Header=BB64_3 Depth=1
	v_add_nc_u32_e64 v30, 32, 0
	ds_load_b64 v[34:35], v5 offset:2600
	ds_load_2addr_stride64_b64 v[30:33], v30 offset0:4 offset1:5
	s_wait_dscnt 0x0
	v_dual_mul_f32 v37, v35, v31 :: v_dual_mul_f32 v36, v34, v31
	s_delay_alu instid0(VALU_DEP_1) | instskip(NEXT) | instid1(VALU_DEP_2)
	v_xor_b32_e32 v76, 0x80000000, v37
	v_fmac_f32_e32 v36, v35, v30
	s_delay_alu instid0(VALU_DEP_2) | instskip(NEXT) | instid1(VALU_DEP_2)
	v_fmac_f32_e32 v76, v34, v30
	v_pk_mul_f32 v[30:31], v[36:37], v[32:33] op_sel:[0,1] op_sel_hi:[0,0]
	s_delay_alu instid0(VALU_DEP_1) | instskip(SKIP_1) | instid1(VALU_DEP_2)
	v_pk_fma_f32 v[34:35], v[76:77], v[32:33], v[30:31] op_sel_hi:[0,1,1]
	v_pk_fma_f32 v[30:31], v[76:77], v[32:33], v[30:31] neg_lo:[0,0,1] neg_hi:[0,0,1]
	v_mov_b32_e32 v31, v35
	ds_store_b64 v5, v[30:31] offset:2592
.LBB64_952:                             ;   in Loop: Header=BB64_3 Depth=1
	s_or_b32 exec_lo, exec_lo, s6
	v_mov_b64_e32 v[30:31], 0
	s_wait_dscnt 0x0
	s_barrier_signal -1
	s_barrier_wait -1
	global_wb scope:SCOPE_DEV
	s_wait_storecnt 0x0
	global_inv scope:SCOPE_DEV
	s_and_saveexec_b32 s100, s1
	s_cbranch_execz .LBB64_958
; %bb.953:                              ;   in Loop: Header=BB64_3 Depth=1
	ds_load_b64 v[30:31], v44 offset:2048
	ds_load_b64 v[32:33], v45 offset:3616
	s_wait_dscnt 0x0
	v_dual_mul_f32 v34, v33, v31 :: v_dual_mul_f32 v31, v32, v31
	s_delay_alu instid0(VALU_DEP_1) | instskip(NEXT) | instid1(VALU_DEP_1)
	v_dual_fma_f32 v32, v32, v30, -v34 :: v_dual_fmac_f32 v31, v33, v30
	v_dual_add_f32 v30, 0, v32 :: v_dual_add_f32 v31, 0, v31
	s_and_saveexec_b32 s6, s16
	s_cbranch_execnz .LBB64_1096
; %bb.954:                              ;   in Loop: Header=BB64_3 Depth=1
	s_or_b32 exec_lo, exec_lo, s6
	s_and_saveexec_b32 s6, s17
	s_cbranch_execnz .LBB64_1097
.LBB64_955:                             ;   in Loop: Header=BB64_3 Depth=1
	s_or_b32 exec_lo, exec_lo, s6
	s_and_saveexec_b32 s6, s0
	s_cbranch_execz .LBB64_957
.LBB64_956:                             ;   in Loop: Header=BB64_3 Depth=1
	ds_load_b64 v[32:33], v41 offset:3584
	ds_load_b64 v[34:35], v5 offset:3640
	s_wait_dscnt 0x0
	v_dual_mul_f32 v36, v35, v33 :: v_dual_mul_f32 v33, v34, v33
	s_delay_alu instid0(VALU_DEP_1) | instskip(NEXT) | instid1(VALU_DEP_1)
	v_dual_fma_f32 v34, v34, v32, -v36 :: v_dual_fmac_f32 v33, v35, v32
	v_dual_add_f32 v30, v30, v34 :: v_dual_add_f32 v31, v31, v33
.LBB64_957:                             ;   in Loop: Header=BB64_3 Depth=1
	s_or_b32 exec_lo, exec_lo, s6
.LBB64_958:                             ;   in Loop: Header=BB64_3 Depth=1
	s_delay_alu instid0(SALU_CYCLE_1)
	s_or_b32 exec_lo, exec_lo, s100
	s_and_saveexec_b32 s6, s49
	s_cbranch_execz .LBB64_960
; %bb.959:                              ;   in Loop: Header=BB64_3 Depth=1
	ds_load_b64 v[32:33], v5 offset:1560
	s_wait_dscnt 0x0
	v_dual_mul_f32 v34, v31, v32 :: v_dual_mul_f32 v36, v31, v33
	s_delay_alu instid0(VALU_DEP_1) | instskip(NEXT) | instid1(VALU_DEP_2)
	v_pk_fma_f32 v[34:35], v[30:31], v[32:33], v[34:35] op_sel:[1,0,0] op_sel_hi:[0,1,0]
	v_pk_fma_f32 v[30:31], v[30:31], v[32:33], v[36:37] op_sel_hi:[1,1,0] neg_lo:[0,0,1] neg_hi:[0,0,1]
	s_delay_alu instid0(VALU_DEP_2) | instskip(NEXT) | instid1(VALU_DEP_1)
	v_mov_b32_e32 v31, v35
	v_pk_add_f32 v[32:33], v[30:31], 0 neg_lo:[1,1] neg_hi:[1,1]
	ds_store_b64 v43, v[32:33]
.LBB64_960:                             ;   in Loop: Header=BB64_3 Depth=1
	s_or_b32 exec_lo, exec_lo, s6
	s_wait_loadcnt_dscnt 0x0
	s_barrier_signal -1
	s_barrier_wait -1
	s_and_saveexec_b32 s6, s50
	s_cbranch_execz .LBB64_962
; %bb.961:                              ;   in Loop: Header=BB64_3 Depth=1
	ds_load_b64 v[32:33], v44 offset:1536
	ds_load_b64 v[34:35], v43
	s_wait_dscnt 0x0
	v_pk_mul_f32 v[36:37], v[34:35], v[32:33] op_sel:[1,1] op_sel_hi:[0,1]
	s_delay_alu instid0(VALU_DEP_1) | instskip(SKIP_1) | instid1(VALU_DEP_2)
	v_pk_fma_f32 v[76:77], v[34:35], v[32:33], v[36:37] op_sel_hi:[1,0,1]
	v_pk_fma_f32 v[32:33], v[34:35], v[32:33], v[36:37] neg_lo:[0,0,1] neg_hi:[0,0,1]
	v_mov_b32_e32 v33, v77
	s_delay_alu instid0(VALU_DEP_1)
	v_pk_add_f32 v[30:31], v[30:31], v[32:33] neg_lo:[0,1] neg_hi:[0,1]
.LBB64_962:                             ;   in Loop: Header=BB64_3 Depth=1
	s_or_b32 exec_lo, exec_lo, s6
	s_barrier_signal -1
	s_barrier_wait -1
	s_and_saveexec_b32 s6, s51
	s_cbranch_execz .LBB64_964
; %bb.963:                              ;   in Loop: Header=BB64_3 Depth=1
	ds_load_b64 v[32:33], v5 offset:1040
	s_wait_dscnt 0x0
	v_pk_mul_f32 v[34:35], v[30:31], v[32:33] op_sel:[1,1] op_sel_hi:[1,0]
	s_delay_alu instid0(VALU_DEP_1) | instskip(SKIP_1) | instid1(VALU_DEP_2)
	v_pk_fma_f32 v[36:37], v[30:31], v[32:33], v[34:35] op_sel_hi:[0,1,1]
	v_pk_fma_f32 v[30:31], v[30:31], v[32:33], v[34:35] neg_lo:[0,0,1] neg_hi:[0,0,1]
	v_mov_b32_e32 v31, v37
	s_delay_alu instid0(VALU_DEP_1)
	v_pk_add_f32 v[32:33], v[30:31], 0 neg_lo:[1,1] neg_hi:[1,1]
	ds_store_b64 v43, v[32:33]
.LBB64_964:                             ;   in Loop: Header=BB64_3 Depth=1
	s_or_b32 exec_lo, exec_lo, s6
	s_wait_dscnt 0x0
	s_barrier_signal -1
	s_barrier_wait -1
	s_and_saveexec_b32 s6, s52
	s_cbranch_execz .LBB64_966
; %bb.965:                              ;   in Loop: Header=BB64_3 Depth=1
	ds_load_b64 v[32:33], v44 offset:1024
	ds_load_b64 v[34:35], v43
	s_wait_dscnt 0x0
	v_pk_mul_f32 v[36:37], v[34:35], v[32:33] op_sel:[1,1] op_sel_hi:[0,1]
	s_delay_alu instid0(VALU_DEP_1) | instskip(SKIP_1) | instid1(VALU_DEP_2)
	v_pk_fma_f32 v[76:77], v[34:35], v[32:33], v[36:37] op_sel_hi:[1,0,1]
	v_pk_fma_f32 v[32:33], v[34:35], v[32:33], v[36:37] neg_lo:[0,0,1] neg_hi:[0,0,1]
	v_mov_b32_e32 v33, v77
	s_delay_alu instid0(VALU_DEP_1)
	v_pk_add_f32 v[30:31], v[30:31], v[32:33] neg_lo:[0,1] neg_hi:[0,1]
.LBB64_966:                             ;   in Loop: Header=BB64_3 Depth=1
	s_or_b32 exec_lo, exec_lo, s6
	s_barrier_signal -1
	s_barrier_wait -1
	s_and_saveexec_b32 s6, s53
	s_cbranch_execz .LBB64_968
; %bb.967:                              ;   in Loop: Header=BB64_3 Depth=1
	ds_load_b64 v[32:33], v5 offset:520
	s_wait_dscnt 0x0
	v_pk_mul_f32 v[34:35], v[30:31], v[32:33] op_sel:[1,1] op_sel_hi:[1,0]
	s_delay_alu instid0(VALU_DEP_1) | instskip(SKIP_1) | instid1(VALU_DEP_2)
	v_pk_fma_f32 v[36:37], v[30:31], v[32:33], v[34:35] op_sel_hi:[0,1,1]
	v_pk_fma_f32 v[30:31], v[30:31], v[32:33], v[34:35] neg_lo:[0,0,1] neg_hi:[0,0,1]
	v_mov_b32_e32 v31, v37
	s_delay_alu instid0(VALU_DEP_1)
	v_pk_add_f32 v[32:33], v[30:31], 0 neg_lo:[1,1] neg_hi:[1,1]
	ds_store_b64 v43, v[32:33]
.LBB64_968:                             ;   in Loop: Header=BB64_3 Depth=1
	s_or_b32 exec_lo, exec_lo, s6
	s_wait_dscnt 0x0
	s_barrier_signal -1
	s_barrier_wait -1
	s_and_saveexec_b32 s6, s54
	s_cbranch_execz .LBB64_970
; %bb.969:                              ;   in Loop: Header=BB64_3 Depth=1
	ds_load_b64 v[32:33], v5 offset:512
	ds_load_b64 v[34:35], v43
	s_wait_dscnt 0x0
	v_pk_mul_f32 v[36:37], v[34:35], v[32:33] op_sel:[1,1] op_sel_hi:[0,1]
	s_delay_alu instid0(VALU_DEP_1) | instskip(SKIP_1) | instid1(VALU_DEP_2)
	v_pk_fma_f32 v[76:77], v[34:35], v[32:33], v[36:37] op_sel_hi:[1,0,1]
	v_pk_fma_f32 v[32:33], v[34:35], v[32:33], v[36:37] neg_lo:[0,0,1] neg_hi:[0,0,1]
	v_mov_b32_e32 v33, v77
	s_delay_alu instid0(VALU_DEP_1)
	v_pk_add_f32 v[30:31], v[30:31], v[32:33] neg_lo:[0,1] neg_hi:[0,1]
.LBB64_970:                             ;   in Loop: Header=BB64_3 Depth=1
	s_or_b32 exec_lo, exec_lo, s6
	s_barrier_signal -1
	s_barrier_wait -1
	s_and_saveexec_b32 s6, s54
	s_cbranch_execz .LBB64_972
; %bb.971:                              ;   in Loop: Header=BB64_3 Depth=1
	ds_load_b64 v[32:33], v5
	s_wait_dscnt 0x0
	v_pk_mul_f32 v[34:35], v[30:31], v[32:33] op_sel:[1,1] op_sel_hi:[1,0]
	s_delay_alu instid0(VALU_DEP_1) | instskip(SKIP_1) | instid1(VALU_DEP_2)
	v_pk_fma_f32 v[36:37], v[30:31], v[32:33], v[34:35] op_sel_hi:[0,1,1]
	v_pk_fma_f32 v[30:31], v[30:31], v[32:33], v[34:35] neg_lo:[0,0,1] neg_hi:[0,0,1]
	v_mov_b32_e32 v31, v37
	s_delay_alu instid0(VALU_DEP_1)
	v_pk_add_f32 v[32:33], v[30:31], 0 neg_lo:[1,1] neg_hi:[1,1]
	ds_store_b64 v43, v[32:33]
.LBB64_972:                             ;   in Loop: Header=BB64_3 Depth=1
	s_or_b32 exec_lo, exec_lo, s6
	s_wait_dscnt 0x0
	s_barrier_signal -1
	s_barrier_wait -1
	s_barrier_signal -1
	s_barrier_wait -1
	s_and_saveexec_b32 s6, s1
; %bb.973:                              ;   in Loop: Header=BB64_3 Depth=1
	ds_store_b64 v46, v[30:31] offset:3584
; %bb.974:                              ;   in Loop: Header=BB64_3 Depth=1
	s_or_b32 exec_lo, exec_lo, s6
	s_wait_dscnt 0x0
	s_barrier_signal -1
	s_barrier_wait -1
	s_barrier_signal -1
	s_barrier_wait -1
	s_and_saveexec_b32 s6, s14
	s_cbranch_execz .LBB64_976
; %bb.975:                              ;   in Loop: Header=BB64_3 Depth=1
	ds_load_2addr_b64 v[30:33], v5 offset0:130 offset1:194
	ds_load_b64 v[34:35], v5 offset:1560
	s_wait_dscnt 0x0
	v_dual_mul_f32 v37, v35, v31 :: v_dual_mul_f32 v36, v34, v31
	s_delay_alu instid0(VALU_DEP_1) | instskip(NEXT) | instid1(VALU_DEP_2)
	v_xor_b32_e32 v76, 0x80000000, v37
	v_fmac_f32_e32 v36, v35, v30
	s_delay_alu instid0(VALU_DEP_2) | instskip(NEXT) | instid1(VALU_DEP_2)
	v_fmac_f32_e32 v76, v34, v30
	v_pk_mul_f32 v[30:31], v[36:37], v[32:33] op_sel:[0,1] op_sel_hi:[0,0]
	s_delay_alu instid0(VALU_DEP_1) | instskip(SKIP_1) | instid1(VALU_DEP_2)
	v_pk_fma_f32 v[34:35], v[76:77], v[32:33], v[30:31] op_sel_hi:[0,1,1]
	v_pk_fma_f32 v[30:31], v[76:77], v[32:33], v[30:31] neg_lo:[0,0,1] neg_hi:[0,0,1]
	v_mov_b32_e32 v31, v35
	ds_store_b64 v5, v[30:31] offset:1552
.LBB64_976:                             ;   in Loop: Header=BB64_3 Depth=1
	s_or_b32 exec_lo, exec_lo, s6
	v_dual_mov_b32 v30, 0 :: v_dual_mov_b32 v31, 0
	s_wait_dscnt 0x0
	s_barrier_signal -1
	s_barrier_wait -1
	global_wb scope:SCOPE_DEV
	s_wait_storecnt 0x0
	global_inv scope:SCOPE_DEV
	s_and_saveexec_b32 s9, s0
	s_cbranch_execz .LBB64_980
; %bb.977:                              ;   in Loop: Header=BB64_3 Depth=1
	ds_load_b64 v[30:31], v39 offset:1024
	ds_load_b64 v[32:33], v40 offset:1552
	s_wait_dscnt 0x0
	v_pk_mul_f32 v[34:35], v[32:33], v[30:31] op_sel:[1,1] op_sel_hi:[0,1]
	s_delay_alu instid0(VALU_DEP_1) | instskip(SKIP_1) | instid1(VALU_DEP_2)
	v_pk_fma_f32 v[36:37], v[32:33], v[30:31], v[34:35] op_sel_hi:[1,0,1]
	v_pk_fma_f32 v[30:31], v[32:33], v[30:31], v[34:35] neg_lo:[0,0,1] neg_hi:[0,0,1]
	v_mov_b32_e32 v31, v37
	s_delay_alu instid0(VALU_DEP_1)
	v_pk_add_f32 v[30:31], v[30:31], 0 op_sel_hi:[1,0]
	s_and_saveexec_b32 s6, s15
	s_cbranch_execz .LBB64_979
; %bb.978:                              ;   in Loop: Header=BB64_3 Depth=1
	ds_load_b64 v[32:33], v41 offset:1536
	ds_load_b64 v[34:35], v5 offset:1560
	s_wait_dscnt 0x0
	v_pk_mul_f32 v[36:37], v[34:35], v[32:33] op_sel:[1,1] op_sel_hi:[0,1]
	s_delay_alu instid0(VALU_DEP_1) | instskip(SKIP_1) | instid1(VALU_DEP_2)
	v_pk_fma_f32 v[76:77], v[34:35], v[32:33], v[36:37] op_sel_hi:[1,0,1]
	v_pk_fma_f32 v[32:33], v[34:35], v[32:33], v[36:37] neg_lo:[0,0,1] neg_hi:[0,0,1]
	v_mov_b32_e32 v33, v77
	s_delay_alu instid0(VALU_DEP_1)
	v_pk_add_f32 v[30:31], v[30:31], v[32:33]
.LBB64_979:                             ;   in Loop: Header=BB64_3 Depth=1
	s_or_b32 exec_lo, exec_lo, s6
.LBB64_980:                             ;   in Loop: Header=BB64_3 Depth=1
	s_delay_alu instid0(SALU_CYCLE_1)
	s_or_b32 exec_lo, exec_lo, s9
	s_and_saveexec_b32 s6, s47
	s_cbranch_execz .LBB64_982
; %bb.981:                              ;   in Loop: Header=BB64_3 Depth=1
	ds_load_b64 v[32:33], v5 offset:520
	s_wait_dscnt 0x0
	v_pk_mul_f32 v[34:35], v[30:31], v[32:33] op_sel:[1,1] op_sel_hi:[1,0]
	s_delay_alu instid0(VALU_DEP_1) | instskip(SKIP_1) | instid1(VALU_DEP_2)
	v_pk_fma_f32 v[36:37], v[30:31], v[32:33], v[34:35] op_sel_hi:[0,1,1]
	v_pk_fma_f32 v[30:31], v[30:31], v[32:33], v[34:35] neg_lo:[0,0,1] neg_hi:[0,0,1]
	v_mov_b32_e32 v31, v37
	s_delay_alu instid0(VALU_DEP_1)
	v_pk_add_f32 v[32:33], v[30:31], 0 neg_lo:[1,1] neg_hi:[1,1]
	ds_store_b64 v3, v[32:33]
.LBB64_982:                             ;   in Loop: Header=BB64_3 Depth=1
	s_or_b32 exec_lo, exec_lo, s6
	s_wait_loadcnt_dscnt 0x0
	s_barrier_signal -1
	s_barrier_wait -1
	s_and_saveexec_b32 s6, s48
	s_cbranch_execz .LBB64_984
; %bb.983:                              ;   in Loop: Header=BB64_3 Depth=1
	ds_load_b64 v[32:33], v5 offset:512
	ds_load_b64 v[34:35], v3
	s_wait_dscnt 0x0
	v_pk_mul_f32 v[36:37], v[34:35], v[32:33] op_sel:[1,1] op_sel_hi:[0,1]
	s_delay_alu instid0(VALU_DEP_1) | instskip(SKIP_1) | instid1(VALU_DEP_2)
	v_pk_fma_f32 v[76:77], v[34:35], v[32:33], v[36:37] op_sel_hi:[1,0,1]
	v_pk_fma_f32 v[32:33], v[34:35], v[32:33], v[36:37] neg_lo:[0,0,1] neg_hi:[0,0,1]
	v_mov_b32_e32 v33, v77
	s_delay_alu instid0(VALU_DEP_1)
	v_pk_add_f32 v[30:31], v[30:31], v[32:33] neg_lo:[0,1] neg_hi:[0,1]
.LBB64_984:                             ;   in Loop: Header=BB64_3 Depth=1
	s_or_b32 exec_lo, exec_lo, s6
	s_barrier_signal -1
	s_barrier_wait -1
	s_and_saveexec_b32 s6, s48
	s_cbranch_execz .LBB64_986
; %bb.985:                              ;   in Loop: Header=BB64_3 Depth=1
	ds_load_b64 v[32:33], v5
	s_wait_dscnt 0x0
	v_pk_mul_f32 v[34:35], v[30:31], v[32:33] op_sel:[1,1] op_sel_hi:[1,0]
	s_delay_alu instid0(VALU_DEP_1) | instskip(SKIP_1) | instid1(VALU_DEP_2)
	v_pk_fma_f32 v[36:37], v[30:31], v[32:33], v[34:35] op_sel_hi:[0,1,1]
	v_pk_fma_f32 v[30:31], v[30:31], v[32:33], v[34:35] neg_lo:[0,0,1] neg_hi:[0,0,1]
	v_mov_b32_e32 v31, v37
	s_delay_alu instid0(VALU_DEP_1)
	v_pk_add_f32 v[32:33], v[30:31], 0 neg_lo:[1,1] neg_hi:[1,1]
	ds_store_b64 v3, v[32:33]
.LBB64_986:                             ;   in Loop: Header=BB64_3 Depth=1
	s_or_b32 exec_lo, exec_lo, s6
	s_wait_dscnt 0x0
	s_barrier_signal -1
	s_barrier_wait -1
	s_barrier_signal -1
	s_barrier_wait -1
	s_and_saveexec_b32 s6, s0
; %bb.987:                              ;   in Loop: Header=BB64_3 Depth=1
	ds_store_b64 v42, v[30:31] offset:1536
; %bb.988:                              ;   in Loop: Header=BB64_3 Depth=1
	s_or_b32 exec_lo, exec_lo, s6
	s_wait_dscnt 0x0
	s_barrier_signal -1
	s_barrier_wait -1
	s_barrier_signal -1
	s_barrier_wait -1
	s_and_saveexec_b32 s6, s14
	s_cbranch_execz .LBB64_990
; %bb.989:                              ;   in Loop: Header=BB64_3 Depth=1
	ds_load_2addr_stride64_b64 v[30:33], v5 offset1:1
	ds_load_b64 v[34:35], v5 offset:520
	s_wait_dscnt 0x0
	v_dual_mul_f32 v37, v35, v31 :: v_dual_mul_f32 v36, v34, v31
	s_delay_alu instid0(VALU_DEP_1) | instskip(NEXT) | instid1(VALU_DEP_2)
	v_xor_b32_e32 v76, 0x80000000, v37
	v_fmac_f32_e32 v36, v35, v30
	s_delay_alu instid0(VALU_DEP_2) | instskip(NEXT) | instid1(VALU_DEP_2)
	v_fmac_f32_e32 v76, v34, v30
	v_pk_mul_f32 v[30:31], v[36:37], v[32:33] op_sel:[0,1] op_sel_hi:[0,0]
	s_delay_alu instid0(VALU_DEP_1) | instskip(SKIP_1) | instid1(VALU_DEP_2)
	v_pk_fma_f32 v[34:35], v[76:77], v[32:33], v[30:31] op_sel_hi:[0,1,1]
	v_pk_fma_f32 v[30:31], v[76:77], v[32:33], v[30:31] neg_lo:[0,0,1] neg_hi:[0,0,1]
	v_mov_b32_e32 v31, v35
	ds_store_b64 v5, v[30:31] offset:512
.LBB64_990:                             ;   in Loop: Header=BB64_3 Depth=1
	s_or_b32 exec_lo, exec_lo, s6
.LBB64_991:                             ;   in Loop: Header=BB64_3 Depth=1
	v_readlane_b32 s6, v86, 3
	v_mov_b64_e32 v[30:31], 0
	v_readlane_b32 s7, v86, 4
	s_mul_u64 s[100:101], s[82:83], s[84:85]
	s_wait_dscnt 0x0
	s_lshl_b64 s[100:101], s[100:101], 3
	s_barrier_signal -1
	s_add_nc_u64 s[100:101], s[6:7], s[100:101]
	s_barrier_wait -1
	s_and_saveexec_b32 s6, s10
	s_cbranch_execz .LBB64_993
; %bb.992:                              ;   in Loop: Header=BB64_3 Depth=1
	v_lshl_add_u64 v[30:31], v[24:25], 3, s[100:101]
	v_readlane_b32 s102, v86, 30
	v_readlane_b32 s103, v86, 31
	global_load_b64 v[30:31], v[30:31], off
	v_mov_b64_e32 v[32:33], s[102:103]
	v_readlane_b32 s102, v85, 0
	v_readlane_b32 s103, v85, 1
	s_delay_alu instid0(VALU_DEP_1) | instskip(SKIP_1) | instid1(VALU_DEP_4)
	v_mov_b64_e32 v[34:35], s[102:103]
	s_wait_loadcnt 0x0
	v_pk_mul_f32 v[32:33], v[32:33], v[30:31]
	s_wait_xcnt 0x0
	s_delay_alu instid0(VALU_DEP_1)
	v_pk_fma_f32 v[30:31], v[34:35], v[30:31], v[32:33] op_sel:[0,0,1] op_sel_hi:[1,1,0] neg_lo:[1,0,0] neg_hi:[1,0,0]
.LBB64_993:                             ;   in Loop: Header=BB64_3 Depth=1
	s_or_b32 exec_lo, exec_lo, s6
	s_delay_alu instid0(SALU_CYCLE_1)
	s_and_not1_b32 vcc_lo, exec_lo, s11
	s_cbranch_vccnz .LBB64_1012
; %bb.994:                              ;   in Loop: Header=BB64_3 Depth=1
	v_lshl_add_u64 v[32:33], v[6:7], 3, s[70:71]
	v_mov_b32_e32 v75, -1
	s_lshl_b64 s[102:103], s[84:85], 2
	s_mov_b32 s71, 0
	s_add_nc_u64 s[102:103], s[88:89], s[102:103]
	s_branch .LBB64_996
.LBB64_995:                             ;   in Loop: Header=BB64_996 Depth=2
	s_or_b32 exec_lo, exec_lo, s6
	s_add_co_i32 s71, s71, 1
	s_delay_alu instid0(SALU_CYCLE_1)
	s_cmp_eq_u32 s71, vcc_hi
	s_cbranch_scc1 .LBB64_1012
.LBB64_996:                             ;   Parent Loop BB64_3 Depth=1
                                        ; =>  This Loop Header: Depth=2
                                        ;       Child Loop BB64_998 Depth 3
	v_cmp_gt_i32_e32 vcc_lo, s71, v75
	s_and_b32 s9, s36, vcc_lo
	s_delay_alu instid0(SALU_CYCLE_1)
	s_and_saveexec_b32 s6, s9
	s_cbranch_execz .LBB64_999
; %bb.997:                              ;   in Loop: Header=BB64_996 Depth=2
	global_load_b32 v75, v5, s[102:103]
	s_wait_loadcnt 0x0
	v_cmp_le_i32_e32 vcc_lo, s71, v75
	s_cbranch_vccnz .LBB64_999
.LBB64_998:                             ;   Parent Loop BB64_3 Depth=1
                                        ;     Parent Loop BB64_996 Depth=2
                                        ; =>    This Inner Loop Header: Depth=3
	global_wb scope:SCOPE_DEV
	s_wait_storecnt 0x0
	global_inv scope:SCOPE_DEV
	global_load_b32 v75, v5, s[102:103]
	s_wait_loadcnt 0x0
	v_cmp_gt_i32_e32 vcc_lo, s71, v75
	s_cbranch_vccnz .LBB64_998
.LBB64_999:                             ;   in Loop: Header=BB64_996 Depth=2
	s_wait_xcnt 0x0
	s_or_b32 exec_lo, exec_lo, s6
	s_sub_co_i32 s9, s43, s71
	global_wb scope:SCOPE_DEV
	s_wait_storecnt 0x0
	global_inv scope:SCOPE_DEV
	s_lshl_b32 s70, s9, 6
	s_wait_loadcnt 0x0
	s_barrier_signal -1
	s_barrier_wait -1
	s_and_saveexec_b32 s6, s37
	s_cbranch_execz .LBB64_1004
; %bb.1000:                             ;   in Loop: Header=BB64_996 Depth=2
	s_ashr_i32 vcc_lo, s70, 31
	s_delay_alu instid0(SALU_CYCLE_1) | instskip(NEXT) | instid1(VALU_DEP_1)
	v_dual_mov_b32 v35, vcc_lo :: v_dual_bitop2_b32 v34, s70, v4 bitop3:0x54
	v_cmp_le_i64_e32 vcc_lo, s[86:87], v[34:35]
	s_and_saveexec_b32 s7, vcc_lo
	s_delay_alu instid0(SALU_CYCLE_1)
	s_xor_b32 vcc_lo, exec_lo, s7
; %bb.1001:                             ;   in Loop: Header=BB64_996 Depth=2
	ds_store_b64 v65, v[28:29]
                                        ; implicit-def: $vgpr34_vgpr35
; %bb.1002:                             ;   in Loop: Header=BB64_996 Depth=2
	s_and_not1_saveexec_b32 s7, vcc_lo
	s_cbranch_execz .LBB64_1004
; %bb.1003:                             ;   in Loop: Header=BB64_996 Depth=2
	v_mul_u64_e32 v[34:35], s[80:81], v[34:35]
	s_delay_alu instid0(VALU_DEP_1)
	v_lshl_add_u64 v[34:35], v[34:35], 3, s[100:101]
	global_load_b64 v[34:35], v[34:35], off
	s_wait_loadcnt 0x0
	ds_store_b64 v65, v[34:35]
.LBB64_1004:                            ;   in Loop: Header=BB64_996 Depth=2
	s_or_b32 exec_lo, exec_lo, s6
	v_add_nc_u32_e32 v34, s70, v38
	s_cmp_eq_u32 s9, s12
	s_wait_dscnt 0x0
	s_cselect_b32 vcc_lo, -1, 0
	s_barrier_signal -1
	v_ashrrev_i32_e32 v35, 31, v34
	v_cmp_gt_i32_e64 s70, s86, v34
	s_barrier_wait -1
	s_delay_alu instid0(VALU_DEP_2) | instskip(SKIP_1) | instid1(VALU_DEP_1)
	v_mul_u64_e32 v[36:37], s[72:73], v[34:35]
	s_and_b32 s7, s5, s70
	v_lshl_add_u64 v[36:37], v[36:37], 3, v[32:33]
	s_and_saveexec_b32 s6, s7
	s_cbranch_execz .LBB64_1006
; %bb.1005:                             ;   in Loop: Header=BB64_996 Depth=2
	s_delay_alu instid0(VALU_DEP_1) | instskip(SKIP_4) | instid1(VALU_DEP_1)
	v_dual_cndmask_b32 v77, v37, v19 :: v_dual_cndmask_b32 v76, v36, v18
	ds_load_b64 v[78:79], v66
	flat_load_b64 v[76:77], v[76:77]
	s_wait_loadcnt_dscnt 0x0
	v_dual_mul_f32 v35, v79, v77 :: v_dual_mul_f32 v77, v78, v77
	v_dual_fma_f32 v35, v78, v76, -v35 :: v_dual_fmac_f32 v77, v79, v76
	s_delay_alu instid0(VALU_DEP_1)
	v_dual_add_f32 v30, v30, v35 :: v_dual_add_f32 v31, v31, v77
.LBB64_1006:                            ;   in Loop: Header=BB64_996 Depth=2
	s_or_b32 exec_lo, exec_lo, s6
	v_add_nc_u32_e32 v35, 16, v34
	s_delay_alu instid0(VALU_DEP_1) | instskip(SKIP_1) | instid1(SALU_CYCLE_1)
	v_cmp_gt_i32_e64 s70, s86, v35
	s_and_b32 s7, s5, s70
	s_and_saveexec_b32 s6, s7
	s_cbranch_execz .LBB64_1008
; %bb.1007:                             ;   in Loop: Header=BB64_996 Depth=2
	v_add_nc_u64_e32 v[76:77], s[94:95], v[36:37]
	ds_load_b64 v[78:79], v66 offset:128
	v_dual_cndmask_b32 v77, v77, v21 :: v_dual_cndmask_b32 v76, v76, v20
	flat_load_b64 v[76:77], v[76:77]
	s_wait_loadcnt_dscnt 0x0
	v_dual_mul_f32 v35, v79, v77 :: v_dual_mul_f32 v77, v78, v77
	s_delay_alu instid0(VALU_DEP_1) | instskip(NEXT) | instid1(VALU_DEP_1)
	v_dual_fma_f32 v35, v78, v76, -v35 :: v_dual_fmac_f32 v77, v79, v76
	v_dual_add_f32 v30, v30, v35 :: v_dual_add_f32 v31, v31, v77
.LBB64_1008:                            ;   in Loop: Header=BB64_996 Depth=2
	s_or_b32 exec_lo, exec_lo, s6
	v_add_nc_u32_e32 v35, 32, v34
	s_delay_alu instid0(VALU_DEP_1) | instskip(SKIP_1) | instid1(SALU_CYCLE_1)
	v_cmp_gt_i32_e64 s70, s86, v35
	s_and_b32 s7, s5, s70
	s_and_saveexec_b32 s6, s7
	s_cbranch_execz .LBB64_1010
; %bb.1009:                             ;   in Loop: Header=BB64_996 Depth=2
	v_add_nc_u64_e32 v[76:77], s[96:97], v[36:37]
	ds_load_b64 v[78:79], v66 offset:256
	v_dual_cndmask_b32 v77, v77, v23 :: v_dual_cndmask_b32 v76, v76, v22
	flat_load_b64 v[76:77], v[76:77]
	s_wait_loadcnt_dscnt 0x0
	v_dual_mul_f32 v35, v79, v77 :: v_dual_mul_f32 v81, v78, v77
	s_delay_alu instid0(VALU_DEP_1) | instskip(NEXT) | instid1(VALU_DEP_1)
	v_dual_fma_f32 v80, v78, v76, -v35 :: v_dual_fmac_f32 v81, v79, v76
	v_pk_add_f32 v[30:31], v[30:31], v[80:81]
.LBB64_1010:                            ;   in Loop: Header=BB64_996 Depth=2
	s_or_b32 exec_lo, exec_lo, s6
	v_add_nc_u32_e32 v34, 48, v34
	s_delay_alu instid0(VALU_DEP_1) | instskip(SKIP_1) | instid1(SALU_CYCLE_1)
	v_cmp_gt_i32_e64 s70, s86, v34
	s_and_b32 s7, s5, s70
	s_and_saveexec_b32 s6, s7
	s_cbranch_execz .LBB64_995
; %bb.1011:                             ;   in Loop: Header=BB64_996 Depth=2
	v_add_nc_u64_e32 v[34:35], s[98:99], v[36:37]
	ds_load_b64 v[36:37], v66 offset:384
	v_dual_cndmask_b32 v35, v35, v27 :: v_dual_cndmask_b32 v34, v34, v26
	flat_load_b64 v[34:35], v[34:35]
	s_wait_loadcnt_dscnt 0x0
	v_pk_mul_f32 v[76:77], v[36:37], v[34:35] op_sel:[1,1] op_sel_hi:[0,1]
	s_delay_alu instid0(VALU_DEP_1) | instskip(SKIP_1) | instid1(VALU_DEP_2)
	v_pk_fma_f32 v[78:79], v[36:37], v[34:35], v[76:77] op_sel_hi:[1,0,1]
	v_pk_fma_f32 v[34:35], v[36:37], v[34:35], v[76:77] neg_lo:[0,0,1] neg_hi:[0,0,1]
	v_mov_b32_e32 v35, v79
	s_delay_alu instid0(VALU_DEP_1)
	v_pk_add_f32 v[30:31], v[30:31], v[34:35]
	s_branch .LBB64_995
.LBB64_1012:                            ;   in Loop: Header=BB64_3 Depth=1
	ds_store_b64 v67, v[30:31]
	s_wait_dscnt 0x0
	s_barrier_signal -1
	s_barrier_wait -1
	s_and_saveexec_b32 s9, s4
	s_cbranch_execz .LBB64_1014
; %bb.1013:                             ;   in Loop: Header=BB64_3 Depth=1
	ds_load_2addr_stride64_b64 v[32:35], v68 offset0:1 offset1:2
	ds_load_2addr_stride64_b64 v[76:79], v68 offset0:3 offset1:4
	;; [unrolled: 1-line block ×3, first 2 shown]
	s_wait_dscnt 0x2
	v_pk_add_f32 v[30:31], v[30:31], v[32:33]
	s_delay_alu instid0(VALU_DEP_1) | instskip(SKIP_3) | instid1(VALU_DEP_1)
	v_pk_add_f32 v[34:35], v[30:31], v[34:35]
	ds_load_2addr_stride64_b64 v[30:33], v68 offset0:7 offset1:8
	s_wait_dscnt 0x2
	v_pk_add_f32 v[34:35], v[34:35], v[76:77]
	v_pk_add_f32 v[76:77], v[34:35], v[78:79]
	ds_load_2addr_stride64_b64 v[34:37], v68 offset0:9 offset1:10
	s_wait_dscnt 0x2
	v_pk_add_f32 v[76:77], v[76:77], v[80:81]
	s_delay_alu instid0(VALU_DEP_1) | instskip(SKIP_3) | instid1(VALU_DEP_1)
	v_pk_add_f32 v[80:81], v[76:77], v[82:83]
	ds_load_2addr_stride64_b64 v[76:79], v68 offset0:11 offset1:12
	s_wait_dscnt 0x2
	v_pk_add_f32 v[30:31], v[80:81], v[30:31]
	v_pk_add_f32 v[80:81], v[30:31], v[32:33]
	ds_load_2addr_stride64_b64 v[30:33], v68 offset0:13 offset1:14
	s_wait_dscnt 0x2
	v_pk_add_f32 v[34:35], v[80:81], v[34:35]
	s_delay_alu instid0(VALU_DEP_1) | instskip(SKIP_3) | instid1(VALU_DEP_1)
	v_pk_add_f32 v[34:35], v[34:35], v[36:37]
	ds_load_b64 v[36:37], v68 offset:7680
	s_wait_dscnt 0x2
	v_pk_add_f32 v[34:35], v[34:35], v[76:77]
	v_pk_add_f32 v[34:35], v[34:35], v[78:79]
	s_wait_dscnt 0x1
	s_delay_alu instid0(VALU_DEP_1) | instskip(NEXT) | instid1(VALU_DEP_1)
	v_pk_add_f32 v[30:31], v[34:35], v[30:31]
	v_pk_add_f32 v[30:31], v[30:31], v[32:33]
	s_wait_dscnt 0x0
	s_delay_alu instid0(VALU_DEP_1) | instskip(NEXT) | instid1(VALU_DEP_1)
	v_pk_add_f32 v[30:31], v[30:31], v[36:37]
	v_cndmask_b32_e64 v31, -v31, 0, s69
	s_delay_alu instid0(VALU_DEP_2)
	v_cndmask_b32_e64 v30, -v30, 0, s69
.LBB64_1014:                            ;   in Loop: Header=BB64_3 Depth=1
	s_or_b32 exec_lo, exec_lo, s9
	s_delay_alu instid0(SALU_CYCLE_1)
	s_and_not1_b32 vcc_lo, exec_lo, s46
	s_cbranch_vccnz .LBB64_1027
; %bb.1015:                             ;   in Loop: Header=BB64_3 Depth=1
	s_and_saveexec_b32 s6, s4
; %bb.1016:                             ;   in Loop: Header=BB64_3 Depth=1
	ds_store_b64 v70, v[30:31]
; %bb.1017:                             ;   in Loop: Header=BB64_3 Depth=1
	s_or_b32 exec_lo, exec_lo, s6
	v_mov_b64_e32 v[32:33], 0
	s_wait_dscnt 0x0
	s_barrier_signal -1
	s_barrier_wait -1
	s_mov_b32 s6, exec_lo
	v_readlane_b32 s7, v85, 13
	s_and_b32 s7, s6, s7
	s_delay_alu instid0(SALU_CYCLE_1)
	s_mov_b32 exec_lo, s7
	s_cbranch_execz .LBB64_1019
; %bb.1018:                             ;   in Loop: Header=BB64_3 Depth=1
	ds_load_b64 v[32:33], v69
	ds_load_b64 v[34:35], v66
	s_wait_dscnt 0x0
	v_dual_mul_f32 v36, v35, v33 :: v_dual_mul_f32 v33, v34, v33
	s_delay_alu instid0(VALU_DEP_1) | instskip(NEXT) | instid1(VALU_DEP_1)
	v_dual_fma_f32 v34, v34, v32, -v36 :: v_dual_fmac_f32 v33, v35, v32
	v_dual_add_f32 v32, 0, v34 :: v_dual_add_f32 v33, 0, v33
.LBB64_1019:                            ;   in Loop: Header=BB64_3 Depth=1
	s_or_b32 exec_lo, exec_lo, s6
	s_delay_alu instid0(SALU_CYCLE_1) | instskip(SKIP_2) | instid1(SALU_CYCLE_1)
	s_mov_b32 s6, exec_lo
	v_readlane_b32 s7, v85, 14
	s_and_b32 s7, s6, s7
	s_mov_b32 exec_lo, s7
	s_cbranch_execz .LBB64_1021
; %bb.1020:                             ;   in Loop: Header=BB64_3 Depth=1
	ds_load_b64 v[34:35], v69 offset:8192
	ds_load_b64 v[36:37], v66 offset:128
	s_wait_dscnt 0x0
	v_dual_mul_f32 v75, v37, v35 :: v_dual_mul_f32 v77, v36, v35
	s_delay_alu instid0(VALU_DEP_1) | instskip(NEXT) | instid1(VALU_DEP_1)
	v_dual_fma_f32 v76, v36, v34, -v75 :: v_dual_fmac_f32 v77, v37, v34
	v_pk_add_f32 v[32:33], v[32:33], v[76:77]
.LBB64_1021:                            ;   in Loop: Header=BB64_3 Depth=1
	s_or_b32 exec_lo, exec_lo, s6
	s_delay_alu instid0(SALU_CYCLE_1) | instskip(SKIP_2) | instid1(SALU_CYCLE_1)
	s_mov_b32 s6, exec_lo
	v_readlane_b32 s7, v85, 15
	s_and_b32 s7, s6, s7
	s_mov_b32 exec_lo, s7
	s_cbranch_execz .LBB64_1023
; %bb.1022:                             ;   in Loop: Header=BB64_3 Depth=1
	ds_load_b64 v[34:35], v69 offset:16384
	ds_load_b64 v[36:37], v66 offset:256
	s_wait_dscnt 0x0
	v_pk_mul_f32 v[76:77], v[36:37], v[34:35] op_sel:[1,1] op_sel_hi:[0,1]
	s_delay_alu instid0(VALU_DEP_1) | instskip(SKIP_1) | instid1(VALU_DEP_2)
	v_pk_fma_f32 v[78:79], v[36:37], v[34:35], v[76:77] op_sel_hi:[1,0,1]
	v_pk_fma_f32 v[34:35], v[36:37], v[34:35], v[76:77] neg_lo:[0,0,1] neg_hi:[0,0,1]
	v_mov_b32_e32 v35, v79
	s_delay_alu instid0(VALU_DEP_1)
	v_pk_add_f32 v[32:33], v[32:33], v[34:35]
.LBB64_1023:                            ;   in Loop: Header=BB64_3 Depth=1
	s_or_b32 exec_lo, exec_lo, s6
	s_delay_alu instid0(SALU_CYCLE_1) | instskip(SKIP_2) | instid1(SALU_CYCLE_1)
	s_mov_b32 s6, exec_lo
	v_readlane_b32 s7, v85, 16
	s_and_b32 s7, s6, s7
	s_mov_b32 exec_lo, s7
	s_cbranch_execz .LBB64_1025
; %bb.1024:                             ;   in Loop: Header=BB64_3 Depth=1
	ds_load_b64 v[34:35], v69 offset:24576
	ds_load_b64 v[36:37], v66 offset:384
	s_wait_dscnt 0x0
	v_pk_mul_f32 v[76:77], v[36:37], v[34:35] op_sel:[1,1] op_sel_hi:[0,1]
	s_delay_alu instid0(VALU_DEP_1) | instskip(SKIP_1) | instid1(VALU_DEP_2)
	v_pk_fma_f32 v[78:79], v[36:37], v[34:35], v[76:77] op_sel_hi:[1,0,1]
	v_pk_fma_f32 v[34:35], v[36:37], v[34:35], v[76:77] neg_lo:[0,0,1] neg_hi:[0,0,1]
	v_mov_b32_e32 v35, v79
	s_delay_alu instid0(VALU_DEP_1)
	v_pk_add_f32 v[32:33], v[32:33], v[34:35]
.LBB64_1025:                            ;   in Loop: Header=BB64_3 Depth=1
	s_or_b32 exec_lo, exec_lo, s6
	s_mov_b32 s71, 0
	s_mov_b32 s70, 0
	ds_store_b64 v67, v[32:33]
	s_wait_dscnt 0x0
	s_barrier_signal -1
	s_barrier_wait -1
                                        ; implicit-def: $vgpr34_vgpr35
	s_and_saveexec_b32 s9, s4
	s_cbranch_execz .LBB64_1044
; %bb.1026:                             ;   in Loop: Header=BB64_3 Depth=1
	ds_load_2addr_stride64_b64 v[34:37], v68 offset0:1 offset1:2
	ds_load_2addr_stride64_b64 v[76:79], v68 offset0:3 offset1:4
	;; [unrolled: 1-line block ×3, first 2 shown]
	s_mov_b32 s70, exec_lo
	s_wait_dscnt 0x2
	v_pk_add_f32 v[32:33], v[32:33], v[34:35]
	s_delay_alu instid0(VALU_DEP_1) | instskip(SKIP_3) | instid1(VALU_DEP_1)
	v_pk_add_f32 v[36:37], v[32:33], v[36:37]
	ds_load_2addr_stride64_b64 v[32:35], v68 offset0:7 offset1:8
	s_wait_dscnt 0x2
	v_pk_add_f32 v[36:37], v[36:37], v[76:77]
	v_pk_add_f32 v[36:37], v[36:37], v[78:79]
	ds_load_2addr_stride64_b64 v[76:79], v68 offset0:9 offset1:10
	s_wait_dscnt 0x2
	v_pk_add_f32 v[36:37], v[36:37], v[80:81]
	s_delay_alu instid0(VALU_DEP_1) | instskip(SKIP_3) | instid1(VALU_DEP_1)
	v_pk_add_f32 v[36:37], v[36:37], v[82:83]
	ds_load_2addr_stride64_b64 v[80:83], v68 offset0:11 offset1:12
	s_wait_dscnt 0x2
	v_pk_add_f32 v[32:33], v[36:37], v[32:33]
	v_pk_add_f32 v[32:33], v[32:33], v[34:35]
	s_wait_dscnt 0x1
	s_delay_alu instid0(VALU_DEP_1) | instskip(SKIP_4) | instid1(VALU_DEP_1)
	v_pk_add_f32 v[36:37], v[32:33], v[76:77]
	ds_load_2addr_stride64_b64 v[32:35], v68 offset0:13 offset1:14
	ds_load_b64 v[76:77], v68 offset:7680
	v_pk_add_f32 v[36:37], v[36:37], v[78:79]
	s_wait_dscnt 0x2
	v_pk_add_f32 v[36:37], v[36:37], v[80:81]
	s_delay_alu instid0(VALU_DEP_1) | instskip(SKIP_1) | instid1(VALU_DEP_1)
	v_pk_add_f32 v[36:37], v[36:37], v[82:83]
	s_wait_dscnt 0x1
	v_pk_add_f32 v[32:33], v[36:37], v[32:33]
	s_delay_alu instid0(VALU_DEP_1) | instskip(SKIP_1) | instid1(VALU_DEP_1)
	v_pk_add_f32 v[32:33], v[32:33], v[34:35]
	s_wait_dscnt 0x0
	v_pk_add_f32 v[34:35], v[32:33], v[76:77]
	s_or_b32 exec_lo, exec_lo, s9
	s_delay_alu instid0(SALU_CYCLE_1)
	s_and_b32 vcc_lo, exec_lo, s71
	s_cbranch_vccnz .LBB64_1028
	s_branch .LBB64_1045
.LBB64_1027:                            ;   in Loop: Header=BB64_3 Depth=1
	s_mov_b32 s70, 0
                                        ; implicit-def: $vgpr34_vgpr35
	s_cbranch_execz .LBB64_1045
.LBB64_1028:                            ;   in Loop: Header=BB64_3 Depth=1
	v_mov_b32_e32 v32, v62
	s_mov_b32 s71, 63
	s_branch .LBB64_1030
.LBB64_1029:                            ;   in Loop: Header=BB64_1030 Depth=2
	s_or_b32 exec_lo, exec_lo, s6
	v_add_nc_u32_e32 v32, 0xfffffc00, v32
	s_add_co_i32 s71, s71, -2
	s_cmp_lg_u32 s102, 0
	s_barrier_signal -1
	s_barrier_wait -1
	s_cbranch_scc0 .LBB64_1038
.LBB64_1030:                            ;   Parent Loop BB64_3 Depth=1
                                        ; =>  This Inner Loop Header: Depth=2
	s_delay_alu instid0(VALU_DEP_1) | instskip(SKIP_1) | instid1(SALU_CYCLE_1)
	v_cmp_eq_u32_e32 vcc_lo, 0xffff8200, v32
	s_and_b32 s7, s4, vcc_lo
	s_and_saveexec_b32 s6, s7
	s_cbranch_execz .LBB64_1032
; %bb.1031:                             ;   in Loop: Header=BB64_1030 Depth=2
	ds_load_b64 v[34:35], v61
	s_wait_dscnt 0x0
	v_pk_mul_f32 v[36:37], v[30:31], v[34:35] op_sel:[1,1] op_sel_hi:[1,0]
	s_delay_alu instid0(VALU_DEP_1) | instskip(SKIP_1) | instid1(VALU_DEP_2)
	v_pk_fma_f32 v[76:77], v[30:31], v[34:35], v[36:37] op_sel_hi:[0,1,1]
	v_pk_fma_f32 v[34:35], v[30:31], v[34:35], v[36:37] neg_lo:[0,0,1] neg_hi:[0,0,1]
	v_mov_b32_e32 v35, v77
	s_delay_alu instid0(VALU_DEP_1)
	v_mov_b64_e32 v[30:31], v[34:35]
	ds_store_b64 v5, v[34:35] offset:41472
.LBB64_1032:                            ;   in Loop: Header=BB64_1030 Depth=2
	s_or_b32 exec_lo, exec_lo, s6
	v_cmp_gt_u32_e32 vcc_lo, s71, v2
	v_add_nc_u32_e32 v33, v58, v32
	s_wait_dscnt 0x0
	s_barrier_signal -1
	s_barrier_wait -1
	s_and_b32 s7, s4, vcc_lo
	s_delay_alu instid0(SALU_CYCLE_1)
	s_and_saveexec_b32 s6, s7
	s_cbranch_execz .LBB64_1034
; %bb.1033:                             ;   in Loop: Header=BB64_1030 Depth=2
	ds_load_b64 v[34:35], v33 offset:512
	ds_load_b64 v[36:37], v5 offset:41472
	s_wait_dscnt 0x0
	v_pk_mul_f32 v[76:77], v[36:37], v[34:35] op_sel:[1,1] op_sel_hi:[0,1]
	s_delay_alu instid0(VALU_DEP_1) | instskip(SKIP_1) | instid1(VALU_DEP_2)
	v_pk_fma_f32 v[78:79], v[36:37], v[34:35], v[76:77] op_sel_hi:[1,0,1]
	v_pk_fma_f32 v[34:35], v[36:37], v[34:35], v[76:77] neg_lo:[0,0,1] neg_hi:[0,0,1]
	v_mov_b32_e32 v35, v79
	s_delay_alu instid0(VALU_DEP_1)
	v_pk_add_f32 v[30:31], v[30:31], v[34:35]
.LBB64_1034:                            ;   in Loop: Header=BB64_1030 Depth=2
	s_or_b32 exec_lo, exec_lo, s6
	s_add_co_i32 s102, s71, -1
	s_delay_alu instid0(SALU_CYCLE_1) | instskip(SKIP_3) | instid1(SALU_CYCLE_1)
	v_cmp_eq_u32_e32 vcc_lo, s102, v2
	s_barrier_signal -1
	s_barrier_wait -1
	s_and_b32 s7, s4, vcc_lo
	s_and_saveexec_b32 s6, s7
	s_cbranch_execz .LBB64_1036
; %bb.1035:                             ;   in Loop: Header=BB64_1030 Depth=2
	ds_load_b64 v[34:35], v61
	s_wait_dscnt 0x0
	v_pk_mul_f32 v[36:37], v[30:31], v[34:35] op_sel:[1,1] op_sel_hi:[1,0]
	s_delay_alu instid0(VALU_DEP_1) | instskip(SKIP_1) | instid1(VALU_DEP_2)
	v_pk_fma_f32 v[76:77], v[30:31], v[34:35], v[36:37] op_sel_hi:[0,1,1]
	v_pk_fma_f32 v[34:35], v[30:31], v[34:35], v[36:37] neg_lo:[0,0,1] neg_hi:[0,0,1]
	v_mov_b32_e32 v35, v77
	s_delay_alu instid0(VALU_DEP_1)
	v_mov_b64_e32 v[30:31], v[34:35]
	ds_store_b64 v5, v[34:35] offset:41472
.LBB64_1036:                            ;   in Loop: Header=BB64_1030 Depth=2
	s_or_b32 exec_lo, exec_lo, s6
	v_cmp_gt_u32_e32 vcc_lo, s102, v2
	s_wait_dscnt 0x0
	s_barrier_signal -1
	s_barrier_wait -1
	s_and_b32 s7, s4, vcc_lo
	s_delay_alu instid0(SALU_CYCLE_1)
	s_and_saveexec_b32 s6, s7
	s_cbranch_execz .LBB64_1029
; %bb.1037:                             ;   in Loop: Header=BB64_1030 Depth=2
	ds_load_b64 v[34:35], v33
	ds_load_b64 v[36:37], v5 offset:41472
	s_wait_dscnt 0x0
	v_pk_mul_f32 v[76:77], v[36:37], v[34:35] op_sel:[1,1] op_sel_hi:[0,1]
	s_delay_alu instid0(VALU_DEP_1) | instskip(SKIP_1) | instid1(VALU_DEP_2)
	v_pk_fma_f32 v[78:79], v[36:37], v[34:35], v[76:77] op_sel_hi:[1,0,1]
	v_pk_fma_f32 v[34:35], v[36:37], v[34:35], v[76:77] neg_lo:[0,0,1] neg_hi:[0,0,1]
	v_mov_b32_e32 v35, v79
	s_delay_alu instid0(VALU_DEP_1)
	v_pk_add_f32 v[30:31], v[30:31], v[34:35]
	s_branch .LBB64_1029
.LBB64_1038:                            ;   in Loop: Header=BB64_3 Depth=1
	s_and_b32 vcc_lo, exec_lo, s44
	s_mov_b32 s6, -1
	s_cbranch_vccnz .LBB64_1046
; %bb.1039:                             ;   in Loop: Header=BB64_3 Depth=1
	s_and_not1_b32 vcc_lo, exec_lo, s6
	s_cbranch_vccz .LBB64_1047
.LBB64_1040:                            ;   in Loop: Header=BB64_3 Depth=1
	s_and_saveexec_b32 s6, s70
	s_cbranch_execz .LBB64_1042
.LBB64_1041:                            ;   in Loop: Header=BB64_3 Depth=1
	v_lshl_add_u64 v[32:33], v[0:1], 3, s[100:101]
	global_store_b64 v[32:33], v[30:31], off
.LBB64_1042:                            ;   in Loop: Header=BB64_3 Depth=1
	s_wait_xcnt 0x0
	s_or_b32 exec_lo, exec_lo, s6
	global_wb scope:SCOPE_DEV
	s_wait_storecnt 0x0
	global_inv scope:SCOPE_DEV
	s_wait_loadcnt 0x0
	s_barrier_signal -1
	s_barrier_wait -1
	s_and_saveexec_b32 s6, s36
	s_cbranch_execz .LBB64_2
; %bb.1043:                             ;   in Loop: Header=BB64_3 Depth=1
	s_lshl_b64 s[70:71], s[84:85], 2
	s_delay_alu instid0(SALU_CYCLE_1)
	s_add_nc_u64 s[70:71], s[88:89], s[70:71]
	global_load_b32 v30, v5, s[70:71]
	s_wait_loadcnt 0x0
	v_add_nc_u32_e32 v30, 1, v30
	global_store_b32 v5, v30, s[70:71]
	s_branch .LBB64_2
.LBB64_1044:                            ;   in Loop: Header=BB64_3 Depth=1
	s_or_b32 exec_lo, exec_lo, s9
	s_delay_alu instid0(SALU_CYCLE_1)
	s_and_b32 vcc_lo, exec_lo, s71
	s_cbranch_vccnz .LBB64_1028
.LBB64_1045:                            ;   in Loop: Header=BB64_3 Depth=1
	v_mov_b64_e32 v[30:31], v[34:35]
	s_and_saveexec_b32 s6, s70
	s_cbranch_execnz .LBB64_1041
	s_branch .LBB64_1042
.LBB64_1046:                            ;   in Loop: Header=BB64_3 Depth=1
	s_and_not1_b32 s7, s70, exec_lo
	s_and_b32 s9, s4, exec_lo
	s_delay_alu instid0(SALU_CYCLE_1)
	s_or_b32 s70, s7, s9
	s_cbranch_execnz .LBB64_1040
.LBB64_1047:                            ;   in Loop: Header=BB64_3 Depth=1
	v_readlane_b32 s7, v86, 10
	s_and_not1_b32 s6, s70, exec_lo
	s_and_b32 s7, s7, exec_lo
	s_delay_alu instid0(SALU_CYCLE_1) | instskip(NEXT) | instid1(SALU_CYCLE_1)
	s_or_b32 s70, s6, s7
	s_and_saveexec_b32 s6, s70
	s_cbranch_execnz .LBB64_1041
	s_branch .LBB64_1042
.LBB64_1048:                            ;   in Loop: Header=BB64_3 Depth=1
	ds_load_b64 v[32:33], v44 offset:31680
	ds_load_b64 v[34:35], v45 offset:32744
	s_wait_dscnt 0x0
	v_dual_mul_f32 v36, v35, v33 :: v_dual_mul_f32 v33, v34, v33
	s_delay_alu instid0(VALU_DEP_1) | instskip(NEXT) | instid1(VALU_DEP_1)
	v_dual_fma_f32 v34, v34, v32, -v36 :: v_dual_fmac_f32 v33, v35, v32
	v_dual_add_f32 v30, v30, v34 :: v_dual_add_f32 v31, v31, v33
	s_or_b32 exec_lo, exec_lo, s6
	s_and_saveexec_b32 s6, s17
	s_cbranch_execz .LBB64_151
.LBB64_1049:                            ;   in Loop: Header=BB64_3 Depth=1
	ds_load_b64 v[32:33], v44 offset:32192
	ds_load_b64 v[34:35], v45 offset:32752
	s_wait_dscnt 0x0
	v_dual_mul_f32 v36, v35, v33 :: v_dual_mul_f32 v33, v34, v33
	s_delay_alu instid0(VALU_DEP_1) | instskip(NEXT) | instid1(VALU_DEP_1)
	v_dual_fma_f32 v34, v34, v32, -v36 :: v_dual_fmac_f32 v33, v35, v32
	v_dual_add_f32 v30, v30, v34 :: v_dual_add_f32 v31, v31, v33
	s_or_b32 exec_lo, exec_lo, s6
	s_and_saveexec_b32 s6, s0
	s_cbranch_execnz .LBB64_152
	s_branch .LBB64_153
.LBB64_1050:                            ;   in Loop: Header=BB64_3 Depth=1
	ds_load_b64 v[32:33], v48 offset:29568
	ds_load_b64 v[34:35], v49 offset:32712
	s_wait_dscnt 0x0
	v_dual_mul_f32 v36, v35, v33 :: v_dual_mul_f32 v33, v34, v33
	s_delay_alu instid0(VALU_DEP_1) | instskip(NEXT) | instid1(VALU_DEP_1)
	v_dual_fma_f32 v34, v34, v32, -v36 :: v_dual_fmac_f32 v33, v35, v32
	v_dual_add_f32 v30, v30, v34 :: v_dual_add_f32 v31, v31, v33
	s_or_b32 exec_lo, exec_lo, s6
	s_and_saveexec_b32 s6, s19
	s_cbranch_execz .LBB64_189
.LBB64_1051:                            ;   in Loop: Header=BB64_3 Depth=1
	ds_load_b64 v[32:33], v48 offset:30080
	ds_load_b64 v[34:35], v49 offset:32720
	s_wait_dscnt 0x0
	v_dual_mul_f32 v36, v35, v33 :: v_dual_mul_f32 v33, v34, v33
	s_delay_alu instid0(VALU_DEP_1) | instskip(NEXT) | instid1(VALU_DEP_1)
	v_dual_fma_f32 v34, v34, v32, -v36 :: v_dual_fmac_f32 v33, v35, v32
	v_dual_add_f32 v30, v30, v34 :: v_dual_add_f32 v31, v31, v33
	s_or_b32 exec_lo, exec_lo, s6
	s_and_saveexec_b32 s6, s20
	s_cbranch_execz .LBB64_190
.LBB64_1052:                            ;   in Loop: Header=BB64_3 Depth=1
	ds_load_b64 v[32:33], v48 offset:30592
	ds_load_b64 v[34:35], v49 offset:32728
	s_wait_dscnt 0x0
	v_dual_mul_f32 v36, v35, v33 :: v_dual_mul_f32 v33, v34, v33
	s_delay_alu instid0(VALU_DEP_1) | instskip(NEXT) | instid1(VALU_DEP_1)
	v_dual_fma_f32 v34, v34, v32, -v36 :: v_dual_fmac_f32 v33, v35, v32
	v_dual_add_f32 v30, v30, v34 :: v_dual_add_f32 v31, v31, v33
	s_or_b32 exec_lo, exec_lo, s6
	s_and_saveexec_b32 s6, s21
	s_cbranch_execz .LBB64_191
.LBB64_1053:                            ;   in Loop: Header=BB64_3 Depth=1
	ds_load_b64 v[32:33], v48 offset:31104
	ds_load_b64 v[34:35], v49 offset:32736
	s_wait_dscnt 0x0
	v_dual_mul_f32 v36, v35, v33 :: v_dual_mul_f32 v33, v34, v33
	s_delay_alu instid0(VALU_DEP_1) | instskip(NEXT) | instid1(VALU_DEP_1)
	v_dual_fma_f32 v34, v34, v32, -v36 :: v_dual_fmac_f32 v33, v35, v32
	v_dual_add_f32 v30, v30, v34 :: v_dual_add_f32 v31, v31, v33
	s_or_b32 exec_lo, exec_lo, s6
	s_and_saveexec_b32 s6, s22
	s_cbranch_execz .LBB64_192
.LBB64_1054:                            ;   in Loop: Header=BB64_3 Depth=1
	ds_load_b64 v[32:33], v48 offset:31616
	ds_load_b64 v[34:35], v49 offset:32744
	s_wait_dscnt 0x0
	v_dual_mul_f32 v36, v35, v33 :: v_dual_mul_f32 v33, v34, v33
	s_delay_alu instid0(VALU_DEP_1) | instskip(NEXT) | instid1(VALU_DEP_1)
	v_dual_fma_f32 v34, v34, v32, -v36 :: v_dual_fmac_f32 v33, v35, v32
	v_dual_add_f32 v30, v30, v34 :: v_dual_add_f32 v31, v31, v33
	s_or_b32 exec_lo, exec_lo, s6
	s_and_saveexec_b32 s6, s1
	s_cbranch_execz .LBB64_193
.LBB64_1055:                            ;   in Loop: Header=BB64_3 Depth=1
	ds_load_b64 v[32:33], v48 offset:32128
	ds_load_b64 v[34:35], v49 offset:32752
	s_wait_dscnt 0x0
	v_dual_mul_f32 v36, v35, v33 :: v_dual_mul_f32 v33, v34, v33
	s_delay_alu instid0(VALU_DEP_1) | instskip(NEXT) | instid1(VALU_DEP_1)
	v_dual_fma_f32 v34, v34, v32, -v36 :: v_dual_fmac_f32 v33, v35, v32
	v_dual_add_f32 v30, v30, v34 :: v_dual_add_f32 v31, v31, v33
	s_or_b32 exec_lo, exec_lo, s6
	s_and_saveexec_b32 s6, s17
	s_cbranch_execnz .LBB64_194
	s_branch .LBB64_195
.LBB64_1056:                            ;   in Loop: Header=BB64_3 Depth=1
	ds_load_b64 v[32:33], v44 offset:27520
	ds_load_b64 v[34:35], v45 offset:28584
	s_wait_dscnt 0x0
	v_dual_mul_f32 v36, v35, v33 :: v_dual_mul_f32 v33, v34, v33
	s_delay_alu instid0(VALU_DEP_1) | instskip(NEXT) | instid1(VALU_DEP_1)
	v_dual_fma_f32 v34, v34, v32, -v36 :: v_dual_fmac_f32 v33, v35, v32
	v_dual_add_f32 v30, v30, v34 :: v_dual_add_f32 v31, v31, v33
	s_or_b32 exec_lo, exec_lo, s6
	s_and_saveexec_b32 s6, s17
	s_cbranch_execz .LBB64_247
.LBB64_1057:                            ;   in Loop: Header=BB64_3 Depth=1
	ds_load_b64 v[32:33], v44 offset:28032
	ds_load_b64 v[34:35], v45 offset:28592
	s_wait_dscnt 0x0
	v_dual_mul_f32 v36, v35, v33 :: v_dual_mul_f32 v33, v34, v33
	s_delay_alu instid0(VALU_DEP_1) | instskip(NEXT) | instid1(VALU_DEP_1)
	v_dual_fma_f32 v34, v34, v32, -v36 :: v_dual_fmac_f32 v33, v35, v32
	v_dual_add_f32 v30, v30, v34 :: v_dual_add_f32 v31, v31, v33
	s_or_b32 exec_lo, exec_lo, s6
	s_and_saveexec_b32 s6, s0
	s_cbranch_execnz .LBB64_248
	s_branch .LBB64_249
.LBB64_1058:                            ;   in Loop: Header=BB64_3 Depth=1
	ds_load_b64 v[32:33], v52 offset:30464
	ds_load_b64 v[34:35], v53 offset:32728
	s_wait_dscnt 0x0
	v_dual_mul_f32 v36, v35, v33 :: v_dual_mul_f32 v33, v34, v33
	s_delay_alu instid0(VALU_DEP_1) | instskip(NEXT) | instid1(VALU_DEP_1)
	v_dual_fma_f32 v34, v34, v32, -v36 :: v_dual_fmac_f32 v33, v35, v32
	v_dual_add_f32 v30, v30, v34 :: v_dual_add_f32 v31, v31, v33
	s_or_b32 exec_lo, exec_lo, s6
	s_and_saveexec_b32 s6, s2
	s_cbranch_execz .LBB64_305
.LBB64_1059:                            ;   in Loop: Header=BB64_3 Depth=1
	ds_load_b64 v[32:33], v52 offset:30976
	ds_load_b64 v[34:35], v53 offset:32736
	s_wait_dscnt 0x0
	v_dual_mul_f32 v36, v35, v33 :: v_dual_mul_f32 v33, v34, v33
	s_delay_alu instid0(VALU_DEP_1) | instskip(NEXT) | instid1(VALU_DEP_1)
	v_dual_fma_f32 v34, v34, v32, -v36 :: v_dual_fmac_f32 v33, v35, v32
	v_dual_add_f32 v30, v30, v34 :: v_dual_add_f32 v31, v31, v33
	s_or_b32 exec_lo, exec_lo, s6
	s_and_saveexec_b32 s6, s19
	s_cbranch_execz .LBB64_306
.LBB64_1060:                            ;   in Loop: Header=BB64_3 Depth=1
	ds_load_b64 v[32:33], v52 offset:31488
	ds_load_b64 v[34:35], v53 offset:32744
	s_wait_dscnt 0x0
	v_dual_mul_f32 v36, v35, v33 :: v_dual_mul_f32 v33, v34, v33
	s_delay_alu instid0(VALU_DEP_1) | instskip(NEXT) | instid1(VALU_DEP_1)
	v_dual_fma_f32 v34, v34, v32, -v36 :: v_dual_fmac_f32 v33, v35, v32
	v_dual_add_f32 v30, v30, v34 :: v_dual_add_f32 v31, v31, v33
	s_or_b32 exec_lo, exec_lo, s6
	s_and_saveexec_b32 s6, s21
	s_cbranch_execz .LBB64_307
.LBB64_1061:                            ;   in Loop: Header=BB64_3 Depth=1
	ds_load_b64 v[32:33], v52 offset:32000
	ds_load_b64 v[34:35], v53 offset:32752
	s_wait_dscnt 0x0
	v_dual_mul_f32 v36, v35, v33 :: v_dual_mul_f32 v33, v34, v33
	s_delay_alu instid0(VALU_DEP_1) | instskip(NEXT) | instid1(VALU_DEP_1)
	v_dual_fma_f32 v34, v34, v32, -v36 :: v_dual_fmac_f32 v33, v35, v32
	v_dual_add_f32 v30, v30, v34 :: v_dual_add_f32 v31, v31, v33
	s_or_b32 exec_lo, exec_lo, s6
	s_and_saveexec_b32 s6, s1
	s_cbranch_execnz .LBB64_308
	s_branch .LBB64_309
.LBB64_1062:                            ;   in Loop: Header=BB64_3 Depth=1
	ds_load_b64 v[32:33], v44 offset:23360
	ds_load_b64 v[34:35], v45 offset:24424
	s_wait_dscnt 0x0
	v_dual_mul_f32 v36, v35, v33 :: v_dual_mul_f32 v33, v34, v33
	s_delay_alu instid0(VALU_DEP_1) | instskip(NEXT) | instid1(VALU_DEP_1)
	v_dual_fma_f32 v34, v34, v32, -v36 :: v_dual_fmac_f32 v33, v35, v32
	v_dual_add_f32 v30, v30, v34 :: v_dual_add_f32 v31, v31, v33
	s_or_b32 exec_lo, exec_lo, s6
	s_and_saveexec_b32 s6, s17
	s_cbranch_execz .LBB64_393
.LBB64_1063:                            ;   in Loop: Header=BB64_3 Depth=1
	ds_load_b64 v[32:33], v44 offset:23872
	ds_load_b64 v[34:35], v45 offset:24432
	s_wait_dscnt 0x0
	v_dual_mul_f32 v36, v35, v33 :: v_dual_mul_f32 v33, v34, v33
	s_delay_alu instid0(VALU_DEP_1) | instskip(NEXT) | instid1(VALU_DEP_1)
	v_dual_fma_f32 v34, v34, v32, -v36 :: v_dual_fmac_f32 v33, v35, v32
	v_dual_add_f32 v30, v30, v34 :: v_dual_add_f32 v31, v31, v33
	s_or_b32 exec_lo, exec_lo, s6
	s_and_saveexec_b32 s6, s0
	s_cbranch_execnz .LBB64_394
	s_branch .LBB64_395
.LBB64_1064:                            ;   in Loop: Header=BB64_3 Depth=1
	ds_load_b64 v[32:33], v48 offset:21248
	ds_load_b64 v[34:35], v49 offset:24392
	s_wait_dscnt 0x0
	v_dual_mul_f32 v36, v35, v33 :: v_dual_mul_f32 v33, v34, v33
	s_delay_alu instid0(VALU_DEP_1) | instskip(NEXT) | instid1(VALU_DEP_1)
	v_dual_fma_f32 v34, v34, v32, -v36 :: v_dual_fmac_f32 v33, v35, v32
	v_dual_add_f32 v30, v30, v34 :: v_dual_add_f32 v31, v31, v33
	s_or_b32 exec_lo, exec_lo, s6
	s_and_saveexec_b32 s6, s19
	s_cbranch_execz .LBB64_431
.LBB64_1065:                            ;   in Loop: Header=BB64_3 Depth=1
	ds_load_b64 v[32:33], v48 offset:21760
	ds_load_b64 v[34:35], v49 offset:24400
	s_wait_dscnt 0x0
	v_dual_mul_f32 v36, v35, v33 :: v_dual_mul_f32 v33, v34, v33
	s_delay_alu instid0(VALU_DEP_1) | instskip(NEXT) | instid1(VALU_DEP_1)
	v_dual_fma_f32 v34, v34, v32, -v36 :: v_dual_fmac_f32 v33, v35, v32
	v_dual_add_f32 v30, v30, v34 :: v_dual_add_f32 v31, v31, v33
	s_or_b32 exec_lo, exec_lo, s6
	s_and_saveexec_b32 s6, s20
	s_cbranch_execz .LBB64_432
.LBB64_1066:                            ;   in Loop: Header=BB64_3 Depth=1
	ds_load_b64 v[32:33], v48 offset:22272
	ds_load_b64 v[34:35], v49 offset:24408
	s_wait_dscnt 0x0
	v_dual_mul_f32 v36, v35, v33 :: v_dual_mul_f32 v33, v34, v33
	s_delay_alu instid0(VALU_DEP_1) | instskip(NEXT) | instid1(VALU_DEP_1)
	v_dual_fma_f32 v34, v34, v32, -v36 :: v_dual_fmac_f32 v33, v35, v32
	v_dual_add_f32 v30, v30, v34 :: v_dual_add_f32 v31, v31, v33
	s_or_b32 exec_lo, exec_lo, s6
	s_and_saveexec_b32 s6, s21
	s_cbranch_execz .LBB64_433
.LBB64_1067:                            ;   in Loop: Header=BB64_3 Depth=1
	ds_load_b64 v[32:33], v48 offset:22784
	ds_load_b64 v[34:35], v49 offset:24416
	s_wait_dscnt 0x0
	v_dual_mul_f32 v36, v35, v33 :: v_dual_mul_f32 v33, v34, v33
	s_delay_alu instid0(VALU_DEP_1) | instskip(NEXT) | instid1(VALU_DEP_1)
	v_dual_fma_f32 v34, v34, v32, -v36 :: v_dual_fmac_f32 v33, v35, v32
	v_dual_add_f32 v30, v30, v34 :: v_dual_add_f32 v31, v31, v33
	s_or_b32 exec_lo, exec_lo, s6
	s_and_saveexec_b32 s6, s22
	s_cbranch_execz .LBB64_434
.LBB64_1068:                            ;   in Loop: Header=BB64_3 Depth=1
	ds_load_b64 v[32:33], v48 offset:23296
	ds_load_b64 v[34:35], v49 offset:24424
	s_wait_dscnt 0x0
	v_dual_mul_f32 v36, v35, v33 :: v_dual_mul_f32 v33, v34, v33
	s_delay_alu instid0(VALU_DEP_1) | instskip(NEXT) | instid1(VALU_DEP_1)
	v_dual_fma_f32 v34, v34, v32, -v36 :: v_dual_fmac_f32 v33, v35, v32
	v_dual_add_f32 v30, v30, v34 :: v_dual_add_f32 v31, v31, v33
	s_or_b32 exec_lo, exec_lo, s6
	s_and_saveexec_b32 s6, s1
	s_cbranch_execz .LBB64_435
.LBB64_1069:                            ;   in Loop: Header=BB64_3 Depth=1
	ds_load_b64 v[32:33], v48 offset:23808
	ds_load_b64 v[34:35], v49 offset:24432
	s_wait_dscnt 0x0
	v_dual_mul_f32 v36, v35, v33 :: v_dual_mul_f32 v33, v34, v33
	s_delay_alu instid0(VALU_DEP_1) | instskip(NEXT) | instid1(VALU_DEP_1)
	v_dual_fma_f32 v34, v34, v32, -v36 :: v_dual_fmac_f32 v33, v35, v32
	v_dual_add_f32 v30, v30, v34 :: v_dual_add_f32 v31, v31, v33
	s_or_b32 exec_lo, exec_lo, s6
	s_and_saveexec_b32 s6, s17
	s_cbranch_execnz .LBB64_436
	s_branch .LBB64_437
.LBB64_1070:                            ;   in Loop: Header=BB64_3 Depth=1
	ds_load_b64 v[32:33], v44 offset:19200
	ds_load_b64 v[34:35], v45 offset:20264
	s_wait_dscnt 0x0
	v_dual_mul_f32 v36, v35, v33 :: v_dual_mul_f32 v33, v34, v33
	s_delay_alu instid0(VALU_DEP_1) | instskip(NEXT) | instid1(VALU_DEP_1)
	v_dual_fma_f32 v34, v34, v32, -v36 :: v_dual_fmac_f32 v33, v35, v32
	v_dual_add_f32 v30, v30, v34 :: v_dual_add_f32 v31, v31, v33
	s_or_b32 exec_lo, exec_lo, s6
	s_and_saveexec_b32 s6, s17
	s_cbranch_execz .LBB64_489
.LBB64_1071:                            ;   in Loop: Header=BB64_3 Depth=1
	ds_load_b64 v[32:33], v44 offset:19712
	ds_load_b64 v[34:35], v45 offset:20272
	s_wait_dscnt 0x0
	v_dual_mul_f32 v36, v35, v33 :: v_dual_mul_f32 v33, v34, v33
	s_delay_alu instid0(VALU_DEP_1) | instskip(NEXT) | instid1(VALU_DEP_1)
	v_dual_fma_f32 v34, v34, v32, -v36 :: v_dual_fmac_f32 v33, v35, v32
	v_dual_add_f32 v30, v30, v34 :: v_dual_add_f32 v31, v31, v33
	s_or_b32 exec_lo, exec_lo, s6
	s_and_saveexec_b32 s6, s0
	s_cbranch_execnz .LBB64_490
	s_branch .LBB64_491
.LBB64_1072:                            ;   in Loop: Header=BB64_3 Depth=1
	ds_load_b64 v[32:33], v57 offset:31232
	ds_load_b64 v[34:35], v59 offset:32744
	s_wait_dscnt 0x0
	v_pk_mul_f32 v[36:37], v[34:35], v[32:33] op_sel:[1,1] op_sel_hi:[0,1]
	s_delay_alu instid0(VALU_DEP_1) | instskip(SKIP_1) | instid1(VALU_DEP_2)
	v_pk_fma_f32 v[76:77], v[34:35], v[32:33], v[36:37] op_sel_hi:[1,0,1]
	v_pk_fma_f32 v[32:33], v[34:35], v[32:33], v[36:37] neg_lo:[0,0,1] neg_hi:[0,0,1]
	v_mov_b32_e32 v33, v77
	s_delay_alu instid0(VALU_DEP_1)
	v_pk_add_f32 v[30:31], v[30:31], v[32:33]
	s_or_b32 exec_lo, exec_lo, s6
	s_and_saveexec_b32 s6, s2
	s_cbranch_execz .LBB64_583
.LBB64_1073:                            ;   in Loop: Header=BB64_3 Depth=1
	ds_load_b64 v[32:33], v57 offset:31744
	ds_load_b64 v[34:35], v59 offset:32752
	s_wait_dscnt 0x0
	v_pk_mul_f32 v[36:37], v[34:35], v[32:33] op_sel:[1,1] op_sel_hi:[0,1]
	s_delay_alu instid0(VALU_DEP_1) | instskip(SKIP_1) | instid1(VALU_DEP_2)
	v_pk_fma_f32 v[76:77], v[34:35], v[32:33], v[36:37] op_sel_hi:[1,0,1]
	v_pk_fma_f32 v[32:33], v[34:35], v[32:33], v[36:37] neg_lo:[0,0,1] neg_hi:[0,0,1]
	v_mov_b32_e32 v33, v77
	s_delay_alu instid0(VALU_DEP_1) | instskip(SKIP_2) | instid1(SALU_CYCLE_1)
	v_pk_add_f32 v[30:31], v[30:31], v[32:33]
	s_or_b32 exec_lo, exec_lo, s6
	s_and_saveexec_b32 s6, s21
	s_xor_b32 s6, exec_lo, s6
	s_cbranch_execnz .LBB64_584
	s_branch .LBB64_585
.LBB64_1074:                            ;   in Loop: Header=BB64_3 Depth=1
	ds_load_b64 v[32:33], v44 offset:15040
	ds_load_b64 v[34:35], v45 offset:16104
	s_wait_dscnt 0x0
	v_dual_mul_f32 v36, v35, v33 :: v_dual_mul_f32 v33, v34, v33
	s_delay_alu instid0(VALU_DEP_1) | instskip(NEXT) | instid1(VALU_DEP_1)
	v_dual_fma_f32 v34, v34, v32, -v36 :: v_dual_fmac_f32 v33, v35, v32
	v_dual_add_f32 v30, v30, v34 :: v_dual_add_f32 v31, v31, v33
	s_or_b32 exec_lo, exec_lo, s6
	s_and_saveexec_b32 s6, s17
	s_cbranch_execz .LBB64_617
.LBB64_1075:                            ;   in Loop: Header=BB64_3 Depth=1
	ds_load_b64 v[32:33], v44 offset:15552
	ds_load_b64 v[34:35], v45 offset:16112
	s_wait_dscnt 0x0
	v_dual_mul_f32 v36, v35, v33 :: v_dual_mul_f32 v33, v34, v33
	s_delay_alu instid0(VALU_DEP_1) | instskip(NEXT) | instid1(VALU_DEP_1)
	v_dual_fma_f32 v34, v34, v32, -v36 :: v_dual_fmac_f32 v33, v35, v32
	v_dual_add_f32 v30, v30, v34 :: v_dual_add_f32 v31, v31, v33
	s_or_b32 exec_lo, exec_lo, s6
	s_and_saveexec_b32 s6, s0
	s_cbranch_execnz .LBB64_618
	s_branch .LBB64_619
.LBB64_1076:                            ;   in Loop: Header=BB64_3 Depth=1
	ds_load_b64 v[32:33], v48 offset:12928
	ds_load_b64 v[34:35], v49 offset:16072
	s_wait_dscnt 0x0
	v_dual_mul_f32 v36, v35, v33 :: v_dual_mul_f32 v33, v34, v33
	s_delay_alu instid0(VALU_DEP_1) | instskip(NEXT) | instid1(VALU_DEP_1)
	v_dual_fma_f32 v34, v34, v32, -v36 :: v_dual_fmac_f32 v33, v35, v32
	v_dual_add_f32 v30, v30, v34 :: v_dual_add_f32 v31, v31, v33
	s_or_b32 exec_lo, exec_lo, s6
	s_and_saveexec_b32 s6, s19
	s_cbranch_execz .LBB64_655
.LBB64_1077:                            ;   in Loop: Header=BB64_3 Depth=1
	ds_load_b64 v[32:33], v48 offset:13440
	ds_load_b64 v[34:35], v49 offset:16080
	s_wait_dscnt 0x0
	v_dual_mul_f32 v36, v35, v33 :: v_dual_mul_f32 v33, v34, v33
	s_delay_alu instid0(VALU_DEP_1) | instskip(NEXT) | instid1(VALU_DEP_1)
	v_dual_fma_f32 v34, v34, v32, -v36 :: v_dual_fmac_f32 v33, v35, v32
	v_dual_add_f32 v30, v30, v34 :: v_dual_add_f32 v31, v31, v33
	s_or_b32 exec_lo, exec_lo, s6
	s_and_saveexec_b32 s6, s20
	s_cbranch_execz .LBB64_656
.LBB64_1078:                            ;   in Loop: Header=BB64_3 Depth=1
	ds_load_b64 v[32:33], v48 offset:13952
	ds_load_b64 v[34:35], v49 offset:16088
	s_wait_dscnt 0x0
	v_dual_mul_f32 v36, v35, v33 :: v_dual_mul_f32 v33, v34, v33
	s_delay_alu instid0(VALU_DEP_1) | instskip(NEXT) | instid1(VALU_DEP_1)
	v_dual_fma_f32 v34, v34, v32, -v36 :: v_dual_fmac_f32 v33, v35, v32
	v_dual_add_f32 v30, v30, v34 :: v_dual_add_f32 v31, v31, v33
	s_or_b32 exec_lo, exec_lo, s6
	s_and_saveexec_b32 s6, s21
	s_cbranch_execz .LBB64_657
.LBB64_1079:                            ;   in Loop: Header=BB64_3 Depth=1
	ds_load_b64 v[32:33], v48 offset:14464
	ds_load_b64 v[34:35], v49 offset:16096
	s_wait_dscnt 0x0
	v_dual_mul_f32 v36, v35, v33 :: v_dual_mul_f32 v33, v34, v33
	s_delay_alu instid0(VALU_DEP_1) | instskip(NEXT) | instid1(VALU_DEP_1)
	v_dual_fma_f32 v34, v34, v32, -v36 :: v_dual_fmac_f32 v33, v35, v32
	v_dual_add_f32 v30, v30, v34 :: v_dual_add_f32 v31, v31, v33
	s_or_b32 exec_lo, exec_lo, s6
	s_and_saveexec_b32 s6, s22
	s_cbranch_execz .LBB64_658
.LBB64_1080:                            ;   in Loop: Header=BB64_3 Depth=1
	ds_load_b64 v[32:33], v48 offset:14976
	ds_load_b64 v[34:35], v49 offset:16104
	s_wait_dscnt 0x0
	v_dual_mul_f32 v36, v35, v33 :: v_dual_mul_f32 v33, v34, v33
	s_delay_alu instid0(VALU_DEP_1) | instskip(NEXT) | instid1(VALU_DEP_1)
	v_dual_fma_f32 v34, v34, v32, -v36 :: v_dual_fmac_f32 v33, v35, v32
	v_dual_add_f32 v30, v30, v34 :: v_dual_add_f32 v31, v31, v33
	s_or_b32 exec_lo, exec_lo, s6
	s_and_saveexec_b32 s6, s1
	s_cbranch_execz .LBB64_659
.LBB64_1081:                            ;   in Loop: Header=BB64_3 Depth=1
	ds_load_b64 v[32:33], v48 offset:15488
	ds_load_b64 v[34:35], v49 offset:16112
	s_wait_dscnt 0x0
	v_dual_mul_f32 v36, v35, v33 :: v_dual_mul_f32 v33, v34, v33
	s_delay_alu instid0(VALU_DEP_1) | instskip(NEXT) | instid1(VALU_DEP_1)
	v_dual_fma_f32 v34, v34, v32, -v36 :: v_dual_fmac_f32 v33, v35, v32
	v_dual_add_f32 v30, v30, v34 :: v_dual_add_f32 v31, v31, v33
	s_or_b32 exec_lo, exec_lo, s6
	s_and_saveexec_b32 s6, s17
	s_cbranch_execnz .LBB64_660
	s_branch .LBB64_661
.LBB64_1082:                            ;   in Loop: Header=BB64_3 Depth=1
	ds_load_b64 v[32:33], v44 offset:10880
	ds_load_b64 v[34:35], v45 offset:11944
	s_wait_dscnt 0x0
	v_dual_mul_f32 v36, v35, v33 :: v_dual_mul_f32 v33, v34, v33
	s_delay_alu instid0(VALU_DEP_1) | instskip(NEXT) | instid1(VALU_DEP_1)
	v_dual_fma_f32 v34, v34, v32, -v36 :: v_dual_fmac_f32 v33, v35, v32
	v_dual_add_f32 v30, v30, v34 :: v_dual_add_f32 v31, v31, v33
	s_or_b32 exec_lo, exec_lo, s6
	s_and_saveexec_b32 s6, s17
	s_cbranch_execz .LBB64_713
.LBB64_1083:                            ;   in Loop: Header=BB64_3 Depth=1
	ds_load_b64 v[32:33], v44 offset:11392
	ds_load_b64 v[34:35], v45 offset:11952
	s_wait_dscnt 0x0
	v_dual_mul_f32 v36, v35, v33 :: v_dual_mul_f32 v33, v34, v33
	s_delay_alu instid0(VALU_DEP_1) | instskip(NEXT) | instid1(VALU_DEP_1)
	v_dual_fma_f32 v34, v34, v32, -v36 :: v_dual_fmac_f32 v33, v35, v32
	v_dual_add_f32 v30, v30, v34 :: v_dual_add_f32 v31, v31, v33
	s_or_b32 exec_lo, exec_lo, s6
	s_and_saveexec_b32 s6, s0
	s_cbranch_execnz .LBB64_714
	s_branch .LBB64_715
.LBB64_1084:                            ;   in Loop: Header=BB64_3 Depth=1
	ds_load_b64 v[32:33], v52 offset:13824
	ds_load_b64 v[34:35], v53 offset:16088
	s_wait_dscnt 0x0
	v_dual_mul_f32 v36, v35, v33 :: v_dual_mul_f32 v33, v34, v33
	s_delay_alu instid0(VALU_DEP_1) | instskip(NEXT) | instid1(VALU_DEP_1)
	v_dual_fma_f32 v34, v34, v32, -v36 :: v_dual_fmac_f32 v33, v35, v32
	v_dual_add_f32 v30, v30, v34 :: v_dual_add_f32 v31, v31, v33
	s_or_b32 exec_lo, exec_lo, s6
	s_and_saveexec_b32 s6, s2
	s_cbranch_execz .LBB64_771
.LBB64_1085:                            ;   in Loop: Header=BB64_3 Depth=1
	ds_load_b64 v[32:33], v52 offset:14336
	ds_load_b64 v[34:35], v53 offset:16096
	s_wait_dscnt 0x0
	v_dual_mul_f32 v36, v35, v33 :: v_dual_mul_f32 v33, v34, v33
	s_delay_alu instid0(VALU_DEP_1) | instskip(NEXT) | instid1(VALU_DEP_1)
	v_dual_fma_f32 v34, v34, v32, -v36 :: v_dual_fmac_f32 v33, v35, v32
	v_dual_add_f32 v30, v30, v34 :: v_dual_add_f32 v31, v31, v33
	s_or_b32 exec_lo, exec_lo, s6
	s_and_saveexec_b32 s6, s19
	s_cbranch_execz .LBB64_772
.LBB64_1086:                            ;   in Loop: Header=BB64_3 Depth=1
	ds_load_b64 v[32:33], v52 offset:14848
	ds_load_b64 v[34:35], v53 offset:16104
	s_wait_dscnt 0x0
	v_dual_mul_f32 v36, v35, v33 :: v_dual_mul_f32 v33, v34, v33
	s_delay_alu instid0(VALU_DEP_1) | instskip(NEXT) | instid1(VALU_DEP_1)
	v_dual_fma_f32 v34, v34, v32, -v36 :: v_dual_fmac_f32 v33, v35, v32
	v_dual_add_f32 v30, v30, v34 :: v_dual_add_f32 v31, v31, v33
	s_or_b32 exec_lo, exec_lo, s6
	s_and_saveexec_b32 s6, s21
	s_cbranch_execz .LBB64_773
.LBB64_1087:                            ;   in Loop: Header=BB64_3 Depth=1
	ds_load_b64 v[32:33], v52 offset:15360
	ds_load_b64 v[34:35], v53 offset:16112
	s_wait_dscnt 0x0
	v_dual_mul_f32 v36, v35, v33 :: v_dual_mul_f32 v33, v34, v33
	s_delay_alu instid0(VALU_DEP_1) | instskip(NEXT) | instid1(VALU_DEP_1)
	v_dual_fma_f32 v34, v34, v32, -v36 :: v_dual_fmac_f32 v33, v35, v32
	v_dual_add_f32 v30, v30, v34 :: v_dual_add_f32 v31, v31, v33
	s_or_b32 exec_lo, exec_lo, s6
	s_and_saveexec_b32 s6, s1
	s_cbranch_execnz .LBB64_774
	s_branch .LBB64_775
.LBB64_1088:                            ;   in Loop: Header=BB64_3 Depth=1
	ds_load_b64 v[32:33], v44 offset:6720
	ds_load_b64 v[34:35], v45 offset:7784
	s_wait_dscnt 0x0
	v_dual_mul_f32 v36, v35, v33 :: v_dual_mul_f32 v33, v34, v33
	s_delay_alu instid0(VALU_DEP_1) | instskip(NEXT) | instid1(VALU_DEP_1)
	v_dual_fma_f32 v34, v34, v32, -v36 :: v_dual_fmac_f32 v33, v35, v32
	v_dual_add_f32 v30, v30, v34 :: v_dual_add_f32 v31, v31, v33
	s_or_b32 exec_lo, exec_lo, s6
	s_and_saveexec_b32 s6, s17
	s_cbranch_execz .LBB64_859
.LBB64_1089:                            ;   in Loop: Header=BB64_3 Depth=1
	ds_load_b64 v[32:33], v44 offset:7232
	ds_load_b64 v[34:35], v45 offset:7792
	s_wait_dscnt 0x0
	v_dual_mul_f32 v36, v35, v33 :: v_dual_mul_f32 v33, v34, v33
	s_delay_alu instid0(VALU_DEP_1) | instskip(NEXT) | instid1(VALU_DEP_1)
	v_dual_fma_f32 v34, v34, v32, -v36 :: v_dual_fmac_f32 v33, v35, v32
	v_dual_add_f32 v30, v30, v34 :: v_dual_add_f32 v31, v31, v33
	s_or_b32 exec_lo, exec_lo, s6
	s_and_saveexec_b32 s6, s0
	s_cbranch_execnz .LBB64_860
	s_branch .LBB64_861
.LBB64_1090:                            ;   in Loop: Header=BB64_3 Depth=1
	ds_load_b64 v[32:33], v48 offset:4608
	ds_load_b64 v[34:35], v49 offset:7752
	s_wait_dscnt 0x0
	v_dual_mul_f32 v36, v35, v33 :: v_dual_mul_f32 v33, v34, v33
	s_delay_alu instid0(VALU_DEP_1) | instskip(NEXT) | instid1(VALU_DEP_1)
	v_dual_fma_f32 v34, v34, v32, -v36 :: v_dual_fmac_f32 v33, v35, v32
	v_dual_add_f32 v30, v30, v34 :: v_dual_add_f32 v31, v31, v33
	s_or_b32 exec_lo, exec_lo, s6
	s_and_saveexec_b32 s6, s19
	s_cbranch_execz .LBB64_897
.LBB64_1091:                            ;   in Loop: Header=BB64_3 Depth=1
	ds_load_b64 v[32:33], v48 offset:5120
	ds_load_b64 v[34:35], v49 offset:7760
	s_wait_dscnt 0x0
	v_dual_mul_f32 v36, v35, v33 :: v_dual_mul_f32 v33, v34, v33
	s_delay_alu instid0(VALU_DEP_1) | instskip(NEXT) | instid1(VALU_DEP_1)
	v_dual_fma_f32 v34, v34, v32, -v36 :: v_dual_fmac_f32 v33, v35, v32
	v_dual_add_f32 v30, v30, v34 :: v_dual_add_f32 v31, v31, v33
	s_or_b32 exec_lo, exec_lo, s6
	s_and_saveexec_b32 s6, s20
	s_cbranch_execz .LBB64_898
.LBB64_1092:                            ;   in Loop: Header=BB64_3 Depth=1
	ds_load_b64 v[32:33], v48 offset:5632
	ds_load_b64 v[34:35], v49 offset:7768
	s_wait_dscnt 0x0
	v_dual_mul_f32 v36, v35, v33 :: v_dual_mul_f32 v33, v34, v33
	s_delay_alu instid0(VALU_DEP_1) | instskip(NEXT) | instid1(VALU_DEP_1)
	v_dual_fma_f32 v34, v34, v32, -v36 :: v_dual_fmac_f32 v33, v35, v32
	v_dual_add_f32 v30, v30, v34 :: v_dual_add_f32 v31, v31, v33
	s_or_b32 exec_lo, exec_lo, s6
	s_and_saveexec_b32 s6, s21
	s_cbranch_execz .LBB64_899
.LBB64_1093:                            ;   in Loop: Header=BB64_3 Depth=1
	ds_load_b64 v[32:33], v48 offset:6144
	ds_load_b64 v[34:35], v49 offset:7776
	s_wait_dscnt 0x0
	v_dual_mul_f32 v36, v35, v33 :: v_dual_mul_f32 v33, v34, v33
	s_delay_alu instid0(VALU_DEP_1) | instskip(NEXT) | instid1(VALU_DEP_1)
	v_dual_fma_f32 v34, v34, v32, -v36 :: v_dual_fmac_f32 v33, v35, v32
	v_dual_add_f32 v30, v30, v34 :: v_dual_add_f32 v31, v31, v33
	s_or_b32 exec_lo, exec_lo, s6
	s_and_saveexec_b32 s6, s22
	s_cbranch_execz .LBB64_900
.LBB64_1094:                            ;   in Loop: Header=BB64_3 Depth=1
	ds_load_b64 v[32:33], v48 offset:6656
	ds_load_b64 v[34:35], v49 offset:7784
	s_wait_dscnt 0x0
	v_dual_mul_f32 v36, v35, v33 :: v_dual_mul_f32 v33, v34, v33
	s_delay_alu instid0(VALU_DEP_1) | instskip(NEXT) | instid1(VALU_DEP_1)
	v_dual_fma_f32 v34, v34, v32, -v36 :: v_dual_fmac_f32 v33, v35, v32
	v_dual_add_f32 v30, v30, v34 :: v_dual_add_f32 v31, v31, v33
	s_or_b32 exec_lo, exec_lo, s6
	s_and_saveexec_b32 s6, s1
	s_cbranch_execz .LBB64_901
.LBB64_1095:                            ;   in Loop: Header=BB64_3 Depth=1
	ds_load_b64 v[32:33], v48 offset:7168
	ds_load_b64 v[34:35], v49 offset:7792
	s_wait_dscnt 0x0
	v_dual_mul_f32 v36, v35, v33 :: v_dual_mul_f32 v33, v34, v33
	s_delay_alu instid0(VALU_DEP_1) | instskip(NEXT) | instid1(VALU_DEP_1)
	v_dual_fma_f32 v34, v34, v32, -v36 :: v_dual_fmac_f32 v33, v35, v32
	v_dual_add_f32 v30, v30, v34 :: v_dual_add_f32 v31, v31, v33
	s_or_b32 exec_lo, exec_lo, s6
	s_and_saveexec_b32 s6, s17
	s_cbranch_execnz .LBB64_902
	s_branch .LBB64_903
.LBB64_1096:                            ;   in Loop: Header=BB64_3 Depth=1
	ds_load_b64 v[32:33], v44 offset:2560
	ds_load_b64 v[34:35], v45 offset:3624
	s_wait_dscnt 0x0
	v_dual_mul_f32 v36, v35, v33 :: v_dual_mul_f32 v33, v34, v33
	s_delay_alu instid0(VALU_DEP_1) | instskip(NEXT) | instid1(VALU_DEP_1)
	v_dual_fma_f32 v34, v34, v32, -v36 :: v_dual_fmac_f32 v33, v35, v32
	v_dual_add_f32 v30, v30, v34 :: v_dual_add_f32 v31, v31, v33
	s_or_b32 exec_lo, exec_lo, s6
	s_and_saveexec_b32 s6, s17
	s_cbranch_execz .LBB64_955
.LBB64_1097:                            ;   in Loop: Header=BB64_3 Depth=1
	ds_load_b64 v[32:33], v44 offset:3072
	ds_load_b64 v[34:35], v45 offset:3632
	s_wait_dscnt 0x0
	v_dual_mul_f32 v36, v35, v33 :: v_dual_mul_f32 v33, v34, v33
	s_delay_alu instid0(VALU_DEP_1) | instskip(NEXT) | instid1(VALU_DEP_1)
	v_dual_fma_f32 v34, v34, v32, -v36 :: v_dual_fmac_f32 v33, v35, v32
	v_dual_add_f32 v30, v30, v34 :: v_dual_add_f32 v31, v31, v33
	s_or_b32 exec_lo, exec_lo, s6
	s_and_saveexec_b32 s6, s0
	s_cbranch_execnz .LBB64_956
	s_branch .LBB64_957
.LBB64_1098:
	s_endpgm
	.section	.rodata,"a",@progbits
	.p2align	6, 0x0
	.amdhsa_kernel _ZL19rocblas_trsv_deviceILi64ELi16ELb0ELb0ELb0ELb0E19rocblas_complex_numIfES1_PKS1_PS1_EviT7_lllT6_T8_lllPii
		.amdhsa_group_segment_fixed_size 41480
		.amdhsa_private_segment_fixed_size 48
		.amdhsa_kernarg_size 352
		.amdhsa_user_sgpr_count 2
		.amdhsa_user_sgpr_dispatch_ptr 0
		.amdhsa_user_sgpr_queue_ptr 0
		.amdhsa_user_sgpr_kernarg_segment_ptr 1
		.amdhsa_user_sgpr_dispatch_id 0
		.amdhsa_user_sgpr_kernarg_preload_length 0
		.amdhsa_user_sgpr_kernarg_preload_offset 0
		.amdhsa_user_sgpr_private_segment_size 0
		.amdhsa_wavefront_size32 1
		.amdhsa_uses_dynamic_stack 0
		.amdhsa_enable_private_segment 1
		.amdhsa_system_sgpr_workgroup_id_x 1
		.amdhsa_system_sgpr_workgroup_id_y 0
		.amdhsa_system_sgpr_workgroup_id_z 1
		.amdhsa_system_sgpr_workgroup_info 0
		.amdhsa_system_vgpr_workitem_id 1
		.amdhsa_next_free_vgpr 87
		.amdhsa_next_free_sgpr 105
		.amdhsa_named_barrier_count 0
		.amdhsa_reserve_vcc 1
		.amdhsa_float_round_mode_32 0
		.amdhsa_float_round_mode_16_64 0
		.amdhsa_float_denorm_mode_32 3
		.amdhsa_float_denorm_mode_16_64 3
		.amdhsa_fp16_overflow 0
		.amdhsa_memory_ordered 1
		.amdhsa_forward_progress 1
		.amdhsa_inst_pref_size 255
		.amdhsa_round_robin_scheduling 0
		.amdhsa_exception_fp_ieee_invalid_op 0
		.amdhsa_exception_fp_denorm_src 0
		.amdhsa_exception_fp_ieee_div_zero 0
		.amdhsa_exception_fp_ieee_overflow 0
		.amdhsa_exception_fp_ieee_underflow 0
		.amdhsa_exception_fp_ieee_inexact 0
		.amdhsa_exception_int_div_zero 0
	.end_amdhsa_kernel
	.section	.text._ZL19rocblas_trsv_deviceILi64ELi16ELb0ELb0ELb0ELb0E19rocblas_complex_numIfES1_PKS1_PS1_EviT7_lllT6_T8_lllPii,"axG",@progbits,_ZL19rocblas_trsv_deviceILi64ELi16ELb0ELb0ELb0ELb0E19rocblas_complex_numIfES1_PKS1_PS1_EviT7_lllT6_T8_lllPii,comdat
.Lfunc_end64:
	.size	_ZL19rocblas_trsv_deviceILi64ELi16ELb0ELb0ELb0ELb0E19rocblas_complex_numIfES1_PKS1_PS1_EviT7_lllT6_T8_lllPii, .Lfunc_end64-_ZL19rocblas_trsv_deviceILi64ELi16ELb0ELb0ELb0ELb0E19rocblas_complex_numIfES1_PKS1_PS1_EviT7_lllT6_T8_lllPii
                                        ; -- End function
	.set _ZL19rocblas_trsv_deviceILi64ELi16ELb0ELb0ELb0ELb0E19rocblas_complex_numIfES1_PKS1_PS1_EviT7_lllT6_T8_lllPii.num_vgpr, 87
	.set _ZL19rocblas_trsv_deviceILi64ELi16ELb0ELb0ELb0ELb0E19rocblas_complex_numIfES1_PKS1_PS1_EviT7_lllT6_T8_lllPii.num_agpr, 0
	.set _ZL19rocblas_trsv_deviceILi64ELi16ELb0ELb0ELb0ELb0E19rocblas_complex_numIfES1_PKS1_PS1_EviT7_lllT6_T8_lllPii.numbered_sgpr, 105
	.set _ZL19rocblas_trsv_deviceILi64ELi16ELb0ELb0ELb0ELb0E19rocblas_complex_numIfES1_PKS1_PS1_EviT7_lllT6_T8_lllPii.num_named_barrier, 0
	.set _ZL19rocblas_trsv_deviceILi64ELi16ELb0ELb0ELb0ELb0E19rocblas_complex_numIfES1_PKS1_PS1_EviT7_lllT6_T8_lllPii.private_seg_size, 48
	.set _ZL19rocblas_trsv_deviceILi64ELi16ELb0ELb0ELb0ELb0E19rocblas_complex_numIfES1_PKS1_PS1_EviT7_lllT6_T8_lllPii.uses_vcc, 1
	.set _ZL19rocblas_trsv_deviceILi64ELi16ELb0ELb0ELb0ELb0E19rocblas_complex_numIfES1_PKS1_PS1_EviT7_lllT6_T8_lllPii.uses_flat_scratch, 0
	.set _ZL19rocblas_trsv_deviceILi64ELi16ELb0ELb0ELb0ELb0E19rocblas_complex_numIfES1_PKS1_PS1_EviT7_lllT6_T8_lllPii.has_dyn_sized_stack, 0
	.set _ZL19rocblas_trsv_deviceILi64ELi16ELb0ELb0ELb0ELb0E19rocblas_complex_numIfES1_PKS1_PS1_EviT7_lllT6_T8_lllPii.has_recursion, 0
	.set _ZL19rocblas_trsv_deviceILi64ELi16ELb0ELb0ELb0ELb0E19rocblas_complex_numIfES1_PKS1_PS1_EviT7_lllT6_T8_lllPii.has_indirect_call, 0
	.section	.AMDGPU.csdata,"",@progbits
; Kernel info:
; codeLenInByte = 49816
; TotalNumSgprs: 107
; NumVgprs: 87
; ScratchSize: 48
; MemoryBound: 0
; FloatMode: 240
; IeeeMode: 1
; LDSByteSize: 41480 bytes/workgroup (compile time only)
; SGPRBlocks: 0
; VGPRBlocks: 5
; NumSGPRsForWavesPerEU: 107
; NumVGPRsForWavesPerEU: 87
; NamedBarCnt: 0
; Occupancy: 10
; WaveLimiterHint : 0
; COMPUTE_PGM_RSRC2:SCRATCH_EN: 1
; COMPUTE_PGM_RSRC2:USER_SGPR: 2
; COMPUTE_PGM_RSRC2:TRAP_HANDLER: 0
; COMPUTE_PGM_RSRC2:TGID_X_EN: 1
; COMPUTE_PGM_RSRC2:TGID_Y_EN: 0
; COMPUTE_PGM_RSRC2:TGID_Z_EN: 1
; COMPUTE_PGM_RSRC2:TIDIG_COMP_CNT: 1
	.section	.text._ZL19rocblas_trsv_deviceILi64ELi16ELb0ELb1ELb0ELb0E19rocblas_complex_numIfES1_PKS1_PS1_EviT7_lllT6_T8_lllPii,"axG",@progbits,_ZL19rocblas_trsv_deviceILi64ELi16ELb0ELb1ELb0ELb0E19rocblas_complex_numIfES1_PKS1_PS1_EviT7_lllT6_T8_lllPii,comdat
	.globl	_ZL19rocblas_trsv_deviceILi64ELi16ELb0ELb1ELb0ELb0E19rocblas_complex_numIfES1_PKS1_PS1_EviT7_lllT6_T8_lllPii ; -- Begin function _ZL19rocblas_trsv_deviceILi64ELi16ELb0ELb1ELb0ELb0E19rocblas_complex_numIfES1_PKS1_PS1_EviT7_lllT6_T8_lllPii
	.p2align	8
	.type	_ZL19rocblas_trsv_deviceILi64ELi16ELb0ELb1ELb0ELb0E19rocblas_complex_numIfES1_PKS1_PS1_EviT7_lllT6_T8_lllPii,@function
_ZL19rocblas_trsv_deviceILi64ELi16ELb0ELb1ELb0ELb0E19rocblas_complex_numIfES1_PKS1_PS1_EviT7_lllT6_T8_lllPii: ; @_ZL19rocblas_trsv_deviceILi64ELi16ELb0ELb1ELb0ELb0E19rocblas_complex_numIfES1_PKS1_PS1_EviT7_lllT6_T8_lllPii
; %bb.0:
	s_load_b32 s90, s[0:1], 0x58
	s_bfe_u32 s2, ttmp6, 0x40014
	s_lshr_b32 s3, ttmp7, 16
	s_add_co_i32 s2, s2, 1
	s_bfe_u32 s5, ttmp6, 0x40008
	s_mul_i32 s4, s3, s2
	s_getreg_b32 s2, hwreg(HW_REG_IB_STS2, 6, 4)
	s_add_co_i32 s5, s5, s4
	s_cmp_eq_u32 s2, 0
	s_mov_b32 s81, 0
	s_cselect_b32 s80, s3, s5
	s_wait_kmcnt 0x0
	s_cmp_ge_u32 s80, s90
	s_cbranch_scc1 .LBB65_1160
; %bb.1:
	s_clause 0x5
	s_load_b256 s[64:71], s[0:1], 0x8
	s_load_b256 s[72:79], s[0:1], 0x30
	s_load_b32 s3, s[0:1], 0x6c
	s_load_b32 s91, s[0:1], 0x0
	s_load_b64 s[82:83], s[0:1], 0x50
	s_load_b64 s[16:17], s[0:1], 0x28
	s_wait_xcnt 0x0
	s_bfe_u32 s1, ttmp6, 0x4000c
	s_and_b32 s0, ttmp6, 15
	s_add_co_i32 s1, s1, 1
                                        ; implicit-def: $vgpr104 : SGPR spill to VGPR lane
	v_bfe_u32 v42, v0, 10, 10
	s_mul_i32 s1, ttmp9, s1
	v_and_b32_e32 v2, 0x3ff, v0
	s_add_co_i32 s6, s0, s1
                                        ; implicit-def: $vgpr103 : SGPR spill to VGPR lane
                                        ; implicit-def: $vgpr102 : SGPR spill to VGPR lane
	s_delay_alu instid0(VALU_DEP_2) | instskip(SKIP_1) | instid1(VALU_DEP_3)
	v_dual_mov_b32 v30, 0 :: v_dual_add_nc_u32 v29, 32, v42
	v_add_nc_u32_e32 v32, 48, v42
	v_lshl_add_u32 v34, v42, 6, v2
	v_lshlrev_b32_e32 v46, 3, v2
	v_mul_i32_i24_e32 v52, 0xfffffe08, v2
	v_lshl_add_u32 v25, v29, 6, v2
	s_wait_kmcnt 0x0
	s_lshl_b64 s[0:1], s[66:67], 3
	s_lshl_b64 s[4:5], s[74:75], 3
	s_cmp_eq_u32 s2, 0
	s_add_nc_u64 s[0:1], s[64:65], s[0:1]
	s_cselect_b32 s92, ttmp9, s6
	s_and_b32 s2, s3, 0xffff
	s_add_co_i32 s3, s91, -1
	s_ashr_i32 s6, s91, 31
	s_ashr_i32 s7, s3, 31
	s_lshr_b32 s6, s6, 26
	s_lshr_b32 s7, s7, 26
	v_writelane_b32 v104, s0, 0
	s_add_co_i32 s6, s91, s6
	s_add_co_i32 s3, s3, s7
	s_and_not1_b32 s6, s6, 63
	s_ashr_i32 s3, s3, 6
	s_sub_co_i32 s9, s91, s6
	v_writelane_b32 v104, s1, 1
	s_cmp_eq_u32 s3, s92
	s_add_nc_u64 s[4:5], s[72:73], s[4:5]
	s_cselect_b32 s3, -1, 0
	s_cmp_lg_u32 s9, 0
	v_writelane_b32 v104, s4, 2
	s_cselect_b32 s0, -1, 0
	s_lshl_b32 s10, s92, 6
	s_delay_alu instid0(SALU_CYCLE_1)
	v_dual_mov_b32 v5, 0 :: v_dual_add_nc_u32 v22, s10, v42
	v_sub_co_u32 v43, s1, s92, 1
	s_and_b32 s14, s0, s3
	s_xor_b32 s0, s1, -1
	s_xor_b32 s94, s14, -1
	v_writelane_b32 v104, s5, 3
	s_cmp_lt_i32 s92, 5
	v_dual_mov_b32 v7, v5 :: v_dual_mov_b32 v3, v5
	v_subrev_nc_u32_e32 v8, 64, v22
	v_add_nc_u32_e32 v18, s10, v2
	s_cselect_b32 vcc_lo, -1, 0
	v_lshlrev_b32_e32 v1, 6, v2
	v_writelane_b32 v104, s0, 4
	s_add_nc_u64 s[0:1], s[68:69], 1
	v_dual_ashrrev_i32 v9, 31, v8 :: v_dual_ashrrev_i32 v19, 31, v18
	v_mad_nc_u64_u32 v[20:21], s0, s10, v[2:3]
	v_add_nc_u32_e32 v3, v42, v1
	s_ashr_i32 s11, s10, 31
	s_mul_i32 s1, s1, s10
	s_mul_i32 s0, s0, s11
	v_mad_u32_u24 v6, v42, s2, v2
	v_cndmask_b32_e32 v23, v34, v3, vcc_lo
	s_or_b32 vcc_lo, vcc_lo, s14
	v_add_nc_u32_e32 v28, 16, v42
	v_lshrrev_b32_e32 v3, 1, v34
	v_cmp_gt_u32_e64 s4, 2, v2
	v_add3_u32 v21, s0, s1, v21
	v_cmp_gt_u32_e64 s0, 4, v34
	v_add_nc_u32_e32 v4, v28, v1
	v_lshl_add_u32 v12, v28, 6, v2
	v_cmp_eq_u32_e64 s1, 0, v42
	v_dual_add_nc_u32 v17, v29, v1 :: v_dual_add_nc_u32 v1, v32, v1
	v_lshl_add_u32 v26, v32, 6, v2
	s_delay_alu instid0(VALU_DEP_4) | instskip(SKIP_4) | instid1(VALU_DEP_2)
	v_cndmask_b32_e32 v24, v12, v4, vcc_lo
	v_dual_lshrrev_b32 v4, 10, v0 :: v_dual_bitop2_b32 v12, 1, v0 bitop3:0x40
	v_lshlrev_b32_e32 v13, 9, v3
	s_and_b32 s98, s1, s4
	s_xor_b32 s95, vcc_lo, -1
	v_bitop3_b32 v35, v0, v4, 0x3ff bitop3:0xa8
	v_dual_lshlrev_b32 v44, 3, v12 :: v_dual_lshrrev_b32 v4, 2, v34
	v_sub_nc_u32_e32 v45, 0, v13
	v_cmp_eq_u32_e64 s2, 1, v12
	v_cmp_eq_u32_e64 s3, 0, v12
	s_delay_alu instid0(VALU_DEP_4)
	v_dual_sub_nc_u32 v47, v44, v13 :: v_dual_lshlrev_b32 v14, 9, v4
	v_and_b32_e32 v13, 3, v0
	s_and_b32 s96, s2, s0
	s_and_b32 s97, s3, s0
	v_cmp_gt_u32_e64 s2, 16, v34
	v_sub_nc_u32_e32 v51, 0, v14
	v_cmp_eq_u32_e64 s3, 3, v13
	v_lshlrev_b32_e32 v50, 3, v13
	v_cmp_ne_u32_e64 s4, 3, v13
	v_cmp_gt_u32_e64 s5, 2, v13
	v_lshl_add_u32 v49, v4, 3, 0x8000
	s_and_b32 s99, s3, s2
	v_cmp_eq_u32_e64 s3, 2, v13
	s_and_b32 s100, s4, s2
	v_cmp_eq_u32_e64 s4, 1, v13
	v_dual_sub_nc_u32 v54, v50, v14 :: v_dual_bitop2_b32 v14, 7, v0 bitop3:0x40
	s_and_b32 s101, s3, s2
	v_cmp_gt_u32_e64 s3, 4, v2
	s_and_b32 s102, s5, s2
	s_and_b32 s103, s4, s2
	v_cmp_eq_u32_e64 s4, 7, v14
	v_cmp_ne_u32_e64 s5, 7, v14
	s_and_b32 vcc_hi, s1, s3
	v_cmp_gt_u32_e64 s3, 64, v34
	v_cmp_eq_u32_e64 s6, 0, v13
	v_dual_lshlrev_b32 v13, 6, v34 :: v_dual_bitop2_b32 v4, -8, v34 bitop3:0x40
	v_cmp_gt_u32_e64 s7, 4, v14
	s_and_b32 s39, s4, s3
	v_cmp_gt_u32_e64 s4, 6, v14
	s_and_b32 s40, s5, s3
	v_cmp_eq_u32_e64 s5, 5, v14
	v_add_nc_u32_e32 v56, 0x8000, v4
	v_and_b32_e32 v4, 0xfffffe00, v13
	s_and_b32 s42, s4, s3
	v_cmp_eq_u32_e64 s4, 4, v14
	s_and_b32 s43, s5, s3
	v_cmp_eq_u32_e64 s5, 3, v14
	v_dual_lshlrev_b32 v57, 3, v14 :: v_dual_sub_nc_u32 v58, 0, v4
	s_and_b32 s45, s4, s3
	v_cmp_gt_u32_e64 s4, 3, v14
	s_and_b32 s47, s5, s3
	v_cmp_gt_u32_e64 s5, 2, v14
	s_and_b32 s104, s6, s2
	v_cmp_eq_u32_e64 s6, 6, v14
	s_and_b32 s48, s4, s3
	v_cmp_eq_u32_e64 s4, 0, v14
	s_and_b32 s50, s5, s3
	v_cmp_gt_u32_e64 s5, 8, v2
	v_dual_lshrrev_b32 v13, 4, v34 :: v_dual_sub_nc_u32 v59, v57, v4
	v_and_b32_e32 v16, 15, v0
	s_and_b32 s41, s6, s3
	v_cmp_gt_u32_e64 s6, 5, v14
	s_and_b32 s52, s4, s3
	s_and_b32 s53, s1, s5
	v_lshl_add_u32 v60, v13, 3, 0x8000
	v_lshlrev_b32_e32 v13, 9, v13
	v_cmp_gt_u32_e64 s4, 0x100, v34
	v_cmp_eq_u32_e64 s5, 15, v16
	s_and_b32 s44, s6, s3
	v_cmp_eq_u32_e64 s6, 2, v14
	s_and_b32 s46, s7, s3
	;; [unrolled: 2-line block ×3, first 2 shown]
	v_cmp_gt_u32_e64 s8, 14, v16
	s_and_b32 s49, s6, s3
	v_cmp_ne_u32_e64 s6, 15, v16
	v_writelane_b32 v104, s5, 5
	v_cmp_eq_u32_e64 s5, 13, v16
	s_and_b32 s51, s7, s3
	v_cmp_eq_u32_e64 s7, 14, v16
	s_and_b32 s55, s6, s4
	v_cmp_gt_u32_e64 s6, 13, v16
	s_and_b32 s58, s5, s4
	v_cmp_gt_u32_e64 s5, 12, v16
	s_and_b32 s56, s7, s4
	s_and_b32 s57, s8, s4
	s_and_b32 s59, s6, s4
	v_cmp_gt_u32_e64 s6, 11, v16
	s_and_b32 s61, s5, s4
	v_cmp_eq_u32_e64 s5, 10, v16
	v_cmp_eq_u32_e64 s7, 12, v16
	;; [unrolled: 1-line block ×3, first 2 shown]
	s_and_b32 s63, s6, s4
	v_cmp_eq_u32_e64 s6, 9, v16
	s_and_b32 s64, s5, s4
	v_cmp_eq_u32_e64 s5, 8, v16
	s_and_b32 s60, s7, s4
	s_and_b32 s62, s8, s4
	;; [unrolled: 1-line block ×3, first 2 shown]
	v_cmp_gt_u32_e64 s6, 8, v16
	s_and_b32 s23, s5, s4
	v_cmp_gt_u32_e64 s5, 7, v16
	v_cmp_gt_u32_e64 s7, 10, v16
	;; [unrolled: 1-line block ×3, first 2 shown]
	s_and_b32 s25, s6, s4
	v_cmp_gt_u32_e64 s6, 6, v16
	s_and_b32 s29, s5, s4
	v_cmp_eq_u32_e64 s5, 5, v16
	s_and_b32 s65, s7, s4
	s_and_b32 s13, s8, s4
	v_cmp_eq_u32_e64 s7, 7, v16
	v_cmp_eq_u32_e64 s8, 6, v16
	s_and_b32 s34, s6, s4
	v_cmp_eq_u32_e64 s6, 4, v16
	s_and_b32 s38, s5, s4
	v_cmp_eq_u32_e64 s5, 3, v16
	s_and_b32 s27, s7, s4
	s_and_b32 s31, s8, s4
	v_cmp_gt_u32_e64 s7, 5, v16
	v_cmp_gt_u32_e64 s8, 4, v16
	s_and_b32 s87, s6, s4
	v_cmp_gt_u32_e64 s6, 3, v16
	s_and_b32 s85, s5, s4
	v_cmp_gt_u32_e64 s5, 2, v16
	v_dual_lshlrev_b32 v61, 3, v16 :: v_dual_sub_nc_u32 v62, 0, v13
	s_and_b32 s86, s7, s4
	s_and_b32 s84, s8, s4
	v_cmp_eq_u32_e64 s7, 2, v16
	v_cmp_eq_u32_e64 s8, 1, v16
	s_and_b32 s24, s6, s4
	v_add_nc_u32_e32 v4, s10, v6
	v_add_nc_u64_e32 v[14:15], s[10:11], v[6:7]
	v_cmp_eq_u32_e64 s6, 0, v16
	s_and_b32 s10, s5, s4
	v_cmp_gt_u32_e64 s5, 16, v2
	v_dual_lshrrev_b32 v16, 5, v34 :: v_dual_bitop2_b32 v7, 31, v0 bitop3:0x40
	s_and_b32 s28, s6, s4
	s_and_b32 s26, s7, s4
	;; [unrolled: 1-line block ×3, first 2 shown]
	s_delay_alu instid0(VALU_DEP_1)
	v_dual_cndmask_b32 v25, v25, v17 :: v_dual_lshlrev_b32 v0, 9, v16
	v_cndmask_b32_e32 v26, v26, v1, vcc_lo
	v_cmp_le_i32_e32 vcc_lo, s9, v2
	v_cmp_gt_u32_e64 s5, 32, v2
	s_and_b32 s11, s8, s4
	s_xor_b32 s18, s17, 0x80000000
	v_subrev_nc_u32_e32 v27, 48, v22
	s_and_b32 s33, vcc_lo, s14
	s_and_b32 s5, s1, s5
	s_xor_b32 s6, s33, -1
	v_writelane_b32 v104, s5, 6
	v_cmp_gt_i32_e64 s5, s9, v2
	s_and_b32 s74, s1, s6
	s_cmp_gt_i32 s92, 0
	v_cmp_gt_i32_e64 s6, s91, v8
	s_cselect_b32 s75, -1, 0
	s_and_b32 s5, s1, s5
	v_add_max_i32_e64 v36, v22, -16, v18
	v_writelane_b32 v104, s5, 7
	v_cmp_gt_i32_e64 s5, s91, v18
	v_subrev_nc_u32_e32 v22, 32, v22
	v_cmp_ne_u32_e64 s15, v2, v28
	v_cmp_ne_u32_e64 s19, v2, v29
	;; [unrolled: 1-line block ×3, first 2 shown]
	s_and_b32 s6, s6, s5
	v_mad_u32_u24 v48, 0x1f8, v2, v46
	v_writelane_b32 v104, s6, 8
	v_cmp_gt_i32_e64 s6, s91, v27
	v_cmp_gt_u32_e64 s35, 0xf0, v34
	v_dual_sub_nc_u32 v63, v61, v13 :: v_dual_lshlrev_b32 v64, 3, v7
	v_mad_i32_i24 v53, 0xfffffe08, v2, v48
	s_and_b32 s6, s6, s5
	v_mul_lo_u32 v13, v52, 6
	v_writelane_b32 v104, s6, 9
	v_cmp_gt_i32_e64 s6, s91, v22
	v_mad_u32_u24 v55, 0x1f8, v2, v53
	v_lshlrev_b32_e32 v22, 3, v42
	v_mul_u32_u24_e32 v12, 0x1f8, v2
	v_lshl_add_u32 v65, v16, 3, 0x8000
	s_and_b32 s6, s6, s5
	v_mad_i32_i24 v68, 0xfffffe08, v2, v55
	v_writelane_b32 v104, s6, 10
	v_cmp_le_i32_e64 s6, s9, v42
	v_or_b32_e32 v83, 0xa000, v22
	v_mad_u32 v16, v12, 7, v13
	v_mad_u32_u24 v69, 0x1f8, v2, v68
	v_cmp_le_i32_e64 s54, s91, v36
	s_or_b32 s7, s6, vcc_lo
	v_cmp_ge_u32_e64 s6, v2, v42
	v_dual_sub_nc_u32 v67, v64, v0 :: v_dual_lshlrev_b32 v76, 3, v23
	v_mad_i32_i24 v70, 0xfffffe08, v2, v69
	v_mul_u32_u24_e32 v17, 0x1f0, v2
	s_or_b32 s7, s7, s6
	v_or_b32_e32 v37, v28, v2
	v_writelane_b32 v104, s7, 11
	v_cmp_le_i32_e64 s7, s9, v28
	v_mad_u32_u24 v72, 0x1f8, v2, v70
	v_dual_sub_nc_u32 v66, 0, v0 :: v_dual_sub_nc_u32 v71, v16, v17
	v_lshlrev_b32_e32 v77, 3, v24
	s_or_b32 s8, s7, vcc_lo
	v_cmp_ge_u32_e64 s7, v2, v28
	v_mad_i32_i24 v73, 0xfffffe08, v2, v72
	v_dual_lshlrev_b32 v79, 3, v25 :: v_dual_lshlrev_b32 v80, 3, v26
	v_or_b32_e32 v38, v29, v2
	s_or_b32 s8, s8, s7
	s_delay_alu instid0(VALU_DEP_3)
	v_mad_u32_u24 v74, 0x1f8, v2, v73
	v_writelane_b32 v104, s8, 12
	v_cmp_le_i32_e64 s8, s9, v29
	v_cmp_le_i32_e64 s9, s9, v32
	v_or_b32_e32 v39, v32, v2
	v_mad_i32_i24 v75, 0xfffffe08, v2, v74
	v_mul_u64_e32 v[10:11], s[68:69], v[18:19]
	s_or_b32 s14, s8, vcc_lo
	v_cmp_ge_u32_e64 s8, v2, v29
	v_mul_u64_e32 v[0:1], s[76:77], v[18:19]
	v_mad_u32_u24 v78, 0x1f8, v2, v75
	v_mad_nc_u64_u32 v[16:17], s68, v28, v[20:21]
	v_mad_nc_u64_u32 v[18:19], s68, v29, v[20:21]
	s_or_b32 s14, s14, s8
	v_mul_u64_e32 v[12:13], s[76:77], v[14:15]
	v_writelane_b32 v104, s14, 13
	s_or_b32 s14, s9, vcc_lo
	v_cmp_ge_u32_e64 s9, v2, v32
	v_mad_i32_i24 v81, 0xfffffe08, v2, v78
	v_add_nc_u32_e32 v90, v83, v46
	v_mad_nc_u64_u32 v[14:15], s68, v42, v[20:21]
	v_mad_nc_u64_u32 v[20:21], s68, v32, v[20:21]
	s_or_b32 s14, s14, s9
	v_mad_u32_u24 v82, 0x1f8, v2, v81
	v_writelane_b32 v104, s14, 14
	v_cmp_ne_u32_e64 s14, v2, v42
	v_mad_u32 v17, s69, v28, v17
	v_mad_u32 v19, s69, v29, v19
	v_add_nc_u32_e32 v84, v82, v22
	v_mbcnt_lo_u32_b32 v22, -1, 0
	v_writelane_b32 v104, s14, 15
	s_or_b32 s14, vcc_lo, s14
	v_mad_u32 v15, s69, v42, v15
	v_mad_u32 v21, s69, v32, v21
	v_lshlrev_b32_e32 v31, 20, v22
	v_writelane_b32 v104, s14, 16
	s_or_b32 s14, vcc_lo, s15
	v_mov_b64_e32 v[32:33], 0
	v_lshl_add_u32 v3, v3, 3, 0x8000
	v_add_nc_u64_e32 v[22:23], src_flat_scratch_base_lo, v[30:31]
	v_writelane_b32 v104, s15, 17
	v_mov_b32_e32 v30, 8
	v_lshl_add_u32 v86, v6, 3, 0xa000
	v_lshl_add_u32 v87, v34, 3, 0x8000
	v_add_nc_u32_e32 v88, 0x8000, v46
	v_writelane_b32 v104, s14, 18
	s_or_b32 s14, vcc_lo, s19
	v_add_nc_u64_e32 v[24:25], src_flat_scratch_base_lo, v[30:31]
	v_mov_b32_e32 v30, 16
	v_lshl_add_u32 v89, v42, 9, v75
	v_writelane_b32 v104, s19, 19
	s_mov_b32 s19, s17
	s_mov_b32 s17, s16
	v_add_nc_u64_e32 v[26:27], src_flat_scratch_base_lo, v[30:31]
	v_mov_b32_e32 v30, 24
	v_writelane_b32 v104, s14, 20
	s_or_b32 s14, vcc_lo, s20
	v_cmp_lt_u32_e32 vcc_lo, 0x3ff, v34
	v_or_b32_e32 v91, 0x3c00, v64
	v_add_nc_u64_e32 v[28:29], src_flat_scratch_base_lo, v[30:31]
	v_writelane_b32 v104, s20, 21
	v_lshlrev_b32_e32 v30, 9, v7
	v_subrev_nc_u32_e32 v92, 31, v7
	v_cmp_gt_u32_e64 s15, 2, v34
	v_cmp_gt_u32_e64 s20, 40, v34
	v_writelane_b32 v104, s14, 22
	v_add_nc_u32_e32 v85, v64, v30
	v_mul_u64_e32 v[30:31], s[76:77], v[4:5]
	v_cmp_eq_u32_e64 s14, 0, v35
	v_cmp_gt_u32_e64 s21, 32, v34
	v_writelane_b32 v104, s18, 23
	v_cmp_gt_u32_e64 s22, 24, v34
	v_cmp_eq_u32_e64 s36, 0, v6
	v_cmp_gt_u32_e64 s37, 64, v6
	s_xor_b32 s72, vcc_lo, -1
	v_writelane_b32 v104, s19, 24
	v_cmp_gt_u32_e64 s18, 56, v34
	v_cmp_gt_u32_e64 s19, 48, v34
	v_writelane_b32 v104, s16, 25
	v_writelane_b32 v104, s17, 26
	v_cmp_gt_u32_e64 s16, 12, v34
	v_cmp_gt_u32_e64 s17, 8, v34
	v_writelane_b32 v104, s35, 27
	v_cmp_gt_u32_e64 s35, 0xe0, v34
	s_delay_alu instid0(VALU_DEP_1) | instskip(SKIP_1) | instid1(VALU_DEP_1)
	v_writelane_b32 v104, s35, 28
	v_cmp_gt_u32_e64 s35, 0xd0, v34
	v_writelane_b32 v104, s35, 29
	v_cmp_gt_u32_e64 s35, 0xc0, v34
	s_delay_alu instid0(VALU_DEP_1) | instskip(SKIP_1) | instid1(VALU_DEP_1)
	v_writelane_b32 v104, s35, 30
	;; [unrolled: 5-line block ×5, first 2 shown]
	v_cmp_gt_u32_e64 s35, 0x50, v34
	v_writelane_b32 v103, s35, 5
	v_cmp_gt_u32_e64 s35, 0x400, v34
	v_writelane_b32 v103, s54, 6
	v_cmp_gt_u32_e64 s54, 64, v35
	s_delay_alu instid0(VALU_DEP_1) | instskip(SKIP_1) | instid1(VALU_DEP_1)
	v_writelane_b32 v103, s54, 7
	v_cmp_gt_u32_e64 s54, 64, v37
	v_writelane_b32 v103, s54, 8
	v_cmp_gt_u32_e64 s54, 64, v38
	s_delay_alu instid0(VALU_DEP_1) | instskip(SKIP_1) | instid1(VALU_DEP_1)
	;; [unrolled: 5-line block ×13, first 2 shown]
	v_writelane_b32 v103, s54, 31
	v_cmp_gt_u32_e64 s54, 0x140, v34
	v_writelane_b32 v102, s54, 0
	v_cmp_gt_u32_e64 s54, 0x120, v34
	s_delay_alu instid0(VALU_DEP_1)
	v_writelane_b32 v102, s54, 1
	s_branch .LBB65_3
.LBB65_2:                               ;   in Loop: Header=BB65_3 Depth=1
	s_wait_xcnt 0x0
	s_or_b32 exec_lo, exec_lo, s66
	s_add_co_i32 s80, s80, 0x10000
	global_wb scope:SCOPE_DEV
	s_wait_storecnt 0x0
	global_inv scope:SCOPE_DEV
	s_cmp_lt_u32 s80, s90
	s_cbranch_scc0 .LBB65_1160
.LBB65_3:                               ; =>This Loop Header: Depth=1
                                        ;     Child Loop BB65_571 Depth 2
                                        ;     Child Loop BB65_1011 Depth 2
                                        ;       Child Loop BB65_1013 Depth 3
                                        ;     Child Loop BB65_1042 Depth 2
	v_readlane_b32 s68, v104, 0
	v_readlane_b32 s69, v104, 1
	s_mul_u64 s[66:67], s[70:71], s[80:81]
	v_readlane_b32 s54, v104, 4
	s_lshl_b64 s[66:67], s[66:67], 3
	s_delay_alu instid0(SALU_CYCLE_1)
	s_add_nc_u64 s[66:67], s[68:69], s[66:67]
	s_and_not1_b32 vcc_lo, exec_lo, s54
	v_lshl_add_u64 v[34:35], v[10:11], 3, s[66:67]
	s_cbranch_vccz .LBB65_6
; %bb.4:                                ;   in Loop: Header=BB65_3 Depth=1
	s_and_not1_b32 vcc_lo, exec_lo, s94
	s_mov_b32 s68, -1
	s_cbranch_vccz .LBB65_17
.LBB65_5:                               ;   in Loop: Header=BB65_3 Depth=1
	s_and_b32 vcc_lo, exec_lo, s68
	s_cbranch_vccnz .LBB65_27
	s_branch .LBB65_84
.LBB65_6:                               ;   in Loop: Header=BB65_3 Depth=1
	s_delay_alu instid0(VALU_DEP_1)
	v_lshl_add_u64 v[36:37], v[8:9], 3, v[34:35]
	v_dual_mov_b32 v38, 0 :: v_dual_mov_b32 v40, 0
	v_mov_b32_e32 v41, 0
	v_readlane_b32 s54, v104, 8
	s_barrier_signal -1
	s_barrier_wait -1
	s_and_saveexec_b32 s68, s54
	s_cbranch_execz .LBB65_8
; %bb.7:                                ;   in Loop: Header=BB65_3 Depth=1
	global_load_b64 v[40:41], v[36:37], off
.LBB65_8:                               ;   in Loop: Header=BB65_3 Depth=1
	s_wait_xcnt 0x0
	s_or_b32 exec_lo, exec_lo, s68
	v_mov_b32_e32 v39, 0
	v_readlane_b32 s54, v104, 9
	s_wait_loadcnt 0x0
	scratch_store_b64 off, v[40:41], off
	s_wait_storecnt 0x0
	s_barrier_signal -1
	s_barrier_wait -1
	s_wait_xcnt 0x0
	s_and_saveexec_b32 s68, s54
	s_cbranch_execz .LBB65_10
; %bb.9:                                ;   in Loop: Header=BB65_3 Depth=1
	global_load_b64 v[38:39], v[36:37], off offset:128
.LBB65_10:                              ;   in Loop: Header=BB65_3 Depth=1
	s_wait_xcnt 0x0
	s_or_b32 exec_lo, exec_lo, s68
	s_wait_loadcnt 0x0
	scratch_store_b64 off, v[38:39], off offset:8
	s_wait_xcnt 0x0
	v_dual_mov_b32 v38, 0 :: v_dual_mov_b32 v39, 0
	v_readlane_b32 s54, v104, 10
	s_wait_storecnt 0x0
	s_barrier_signal -1
	s_barrier_wait -1
	s_and_saveexec_b32 s68, s54
	s_cbranch_execz .LBB65_12
; %bb.11:                               ;   in Loop: Header=BB65_3 Depth=1
	global_load_b64 v[38:39], v[36:37], off offset:256
.LBB65_12:                              ;   in Loop: Header=BB65_3 Depth=1
	s_wait_xcnt 0x0
	s_or_b32 exec_lo, exec_lo, s68
	v_readlane_b32 s54, v103, 6
	s_wait_loadcnt 0x0
	scratch_store_b64 off, v[38:39], off offset:16
	s_wait_storecnt 0x0
	s_barrier_signal -1
	s_barrier_wait -1
	s_wait_xcnt 0x0
	s_and_saveexec_b32 s68, s54
	s_delay_alu instid0(SALU_CYCLE_1)
	s_xor_b32 s68, exec_lo, s68
	s_cbranch_execz .LBB65_14
; %bb.13:                               ;   in Loop: Header=BB65_3 Depth=1
	scratch_store_b64 off, v[32:33], off offset:24
                                        ; implicit-def: $vgpr36_vgpr37
.LBB65_14:                              ;   in Loop: Header=BB65_3 Depth=1
	s_wait_xcnt 0x0
	s_and_not1_saveexec_b32 s68, s68
	s_cbranch_execz .LBB65_16
; %bb.15:                               ;   in Loop: Header=BB65_3 Depth=1
	global_load_b64 v[36:37], v[36:37], off offset:384
	s_wait_loadcnt 0x0
	scratch_store_b64 off, v[36:37], off offset:24
.LBB65_16:                              ;   in Loop: Header=BB65_3 Depth=1
	s_wait_xcnt 0x0
	s_or_b32 exec_lo, exec_lo, s68
	s_delay_alu instid0(SALU_CYCLE_1)
	s_and_not1_b32 vcc_lo, exec_lo, s94
	s_mov_b32 s68, -1
	s_cbranch_vccnz .LBB65_5
.LBB65_17:                              ;   in Loop: Header=BB65_3 Depth=1
	s_and_saveexec_b32 s68, s6
	s_delay_alu instid0(SALU_CYCLE_1)
	s_xor_b32 s68, exec_lo, s68
	s_cbranch_execnz .LBB65_1055
; %bb.18:                               ;   in Loop: Header=BB65_3 Depth=1
	s_and_not1_saveexec_b32 s68, s68
	s_cbranch_execnz .LBB65_1066
.LBB65_19:                              ;   in Loop: Header=BB65_3 Depth=1
	s_or_b32 exec_lo, exec_lo, s68
	s_and_saveexec_b32 s68, s7
	s_delay_alu instid0(SALU_CYCLE_1)
	s_xor_b32 s68, exec_lo, s68
	s_cbranch_execnz .LBB65_1067
.LBB65_20:                              ;   in Loop: Header=BB65_3 Depth=1
	s_and_not1_saveexec_b32 s68, s68
	s_cbranch_execnz .LBB65_1078
.LBB65_21:                              ;   in Loop: Header=BB65_3 Depth=1
	s_or_b32 exec_lo, exec_lo, s68
	s_and_saveexec_b32 s68, s8
	s_delay_alu instid0(SALU_CYCLE_1)
	s_xor_b32 s68, exec_lo, s68
	s_cbranch_execnz .LBB65_1079
.LBB65_22:                              ;   in Loop: Header=BB65_3 Depth=1
	s_and_not1_saveexec_b32 s68, s68
	s_cbranch_execnz .LBB65_1090
.LBB65_23:                              ;   in Loop: Header=BB65_3 Depth=1
	s_or_b32 exec_lo, exec_lo, s68
	s_and_saveexec_b32 s68, s9
	s_delay_alu instid0(SALU_CYCLE_1)
	s_xor_b32 s68, exec_lo, s68
	s_cbranch_execnz .LBB65_1091
.LBB65_24:                              ;   in Loop: Header=BB65_3 Depth=1
	s_and_not1_saveexec_b32 s68, s68
	s_cbranch_execz .LBB65_26
.LBB65_25:                              ;   in Loop: Header=BB65_3 Depth=1
	v_lshl_add_u64 v[36:37], v[20:21], 3, s[66:67]
	global_load_b64 v[36:37], v[36:37], off
	s_wait_loadcnt 0x0
	s_wait_xcnt 0x0
	v_pk_add_f32 v[36:37], v[36:37], 0 neg_lo:[1,1] neg_hi:[1,1]
	ds_store_b64 v80, v[36:37]
.LBB65_26:                              ;   in Loop: Header=BB65_3 Depth=1
	s_or_b32 exec_lo, exec_lo, s68
	s_branch .LBB65_84
.LBB65_27:                              ;   in Loop: Header=BB65_3 Depth=1
	v_readlane_b32 s54, v104, 11
	s_and_saveexec_b32 s68, s54
	s_delay_alu instid0(SALU_CYCLE_1)
	s_xor_b32 s68, exec_lo, s68
	s_cbranch_execz .LBB65_39
; %bb.28:                               ;   in Loop: Header=BB65_3 Depth=1
	v_readlane_b32 s54, v104, 16
	s_and_saveexec_b32 s69, s54
	s_delay_alu instid0(SALU_CYCLE_1)
	s_xor_b32 s69, exec_lo, s69
	s_cbranch_execz .LBB65_32
; %bb.29:                               ;   in Loop: Header=BB65_3 Depth=1
	v_readlane_b32 s54, v103, 7
	s_and_saveexec_b32 s73, s54
; %bb.30:                               ;   in Loop: Header=BB65_3 Depth=1
	ds_store_b64 v84, v[32:33]
; %bb.31:                               ;   in Loop: Header=BB65_3 Depth=1
	s_or_b32 exec_lo, exec_lo, s73
.LBB65_32:                              ;   in Loop: Header=BB65_3 Depth=1
	s_and_not1_saveexec_b32 s69, s69
	s_cbranch_execz .LBB65_38
; %bb.33:                               ;   in Loop: Header=BB65_3 Depth=1
	v_lshl_add_u64 v[36:37], v[14:15], 3, s[66:67]
                                        ; implicit-def: $vgpr38_vgpr39
	global_load_b64 v[36:37], v[36:37], off
	s_wait_loadcnt 0x0
	v_cmp_ngt_f32_e64 s73, |v36|, |v37|
	s_wait_xcnt 0x0
	s_and_saveexec_b32 s88, s73
	s_delay_alu instid0(SALU_CYCLE_1)
	s_xor_b32 s73, exec_lo, s88
	s_cbranch_execz .LBB65_35
; %bb.34:                               ;   in Loop: Header=BB65_3 Depth=1
	v_div_scale_f32 v4, null, v37, v37, v36
	v_div_scale_f32 v40, vcc_lo, v36, v37, v36
	s_delay_alu instid0(VALU_DEP_2) | instskip(SKIP_1) | instid1(TRANS32_DEP_1)
	v_rcp_f32_e32 v38, v4
	v_nop
	v_fma_f32 v39, -v4, v38, 1.0
	s_delay_alu instid0(VALU_DEP_1) | instskip(NEXT) | instid1(VALU_DEP_1)
	v_fmac_f32_e32 v38, v39, v38
	v_mul_f32_e32 v39, v40, v38
	s_delay_alu instid0(VALU_DEP_1) | instskip(NEXT) | instid1(VALU_DEP_1)
	v_fma_f32 v41, -v4, v39, v40
	v_fmac_f32_e32 v39, v41, v38
	s_delay_alu instid0(VALU_DEP_1) | instskip(NEXT) | instid1(VALU_DEP_1)
	v_fma_f32 v4, -v4, v39, v40
	v_div_fmas_f32 v4, v4, v38, v39
	s_delay_alu instid0(VALU_DEP_1) | instskip(NEXT) | instid1(VALU_DEP_1)
	v_div_fixup_f32 v4, v4, v37, v36
	v_fmac_f32_e32 v37, v36, v4
	s_delay_alu instid0(VALU_DEP_1) | instskip(SKIP_1) | instid1(VALU_DEP_2)
	v_div_scale_f32 v36, null, v37, v37, 1.0
	v_div_scale_f32 v40, vcc_lo, 1.0, v37, 1.0
	v_rcp_f32_e32 v38, v36
	v_nop
	s_delay_alu instid0(TRANS32_DEP_1) | instskip(NEXT) | instid1(VALU_DEP_1)
	v_fma_f32 v39, -v36, v38, 1.0
	v_fmac_f32_e32 v38, v39, v38
	s_delay_alu instid0(VALU_DEP_1) | instskip(NEXT) | instid1(VALU_DEP_1)
	v_mul_f32_e32 v39, v40, v38
	v_fma_f32 v41, -v36, v39, v40
	s_delay_alu instid0(VALU_DEP_1) | instskip(NEXT) | instid1(VALU_DEP_1)
	v_fmac_f32_e32 v39, v41, v38
	v_fma_f32 v36, -v36, v39, v40
	s_delay_alu instid0(VALU_DEP_1) | instskip(NEXT) | instid1(VALU_DEP_1)
	v_div_fmas_f32 v36, v36, v38, v39
	v_div_fixup_f32 v36, v36, v37, 1.0
	s_delay_alu instid0(VALU_DEP_1)
	v_mul_f32_e32 v38, v4, v36
	v_xor_b32_e32 v39, 0x80000000, v36
                                        ; implicit-def: $vgpr36_vgpr37
.LBB65_35:                              ;   in Loop: Header=BB65_3 Depth=1
	s_and_not1_saveexec_b32 s73, s73
	s_cbranch_execz .LBB65_37
; %bb.36:                               ;   in Loop: Header=BB65_3 Depth=1
	v_div_scale_f32 v4, null, v36, v36, v37
	v_div_scale_f32 v40, vcc_lo, v37, v36, v37
	s_delay_alu instid0(VALU_DEP_2) | instskip(SKIP_1) | instid1(TRANS32_DEP_1)
	v_rcp_f32_e32 v38, v4
	v_nop
	v_fma_f32 v39, -v4, v38, 1.0
	s_delay_alu instid0(VALU_DEP_1) | instskip(NEXT) | instid1(VALU_DEP_1)
	v_fmac_f32_e32 v38, v39, v38
	v_mul_f32_e32 v39, v40, v38
	s_delay_alu instid0(VALU_DEP_1) | instskip(NEXT) | instid1(VALU_DEP_1)
	v_fma_f32 v41, -v4, v39, v40
	v_fmac_f32_e32 v39, v41, v38
	s_delay_alu instid0(VALU_DEP_1) | instskip(NEXT) | instid1(VALU_DEP_1)
	v_fma_f32 v4, -v4, v39, v40
	v_div_fmas_f32 v4, v4, v38, v39
	s_delay_alu instid0(VALU_DEP_1) | instskip(NEXT) | instid1(VALU_DEP_1)
	v_div_fixup_f32 v4, v4, v36, v37
	v_fmac_f32_e32 v36, v37, v4
	s_delay_alu instid0(VALU_DEP_1) | instskip(NEXT) | instid1(VALU_DEP_1)
	v_div_scale_f32 v37, null, v36, v36, 1.0
	v_rcp_f32_e32 v38, v37
	v_nop
	s_delay_alu instid0(TRANS32_DEP_1) | instskip(NEXT) | instid1(VALU_DEP_1)
	v_fma_f32 v39, -v37, v38, 1.0
	v_fmac_f32_e32 v38, v39, v38
	v_div_scale_f32 v39, vcc_lo, 1.0, v36, 1.0
	s_delay_alu instid0(VALU_DEP_1) | instskip(NEXT) | instid1(VALU_DEP_1)
	v_mul_f32_e32 v40, v39, v38
	v_fma_f32 v41, -v37, v40, v39
	s_delay_alu instid0(VALU_DEP_1) | instskip(NEXT) | instid1(VALU_DEP_1)
	v_fmac_f32_e32 v40, v41, v38
	v_fma_f32 v37, -v37, v40, v39
	s_delay_alu instid0(VALU_DEP_1) | instskip(NEXT) | instid1(VALU_DEP_1)
	v_div_fmas_f32 v37, v37, v38, v40
	v_div_fixup_f32 v38, v37, v36, 1.0
	s_delay_alu instid0(VALU_DEP_1)
	v_mul_f32_e64 v39, v4, -v38
.LBB65_37:                              ;   in Loop: Header=BB65_3 Depth=1
	s_or_b32 exec_lo, exec_lo, s73
	ds_store_b64 v84, v[38:39]
.LBB65_38:                              ;   in Loop: Header=BB65_3 Depth=1
	s_or_b32 exec_lo, exec_lo, s69
.LBB65_39:                              ;   in Loop: Header=BB65_3 Depth=1
	s_and_not1_saveexec_b32 s68, s68
	s_cbranch_execz .LBB65_41
; %bb.40:                               ;   in Loop: Header=BB65_3 Depth=1
	v_lshl_add_u64 v[36:37], v[14:15], 3, s[66:67]
	global_load_b64 v[36:37], v[36:37], off
	s_wait_loadcnt 0x0
	s_wait_xcnt 0x0
	v_pk_add_f32 v[36:37], v[36:37], 0 neg_lo:[1,1] neg_hi:[1,1]
	ds_store_b64 v84, v[36:37]
.LBB65_41:                              ;   in Loop: Header=BB65_3 Depth=1
	s_or_b32 exec_lo, exec_lo, s68
	v_readlane_b32 s54, v104, 12
	s_and_saveexec_b32 s68, s54
	s_delay_alu instid0(SALU_CYCLE_1)
	s_xor_b32 s68, exec_lo, s68
	s_cbranch_execz .LBB65_53
; %bb.42:                               ;   in Loop: Header=BB65_3 Depth=1
	v_readlane_b32 s54, v104, 18
	s_and_saveexec_b32 s69, s54
	s_delay_alu instid0(SALU_CYCLE_1)
	s_xor_b32 s69, exec_lo, s69
	s_cbranch_execz .LBB65_46
; %bb.43:                               ;   in Loop: Header=BB65_3 Depth=1
	v_readlane_b32 s54, v103, 8
	s_and_saveexec_b32 s73, s54
; %bb.44:                               ;   in Loop: Header=BB65_3 Depth=1
	ds_store_b64 v77, v[32:33]
; %bb.45:                               ;   in Loop: Header=BB65_3 Depth=1
	s_or_b32 exec_lo, exec_lo, s73
.LBB65_46:                              ;   in Loop: Header=BB65_3 Depth=1
	s_and_not1_saveexec_b32 s69, s69
	s_cbranch_execz .LBB65_52
; %bb.47:                               ;   in Loop: Header=BB65_3 Depth=1
	v_lshl_add_u64 v[36:37], v[16:17], 3, s[66:67]
                                        ; implicit-def: $vgpr38_vgpr39
	global_load_b64 v[36:37], v[36:37], off
	s_wait_loadcnt 0x0
	v_cmp_ngt_f32_e64 s73, |v36|, |v37|
	s_wait_xcnt 0x0
	s_and_saveexec_b32 s88, s73
	s_delay_alu instid0(SALU_CYCLE_1)
	s_xor_b32 s73, exec_lo, s88
	s_cbranch_execz .LBB65_49
; %bb.48:                               ;   in Loop: Header=BB65_3 Depth=1
	v_div_scale_f32 v4, null, v37, v37, v36
	v_div_scale_f32 v40, vcc_lo, v36, v37, v36
	s_delay_alu instid0(VALU_DEP_2) | instskip(SKIP_1) | instid1(TRANS32_DEP_1)
	v_rcp_f32_e32 v38, v4
	v_nop
	v_fma_f32 v39, -v4, v38, 1.0
	s_delay_alu instid0(VALU_DEP_1) | instskip(NEXT) | instid1(VALU_DEP_1)
	v_fmac_f32_e32 v38, v39, v38
	v_mul_f32_e32 v39, v40, v38
	s_delay_alu instid0(VALU_DEP_1) | instskip(NEXT) | instid1(VALU_DEP_1)
	v_fma_f32 v41, -v4, v39, v40
	v_fmac_f32_e32 v39, v41, v38
	s_delay_alu instid0(VALU_DEP_1) | instskip(NEXT) | instid1(VALU_DEP_1)
	v_fma_f32 v4, -v4, v39, v40
	v_div_fmas_f32 v4, v4, v38, v39
	s_delay_alu instid0(VALU_DEP_1) | instskip(NEXT) | instid1(VALU_DEP_1)
	v_div_fixup_f32 v4, v4, v37, v36
	v_fmac_f32_e32 v37, v36, v4
	s_delay_alu instid0(VALU_DEP_1) | instskip(SKIP_1) | instid1(VALU_DEP_2)
	v_div_scale_f32 v36, null, v37, v37, 1.0
	v_div_scale_f32 v40, vcc_lo, 1.0, v37, 1.0
	v_rcp_f32_e32 v38, v36
	v_nop
	s_delay_alu instid0(TRANS32_DEP_1) | instskip(NEXT) | instid1(VALU_DEP_1)
	v_fma_f32 v39, -v36, v38, 1.0
	v_fmac_f32_e32 v38, v39, v38
	s_delay_alu instid0(VALU_DEP_1) | instskip(NEXT) | instid1(VALU_DEP_1)
	v_mul_f32_e32 v39, v40, v38
	v_fma_f32 v41, -v36, v39, v40
	s_delay_alu instid0(VALU_DEP_1) | instskip(NEXT) | instid1(VALU_DEP_1)
	v_fmac_f32_e32 v39, v41, v38
	v_fma_f32 v36, -v36, v39, v40
	s_delay_alu instid0(VALU_DEP_1) | instskip(NEXT) | instid1(VALU_DEP_1)
	v_div_fmas_f32 v36, v36, v38, v39
	v_div_fixup_f32 v36, v36, v37, 1.0
	s_delay_alu instid0(VALU_DEP_1)
	v_mul_f32_e32 v38, v4, v36
	v_xor_b32_e32 v39, 0x80000000, v36
                                        ; implicit-def: $vgpr36_vgpr37
.LBB65_49:                              ;   in Loop: Header=BB65_3 Depth=1
	s_and_not1_saveexec_b32 s73, s73
	s_cbranch_execz .LBB65_51
; %bb.50:                               ;   in Loop: Header=BB65_3 Depth=1
	v_div_scale_f32 v4, null, v36, v36, v37
	v_div_scale_f32 v40, vcc_lo, v37, v36, v37
	s_delay_alu instid0(VALU_DEP_2) | instskip(SKIP_1) | instid1(TRANS32_DEP_1)
	v_rcp_f32_e32 v38, v4
	v_nop
	v_fma_f32 v39, -v4, v38, 1.0
	s_delay_alu instid0(VALU_DEP_1) | instskip(NEXT) | instid1(VALU_DEP_1)
	v_fmac_f32_e32 v38, v39, v38
	v_mul_f32_e32 v39, v40, v38
	s_delay_alu instid0(VALU_DEP_1) | instskip(NEXT) | instid1(VALU_DEP_1)
	v_fma_f32 v41, -v4, v39, v40
	v_fmac_f32_e32 v39, v41, v38
	s_delay_alu instid0(VALU_DEP_1) | instskip(NEXT) | instid1(VALU_DEP_1)
	v_fma_f32 v4, -v4, v39, v40
	v_div_fmas_f32 v4, v4, v38, v39
	s_delay_alu instid0(VALU_DEP_1) | instskip(NEXT) | instid1(VALU_DEP_1)
	v_div_fixup_f32 v4, v4, v36, v37
	v_fmac_f32_e32 v36, v37, v4
	s_delay_alu instid0(VALU_DEP_1) | instskip(NEXT) | instid1(VALU_DEP_1)
	v_div_scale_f32 v37, null, v36, v36, 1.0
	v_rcp_f32_e32 v38, v37
	v_nop
	s_delay_alu instid0(TRANS32_DEP_1) | instskip(NEXT) | instid1(VALU_DEP_1)
	v_fma_f32 v39, -v37, v38, 1.0
	v_fmac_f32_e32 v38, v39, v38
	v_div_scale_f32 v39, vcc_lo, 1.0, v36, 1.0
	s_delay_alu instid0(VALU_DEP_1) | instskip(NEXT) | instid1(VALU_DEP_1)
	v_mul_f32_e32 v40, v39, v38
	v_fma_f32 v41, -v37, v40, v39
	s_delay_alu instid0(VALU_DEP_1) | instskip(NEXT) | instid1(VALU_DEP_1)
	v_fmac_f32_e32 v40, v41, v38
	v_fma_f32 v37, -v37, v40, v39
	s_delay_alu instid0(VALU_DEP_1) | instskip(NEXT) | instid1(VALU_DEP_1)
	v_div_fmas_f32 v37, v37, v38, v40
	v_div_fixup_f32 v38, v37, v36, 1.0
	s_delay_alu instid0(VALU_DEP_1)
	v_mul_f32_e64 v39, v4, -v38
.LBB65_51:                              ;   in Loop: Header=BB65_3 Depth=1
	s_or_b32 exec_lo, exec_lo, s73
	ds_store_b64 v77, v[38:39]
.LBB65_52:                              ;   in Loop: Header=BB65_3 Depth=1
	s_or_b32 exec_lo, exec_lo, s69
.LBB65_53:                              ;   in Loop: Header=BB65_3 Depth=1
	s_and_not1_saveexec_b32 s68, s68
	s_cbranch_execz .LBB65_55
; %bb.54:                               ;   in Loop: Header=BB65_3 Depth=1
	v_lshl_add_u64 v[36:37], v[16:17], 3, s[66:67]
	global_load_b64 v[36:37], v[36:37], off
	s_wait_loadcnt 0x0
	s_wait_xcnt 0x0
	v_pk_add_f32 v[36:37], v[36:37], 0 neg_lo:[1,1] neg_hi:[1,1]
	ds_store_b64 v77, v[36:37]
.LBB65_55:                              ;   in Loop: Header=BB65_3 Depth=1
	s_or_b32 exec_lo, exec_lo, s68
	v_readlane_b32 s54, v104, 13
	s_and_saveexec_b32 s68, s54
	s_delay_alu instid0(SALU_CYCLE_1)
	s_xor_b32 s68, exec_lo, s68
	s_cbranch_execz .LBB65_67
; %bb.56:                               ;   in Loop: Header=BB65_3 Depth=1
	v_readlane_b32 s54, v104, 20
	s_and_saveexec_b32 s69, s54
	s_delay_alu instid0(SALU_CYCLE_1)
	s_xor_b32 s69, exec_lo, s69
	s_cbranch_execz .LBB65_60
; %bb.57:                               ;   in Loop: Header=BB65_3 Depth=1
	v_readlane_b32 s54, v103, 9
	s_and_saveexec_b32 s73, s54
; %bb.58:                               ;   in Loop: Header=BB65_3 Depth=1
	ds_store_b64 v79, v[32:33]
; %bb.59:                               ;   in Loop: Header=BB65_3 Depth=1
	s_or_b32 exec_lo, exec_lo, s73
.LBB65_60:                              ;   in Loop: Header=BB65_3 Depth=1
	s_and_not1_saveexec_b32 s69, s69
	s_cbranch_execz .LBB65_66
; %bb.61:                               ;   in Loop: Header=BB65_3 Depth=1
	v_lshl_add_u64 v[36:37], v[18:19], 3, s[66:67]
                                        ; implicit-def: $vgpr38_vgpr39
	global_load_b64 v[36:37], v[36:37], off
	s_wait_loadcnt 0x0
	v_cmp_ngt_f32_e64 s73, |v36|, |v37|
	s_wait_xcnt 0x0
	s_and_saveexec_b32 s88, s73
	s_delay_alu instid0(SALU_CYCLE_1)
	s_xor_b32 s73, exec_lo, s88
	s_cbranch_execz .LBB65_63
; %bb.62:                               ;   in Loop: Header=BB65_3 Depth=1
	v_div_scale_f32 v4, null, v37, v37, v36
	v_div_scale_f32 v40, vcc_lo, v36, v37, v36
	s_delay_alu instid0(VALU_DEP_2) | instskip(SKIP_1) | instid1(TRANS32_DEP_1)
	v_rcp_f32_e32 v38, v4
	v_nop
	v_fma_f32 v39, -v4, v38, 1.0
	s_delay_alu instid0(VALU_DEP_1) | instskip(NEXT) | instid1(VALU_DEP_1)
	v_fmac_f32_e32 v38, v39, v38
	v_mul_f32_e32 v39, v40, v38
	s_delay_alu instid0(VALU_DEP_1) | instskip(NEXT) | instid1(VALU_DEP_1)
	v_fma_f32 v41, -v4, v39, v40
	v_fmac_f32_e32 v39, v41, v38
	s_delay_alu instid0(VALU_DEP_1) | instskip(NEXT) | instid1(VALU_DEP_1)
	v_fma_f32 v4, -v4, v39, v40
	v_div_fmas_f32 v4, v4, v38, v39
	s_delay_alu instid0(VALU_DEP_1) | instskip(NEXT) | instid1(VALU_DEP_1)
	v_div_fixup_f32 v4, v4, v37, v36
	v_fmac_f32_e32 v37, v36, v4
	s_delay_alu instid0(VALU_DEP_1) | instskip(SKIP_1) | instid1(VALU_DEP_2)
	v_div_scale_f32 v36, null, v37, v37, 1.0
	v_div_scale_f32 v40, vcc_lo, 1.0, v37, 1.0
	v_rcp_f32_e32 v38, v36
	v_nop
	s_delay_alu instid0(TRANS32_DEP_1) | instskip(NEXT) | instid1(VALU_DEP_1)
	v_fma_f32 v39, -v36, v38, 1.0
	v_fmac_f32_e32 v38, v39, v38
	s_delay_alu instid0(VALU_DEP_1) | instskip(NEXT) | instid1(VALU_DEP_1)
	v_mul_f32_e32 v39, v40, v38
	v_fma_f32 v41, -v36, v39, v40
	s_delay_alu instid0(VALU_DEP_1) | instskip(NEXT) | instid1(VALU_DEP_1)
	v_fmac_f32_e32 v39, v41, v38
	v_fma_f32 v36, -v36, v39, v40
	s_delay_alu instid0(VALU_DEP_1) | instskip(NEXT) | instid1(VALU_DEP_1)
	v_div_fmas_f32 v36, v36, v38, v39
	v_div_fixup_f32 v36, v36, v37, 1.0
	s_delay_alu instid0(VALU_DEP_1)
	v_mul_f32_e32 v38, v4, v36
	v_xor_b32_e32 v39, 0x80000000, v36
                                        ; implicit-def: $vgpr36_vgpr37
.LBB65_63:                              ;   in Loop: Header=BB65_3 Depth=1
	s_and_not1_saveexec_b32 s73, s73
	s_cbranch_execz .LBB65_65
; %bb.64:                               ;   in Loop: Header=BB65_3 Depth=1
	v_div_scale_f32 v4, null, v36, v36, v37
	v_div_scale_f32 v40, vcc_lo, v37, v36, v37
	s_delay_alu instid0(VALU_DEP_2) | instskip(SKIP_1) | instid1(TRANS32_DEP_1)
	v_rcp_f32_e32 v38, v4
	v_nop
	v_fma_f32 v39, -v4, v38, 1.0
	s_delay_alu instid0(VALU_DEP_1) | instskip(NEXT) | instid1(VALU_DEP_1)
	v_fmac_f32_e32 v38, v39, v38
	v_mul_f32_e32 v39, v40, v38
	s_delay_alu instid0(VALU_DEP_1) | instskip(NEXT) | instid1(VALU_DEP_1)
	v_fma_f32 v41, -v4, v39, v40
	v_fmac_f32_e32 v39, v41, v38
	s_delay_alu instid0(VALU_DEP_1) | instskip(NEXT) | instid1(VALU_DEP_1)
	v_fma_f32 v4, -v4, v39, v40
	v_div_fmas_f32 v4, v4, v38, v39
	s_delay_alu instid0(VALU_DEP_1) | instskip(NEXT) | instid1(VALU_DEP_1)
	v_div_fixup_f32 v4, v4, v36, v37
	v_fmac_f32_e32 v36, v37, v4
	s_delay_alu instid0(VALU_DEP_1) | instskip(NEXT) | instid1(VALU_DEP_1)
	v_div_scale_f32 v37, null, v36, v36, 1.0
	v_rcp_f32_e32 v38, v37
	v_nop
	s_delay_alu instid0(TRANS32_DEP_1) | instskip(NEXT) | instid1(VALU_DEP_1)
	v_fma_f32 v39, -v37, v38, 1.0
	v_fmac_f32_e32 v38, v39, v38
	v_div_scale_f32 v39, vcc_lo, 1.0, v36, 1.0
	s_delay_alu instid0(VALU_DEP_1) | instskip(NEXT) | instid1(VALU_DEP_1)
	v_mul_f32_e32 v40, v39, v38
	v_fma_f32 v41, -v37, v40, v39
	s_delay_alu instid0(VALU_DEP_1) | instskip(NEXT) | instid1(VALU_DEP_1)
	v_fmac_f32_e32 v40, v41, v38
	v_fma_f32 v37, -v37, v40, v39
	s_delay_alu instid0(VALU_DEP_1) | instskip(NEXT) | instid1(VALU_DEP_1)
	v_div_fmas_f32 v37, v37, v38, v40
	v_div_fixup_f32 v38, v37, v36, 1.0
	s_delay_alu instid0(VALU_DEP_1)
	v_mul_f32_e64 v39, v4, -v38
.LBB65_65:                              ;   in Loop: Header=BB65_3 Depth=1
	s_or_b32 exec_lo, exec_lo, s73
	ds_store_b64 v79, v[38:39]
.LBB65_66:                              ;   in Loop: Header=BB65_3 Depth=1
	s_or_b32 exec_lo, exec_lo, s69
.LBB65_67:                              ;   in Loop: Header=BB65_3 Depth=1
	s_and_not1_saveexec_b32 s68, s68
	s_cbranch_execz .LBB65_69
; %bb.68:                               ;   in Loop: Header=BB65_3 Depth=1
	v_lshl_add_u64 v[36:37], v[18:19], 3, s[66:67]
	global_load_b64 v[36:37], v[36:37], off
	s_wait_loadcnt 0x0
	s_wait_xcnt 0x0
	v_pk_add_f32 v[36:37], v[36:37], 0 neg_lo:[1,1] neg_hi:[1,1]
	ds_store_b64 v79, v[36:37]
.LBB65_69:                              ;   in Loop: Header=BB65_3 Depth=1
	s_or_b32 exec_lo, exec_lo, s68
	v_readlane_b32 s54, v104, 14
	s_and_saveexec_b32 s68, s54
	s_delay_alu instid0(SALU_CYCLE_1)
	s_xor_b32 s68, exec_lo, s68
	s_cbranch_execz .LBB65_81
; %bb.70:                               ;   in Loop: Header=BB65_3 Depth=1
	v_readlane_b32 s54, v104, 22
	s_and_saveexec_b32 s69, s54
	s_delay_alu instid0(SALU_CYCLE_1)
	s_xor_b32 s69, exec_lo, s69
	s_cbranch_execz .LBB65_74
; %bb.71:                               ;   in Loop: Header=BB65_3 Depth=1
	v_readlane_b32 s54, v103, 10
	s_and_saveexec_b32 s73, s54
; %bb.72:                               ;   in Loop: Header=BB65_3 Depth=1
	ds_store_b64 v80, v[32:33]
; %bb.73:                               ;   in Loop: Header=BB65_3 Depth=1
	s_or_b32 exec_lo, exec_lo, s73
.LBB65_74:                              ;   in Loop: Header=BB65_3 Depth=1
	s_and_not1_saveexec_b32 s69, s69
	s_cbranch_execz .LBB65_80
; %bb.75:                               ;   in Loop: Header=BB65_3 Depth=1
	v_lshl_add_u64 v[36:37], v[20:21], 3, s[66:67]
                                        ; implicit-def: $vgpr38_vgpr39
	global_load_b64 v[36:37], v[36:37], off
	s_wait_loadcnt 0x0
	v_cmp_ngt_f32_e64 s73, |v36|, |v37|
	s_wait_xcnt 0x0
	s_and_saveexec_b32 s88, s73
	s_delay_alu instid0(SALU_CYCLE_1)
	s_xor_b32 s73, exec_lo, s88
	s_cbranch_execz .LBB65_77
; %bb.76:                               ;   in Loop: Header=BB65_3 Depth=1
	v_div_scale_f32 v4, null, v37, v37, v36
	v_div_scale_f32 v40, vcc_lo, v36, v37, v36
	s_delay_alu instid0(VALU_DEP_2) | instskip(SKIP_1) | instid1(TRANS32_DEP_1)
	v_rcp_f32_e32 v38, v4
	v_nop
	v_fma_f32 v39, -v4, v38, 1.0
	s_delay_alu instid0(VALU_DEP_1) | instskip(NEXT) | instid1(VALU_DEP_1)
	v_fmac_f32_e32 v38, v39, v38
	v_mul_f32_e32 v39, v40, v38
	s_delay_alu instid0(VALU_DEP_1) | instskip(NEXT) | instid1(VALU_DEP_1)
	v_fma_f32 v41, -v4, v39, v40
	v_fmac_f32_e32 v39, v41, v38
	s_delay_alu instid0(VALU_DEP_1) | instskip(NEXT) | instid1(VALU_DEP_1)
	v_fma_f32 v4, -v4, v39, v40
	v_div_fmas_f32 v4, v4, v38, v39
	s_delay_alu instid0(VALU_DEP_1) | instskip(NEXT) | instid1(VALU_DEP_1)
	v_div_fixup_f32 v4, v4, v37, v36
	v_fmac_f32_e32 v37, v36, v4
	s_delay_alu instid0(VALU_DEP_1) | instskip(SKIP_1) | instid1(VALU_DEP_2)
	v_div_scale_f32 v36, null, v37, v37, 1.0
	v_div_scale_f32 v40, vcc_lo, 1.0, v37, 1.0
	v_rcp_f32_e32 v38, v36
	v_nop
	s_delay_alu instid0(TRANS32_DEP_1) | instskip(NEXT) | instid1(VALU_DEP_1)
	v_fma_f32 v39, -v36, v38, 1.0
	v_fmac_f32_e32 v38, v39, v38
	s_delay_alu instid0(VALU_DEP_1) | instskip(NEXT) | instid1(VALU_DEP_1)
	v_mul_f32_e32 v39, v40, v38
	v_fma_f32 v41, -v36, v39, v40
	s_delay_alu instid0(VALU_DEP_1) | instskip(NEXT) | instid1(VALU_DEP_1)
	v_fmac_f32_e32 v39, v41, v38
	v_fma_f32 v36, -v36, v39, v40
	s_delay_alu instid0(VALU_DEP_1) | instskip(NEXT) | instid1(VALU_DEP_1)
	v_div_fmas_f32 v36, v36, v38, v39
	v_div_fixup_f32 v36, v36, v37, 1.0
	s_delay_alu instid0(VALU_DEP_1)
	v_mul_f32_e32 v38, v4, v36
	v_xor_b32_e32 v39, 0x80000000, v36
                                        ; implicit-def: $vgpr36_vgpr37
.LBB65_77:                              ;   in Loop: Header=BB65_3 Depth=1
	s_and_not1_saveexec_b32 s73, s73
	s_cbranch_execz .LBB65_79
; %bb.78:                               ;   in Loop: Header=BB65_3 Depth=1
	v_div_scale_f32 v4, null, v36, v36, v37
	v_div_scale_f32 v40, vcc_lo, v37, v36, v37
	s_delay_alu instid0(VALU_DEP_2) | instskip(SKIP_1) | instid1(TRANS32_DEP_1)
	v_rcp_f32_e32 v38, v4
	v_nop
	v_fma_f32 v39, -v4, v38, 1.0
	s_delay_alu instid0(VALU_DEP_1) | instskip(NEXT) | instid1(VALU_DEP_1)
	v_fmac_f32_e32 v38, v39, v38
	v_mul_f32_e32 v39, v40, v38
	s_delay_alu instid0(VALU_DEP_1) | instskip(NEXT) | instid1(VALU_DEP_1)
	v_fma_f32 v41, -v4, v39, v40
	v_fmac_f32_e32 v39, v41, v38
	s_delay_alu instid0(VALU_DEP_1) | instskip(NEXT) | instid1(VALU_DEP_1)
	v_fma_f32 v4, -v4, v39, v40
	v_div_fmas_f32 v4, v4, v38, v39
	s_delay_alu instid0(VALU_DEP_1) | instskip(NEXT) | instid1(VALU_DEP_1)
	v_div_fixup_f32 v4, v4, v36, v37
	v_fmac_f32_e32 v36, v37, v4
	s_delay_alu instid0(VALU_DEP_1) | instskip(NEXT) | instid1(VALU_DEP_1)
	v_div_scale_f32 v37, null, v36, v36, 1.0
	v_rcp_f32_e32 v38, v37
	v_nop
	s_delay_alu instid0(TRANS32_DEP_1) | instskip(NEXT) | instid1(VALU_DEP_1)
	v_fma_f32 v39, -v37, v38, 1.0
	v_fmac_f32_e32 v38, v39, v38
	v_div_scale_f32 v39, vcc_lo, 1.0, v36, 1.0
	s_delay_alu instid0(VALU_DEP_1) | instskip(NEXT) | instid1(VALU_DEP_1)
	v_mul_f32_e32 v40, v39, v38
	v_fma_f32 v41, -v37, v40, v39
	s_delay_alu instid0(VALU_DEP_1) | instskip(NEXT) | instid1(VALU_DEP_1)
	v_fmac_f32_e32 v40, v41, v38
	v_fma_f32 v37, -v37, v40, v39
	s_delay_alu instid0(VALU_DEP_1) | instskip(NEXT) | instid1(VALU_DEP_1)
	v_div_fmas_f32 v37, v37, v38, v40
	v_div_fixup_f32 v38, v37, v36, 1.0
	s_delay_alu instid0(VALU_DEP_1)
	v_mul_f32_e64 v39, v4, -v38
.LBB65_79:                              ;   in Loop: Header=BB65_3 Depth=1
	s_or_b32 exec_lo, exec_lo, s73
	ds_store_b64 v80, v[38:39]
.LBB65_80:                              ;   in Loop: Header=BB65_3 Depth=1
	s_or_b32 exec_lo, exec_lo, s69
.LBB65_81:                              ;   in Loop: Header=BB65_3 Depth=1
	s_and_not1_saveexec_b32 s68, s68
	s_cbranch_execz .LBB65_83
; %bb.82:                               ;   in Loop: Header=BB65_3 Depth=1
	v_lshl_add_u64 v[36:37], v[20:21], 3, s[66:67]
	global_load_b64 v[36:37], v[36:37], off
	s_wait_loadcnt 0x0
	s_wait_xcnt 0x0
	v_pk_add_f32 v[36:37], v[36:37], 0 neg_lo:[1,1] neg_hi:[1,1]
	ds_store_b64 v80, v[36:37]
.LBB65_83:                              ;   in Loop: Header=BB65_3 Depth=1
	s_or_b32 exec_lo, exec_lo, s68
.LBB65_84:                              ;   in Loop: Header=BB65_3 Depth=1
	s_delay_alu instid0(SALU_CYCLE_1)
	s_and_not1_b32 vcc_lo, exec_lo, s95
	s_wait_storecnt_dscnt 0x0
	s_barrier_signal -1
	s_barrier_wait -1
	s_cbranch_vccnz .LBB65_1006
; %bb.85:                               ;   in Loop: Header=BB65_3 Depth=1
	s_and_saveexec_b32 s66, s14
	s_cbranch_execz .LBB65_87
; %bb.86:                               ;   in Loop: Header=BB65_3 Depth=1
	v_add_nc_u32_e64 v4, 0x1f0, 0
	ds_load_b64 v[40:41], v5 offset:32760
	ds_load_2addr_stride64_b64 v[36:39], v4 offset0:62 offset1:63
	s_wait_dscnt 0x0
	v_dual_mul_f32 v93, v41, v37 :: v_dual_mul_f32 v4, v40, v37
	s_delay_alu instid0(VALU_DEP_1) | instskip(NEXT) | instid1(VALU_DEP_1)
	v_xor_b32_e32 v94, 0x80000000, v93
	v_dual_fmac_f32 v4, v41, v36 :: v_dual_fmac_f32 v94, v40, v36
	s_delay_alu instid0(VALU_DEP_1) | instskip(SKIP_1) | instid1(VALU_DEP_2)
	v_pk_mul_f32 v[36:37], v[4:5], v[38:39] op_sel:[0,1] op_sel_hi:[0,0]
	v_add_nc_u32_e64 v4, 0x7800, 0
	v_pk_fma_f32 v[40:41], v[94:95], v[38:39], v[36:37] op_sel_hi:[0,1,1]
	v_pk_fma_f32 v[36:37], v[94:95], v[38:39], v[36:37] neg_lo:[0,0,1] neg_hi:[0,0,1]
	s_delay_alu instid0(VALU_DEP_2)
	v_mov_b32_e32 v37, v41
	ds_store_2addr_b64 v4, v[36:37], v[36:37] offset0:191 offset1:254
.LBB65_87:                              ;   in Loop: Header=BB65_3 Depth=1
	s_or_b32 exec_lo, exec_lo, s66
	v_dual_mov_b32 v36, 0 :: v_dual_mov_b32 v37, 0
	s_wait_dscnt 0x0
	s_barrier_signal -1
	s_barrier_wait -1
	global_wb scope:SCOPE_DEV
	s_wait_storecnt 0x0
	global_inv scope:SCOPE_DEV
	s_and_saveexec_b32 s66, s0
	s_cbranch_execz .LBB65_91
; %bb.88:                               ;   in Loop: Header=BB65_3 Depth=1
	ds_load_b64 v[36:37], v44 offset:32224
	ds_load_b64 v[38:39], v45 offset:32752
	s_wait_dscnt 0x0
	v_pk_mul_f32 v[40:41], v[38:39], v[36:37] op_sel:[1,1] op_sel_hi:[0,1]
	s_delay_alu instid0(VALU_DEP_1) | instskip(SKIP_1) | instid1(VALU_DEP_2)
	v_pk_fma_f32 v[94:95], v[38:39], v[36:37], v[40:41] op_sel_hi:[1,0,1]
	v_pk_fma_f32 v[36:37], v[38:39], v[36:37], v[40:41] neg_lo:[0,0,1] neg_hi:[0,0,1]
	v_mov_b32_e32 v37, v95
	s_delay_alu instid0(VALU_DEP_1)
	v_pk_add_f32 v[36:37], v[36:37], 0 op_sel_hi:[1,0]
	s_and_saveexec_b32 s67, s15
	s_cbranch_execz .LBB65_90
; %bb.89:                               ;   in Loop: Header=BB65_3 Depth=1
	ds_load_b64 v[38:39], v46 offset:32736
	ds_load_b64 v[40:41], v5 offset:32760
	s_wait_dscnt 0x0
	v_pk_mul_f32 v[94:95], v[40:41], v[38:39] op_sel:[1,1] op_sel_hi:[0,1]
	s_delay_alu instid0(VALU_DEP_1) | instskip(SKIP_1) | instid1(VALU_DEP_2)
	v_pk_fma_f32 v[96:97], v[40:41], v[38:39], v[94:95] op_sel_hi:[1,0,1]
	v_pk_fma_f32 v[38:39], v[40:41], v[38:39], v[94:95] neg_lo:[0,0,1] neg_hi:[0,0,1]
	v_mov_b32_e32 v39, v97
	s_delay_alu instid0(VALU_DEP_1)
	v_pk_add_f32 v[36:37], v[36:37], v[38:39]
.LBB65_90:                              ;   in Loop: Header=BB65_3 Depth=1
	s_or_b32 exec_lo, exec_lo, s67
.LBB65_91:                              ;   in Loop: Header=BB65_3 Depth=1
	s_delay_alu instid0(SALU_CYCLE_1)
	s_or_b32 exec_lo, exec_lo, s66
	s_and_saveexec_b32 s66, s96
	s_cbranch_execz .LBB65_93
; %bb.92:                               ;   in Loop: Header=BB65_3 Depth=1
	ds_load_b64 v[38:39], v5 offset:31720
	s_wait_dscnt 0x0
	v_pk_mul_f32 v[40:41], v[36:37], v[38:39] op_sel:[1,1] op_sel_hi:[1,0]
	s_delay_alu instid0(VALU_DEP_1) | instskip(SKIP_1) | instid1(VALU_DEP_2)
	v_pk_fma_f32 v[94:95], v[36:37], v[38:39], v[40:41] op_sel_hi:[0,1,1]
	v_pk_fma_f32 v[36:37], v[36:37], v[38:39], v[40:41] neg_lo:[0,0,1] neg_hi:[0,0,1]
	v_mov_b32_e32 v37, v95
	s_delay_alu instid0(VALU_DEP_1)
	v_pk_add_f32 v[38:39], v[36:37], 0 neg_lo:[1,1] neg_hi:[1,1]
	ds_store_b64 v3, v[38:39]
.LBB65_93:                              ;   in Loop: Header=BB65_3 Depth=1
	s_or_b32 exec_lo, exec_lo, s66
	s_wait_loadcnt_dscnt 0x0
	s_barrier_signal -1
	s_barrier_wait -1
	s_and_saveexec_b32 s66, s97
	s_cbranch_execz .LBB65_95
; %bb.94:                               ;   in Loop: Header=BB65_3 Depth=1
	ds_load_b64 v[38:39], v5 offset:31712
	ds_load_b64 v[40:41], v3
	s_wait_dscnt 0x0
	v_pk_mul_f32 v[94:95], v[40:41], v[38:39] op_sel:[1,1] op_sel_hi:[0,1]
	s_delay_alu instid0(VALU_DEP_1) | instskip(SKIP_1) | instid1(VALU_DEP_2)
	v_pk_fma_f32 v[96:97], v[40:41], v[38:39], v[94:95] op_sel_hi:[1,0,1]
	v_pk_fma_f32 v[38:39], v[40:41], v[38:39], v[94:95] neg_lo:[0,0,1] neg_hi:[0,0,1]
	v_mov_b32_e32 v39, v97
	s_delay_alu instid0(VALU_DEP_1)
	v_pk_add_f32 v[36:37], v[36:37], v[38:39] neg_lo:[0,1] neg_hi:[0,1]
.LBB65_95:                              ;   in Loop: Header=BB65_3 Depth=1
	s_or_b32 exec_lo, exec_lo, s66
	s_barrier_signal -1
	s_barrier_wait -1
	s_and_saveexec_b32 s66, s97
	s_cbranch_execz .LBB65_97
; %bb.96:                               ;   in Loop: Header=BB65_3 Depth=1
	ds_load_b64 v[38:39], v5 offset:31200
	s_wait_dscnt 0x0
	v_pk_mul_f32 v[40:41], v[36:37], v[38:39] op_sel:[1,1] op_sel_hi:[1,0]
	s_delay_alu instid0(VALU_DEP_1) | instskip(SKIP_1) | instid1(VALU_DEP_2)
	v_pk_fma_f32 v[94:95], v[36:37], v[38:39], v[40:41] op_sel_hi:[0,1,1]
	v_pk_fma_f32 v[36:37], v[36:37], v[38:39], v[40:41] neg_lo:[0,0,1] neg_hi:[0,0,1]
	v_mov_b32_e32 v37, v95
	s_delay_alu instid0(VALU_DEP_1)
	v_pk_add_f32 v[38:39], v[36:37], 0 neg_lo:[1,1] neg_hi:[1,1]
	ds_store_b64 v3, v[38:39]
.LBB65_97:                              ;   in Loop: Header=BB65_3 Depth=1
	s_or_b32 exec_lo, exec_lo, s66
	s_wait_dscnt 0x0
	s_barrier_signal -1
	s_barrier_wait -1
	s_barrier_signal -1
	s_barrier_wait -1
	s_and_saveexec_b32 s66, s0
; %bb.98:                               ;   in Loop: Header=BB65_3 Depth=1
	ds_store_b64 v47, v[36:37] offset:32736
; %bb.99:                               ;   in Loop: Header=BB65_3 Depth=1
	s_or_b32 exec_lo, exec_lo, s66
	s_wait_dscnt 0x0
	s_barrier_signal -1
	s_barrier_wait -1
	s_barrier_signal -1
	s_barrier_wait -1
	s_and_saveexec_b32 s66, s98
	s_cbranch_execz .LBB65_101
; %bb.100:                              ;   in Loop: Header=BB65_3 Depth=1
	ds_load_b64 v[36:37], v48 offset:32224
	s_wait_dscnt 0x0
	ds_store_b64 v46, v[36:37] offset:31216
	ds_load_b64 v[36:37], v48 offset:32232
	s_wait_dscnt 0x0
	ds_store_b64 v46, v[36:37] offset:31728
.LBB65_101:                             ;   in Loop: Header=BB65_3 Depth=1
	s_or_b32 exec_lo, exec_lo, s66
	s_wait_dscnt 0x0
	s_barrier_signal -1
	s_barrier_wait -1
	s_and_saveexec_b32 s66, s14
	s_cbranch_execz .LBB65_103
; %bb.102:                              ;   in Loop: Header=BB65_3 Depth=1
	v_add_nc_u32_e64 v4, 0x1e0, 0
	ds_load_b64 v[40:41], v5 offset:31720
	ds_load_2addr_stride64_b64 v[36:39], v4 offset0:60 offset1:61
	s_wait_dscnt 0x0
	v_dual_mul_f32 v93, v41, v37 :: v_dual_mul_f32 v4, v40, v37
	s_delay_alu instid0(VALU_DEP_1) | instskip(NEXT) | instid1(VALU_DEP_1)
	v_xor_b32_e32 v94, 0x80000000, v93
	v_dual_fmac_f32 v4, v41, v36 :: v_dual_fmac_f32 v94, v40, v36
	s_delay_alu instid0(VALU_DEP_1) | instskip(SKIP_1) | instid1(VALU_DEP_2)
	v_pk_mul_f32 v[36:37], v[4:5], v[38:39] op_sel:[0,1] op_sel_hi:[0,0]
	v_add_nc_u32_e64 v4, 0x7800, 0
	v_pk_fma_f32 v[40:41], v[94:95], v[38:39], v[36:37] op_sel_hi:[0,1,1]
	v_pk_fma_f32 v[36:37], v[94:95], v[38:39], v[36:37] neg_lo:[0,0,1] neg_hi:[0,0,1]
	s_delay_alu instid0(VALU_DEP_2)
	v_mov_b32_e32 v37, v41
	ds_store_2addr_b64 v4, v[36:37], v[36:37] offset0:61 offset1:124
.LBB65_103:                             ;   in Loop: Header=BB65_3 Depth=1
	s_or_b32 exec_lo, exec_lo, s66
	v_mov_b64_e32 v[36:37], 0
	s_wait_dscnt 0x0
	s_barrier_signal -1
	s_barrier_wait -1
	global_wb scope:SCOPE_DEV
	s_wait_storecnt 0x0
	global_inv scope:SCOPE_DEV
	s_and_saveexec_b32 s66, s2
	s_cbranch_execz .LBB65_109
; %bb.104:                              ;   in Loop: Header=BB65_3 Depth=1
	ds_load_b64 v[36:37], v50 offset:31168
	ds_load_b64 v[38:39], v51 offset:32736
	s_wait_dscnt 0x0
	v_dual_mul_f32 v4, v39, v37 :: v_dual_mul_f32 v37, v38, v37
	s_delay_alu instid0(VALU_DEP_1) | instskip(NEXT) | instid1(VALU_DEP_1)
	v_dual_fma_f32 v4, v38, v36, -v4 :: v_dual_fmac_f32 v37, v39, v36
	v_dual_add_f32 v36, 0, v4 :: v_dual_add_f32 v37, 0, v37
	s_and_saveexec_b32 s67, s16
	s_cbranch_execnz .LBB65_1110
; %bb.105:                              ;   in Loop: Header=BB65_3 Depth=1
	s_or_b32 exec_lo, exec_lo, s67
	s_and_saveexec_b32 s67, s17
	s_cbranch_execnz .LBB65_1111
.LBB65_106:                             ;   in Loop: Header=BB65_3 Depth=1
	s_or_b32 exec_lo, exec_lo, s67
	s_and_saveexec_b32 s67, s0
	s_cbranch_execz .LBB65_108
.LBB65_107:                             ;   in Loop: Header=BB65_3 Depth=1
	ds_load_b64 v[38:39], v53 offset:32704
	ds_load_b64 v[40:41], v5 offset:32760
	s_wait_dscnt 0x0
	v_dual_mul_f32 v4, v41, v39 :: v_dual_mul_f32 v39, v40, v39
	s_delay_alu instid0(VALU_DEP_1) | instskip(NEXT) | instid1(VALU_DEP_1)
	v_dual_fma_f32 v4, v40, v38, -v4 :: v_dual_fmac_f32 v39, v41, v38
	v_dual_add_f32 v36, v36, v4 :: v_dual_add_f32 v37, v37, v39
.LBB65_108:                             ;   in Loop: Header=BB65_3 Depth=1
	s_or_b32 exec_lo, exec_lo, s67
.LBB65_109:                             ;   in Loop: Header=BB65_3 Depth=1
	s_delay_alu instid0(SALU_CYCLE_1)
	s_or_b32 exec_lo, exec_lo, s66
	s_and_saveexec_b32 s66, s99
	s_cbranch_execz .LBB65_111
; %bb.110:                              ;   in Loop: Header=BB65_3 Depth=1
	ds_load_b64 v[38:39], v5 offset:30680
	s_wait_dscnt 0x0
	v_dual_mul_f32 v4, v37, v38 :: v_dual_mul_f32 v40, v37, v39
	s_delay_alu instid0(VALU_DEP_1) | instskip(NEXT) | instid1(VALU_DEP_2)
	v_pk_fma_f32 v[94:95], v[36:37], v[38:39], v[4:5] op_sel:[1,0,0] op_sel_hi:[0,1,0]
	v_pk_fma_f32 v[36:37], v[36:37], v[38:39], v[40:41] op_sel_hi:[1,1,0] neg_lo:[0,0,1] neg_hi:[0,0,1]
	s_delay_alu instid0(VALU_DEP_2) | instskip(NEXT) | instid1(VALU_DEP_1)
	v_mov_b32_e32 v37, v95
	v_pk_add_f32 v[38:39], v[36:37], 0 neg_lo:[1,1] neg_hi:[1,1]
	ds_store_b64 v49, v[38:39]
.LBB65_111:                             ;   in Loop: Header=BB65_3 Depth=1
	s_or_b32 exec_lo, exec_lo, s66
	s_wait_loadcnt_dscnt 0x0
	s_barrier_signal -1
	s_barrier_wait -1
	s_and_saveexec_b32 s66, s100
	s_cbranch_execz .LBB65_113
; %bb.112:                              ;   in Loop: Header=BB65_3 Depth=1
	ds_load_b64 v[38:39], v50 offset:30656
	ds_load_b64 v[40:41], v49
	s_wait_dscnt 0x0
	v_pk_mul_f32 v[94:95], v[40:41], v[38:39] op_sel:[1,1] op_sel_hi:[0,1]
	s_delay_alu instid0(VALU_DEP_1) | instskip(SKIP_1) | instid1(VALU_DEP_2)
	v_pk_fma_f32 v[96:97], v[40:41], v[38:39], v[94:95] op_sel_hi:[1,0,1]
	v_pk_fma_f32 v[38:39], v[40:41], v[38:39], v[94:95] neg_lo:[0,0,1] neg_hi:[0,0,1]
	v_mov_b32_e32 v39, v97
	s_delay_alu instid0(VALU_DEP_1)
	v_pk_add_f32 v[36:37], v[36:37], v[38:39] neg_lo:[0,1] neg_hi:[0,1]
.LBB65_113:                             ;   in Loop: Header=BB65_3 Depth=1
	s_or_b32 exec_lo, exec_lo, s66
	s_barrier_signal -1
	s_barrier_wait -1
	s_and_saveexec_b32 s66, s101
	s_cbranch_execz .LBB65_115
; %bb.114:                              ;   in Loop: Header=BB65_3 Depth=1
	ds_load_b64 v[38:39], v5 offset:30160
	s_wait_dscnt 0x0
	v_pk_mul_f32 v[40:41], v[36:37], v[38:39] op_sel:[1,1] op_sel_hi:[1,0]
	s_delay_alu instid0(VALU_DEP_1) | instskip(SKIP_1) | instid1(VALU_DEP_2)
	v_pk_fma_f32 v[94:95], v[36:37], v[38:39], v[40:41] op_sel_hi:[0,1,1]
	v_pk_fma_f32 v[36:37], v[36:37], v[38:39], v[40:41] neg_lo:[0,0,1] neg_hi:[0,0,1]
	v_mov_b32_e32 v37, v95
	s_delay_alu instid0(VALU_DEP_1)
	v_pk_add_f32 v[38:39], v[36:37], 0 neg_lo:[1,1] neg_hi:[1,1]
	ds_store_b64 v49, v[38:39]
.LBB65_115:                             ;   in Loop: Header=BB65_3 Depth=1
	s_or_b32 exec_lo, exec_lo, s66
	s_wait_dscnt 0x0
	s_barrier_signal -1
	s_barrier_wait -1
	s_and_saveexec_b32 s66, s102
	s_cbranch_execz .LBB65_117
; %bb.116:                              ;   in Loop: Header=BB65_3 Depth=1
	ds_load_b64 v[38:39], v50 offset:30144
	ds_load_b64 v[40:41], v49
	s_wait_dscnt 0x0
	v_pk_mul_f32 v[94:95], v[40:41], v[38:39] op_sel:[1,1] op_sel_hi:[0,1]
	s_delay_alu instid0(VALU_DEP_1) | instskip(SKIP_1) | instid1(VALU_DEP_2)
	v_pk_fma_f32 v[96:97], v[40:41], v[38:39], v[94:95] op_sel_hi:[1,0,1]
	v_pk_fma_f32 v[38:39], v[40:41], v[38:39], v[94:95] neg_lo:[0,0,1] neg_hi:[0,0,1]
	v_mov_b32_e32 v39, v97
	s_delay_alu instid0(VALU_DEP_1)
	v_pk_add_f32 v[36:37], v[36:37], v[38:39] neg_lo:[0,1] neg_hi:[0,1]
.LBB65_117:                             ;   in Loop: Header=BB65_3 Depth=1
	s_or_b32 exec_lo, exec_lo, s66
	s_barrier_signal -1
	s_barrier_wait -1
	s_and_saveexec_b32 s66, s103
	s_cbranch_execz .LBB65_119
; %bb.118:                              ;   in Loop: Header=BB65_3 Depth=1
	ds_load_b64 v[38:39], v5 offset:29640
	s_wait_dscnt 0x0
	v_pk_mul_f32 v[40:41], v[36:37], v[38:39] op_sel:[1,1] op_sel_hi:[1,0]
	s_delay_alu instid0(VALU_DEP_1) | instskip(SKIP_1) | instid1(VALU_DEP_2)
	v_pk_fma_f32 v[94:95], v[36:37], v[38:39], v[40:41] op_sel_hi:[0,1,1]
	v_pk_fma_f32 v[36:37], v[36:37], v[38:39], v[40:41] neg_lo:[0,0,1] neg_hi:[0,0,1]
	v_mov_b32_e32 v37, v95
	s_delay_alu instid0(VALU_DEP_1)
	v_pk_add_f32 v[38:39], v[36:37], 0 neg_lo:[1,1] neg_hi:[1,1]
	ds_store_b64 v49, v[38:39]
.LBB65_119:                             ;   in Loop: Header=BB65_3 Depth=1
	s_or_b32 exec_lo, exec_lo, s66
	s_wait_dscnt 0x0
	;; [unrolled: 35-line block ×3, first 2 shown]
	s_barrier_signal -1
	s_barrier_wait -1
	s_barrier_signal -1
	s_barrier_wait -1
	s_and_saveexec_b32 s66, s2
; %bb.124:                              ;   in Loop: Header=BB65_3 Depth=1
	ds_store_b64 v54, v[36:37] offset:32704
; %bb.125:                              ;   in Loop: Header=BB65_3 Depth=1
	s_or_b32 exec_lo, exec_lo, s66
	s_wait_dscnt 0x0
	s_barrier_signal -1
	s_barrier_wait -1
	s_barrier_signal -1
	s_barrier_wait -1
	s_and_saveexec_b32 s66, vcc_hi
	s_cbranch_execz .LBB65_127
; %bb.126:                              ;   in Loop: Header=BB65_3 Depth=1
	ds_load_b64 v[36:37], v55 offset:31168
	s_wait_dscnt 0x0
	ds_store_b64 v68, v[36:37] offset:29152
	ds_load_b64 v[36:37], v55 offset:31176
	s_wait_dscnt 0x0
	ds_store_b64 v68, v[36:37] offset:29664
	;; [unrolled: 3-line block ×4, first 2 shown]
.LBB65_127:                             ;   in Loop: Header=BB65_3 Depth=1
	s_or_b32 exec_lo, exec_lo, s66
	s_wait_dscnt 0x0
	s_barrier_signal -1
	s_barrier_wait -1
	s_and_saveexec_b32 s66, s14
	s_cbranch_execz .LBB65_129
; %bb.128:                              ;   in Loop: Header=BB65_3 Depth=1
	v_add_nc_u32_e64 v4, 0x1d0, 0
	ds_load_b64 v[40:41], v5 offset:30680
	ds_load_2addr_stride64_b64 v[36:39], v4 offset0:58 offset1:59
	s_wait_dscnt 0x0
	v_dual_mul_f32 v93, v41, v37 :: v_dual_mul_f32 v4, v40, v37
	s_delay_alu instid0(VALU_DEP_1) | instskip(NEXT) | instid1(VALU_DEP_1)
	v_xor_b32_e32 v94, 0x80000000, v93
	v_dual_fmac_f32 v4, v41, v36 :: v_dual_fmac_f32 v94, v40, v36
	s_delay_alu instid0(VALU_DEP_1) | instskip(SKIP_1) | instid1(VALU_DEP_2)
	v_pk_mul_f32 v[36:37], v[4:5], v[38:39] op_sel:[0,1] op_sel_hi:[0,0]
	v_add_nc_u32_e64 v4, 0x7000, 0
	v_pk_fma_f32 v[40:41], v[94:95], v[38:39], v[36:37] op_sel_hi:[0,1,1]
	v_pk_fma_f32 v[36:37], v[94:95], v[38:39], v[36:37] neg_lo:[0,0,1] neg_hi:[0,0,1]
	s_delay_alu instid0(VALU_DEP_2)
	v_mov_b32_e32 v37, v41
	ds_store_2addr_b64 v4, v[36:37], v[36:37] offset0:187 offset1:250
.LBB65_129:                             ;   in Loop: Header=BB65_3 Depth=1
	s_or_b32 exec_lo, exec_lo, s66
	v_dual_mov_b32 v36, 0 :: v_dual_mov_b32 v37, 0
	s_wait_dscnt 0x0
	s_barrier_signal -1
	s_barrier_wait -1
	global_wb scope:SCOPE_DEV
	s_wait_storecnt 0x0
	global_inv scope:SCOPE_DEV
	s_and_saveexec_b32 s66, s0
	s_cbranch_execz .LBB65_133
; %bb.130:                              ;   in Loop: Header=BB65_3 Depth=1
	ds_load_b64 v[36:37], v44 offset:30144
	ds_load_b64 v[38:39], v45 offset:30672
	s_wait_dscnt 0x0
	v_pk_mul_f32 v[40:41], v[38:39], v[36:37] op_sel:[1,1] op_sel_hi:[0,1]
	s_delay_alu instid0(VALU_DEP_1) | instskip(SKIP_1) | instid1(VALU_DEP_2)
	v_pk_fma_f32 v[94:95], v[38:39], v[36:37], v[40:41] op_sel_hi:[1,0,1]
	v_pk_fma_f32 v[36:37], v[38:39], v[36:37], v[40:41] neg_lo:[0,0,1] neg_hi:[0,0,1]
	v_mov_b32_e32 v37, v95
	s_delay_alu instid0(VALU_DEP_1)
	v_pk_add_f32 v[36:37], v[36:37], 0 op_sel_hi:[1,0]
	s_and_saveexec_b32 s67, s15
	s_cbranch_execz .LBB65_132
; %bb.131:                              ;   in Loop: Header=BB65_3 Depth=1
	ds_load_b64 v[38:39], v68 offset:30656
	ds_load_b64 v[40:41], v5 offset:30680
	s_wait_dscnt 0x0
	v_pk_mul_f32 v[94:95], v[40:41], v[38:39] op_sel:[1,1] op_sel_hi:[0,1]
	s_delay_alu instid0(VALU_DEP_1) | instskip(SKIP_1) | instid1(VALU_DEP_2)
	v_pk_fma_f32 v[96:97], v[40:41], v[38:39], v[94:95] op_sel_hi:[1,0,1]
	v_pk_fma_f32 v[38:39], v[40:41], v[38:39], v[94:95] neg_lo:[0,0,1] neg_hi:[0,0,1]
	v_mov_b32_e32 v39, v97
	s_delay_alu instid0(VALU_DEP_1)
	v_pk_add_f32 v[36:37], v[36:37], v[38:39]
.LBB65_132:                             ;   in Loop: Header=BB65_3 Depth=1
	s_or_b32 exec_lo, exec_lo, s67
.LBB65_133:                             ;   in Loop: Header=BB65_3 Depth=1
	s_delay_alu instid0(SALU_CYCLE_1)
	s_or_b32 exec_lo, exec_lo, s66
	s_and_saveexec_b32 s66, s96
	s_cbranch_execz .LBB65_135
; %bb.134:                              ;   in Loop: Header=BB65_3 Depth=1
	ds_load_b64 v[38:39], v5 offset:29640
	s_wait_dscnt 0x0
	v_pk_mul_f32 v[40:41], v[36:37], v[38:39] op_sel:[1,1] op_sel_hi:[1,0]
	s_delay_alu instid0(VALU_DEP_1) | instskip(SKIP_1) | instid1(VALU_DEP_2)
	v_pk_fma_f32 v[94:95], v[36:37], v[38:39], v[40:41] op_sel_hi:[0,1,1]
	v_pk_fma_f32 v[36:37], v[36:37], v[38:39], v[40:41] neg_lo:[0,0,1] neg_hi:[0,0,1]
	v_mov_b32_e32 v37, v95
	s_delay_alu instid0(VALU_DEP_1)
	v_pk_add_f32 v[38:39], v[36:37], 0 neg_lo:[1,1] neg_hi:[1,1]
	ds_store_b64 v3, v[38:39]
.LBB65_135:                             ;   in Loop: Header=BB65_3 Depth=1
	s_or_b32 exec_lo, exec_lo, s66
	s_wait_loadcnt_dscnt 0x0
	s_barrier_signal -1
	s_barrier_wait -1
	s_and_saveexec_b32 s66, s97
	s_cbranch_execz .LBB65_137
; %bb.136:                              ;   in Loop: Header=BB65_3 Depth=1
	ds_load_b64 v[38:39], v5 offset:29632
	ds_load_b64 v[40:41], v3
	s_wait_dscnt 0x0
	v_pk_mul_f32 v[94:95], v[40:41], v[38:39] op_sel:[1,1] op_sel_hi:[0,1]
	s_delay_alu instid0(VALU_DEP_1) | instskip(SKIP_1) | instid1(VALU_DEP_2)
	v_pk_fma_f32 v[96:97], v[40:41], v[38:39], v[94:95] op_sel_hi:[1,0,1]
	v_pk_fma_f32 v[38:39], v[40:41], v[38:39], v[94:95] neg_lo:[0,0,1] neg_hi:[0,0,1]
	v_mov_b32_e32 v39, v97
	s_delay_alu instid0(VALU_DEP_1)
	v_pk_add_f32 v[36:37], v[36:37], v[38:39] neg_lo:[0,1] neg_hi:[0,1]
.LBB65_137:                             ;   in Loop: Header=BB65_3 Depth=1
	s_or_b32 exec_lo, exec_lo, s66
	s_barrier_signal -1
	s_barrier_wait -1
	s_and_saveexec_b32 s66, s97
	s_cbranch_execz .LBB65_139
; %bb.138:                              ;   in Loop: Header=BB65_3 Depth=1
	ds_load_b64 v[38:39], v5 offset:29120
	s_wait_dscnt 0x0
	v_pk_mul_f32 v[40:41], v[36:37], v[38:39] op_sel:[1,1] op_sel_hi:[1,0]
	s_delay_alu instid0(VALU_DEP_1) | instskip(SKIP_1) | instid1(VALU_DEP_2)
	v_pk_fma_f32 v[94:95], v[36:37], v[38:39], v[40:41] op_sel_hi:[0,1,1]
	v_pk_fma_f32 v[36:37], v[36:37], v[38:39], v[40:41] neg_lo:[0,0,1] neg_hi:[0,0,1]
	v_mov_b32_e32 v37, v95
	s_delay_alu instid0(VALU_DEP_1)
	v_pk_add_f32 v[38:39], v[36:37], 0 neg_lo:[1,1] neg_hi:[1,1]
	ds_store_b64 v3, v[38:39]
.LBB65_139:                             ;   in Loop: Header=BB65_3 Depth=1
	s_or_b32 exec_lo, exec_lo, s66
	s_wait_dscnt 0x0
	s_barrier_signal -1
	s_barrier_wait -1
	s_barrier_signal -1
	s_barrier_wait -1
	s_and_saveexec_b32 s66, s0
; %bb.140:                              ;   in Loop: Header=BB65_3 Depth=1
	ds_store_b64 v47, v[36:37] offset:30656
; %bb.141:                              ;   in Loop: Header=BB65_3 Depth=1
	s_or_b32 exec_lo, exec_lo, s66
	s_wait_dscnt 0x0
	s_barrier_signal -1
	s_barrier_wait -1
	s_barrier_signal -1
	s_barrier_wait -1
	s_and_saveexec_b32 s66, s98
	s_cbranch_execz .LBB65_143
; %bb.142:                              ;   in Loop: Header=BB65_3 Depth=1
	ds_load_b64 v[36:37], v69 offset:30144
	s_wait_dscnt 0x0
	ds_store_b64 v68, v[36:37] offset:29136
	ds_load_b64 v[36:37], v69 offset:30152
	s_wait_dscnt 0x0
	ds_store_b64 v68, v[36:37] offset:29648
.LBB65_143:                             ;   in Loop: Header=BB65_3 Depth=1
	s_or_b32 exec_lo, exec_lo, s66
	s_wait_dscnt 0x0
	s_barrier_signal -1
	s_barrier_wait -1
	s_and_saveexec_b32 s66, s14
	s_cbranch_execz .LBB65_145
; %bb.144:                              ;   in Loop: Header=BB65_3 Depth=1
	v_add_nc_u32_e64 v4, 0x1c0, 0
	ds_load_b64 v[40:41], v5 offset:29640
	ds_load_2addr_stride64_b64 v[36:39], v4 offset0:56 offset1:57
	s_wait_dscnt 0x0
	v_dual_mul_f32 v93, v41, v37 :: v_dual_mul_f32 v4, v40, v37
	s_delay_alu instid0(VALU_DEP_1) | instskip(NEXT) | instid1(VALU_DEP_1)
	v_xor_b32_e32 v94, 0x80000000, v93
	v_dual_fmac_f32 v4, v41, v36 :: v_dual_fmac_f32 v94, v40, v36
	s_delay_alu instid0(VALU_DEP_1) | instskip(SKIP_1) | instid1(VALU_DEP_2)
	v_pk_mul_f32 v[36:37], v[4:5], v[38:39] op_sel:[0,1] op_sel_hi:[0,0]
	v_add_nc_u32_e64 v4, 0x7000, 0
	v_pk_fma_f32 v[40:41], v[94:95], v[38:39], v[36:37] op_sel_hi:[0,1,1]
	v_pk_fma_f32 v[36:37], v[94:95], v[38:39], v[36:37] neg_lo:[0,0,1] neg_hi:[0,0,1]
	s_delay_alu instid0(VALU_DEP_2)
	v_mov_b32_e32 v37, v41
	ds_store_2addr_b64 v4, v[36:37], v[36:37] offset0:57 offset1:120
.LBB65_145:                             ;   in Loop: Header=BB65_3 Depth=1
	s_or_b32 exec_lo, exec_lo, s66
	v_mov_b64_e32 v[36:37], 0
	s_wait_dscnt 0x0
	s_barrier_signal -1
	s_barrier_wait -1
	global_wb scope:SCOPE_DEV
	s_wait_storecnt 0x0
	global_inv scope:SCOPE_DEV
	s_and_saveexec_b32 s66, s3
	s_cbranch_execz .LBB65_155
; %bb.146:                              ;   in Loop: Header=BB65_3 Depth=1
	ds_load_b64 v[36:37], v57 offset:29056
	ds_load_b64 v[38:39], v58 offset:32704
	s_wait_dscnt 0x0
	v_dual_mul_f32 v4, v39, v37 :: v_dual_mul_f32 v37, v38, v37
	s_delay_alu instid0(VALU_DEP_1) | instskip(NEXT) | instid1(VALU_DEP_1)
	v_dual_fma_f32 v4, v38, v36, -v4 :: v_dual_fmac_f32 v37, v39, v36
	v_dual_add_f32 v36, 0, v4 :: v_dual_add_f32 v37, 0, v37
	s_and_saveexec_b32 s67, s18
	s_cbranch_execnz .LBB65_1112
; %bb.147:                              ;   in Loop: Header=BB65_3 Depth=1
	s_or_b32 exec_lo, exec_lo, s67
	s_and_saveexec_b32 s67, s19
	s_cbranch_execnz .LBB65_1113
.LBB65_148:                             ;   in Loop: Header=BB65_3 Depth=1
	s_or_b32 exec_lo, exec_lo, s67
	s_and_saveexec_b32 s67, s20
	s_cbranch_execnz .LBB65_1114
.LBB65_149:                             ;   in Loop: Header=BB65_3 Depth=1
	s_or_b32 exec_lo, exec_lo, s67
	s_and_saveexec_b32 s67, s21
	s_cbranch_execnz .LBB65_1115
.LBB65_150:                             ;   in Loop: Header=BB65_3 Depth=1
	s_or_b32 exec_lo, exec_lo, s67
	s_and_saveexec_b32 s67, s22
	s_cbranch_execnz .LBB65_1116
.LBB65_151:                             ;   in Loop: Header=BB65_3 Depth=1
	s_or_b32 exec_lo, exec_lo, s67
	s_and_saveexec_b32 s67, s2
	s_cbranch_execnz .LBB65_1117
.LBB65_152:                             ;   in Loop: Header=BB65_3 Depth=1
	s_or_b32 exec_lo, exec_lo, s67
	s_and_saveexec_b32 s67, s17
	s_cbranch_execz .LBB65_154
.LBB65_153:                             ;   in Loop: Header=BB65_3 Depth=1
	ds_load_b64 v[38:39], v70 offset:32640
	ds_load_b64 v[40:41], v5 offset:32760
	s_wait_dscnt 0x0
	v_dual_mul_f32 v4, v41, v39 :: v_dual_mul_f32 v95, v40, v39
	s_delay_alu instid0(VALU_DEP_1) | instskip(NEXT) | instid1(VALU_DEP_1)
	v_dual_fma_f32 v94, v40, v38, -v4 :: v_dual_fmac_f32 v95, v41, v38
	v_pk_add_f32 v[36:37], v[36:37], v[94:95]
.LBB65_154:                             ;   in Loop: Header=BB65_3 Depth=1
	s_or_b32 exec_lo, exec_lo, s67
.LBB65_155:                             ;   in Loop: Header=BB65_3 Depth=1
	s_delay_alu instid0(SALU_CYCLE_1)
	s_or_b32 exec_lo, exec_lo, s66
	s_and_saveexec_b32 s66, s39
	s_cbranch_execz .LBB65_157
; %bb.156:                              ;   in Loop: Header=BB65_3 Depth=1
	ds_load_b64 v[38:39], v5 offset:28600
	s_wait_dscnt 0x0
	v_pk_mul_f32 v[40:41], v[36:37], v[38:39] op_sel:[1,1] op_sel_hi:[1,0]
	s_delay_alu instid0(VALU_DEP_1) | instskip(SKIP_1) | instid1(VALU_DEP_2)
	v_pk_fma_f32 v[94:95], v[36:37], v[38:39], v[40:41] op_sel_hi:[0,1,1]
	v_pk_fma_f32 v[36:37], v[36:37], v[38:39], v[40:41] neg_lo:[0,0,1] neg_hi:[0,0,1]
	v_mov_b32_e32 v37, v95
	s_delay_alu instid0(VALU_DEP_1)
	v_pk_add_f32 v[38:39], v[36:37], 0 neg_lo:[1,1] neg_hi:[1,1]
	ds_store_b64 v56, v[38:39]
.LBB65_157:                             ;   in Loop: Header=BB65_3 Depth=1
	s_or_b32 exec_lo, exec_lo, s66
	s_wait_loadcnt_dscnt 0x0
	s_barrier_signal -1
	s_barrier_wait -1
	s_and_saveexec_b32 s66, s40
	s_cbranch_execz .LBB65_159
; %bb.158:                              ;   in Loop: Header=BB65_3 Depth=1
	ds_load_b64 v[38:39], v57 offset:28544
	ds_load_b64 v[40:41], v56
	s_wait_dscnt 0x0
	v_pk_mul_f32 v[94:95], v[40:41], v[38:39] op_sel:[1,1] op_sel_hi:[0,1]
	s_delay_alu instid0(VALU_DEP_1) | instskip(SKIP_1) | instid1(VALU_DEP_2)
	v_pk_fma_f32 v[96:97], v[40:41], v[38:39], v[94:95] op_sel_hi:[1,0,1]
	v_pk_fma_f32 v[38:39], v[40:41], v[38:39], v[94:95] neg_lo:[0,0,1] neg_hi:[0,0,1]
	v_mov_b32_e32 v39, v97
	s_delay_alu instid0(VALU_DEP_1)
	v_pk_add_f32 v[36:37], v[36:37], v[38:39] neg_lo:[0,1] neg_hi:[0,1]
.LBB65_159:                             ;   in Loop: Header=BB65_3 Depth=1
	s_or_b32 exec_lo, exec_lo, s66
	s_barrier_signal -1
	s_barrier_wait -1
	s_and_saveexec_b32 s66, s41
	s_cbranch_execz .LBB65_161
; %bb.160:                              ;   in Loop: Header=BB65_3 Depth=1
	ds_load_b64 v[38:39], v5 offset:28080
	s_wait_dscnt 0x0
	v_pk_mul_f32 v[40:41], v[36:37], v[38:39] op_sel:[1,1] op_sel_hi:[1,0]
	s_delay_alu instid0(VALU_DEP_1) | instskip(SKIP_1) | instid1(VALU_DEP_2)
	v_pk_fma_f32 v[94:95], v[36:37], v[38:39], v[40:41] op_sel_hi:[0,1,1]
	v_pk_fma_f32 v[36:37], v[36:37], v[38:39], v[40:41] neg_lo:[0,0,1] neg_hi:[0,0,1]
	v_mov_b32_e32 v37, v95
	s_delay_alu instid0(VALU_DEP_1)
	v_pk_add_f32 v[38:39], v[36:37], 0 neg_lo:[1,1] neg_hi:[1,1]
	ds_store_b64 v56, v[38:39]
.LBB65_161:                             ;   in Loop: Header=BB65_3 Depth=1
	s_or_b32 exec_lo, exec_lo, s66
	s_wait_dscnt 0x0
	s_barrier_signal -1
	s_barrier_wait -1
	s_and_saveexec_b32 s66, s42
	s_cbranch_execz .LBB65_163
; %bb.162:                              ;   in Loop: Header=BB65_3 Depth=1
	ds_load_b64 v[38:39], v57 offset:28032
	ds_load_b64 v[40:41], v56
	s_wait_dscnt 0x0
	v_pk_mul_f32 v[94:95], v[40:41], v[38:39] op_sel:[1,1] op_sel_hi:[0,1]
	s_delay_alu instid0(VALU_DEP_1) | instskip(SKIP_1) | instid1(VALU_DEP_2)
	v_pk_fma_f32 v[96:97], v[40:41], v[38:39], v[94:95] op_sel_hi:[1,0,1]
	v_pk_fma_f32 v[38:39], v[40:41], v[38:39], v[94:95] neg_lo:[0,0,1] neg_hi:[0,0,1]
	v_mov_b32_e32 v39, v97
	s_delay_alu instid0(VALU_DEP_1)
	v_pk_add_f32 v[36:37], v[36:37], v[38:39] neg_lo:[0,1] neg_hi:[0,1]
.LBB65_163:                             ;   in Loop: Header=BB65_3 Depth=1
	s_or_b32 exec_lo, exec_lo, s66
	s_barrier_signal -1
	s_barrier_wait -1
	s_and_saveexec_b32 s66, s43
	s_cbranch_execz .LBB65_165
; %bb.164:                              ;   in Loop: Header=BB65_3 Depth=1
	ds_load_b64 v[38:39], v5 offset:27560
	s_wait_dscnt 0x0
	v_pk_mul_f32 v[40:41], v[36:37], v[38:39] op_sel:[1,1] op_sel_hi:[1,0]
	s_delay_alu instid0(VALU_DEP_1) | instskip(SKIP_1) | instid1(VALU_DEP_2)
	v_pk_fma_f32 v[94:95], v[36:37], v[38:39], v[40:41] op_sel_hi:[0,1,1]
	v_pk_fma_f32 v[36:37], v[36:37], v[38:39], v[40:41] neg_lo:[0,0,1] neg_hi:[0,0,1]
	v_mov_b32_e32 v37, v95
	s_delay_alu instid0(VALU_DEP_1)
	v_pk_add_f32 v[38:39], v[36:37], 0 neg_lo:[1,1] neg_hi:[1,1]
	ds_store_b64 v56, v[38:39]
.LBB65_165:                             ;   in Loop: Header=BB65_3 Depth=1
	s_or_b32 exec_lo, exec_lo, s66
	s_wait_dscnt 0x0
	s_barrier_signal -1
	s_barrier_wait -1
	s_and_saveexec_b32 s66, s44
	s_cbranch_execz .LBB65_167
; %bb.166:                              ;   in Loop: Header=BB65_3 Depth=1
	ds_load_b64 v[38:39], v57 offset:27520
	ds_load_b64 v[40:41], v56
	s_wait_dscnt 0x0
	v_pk_mul_f32 v[94:95], v[40:41], v[38:39] op_sel:[1,1] op_sel_hi:[0,1]
	s_delay_alu instid0(VALU_DEP_1) | instskip(SKIP_1) | instid1(VALU_DEP_2)
	v_pk_fma_f32 v[96:97], v[40:41], v[38:39], v[94:95] op_sel_hi:[1,0,1]
	v_pk_fma_f32 v[38:39], v[40:41], v[38:39], v[94:95] neg_lo:[0,0,1] neg_hi:[0,0,1]
	v_mov_b32_e32 v39, v97
	s_delay_alu instid0(VALU_DEP_1)
	v_pk_add_f32 v[36:37], v[36:37], v[38:39] neg_lo:[0,1] neg_hi:[0,1]
.LBB65_167:                             ;   in Loop: Header=BB65_3 Depth=1
	s_or_b32 exec_lo, exec_lo, s66
	s_barrier_signal -1
	s_barrier_wait -1
	s_and_saveexec_b32 s66, s45
	s_cbranch_execz .LBB65_169
; %bb.168:                              ;   in Loop: Header=BB65_3 Depth=1
	ds_load_b64 v[38:39], v5 offset:27040
	s_wait_dscnt 0x0
	v_pk_mul_f32 v[40:41], v[36:37], v[38:39]
	v_pk_mul_f32 v[36:37], v[36:37], v[38:39] op_sel:[1,0] op_sel_hi:[0,1]
	s_delay_alu instid0(VALU_DEP_1) | instskip(NEXT) | instid1(VALU_DEP_3)
	v_dual_mov_b32 v38, v40 :: v_dual_mov_b32 v39, v36
	v_mov_b32_e32 v36, v41
	s_delay_alu instid0(VALU_DEP_1) | instskip(SKIP_1) | instid1(VALU_DEP_2)
	v_pk_add_f32 v[40:41], v[38:39], v[36:37]
	v_pk_add_f32 v[36:37], v[38:39], v[36:37] neg_lo:[0,1] neg_hi:[0,1]
	v_mov_b32_e32 v37, v41
	s_delay_alu instid0(VALU_DEP_1)
	v_pk_add_f32 v[38:39], v[36:37], 0 neg_lo:[1,1] neg_hi:[1,1]
	ds_store_b64 v56, v[38:39]
.LBB65_169:                             ;   in Loop: Header=BB65_3 Depth=1
	s_or_b32 exec_lo, exec_lo, s66
	s_wait_dscnt 0x0
	s_barrier_signal -1
	s_barrier_wait -1
	s_and_saveexec_b32 s66, s46
	s_cbranch_execz .LBB65_171
; %bb.170:                              ;   in Loop: Header=BB65_3 Depth=1
	ds_load_b64 v[38:39], v57 offset:27008
	ds_load_b64 v[40:41], v56
	s_wait_dscnt 0x0
	v_dual_mul_f32 v4, v41, v39 :: v_dual_mul_f32 v39, v40, v39
	s_delay_alu instid0(VALU_DEP_1) | instskip(NEXT) | instid1(VALU_DEP_1)
	v_dual_fma_f32 v4, v40, v38, -v4 :: v_dual_fmac_f32 v39, v41, v38
	v_dual_sub_f32 v36, v36, v4 :: v_dual_sub_f32 v37, v37, v39
.LBB65_171:                             ;   in Loop: Header=BB65_3 Depth=1
	s_or_b32 exec_lo, exec_lo, s66
	s_barrier_signal -1
	s_barrier_wait -1
	s_and_saveexec_b32 s66, s47
	s_cbranch_execz .LBB65_173
; %bb.172:                              ;   in Loop: Header=BB65_3 Depth=1
	ds_load_b64 v[38:39], v5 offset:26520
	s_wait_dscnt 0x0
	v_dual_mul_f32 v4, v37, v38 :: v_dual_mul_f32 v40, v37, v39
	s_delay_alu instid0(VALU_DEP_1) | instskip(NEXT) | instid1(VALU_DEP_2)
	v_pk_fma_f32 v[94:95], v[36:37], v[38:39], v[4:5] op_sel:[1,0,0] op_sel_hi:[0,1,0]
	v_pk_fma_f32 v[36:37], v[36:37], v[38:39], v[40:41] op_sel_hi:[1,1,0] neg_lo:[0,0,1] neg_hi:[0,0,1]
	s_delay_alu instid0(VALU_DEP_2) | instskip(NEXT) | instid1(VALU_DEP_1)
	v_mov_b32_e32 v37, v95
	v_pk_add_f32 v[38:39], v[36:37], 0 neg_lo:[1,1] neg_hi:[1,1]
	ds_store_b64 v56, v[38:39]
.LBB65_173:                             ;   in Loop: Header=BB65_3 Depth=1
	s_or_b32 exec_lo, exec_lo, s66
	s_wait_dscnt 0x0
	s_barrier_signal -1
	s_barrier_wait -1
	s_and_saveexec_b32 s66, s48
	s_cbranch_execz .LBB65_175
; %bb.174:                              ;   in Loop: Header=BB65_3 Depth=1
	ds_load_b64 v[38:39], v57 offset:26496
	ds_load_b64 v[40:41], v56
	s_wait_dscnt 0x0
	v_pk_mul_f32 v[94:95], v[40:41], v[38:39] op_sel:[1,1] op_sel_hi:[0,1]
	s_delay_alu instid0(VALU_DEP_1) | instskip(SKIP_1) | instid1(VALU_DEP_2)
	v_pk_fma_f32 v[96:97], v[40:41], v[38:39], v[94:95] op_sel_hi:[1,0,1]
	v_pk_fma_f32 v[38:39], v[40:41], v[38:39], v[94:95] neg_lo:[0,0,1] neg_hi:[0,0,1]
	v_mov_b32_e32 v39, v97
	s_delay_alu instid0(VALU_DEP_1)
	v_pk_add_f32 v[36:37], v[36:37], v[38:39] neg_lo:[0,1] neg_hi:[0,1]
.LBB65_175:                             ;   in Loop: Header=BB65_3 Depth=1
	s_or_b32 exec_lo, exec_lo, s66
	s_barrier_signal -1
	s_barrier_wait -1
	s_and_saveexec_b32 s66, s49
	s_cbranch_execz .LBB65_177
; %bb.176:                              ;   in Loop: Header=BB65_3 Depth=1
	ds_load_b64 v[38:39], v5 offset:26000
	s_wait_dscnt 0x0
	v_pk_mul_f32 v[40:41], v[36:37], v[38:39] op_sel:[1,1] op_sel_hi:[1,0]
	s_delay_alu instid0(VALU_DEP_1) | instskip(SKIP_1) | instid1(VALU_DEP_2)
	v_pk_fma_f32 v[94:95], v[36:37], v[38:39], v[40:41] op_sel_hi:[0,1,1]
	v_pk_fma_f32 v[36:37], v[36:37], v[38:39], v[40:41] neg_lo:[0,0,1] neg_hi:[0,0,1]
	v_mov_b32_e32 v37, v95
	s_delay_alu instid0(VALU_DEP_1)
	v_pk_add_f32 v[38:39], v[36:37], 0 neg_lo:[1,1] neg_hi:[1,1]
	ds_store_b64 v56, v[38:39]
.LBB65_177:                             ;   in Loop: Header=BB65_3 Depth=1
	s_or_b32 exec_lo, exec_lo, s66
	s_wait_dscnt 0x0
	s_barrier_signal -1
	s_barrier_wait -1
	s_and_saveexec_b32 s66, s50
	s_cbranch_execz .LBB65_179
; %bb.178:                              ;   in Loop: Header=BB65_3 Depth=1
	ds_load_b64 v[38:39], v57 offset:25984
	ds_load_b64 v[40:41], v56
	s_wait_dscnt 0x0
	v_pk_mul_f32 v[94:95], v[40:41], v[38:39] op_sel:[1,1] op_sel_hi:[0,1]
	s_delay_alu instid0(VALU_DEP_1) | instskip(SKIP_1) | instid1(VALU_DEP_2)
	v_pk_fma_f32 v[96:97], v[40:41], v[38:39], v[94:95] op_sel_hi:[1,0,1]
	v_pk_fma_f32 v[38:39], v[40:41], v[38:39], v[94:95] neg_lo:[0,0,1] neg_hi:[0,0,1]
	v_mov_b32_e32 v39, v97
	s_delay_alu instid0(VALU_DEP_1)
	v_pk_add_f32 v[36:37], v[36:37], v[38:39] neg_lo:[0,1] neg_hi:[0,1]
.LBB65_179:                             ;   in Loop: Header=BB65_3 Depth=1
	s_or_b32 exec_lo, exec_lo, s66
	s_barrier_signal -1
	s_barrier_wait -1
	s_and_saveexec_b32 s66, s51
	s_cbranch_execz .LBB65_181
; %bb.180:                              ;   in Loop: Header=BB65_3 Depth=1
	ds_load_b64 v[38:39], v5 offset:25480
	s_wait_dscnt 0x0
	v_pk_mul_f32 v[40:41], v[36:37], v[38:39] op_sel:[1,1] op_sel_hi:[1,0]
	s_delay_alu instid0(VALU_DEP_1) | instskip(SKIP_1) | instid1(VALU_DEP_2)
	v_pk_fma_f32 v[94:95], v[36:37], v[38:39], v[40:41] op_sel_hi:[0,1,1]
	v_pk_fma_f32 v[36:37], v[36:37], v[38:39], v[40:41] neg_lo:[0,0,1] neg_hi:[0,0,1]
	v_mov_b32_e32 v37, v95
	s_delay_alu instid0(VALU_DEP_1)
	v_pk_add_f32 v[38:39], v[36:37], 0 neg_lo:[1,1] neg_hi:[1,1]
	ds_store_b64 v56, v[38:39]
.LBB65_181:                             ;   in Loop: Header=BB65_3 Depth=1
	;; [unrolled: 35-line block ×3, first 2 shown]
	s_or_b32 exec_lo, exec_lo, s66
	s_wait_dscnt 0x0
	s_barrier_signal -1
	s_barrier_wait -1
	s_barrier_signal -1
	s_barrier_wait -1
	s_and_saveexec_b32 s66, s3
; %bb.186:                              ;   in Loop: Header=BB65_3 Depth=1
	ds_store_b64 v59, v[36:37] offset:32640
; %bb.187:                              ;   in Loop: Header=BB65_3 Depth=1
	s_or_b32 exec_lo, exec_lo, s66
	s_wait_dscnt 0x0
	s_barrier_signal -1
	s_barrier_wait -1
	s_barrier_signal -1
	s_barrier_wait -1
	s_and_saveexec_b32 s66, s53
	s_cbranch_execz .LBB65_189
; %bb.188:                              ;   in Loop: Header=BB65_3 Depth=1
	ds_load_b64 v[36:37], v72 offset:29056
	s_wait_dscnt 0x0
	ds_store_b64 v73, v[36:37] offset:25024
	ds_load_b64 v[36:37], v72 offset:29064
	s_wait_dscnt 0x0
	ds_store_b64 v73, v[36:37] offset:25536
	;; [unrolled: 3-line block ×8, first 2 shown]
.LBB65_189:                             ;   in Loop: Header=BB65_3 Depth=1
	s_or_b32 exec_lo, exec_lo, s66
	s_wait_dscnt 0x0
	s_barrier_signal -1
	s_barrier_wait -1
	s_and_saveexec_b32 s66, s14
	s_cbranch_execz .LBB65_191
; %bb.190:                              ;   in Loop: Header=BB65_3 Depth=1
	v_add_nc_u32_e64 v4, 0x1b0, 0
	ds_load_b64 v[40:41], v5 offset:28600
	ds_load_2addr_stride64_b64 v[36:39], v4 offset0:54 offset1:55
	s_wait_dscnt 0x0
	v_dual_mul_f32 v93, v41, v37 :: v_dual_mul_f32 v4, v40, v37
	s_delay_alu instid0(VALU_DEP_1) | instskip(NEXT) | instid1(VALU_DEP_1)
	v_xor_b32_e32 v94, 0x80000000, v93
	v_dual_fmac_f32 v4, v41, v36 :: v_dual_fmac_f32 v94, v40, v36
	s_delay_alu instid0(VALU_DEP_1) | instskip(SKIP_1) | instid1(VALU_DEP_2)
	v_pk_mul_f32 v[36:37], v[4:5], v[38:39] op_sel:[0,1] op_sel_hi:[0,0]
	v_add_nc_u32_e64 v4, 0x6800, 0
	v_pk_fma_f32 v[40:41], v[94:95], v[38:39], v[36:37] op_sel_hi:[0,1,1]
	v_pk_fma_f32 v[36:37], v[94:95], v[38:39], v[36:37] neg_lo:[0,0,1] neg_hi:[0,0,1]
	s_delay_alu instid0(VALU_DEP_2)
	v_mov_b32_e32 v37, v41
	ds_store_2addr_b64 v4, v[36:37], v[36:37] offset0:183 offset1:246
.LBB65_191:                             ;   in Loop: Header=BB65_3 Depth=1
	s_or_b32 exec_lo, exec_lo, s66
	v_dual_mov_b32 v36, 0 :: v_dual_mov_b32 v37, 0
	s_wait_dscnt 0x0
	s_barrier_signal -1
	s_barrier_wait -1
	global_wb scope:SCOPE_DEV
	s_wait_storecnt 0x0
	global_inv scope:SCOPE_DEV
	s_and_saveexec_b32 s66, s0
	s_cbranch_execz .LBB65_195
; %bb.192:                              ;   in Loop: Header=BB65_3 Depth=1
	ds_load_b64 v[36:37], v44 offset:28064
	ds_load_b64 v[38:39], v45 offset:28592
	s_wait_dscnt 0x0
	v_pk_mul_f32 v[40:41], v[38:39], v[36:37] op_sel:[1,1] op_sel_hi:[0,1]
	s_delay_alu instid0(VALU_DEP_1) | instskip(SKIP_1) | instid1(VALU_DEP_2)
	v_pk_fma_f32 v[94:95], v[38:39], v[36:37], v[40:41] op_sel_hi:[1,0,1]
	v_pk_fma_f32 v[36:37], v[38:39], v[36:37], v[40:41] neg_lo:[0,0,1] neg_hi:[0,0,1]
	v_mov_b32_e32 v37, v95
	s_delay_alu instid0(VALU_DEP_1)
	v_pk_add_f32 v[36:37], v[36:37], 0 op_sel_hi:[1,0]
	s_and_saveexec_b32 s67, s15
	s_cbranch_execz .LBB65_194
; %bb.193:                              ;   in Loop: Header=BB65_3 Depth=1
	ds_load_b64 v[38:39], v73 offset:28576
	ds_load_b64 v[40:41], v5 offset:28600
	s_wait_dscnt 0x0
	v_pk_mul_f32 v[94:95], v[40:41], v[38:39] op_sel:[1,1] op_sel_hi:[0,1]
	s_delay_alu instid0(VALU_DEP_1) | instskip(SKIP_1) | instid1(VALU_DEP_2)
	v_pk_fma_f32 v[96:97], v[40:41], v[38:39], v[94:95] op_sel_hi:[1,0,1]
	v_pk_fma_f32 v[38:39], v[40:41], v[38:39], v[94:95] neg_lo:[0,0,1] neg_hi:[0,0,1]
	v_mov_b32_e32 v39, v97
	s_delay_alu instid0(VALU_DEP_1)
	v_pk_add_f32 v[36:37], v[36:37], v[38:39]
.LBB65_194:                             ;   in Loop: Header=BB65_3 Depth=1
	s_or_b32 exec_lo, exec_lo, s67
.LBB65_195:                             ;   in Loop: Header=BB65_3 Depth=1
	s_delay_alu instid0(SALU_CYCLE_1)
	s_or_b32 exec_lo, exec_lo, s66
	s_and_saveexec_b32 s66, s96
	s_cbranch_execz .LBB65_197
; %bb.196:                              ;   in Loop: Header=BB65_3 Depth=1
	ds_load_b64 v[38:39], v5 offset:27560
	s_wait_dscnt 0x0
	v_pk_mul_f32 v[40:41], v[36:37], v[38:39] op_sel:[1,1] op_sel_hi:[1,0]
	s_delay_alu instid0(VALU_DEP_1) | instskip(SKIP_1) | instid1(VALU_DEP_2)
	v_pk_fma_f32 v[94:95], v[36:37], v[38:39], v[40:41] op_sel_hi:[0,1,1]
	v_pk_fma_f32 v[36:37], v[36:37], v[38:39], v[40:41] neg_lo:[0,0,1] neg_hi:[0,0,1]
	v_mov_b32_e32 v37, v95
	s_delay_alu instid0(VALU_DEP_1)
	v_pk_add_f32 v[38:39], v[36:37], 0 neg_lo:[1,1] neg_hi:[1,1]
	ds_store_b64 v3, v[38:39]
.LBB65_197:                             ;   in Loop: Header=BB65_3 Depth=1
	s_or_b32 exec_lo, exec_lo, s66
	s_wait_loadcnt_dscnt 0x0
	s_barrier_signal -1
	s_barrier_wait -1
	s_and_saveexec_b32 s66, s97
	s_cbranch_execz .LBB65_199
; %bb.198:                              ;   in Loop: Header=BB65_3 Depth=1
	ds_load_b64 v[38:39], v5 offset:27552
	ds_load_b64 v[40:41], v3
	s_wait_dscnt 0x0
	v_pk_mul_f32 v[94:95], v[40:41], v[38:39] op_sel:[1,1] op_sel_hi:[0,1]
	s_delay_alu instid0(VALU_DEP_1) | instskip(SKIP_1) | instid1(VALU_DEP_2)
	v_pk_fma_f32 v[96:97], v[40:41], v[38:39], v[94:95] op_sel_hi:[1,0,1]
	v_pk_fma_f32 v[38:39], v[40:41], v[38:39], v[94:95] neg_lo:[0,0,1] neg_hi:[0,0,1]
	v_mov_b32_e32 v39, v97
	s_delay_alu instid0(VALU_DEP_1)
	v_pk_add_f32 v[36:37], v[36:37], v[38:39] neg_lo:[0,1] neg_hi:[0,1]
.LBB65_199:                             ;   in Loop: Header=BB65_3 Depth=1
	s_or_b32 exec_lo, exec_lo, s66
	s_barrier_signal -1
	s_barrier_wait -1
	s_and_saveexec_b32 s66, s97
	s_cbranch_execz .LBB65_201
; %bb.200:                              ;   in Loop: Header=BB65_3 Depth=1
	ds_load_b64 v[38:39], v5 offset:27040
	s_wait_dscnt 0x0
	v_pk_mul_f32 v[40:41], v[36:37], v[38:39] op_sel:[1,1] op_sel_hi:[1,0]
	s_delay_alu instid0(VALU_DEP_1) | instskip(SKIP_1) | instid1(VALU_DEP_2)
	v_pk_fma_f32 v[94:95], v[36:37], v[38:39], v[40:41] op_sel_hi:[0,1,1]
	v_pk_fma_f32 v[36:37], v[36:37], v[38:39], v[40:41] neg_lo:[0,0,1] neg_hi:[0,0,1]
	v_mov_b32_e32 v37, v95
	s_delay_alu instid0(VALU_DEP_1)
	v_pk_add_f32 v[38:39], v[36:37], 0 neg_lo:[1,1] neg_hi:[1,1]
	ds_store_b64 v3, v[38:39]
.LBB65_201:                             ;   in Loop: Header=BB65_3 Depth=1
	s_or_b32 exec_lo, exec_lo, s66
	s_wait_dscnt 0x0
	s_barrier_signal -1
	s_barrier_wait -1
	s_barrier_signal -1
	s_barrier_wait -1
	s_and_saveexec_b32 s66, s0
; %bb.202:                              ;   in Loop: Header=BB65_3 Depth=1
	ds_store_b64 v47, v[36:37] offset:28576
; %bb.203:                              ;   in Loop: Header=BB65_3 Depth=1
	s_or_b32 exec_lo, exec_lo, s66
	s_wait_dscnt 0x0
	s_barrier_signal -1
	s_barrier_wait -1
	s_barrier_signal -1
	s_barrier_wait -1
	s_and_saveexec_b32 s66, s98
	s_cbranch_execz .LBB65_205
; %bb.204:                              ;   in Loop: Header=BB65_3 Depth=1
	ds_load_b64 v[36:37], v74 offset:28064
	s_wait_dscnt 0x0
	ds_store_b64 v73, v[36:37] offset:27056
	ds_load_b64 v[36:37], v74 offset:28072
	s_wait_dscnt 0x0
	ds_store_b64 v73, v[36:37] offset:27568
.LBB65_205:                             ;   in Loop: Header=BB65_3 Depth=1
	s_or_b32 exec_lo, exec_lo, s66
	s_wait_dscnt 0x0
	s_barrier_signal -1
	s_barrier_wait -1
	s_and_saveexec_b32 s66, s14
	s_cbranch_execz .LBB65_207
; %bb.206:                              ;   in Loop: Header=BB65_3 Depth=1
	v_add_nc_u32_e64 v4, 0x1a0, 0
	ds_load_b64 v[40:41], v5 offset:27560
	ds_load_2addr_stride64_b64 v[36:39], v4 offset0:52 offset1:53
	s_wait_dscnt 0x0
	v_dual_mul_f32 v93, v41, v37 :: v_dual_mul_f32 v4, v40, v37
	s_delay_alu instid0(VALU_DEP_1) | instskip(NEXT) | instid1(VALU_DEP_1)
	v_xor_b32_e32 v94, 0x80000000, v93
	v_dual_fmac_f32 v4, v41, v36 :: v_dual_fmac_f32 v94, v40, v36
	s_delay_alu instid0(VALU_DEP_1) | instskip(SKIP_1) | instid1(VALU_DEP_2)
	v_pk_mul_f32 v[36:37], v[4:5], v[38:39] op_sel:[0,1] op_sel_hi:[0,0]
	v_add_nc_u32_e64 v4, 0x6800, 0
	v_pk_fma_f32 v[40:41], v[94:95], v[38:39], v[36:37] op_sel_hi:[0,1,1]
	v_pk_fma_f32 v[36:37], v[94:95], v[38:39], v[36:37] neg_lo:[0,0,1] neg_hi:[0,0,1]
	s_delay_alu instid0(VALU_DEP_2)
	v_mov_b32_e32 v37, v41
	ds_store_2addr_b64 v4, v[36:37], v[36:37] offset0:53 offset1:116
.LBB65_207:                             ;   in Loop: Header=BB65_3 Depth=1
	s_or_b32 exec_lo, exec_lo, s66
	v_mov_b64_e32 v[36:37], 0
	s_wait_dscnt 0x0
	s_barrier_signal -1
	s_barrier_wait -1
	global_wb scope:SCOPE_DEV
	s_wait_storecnt 0x0
	global_inv scope:SCOPE_DEV
	s_and_saveexec_b32 s66, s2
	s_cbranch_execz .LBB65_213
; %bb.208:                              ;   in Loop: Header=BB65_3 Depth=1
	ds_load_b64 v[36:37], v50 offset:27008
	ds_load_b64 v[38:39], v51 offset:28576
	s_wait_dscnt 0x0
	v_dual_mul_f32 v4, v39, v37 :: v_dual_mul_f32 v37, v38, v37
	s_delay_alu instid0(VALU_DEP_1) | instskip(NEXT) | instid1(VALU_DEP_1)
	v_dual_fma_f32 v4, v38, v36, -v4 :: v_dual_fmac_f32 v37, v39, v36
	v_dual_add_f32 v36, 0, v4 :: v_dual_add_f32 v37, 0, v37
	s_and_saveexec_b32 s67, s16
	s_cbranch_execnz .LBB65_1118
; %bb.209:                              ;   in Loop: Header=BB65_3 Depth=1
	s_or_b32 exec_lo, exec_lo, s67
	s_and_saveexec_b32 s67, s17
	s_cbranch_execnz .LBB65_1119
.LBB65_210:                             ;   in Loop: Header=BB65_3 Depth=1
	s_or_b32 exec_lo, exec_lo, s67
	s_and_saveexec_b32 s67, s0
	s_cbranch_execz .LBB65_212
.LBB65_211:                             ;   in Loop: Header=BB65_3 Depth=1
	ds_load_b64 v[38:39], v75 offset:28544
	ds_load_b64 v[40:41], v5 offset:28600
	s_wait_dscnt 0x0
	v_dual_mul_f32 v4, v41, v39 :: v_dual_mul_f32 v39, v40, v39
	s_delay_alu instid0(VALU_DEP_1) | instskip(NEXT) | instid1(VALU_DEP_1)
	v_dual_fma_f32 v4, v40, v38, -v4 :: v_dual_fmac_f32 v39, v41, v38
	v_dual_add_f32 v36, v36, v4 :: v_dual_add_f32 v37, v37, v39
.LBB65_212:                             ;   in Loop: Header=BB65_3 Depth=1
	s_or_b32 exec_lo, exec_lo, s67
.LBB65_213:                             ;   in Loop: Header=BB65_3 Depth=1
	s_delay_alu instid0(SALU_CYCLE_1)
	s_or_b32 exec_lo, exec_lo, s66
	s_and_saveexec_b32 s66, s99
	s_cbranch_execz .LBB65_215
; %bb.214:                              ;   in Loop: Header=BB65_3 Depth=1
	ds_load_b64 v[38:39], v5 offset:26520
	s_wait_dscnt 0x0
	v_dual_mul_f32 v4, v37, v38 :: v_dual_mul_f32 v40, v37, v39
	s_delay_alu instid0(VALU_DEP_1) | instskip(NEXT) | instid1(VALU_DEP_2)
	v_pk_fma_f32 v[94:95], v[36:37], v[38:39], v[4:5] op_sel:[1,0,0] op_sel_hi:[0,1,0]
	v_pk_fma_f32 v[36:37], v[36:37], v[38:39], v[40:41] op_sel_hi:[1,1,0] neg_lo:[0,0,1] neg_hi:[0,0,1]
	s_delay_alu instid0(VALU_DEP_2) | instskip(NEXT) | instid1(VALU_DEP_1)
	v_mov_b32_e32 v37, v95
	v_pk_add_f32 v[38:39], v[36:37], 0 neg_lo:[1,1] neg_hi:[1,1]
	ds_store_b64 v49, v[38:39]
.LBB65_215:                             ;   in Loop: Header=BB65_3 Depth=1
	s_or_b32 exec_lo, exec_lo, s66
	s_wait_loadcnt_dscnt 0x0
	s_barrier_signal -1
	s_barrier_wait -1
	s_and_saveexec_b32 s66, s100
	s_cbranch_execz .LBB65_217
; %bb.216:                              ;   in Loop: Header=BB65_3 Depth=1
	ds_load_b64 v[38:39], v50 offset:26496
	ds_load_b64 v[40:41], v49
	s_wait_dscnt 0x0
	v_pk_mul_f32 v[94:95], v[40:41], v[38:39] op_sel:[1,1] op_sel_hi:[0,1]
	s_delay_alu instid0(VALU_DEP_1) | instskip(SKIP_1) | instid1(VALU_DEP_2)
	v_pk_fma_f32 v[96:97], v[40:41], v[38:39], v[94:95] op_sel_hi:[1,0,1]
	v_pk_fma_f32 v[38:39], v[40:41], v[38:39], v[94:95] neg_lo:[0,0,1] neg_hi:[0,0,1]
	v_mov_b32_e32 v39, v97
	s_delay_alu instid0(VALU_DEP_1)
	v_pk_add_f32 v[36:37], v[36:37], v[38:39] neg_lo:[0,1] neg_hi:[0,1]
.LBB65_217:                             ;   in Loop: Header=BB65_3 Depth=1
	s_or_b32 exec_lo, exec_lo, s66
	s_barrier_signal -1
	s_barrier_wait -1
	s_and_saveexec_b32 s66, s101
	s_cbranch_execz .LBB65_219
; %bb.218:                              ;   in Loop: Header=BB65_3 Depth=1
	ds_load_b64 v[38:39], v5 offset:26000
	s_wait_dscnt 0x0
	v_pk_mul_f32 v[40:41], v[36:37], v[38:39] op_sel:[1,1] op_sel_hi:[1,0]
	s_delay_alu instid0(VALU_DEP_1) | instskip(SKIP_1) | instid1(VALU_DEP_2)
	v_pk_fma_f32 v[94:95], v[36:37], v[38:39], v[40:41] op_sel_hi:[0,1,1]
	v_pk_fma_f32 v[36:37], v[36:37], v[38:39], v[40:41] neg_lo:[0,0,1] neg_hi:[0,0,1]
	v_mov_b32_e32 v37, v95
	s_delay_alu instid0(VALU_DEP_1)
	v_pk_add_f32 v[38:39], v[36:37], 0 neg_lo:[1,1] neg_hi:[1,1]
	ds_store_b64 v49, v[38:39]
.LBB65_219:                             ;   in Loop: Header=BB65_3 Depth=1
	s_or_b32 exec_lo, exec_lo, s66
	s_wait_dscnt 0x0
	s_barrier_signal -1
	s_barrier_wait -1
	s_and_saveexec_b32 s66, s102
	s_cbranch_execz .LBB65_221
; %bb.220:                              ;   in Loop: Header=BB65_3 Depth=1
	ds_load_b64 v[38:39], v50 offset:25984
	ds_load_b64 v[40:41], v49
	s_wait_dscnt 0x0
	v_pk_mul_f32 v[94:95], v[40:41], v[38:39] op_sel:[1,1] op_sel_hi:[0,1]
	s_delay_alu instid0(VALU_DEP_1) | instskip(SKIP_1) | instid1(VALU_DEP_2)
	v_pk_fma_f32 v[96:97], v[40:41], v[38:39], v[94:95] op_sel_hi:[1,0,1]
	v_pk_fma_f32 v[38:39], v[40:41], v[38:39], v[94:95] neg_lo:[0,0,1] neg_hi:[0,0,1]
	v_mov_b32_e32 v39, v97
	s_delay_alu instid0(VALU_DEP_1)
	v_pk_add_f32 v[36:37], v[36:37], v[38:39] neg_lo:[0,1] neg_hi:[0,1]
.LBB65_221:                             ;   in Loop: Header=BB65_3 Depth=1
	s_or_b32 exec_lo, exec_lo, s66
	s_barrier_signal -1
	s_barrier_wait -1
	s_and_saveexec_b32 s66, s103
	s_cbranch_execz .LBB65_223
; %bb.222:                              ;   in Loop: Header=BB65_3 Depth=1
	ds_load_b64 v[38:39], v5 offset:25480
	s_wait_dscnt 0x0
	v_pk_mul_f32 v[40:41], v[36:37], v[38:39] op_sel:[1,1] op_sel_hi:[1,0]
	s_delay_alu instid0(VALU_DEP_1) | instskip(SKIP_1) | instid1(VALU_DEP_2)
	v_pk_fma_f32 v[94:95], v[36:37], v[38:39], v[40:41] op_sel_hi:[0,1,1]
	v_pk_fma_f32 v[36:37], v[36:37], v[38:39], v[40:41] neg_lo:[0,0,1] neg_hi:[0,0,1]
	v_mov_b32_e32 v37, v95
	s_delay_alu instid0(VALU_DEP_1)
	v_pk_add_f32 v[38:39], v[36:37], 0 neg_lo:[1,1] neg_hi:[1,1]
	ds_store_b64 v49, v[38:39]
.LBB65_223:                             ;   in Loop: Header=BB65_3 Depth=1
	s_or_b32 exec_lo, exec_lo, s66
	s_wait_dscnt 0x0
	s_barrier_signal -1
	s_barrier_wait -1
	s_and_saveexec_b32 s66, s104
	s_cbranch_execz .LBB65_225
; %bb.224:                              ;   in Loop: Header=BB65_3 Depth=1
	ds_load_b64 v[38:39], v5 offset:25472
	ds_load_b64 v[40:41], v49
	s_wait_dscnt 0x0
	v_pk_mul_f32 v[94:95], v[40:41], v[38:39] op_sel:[1,1] op_sel_hi:[0,1]
	s_delay_alu instid0(VALU_DEP_1) | instskip(SKIP_1) | instid1(VALU_DEP_2)
	v_pk_fma_f32 v[96:97], v[40:41], v[38:39], v[94:95] op_sel_hi:[1,0,1]
	v_pk_fma_f32 v[38:39], v[40:41], v[38:39], v[94:95] neg_lo:[0,0,1] neg_hi:[0,0,1]
	v_mov_b32_e32 v39, v97
	s_delay_alu instid0(VALU_DEP_1)
	v_pk_add_f32 v[36:37], v[36:37], v[38:39] neg_lo:[0,1] neg_hi:[0,1]
.LBB65_225:                             ;   in Loop: Header=BB65_3 Depth=1
	s_or_b32 exec_lo, exec_lo, s66
	s_barrier_signal -1
	s_barrier_wait -1
	s_and_saveexec_b32 s66, s104
	s_cbranch_execz .LBB65_227
; %bb.226:                              ;   in Loop: Header=BB65_3 Depth=1
	ds_load_b64 v[38:39], v5 offset:24960
	s_wait_dscnt 0x0
	v_pk_mul_f32 v[40:41], v[36:37], v[38:39] op_sel:[1,1] op_sel_hi:[1,0]
	s_delay_alu instid0(VALU_DEP_1) | instskip(SKIP_1) | instid1(VALU_DEP_2)
	v_pk_fma_f32 v[94:95], v[36:37], v[38:39], v[40:41] op_sel_hi:[0,1,1]
	v_pk_fma_f32 v[36:37], v[36:37], v[38:39], v[40:41] neg_lo:[0,0,1] neg_hi:[0,0,1]
	v_mov_b32_e32 v37, v95
	s_delay_alu instid0(VALU_DEP_1)
	v_pk_add_f32 v[38:39], v[36:37], 0 neg_lo:[1,1] neg_hi:[1,1]
	ds_store_b64 v49, v[38:39]
.LBB65_227:                             ;   in Loop: Header=BB65_3 Depth=1
	s_or_b32 exec_lo, exec_lo, s66
	s_wait_dscnt 0x0
	s_barrier_signal -1
	s_barrier_wait -1
	s_barrier_signal -1
	s_barrier_wait -1
	s_and_saveexec_b32 s66, s2
; %bb.228:                              ;   in Loop: Header=BB65_3 Depth=1
	ds_store_b64 v54, v[36:37] offset:28544
; %bb.229:                              ;   in Loop: Header=BB65_3 Depth=1
	s_or_b32 exec_lo, exec_lo, s66
	s_wait_dscnt 0x0
	s_barrier_signal -1
	s_barrier_wait -1
	s_barrier_signal -1
	s_barrier_wait -1
	s_and_saveexec_b32 s66, vcc_hi
	s_cbranch_execz .LBB65_231
; %bb.230:                              ;   in Loop: Header=BB65_3 Depth=1
	ds_load_b64 v[36:37], v78 offset:27008
	s_wait_dscnt 0x0
	ds_store_b64 v81, v[36:37] offset:24992
	ds_load_b64 v[36:37], v78 offset:27016
	s_wait_dscnt 0x0
	ds_store_b64 v81, v[36:37] offset:25504
	;; [unrolled: 3-line block ×4, first 2 shown]
.LBB65_231:                             ;   in Loop: Header=BB65_3 Depth=1
	s_or_b32 exec_lo, exec_lo, s66
	s_wait_dscnt 0x0
	s_barrier_signal -1
	s_barrier_wait -1
	s_and_saveexec_b32 s66, s14
	s_cbranch_execz .LBB65_233
; %bb.232:                              ;   in Loop: Header=BB65_3 Depth=1
	v_add_nc_u32_e64 v4, 0x190, 0
	ds_load_b64 v[40:41], v5 offset:26520
	ds_load_2addr_stride64_b64 v[36:39], v4 offset0:50 offset1:51
	s_wait_dscnt 0x0
	v_dual_mul_f32 v93, v41, v37 :: v_dual_mul_f32 v4, v40, v37
	s_delay_alu instid0(VALU_DEP_1) | instskip(NEXT) | instid1(VALU_DEP_1)
	v_xor_b32_e32 v94, 0x80000000, v93
	v_dual_fmac_f32 v4, v41, v36 :: v_dual_fmac_f32 v94, v40, v36
	s_delay_alu instid0(VALU_DEP_1) | instskip(SKIP_1) | instid1(VALU_DEP_2)
	v_pk_mul_f32 v[36:37], v[4:5], v[38:39] op_sel:[0,1] op_sel_hi:[0,0]
	v_add_nc_u32_e64 v4, 0x6000, 0
	v_pk_fma_f32 v[40:41], v[94:95], v[38:39], v[36:37] op_sel_hi:[0,1,1]
	v_pk_fma_f32 v[36:37], v[94:95], v[38:39], v[36:37] neg_lo:[0,0,1] neg_hi:[0,0,1]
	s_delay_alu instid0(VALU_DEP_2)
	v_mov_b32_e32 v37, v41
	ds_store_2addr_b64 v4, v[36:37], v[36:37] offset0:179 offset1:242
.LBB65_233:                             ;   in Loop: Header=BB65_3 Depth=1
	s_or_b32 exec_lo, exec_lo, s66
	v_dual_mov_b32 v36, 0 :: v_dual_mov_b32 v37, 0
	s_wait_dscnt 0x0
	s_barrier_signal -1
	s_barrier_wait -1
	global_wb scope:SCOPE_DEV
	s_wait_storecnt 0x0
	global_inv scope:SCOPE_DEV
	s_and_saveexec_b32 s66, s0
	s_cbranch_execz .LBB65_237
; %bb.234:                              ;   in Loop: Header=BB65_3 Depth=1
	ds_load_b64 v[36:37], v44 offset:25984
	ds_load_b64 v[38:39], v45 offset:26512
	s_wait_dscnt 0x0
	v_pk_mul_f32 v[40:41], v[38:39], v[36:37] op_sel:[1,1] op_sel_hi:[0,1]
	s_delay_alu instid0(VALU_DEP_1) | instskip(SKIP_1) | instid1(VALU_DEP_2)
	v_pk_fma_f32 v[94:95], v[38:39], v[36:37], v[40:41] op_sel_hi:[1,0,1]
	v_pk_fma_f32 v[36:37], v[38:39], v[36:37], v[40:41] neg_lo:[0,0,1] neg_hi:[0,0,1]
	v_mov_b32_e32 v37, v95
	s_delay_alu instid0(VALU_DEP_1)
	v_pk_add_f32 v[36:37], v[36:37], 0 op_sel_hi:[1,0]
	s_and_saveexec_b32 s67, s15
	s_cbranch_execz .LBB65_236
; %bb.235:                              ;   in Loop: Header=BB65_3 Depth=1
	ds_load_b64 v[38:39], v81 offset:26496
	ds_load_b64 v[40:41], v5 offset:26520
	s_wait_dscnt 0x0
	v_pk_mul_f32 v[94:95], v[40:41], v[38:39] op_sel:[1,1] op_sel_hi:[0,1]
	s_delay_alu instid0(VALU_DEP_1) | instskip(SKIP_1) | instid1(VALU_DEP_2)
	v_pk_fma_f32 v[96:97], v[40:41], v[38:39], v[94:95] op_sel_hi:[1,0,1]
	v_pk_fma_f32 v[38:39], v[40:41], v[38:39], v[94:95] neg_lo:[0,0,1] neg_hi:[0,0,1]
	v_mov_b32_e32 v39, v97
	s_delay_alu instid0(VALU_DEP_1)
	v_pk_add_f32 v[36:37], v[36:37], v[38:39]
.LBB65_236:                             ;   in Loop: Header=BB65_3 Depth=1
	s_or_b32 exec_lo, exec_lo, s67
.LBB65_237:                             ;   in Loop: Header=BB65_3 Depth=1
	s_delay_alu instid0(SALU_CYCLE_1)
	s_or_b32 exec_lo, exec_lo, s66
	s_and_saveexec_b32 s66, s96
	s_cbranch_execz .LBB65_239
; %bb.238:                              ;   in Loop: Header=BB65_3 Depth=1
	ds_load_b64 v[38:39], v5 offset:25480
	s_wait_dscnt 0x0
	v_pk_mul_f32 v[40:41], v[36:37], v[38:39] op_sel:[1,1] op_sel_hi:[1,0]
	s_delay_alu instid0(VALU_DEP_1) | instskip(SKIP_1) | instid1(VALU_DEP_2)
	v_pk_fma_f32 v[94:95], v[36:37], v[38:39], v[40:41] op_sel_hi:[0,1,1]
	v_pk_fma_f32 v[36:37], v[36:37], v[38:39], v[40:41] neg_lo:[0,0,1] neg_hi:[0,0,1]
	v_mov_b32_e32 v37, v95
	s_delay_alu instid0(VALU_DEP_1)
	v_pk_add_f32 v[38:39], v[36:37], 0 neg_lo:[1,1] neg_hi:[1,1]
	ds_store_b64 v3, v[38:39]
.LBB65_239:                             ;   in Loop: Header=BB65_3 Depth=1
	s_or_b32 exec_lo, exec_lo, s66
	s_wait_loadcnt_dscnt 0x0
	s_barrier_signal -1
	s_barrier_wait -1
	s_and_saveexec_b32 s66, s97
	s_cbranch_execz .LBB65_241
; %bb.240:                              ;   in Loop: Header=BB65_3 Depth=1
	ds_load_b64 v[38:39], v5 offset:25472
	ds_load_b64 v[40:41], v3
	s_wait_dscnt 0x0
	v_pk_mul_f32 v[94:95], v[40:41], v[38:39] op_sel:[1,1] op_sel_hi:[0,1]
	s_delay_alu instid0(VALU_DEP_1) | instskip(SKIP_1) | instid1(VALU_DEP_2)
	v_pk_fma_f32 v[96:97], v[40:41], v[38:39], v[94:95] op_sel_hi:[1,0,1]
	v_pk_fma_f32 v[38:39], v[40:41], v[38:39], v[94:95] neg_lo:[0,0,1] neg_hi:[0,0,1]
	v_mov_b32_e32 v39, v97
	s_delay_alu instid0(VALU_DEP_1)
	v_pk_add_f32 v[36:37], v[36:37], v[38:39] neg_lo:[0,1] neg_hi:[0,1]
.LBB65_241:                             ;   in Loop: Header=BB65_3 Depth=1
	s_or_b32 exec_lo, exec_lo, s66
	s_barrier_signal -1
	s_barrier_wait -1
	s_and_saveexec_b32 s66, s97
	s_cbranch_execz .LBB65_243
; %bb.242:                              ;   in Loop: Header=BB65_3 Depth=1
	ds_load_b64 v[38:39], v5 offset:24960
	s_wait_dscnt 0x0
	v_pk_mul_f32 v[40:41], v[36:37], v[38:39] op_sel:[1,1] op_sel_hi:[1,0]
	s_delay_alu instid0(VALU_DEP_1) | instskip(SKIP_1) | instid1(VALU_DEP_2)
	v_pk_fma_f32 v[94:95], v[36:37], v[38:39], v[40:41] op_sel_hi:[0,1,1]
	v_pk_fma_f32 v[36:37], v[36:37], v[38:39], v[40:41] neg_lo:[0,0,1] neg_hi:[0,0,1]
	v_mov_b32_e32 v37, v95
	s_delay_alu instid0(VALU_DEP_1)
	v_pk_add_f32 v[38:39], v[36:37], 0 neg_lo:[1,1] neg_hi:[1,1]
	ds_store_b64 v3, v[38:39]
.LBB65_243:                             ;   in Loop: Header=BB65_3 Depth=1
	s_or_b32 exec_lo, exec_lo, s66
	s_wait_dscnt 0x0
	s_barrier_signal -1
	s_barrier_wait -1
	s_barrier_signal -1
	s_barrier_wait -1
	s_and_saveexec_b32 s66, s0
; %bb.244:                              ;   in Loop: Header=BB65_3 Depth=1
	ds_store_b64 v47, v[36:37] offset:26496
; %bb.245:                              ;   in Loop: Header=BB65_3 Depth=1
	s_or_b32 exec_lo, exec_lo, s66
	s_wait_dscnt 0x0
	s_barrier_signal -1
	s_barrier_wait -1
	s_barrier_signal -1
	s_barrier_wait -1
	s_and_saveexec_b32 s66, s98
	s_cbranch_execz .LBB65_247
; %bb.246:                              ;   in Loop: Header=BB65_3 Depth=1
	ds_load_b64 v[36:37], v82 offset:25984
	s_wait_dscnt 0x0
	ds_store_b64 v81, v[36:37] offset:24976
	ds_load_b64 v[36:37], v82 offset:25992
	s_wait_dscnt 0x0
	ds_store_b64 v81, v[36:37] offset:25488
.LBB65_247:                             ;   in Loop: Header=BB65_3 Depth=1
	s_or_b32 exec_lo, exec_lo, s66
	s_wait_dscnt 0x0
	s_barrier_signal -1
	s_barrier_wait -1
	s_and_saveexec_b32 s66, s14
	s_cbranch_execz .LBB65_249
; %bb.248:                              ;   in Loop: Header=BB65_3 Depth=1
	v_add_nc_u32_e64 v4, 0x180, 0
	ds_load_b64 v[40:41], v5 offset:25480
	ds_load_2addr_stride64_b64 v[36:39], v4 offset0:48 offset1:49
	s_wait_dscnt 0x0
	v_dual_mul_f32 v93, v41, v37 :: v_dual_mul_f32 v4, v40, v37
	s_delay_alu instid0(VALU_DEP_1) | instskip(NEXT) | instid1(VALU_DEP_1)
	v_xor_b32_e32 v94, 0x80000000, v93
	v_dual_fmac_f32 v4, v41, v36 :: v_dual_fmac_f32 v94, v40, v36
	s_delay_alu instid0(VALU_DEP_1) | instskip(SKIP_1) | instid1(VALU_DEP_2)
	v_pk_mul_f32 v[36:37], v[4:5], v[38:39] op_sel:[0,1] op_sel_hi:[0,0]
	v_add_nc_u32_e64 v4, 0x6000, 0
	v_pk_fma_f32 v[40:41], v[94:95], v[38:39], v[36:37] op_sel_hi:[0,1,1]
	v_pk_fma_f32 v[36:37], v[94:95], v[38:39], v[36:37] neg_lo:[0,0,1] neg_hi:[0,0,1]
	s_delay_alu instid0(VALU_DEP_2)
	v_mov_b32_e32 v37, v41
	ds_store_2addr_b64 v4, v[36:37], v[36:37] offset0:49 offset1:112
.LBB65_249:                             ;   in Loop: Header=BB65_3 Depth=1
	s_or_b32 exec_lo, exec_lo, s66
	v_mov_b64_e32 v[36:37], 0
	s_wait_dscnt 0x0
	s_barrier_signal -1
	s_barrier_wait -1
	global_wb scope:SCOPE_DEV
	s_wait_storecnt 0x0
	global_inv scope:SCOPE_DEV
	s_and_saveexec_b32 s66, s4
	s_cbranch_execz .LBB65_277
; %bb.250:                              ;   in Loop: Header=BB65_3 Depth=1
	ds_load_b64 v[36:37], v61 offset:24832
	ds_load_b64 v[38:39], v62 offset:32640
	v_readlane_b32 s54, v104, 27
	s_wait_dscnt 0x0
	v_dual_mul_f32 v4, v39, v37 :: v_dual_mul_f32 v37, v38, v37
	s_delay_alu instid0(VALU_DEP_1) | instskip(NEXT) | instid1(VALU_DEP_1)
	v_dual_fma_f32 v4, v38, v36, -v4 :: v_dual_fmac_f32 v37, v39, v36
	v_dual_add_f32 v36, 0, v4 :: v_dual_add_f32 v37, 0, v37
	s_and_saveexec_b32 s67, s54
	s_cbranch_execz .LBB65_252
; %bb.251:                              ;   in Loop: Header=BB65_3 Depth=1
	ds_load_b64 v[38:39], v61 offset:25344
	ds_load_b64 v[40:41], v62 offset:32648
	s_wait_dscnt 0x0
	v_dual_mul_f32 v4, v41, v39 :: v_dual_mul_f32 v39, v40, v39
	s_delay_alu instid0(VALU_DEP_1) | instskip(NEXT) | instid1(VALU_DEP_1)
	v_dual_fma_f32 v4, v40, v38, -v4 :: v_dual_fmac_f32 v39, v41, v38
	v_dual_add_f32 v36, v36, v4 :: v_dual_add_f32 v37, v37, v39
.LBB65_252:                             ;   in Loop: Header=BB65_3 Depth=1
	s_or_b32 exec_lo, exec_lo, s67
	v_readlane_b32 s54, v104, 28
	s_and_saveexec_b32 s67, s54
	s_cbranch_execz .LBB65_254
; %bb.253:                              ;   in Loop: Header=BB65_3 Depth=1
	ds_load_b64 v[38:39], v61 offset:25856
	ds_load_b64 v[40:41], v62 offset:32656
	s_wait_dscnt 0x0
	v_dual_mul_f32 v4, v41, v39 :: v_dual_mul_f32 v39, v40, v39
	s_delay_alu instid0(VALU_DEP_1) | instskip(NEXT) | instid1(VALU_DEP_1)
	v_dual_fma_f32 v4, v40, v38, -v4 :: v_dual_fmac_f32 v39, v41, v38
	v_dual_add_f32 v36, v36, v4 :: v_dual_add_f32 v37, v37, v39
.LBB65_254:                             ;   in Loop: Header=BB65_3 Depth=1
	s_or_b32 exec_lo, exec_lo, s67
	v_readlane_b32 s54, v104, 29
	;; [unrolled: 13-line block ×10, first 2 shown]
	s_and_saveexec_b32 s67, s54
	s_cbranch_execnz .LBB65_1120
; %bb.271:                              ;   in Loop: Header=BB65_3 Depth=1
	s_or_b32 exec_lo, exec_lo, s67
	s_and_saveexec_b32 s67, s3
	s_cbranch_execnz .LBB65_1121
.LBB65_272:                             ;   in Loop: Header=BB65_3 Depth=1
	s_or_b32 exec_lo, exec_lo, s67
	s_and_saveexec_b32 s67, s19
	s_cbranch_execnz .LBB65_1122
.LBB65_273:                             ;   in Loop: Header=BB65_3 Depth=1
	s_or_b32 exec_lo, exec_lo, s67
	s_and_saveexec_b32 s67, s21
	s_cbranch_execnz .LBB65_1123
.LBB65_274:                             ;   in Loop: Header=BB65_3 Depth=1
	s_or_b32 exec_lo, exec_lo, s67
	s_and_saveexec_b32 s67, s2
	s_cbranch_execz .LBB65_276
.LBB65_275:                             ;   in Loop: Header=BB65_3 Depth=1
	ds_load_b64 v[38:39], v46 offset:32512
	ds_load_b64 v[40:41], v5 offset:32760
	s_wait_dscnt 0x0
	v_dual_mul_f32 v4, v41, v39 :: v_dual_mul_f32 v95, v40, v39
	s_delay_alu instid0(VALU_DEP_1) | instskip(NEXT) | instid1(VALU_DEP_1)
	v_dual_fma_f32 v94, v40, v38, -v4 :: v_dual_fmac_f32 v95, v41, v38
	v_pk_add_f32 v[36:37], v[36:37], v[94:95]
.LBB65_276:                             ;   in Loop: Header=BB65_3 Depth=1
	s_or_b32 exec_lo, exec_lo, s67
.LBB65_277:                             ;   in Loop: Header=BB65_3 Depth=1
	s_delay_alu instid0(SALU_CYCLE_1)
	s_or_b32 exec_lo, exec_lo, s66
	v_readlane_b32 s54, v104, 5
	s_and_saveexec_b32 s66, s54
	s_cbranch_execz .LBB65_279
; %bb.278:                              ;   in Loop: Header=BB65_3 Depth=1
	ds_load_b64 v[38:39], v5 offset:24440
	s_wait_dscnt 0x0
	v_pk_mul_f32 v[40:41], v[36:37], v[38:39] op_sel:[1,1] op_sel_hi:[1,0]
	s_delay_alu instid0(VALU_DEP_1) | instskip(SKIP_1) | instid1(VALU_DEP_2)
	v_pk_fma_f32 v[94:95], v[36:37], v[38:39], v[40:41] op_sel_hi:[0,1,1]
	v_pk_fma_f32 v[36:37], v[36:37], v[38:39], v[40:41] neg_lo:[0,0,1] neg_hi:[0,0,1]
	v_mov_b32_e32 v37, v95
	s_delay_alu instid0(VALU_DEP_1)
	v_pk_add_f32 v[38:39], v[36:37], 0 neg_lo:[1,1] neg_hi:[1,1]
	ds_store_b64 v60, v[38:39]
.LBB65_279:                             ;   in Loop: Header=BB65_3 Depth=1
	s_or_b32 exec_lo, exec_lo, s66
	s_wait_loadcnt_dscnt 0x0
	s_barrier_signal -1
	s_barrier_wait -1
	s_and_saveexec_b32 s66, s55
	s_cbranch_execz .LBB65_281
; %bb.280:                              ;   in Loop: Header=BB65_3 Depth=1
	ds_load_b64 v[38:39], v61 offset:24320
	ds_load_b64 v[40:41], v60
	s_wait_dscnt 0x0
	v_pk_mul_f32 v[94:95], v[40:41], v[38:39] op_sel:[1,1] op_sel_hi:[0,1]
	s_delay_alu instid0(VALU_DEP_1) | instskip(SKIP_1) | instid1(VALU_DEP_2)
	v_pk_fma_f32 v[96:97], v[40:41], v[38:39], v[94:95] op_sel_hi:[1,0,1]
	v_pk_fma_f32 v[38:39], v[40:41], v[38:39], v[94:95] neg_lo:[0,0,1] neg_hi:[0,0,1]
	v_mov_b32_e32 v39, v97
	s_delay_alu instid0(VALU_DEP_1)
	v_pk_add_f32 v[36:37], v[36:37], v[38:39] neg_lo:[0,1] neg_hi:[0,1]
.LBB65_281:                             ;   in Loop: Header=BB65_3 Depth=1
	s_or_b32 exec_lo, exec_lo, s66
	s_barrier_signal -1
	s_barrier_wait -1
	s_and_saveexec_b32 s66, s56
	s_cbranch_execz .LBB65_283
; %bb.282:                              ;   in Loop: Header=BB65_3 Depth=1
	ds_load_b64 v[38:39], v5 offset:23920
	s_wait_dscnt 0x0
	v_pk_mul_f32 v[40:41], v[36:37], v[38:39] op_sel:[1,1] op_sel_hi:[1,0]
	s_delay_alu instid0(VALU_DEP_1) | instskip(SKIP_1) | instid1(VALU_DEP_2)
	v_pk_fma_f32 v[94:95], v[36:37], v[38:39], v[40:41] op_sel_hi:[0,1,1]
	v_pk_fma_f32 v[36:37], v[36:37], v[38:39], v[40:41] neg_lo:[0,0,1] neg_hi:[0,0,1]
	v_mov_b32_e32 v37, v95
	s_delay_alu instid0(VALU_DEP_1)
	v_pk_add_f32 v[38:39], v[36:37], 0 neg_lo:[1,1] neg_hi:[1,1]
	ds_store_b64 v60, v[38:39]
.LBB65_283:                             ;   in Loop: Header=BB65_3 Depth=1
	s_or_b32 exec_lo, exec_lo, s66
	s_wait_dscnt 0x0
	s_barrier_signal -1
	s_barrier_wait -1
	s_and_saveexec_b32 s66, s57
	s_cbranch_execz .LBB65_285
; %bb.284:                              ;   in Loop: Header=BB65_3 Depth=1
	ds_load_b64 v[38:39], v61 offset:23808
	ds_load_b64 v[40:41], v60
	s_wait_dscnt 0x0
	v_pk_mul_f32 v[94:95], v[40:41], v[38:39] op_sel:[1,1] op_sel_hi:[0,1]
	s_delay_alu instid0(VALU_DEP_1) | instskip(SKIP_1) | instid1(VALU_DEP_2)
	v_pk_fma_f32 v[96:97], v[40:41], v[38:39], v[94:95] op_sel_hi:[1,0,1]
	v_pk_fma_f32 v[38:39], v[40:41], v[38:39], v[94:95] neg_lo:[0,0,1] neg_hi:[0,0,1]
	v_mov_b32_e32 v39, v97
	s_delay_alu instid0(VALU_DEP_1)
	v_pk_add_f32 v[36:37], v[36:37], v[38:39] neg_lo:[0,1] neg_hi:[0,1]
.LBB65_285:                             ;   in Loop: Header=BB65_3 Depth=1
	s_or_b32 exec_lo, exec_lo, s66
	s_barrier_signal -1
	s_barrier_wait -1
	s_and_saveexec_b32 s66, s58
	s_cbranch_execz .LBB65_287
; %bb.286:                              ;   in Loop: Header=BB65_3 Depth=1
	ds_load_b64 v[38:39], v5 offset:23400
	s_wait_dscnt 0x0
	v_pk_mul_f32 v[40:41], v[36:37], v[38:39] op_sel:[1,1] op_sel_hi:[1,0]
	s_delay_alu instid0(VALU_DEP_1) | instskip(SKIP_1) | instid1(VALU_DEP_2)
	v_pk_fma_f32 v[94:95], v[36:37], v[38:39], v[40:41] op_sel_hi:[0,1,1]
	v_pk_fma_f32 v[36:37], v[36:37], v[38:39], v[40:41] neg_lo:[0,0,1] neg_hi:[0,0,1]
	v_mov_b32_e32 v37, v95
	s_delay_alu instid0(VALU_DEP_1)
	v_pk_add_f32 v[38:39], v[36:37], 0 neg_lo:[1,1] neg_hi:[1,1]
	ds_store_b64 v60, v[38:39]
.LBB65_287:                             ;   in Loop: Header=BB65_3 Depth=1
	s_or_b32 exec_lo, exec_lo, s66
	s_wait_dscnt 0x0
	s_barrier_signal -1
	s_barrier_wait -1
	s_and_saveexec_b32 s66, s59
	s_cbranch_execz .LBB65_289
; %bb.288:                              ;   in Loop: Header=BB65_3 Depth=1
	ds_load_b64 v[38:39], v61 offset:23296
	ds_load_b64 v[40:41], v60
	s_wait_dscnt 0x0
	v_pk_mul_f32 v[94:95], v[40:41], v[38:39] op_sel:[1,1] op_sel_hi:[0,1]
	s_delay_alu instid0(VALU_DEP_1) | instskip(SKIP_1) | instid1(VALU_DEP_2)
	v_pk_fma_f32 v[96:97], v[40:41], v[38:39], v[94:95] op_sel_hi:[1,0,1]
	v_pk_fma_f32 v[38:39], v[40:41], v[38:39], v[94:95] neg_lo:[0,0,1] neg_hi:[0,0,1]
	v_mov_b32_e32 v39, v97
	s_delay_alu instid0(VALU_DEP_1)
	v_pk_add_f32 v[36:37], v[36:37], v[38:39] neg_lo:[0,1] neg_hi:[0,1]
.LBB65_289:                             ;   in Loop: Header=BB65_3 Depth=1
	s_or_b32 exec_lo, exec_lo, s66
	s_delay_alu instid0(VALU_DEP_1)
	v_dual_mov_b32 v38, v37 :: v_dual_mov_b32 v39, v36
	s_barrier_signal -1
	s_barrier_wait -1
	s_and_saveexec_b32 s66, s60
	s_cbranch_execz .LBB65_291
; %bb.290:                              ;   in Loop: Header=BB65_3 Depth=1
	ds_load_b64 v[40:41], v5 offset:22880
	s_wait_dscnt 0x0
	v_dual_mul_f32 v4, v39, v41 :: v_dual_mul_f32 v94, v37, v41
	s_delay_alu instid0(VALU_DEP_1) | instskip(NEXT) | instid1(VALU_DEP_2)
	v_pk_fma_f32 v[38:39], v[38:39], v[40:41], v[4:5] op_sel_hi:[1,1,0]
	v_pk_fma_f32 v[36:37], v[36:37], v[40:41], v[94:95] op_sel_hi:[1,1,0] neg_lo:[0,0,1] neg_hi:[0,0,1]
	s_delay_alu instid0(VALU_DEP_1) | instskip(NEXT) | instid1(VALU_DEP_1)
	v_dual_mov_b32 v37, v38 :: v_dual_mov_b32 v39, v36
	v_pk_add_f32 v[40:41], v[36:37], 0 neg_lo:[1,1] neg_hi:[1,1]
	ds_store_b64 v60, v[40:41]
.LBB65_291:                             ;   in Loop: Header=BB65_3 Depth=1
	s_or_b32 exec_lo, exec_lo, s66
	s_wait_dscnt 0x0
	s_barrier_signal -1
	s_barrier_wait -1
	s_and_saveexec_b32 s66, s61
	s_cbranch_execz .LBB65_293
; %bb.292:                              ;   in Loop: Header=BB65_3 Depth=1
	ds_load_b64 v[36:37], v61 offset:22784
	ds_load_b64 v[40:41], v60
	s_wait_dscnt 0x0
	v_dual_mul_f32 v4, v41, v37 :: v_dual_mul_f32 v94, v40, v37
	s_delay_alu instid0(VALU_DEP_1) | instskip(NEXT) | instid1(VALU_DEP_1)
	v_dual_fma_f32 v95, v40, v36, -v4 :: v_dual_fmac_f32 v94, v41, v36
	v_pk_add_f32 v[38:39], v[38:39], v[94:95] neg_lo:[0,1] neg_hi:[0,1]
.LBB65_293:                             ;   in Loop: Header=BB65_3 Depth=1
	s_or_b32 exec_lo, exec_lo, s66
	s_barrier_signal -1
	s_barrier_wait -1
	s_and_saveexec_b32 s66, s62
	s_cbranch_execz .LBB65_295
; %bb.294:                              ;   in Loop: Header=BB65_3 Depth=1
	ds_load_b64 v[36:37], v5 offset:22360
	s_wait_dscnt 0x0
	v_pk_mul_f32 v[40:41], v[38:39], v[36:37] op_sel_hi:[0,1]
	s_delay_alu instid0(VALU_DEP_1) | instskip(SKIP_1) | instid1(VALU_DEP_2)
	v_pk_fma_f32 v[94:95], v[38:39], v[36:37], v[40:41] op_sel:[1,1,0] op_sel_hi:[1,0,1] neg_lo:[0,0,1] neg_hi:[0,0,1]
	v_pk_fma_f32 v[38:39], v[38:39], v[36:37], v[40:41] op_sel:[1,1,0] op_sel_hi:[1,0,1]
	v_mov_b32_e32 v39, v95
	s_delay_alu instid0(VALU_DEP_2)
	v_xor_b32_e32 v37, 0x80000000, v38
	v_xor_b32_e32 v36, 0x80000000, v95
	ds_store_b64 v60, v[36:37]
.LBB65_295:                             ;   in Loop: Header=BB65_3 Depth=1
	s_or_b32 exec_lo, exec_lo, s66
	s_wait_dscnt 0x0
	s_barrier_signal -1
	s_barrier_wait -1
	s_and_saveexec_b32 s66, s63
	s_cbranch_execz .LBB65_297
; %bb.296:                              ;   in Loop: Header=BB65_3 Depth=1
	ds_load_b64 v[36:37], v61 offset:22272
	ds_load_b64 v[40:41], v60
	s_wait_dscnt 0x0
	v_pk_mul_f32 v[94:95], v[40:41], v[36:37] op_sel:[0,1]
	s_delay_alu instid0(VALU_DEP_1) | instskip(SKIP_1) | instid1(VALU_DEP_2)
	v_pk_fma_f32 v[96:97], v[40:41], v[36:37], v[94:95] op_sel:[1,0,0] op_sel_hi:[0,0,1] neg_lo:[0,0,1] neg_hi:[0,0,1]
	v_pk_fma_f32 v[36:37], v[40:41], v[36:37], v[94:95] op_sel:[1,0,0] op_sel_hi:[0,1,1]
	v_mov_b32_e32 v37, v97
	s_delay_alu instid0(VALU_DEP_1)
	v_pk_add_f32 v[38:39], v[38:39], v[36:37] neg_lo:[0,1] neg_hi:[0,1]
.LBB65_297:                             ;   in Loop: Header=BB65_3 Depth=1
	s_or_b32 exec_lo, exec_lo, s66
	s_barrier_signal -1
	s_barrier_wait -1
	s_and_saveexec_b32 s66, s64
	s_cbranch_execz .LBB65_299
; %bb.298:                              ;   in Loop: Header=BB65_3 Depth=1
	ds_load_b64 v[36:37], v5 offset:21840
	s_wait_dscnt 0x0
	v_pk_mul_f32 v[40:41], v[38:39], v[36:37] op_sel_hi:[0,1]
	s_delay_alu instid0(VALU_DEP_1) | instskip(SKIP_1) | instid1(VALU_DEP_2)
	v_pk_fma_f32 v[94:95], v[38:39], v[36:37], v[40:41] op_sel:[1,1,0] op_sel_hi:[1,0,1] neg_lo:[0,0,1] neg_hi:[0,0,1]
	v_pk_fma_f32 v[38:39], v[38:39], v[36:37], v[40:41] op_sel:[1,1,0] op_sel_hi:[1,0,1]
	v_mov_b32_e32 v39, v95
	s_delay_alu instid0(VALU_DEP_2)
	v_xor_b32_e32 v37, 0x80000000, v38
	v_xor_b32_e32 v36, 0x80000000, v95
	ds_store_b64 v60, v[36:37]
.LBB65_299:                             ;   in Loop: Header=BB65_3 Depth=1
	s_or_b32 exec_lo, exec_lo, s66
	s_wait_dscnt 0x0
	s_barrier_signal -1
	s_barrier_wait -1
	s_and_saveexec_b32 s66, s65
	s_cbranch_execz .LBB65_301
; %bb.300:                              ;   in Loop: Header=BB65_3 Depth=1
	ds_load_b64 v[36:37], v61 offset:21760
	ds_load_b64 v[40:41], v60
	s_wait_dscnt 0x0
	v_pk_mul_f32 v[94:95], v[40:41], v[36:37] op_sel:[0,1]
	s_delay_alu instid0(VALU_DEP_1) | instskip(SKIP_1) | instid1(VALU_DEP_2)
	v_pk_fma_f32 v[96:97], v[40:41], v[36:37], v[94:95] op_sel:[1,0,0] op_sel_hi:[0,0,1] neg_lo:[0,0,1] neg_hi:[0,0,1]
	v_pk_fma_f32 v[36:37], v[40:41], v[36:37], v[94:95] op_sel:[1,0,0] op_sel_hi:[0,1,1]
	v_mov_b32_e32 v37, v97
	s_delay_alu instid0(VALU_DEP_1)
	v_pk_add_f32 v[38:39], v[38:39], v[36:37] neg_lo:[0,1] neg_hi:[0,1]
.LBB65_301:                             ;   in Loop: Header=BB65_3 Depth=1
	;; [unrolled: 36-line block ×3, first 2 shown]
	s_or_b32 exec_lo, exec_lo, s66
	s_delay_alu instid0(VALU_DEP_1)
	v_dual_mov_b32 v36, v39 :: v_dual_mov_b32 v37, v38
	s_barrier_signal -1
	s_barrier_wait -1
	s_and_saveexec_b32 s66, s23
	s_cbranch_execz .LBB65_307
; %bb.306:                              ;   in Loop: Header=BB65_3 Depth=1
	ds_load_b64 v[40:41], v5 offset:20800
	s_wait_dscnt 0x0
	v_dual_mul_f32 v4, v38, v40 :: v_dual_mul_f32 v94, v37, v41
	s_delay_alu instid0(VALU_DEP_1) | instskip(NEXT) | instid1(VALU_DEP_2)
	v_pk_fma_f32 v[38:39], v[38:39], v[40:41], v[4:5] op_sel_hi:[1,1,0]
	v_pk_fma_f32 v[36:37], v[36:37], v[40:41], v[94:95] op_sel_hi:[1,1,0] neg_lo:[0,0,1] neg_hi:[0,0,1]
	s_delay_alu instid0(VALU_DEP_2) | instskip(NEXT) | instid1(VALU_DEP_1)
	v_mov_b32_e32 v37, v39
	v_pk_add_f32 v[38:39], v[36:37], 0 neg_lo:[1,1] neg_hi:[1,1]
	ds_store_b64 v60, v[38:39]
.LBB65_307:                             ;   in Loop: Header=BB65_3 Depth=1
	s_or_b32 exec_lo, exec_lo, s66
	s_wait_dscnt 0x0
	s_barrier_signal -1
	s_barrier_wait -1
	s_and_saveexec_b32 s66, s25
	s_cbranch_execz .LBB65_309
; %bb.308:                              ;   in Loop: Header=BB65_3 Depth=1
	ds_load_b64 v[38:39], v61 offset:20736
	ds_load_b64 v[40:41], v60
	s_wait_dscnt 0x0
	v_dual_mul_f32 v4, v41, v39 :: v_dual_mul_f32 v95, v40, v39
	s_delay_alu instid0(VALU_DEP_1) | instskip(NEXT) | instid1(VALU_DEP_1)
	v_dual_fma_f32 v94, v40, v38, -v4 :: v_dual_fmac_f32 v95, v41, v38
	v_pk_add_f32 v[36:37], v[36:37], v[94:95] neg_lo:[0,1] neg_hi:[0,1]
.LBB65_309:                             ;   in Loop: Header=BB65_3 Depth=1
	s_or_b32 exec_lo, exec_lo, s66
	s_barrier_signal -1
	s_barrier_wait -1
	s_and_saveexec_b32 s66, s27
	s_cbranch_execz .LBB65_311
; %bb.310:                              ;   in Loop: Header=BB65_3 Depth=1
	ds_load_b64 v[38:39], v5 offset:20280
	s_wait_dscnt 0x0
	v_pk_mul_f32 v[40:41], v[36:37], v[38:39] op_sel:[1,1] op_sel_hi:[1,0]
	s_delay_alu instid0(VALU_DEP_1) | instskip(SKIP_1) | instid1(VALU_DEP_2)
	v_pk_fma_f32 v[94:95], v[36:37], v[38:39], v[40:41] op_sel_hi:[0,1,1]
	v_pk_fma_f32 v[36:37], v[36:37], v[38:39], v[40:41] neg_lo:[0,0,1] neg_hi:[0,0,1]
	v_mov_b32_e32 v37, v95
	s_delay_alu instid0(VALU_DEP_1)
	v_pk_add_f32 v[38:39], v[36:37], 0 neg_lo:[1,1] neg_hi:[1,1]
	ds_store_b64 v60, v[38:39]
.LBB65_311:                             ;   in Loop: Header=BB65_3 Depth=1
	s_or_b32 exec_lo, exec_lo, s66
	s_wait_dscnt 0x0
	s_barrier_signal -1
	s_barrier_wait -1
	s_and_saveexec_b32 s66, s29
	s_cbranch_execz .LBB65_313
; %bb.312:                              ;   in Loop: Header=BB65_3 Depth=1
	ds_load_b64 v[38:39], v61 offset:20224
	ds_load_b64 v[40:41], v60
	s_wait_dscnt 0x0
	v_pk_mul_f32 v[94:95], v[40:41], v[38:39] op_sel:[1,1] op_sel_hi:[0,1]
	s_delay_alu instid0(VALU_DEP_1) | instskip(SKIP_1) | instid1(VALU_DEP_2)
	v_pk_fma_f32 v[96:97], v[40:41], v[38:39], v[94:95] op_sel_hi:[1,0,1]
	v_pk_fma_f32 v[38:39], v[40:41], v[38:39], v[94:95] neg_lo:[0,0,1] neg_hi:[0,0,1]
	v_mov_b32_e32 v39, v97
	s_delay_alu instid0(VALU_DEP_1)
	v_pk_add_f32 v[36:37], v[36:37], v[38:39] neg_lo:[0,1] neg_hi:[0,1]
.LBB65_313:                             ;   in Loop: Header=BB65_3 Depth=1
	s_or_b32 exec_lo, exec_lo, s66
	s_barrier_signal -1
	s_barrier_wait -1
	s_and_saveexec_b32 s66, s31
	s_cbranch_execz .LBB65_315
; %bb.314:                              ;   in Loop: Header=BB65_3 Depth=1
	ds_load_b64 v[38:39], v5 offset:19760
	s_wait_dscnt 0x0
	v_pk_mul_f32 v[40:41], v[36:37], v[38:39] op_sel:[1,1] op_sel_hi:[1,0]
	s_delay_alu instid0(VALU_DEP_1) | instskip(SKIP_1) | instid1(VALU_DEP_2)
	v_pk_fma_f32 v[94:95], v[36:37], v[38:39], v[40:41] op_sel_hi:[0,1,1]
	v_pk_fma_f32 v[36:37], v[36:37], v[38:39], v[40:41] neg_lo:[0,0,1] neg_hi:[0,0,1]
	v_mov_b32_e32 v37, v95
	s_delay_alu instid0(VALU_DEP_1)
	v_pk_add_f32 v[38:39], v[36:37], 0 neg_lo:[1,1] neg_hi:[1,1]
	ds_store_b64 v60, v[38:39]
.LBB65_315:                             ;   in Loop: Header=BB65_3 Depth=1
	s_or_b32 exec_lo, exec_lo, s66
	s_wait_dscnt 0x0
	s_barrier_signal -1
	s_barrier_wait -1
	s_and_saveexec_b32 s66, s34
	s_cbranch_execz .LBB65_317
; %bb.316:                              ;   in Loop: Header=BB65_3 Depth=1
	ds_load_b64 v[38:39], v61 offset:19712
	ds_load_b64 v[40:41], v60
	s_wait_dscnt 0x0
	v_pk_mul_f32 v[94:95], v[40:41], v[38:39] op_sel:[1,1] op_sel_hi:[0,1]
	s_delay_alu instid0(VALU_DEP_1) | instskip(SKIP_1) | instid1(VALU_DEP_2)
	v_pk_fma_f32 v[96:97], v[40:41], v[38:39], v[94:95] op_sel_hi:[1,0,1]
	v_pk_fma_f32 v[38:39], v[40:41], v[38:39], v[94:95] neg_lo:[0,0,1] neg_hi:[0,0,1]
	v_mov_b32_e32 v39, v97
	s_delay_alu instid0(VALU_DEP_1)
	v_pk_add_f32 v[36:37], v[36:37], v[38:39] neg_lo:[0,1] neg_hi:[0,1]
.LBB65_317:                             ;   in Loop: Header=BB65_3 Depth=1
	;; [unrolled: 35-line block ×3, first 2 shown]
	s_or_b32 exec_lo, exec_lo, s66
	s_barrier_signal -1
	s_barrier_wait -1
	s_and_saveexec_b32 s66, s87
	s_cbranch_execz .LBB65_323
; %bb.322:                              ;   in Loop: Header=BB65_3 Depth=1
	ds_load_b64 v[38:39], v5 offset:18720
	s_wait_dscnt 0x0
	v_pk_mul_f32 v[40:41], v[36:37], v[38:39]
	v_pk_mul_f32 v[36:37], v[36:37], v[38:39] op_sel:[1,0] op_sel_hi:[0,1]
	s_delay_alu instid0(VALU_DEP_1) | instskip(NEXT) | instid1(VALU_DEP_3)
	v_dual_mov_b32 v38, v40 :: v_dual_mov_b32 v39, v36
	v_mov_b32_e32 v36, v41
	s_delay_alu instid0(VALU_DEP_1) | instskip(SKIP_1) | instid1(VALU_DEP_2)
	v_pk_add_f32 v[40:41], v[38:39], v[36:37]
	v_pk_add_f32 v[36:37], v[38:39], v[36:37] neg_lo:[0,1] neg_hi:[0,1]
	v_mov_b32_e32 v37, v41
	s_delay_alu instid0(VALU_DEP_1)
	v_pk_add_f32 v[38:39], v[36:37], 0 neg_lo:[1,1] neg_hi:[1,1]
	ds_store_b64 v60, v[38:39]
.LBB65_323:                             ;   in Loop: Header=BB65_3 Depth=1
	s_or_b32 exec_lo, exec_lo, s66
	s_wait_dscnt 0x0
	s_barrier_signal -1
	s_barrier_wait -1
	s_and_saveexec_b32 s66, s84
	s_cbranch_execz .LBB65_325
; %bb.324:                              ;   in Loop: Header=BB65_3 Depth=1
	ds_load_b64 v[38:39], v61 offset:18688
	ds_load_b64 v[40:41], v60
	s_wait_dscnt 0x0
	v_dual_mul_f32 v4, v41, v39 :: v_dual_mul_f32 v39, v40, v39
	s_delay_alu instid0(VALU_DEP_1) | instskip(NEXT) | instid1(VALU_DEP_1)
	v_dual_fma_f32 v4, v40, v38, -v4 :: v_dual_fmac_f32 v39, v41, v38
	v_dual_sub_f32 v36, v36, v4 :: v_dual_sub_f32 v37, v37, v39
.LBB65_325:                             ;   in Loop: Header=BB65_3 Depth=1
	s_or_b32 exec_lo, exec_lo, s66
	s_barrier_signal -1
	s_barrier_wait -1
	s_and_saveexec_b32 s66, s85
	s_cbranch_execz .LBB65_327
; %bb.326:                              ;   in Loop: Header=BB65_3 Depth=1
	ds_load_b64 v[38:39], v5 offset:18200
	s_wait_dscnt 0x0
	v_dual_mul_f32 v4, v37, v38 :: v_dual_mul_f32 v40, v37, v39
	s_delay_alu instid0(VALU_DEP_1) | instskip(NEXT) | instid1(VALU_DEP_2)
	v_pk_fma_f32 v[94:95], v[36:37], v[38:39], v[4:5] op_sel:[1,0,0] op_sel_hi:[0,1,0]
	v_pk_fma_f32 v[36:37], v[36:37], v[38:39], v[40:41] op_sel_hi:[1,1,0] neg_lo:[0,0,1] neg_hi:[0,0,1]
	s_delay_alu instid0(VALU_DEP_2) | instskip(NEXT) | instid1(VALU_DEP_1)
	v_mov_b32_e32 v37, v95
	v_pk_add_f32 v[38:39], v[36:37], 0 neg_lo:[1,1] neg_hi:[1,1]
	ds_store_b64 v60, v[38:39]
.LBB65_327:                             ;   in Loop: Header=BB65_3 Depth=1
	s_or_b32 exec_lo, exec_lo, s66
	s_wait_dscnt 0x0
	s_barrier_signal -1
	s_barrier_wait -1
	s_and_saveexec_b32 s66, s24
	s_cbranch_execz .LBB65_329
; %bb.328:                              ;   in Loop: Header=BB65_3 Depth=1
	ds_load_b64 v[38:39], v61 offset:18176
	ds_load_b64 v[40:41], v60
	s_wait_dscnt 0x0
	v_pk_mul_f32 v[94:95], v[40:41], v[38:39] op_sel:[1,1] op_sel_hi:[0,1]
	s_delay_alu instid0(VALU_DEP_1) | instskip(SKIP_1) | instid1(VALU_DEP_2)
	v_pk_fma_f32 v[96:97], v[40:41], v[38:39], v[94:95] op_sel_hi:[1,0,1]
	v_pk_fma_f32 v[38:39], v[40:41], v[38:39], v[94:95] neg_lo:[0,0,1] neg_hi:[0,0,1]
	v_mov_b32_e32 v39, v97
	s_delay_alu instid0(VALU_DEP_1)
	v_pk_add_f32 v[36:37], v[36:37], v[38:39] neg_lo:[0,1] neg_hi:[0,1]
.LBB65_329:                             ;   in Loop: Header=BB65_3 Depth=1
	s_or_b32 exec_lo, exec_lo, s66
	s_barrier_signal -1
	s_barrier_wait -1
	s_and_saveexec_b32 s66, s26
	s_cbranch_execz .LBB65_331
; %bb.330:                              ;   in Loop: Header=BB65_3 Depth=1
	ds_load_b64 v[38:39], v5 offset:17680
	s_wait_dscnt 0x0
	v_pk_mul_f32 v[40:41], v[36:37], v[38:39] op_sel:[1,1] op_sel_hi:[1,0]
	s_delay_alu instid0(VALU_DEP_1) | instskip(SKIP_1) | instid1(VALU_DEP_2)
	v_pk_fma_f32 v[94:95], v[36:37], v[38:39], v[40:41] op_sel_hi:[0,1,1]
	v_pk_fma_f32 v[36:37], v[36:37], v[38:39], v[40:41] neg_lo:[0,0,1] neg_hi:[0,0,1]
	v_mov_b32_e32 v37, v95
	s_delay_alu instid0(VALU_DEP_1)
	v_pk_add_f32 v[38:39], v[36:37], 0 neg_lo:[1,1] neg_hi:[1,1]
	ds_store_b64 v60, v[38:39]
.LBB65_331:                             ;   in Loop: Header=BB65_3 Depth=1
	s_or_b32 exec_lo, exec_lo, s66
	s_wait_dscnt 0x0
	s_barrier_signal -1
	s_barrier_wait -1
	s_and_saveexec_b32 s66, s10
	s_cbranch_execz .LBB65_333
; %bb.332:                              ;   in Loop: Header=BB65_3 Depth=1
	ds_load_b64 v[38:39], v61 offset:17664
	ds_load_b64 v[40:41], v60
	s_wait_dscnt 0x0
	v_pk_mul_f32 v[94:95], v[40:41], v[38:39] op_sel:[1,1] op_sel_hi:[0,1]
	s_delay_alu instid0(VALU_DEP_1) | instskip(SKIP_1) | instid1(VALU_DEP_2)
	v_pk_fma_f32 v[96:97], v[40:41], v[38:39], v[94:95] op_sel_hi:[1,0,1]
	v_pk_fma_f32 v[38:39], v[40:41], v[38:39], v[94:95] neg_lo:[0,0,1] neg_hi:[0,0,1]
	v_mov_b32_e32 v39, v97
	s_delay_alu instid0(VALU_DEP_1)
	v_pk_add_f32 v[36:37], v[36:37], v[38:39] neg_lo:[0,1] neg_hi:[0,1]
.LBB65_333:                             ;   in Loop: Header=BB65_3 Depth=1
	s_or_b32 exec_lo, exec_lo, s66
	s_barrier_signal -1
	s_barrier_wait -1
	s_and_saveexec_b32 s66, s11
	s_cbranch_execz .LBB65_335
; %bb.334:                              ;   in Loop: Header=BB65_3 Depth=1
	ds_load_b64 v[38:39], v5 offset:17160
	s_wait_dscnt 0x0
	v_pk_mul_f32 v[40:41], v[36:37], v[38:39] op_sel:[1,1] op_sel_hi:[1,0]
	s_delay_alu instid0(VALU_DEP_1) | instskip(SKIP_1) | instid1(VALU_DEP_2)
	v_pk_fma_f32 v[94:95], v[36:37], v[38:39], v[40:41] op_sel_hi:[0,1,1]
	v_pk_fma_f32 v[36:37], v[36:37], v[38:39], v[40:41] neg_lo:[0,0,1] neg_hi:[0,0,1]
	v_mov_b32_e32 v37, v95
	s_delay_alu instid0(VALU_DEP_1)
	v_pk_add_f32 v[38:39], v[36:37], 0 neg_lo:[1,1] neg_hi:[1,1]
	ds_store_b64 v60, v[38:39]
.LBB65_335:                             ;   in Loop: Header=BB65_3 Depth=1
	;; [unrolled: 35-line block ×3, first 2 shown]
	s_or_b32 exec_lo, exec_lo, s66
	s_wait_dscnt 0x0
	s_barrier_signal -1
	s_barrier_wait -1
	s_barrier_signal -1
	s_barrier_wait -1
	s_and_saveexec_b32 s66, s4
; %bb.340:                              ;   in Loop: Header=BB65_3 Depth=1
	ds_store_b64 v63, v[36:37] offset:32512
; %bb.341:                              ;   in Loop: Header=BB65_3 Depth=1
	s_or_b32 exec_lo, exec_lo, s66
	s_wait_dscnt 0x0
	s_barrier_signal -1
	s_barrier_wait -1
	s_barrier_signal -1
	s_barrier_wait -1
	s_and_saveexec_b32 s66, s30
	s_cbranch_execz .LBB65_343
; %bb.342:                              ;   in Loop: Header=BB65_3 Depth=1
	ds_load_b64 v[36:37], v48 offset:24832
	s_wait_dscnt 0x0
	ds_store_b64 v53, v[36:37] offset:16768
	ds_load_b64 v[36:37], v48 offset:24840
	s_wait_dscnt 0x0
	ds_store_b64 v53, v[36:37] offset:17280
	;; [unrolled: 3-line block ×16, first 2 shown]
.LBB65_343:                             ;   in Loop: Header=BB65_3 Depth=1
	s_or_b32 exec_lo, exec_lo, s66
	s_wait_dscnt 0x0
	s_barrier_signal -1
	s_barrier_wait -1
	s_and_saveexec_b32 s66, s14
	s_cbranch_execz .LBB65_345
; %bb.344:                              ;   in Loop: Header=BB65_3 Depth=1
	v_add_nc_u32_e64 v4, 0x170, 0
	ds_load_b64 v[40:41], v5 offset:24440
	ds_load_2addr_stride64_b64 v[36:39], v4 offset0:46 offset1:47
	s_wait_dscnt 0x0
	v_dual_mul_f32 v93, v41, v37 :: v_dual_mul_f32 v4, v40, v37
	s_delay_alu instid0(VALU_DEP_1) | instskip(NEXT) | instid1(VALU_DEP_1)
	v_xor_b32_e32 v94, 0x80000000, v93
	v_dual_fmac_f32 v4, v41, v36 :: v_dual_fmac_f32 v94, v40, v36
	s_delay_alu instid0(VALU_DEP_1) | instskip(SKIP_1) | instid1(VALU_DEP_2)
	v_pk_mul_f32 v[36:37], v[4:5], v[38:39] op_sel:[0,1] op_sel_hi:[0,0]
	v_add_nc_u32_e64 v4, 0x5800, 0
	v_pk_fma_f32 v[40:41], v[94:95], v[38:39], v[36:37] op_sel_hi:[0,1,1]
	v_pk_fma_f32 v[36:37], v[94:95], v[38:39], v[36:37] neg_lo:[0,0,1] neg_hi:[0,0,1]
	s_delay_alu instid0(VALU_DEP_2)
	v_mov_b32_e32 v37, v41
	ds_store_2addr_b64 v4, v[36:37], v[36:37] offset0:175 offset1:238
.LBB65_345:                             ;   in Loop: Header=BB65_3 Depth=1
	s_or_b32 exec_lo, exec_lo, s66
	v_dual_mov_b32 v36, 0 :: v_dual_mov_b32 v37, 0
	s_wait_dscnt 0x0
	s_barrier_signal -1
	s_barrier_wait -1
	global_wb scope:SCOPE_DEV
	s_wait_storecnt 0x0
	global_inv scope:SCOPE_DEV
	s_and_saveexec_b32 s66, s0
	s_cbranch_execz .LBB65_349
; %bb.346:                              ;   in Loop: Header=BB65_3 Depth=1
	ds_load_b64 v[36:37], v44 offset:23904
	ds_load_b64 v[38:39], v45 offset:24432
	s_wait_dscnt 0x0
	v_pk_mul_f32 v[40:41], v[38:39], v[36:37] op_sel:[1,1] op_sel_hi:[0,1]
	s_delay_alu instid0(VALU_DEP_1) | instskip(SKIP_1) | instid1(VALU_DEP_2)
	v_pk_fma_f32 v[94:95], v[38:39], v[36:37], v[40:41] op_sel_hi:[1,0,1]
	v_pk_fma_f32 v[36:37], v[38:39], v[36:37], v[40:41] neg_lo:[0,0,1] neg_hi:[0,0,1]
	v_mov_b32_e32 v37, v95
	s_delay_alu instid0(VALU_DEP_1)
	v_pk_add_f32 v[36:37], v[36:37], 0 op_sel_hi:[1,0]
	s_and_saveexec_b32 s67, s15
	s_cbranch_execz .LBB65_348
; %bb.347:                              ;   in Loop: Header=BB65_3 Depth=1
	ds_load_b64 v[38:39], v46 offset:24416
	ds_load_b64 v[40:41], v5 offset:24440
	s_wait_dscnt 0x0
	v_pk_mul_f32 v[94:95], v[40:41], v[38:39] op_sel:[1,1] op_sel_hi:[0,1]
	s_delay_alu instid0(VALU_DEP_1) | instskip(SKIP_1) | instid1(VALU_DEP_2)
	v_pk_fma_f32 v[96:97], v[40:41], v[38:39], v[94:95] op_sel_hi:[1,0,1]
	v_pk_fma_f32 v[38:39], v[40:41], v[38:39], v[94:95] neg_lo:[0,0,1] neg_hi:[0,0,1]
	v_mov_b32_e32 v39, v97
	s_delay_alu instid0(VALU_DEP_1)
	v_pk_add_f32 v[36:37], v[36:37], v[38:39]
.LBB65_348:                             ;   in Loop: Header=BB65_3 Depth=1
	s_or_b32 exec_lo, exec_lo, s67
.LBB65_349:                             ;   in Loop: Header=BB65_3 Depth=1
	s_delay_alu instid0(SALU_CYCLE_1)
	s_or_b32 exec_lo, exec_lo, s66
	s_and_saveexec_b32 s66, s96
	s_cbranch_execz .LBB65_351
; %bb.350:                              ;   in Loop: Header=BB65_3 Depth=1
	ds_load_b64 v[38:39], v5 offset:23400
	s_wait_dscnt 0x0
	v_pk_mul_f32 v[40:41], v[36:37], v[38:39] op_sel:[1,1] op_sel_hi:[1,0]
	s_delay_alu instid0(VALU_DEP_1) | instskip(SKIP_1) | instid1(VALU_DEP_2)
	v_pk_fma_f32 v[94:95], v[36:37], v[38:39], v[40:41] op_sel_hi:[0,1,1]
	v_pk_fma_f32 v[36:37], v[36:37], v[38:39], v[40:41] neg_lo:[0,0,1] neg_hi:[0,0,1]
	v_mov_b32_e32 v37, v95
	s_delay_alu instid0(VALU_DEP_1)
	v_pk_add_f32 v[38:39], v[36:37], 0 neg_lo:[1,1] neg_hi:[1,1]
	ds_store_b64 v3, v[38:39]
.LBB65_351:                             ;   in Loop: Header=BB65_3 Depth=1
	s_or_b32 exec_lo, exec_lo, s66
	s_wait_loadcnt_dscnt 0x0
	s_barrier_signal -1
	s_barrier_wait -1
	s_and_saveexec_b32 s66, s97
	s_cbranch_execz .LBB65_353
; %bb.352:                              ;   in Loop: Header=BB65_3 Depth=1
	ds_load_b64 v[38:39], v5 offset:23392
	ds_load_b64 v[40:41], v3
	s_wait_dscnt 0x0
	v_pk_mul_f32 v[94:95], v[40:41], v[38:39] op_sel:[1,1] op_sel_hi:[0,1]
	s_delay_alu instid0(VALU_DEP_1) | instskip(SKIP_1) | instid1(VALU_DEP_2)
	v_pk_fma_f32 v[96:97], v[40:41], v[38:39], v[94:95] op_sel_hi:[1,0,1]
	v_pk_fma_f32 v[38:39], v[40:41], v[38:39], v[94:95] neg_lo:[0,0,1] neg_hi:[0,0,1]
	v_mov_b32_e32 v39, v97
	s_delay_alu instid0(VALU_DEP_1)
	v_pk_add_f32 v[36:37], v[36:37], v[38:39] neg_lo:[0,1] neg_hi:[0,1]
.LBB65_353:                             ;   in Loop: Header=BB65_3 Depth=1
	s_or_b32 exec_lo, exec_lo, s66
	s_barrier_signal -1
	s_barrier_wait -1
	s_and_saveexec_b32 s66, s97
	s_cbranch_execz .LBB65_355
; %bb.354:                              ;   in Loop: Header=BB65_3 Depth=1
	ds_load_b64 v[38:39], v5 offset:22880
	s_wait_dscnt 0x0
	v_pk_mul_f32 v[40:41], v[36:37], v[38:39] op_sel:[1,1] op_sel_hi:[1,0]
	s_delay_alu instid0(VALU_DEP_1) | instskip(SKIP_1) | instid1(VALU_DEP_2)
	v_pk_fma_f32 v[94:95], v[36:37], v[38:39], v[40:41] op_sel_hi:[0,1,1]
	v_pk_fma_f32 v[36:37], v[36:37], v[38:39], v[40:41] neg_lo:[0,0,1] neg_hi:[0,0,1]
	v_mov_b32_e32 v37, v95
	s_delay_alu instid0(VALU_DEP_1)
	v_pk_add_f32 v[38:39], v[36:37], 0 neg_lo:[1,1] neg_hi:[1,1]
	ds_store_b64 v3, v[38:39]
.LBB65_355:                             ;   in Loop: Header=BB65_3 Depth=1
	s_or_b32 exec_lo, exec_lo, s66
	s_wait_dscnt 0x0
	s_barrier_signal -1
	s_barrier_wait -1
	s_barrier_signal -1
	s_barrier_wait -1
	s_and_saveexec_b32 s66, s0
; %bb.356:                              ;   in Loop: Header=BB65_3 Depth=1
	ds_store_b64 v47, v[36:37] offset:24416
; %bb.357:                              ;   in Loop: Header=BB65_3 Depth=1
	s_or_b32 exec_lo, exec_lo, s66
	s_wait_dscnt 0x0
	s_barrier_signal -1
	s_barrier_wait -1
	s_barrier_signal -1
	s_barrier_wait -1
	s_and_saveexec_b32 s66, s98
	s_cbranch_execz .LBB65_359
; %bb.358:                              ;   in Loop: Header=BB65_3 Depth=1
	ds_load_b64 v[36:37], v48 offset:23904
	s_wait_dscnt 0x0
	ds_store_b64 v46, v[36:37] offset:22896
	ds_load_b64 v[36:37], v48 offset:23912
	s_wait_dscnt 0x0
	ds_store_b64 v46, v[36:37] offset:23408
.LBB65_359:                             ;   in Loop: Header=BB65_3 Depth=1
	s_or_b32 exec_lo, exec_lo, s66
	s_wait_dscnt 0x0
	s_barrier_signal -1
	s_barrier_wait -1
	s_and_saveexec_b32 s66, s14
	s_cbranch_execz .LBB65_361
; %bb.360:                              ;   in Loop: Header=BB65_3 Depth=1
	v_add_nc_u32_e64 v4, 0x160, 0
	ds_load_b64 v[40:41], v5 offset:23400
	ds_load_2addr_stride64_b64 v[36:39], v4 offset0:44 offset1:45
	s_wait_dscnt 0x0
	v_dual_mul_f32 v93, v41, v37 :: v_dual_mul_f32 v4, v40, v37
	s_delay_alu instid0(VALU_DEP_1) | instskip(NEXT) | instid1(VALU_DEP_1)
	v_xor_b32_e32 v94, 0x80000000, v93
	v_dual_fmac_f32 v4, v41, v36 :: v_dual_fmac_f32 v94, v40, v36
	s_delay_alu instid0(VALU_DEP_1) | instskip(SKIP_1) | instid1(VALU_DEP_2)
	v_pk_mul_f32 v[36:37], v[4:5], v[38:39] op_sel:[0,1] op_sel_hi:[0,0]
	v_add_nc_u32_e64 v4, 0x5800, 0
	v_pk_fma_f32 v[40:41], v[94:95], v[38:39], v[36:37] op_sel_hi:[0,1,1]
	v_pk_fma_f32 v[36:37], v[94:95], v[38:39], v[36:37] neg_lo:[0,0,1] neg_hi:[0,0,1]
	s_delay_alu instid0(VALU_DEP_2)
	v_mov_b32_e32 v37, v41
	ds_store_2addr_b64 v4, v[36:37], v[36:37] offset0:45 offset1:108
.LBB65_361:                             ;   in Loop: Header=BB65_3 Depth=1
	s_or_b32 exec_lo, exec_lo, s66
	v_mov_b64_e32 v[36:37], 0
	s_wait_dscnt 0x0
	s_barrier_signal -1
	s_barrier_wait -1
	global_wb scope:SCOPE_DEV
	s_wait_storecnt 0x0
	global_inv scope:SCOPE_DEV
	s_and_saveexec_b32 s66, s2
	s_cbranch_execz .LBB65_367
; %bb.362:                              ;   in Loop: Header=BB65_3 Depth=1
	ds_load_b64 v[36:37], v50 offset:22848
	ds_load_b64 v[38:39], v51 offset:24416
	s_wait_dscnt 0x0
	v_dual_mul_f32 v4, v39, v37 :: v_dual_mul_f32 v37, v38, v37
	s_delay_alu instid0(VALU_DEP_1) | instskip(NEXT) | instid1(VALU_DEP_1)
	v_dual_fma_f32 v4, v38, v36, -v4 :: v_dual_fmac_f32 v37, v39, v36
	v_dual_add_f32 v36, 0, v4 :: v_dual_add_f32 v37, 0, v37
	s_and_saveexec_b32 s67, s16
	s_cbranch_execnz .LBB65_1124
; %bb.363:                              ;   in Loop: Header=BB65_3 Depth=1
	s_or_b32 exec_lo, exec_lo, s67
	s_and_saveexec_b32 s67, s17
	s_cbranch_execnz .LBB65_1125
.LBB65_364:                             ;   in Loop: Header=BB65_3 Depth=1
	s_or_b32 exec_lo, exec_lo, s67
	s_and_saveexec_b32 s67, s0
	s_cbranch_execz .LBB65_366
.LBB65_365:                             ;   in Loop: Header=BB65_3 Depth=1
	ds_load_b64 v[38:39], v53 offset:24384
	ds_load_b64 v[40:41], v5 offset:24440
	s_wait_dscnt 0x0
	v_dual_mul_f32 v4, v41, v39 :: v_dual_mul_f32 v39, v40, v39
	s_delay_alu instid0(VALU_DEP_1) | instskip(NEXT) | instid1(VALU_DEP_1)
	v_dual_fma_f32 v4, v40, v38, -v4 :: v_dual_fmac_f32 v39, v41, v38
	v_dual_add_f32 v36, v36, v4 :: v_dual_add_f32 v37, v37, v39
.LBB65_366:                             ;   in Loop: Header=BB65_3 Depth=1
	s_or_b32 exec_lo, exec_lo, s67
.LBB65_367:                             ;   in Loop: Header=BB65_3 Depth=1
	s_delay_alu instid0(SALU_CYCLE_1)
	s_or_b32 exec_lo, exec_lo, s66
	s_and_saveexec_b32 s66, s99
	s_cbranch_execz .LBB65_369
; %bb.368:                              ;   in Loop: Header=BB65_3 Depth=1
	ds_load_b64 v[38:39], v5 offset:22360
	s_wait_dscnt 0x0
	v_dual_mul_f32 v4, v37, v38 :: v_dual_mul_f32 v40, v37, v39
	s_delay_alu instid0(VALU_DEP_1) | instskip(NEXT) | instid1(VALU_DEP_2)
	v_pk_fma_f32 v[94:95], v[36:37], v[38:39], v[4:5] op_sel:[1,0,0] op_sel_hi:[0,1,0]
	v_pk_fma_f32 v[36:37], v[36:37], v[38:39], v[40:41] op_sel_hi:[1,1,0] neg_lo:[0,0,1] neg_hi:[0,0,1]
	s_delay_alu instid0(VALU_DEP_2) | instskip(NEXT) | instid1(VALU_DEP_1)
	v_mov_b32_e32 v37, v95
	v_pk_add_f32 v[38:39], v[36:37], 0 neg_lo:[1,1] neg_hi:[1,1]
	ds_store_b64 v49, v[38:39]
.LBB65_369:                             ;   in Loop: Header=BB65_3 Depth=1
	s_or_b32 exec_lo, exec_lo, s66
	s_wait_loadcnt_dscnt 0x0
	s_barrier_signal -1
	s_barrier_wait -1
	s_and_saveexec_b32 s66, s100
	s_cbranch_execz .LBB65_371
; %bb.370:                              ;   in Loop: Header=BB65_3 Depth=1
	ds_load_b64 v[38:39], v50 offset:22336
	ds_load_b64 v[40:41], v49
	s_wait_dscnt 0x0
	v_pk_mul_f32 v[94:95], v[40:41], v[38:39] op_sel:[1,1] op_sel_hi:[0,1]
	s_delay_alu instid0(VALU_DEP_1) | instskip(SKIP_1) | instid1(VALU_DEP_2)
	v_pk_fma_f32 v[96:97], v[40:41], v[38:39], v[94:95] op_sel_hi:[1,0,1]
	v_pk_fma_f32 v[38:39], v[40:41], v[38:39], v[94:95] neg_lo:[0,0,1] neg_hi:[0,0,1]
	v_mov_b32_e32 v39, v97
	s_delay_alu instid0(VALU_DEP_1)
	v_pk_add_f32 v[36:37], v[36:37], v[38:39] neg_lo:[0,1] neg_hi:[0,1]
.LBB65_371:                             ;   in Loop: Header=BB65_3 Depth=1
	s_or_b32 exec_lo, exec_lo, s66
	s_barrier_signal -1
	s_barrier_wait -1
	s_and_saveexec_b32 s66, s101
	s_cbranch_execz .LBB65_373
; %bb.372:                              ;   in Loop: Header=BB65_3 Depth=1
	ds_load_b64 v[38:39], v5 offset:21840
	s_wait_dscnt 0x0
	v_pk_mul_f32 v[40:41], v[36:37], v[38:39] op_sel:[1,1] op_sel_hi:[1,0]
	s_delay_alu instid0(VALU_DEP_1) | instskip(SKIP_1) | instid1(VALU_DEP_2)
	v_pk_fma_f32 v[94:95], v[36:37], v[38:39], v[40:41] op_sel_hi:[0,1,1]
	v_pk_fma_f32 v[36:37], v[36:37], v[38:39], v[40:41] neg_lo:[0,0,1] neg_hi:[0,0,1]
	v_mov_b32_e32 v37, v95
	s_delay_alu instid0(VALU_DEP_1)
	v_pk_add_f32 v[38:39], v[36:37], 0 neg_lo:[1,1] neg_hi:[1,1]
	ds_store_b64 v49, v[38:39]
.LBB65_373:                             ;   in Loop: Header=BB65_3 Depth=1
	s_or_b32 exec_lo, exec_lo, s66
	s_wait_dscnt 0x0
	s_barrier_signal -1
	s_barrier_wait -1
	s_and_saveexec_b32 s66, s102
	s_cbranch_execz .LBB65_375
; %bb.374:                              ;   in Loop: Header=BB65_3 Depth=1
	ds_load_b64 v[38:39], v50 offset:21824
	ds_load_b64 v[40:41], v49
	s_wait_dscnt 0x0
	v_pk_mul_f32 v[94:95], v[40:41], v[38:39] op_sel:[1,1] op_sel_hi:[0,1]
	s_delay_alu instid0(VALU_DEP_1) | instskip(SKIP_1) | instid1(VALU_DEP_2)
	v_pk_fma_f32 v[96:97], v[40:41], v[38:39], v[94:95] op_sel_hi:[1,0,1]
	v_pk_fma_f32 v[38:39], v[40:41], v[38:39], v[94:95] neg_lo:[0,0,1] neg_hi:[0,0,1]
	v_mov_b32_e32 v39, v97
	s_delay_alu instid0(VALU_DEP_1)
	v_pk_add_f32 v[36:37], v[36:37], v[38:39] neg_lo:[0,1] neg_hi:[0,1]
.LBB65_375:                             ;   in Loop: Header=BB65_3 Depth=1
	s_or_b32 exec_lo, exec_lo, s66
	s_barrier_signal -1
	s_barrier_wait -1
	s_and_saveexec_b32 s66, s103
	s_cbranch_execz .LBB65_377
; %bb.376:                              ;   in Loop: Header=BB65_3 Depth=1
	ds_load_b64 v[38:39], v5 offset:21320
	s_wait_dscnt 0x0
	v_pk_mul_f32 v[40:41], v[36:37], v[38:39] op_sel:[1,1] op_sel_hi:[1,0]
	s_delay_alu instid0(VALU_DEP_1) | instskip(SKIP_1) | instid1(VALU_DEP_2)
	v_pk_fma_f32 v[94:95], v[36:37], v[38:39], v[40:41] op_sel_hi:[0,1,1]
	v_pk_fma_f32 v[36:37], v[36:37], v[38:39], v[40:41] neg_lo:[0,0,1] neg_hi:[0,0,1]
	v_mov_b32_e32 v37, v95
	s_delay_alu instid0(VALU_DEP_1)
	v_pk_add_f32 v[38:39], v[36:37], 0 neg_lo:[1,1] neg_hi:[1,1]
	ds_store_b64 v49, v[38:39]
.LBB65_377:                             ;   in Loop: Header=BB65_3 Depth=1
	s_or_b32 exec_lo, exec_lo, s66
	s_wait_dscnt 0x0
	;; [unrolled: 35-line block ×3, first 2 shown]
	s_barrier_signal -1
	s_barrier_wait -1
	s_barrier_signal -1
	s_barrier_wait -1
	s_and_saveexec_b32 s66, s2
; %bb.382:                              ;   in Loop: Header=BB65_3 Depth=1
	ds_store_b64 v54, v[36:37] offset:24384
; %bb.383:                              ;   in Loop: Header=BB65_3 Depth=1
	s_or_b32 exec_lo, exec_lo, s66
	s_wait_dscnt 0x0
	s_barrier_signal -1
	s_barrier_wait -1
	s_barrier_signal -1
	s_barrier_wait -1
	s_and_saveexec_b32 s66, vcc_hi
	s_cbranch_execz .LBB65_385
; %bb.384:                              ;   in Loop: Header=BB65_3 Depth=1
	ds_load_b64 v[36:37], v55 offset:22848
	s_wait_dscnt 0x0
	ds_store_b64 v68, v[36:37] offset:20832
	ds_load_b64 v[36:37], v55 offset:22856
	s_wait_dscnt 0x0
	ds_store_b64 v68, v[36:37] offset:21344
	;; [unrolled: 3-line block ×4, first 2 shown]
.LBB65_385:                             ;   in Loop: Header=BB65_3 Depth=1
	s_or_b32 exec_lo, exec_lo, s66
	s_wait_dscnt 0x0
	s_barrier_signal -1
	s_barrier_wait -1
	s_and_saveexec_b32 s66, s14
	s_cbranch_execz .LBB65_387
; %bb.386:                              ;   in Loop: Header=BB65_3 Depth=1
	v_add_nc_u32_e64 v4, 0x150, 0
	ds_load_b64 v[40:41], v5 offset:22360
	ds_load_2addr_stride64_b64 v[36:39], v4 offset0:42 offset1:43
	s_wait_dscnt 0x0
	v_dual_mul_f32 v93, v41, v37 :: v_dual_mul_f32 v4, v40, v37
	s_delay_alu instid0(VALU_DEP_1) | instskip(NEXT) | instid1(VALU_DEP_1)
	v_xor_b32_e32 v94, 0x80000000, v93
	v_dual_fmac_f32 v4, v41, v36 :: v_dual_fmac_f32 v94, v40, v36
	s_delay_alu instid0(VALU_DEP_1) | instskip(SKIP_1) | instid1(VALU_DEP_2)
	v_pk_mul_f32 v[36:37], v[4:5], v[38:39] op_sel:[0,1] op_sel_hi:[0,0]
	v_add_nc_u32_e64 v4, 0x5000, 0
	v_pk_fma_f32 v[40:41], v[94:95], v[38:39], v[36:37] op_sel_hi:[0,1,1]
	v_pk_fma_f32 v[36:37], v[94:95], v[38:39], v[36:37] neg_lo:[0,0,1] neg_hi:[0,0,1]
	s_delay_alu instid0(VALU_DEP_2)
	v_mov_b32_e32 v37, v41
	ds_store_2addr_b64 v4, v[36:37], v[36:37] offset0:171 offset1:234
.LBB65_387:                             ;   in Loop: Header=BB65_3 Depth=1
	s_or_b32 exec_lo, exec_lo, s66
	v_dual_mov_b32 v36, 0 :: v_dual_mov_b32 v37, 0
	s_wait_dscnt 0x0
	s_barrier_signal -1
	s_barrier_wait -1
	global_wb scope:SCOPE_DEV
	s_wait_storecnt 0x0
	global_inv scope:SCOPE_DEV
	s_and_saveexec_b32 s66, s0
	s_cbranch_execz .LBB65_391
; %bb.388:                              ;   in Loop: Header=BB65_3 Depth=1
	ds_load_b64 v[36:37], v44 offset:21824
	ds_load_b64 v[38:39], v45 offset:22352
	s_wait_dscnt 0x0
	v_pk_mul_f32 v[40:41], v[38:39], v[36:37] op_sel:[1,1] op_sel_hi:[0,1]
	s_delay_alu instid0(VALU_DEP_1) | instskip(SKIP_1) | instid1(VALU_DEP_2)
	v_pk_fma_f32 v[94:95], v[38:39], v[36:37], v[40:41] op_sel_hi:[1,0,1]
	v_pk_fma_f32 v[36:37], v[38:39], v[36:37], v[40:41] neg_lo:[0,0,1] neg_hi:[0,0,1]
	v_mov_b32_e32 v37, v95
	s_delay_alu instid0(VALU_DEP_1)
	v_pk_add_f32 v[36:37], v[36:37], 0 op_sel_hi:[1,0]
	s_and_saveexec_b32 s67, s15
	s_cbranch_execz .LBB65_390
; %bb.389:                              ;   in Loop: Header=BB65_3 Depth=1
	ds_load_b64 v[38:39], v68 offset:22336
	ds_load_b64 v[40:41], v5 offset:22360
	s_wait_dscnt 0x0
	v_pk_mul_f32 v[94:95], v[40:41], v[38:39] op_sel:[1,1] op_sel_hi:[0,1]
	s_delay_alu instid0(VALU_DEP_1) | instskip(SKIP_1) | instid1(VALU_DEP_2)
	v_pk_fma_f32 v[96:97], v[40:41], v[38:39], v[94:95] op_sel_hi:[1,0,1]
	v_pk_fma_f32 v[38:39], v[40:41], v[38:39], v[94:95] neg_lo:[0,0,1] neg_hi:[0,0,1]
	v_mov_b32_e32 v39, v97
	s_delay_alu instid0(VALU_DEP_1)
	v_pk_add_f32 v[36:37], v[36:37], v[38:39]
.LBB65_390:                             ;   in Loop: Header=BB65_3 Depth=1
	s_or_b32 exec_lo, exec_lo, s67
.LBB65_391:                             ;   in Loop: Header=BB65_3 Depth=1
	s_delay_alu instid0(SALU_CYCLE_1)
	s_or_b32 exec_lo, exec_lo, s66
	s_and_saveexec_b32 s66, s96
	s_cbranch_execz .LBB65_393
; %bb.392:                              ;   in Loop: Header=BB65_3 Depth=1
	ds_load_b64 v[38:39], v5 offset:21320
	s_wait_dscnt 0x0
	v_pk_mul_f32 v[40:41], v[36:37], v[38:39] op_sel:[1,1] op_sel_hi:[1,0]
	s_delay_alu instid0(VALU_DEP_1) | instskip(SKIP_1) | instid1(VALU_DEP_2)
	v_pk_fma_f32 v[94:95], v[36:37], v[38:39], v[40:41] op_sel_hi:[0,1,1]
	v_pk_fma_f32 v[36:37], v[36:37], v[38:39], v[40:41] neg_lo:[0,0,1] neg_hi:[0,0,1]
	v_mov_b32_e32 v37, v95
	s_delay_alu instid0(VALU_DEP_1)
	v_pk_add_f32 v[38:39], v[36:37], 0 neg_lo:[1,1] neg_hi:[1,1]
	ds_store_b64 v3, v[38:39]
.LBB65_393:                             ;   in Loop: Header=BB65_3 Depth=1
	s_or_b32 exec_lo, exec_lo, s66
	s_wait_loadcnt_dscnt 0x0
	s_barrier_signal -1
	s_barrier_wait -1
	s_and_saveexec_b32 s66, s97
	s_cbranch_execz .LBB65_395
; %bb.394:                              ;   in Loop: Header=BB65_3 Depth=1
	ds_load_b64 v[38:39], v5 offset:21312
	ds_load_b64 v[40:41], v3
	s_wait_dscnt 0x0
	v_pk_mul_f32 v[94:95], v[40:41], v[38:39] op_sel:[1,1] op_sel_hi:[0,1]
	s_delay_alu instid0(VALU_DEP_1) | instskip(SKIP_1) | instid1(VALU_DEP_2)
	v_pk_fma_f32 v[96:97], v[40:41], v[38:39], v[94:95] op_sel_hi:[1,0,1]
	v_pk_fma_f32 v[38:39], v[40:41], v[38:39], v[94:95] neg_lo:[0,0,1] neg_hi:[0,0,1]
	v_mov_b32_e32 v39, v97
	s_delay_alu instid0(VALU_DEP_1)
	v_pk_add_f32 v[36:37], v[36:37], v[38:39] neg_lo:[0,1] neg_hi:[0,1]
.LBB65_395:                             ;   in Loop: Header=BB65_3 Depth=1
	s_or_b32 exec_lo, exec_lo, s66
	s_barrier_signal -1
	s_barrier_wait -1
	s_and_saveexec_b32 s66, s97
	s_cbranch_execz .LBB65_397
; %bb.396:                              ;   in Loop: Header=BB65_3 Depth=1
	ds_load_b64 v[38:39], v5 offset:20800
	s_wait_dscnt 0x0
	v_pk_mul_f32 v[40:41], v[36:37], v[38:39] op_sel:[1,1] op_sel_hi:[1,0]
	s_delay_alu instid0(VALU_DEP_1) | instskip(SKIP_1) | instid1(VALU_DEP_2)
	v_pk_fma_f32 v[94:95], v[36:37], v[38:39], v[40:41] op_sel_hi:[0,1,1]
	v_pk_fma_f32 v[36:37], v[36:37], v[38:39], v[40:41] neg_lo:[0,0,1] neg_hi:[0,0,1]
	v_mov_b32_e32 v37, v95
	s_delay_alu instid0(VALU_DEP_1)
	v_pk_add_f32 v[38:39], v[36:37], 0 neg_lo:[1,1] neg_hi:[1,1]
	ds_store_b64 v3, v[38:39]
.LBB65_397:                             ;   in Loop: Header=BB65_3 Depth=1
	s_or_b32 exec_lo, exec_lo, s66
	s_wait_dscnt 0x0
	s_barrier_signal -1
	s_barrier_wait -1
	s_barrier_signal -1
	s_barrier_wait -1
	s_and_saveexec_b32 s66, s0
; %bb.398:                              ;   in Loop: Header=BB65_3 Depth=1
	ds_store_b64 v47, v[36:37] offset:22336
; %bb.399:                              ;   in Loop: Header=BB65_3 Depth=1
	s_or_b32 exec_lo, exec_lo, s66
	s_wait_dscnt 0x0
	s_barrier_signal -1
	s_barrier_wait -1
	s_barrier_signal -1
	s_barrier_wait -1
	s_and_saveexec_b32 s66, s98
	s_cbranch_execz .LBB65_401
; %bb.400:                              ;   in Loop: Header=BB65_3 Depth=1
	ds_load_b64 v[36:37], v69 offset:21824
	s_wait_dscnt 0x0
	ds_store_b64 v68, v[36:37] offset:20816
	ds_load_b64 v[36:37], v69 offset:21832
	s_wait_dscnt 0x0
	ds_store_b64 v68, v[36:37] offset:21328
.LBB65_401:                             ;   in Loop: Header=BB65_3 Depth=1
	s_or_b32 exec_lo, exec_lo, s66
	s_wait_dscnt 0x0
	s_barrier_signal -1
	s_barrier_wait -1
	s_and_saveexec_b32 s66, s14
	s_cbranch_execz .LBB65_403
; %bb.402:                              ;   in Loop: Header=BB65_3 Depth=1
	v_add_nc_u32_e64 v4, 0x140, 0
	ds_load_b64 v[40:41], v5 offset:21320
	ds_load_2addr_stride64_b64 v[36:39], v4 offset0:40 offset1:41
	s_wait_dscnt 0x0
	v_dual_mul_f32 v93, v41, v37 :: v_dual_mul_f32 v4, v40, v37
	s_delay_alu instid0(VALU_DEP_1) | instskip(NEXT) | instid1(VALU_DEP_1)
	v_xor_b32_e32 v94, 0x80000000, v93
	v_dual_fmac_f32 v4, v41, v36 :: v_dual_fmac_f32 v94, v40, v36
	s_delay_alu instid0(VALU_DEP_1) | instskip(SKIP_1) | instid1(VALU_DEP_2)
	v_pk_mul_f32 v[36:37], v[4:5], v[38:39] op_sel:[0,1] op_sel_hi:[0,0]
	v_add_nc_u32_e64 v4, 0x5000, 0
	v_pk_fma_f32 v[40:41], v[94:95], v[38:39], v[36:37] op_sel_hi:[0,1,1]
	v_pk_fma_f32 v[36:37], v[94:95], v[38:39], v[36:37] neg_lo:[0,0,1] neg_hi:[0,0,1]
	s_delay_alu instid0(VALU_DEP_2)
	v_mov_b32_e32 v37, v41
	ds_store_2addr_b64 v4, v[36:37], v[36:37] offset0:41 offset1:104
.LBB65_403:                             ;   in Loop: Header=BB65_3 Depth=1
	s_or_b32 exec_lo, exec_lo, s66
	v_mov_b64_e32 v[36:37], 0
	s_wait_dscnt 0x0
	s_barrier_signal -1
	s_barrier_wait -1
	global_wb scope:SCOPE_DEV
	s_wait_storecnt 0x0
	global_inv scope:SCOPE_DEV
	s_and_saveexec_b32 s66, s3
	s_cbranch_execz .LBB65_413
; %bb.404:                              ;   in Loop: Header=BB65_3 Depth=1
	ds_load_b64 v[36:37], v57 offset:20736
	ds_load_b64 v[38:39], v58 offset:24384
	s_wait_dscnt 0x0
	v_dual_mul_f32 v4, v39, v37 :: v_dual_mul_f32 v37, v38, v37
	s_delay_alu instid0(VALU_DEP_1) | instskip(NEXT) | instid1(VALU_DEP_1)
	v_dual_fma_f32 v4, v38, v36, -v4 :: v_dual_fmac_f32 v37, v39, v36
	v_dual_add_f32 v36, 0, v4 :: v_dual_add_f32 v37, 0, v37
	s_and_saveexec_b32 s67, s18
	s_cbranch_execnz .LBB65_1126
; %bb.405:                              ;   in Loop: Header=BB65_3 Depth=1
	s_or_b32 exec_lo, exec_lo, s67
	s_and_saveexec_b32 s67, s19
	s_cbranch_execnz .LBB65_1127
.LBB65_406:                             ;   in Loop: Header=BB65_3 Depth=1
	s_or_b32 exec_lo, exec_lo, s67
	s_and_saveexec_b32 s67, s20
	s_cbranch_execnz .LBB65_1128
.LBB65_407:                             ;   in Loop: Header=BB65_3 Depth=1
	s_or_b32 exec_lo, exec_lo, s67
	s_and_saveexec_b32 s67, s21
	s_cbranch_execnz .LBB65_1129
.LBB65_408:                             ;   in Loop: Header=BB65_3 Depth=1
	s_or_b32 exec_lo, exec_lo, s67
	s_and_saveexec_b32 s67, s22
	s_cbranch_execnz .LBB65_1130
.LBB65_409:                             ;   in Loop: Header=BB65_3 Depth=1
	s_or_b32 exec_lo, exec_lo, s67
	s_and_saveexec_b32 s67, s2
	s_cbranch_execnz .LBB65_1131
.LBB65_410:                             ;   in Loop: Header=BB65_3 Depth=1
	s_or_b32 exec_lo, exec_lo, s67
	s_and_saveexec_b32 s67, s17
	s_cbranch_execz .LBB65_412
.LBB65_411:                             ;   in Loop: Header=BB65_3 Depth=1
	ds_load_b64 v[38:39], v70 offset:24320
	ds_load_b64 v[40:41], v5 offset:24440
	s_wait_dscnt 0x0
	v_dual_mul_f32 v4, v41, v39 :: v_dual_mul_f32 v95, v40, v39
	s_delay_alu instid0(VALU_DEP_1) | instskip(NEXT) | instid1(VALU_DEP_1)
	v_dual_fma_f32 v94, v40, v38, -v4 :: v_dual_fmac_f32 v95, v41, v38
	v_pk_add_f32 v[36:37], v[36:37], v[94:95]
.LBB65_412:                             ;   in Loop: Header=BB65_3 Depth=1
	s_or_b32 exec_lo, exec_lo, s67
.LBB65_413:                             ;   in Loop: Header=BB65_3 Depth=1
	s_delay_alu instid0(SALU_CYCLE_1)
	s_or_b32 exec_lo, exec_lo, s66
	s_and_saveexec_b32 s66, s39
	s_cbranch_execz .LBB65_415
; %bb.414:                              ;   in Loop: Header=BB65_3 Depth=1
	ds_load_b64 v[38:39], v5 offset:20280
	s_wait_dscnt 0x0
	v_pk_mul_f32 v[40:41], v[36:37], v[38:39] op_sel:[1,1] op_sel_hi:[1,0]
	s_delay_alu instid0(VALU_DEP_1) | instskip(SKIP_1) | instid1(VALU_DEP_2)
	v_pk_fma_f32 v[94:95], v[36:37], v[38:39], v[40:41] op_sel_hi:[0,1,1]
	v_pk_fma_f32 v[36:37], v[36:37], v[38:39], v[40:41] neg_lo:[0,0,1] neg_hi:[0,0,1]
	v_mov_b32_e32 v37, v95
	s_delay_alu instid0(VALU_DEP_1)
	v_pk_add_f32 v[38:39], v[36:37], 0 neg_lo:[1,1] neg_hi:[1,1]
	ds_store_b64 v56, v[38:39]
.LBB65_415:                             ;   in Loop: Header=BB65_3 Depth=1
	s_or_b32 exec_lo, exec_lo, s66
	s_wait_loadcnt_dscnt 0x0
	s_barrier_signal -1
	s_barrier_wait -1
	s_and_saveexec_b32 s66, s40
	s_cbranch_execz .LBB65_417
; %bb.416:                              ;   in Loop: Header=BB65_3 Depth=1
	ds_load_b64 v[38:39], v57 offset:20224
	ds_load_b64 v[40:41], v56
	s_wait_dscnt 0x0
	v_pk_mul_f32 v[94:95], v[40:41], v[38:39] op_sel:[1,1] op_sel_hi:[0,1]
	s_delay_alu instid0(VALU_DEP_1) | instskip(SKIP_1) | instid1(VALU_DEP_2)
	v_pk_fma_f32 v[96:97], v[40:41], v[38:39], v[94:95] op_sel_hi:[1,0,1]
	v_pk_fma_f32 v[38:39], v[40:41], v[38:39], v[94:95] neg_lo:[0,0,1] neg_hi:[0,0,1]
	v_mov_b32_e32 v39, v97
	s_delay_alu instid0(VALU_DEP_1)
	v_pk_add_f32 v[36:37], v[36:37], v[38:39] neg_lo:[0,1] neg_hi:[0,1]
.LBB65_417:                             ;   in Loop: Header=BB65_3 Depth=1
	s_or_b32 exec_lo, exec_lo, s66
	s_barrier_signal -1
	s_barrier_wait -1
	s_and_saveexec_b32 s66, s41
	s_cbranch_execz .LBB65_419
; %bb.418:                              ;   in Loop: Header=BB65_3 Depth=1
	ds_load_b64 v[38:39], v5 offset:19760
	s_wait_dscnt 0x0
	v_pk_mul_f32 v[40:41], v[36:37], v[38:39] op_sel:[1,1] op_sel_hi:[1,0]
	s_delay_alu instid0(VALU_DEP_1) | instskip(SKIP_1) | instid1(VALU_DEP_2)
	v_pk_fma_f32 v[94:95], v[36:37], v[38:39], v[40:41] op_sel_hi:[0,1,1]
	v_pk_fma_f32 v[36:37], v[36:37], v[38:39], v[40:41] neg_lo:[0,0,1] neg_hi:[0,0,1]
	v_mov_b32_e32 v37, v95
	s_delay_alu instid0(VALU_DEP_1)
	v_pk_add_f32 v[38:39], v[36:37], 0 neg_lo:[1,1] neg_hi:[1,1]
	ds_store_b64 v56, v[38:39]
.LBB65_419:                             ;   in Loop: Header=BB65_3 Depth=1
	s_or_b32 exec_lo, exec_lo, s66
	s_wait_dscnt 0x0
	s_barrier_signal -1
	s_barrier_wait -1
	s_and_saveexec_b32 s66, s42
	s_cbranch_execz .LBB65_421
; %bb.420:                              ;   in Loop: Header=BB65_3 Depth=1
	ds_load_b64 v[38:39], v57 offset:19712
	ds_load_b64 v[40:41], v56
	s_wait_dscnt 0x0
	v_pk_mul_f32 v[94:95], v[40:41], v[38:39] op_sel:[1,1] op_sel_hi:[0,1]
	s_delay_alu instid0(VALU_DEP_1) | instskip(SKIP_1) | instid1(VALU_DEP_2)
	v_pk_fma_f32 v[96:97], v[40:41], v[38:39], v[94:95] op_sel_hi:[1,0,1]
	v_pk_fma_f32 v[38:39], v[40:41], v[38:39], v[94:95] neg_lo:[0,0,1] neg_hi:[0,0,1]
	v_mov_b32_e32 v39, v97
	s_delay_alu instid0(VALU_DEP_1)
	v_pk_add_f32 v[36:37], v[36:37], v[38:39] neg_lo:[0,1] neg_hi:[0,1]
.LBB65_421:                             ;   in Loop: Header=BB65_3 Depth=1
	s_or_b32 exec_lo, exec_lo, s66
	s_barrier_signal -1
	s_barrier_wait -1
	s_and_saveexec_b32 s66, s43
	s_cbranch_execz .LBB65_423
; %bb.422:                              ;   in Loop: Header=BB65_3 Depth=1
	ds_load_b64 v[38:39], v5 offset:19240
	s_wait_dscnt 0x0
	v_pk_mul_f32 v[40:41], v[36:37], v[38:39] op_sel:[1,1] op_sel_hi:[1,0]
	s_delay_alu instid0(VALU_DEP_1) | instskip(SKIP_1) | instid1(VALU_DEP_2)
	v_pk_fma_f32 v[94:95], v[36:37], v[38:39], v[40:41] op_sel_hi:[0,1,1]
	v_pk_fma_f32 v[36:37], v[36:37], v[38:39], v[40:41] neg_lo:[0,0,1] neg_hi:[0,0,1]
	v_mov_b32_e32 v37, v95
	s_delay_alu instid0(VALU_DEP_1)
	v_pk_add_f32 v[38:39], v[36:37], 0 neg_lo:[1,1] neg_hi:[1,1]
	ds_store_b64 v56, v[38:39]
.LBB65_423:                             ;   in Loop: Header=BB65_3 Depth=1
	s_or_b32 exec_lo, exec_lo, s66
	s_wait_dscnt 0x0
	s_barrier_signal -1
	s_barrier_wait -1
	s_and_saveexec_b32 s66, s44
	s_cbranch_execz .LBB65_425
; %bb.424:                              ;   in Loop: Header=BB65_3 Depth=1
	ds_load_b64 v[38:39], v57 offset:19200
	ds_load_b64 v[40:41], v56
	s_wait_dscnt 0x0
	v_pk_mul_f32 v[94:95], v[40:41], v[38:39] op_sel:[1,1] op_sel_hi:[0,1]
	s_delay_alu instid0(VALU_DEP_1) | instskip(SKIP_1) | instid1(VALU_DEP_2)
	v_pk_fma_f32 v[96:97], v[40:41], v[38:39], v[94:95] op_sel_hi:[1,0,1]
	v_pk_fma_f32 v[38:39], v[40:41], v[38:39], v[94:95] neg_lo:[0,0,1] neg_hi:[0,0,1]
	v_mov_b32_e32 v39, v97
	s_delay_alu instid0(VALU_DEP_1)
	v_pk_add_f32 v[36:37], v[36:37], v[38:39] neg_lo:[0,1] neg_hi:[0,1]
.LBB65_425:                             ;   in Loop: Header=BB65_3 Depth=1
	s_or_b32 exec_lo, exec_lo, s66
	s_barrier_signal -1
	s_barrier_wait -1
	s_and_saveexec_b32 s66, s45
	s_cbranch_execz .LBB65_427
; %bb.426:                              ;   in Loop: Header=BB65_3 Depth=1
	ds_load_b64 v[38:39], v5 offset:18720
	s_wait_dscnt 0x0
	v_pk_mul_f32 v[40:41], v[36:37], v[38:39]
	v_pk_mul_f32 v[36:37], v[36:37], v[38:39] op_sel:[1,0] op_sel_hi:[0,1]
	s_delay_alu instid0(VALU_DEP_1) | instskip(NEXT) | instid1(VALU_DEP_3)
	v_dual_mov_b32 v38, v40 :: v_dual_mov_b32 v39, v36
	v_mov_b32_e32 v36, v41
	s_delay_alu instid0(VALU_DEP_1) | instskip(SKIP_1) | instid1(VALU_DEP_2)
	v_pk_add_f32 v[40:41], v[38:39], v[36:37]
	v_pk_add_f32 v[36:37], v[38:39], v[36:37] neg_lo:[0,1] neg_hi:[0,1]
	v_mov_b32_e32 v37, v41
	s_delay_alu instid0(VALU_DEP_1)
	v_pk_add_f32 v[38:39], v[36:37], 0 neg_lo:[1,1] neg_hi:[1,1]
	ds_store_b64 v56, v[38:39]
.LBB65_427:                             ;   in Loop: Header=BB65_3 Depth=1
	s_or_b32 exec_lo, exec_lo, s66
	s_wait_dscnt 0x0
	s_barrier_signal -1
	s_barrier_wait -1
	s_and_saveexec_b32 s66, s46
	s_cbranch_execz .LBB65_429
; %bb.428:                              ;   in Loop: Header=BB65_3 Depth=1
	ds_load_b64 v[38:39], v57 offset:18688
	ds_load_b64 v[40:41], v56
	s_wait_dscnt 0x0
	v_dual_mul_f32 v4, v41, v39 :: v_dual_mul_f32 v39, v40, v39
	s_delay_alu instid0(VALU_DEP_1) | instskip(NEXT) | instid1(VALU_DEP_1)
	v_dual_fma_f32 v4, v40, v38, -v4 :: v_dual_fmac_f32 v39, v41, v38
	v_dual_sub_f32 v36, v36, v4 :: v_dual_sub_f32 v37, v37, v39
.LBB65_429:                             ;   in Loop: Header=BB65_3 Depth=1
	s_or_b32 exec_lo, exec_lo, s66
	s_barrier_signal -1
	s_barrier_wait -1
	s_and_saveexec_b32 s66, s47
	s_cbranch_execz .LBB65_431
; %bb.430:                              ;   in Loop: Header=BB65_3 Depth=1
	ds_load_b64 v[38:39], v5 offset:18200
	s_wait_dscnt 0x0
	v_dual_mul_f32 v4, v37, v38 :: v_dual_mul_f32 v40, v37, v39
	s_delay_alu instid0(VALU_DEP_1) | instskip(NEXT) | instid1(VALU_DEP_2)
	v_pk_fma_f32 v[94:95], v[36:37], v[38:39], v[4:5] op_sel:[1,0,0] op_sel_hi:[0,1,0]
	v_pk_fma_f32 v[36:37], v[36:37], v[38:39], v[40:41] op_sel_hi:[1,1,0] neg_lo:[0,0,1] neg_hi:[0,0,1]
	s_delay_alu instid0(VALU_DEP_2) | instskip(NEXT) | instid1(VALU_DEP_1)
	v_mov_b32_e32 v37, v95
	v_pk_add_f32 v[38:39], v[36:37], 0 neg_lo:[1,1] neg_hi:[1,1]
	ds_store_b64 v56, v[38:39]
.LBB65_431:                             ;   in Loop: Header=BB65_3 Depth=1
	s_or_b32 exec_lo, exec_lo, s66
	s_wait_dscnt 0x0
	s_barrier_signal -1
	s_barrier_wait -1
	s_and_saveexec_b32 s66, s48
	s_cbranch_execz .LBB65_433
; %bb.432:                              ;   in Loop: Header=BB65_3 Depth=1
	ds_load_b64 v[38:39], v57 offset:18176
	ds_load_b64 v[40:41], v56
	s_wait_dscnt 0x0
	v_pk_mul_f32 v[94:95], v[40:41], v[38:39] op_sel:[1,1] op_sel_hi:[0,1]
	s_delay_alu instid0(VALU_DEP_1) | instskip(SKIP_1) | instid1(VALU_DEP_2)
	v_pk_fma_f32 v[96:97], v[40:41], v[38:39], v[94:95] op_sel_hi:[1,0,1]
	v_pk_fma_f32 v[38:39], v[40:41], v[38:39], v[94:95] neg_lo:[0,0,1] neg_hi:[0,0,1]
	v_mov_b32_e32 v39, v97
	s_delay_alu instid0(VALU_DEP_1)
	v_pk_add_f32 v[36:37], v[36:37], v[38:39] neg_lo:[0,1] neg_hi:[0,1]
.LBB65_433:                             ;   in Loop: Header=BB65_3 Depth=1
	s_or_b32 exec_lo, exec_lo, s66
	s_barrier_signal -1
	s_barrier_wait -1
	s_and_saveexec_b32 s66, s49
	s_cbranch_execz .LBB65_435
; %bb.434:                              ;   in Loop: Header=BB65_3 Depth=1
	ds_load_b64 v[38:39], v5 offset:17680
	s_wait_dscnt 0x0
	v_pk_mul_f32 v[40:41], v[36:37], v[38:39] op_sel:[1,1] op_sel_hi:[1,0]
	s_delay_alu instid0(VALU_DEP_1) | instskip(SKIP_1) | instid1(VALU_DEP_2)
	v_pk_fma_f32 v[94:95], v[36:37], v[38:39], v[40:41] op_sel_hi:[0,1,1]
	v_pk_fma_f32 v[36:37], v[36:37], v[38:39], v[40:41] neg_lo:[0,0,1] neg_hi:[0,0,1]
	v_mov_b32_e32 v37, v95
	s_delay_alu instid0(VALU_DEP_1)
	v_pk_add_f32 v[38:39], v[36:37], 0 neg_lo:[1,1] neg_hi:[1,1]
	ds_store_b64 v56, v[38:39]
.LBB65_435:                             ;   in Loop: Header=BB65_3 Depth=1
	s_or_b32 exec_lo, exec_lo, s66
	s_wait_dscnt 0x0
	s_barrier_signal -1
	s_barrier_wait -1
	s_and_saveexec_b32 s66, s50
	s_cbranch_execz .LBB65_437
; %bb.436:                              ;   in Loop: Header=BB65_3 Depth=1
	ds_load_b64 v[38:39], v57 offset:17664
	ds_load_b64 v[40:41], v56
	s_wait_dscnt 0x0
	v_pk_mul_f32 v[94:95], v[40:41], v[38:39] op_sel:[1,1] op_sel_hi:[0,1]
	s_delay_alu instid0(VALU_DEP_1) | instskip(SKIP_1) | instid1(VALU_DEP_2)
	v_pk_fma_f32 v[96:97], v[40:41], v[38:39], v[94:95] op_sel_hi:[1,0,1]
	v_pk_fma_f32 v[38:39], v[40:41], v[38:39], v[94:95] neg_lo:[0,0,1] neg_hi:[0,0,1]
	v_mov_b32_e32 v39, v97
	s_delay_alu instid0(VALU_DEP_1)
	v_pk_add_f32 v[36:37], v[36:37], v[38:39] neg_lo:[0,1] neg_hi:[0,1]
.LBB65_437:                             ;   in Loop: Header=BB65_3 Depth=1
	s_or_b32 exec_lo, exec_lo, s66
	s_barrier_signal -1
	s_barrier_wait -1
	s_and_saveexec_b32 s66, s51
	s_cbranch_execz .LBB65_439
; %bb.438:                              ;   in Loop: Header=BB65_3 Depth=1
	ds_load_b64 v[38:39], v5 offset:17160
	s_wait_dscnt 0x0
	v_pk_mul_f32 v[40:41], v[36:37], v[38:39] op_sel:[1,1] op_sel_hi:[1,0]
	s_delay_alu instid0(VALU_DEP_1) | instskip(SKIP_1) | instid1(VALU_DEP_2)
	v_pk_fma_f32 v[94:95], v[36:37], v[38:39], v[40:41] op_sel_hi:[0,1,1]
	v_pk_fma_f32 v[36:37], v[36:37], v[38:39], v[40:41] neg_lo:[0,0,1] neg_hi:[0,0,1]
	v_mov_b32_e32 v37, v95
	s_delay_alu instid0(VALU_DEP_1)
	v_pk_add_f32 v[38:39], v[36:37], 0 neg_lo:[1,1] neg_hi:[1,1]
	ds_store_b64 v56, v[38:39]
.LBB65_439:                             ;   in Loop: Header=BB65_3 Depth=1
	s_or_b32 exec_lo, exec_lo, s66
	s_wait_dscnt 0x0
	s_barrier_signal -1
	s_barrier_wait -1
	s_and_saveexec_b32 s66, s52
	s_cbranch_execz .LBB65_441
; %bb.440:                              ;   in Loop: Header=BB65_3 Depth=1
	ds_load_b64 v[38:39], v5 offset:17152
	ds_load_b64 v[40:41], v56
	s_wait_dscnt 0x0
	v_pk_mul_f32 v[94:95], v[40:41], v[38:39] op_sel:[1,1] op_sel_hi:[0,1]
	s_delay_alu instid0(VALU_DEP_1) | instskip(SKIP_1) | instid1(VALU_DEP_2)
	v_pk_fma_f32 v[96:97], v[40:41], v[38:39], v[94:95] op_sel_hi:[1,0,1]
	v_pk_fma_f32 v[38:39], v[40:41], v[38:39], v[94:95] neg_lo:[0,0,1] neg_hi:[0,0,1]
	v_mov_b32_e32 v39, v97
	s_delay_alu instid0(VALU_DEP_1)
	v_pk_add_f32 v[36:37], v[36:37], v[38:39] neg_lo:[0,1] neg_hi:[0,1]
.LBB65_441:                             ;   in Loop: Header=BB65_3 Depth=1
	s_or_b32 exec_lo, exec_lo, s66
	s_barrier_signal -1
	s_barrier_wait -1
	s_and_saveexec_b32 s66, s52
	s_cbranch_execz .LBB65_443
; %bb.442:                              ;   in Loop: Header=BB65_3 Depth=1
	ds_load_b64 v[38:39], v5 offset:16640
	s_wait_dscnt 0x0
	v_pk_mul_f32 v[40:41], v[36:37], v[38:39] op_sel:[1,1] op_sel_hi:[1,0]
	s_delay_alu instid0(VALU_DEP_1) | instskip(SKIP_1) | instid1(VALU_DEP_2)
	v_pk_fma_f32 v[94:95], v[36:37], v[38:39], v[40:41] op_sel_hi:[0,1,1]
	v_pk_fma_f32 v[36:37], v[36:37], v[38:39], v[40:41] neg_lo:[0,0,1] neg_hi:[0,0,1]
	v_mov_b32_e32 v37, v95
	s_delay_alu instid0(VALU_DEP_1)
	v_pk_add_f32 v[38:39], v[36:37], 0 neg_lo:[1,1] neg_hi:[1,1]
	ds_store_b64 v56, v[38:39]
.LBB65_443:                             ;   in Loop: Header=BB65_3 Depth=1
	s_or_b32 exec_lo, exec_lo, s66
	s_wait_dscnt 0x0
	s_barrier_signal -1
	s_barrier_wait -1
	s_barrier_signal -1
	s_barrier_wait -1
	s_and_saveexec_b32 s66, s3
; %bb.444:                              ;   in Loop: Header=BB65_3 Depth=1
	ds_store_b64 v59, v[36:37] offset:24320
; %bb.445:                              ;   in Loop: Header=BB65_3 Depth=1
	s_or_b32 exec_lo, exec_lo, s66
	s_wait_dscnt 0x0
	s_barrier_signal -1
	s_barrier_wait -1
	s_barrier_signal -1
	s_barrier_wait -1
	s_and_saveexec_b32 s66, s53
	s_cbranch_execz .LBB65_447
; %bb.446:                              ;   in Loop: Header=BB65_3 Depth=1
	ds_load_b64 v[36:37], v72 offset:20736
	s_wait_dscnt 0x0
	ds_store_b64 v73, v[36:37] offset:16704
	ds_load_b64 v[36:37], v72 offset:20744
	s_wait_dscnt 0x0
	ds_store_b64 v73, v[36:37] offset:17216
	ds_load_b64 v[36:37], v72 offset:20752
	s_wait_dscnt 0x0
	ds_store_b64 v73, v[36:37] offset:17728
	ds_load_b64 v[36:37], v72 offset:20760
	s_wait_dscnt 0x0
	ds_store_b64 v73, v[36:37] offset:18240
	ds_load_b64 v[36:37], v72 offset:20768
	s_wait_dscnt 0x0
	ds_store_b64 v73, v[36:37] offset:18752
	ds_load_b64 v[36:37], v72 offset:20776
	s_wait_dscnt 0x0
	ds_store_b64 v73, v[36:37] offset:19264
	ds_load_b64 v[36:37], v72 offset:20784
	s_wait_dscnt 0x0
	ds_store_b64 v73, v[36:37] offset:19776
	ds_load_b64 v[36:37], v72 offset:20792
	s_wait_dscnt 0x0
	ds_store_b64 v73, v[36:37] offset:20288
.LBB65_447:                             ;   in Loop: Header=BB65_3 Depth=1
	s_or_b32 exec_lo, exec_lo, s66
	s_wait_dscnt 0x0
	s_barrier_signal -1
	s_barrier_wait -1
	s_and_saveexec_b32 s66, s14
	s_cbranch_execz .LBB65_449
; %bb.448:                              ;   in Loop: Header=BB65_3 Depth=1
	v_add_nc_u32_e64 v4, 0x130, 0
	ds_load_b64 v[40:41], v5 offset:20280
	ds_load_2addr_stride64_b64 v[36:39], v4 offset0:38 offset1:39
	s_wait_dscnt 0x0
	v_dual_mul_f32 v93, v41, v37 :: v_dual_mul_f32 v4, v40, v37
	s_delay_alu instid0(VALU_DEP_1) | instskip(NEXT) | instid1(VALU_DEP_1)
	v_xor_b32_e32 v94, 0x80000000, v93
	v_dual_fmac_f32 v4, v41, v36 :: v_dual_fmac_f32 v94, v40, v36
	s_delay_alu instid0(VALU_DEP_1) | instskip(SKIP_1) | instid1(VALU_DEP_2)
	v_pk_mul_f32 v[36:37], v[4:5], v[38:39] op_sel:[0,1] op_sel_hi:[0,0]
	v_add_nc_u32_e64 v4, 0x4800, 0
	v_pk_fma_f32 v[40:41], v[94:95], v[38:39], v[36:37] op_sel_hi:[0,1,1]
	v_pk_fma_f32 v[36:37], v[94:95], v[38:39], v[36:37] neg_lo:[0,0,1] neg_hi:[0,0,1]
	s_delay_alu instid0(VALU_DEP_2)
	v_mov_b32_e32 v37, v41
	ds_store_2addr_b64 v4, v[36:37], v[36:37] offset0:167 offset1:230
.LBB65_449:                             ;   in Loop: Header=BB65_3 Depth=1
	s_or_b32 exec_lo, exec_lo, s66
	v_dual_mov_b32 v36, 0 :: v_dual_mov_b32 v37, 0
	s_wait_dscnt 0x0
	s_barrier_signal -1
	s_barrier_wait -1
	global_wb scope:SCOPE_DEV
	s_wait_storecnt 0x0
	global_inv scope:SCOPE_DEV
	s_and_saveexec_b32 s66, s0
	s_cbranch_execz .LBB65_453
; %bb.450:                              ;   in Loop: Header=BB65_3 Depth=1
	ds_load_b64 v[36:37], v44 offset:19744
	ds_load_b64 v[38:39], v45 offset:20272
	s_wait_dscnt 0x0
	v_pk_mul_f32 v[40:41], v[38:39], v[36:37] op_sel:[1,1] op_sel_hi:[0,1]
	s_delay_alu instid0(VALU_DEP_1) | instskip(SKIP_1) | instid1(VALU_DEP_2)
	v_pk_fma_f32 v[94:95], v[38:39], v[36:37], v[40:41] op_sel_hi:[1,0,1]
	v_pk_fma_f32 v[36:37], v[38:39], v[36:37], v[40:41] neg_lo:[0,0,1] neg_hi:[0,0,1]
	v_mov_b32_e32 v37, v95
	s_delay_alu instid0(VALU_DEP_1)
	v_pk_add_f32 v[36:37], v[36:37], 0 op_sel_hi:[1,0]
	s_and_saveexec_b32 s67, s15
	s_cbranch_execz .LBB65_452
; %bb.451:                              ;   in Loop: Header=BB65_3 Depth=1
	ds_load_b64 v[38:39], v73 offset:20256
	ds_load_b64 v[40:41], v5 offset:20280
	s_wait_dscnt 0x0
	v_pk_mul_f32 v[94:95], v[40:41], v[38:39] op_sel:[1,1] op_sel_hi:[0,1]
	s_delay_alu instid0(VALU_DEP_1) | instskip(SKIP_1) | instid1(VALU_DEP_2)
	v_pk_fma_f32 v[96:97], v[40:41], v[38:39], v[94:95] op_sel_hi:[1,0,1]
	v_pk_fma_f32 v[38:39], v[40:41], v[38:39], v[94:95] neg_lo:[0,0,1] neg_hi:[0,0,1]
	v_mov_b32_e32 v39, v97
	s_delay_alu instid0(VALU_DEP_1)
	v_pk_add_f32 v[36:37], v[36:37], v[38:39]
.LBB65_452:                             ;   in Loop: Header=BB65_3 Depth=1
	s_or_b32 exec_lo, exec_lo, s67
.LBB65_453:                             ;   in Loop: Header=BB65_3 Depth=1
	s_delay_alu instid0(SALU_CYCLE_1)
	s_or_b32 exec_lo, exec_lo, s66
	s_and_saveexec_b32 s66, s96
	s_cbranch_execz .LBB65_455
; %bb.454:                              ;   in Loop: Header=BB65_3 Depth=1
	ds_load_b64 v[38:39], v5 offset:19240
	s_wait_dscnt 0x0
	v_pk_mul_f32 v[40:41], v[36:37], v[38:39] op_sel:[1,1] op_sel_hi:[1,0]
	s_delay_alu instid0(VALU_DEP_1) | instskip(SKIP_1) | instid1(VALU_DEP_2)
	v_pk_fma_f32 v[94:95], v[36:37], v[38:39], v[40:41] op_sel_hi:[0,1,1]
	v_pk_fma_f32 v[36:37], v[36:37], v[38:39], v[40:41] neg_lo:[0,0,1] neg_hi:[0,0,1]
	v_mov_b32_e32 v37, v95
	s_delay_alu instid0(VALU_DEP_1)
	v_pk_add_f32 v[38:39], v[36:37], 0 neg_lo:[1,1] neg_hi:[1,1]
	ds_store_b64 v3, v[38:39]
.LBB65_455:                             ;   in Loop: Header=BB65_3 Depth=1
	s_or_b32 exec_lo, exec_lo, s66
	s_wait_loadcnt_dscnt 0x0
	s_barrier_signal -1
	s_barrier_wait -1
	s_and_saveexec_b32 s66, s97
	s_cbranch_execz .LBB65_457
; %bb.456:                              ;   in Loop: Header=BB65_3 Depth=1
	ds_load_b64 v[38:39], v5 offset:19232
	ds_load_b64 v[40:41], v3
	s_wait_dscnt 0x0
	v_pk_mul_f32 v[94:95], v[40:41], v[38:39] op_sel:[1,1] op_sel_hi:[0,1]
	s_delay_alu instid0(VALU_DEP_1) | instskip(SKIP_1) | instid1(VALU_DEP_2)
	v_pk_fma_f32 v[96:97], v[40:41], v[38:39], v[94:95] op_sel_hi:[1,0,1]
	v_pk_fma_f32 v[38:39], v[40:41], v[38:39], v[94:95] neg_lo:[0,0,1] neg_hi:[0,0,1]
	v_mov_b32_e32 v39, v97
	s_delay_alu instid0(VALU_DEP_1)
	v_pk_add_f32 v[36:37], v[36:37], v[38:39] neg_lo:[0,1] neg_hi:[0,1]
.LBB65_457:                             ;   in Loop: Header=BB65_3 Depth=1
	s_or_b32 exec_lo, exec_lo, s66
	s_barrier_signal -1
	s_barrier_wait -1
	s_and_saveexec_b32 s66, s97
	s_cbranch_execz .LBB65_459
; %bb.458:                              ;   in Loop: Header=BB65_3 Depth=1
	ds_load_b64 v[38:39], v5 offset:18720
	s_wait_dscnt 0x0
	v_pk_mul_f32 v[40:41], v[36:37], v[38:39] op_sel:[1,1] op_sel_hi:[1,0]
	s_delay_alu instid0(VALU_DEP_1) | instskip(SKIP_1) | instid1(VALU_DEP_2)
	v_pk_fma_f32 v[94:95], v[36:37], v[38:39], v[40:41] op_sel_hi:[0,1,1]
	v_pk_fma_f32 v[36:37], v[36:37], v[38:39], v[40:41] neg_lo:[0,0,1] neg_hi:[0,0,1]
	v_mov_b32_e32 v37, v95
	s_delay_alu instid0(VALU_DEP_1)
	v_pk_add_f32 v[38:39], v[36:37], 0 neg_lo:[1,1] neg_hi:[1,1]
	ds_store_b64 v3, v[38:39]
.LBB65_459:                             ;   in Loop: Header=BB65_3 Depth=1
	s_or_b32 exec_lo, exec_lo, s66
	s_wait_dscnt 0x0
	s_barrier_signal -1
	s_barrier_wait -1
	s_barrier_signal -1
	s_barrier_wait -1
	s_and_saveexec_b32 s66, s0
; %bb.460:                              ;   in Loop: Header=BB65_3 Depth=1
	ds_store_b64 v47, v[36:37] offset:20256
; %bb.461:                              ;   in Loop: Header=BB65_3 Depth=1
	s_or_b32 exec_lo, exec_lo, s66
	s_wait_dscnt 0x0
	s_barrier_signal -1
	s_barrier_wait -1
	s_barrier_signal -1
	s_barrier_wait -1
	s_and_saveexec_b32 s66, s98
	s_cbranch_execz .LBB65_463
; %bb.462:                              ;   in Loop: Header=BB65_3 Depth=1
	ds_load_b64 v[36:37], v74 offset:19744
	s_wait_dscnt 0x0
	ds_store_b64 v73, v[36:37] offset:18736
	ds_load_b64 v[36:37], v74 offset:19752
	s_wait_dscnt 0x0
	ds_store_b64 v73, v[36:37] offset:19248
.LBB65_463:                             ;   in Loop: Header=BB65_3 Depth=1
	s_or_b32 exec_lo, exec_lo, s66
	s_wait_dscnt 0x0
	s_barrier_signal -1
	s_barrier_wait -1
	s_and_saveexec_b32 s66, s14
	s_cbranch_execz .LBB65_465
; %bb.464:                              ;   in Loop: Header=BB65_3 Depth=1
	v_add_nc_u32_e64 v4, 0x120, 0
	ds_load_b64 v[40:41], v5 offset:19240
	ds_load_2addr_stride64_b64 v[36:39], v4 offset0:36 offset1:37
	s_wait_dscnt 0x0
	v_dual_mul_f32 v93, v41, v37 :: v_dual_mul_f32 v4, v40, v37
	s_delay_alu instid0(VALU_DEP_1) | instskip(NEXT) | instid1(VALU_DEP_1)
	v_xor_b32_e32 v94, 0x80000000, v93
	v_dual_fmac_f32 v4, v41, v36 :: v_dual_fmac_f32 v94, v40, v36
	s_delay_alu instid0(VALU_DEP_1) | instskip(SKIP_1) | instid1(VALU_DEP_2)
	v_pk_mul_f32 v[36:37], v[4:5], v[38:39] op_sel:[0,1] op_sel_hi:[0,0]
	v_add_nc_u32_e64 v4, 0x4800, 0
	v_pk_fma_f32 v[40:41], v[94:95], v[38:39], v[36:37] op_sel_hi:[0,1,1]
	v_pk_fma_f32 v[36:37], v[94:95], v[38:39], v[36:37] neg_lo:[0,0,1] neg_hi:[0,0,1]
	s_delay_alu instid0(VALU_DEP_2)
	v_mov_b32_e32 v37, v41
	ds_store_2addr_b64 v4, v[36:37], v[36:37] offset0:37 offset1:100
.LBB65_465:                             ;   in Loop: Header=BB65_3 Depth=1
	s_or_b32 exec_lo, exec_lo, s66
	v_mov_b64_e32 v[36:37], 0
	s_wait_dscnt 0x0
	s_barrier_signal -1
	s_barrier_wait -1
	global_wb scope:SCOPE_DEV
	s_wait_storecnt 0x0
	global_inv scope:SCOPE_DEV
	s_and_saveexec_b32 s66, s2
	s_cbranch_execz .LBB65_471
; %bb.466:                              ;   in Loop: Header=BB65_3 Depth=1
	ds_load_b64 v[36:37], v50 offset:18688
	ds_load_b64 v[38:39], v51 offset:20256
	s_wait_dscnt 0x0
	v_dual_mul_f32 v4, v39, v37 :: v_dual_mul_f32 v37, v38, v37
	s_delay_alu instid0(VALU_DEP_1) | instskip(NEXT) | instid1(VALU_DEP_1)
	v_dual_fma_f32 v4, v38, v36, -v4 :: v_dual_fmac_f32 v37, v39, v36
	v_dual_add_f32 v36, 0, v4 :: v_dual_add_f32 v37, 0, v37
	s_and_saveexec_b32 s67, s16
	s_cbranch_execnz .LBB65_1132
; %bb.467:                              ;   in Loop: Header=BB65_3 Depth=1
	s_or_b32 exec_lo, exec_lo, s67
	s_and_saveexec_b32 s67, s17
	s_cbranch_execnz .LBB65_1133
.LBB65_468:                             ;   in Loop: Header=BB65_3 Depth=1
	s_or_b32 exec_lo, exec_lo, s67
	s_and_saveexec_b32 s67, s0
	s_cbranch_execz .LBB65_470
.LBB65_469:                             ;   in Loop: Header=BB65_3 Depth=1
	ds_load_b64 v[38:39], v75 offset:20224
	ds_load_b64 v[40:41], v5 offset:20280
	s_wait_dscnt 0x0
	v_dual_mul_f32 v4, v41, v39 :: v_dual_mul_f32 v39, v40, v39
	s_delay_alu instid0(VALU_DEP_1) | instskip(NEXT) | instid1(VALU_DEP_1)
	v_dual_fma_f32 v4, v40, v38, -v4 :: v_dual_fmac_f32 v39, v41, v38
	v_dual_add_f32 v36, v36, v4 :: v_dual_add_f32 v37, v37, v39
.LBB65_470:                             ;   in Loop: Header=BB65_3 Depth=1
	s_or_b32 exec_lo, exec_lo, s67
.LBB65_471:                             ;   in Loop: Header=BB65_3 Depth=1
	s_delay_alu instid0(SALU_CYCLE_1)
	s_or_b32 exec_lo, exec_lo, s66
	s_and_saveexec_b32 s66, s99
	s_cbranch_execz .LBB65_473
; %bb.472:                              ;   in Loop: Header=BB65_3 Depth=1
	ds_load_b64 v[38:39], v5 offset:18200
	s_wait_dscnt 0x0
	v_dual_mul_f32 v4, v37, v38 :: v_dual_mul_f32 v40, v37, v39
	s_delay_alu instid0(VALU_DEP_1) | instskip(NEXT) | instid1(VALU_DEP_2)
	v_pk_fma_f32 v[94:95], v[36:37], v[38:39], v[4:5] op_sel:[1,0,0] op_sel_hi:[0,1,0]
	v_pk_fma_f32 v[36:37], v[36:37], v[38:39], v[40:41] op_sel_hi:[1,1,0] neg_lo:[0,0,1] neg_hi:[0,0,1]
	s_delay_alu instid0(VALU_DEP_2) | instskip(NEXT) | instid1(VALU_DEP_1)
	v_mov_b32_e32 v37, v95
	v_pk_add_f32 v[38:39], v[36:37], 0 neg_lo:[1,1] neg_hi:[1,1]
	ds_store_b64 v49, v[38:39]
.LBB65_473:                             ;   in Loop: Header=BB65_3 Depth=1
	s_or_b32 exec_lo, exec_lo, s66
	s_wait_loadcnt_dscnt 0x0
	s_barrier_signal -1
	s_barrier_wait -1
	s_and_saveexec_b32 s66, s100
	s_cbranch_execz .LBB65_475
; %bb.474:                              ;   in Loop: Header=BB65_3 Depth=1
	ds_load_b64 v[38:39], v50 offset:18176
	ds_load_b64 v[40:41], v49
	s_wait_dscnt 0x0
	v_pk_mul_f32 v[94:95], v[40:41], v[38:39] op_sel:[1,1] op_sel_hi:[0,1]
	s_delay_alu instid0(VALU_DEP_1) | instskip(SKIP_1) | instid1(VALU_DEP_2)
	v_pk_fma_f32 v[96:97], v[40:41], v[38:39], v[94:95] op_sel_hi:[1,0,1]
	v_pk_fma_f32 v[38:39], v[40:41], v[38:39], v[94:95] neg_lo:[0,0,1] neg_hi:[0,0,1]
	v_mov_b32_e32 v39, v97
	s_delay_alu instid0(VALU_DEP_1)
	v_pk_add_f32 v[36:37], v[36:37], v[38:39] neg_lo:[0,1] neg_hi:[0,1]
.LBB65_475:                             ;   in Loop: Header=BB65_3 Depth=1
	s_or_b32 exec_lo, exec_lo, s66
	s_barrier_signal -1
	s_barrier_wait -1
	s_and_saveexec_b32 s66, s101
	s_cbranch_execz .LBB65_477
; %bb.476:                              ;   in Loop: Header=BB65_3 Depth=1
	ds_load_b64 v[38:39], v5 offset:17680
	s_wait_dscnt 0x0
	v_pk_mul_f32 v[40:41], v[36:37], v[38:39] op_sel:[1,1] op_sel_hi:[1,0]
	s_delay_alu instid0(VALU_DEP_1) | instskip(SKIP_1) | instid1(VALU_DEP_2)
	v_pk_fma_f32 v[94:95], v[36:37], v[38:39], v[40:41] op_sel_hi:[0,1,1]
	v_pk_fma_f32 v[36:37], v[36:37], v[38:39], v[40:41] neg_lo:[0,0,1] neg_hi:[0,0,1]
	v_mov_b32_e32 v37, v95
	s_delay_alu instid0(VALU_DEP_1)
	v_pk_add_f32 v[38:39], v[36:37], 0 neg_lo:[1,1] neg_hi:[1,1]
	ds_store_b64 v49, v[38:39]
.LBB65_477:                             ;   in Loop: Header=BB65_3 Depth=1
	s_or_b32 exec_lo, exec_lo, s66
	s_wait_dscnt 0x0
	s_barrier_signal -1
	s_barrier_wait -1
	s_and_saveexec_b32 s66, s102
	s_cbranch_execz .LBB65_479
; %bb.478:                              ;   in Loop: Header=BB65_3 Depth=1
	ds_load_b64 v[38:39], v50 offset:17664
	ds_load_b64 v[40:41], v49
	s_wait_dscnt 0x0
	v_pk_mul_f32 v[94:95], v[40:41], v[38:39] op_sel:[1,1] op_sel_hi:[0,1]
	s_delay_alu instid0(VALU_DEP_1) | instskip(SKIP_1) | instid1(VALU_DEP_2)
	v_pk_fma_f32 v[96:97], v[40:41], v[38:39], v[94:95] op_sel_hi:[1,0,1]
	v_pk_fma_f32 v[38:39], v[40:41], v[38:39], v[94:95] neg_lo:[0,0,1] neg_hi:[0,0,1]
	v_mov_b32_e32 v39, v97
	s_delay_alu instid0(VALU_DEP_1)
	v_pk_add_f32 v[36:37], v[36:37], v[38:39] neg_lo:[0,1] neg_hi:[0,1]
.LBB65_479:                             ;   in Loop: Header=BB65_3 Depth=1
	s_or_b32 exec_lo, exec_lo, s66
	s_barrier_signal -1
	s_barrier_wait -1
	s_and_saveexec_b32 s66, s103
	s_cbranch_execz .LBB65_481
; %bb.480:                              ;   in Loop: Header=BB65_3 Depth=1
	ds_load_b64 v[38:39], v5 offset:17160
	s_wait_dscnt 0x0
	v_pk_mul_f32 v[40:41], v[36:37], v[38:39] op_sel:[1,1] op_sel_hi:[1,0]
	s_delay_alu instid0(VALU_DEP_1) | instskip(SKIP_1) | instid1(VALU_DEP_2)
	v_pk_fma_f32 v[94:95], v[36:37], v[38:39], v[40:41] op_sel_hi:[0,1,1]
	v_pk_fma_f32 v[36:37], v[36:37], v[38:39], v[40:41] neg_lo:[0,0,1] neg_hi:[0,0,1]
	v_mov_b32_e32 v37, v95
	s_delay_alu instid0(VALU_DEP_1)
	v_pk_add_f32 v[38:39], v[36:37], 0 neg_lo:[1,1] neg_hi:[1,1]
	ds_store_b64 v49, v[38:39]
.LBB65_481:                             ;   in Loop: Header=BB65_3 Depth=1
	s_or_b32 exec_lo, exec_lo, s66
	s_wait_dscnt 0x0
	;; [unrolled: 35-line block ×3, first 2 shown]
	s_barrier_signal -1
	s_barrier_wait -1
	s_barrier_signal -1
	s_barrier_wait -1
	s_and_saveexec_b32 s66, s2
; %bb.486:                              ;   in Loop: Header=BB65_3 Depth=1
	ds_store_b64 v54, v[36:37] offset:20224
; %bb.487:                              ;   in Loop: Header=BB65_3 Depth=1
	s_or_b32 exec_lo, exec_lo, s66
	s_wait_dscnt 0x0
	s_barrier_signal -1
	s_barrier_wait -1
	s_barrier_signal -1
	s_barrier_wait -1
	s_and_saveexec_b32 s66, vcc_hi
	s_cbranch_execz .LBB65_489
; %bb.488:                              ;   in Loop: Header=BB65_3 Depth=1
	ds_load_b64 v[36:37], v78 offset:18688
	s_wait_dscnt 0x0
	ds_store_b64 v81, v[36:37] offset:16672
	ds_load_b64 v[36:37], v78 offset:18696
	s_wait_dscnt 0x0
	ds_store_b64 v81, v[36:37] offset:17184
	;; [unrolled: 3-line block ×4, first 2 shown]
.LBB65_489:                             ;   in Loop: Header=BB65_3 Depth=1
	s_or_b32 exec_lo, exec_lo, s66
	s_wait_dscnt 0x0
	s_barrier_signal -1
	s_barrier_wait -1
	s_and_saveexec_b32 s66, s14
	s_cbranch_execz .LBB65_491
; %bb.490:                              ;   in Loop: Header=BB65_3 Depth=1
	v_add_nc_u32_e64 v4, 0x110, 0
	ds_load_b64 v[40:41], v5 offset:18200
	ds_load_2addr_stride64_b64 v[36:39], v4 offset0:34 offset1:35
	s_wait_dscnt 0x0
	v_dual_mul_f32 v93, v41, v37 :: v_dual_mul_f32 v4, v40, v37
	s_delay_alu instid0(VALU_DEP_1) | instskip(NEXT) | instid1(VALU_DEP_1)
	v_xor_b32_e32 v94, 0x80000000, v93
	v_dual_fmac_f32 v4, v41, v36 :: v_dual_fmac_f32 v94, v40, v36
	s_delay_alu instid0(VALU_DEP_1) | instskip(SKIP_1) | instid1(VALU_DEP_2)
	v_pk_mul_f32 v[36:37], v[4:5], v[38:39] op_sel:[0,1] op_sel_hi:[0,0]
	v_add_nc_u32_e64 v4, 0x4000, 0
	v_pk_fma_f32 v[40:41], v[94:95], v[38:39], v[36:37] op_sel_hi:[0,1,1]
	v_pk_fma_f32 v[36:37], v[94:95], v[38:39], v[36:37] neg_lo:[0,0,1] neg_hi:[0,0,1]
	s_delay_alu instid0(VALU_DEP_2)
	v_mov_b32_e32 v37, v41
	ds_store_2addr_b64 v4, v[36:37], v[36:37] offset0:163 offset1:226
.LBB65_491:                             ;   in Loop: Header=BB65_3 Depth=1
	s_or_b32 exec_lo, exec_lo, s66
	v_dual_mov_b32 v36, 0 :: v_dual_mov_b32 v37, 0
	s_wait_dscnt 0x0
	s_barrier_signal -1
	s_barrier_wait -1
	global_wb scope:SCOPE_DEV
	s_wait_storecnt 0x0
	global_inv scope:SCOPE_DEV
	s_and_saveexec_b32 s66, s0
	s_cbranch_execz .LBB65_495
; %bb.492:                              ;   in Loop: Header=BB65_3 Depth=1
	ds_load_b64 v[36:37], v44 offset:17664
	ds_load_b64 v[38:39], v45 offset:18192
	s_wait_dscnt 0x0
	v_pk_mul_f32 v[40:41], v[38:39], v[36:37] op_sel:[1,1] op_sel_hi:[0,1]
	s_delay_alu instid0(VALU_DEP_1) | instskip(SKIP_1) | instid1(VALU_DEP_2)
	v_pk_fma_f32 v[94:95], v[38:39], v[36:37], v[40:41] op_sel_hi:[1,0,1]
	v_pk_fma_f32 v[36:37], v[38:39], v[36:37], v[40:41] neg_lo:[0,0,1] neg_hi:[0,0,1]
	v_mov_b32_e32 v37, v95
	s_delay_alu instid0(VALU_DEP_1)
	v_pk_add_f32 v[36:37], v[36:37], 0 op_sel_hi:[1,0]
	s_and_saveexec_b32 s67, s15
	s_cbranch_execz .LBB65_494
; %bb.493:                              ;   in Loop: Header=BB65_3 Depth=1
	ds_load_b64 v[38:39], v81 offset:18176
	ds_load_b64 v[40:41], v5 offset:18200
	s_wait_dscnt 0x0
	v_pk_mul_f32 v[94:95], v[40:41], v[38:39] op_sel:[1,1] op_sel_hi:[0,1]
	s_delay_alu instid0(VALU_DEP_1) | instskip(SKIP_1) | instid1(VALU_DEP_2)
	v_pk_fma_f32 v[96:97], v[40:41], v[38:39], v[94:95] op_sel_hi:[1,0,1]
	v_pk_fma_f32 v[38:39], v[40:41], v[38:39], v[94:95] neg_lo:[0,0,1] neg_hi:[0,0,1]
	v_mov_b32_e32 v39, v97
	s_delay_alu instid0(VALU_DEP_1)
	v_pk_add_f32 v[36:37], v[36:37], v[38:39]
.LBB65_494:                             ;   in Loop: Header=BB65_3 Depth=1
	s_or_b32 exec_lo, exec_lo, s67
.LBB65_495:                             ;   in Loop: Header=BB65_3 Depth=1
	s_delay_alu instid0(SALU_CYCLE_1)
	s_or_b32 exec_lo, exec_lo, s66
	s_and_saveexec_b32 s66, s96
	s_cbranch_execz .LBB65_497
; %bb.496:                              ;   in Loop: Header=BB65_3 Depth=1
	ds_load_b64 v[38:39], v5 offset:17160
	s_wait_dscnt 0x0
	v_pk_mul_f32 v[40:41], v[36:37], v[38:39] op_sel:[1,1] op_sel_hi:[1,0]
	s_delay_alu instid0(VALU_DEP_1) | instskip(SKIP_1) | instid1(VALU_DEP_2)
	v_pk_fma_f32 v[94:95], v[36:37], v[38:39], v[40:41] op_sel_hi:[0,1,1]
	v_pk_fma_f32 v[36:37], v[36:37], v[38:39], v[40:41] neg_lo:[0,0,1] neg_hi:[0,0,1]
	v_mov_b32_e32 v37, v95
	s_delay_alu instid0(VALU_DEP_1)
	v_pk_add_f32 v[38:39], v[36:37], 0 neg_lo:[1,1] neg_hi:[1,1]
	ds_store_b64 v3, v[38:39]
.LBB65_497:                             ;   in Loop: Header=BB65_3 Depth=1
	s_or_b32 exec_lo, exec_lo, s66
	s_wait_loadcnt_dscnt 0x0
	s_barrier_signal -1
	s_barrier_wait -1
	s_and_saveexec_b32 s66, s97
	s_cbranch_execz .LBB65_499
; %bb.498:                              ;   in Loop: Header=BB65_3 Depth=1
	ds_load_b64 v[38:39], v5 offset:17152
	ds_load_b64 v[40:41], v3
	s_wait_dscnt 0x0
	v_pk_mul_f32 v[94:95], v[40:41], v[38:39] op_sel:[1,1] op_sel_hi:[0,1]
	s_delay_alu instid0(VALU_DEP_1) | instskip(SKIP_1) | instid1(VALU_DEP_2)
	v_pk_fma_f32 v[96:97], v[40:41], v[38:39], v[94:95] op_sel_hi:[1,0,1]
	v_pk_fma_f32 v[38:39], v[40:41], v[38:39], v[94:95] neg_lo:[0,0,1] neg_hi:[0,0,1]
	v_mov_b32_e32 v39, v97
	s_delay_alu instid0(VALU_DEP_1)
	v_pk_add_f32 v[36:37], v[36:37], v[38:39] neg_lo:[0,1] neg_hi:[0,1]
.LBB65_499:                             ;   in Loop: Header=BB65_3 Depth=1
	s_or_b32 exec_lo, exec_lo, s66
	s_barrier_signal -1
	s_barrier_wait -1
	s_and_saveexec_b32 s66, s97
	s_cbranch_execz .LBB65_501
; %bb.500:                              ;   in Loop: Header=BB65_3 Depth=1
	ds_load_b64 v[38:39], v5 offset:16640
	s_wait_dscnt 0x0
	v_pk_mul_f32 v[40:41], v[36:37], v[38:39] op_sel:[1,1] op_sel_hi:[1,0]
	s_delay_alu instid0(VALU_DEP_1) | instskip(SKIP_1) | instid1(VALU_DEP_2)
	v_pk_fma_f32 v[94:95], v[36:37], v[38:39], v[40:41] op_sel_hi:[0,1,1]
	v_pk_fma_f32 v[36:37], v[36:37], v[38:39], v[40:41] neg_lo:[0,0,1] neg_hi:[0,0,1]
	v_mov_b32_e32 v37, v95
	s_delay_alu instid0(VALU_DEP_1)
	v_pk_add_f32 v[38:39], v[36:37], 0 neg_lo:[1,1] neg_hi:[1,1]
	ds_store_b64 v3, v[38:39]
.LBB65_501:                             ;   in Loop: Header=BB65_3 Depth=1
	s_or_b32 exec_lo, exec_lo, s66
	s_wait_dscnt 0x0
	s_barrier_signal -1
	s_barrier_wait -1
	s_barrier_signal -1
	s_barrier_wait -1
	s_and_saveexec_b32 s66, s0
; %bb.502:                              ;   in Loop: Header=BB65_3 Depth=1
	ds_store_b64 v47, v[36:37] offset:18176
; %bb.503:                              ;   in Loop: Header=BB65_3 Depth=1
	s_or_b32 exec_lo, exec_lo, s66
	s_wait_dscnt 0x0
	s_barrier_signal -1
	s_barrier_wait -1
	s_barrier_signal -1
	s_barrier_wait -1
	s_and_saveexec_b32 s66, s98
	s_cbranch_execz .LBB65_505
; %bb.504:                              ;   in Loop: Header=BB65_3 Depth=1
	ds_load_b64 v[36:37], v82 offset:17664
	s_wait_dscnt 0x0
	ds_store_b64 v81, v[36:37] offset:16656
	ds_load_b64 v[36:37], v82 offset:17672
	s_wait_dscnt 0x0
	ds_store_b64 v81, v[36:37] offset:17168
.LBB65_505:                             ;   in Loop: Header=BB65_3 Depth=1
	s_or_b32 exec_lo, exec_lo, s66
	s_wait_dscnt 0x0
	s_barrier_signal -1
	s_barrier_wait -1
	s_and_saveexec_b32 s66, s14
	s_cbranch_execz .LBB65_507
; %bb.506:                              ;   in Loop: Header=BB65_3 Depth=1
	v_add_nc_u32_e64 v4, 0x100, 0
	ds_load_b64 v[40:41], v5 offset:17160
	ds_load_2addr_stride64_b64 v[36:39], v4 offset0:32 offset1:33
	s_wait_dscnt 0x0
	v_dual_mul_f32 v93, v41, v37 :: v_dual_mul_f32 v4, v40, v37
	s_delay_alu instid0(VALU_DEP_1) | instskip(NEXT) | instid1(VALU_DEP_1)
	v_xor_b32_e32 v94, 0x80000000, v93
	v_dual_fmac_f32 v4, v41, v36 :: v_dual_fmac_f32 v94, v40, v36
	s_delay_alu instid0(VALU_DEP_1) | instskip(SKIP_1) | instid1(VALU_DEP_2)
	v_pk_mul_f32 v[36:37], v[4:5], v[38:39] op_sel:[0,1] op_sel_hi:[0,0]
	v_add_nc_u32_e64 v4, 0x4000, 0
	v_pk_fma_f32 v[40:41], v[94:95], v[38:39], v[36:37] op_sel_hi:[0,1,1]
	v_pk_fma_f32 v[36:37], v[94:95], v[38:39], v[36:37] neg_lo:[0,0,1] neg_hi:[0,0,1]
	s_delay_alu instid0(VALU_DEP_2)
	v_mov_b32_e32 v37, v41
	ds_store_2addr_b64 v4, v[36:37], v[36:37] offset0:33 offset1:96
.LBB65_507:                             ;   in Loop: Header=BB65_3 Depth=1
	s_or_b32 exec_lo, exec_lo, s66
	v_mov_b64_e32 v[36:37], 0
	s_wait_dscnt 0x0
	s_barrier_signal -1
	s_barrier_wait -1
	global_wb scope:SCOPE_DEV
	s_wait_storecnt 0x0
	global_inv scope:SCOPE_DEV
	s_and_saveexec_b32 s66, s35
	s_cbranch_execz .LBB65_569
; %bb.508:                              ;   in Loop: Header=BB65_3 Depth=1
	ds_load_b64 v[36:37], v64 offset:16384
	ds_load_b64 v[38:39], v66 offset:32512
	v_readlane_b32 s54, v103, 11
	s_wait_dscnt 0x0
	v_dual_mul_f32 v4, v39, v37 :: v_dual_mul_f32 v37, v38, v37
	s_delay_alu instid0(VALU_DEP_1) | instskip(NEXT) | instid1(VALU_DEP_1)
	v_dual_fma_f32 v4, v38, v36, -v4 :: v_dual_fmac_f32 v37, v39, v36
	v_dual_add_f32 v36, 0, v4 :: v_dual_add_f32 v37, 0, v37
	s_and_saveexec_b32 s67, s54
	s_cbranch_execz .LBB65_510
; %bb.509:                              ;   in Loop: Header=BB65_3 Depth=1
	ds_load_b64 v[38:39], v64 offset:16896
	ds_load_b64 v[40:41], v66 offset:32520
	s_wait_dscnt 0x0
	v_dual_mul_f32 v4, v41, v39 :: v_dual_mul_f32 v39, v40, v39
	s_delay_alu instid0(VALU_DEP_1) | instskip(NEXT) | instid1(VALU_DEP_1)
	v_dual_fma_f32 v4, v40, v38, -v4 :: v_dual_fmac_f32 v39, v41, v38
	v_dual_add_f32 v36, v36, v4 :: v_dual_add_f32 v37, v37, v39
.LBB65_510:                             ;   in Loop: Header=BB65_3 Depth=1
	s_or_b32 exec_lo, exec_lo, s67
	v_readlane_b32 s54, v103, 12
	s_and_saveexec_b32 s67, s54
	s_cbranch_execz .LBB65_512
; %bb.511:                              ;   in Loop: Header=BB65_3 Depth=1
	ds_load_b64 v[38:39], v64 offset:17408
	ds_load_b64 v[40:41], v66 offset:32528
	s_wait_dscnt 0x0
	v_dual_mul_f32 v4, v41, v39 :: v_dual_mul_f32 v39, v40, v39
	s_delay_alu instid0(VALU_DEP_1) | instskip(NEXT) | instid1(VALU_DEP_1)
	v_dual_fma_f32 v4, v40, v38, -v4 :: v_dual_fmac_f32 v39, v41, v38
	v_dual_add_f32 v36, v36, v4 :: v_dual_add_f32 v37, v37, v39
.LBB65_512:                             ;   in Loop: Header=BB65_3 Depth=1
	s_or_b32 exec_lo, exec_lo, s67
	v_readlane_b32 s54, v103, 13
	;; [unrolled: 13-line block ×22, first 2 shown]
	s_and_saveexec_b32 s67, s54
	s_cbranch_execz .LBB65_554
; %bb.553:                              ;   in Loop: Header=BB65_3 Depth=1
	ds_load_b64 v[38:39], v64 offset:28160
	ds_load_b64 v[40:41], v66 offset:32696
	s_wait_dscnt 0x0
	v_dual_mul_f32 v4, v41, v39 :: v_dual_mul_f32 v39, v40, v39
	s_delay_alu instid0(VALU_DEP_1) | instskip(NEXT) | instid1(VALU_DEP_1)
	v_dual_fma_f32 v4, v40, v38, -v4 :: v_dual_fmac_f32 v39, v41, v38
	v_dual_add_f32 v36, v36, v4 :: v_dual_add_f32 v37, v37, v39
.LBB65_554:                             ;   in Loop: Header=BB65_3 Depth=1
	s_or_b32 exec_lo, exec_lo, s67
	s_and_saveexec_b32 s67, s4
	s_cbranch_execz .LBB65_556
; %bb.555:                              ;   in Loop: Header=BB65_3 Depth=1
	ds_load_b64 v[38:39], v64 offset:28672
	ds_load_b64 v[40:41], v66 offset:32704
	s_wait_dscnt 0x0
	v_dual_mul_f32 v4, v41, v39 :: v_dual_mul_f32 v39, v40, v39
	s_delay_alu instid0(VALU_DEP_1) | instskip(NEXT) | instid1(VALU_DEP_1)
	v_dual_fma_f32 v4, v40, v38, -v4 :: v_dual_fmac_f32 v39, v41, v38
	v_dual_add_f32 v36, v36, v4 :: v_dual_add_f32 v37, v37, v39
.LBB65_556:                             ;   in Loop: Header=BB65_3 Depth=1
	s_or_b32 exec_lo, exec_lo, s67
	v_readlane_b32 s54, v104, 28
	s_and_saveexec_b32 s67, s54
	s_cbranch_execz .LBB65_558
; %bb.557:                              ;   in Loop: Header=BB65_3 Depth=1
	ds_load_b64 v[38:39], v64 offset:29184
	ds_load_b64 v[40:41], v66 offset:32712
	s_wait_dscnt 0x0
	v_dual_mul_f32 v4, v41, v39 :: v_dual_mul_f32 v39, v40, v39
	s_delay_alu instid0(VALU_DEP_1) | instskip(NEXT) | instid1(VALU_DEP_1)
	v_dual_fma_f32 v4, v40, v38, -v4 :: v_dual_fmac_f32 v39, v41, v38
	v_dual_add_f32 v36, v36, v4 :: v_dual_add_f32 v37, v37, v39
.LBB65_558:                             ;   in Loop: Header=BB65_3 Depth=1
	s_or_b32 exec_lo, exec_lo, s67
	v_readlane_b32 s54, v104, 30
	;; [unrolled: 13-line block ×4, first 2 shown]
	s_and_saveexec_b32 s67, s54
	s_cbranch_execz .LBB65_564
; %bb.563:                              ;   in Loop: Header=BB65_3 Depth=1
	ds_load_b64 v[38:39], v64 offset:30720
	ds_load_b64 v[40:41], v66 offset:32736
	s_wait_dscnt 0x0
	v_dual_mul_f32 v4, v41, v39 :: v_dual_mul_f32 v95, v40, v39
	s_delay_alu instid0(VALU_DEP_1) | instskip(NEXT) | instid1(VALU_DEP_1)
	v_dual_fma_f32 v94, v40, v38, -v4 :: v_dual_fmac_f32 v95, v41, v38
	v_pk_add_f32 v[36:37], v[36:37], v[94:95]
.LBB65_564:                             ;   in Loop: Header=BB65_3 Depth=1
	s_or_b32 exec_lo, exec_lo, s67
	v_readlane_b32 s54, v103, 4
	s_and_saveexec_b32 s67, s54
	s_cbranch_execnz .LBB65_1134
; %bb.565:                              ;   in Loop: Header=BB65_3 Depth=1
	s_or_b32 exec_lo, exec_lo, s67
	s_and_saveexec_b32 s67, s3
	s_cbranch_execnz .LBB65_1135
.LBB65_566:                             ;   in Loop: Header=BB65_3 Depth=1
	s_or_b32 exec_lo, exec_lo, s67
	s_and_saveexec_b32 s67, s21
	s_delay_alu instid0(SALU_CYCLE_1)
	s_xor_b32 s67, exec_lo, s67
	s_cbranch_execz .LBB65_568
.LBB65_567:                             ;   in Loop: Header=BB65_3 Depth=1
	ds_load_b64 v[38:39], v64 offset:32256
	ds_load_b64 v[40:41], v66 offset:32760
	s_wait_dscnt 0x0
	v_pk_mul_f32 v[94:95], v[40:41], v[38:39] op_sel:[1,1] op_sel_hi:[0,1]
	s_delay_alu instid0(VALU_DEP_1) | instskip(SKIP_1) | instid1(VALU_DEP_2)
	v_pk_fma_f32 v[96:97], v[40:41], v[38:39], v[94:95] op_sel_hi:[1,0,1]
	v_pk_fma_f32 v[38:39], v[40:41], v[38:39], v[94:95] neg_lo:[0,0,1] neg_hi:[0,0,1]
	v_mov_b32_e32 v39, v97
	s_delay_alu instid0(VALU_DEP_1)
	v_pk_add_f32 v[36:37], v[36:37], v[38:39]
.LBB65_568:                             ;   in Loop: Header=BB65_3 Depth=1
	s_or_b32 exec_lo, exec_lo, s67
.LBB65_569:                             ;   in Loop: Header=BB65_3 Depth=1
	s_delay_alu instid0(SALU_CYCLE_1)
	s_or_b32 exec_lo, exec_lo, s66
	v_dual_mov_b32 v4, v92 :: v_dual_mov_b32 v38, v91
	s_mov_b32 s66, 31
	s_branch .LBB65_571
.LBB65_570:                             ;   in Loop: Header=BB65_571 Depth=2
	s_or_b32 exec_lo, exec_lo, s68
	v_add_nc_u32_e32 v38, 0xfffffc00, v38
	v_add_nc_u32_e32 v4, 2, v4
	s_add_co_i32 s66, s66, -2
	s_cmp_eq_u32 s67, 0
	s_barrier_signal -1
	s_barrier_wait -1
	s_cbranch_scc1 .LBB65_579
.LBB65_571:                             ;   Parent Loop BB65_3 Depth=1
                                        ; =>  This Inner Loop Header: Depth=2
	s_delay_alu instid0(VALU_DEP_1) | instskip(SKIP_1) | instid1(SALU_CYCLE_1)
	v_cmp_eq_u32_e32 vcc_lo, 0, v4
	s_and_b32 s68, s72, vcc_lo
	s_and_saveexec_b32 s67, s68
	s_cbranch_execz .LBB65_573
; %bb.572:                              ;   in Loop: Header=BB65_571 Depth=2
	ds_load_b64 v[40:41], v85
	s_wait_dscnt 0x0
	v_pk_mul_f32 v[94:95], v[36:37], v[40:41] op_sel:[1,1] op_sel_hi:[1,0]
	s_delay_alu instid0(VALU_DEP_1) | instskip(SKIP_1) | instid1(VALU_DEP_2)
	v_pk_fma_f32 v[96:97], v[36:37], v[40:41], v[94:95] op_sel_hi:[0,1,1]
	v_pk_fma_f32 v[36:37], v[36:37], v[40:41], v[94:95] neg_lo:[0,0,1] neg_hi:[0,0,1]
	v_mov_b32_e32 v37, v97
	s_delay_alu instid0(VALU_DEP_1)
	v_pk_add_f32 v[40:41], v[36:37], 0 neg_lo:[1,1] neg_hi:[1,1]
	ds_store_b64 v65, v[40:41]
.LBB65_573:                             ;   in Loop: Header=BB65_571 Depth=2
	s_or_b32 exec_lo, exec_lo, s67
	v_cmp_gt_u32_e32 vcc_lo, s66, v7
	s_wait_loadcnt_dscnt 0x0
	s_barrier_signal -1
	s_barrier_wait -1
	s_and_b32 s68, s72, vcc_lo
	s_delay_alu instid0(SALU_CYCLE_1)
	s_and_saveexec_b32 s67, s68
	s_cbranch_execz .LBB65_575
; %bb.574:                              ;   in Loop: Header=BB65_571 Depth=2
	ds_load_b64 v[40:41], v38 offset:512
	ds_load_b64 v[94:95], v65
	s_wait_dscnt 0x0
	v_pk_mul_f32 v[96:97], v[94:95], v[40:41] op_sel:[1,1] op_sel_hi:[0,1]
	s_delay_alu instid0(VALU_DEP_1) | instskip(SKIP_1) | instid1(VALU_DEP_2)
	v_pk_fma_f32 v[98:99], v[94:95], v[40:41], v[96:97] op_sel_hi:[1,0,1]
	v_pk_fma_f32 v[40:41], v[94:95], v[40:41], v[96:97] neg_lo:[0,0,1] neg_hi:[0,0,1]
	v_mov_b32_e32 v41, v99
	s_delay_alu instid0(VALU_DEP_1)
	v_pk_add_f32 v[36:37], v[36:37], v[40:41] neg_lo:[0,1] neg_hi:[0,1]
.LBB65_575:                             ;   in Loop: Header=BB65_571 Depth=2
	s_or_b32 exec_lo, exec_lo, s67
	s_add_co_i32 s67, s66, -1
	s_delay_alu instid0(SALU_CYCLE_1) | instskip(SKIP_3) | instid1(SALU_CYCLE_1)
	v_cmp_eq_u32_e32 vcc_lo, s67, v7
	s_barrier_signal -1
	s_barrier_wait -1
	s_and_b32 s69, s72, vcc_lo
	s_and_saveexec_b32 s68, s69
	s_cbranch_execz .LBB65_577
; %bb.576:                              ;   in Loop: Header=BB65_571 Depth=2
	ds_load_b64 v[40:41], v85
	s_wait_dscnt 0x0
	v_pk_mul_f32 v[94:95], v[36:37], v[40:41] op_sel:[1,1] op_sel_hi:[1,0]
	s_delay_alu instid0(VALU_DEP_1) | instskip(SKIP_1) | instid1(VALU_DEP_2)
	v_pk_fma_f32 v[96:97], v[36:37], v[40:41], v[94:95] op_sel_hi:[0,1,1]
	v_pk_fma_f32 v[36:37], v[36:37], v[40:41], v[94:95] neg_lo:[0,0,1] neg_hi:[0,0,1]
	v_mov_b32_e32 v37, v97
	s_delay_alu instid0(VALU_DEP_1)
	v_pk_add_f32 v[40:41], v[36:37], 0 neg_lo:[1,1] neg_hi:[1,1]
	ds_store_b64 v65, v[40:41]
.LBB65_577:                             ;   in Loop: Header=BB65_571 Depth=2
	s_or_b32 exec_lo, exec_lo, s68
	v_cmp_gt_u32_e32 vcc_lo, s67, v7
	s_wait_dscnt 0x0
	s_barrier_signal -1
	s_barrier_wait -1
	s_and_b32 s69, s72, vcc_lo
	s_delay_alu instid0(SALU_CYCLE_1)
	s_and_saveexec_b32 s68, s69
	s_cbranch_execz .LBB65_570
; %bb.578:                              ;   in Loop: Header=BB65_571 Depth=2
	ds_load_b64 v[40:41], v38
	ds_load_b64 v[94:95], v65
	s_wait_dscnt 0x0
	v_pk_mul_f32 v[96:97], v[94:95], v[40:41] op_sel:[1,1] op_sel_hi:[0,1]
	s_delay_alu instid0(VALU_DEP_1) | instskip(SKIP_1) | instid1(VALU_DEP_2)
	v_pk_fma_f32 v[98:99], v[94:95], v[40:41], v[96:97] op_sel_hi:[1,0,1]
	v_pk_fma_f32 v[40:41], v[94:95], v[40:41], v[96:97] neg_lo:[0,0,1] neg_hi:[0,0,1]
	v_mov_b32_e32 v41, v99
	s_delay_alu instid0(VALU_DEP_1)
	v_pk_add_f32 v[36:37], v[36:37], v[40:41] neg_lo:[0,1] neg_hi:[0,1]
	s_branch .LBB65_570
.LBB65_579:                             ;   in Loop: Header=BB65_3 Depth=1
	s_and_saveexec_b32 s66, s35
; %bb.580:                              ;   in Loop: Header=BB65_3 Depth=1
	ds_store_b64 v67, v[36:37] offset:32256
; %bb.581:                              ;   in Loop: Header=BB65_3 Depth=1
	s_or_b32 exec_lo, exec_lo, s66
	v_readlane_b32 s54, v104, 6
	s_wait_dscnt 0x0
	s_barrier_signal -1
	s_barrier_wait -1
	s_barrier_signal -1
	s_barrier_wait -1
	s_and_saveexec_b32 s66, s54
	s_cbranch_execz .LBB65_583
; %bb.582:                              ;   in Loop: Header=BB65_3 Depth=1
	ds_load_b64 v[36:37], v82 offset:16384
	v_add_nc_u32_e32 v4, v82, v52
	s_wait_dscnt 0x0
	ds_store_b64 v4, v[36:37] offset:256
	ds_load_b64 v[36:37], v82 offset:16392
	s_wait_dscnt 0x0
	ds_store_b64 v4, v[36:37] offset:768
	ds_load_b64 v[36:37], v82 offset:16400
	;; [unrolled: 3-line block ×31, first 2 shown]
	s_wait_dscnt 0x0
	ds_store_b64 v4, v[36:37] offset:16128
.LBB65_583:                             ;   in Loop: Header=BB65_3 Depth=1
	s_or_b32 exec_lo, exec_lo, s66
	s_wait_dscnt 0x0
	s_barrier_signal -1
	s_barrier_wait -1
	s_and_saveexec_b32 s66, s14
	s_cbranch_execz .LBB65_585
; %bb.584:                              ;   in Loop: Header=BB65_3 Depth=1
	v_add_nc_u32_e64 v4, 0xf0, 0
	ds_load_b64 v[40:41], v5 offset:16120
	ds_load_2addr_stride64_b64 v[36:39], v4 offset0:30 offset1:31
	s_wait_dscnt 0x0
	v_dual_mul_f32 v93, v41, v37 :: v_dual_mul_f32 v4, v40, v37
	s_delay_alu instid0(VALU_DEP_1) | instskip(NEXT) | instid1(VALU_DEP_1)
	v_xor_b32_e32 v94, 0x80000000, v93
	v_dual_fmac_f32 v4, v41, v36 :: v_dual_fmac_f32 v94, v40, v36
	s_delay_alu instid0(VALU_DEP_1) | instskip(SKIP_1) | instid1(VALU_DEP_2)
	v_pk_mul_f32 v[36:37], v[4:5], v[38:39] op_sel:[0,1] op_sel_hi:[0,0]
	v_add_nc_u32_e64 v4, 0x3800, 0
	v_pk_fma_f32 v[40:41], v[94:95], v[38:39], v[36:37] op_sel_hi:[0,1,1]
	v_pk_fma_f32 v[36:37], v[94:95], v[38:39], v[36:37] neg_lo:[0,0,1] neg_hi:[0,0,1]
	s_delay_alu instid0(VALU_DEP_2)
	v_mov_b32_e32 v37, v41
	ds_store_2addr_b64 v4, v[36:37], v[36:37] offset0:159 offset1:222
.LBB65_585:                             ;   in Loop: Header=BB65_3 Depth=1
	s_or_b32 exec_lo, exec_lo, s66
	v_dual_mov_b32 v36, 0 :: v_dual_mov_b32 v37, 0
	s_wait_dscnt 0x0
	s_barrier_signal -1
	s_barrier_wait -1
	global_wb scope:SCOPE_DEV
	s_wait_storecnt 0x0
	global_inv scope:SCOPE_DEV
	s_and_saveexec_b32 s66, s0
	s_cbranch_execz .LBB65_589
; %bb.586:                              ;   in Loop: Header=BB65_3 Depth=1
	ds_load_b64 v[36:37], v44 offset:15584
	ds_load_b64 v[38:39], v45 offset:16112
	s_wait_dscnt 0x0
	v_pk_mul_f32 v[40:41], v[38:39], v[36:37] op_sel:[1,1] op_sel_hi:[0,1]
	s_delay_alu instid0(VALU_DEP_1) | instskip(SKIP_1) | instid1(VALU_DEP_2)
	v_pk_fma_f32 v[94:95], v[38:39], v[36:37], v[40:41] op_sel_hi:[1,0,1]
	v_pk_fma_f32 v[36:37], v[38:39], v[36:37], v[40:41] neg_lo:[0,0,1] neg_hi:[0,0,1]
	v_mov_b32_e32 v37, v95
	s_delay_alu instid0(VALU_DEP_1)
	v_pk_add_f32 v[36:37], v[36:37], 0 op_sel_hi:[1,0]
	s_and_saveexec_b32 s67, s15
	s_cbranch_execz .LBB65_588
; %bb.587:                              ;   in Loop: Header=BB65_3 Depth=1
	ds_load_b64 v[38:39], v46 offset:16096
	ds_load_b64 v[40:41], v5 offset:16120
	s_wait_dscnt 0x0
	v_pk_mul_f32 v[94:95], v[40:41], v[38:39] op_sel:[1,1] op_sel_hi:[0,1]
	s_delay_alu instid0(VALU_DEP_1) | instskip(SKIP_1) | instid1(VALU_DEP_2)
	v_pk_fma_f32 v[96:97], v[40:41], v[38:39], v[94:95] op_sel_hi:[1,0,1]
	v_pk_fma_f32 v[38:39], v[40:41], v[38:39], v[94:95] neg_lo:[0,0,1] neg_hi:[0,0,1]
	v_mov_b32_e32 v39, v97
	s_delay_alu instid0(VALU_DEP_1)
	v_pk_add_f32 v[36:37], v[36:37], v[38:39]
.LBB65_588:                             ;   in Loop: Header=BB65_3 Depth=1
	s_or_b32 exec_lo, exec_lo, s67
.LBB65_589:                             ;   in Loop: Header=BB65_3 Depth=1
	s_delay_alu instid0(SALU_CYCLE_1)
	s_or_b32 exec_lo, exec_lo, s66
	s_and_saveexec_b32 s66, s96
	s_cbranch_execz .LBB65_591
; %bb.590:                              ;   in Loop: Header=BB65_3 Depth=1
	ds_load_b64 v[38:39], v5 offset:15080
	s_wait_dscnt 0x0
	v_pk_mul_f32 v[40:41], v[36:37], v[38:39] op_sel:[1,1] op_sel_hi:[1,0]
	s_delay_alu instid0(VALU_DEP_1) | instskip(SKIP_1) | instid1(VALU_DEP_2)
	v_pk_fma_f32 v[94:95], v[36:37], v[38:39], v[40:41] op_sel_hi:[0,1,1]
	v_pk_fma_f32 v[36:37], v[36:37], v[38:39], v[40:41] neg_lo:[0,0,1] neg_hi:[0,0,1]
	v_mov_b32_e32 v37, v95
	s_delay_alu instid0(VALU_DEP_1)
	v_pk_add_f32 v[38:39], v[36:37], 0 neg_lo:[1,1] neg_hi:[1,1]
	ds_store_b64 v3, v[38:39]
.LBB65_591:                             ;   in Loop: Header=BB65_3 Depth=1
	s_or_b32 exec_lo, exec_lo, s66
	s_wait_loadcnt_dscnt 0x0
	s_barrier_signal -1
	s_barrier_wait -1
	s_and_saveexec_b32 s66, s97
	s_cbranch_execz .LBB65_593
; %bb.592:                              ;   in Loop: Header=BB65_3 Depth=1
	ds_load_b64 v[38:39], v5 offset:15072
	ds_load_b64 v[40:41], v3
	s_wait_dscnt 0x0
	v_pk_mul_f32 v[94:95], v[40:41], v[38:39] op_sel:[1,1] op_sel_hi:[0,1]
	s_delay_alu instid0(VALU_DEP_1) | instskip(SKIP_1) | instid1(VALU_DEP_2)
	v_pk_fma_f32 v[96:97], v[40:41], v[38:39], v[94:95] op_sel_hi:[1,0,1]
	v_pk_fma_f32 v[38:39], v[40:41], v[38:39], v[94:95] neg_lo:[0,0,1] neg_hi:[0,0,1]
	v_mov_b32_e32 v39, v97
	s_delay_alu instid0(VALU_DEP_1)
	v_pk_add_f32 v[36:37], v[36:37], v[38:39] neg_lo:[0,1] neg_hi:[0,1]
.LBB65_593:                             ;   in Loop: Header=BB65_3 Depth=1
	s_or_b32 exec_lo, exec_lo, s66
	s_barrier_signal -1
	s_barrier_wait -1
	s_and_saveexec_b32 s66, s97
	s_cbranch_execz .LBB65_595
; %bb.594:                              ;   in Loop: Header=BB65_3 Depth=1
	ds_load_b64 v[38:39], v5 offset:14560
	s_wait_dscnt 0x0
	v_pk_mul_f32 v[40:41], v[36:37], v[38:39] op_sel:[1,1] op_sel_hi:[1,0]
	s_delay_alu instid0(VALU_DEP_1) | instskip(SKIP_1) | instid1(VALU_DEP_2)
	v_pk_fma_f32 v[94:95], v[36:37], v[38:39], v[40:41] op_sel_hi:[0,1,1]
	v_pk_fma_f32 v[36:37], v[36:37], v[38:39], v[40:41] neg_lo:[0,0,1] neg_hi:[0,0,1]
	v_mov_b32_e32 v37, v95
	s_delay_alu instid0(VALU_DEP_1)
	v_pk_add_f32 v[38:39], v[36:37], 0 neg_lo:[1,1] neg_hi:[1,1]
	ds_store_b64 v3, v[38:39]
.LBB65_595:                             ;   in Loop: Header=BB65_3 Depth=1
	s_or_b32 exec_lo, exec_lo, s66
	s_wait_dscnt 0x0
	s_barrier_signal -1
	s_barrier_wait -1
	s_barrier_signal -1
	s_barrier_wait -1
	s_and_saveexec_b32 s66, s0
; %bb.596:                              ;   in Loop: Header=BB65_3 Depth=1
	ds_store_b64 v47, v[36:37] offset:16096
; %bb.597:                              ;   in Loop: Header=BB65_3 Depth=1
	s_or_b32 exec_lo, exec_lo, s66
	s_wait_dscnt 0x0
	s_barrier_signal -1
	s_barrier_wait -1
	s_barrier_signal -1
	s_barrier_wait -1
	s_and_saveexec_b32 s66, s98
	s_cbranch_execz .LBB65_599
; %bb.598:                              ;   in Loop: Header=BB65_3 Depth=1
	ds_load_b64 v[36:37], v48 offset:15584
	s_wait_dscnt 0x0
	ds_store_b64 v46, v[36:37] offset:14576
	ds_load_b64 v[36:37], v48 offset:15592
	s_wait_dscnt 0x0
	ds_store_b64 v46, v[36:37] offset:15088
.LBB65_599:                             ;   in Loop: Header=BB65_3 Depth=1
	s_or_b32 exec_lo, exec_lo, s66
	s_wait_dscnt 0x0
	s_barrier_signal -1
	s_barrier_wait -1
	s_and_saveexec_b32 s66, s14
	s_cbranch_execz .LBB65_601
; %bb.600:                              ;   in Loop: Header=BB65_3 Depth=1
	v_add_nc_u32_e64 v4, 0xe0, 0
	ds_load_b64 v[40:41], v5 offset:15080
	ds_load_2addr_stride64_b64 v[36:39], v4 offset0:28 offset1:29
	s_wait_dscnt 0x0
	v_dual_mul_f32 v93, v41, v37 :: v_dual_mul_f32 v4, v40, v37
	s_delay_alu instid0(VALU_DEP_1) | instskip(NEXT) | instid1(VALU_DEP_1)
	v_xor_b32_e32 v94, 0x80000000, v93
	v_dual_fmac_f32 v4, v41, v36 :: v_dual_fmac_f32 v94, v40, v36
	s_delay_alu instid0(VALU_DEP_1) | instskip(SKIP_1) | instid1(VALU_DEP_2)
	v_pk_mul_f32 v[36:37], v[4:5], v[38:39] op_sel:[0,1] op_sel_hi:[0,0]
	v_add_nc_u32_e64 v4, 0x3800, 0
	v_pk_fma_f32 v[40:41], v[94:95], v[38:39], v[36:37] op_sel_hi:[0,1,1]
	v_pk_fma_f32 v[36:37], v[94:95], v[38:39], v[36:37] neg_lo:[0,0,1] neg_hi:[0,0,1]
	s_delay_alu instid0(VALU_DEP_2)
	v_mov_b32_e32 v37, v41
	ds_store_2addr_b64 v4, v[36:37], v[36:37] offset0:29 offset1:92
.LBB65_601:                             ;   in Loop: Header=BB65_3 Depth=1
	s_or_b32 exec_lo, exec_lo, s66
	v_mov_b64_e32 v[36:37], 0
	s_wait_dscnt 0x0
	s_barrier_signal -1
	s_barrier_wait -1
	global_wb scope:SCOPE_DEV
	s_wait_storecnt 0x0
	global_inv scope:SCOPE_DEV
	s_and_saveexec_b32 s66, s2
	s_cbranch_execz .LBB65_607
; %bb.602:                              ;   in Loop: Header=BB65_3 Depth=1
	ds_load_b64 v[36:37], v50 offset:14528
	ds_load_b64 v[38:39], v51 offset:16096
	s_wait_dscnt 0x0
	v_dual_mul_f32 v4, v39, v37 :: v_dual_mul_f32 v37, v38, v37
	s_delay_alu instid0(VALU_DEP_1) | instskip(NEXT) | instid1(VALU_DEP_1)
	v_dual_fma_f32 v4, v38, v36, -v4 :: v_dual_fmac_f32 v37, v39, v36
	v_dual_add_f32 v36, 0, v4 :: v_dual_add_f32 v37, 0, v37
	s_and_saveexec_b32 s67, s16
	s_cbranch_execnz .LBB65_1136
; %bb.603:                              ;   in Loop: Header=BB65_3 Depth=1
	s_or_b32 exec_lo, exec_lo, s67
	s_and_saveexec_b32 s67, s17
	s_cbranch_execnz .LBB65_1137
.LBB65_604:                             ;   in Loop: Header=BB65_3 Depth=1
	s_or_b32 exec_lo, exec_lo, s67
	s_and_saveexec_b32 s67, s0
	s_cbranch_execz .LBB65_606
.LBB65_605:                             ;   in Loop: Header=BB65_3 Depth=1
	ds_load_b64 v[38:39], v53 offset:16064
	ds_load_b64 v[40:41], v5 offset:16120
	s_wait_dscnt 0x0
	v_dual_mul_f32 v4, v41, v39 :: v_dual_mul_f32 v39, v40, v39
	s_delay_alu instid0(VALU_DEP_1) | instskip(NEXT) | instid1(VALU_DEP_1)
	v_dual_fma_f32 v4, v40, v38, -v4 :: v_dual_fmac_f32 v39, v41, v38
	v_dual_add_f32 v36, v36, v4 :: v_dual_add_f32 v37, v37, v39
.LBB65_606:                             ;   in Loop: Header=BB65_3 Depth=1
	s_or_b32 exec_lo, exec_lo, s67
.LBB65_607:                             ;   in Loop: Header=BB65_3 Depth=1
	s_delay_alu instid0(SALU_CYCLE_1)
	s_or_b32 exec_lo, exec_lo, s66
	s_and_saveexec_b32 s66, s99
	s_cbranch_execz .LBB65_609
; %bb.608:                              ;   in Loop: Header=BB65_3 Depth=1
	ds_load_b64 v[38:39], v5 offset:14040
	s_wait_dscnt 0x0
	v_dual_mul_f32 v4, v37, v38 :: v_dual_mul_f32 v40, v37, v39
	s_delay_alu instid0(VALU_DEP_1) | instskip(NEXT) | instid1(VALU_DEP_2)
	v_pk_fma_f32 v[94:95], v[36:37], v[38:39], v[4:5] op_sel:[1,0,0] op_sel_hi:[0,1,0]
	v_pk_fma_f32 v[36:37], v[36:37], v[38:39], v[40:41] op_sel_hi:[1,1,0] neg_lo:[0,0,1] neg_hi:[0,0,1]
	s_delay_alu instid0(VALU_DEP_2) | instskip(NEXT) | instid1(VALU_DEP_1)
	v_mov_b32_e32 v37, v95
	v_pk_add_f32 v[38:39], v[36:37], 0 neg_lo:[1,1] neg_hi:[1,1]
	ds_store_b64 v49, v[38:39]
.LBB65_609:                             ;   in Loop: Header=BB65_3 Depth=1
	s_or_b32 exec_lo, exec_lo, s66
	s_wait_loadcnt_dscnt 0x0
	s_barrier_signal -1
	s_barrier_wait -1
	s_and_saveexec_b32 s66, s100
	s_cbranch_execz .LBB65_611
; %bb.610:                              ;   in Loop: Header=BB65_3 Depth=1
	ds_load_b64 v[38:39], v50 offset:14016
	ds_load_b64 v[40:41], v49
	s_wait_dscnt 0x0
	v_pk_mul_f32 v[94:95], v[40:41], v[38:39] op_sel:[1,1] op_sel_hi:[0,1]
	s_delay_alu instid0(VALU_DEP_1) | instskip(SKIP_1) | instid1(VALU_DEP_2)
	v_pk_fma_f32 v[96:97], v[40:41], v[38:39], v[94:95] op_sel_hi:[1,0,1]
	v_pk_fma_f32 v[38:39], v[40:41], v[38:39], v[94:95] neg_lo:[0,0,1] neg_hi:[0,0,1]
	v_mov_b32_e32 v39, v97
	s_delay_alu instid0(VALU_DEP_1)
	v_pk_add_f32 v[36:37], v[36:37], v[38:39] neg_lo:[0,1] neg_hi:[0,1]
.LBB65_611:                             ;   in Loop: Header=BB65_3 Depth=1
	s_or_b32 exec_lo, exec_lo, s66
	s_barrier_signal -1
	s_barrier_wait -1
	s_and_saveexec_b32 s66, s101
	s_cbranch_execz .LBB65_613
; %bb.612:                              ;   in Loop: Header=BB65_3 Depth=1
	ds_load_b64 v[38:39], v5 offset:13520
	s_wait_dscnt 0x0
	v_pk_mul_f32 v[40:41], v[36:37], v[38:39] op_sel:[1,1] op_sel_hi:[1,0]
	s_delay_alu instid0(VALU_DEP_1) | instskip(SKIP_1) | instid1(VALU_DEP_2)
	v_pk_fma_f32 v[94:95], v[36:37], v[38:39], v[40:41] op_sel_hi:[0,1,1]
	v_pk_fma_f32 v[36:37], v[36:37], v[38:39], v[40:41] neg_lo:[0,0,1] neg_hi:[0,0,1]
	v_mov_b32_e32 v37, v95
	s_delay_alu instid0(VALU_DEP_1)
	v_pk_add_f32 v[38:39], v[36:37], 0 neg_lo:[1,1] neg_hi:[1,1]
	ds_store_b64 v49, v[38:39]
.LBB65_613:                             ;   in Loop: Header=BB65_3 Depth=1
	s_or_b32 exec_lo, exec_lo, s66
	s_wait_dscnt 0x0
	s_barrier_signal -1
	s_barrier_wait -1
	s_and_saveexec_b32 s66, s102
	s_cbranch_execz .LBB65_615
; %bb.614:                              ;   in Loop: Header=BB65_3 Depth=1
	ds_load_b64 v[38:39], v50 offset:13504
	ds_load_b64 v[40:41], v49
	s_wait_dscnt 0x0
	v_pk_mul_f32 v[94:95], v[40:41], v[38:39] op_sel:[1,1] op_sel_hi:[0,1]
	s_delay_alu instid0(VALU_DEP_1) | instskip(SKIP_1) | instid1(VALU_DEP_2)
	v_pk_fma_f32 v[96:97], v[40:41], v[38:39], v[94:95] op_sel_hi:[1,0,1]
	v_pk_fma_f32 v[38:39], v[40:41], v[38:39], v[94:95] neg_lo:[0,0,1] neg_hi:[0,0,1]
	v_mov_b32_e32 v39, v97
	s_delay_alu instid0(VALU_DEP_1)
	v_pk_add_f32 v[36:37], v[36:37], v[38:39] neg_lo:[0,1] neg_hi:[0,1]
.LBB65_615:                             ;   in Loop: Header=BB65_3 Depth=1
	s_or_b32 exec_lo, exec_lo, s66
	s_barrier_signal -1
	s_barrier_wait -1
	s_and_saveexec_b32 s66, s103
	s_cbranch_execz .LBB65_617
; %bb.616:                              ;   in Loop: Header=BB65_3 Depth=1
	ds_load_b64 v[38:39], v5 offset:13000
	s_wait_dscnt 0x0
	v_pk_mul_f32 v[40:41], v[36:37], v[38:39] op_sel:[1,1] op_sel_hi:[1,0]
	s_delay_alu instid0(VALU_DEP_1) | instskip(SKIP_1) | instid1(VALU_DEP_2)
	v_pk_fma_f32 v[94:95], v[36:37], v[38:39], v[40:41] op_sel_hi:[0,1,1]
	v_pk_fma_f32 v[36:37], v[36:37], v[38:39], v[40:41] neg_lo:[0,0,1] neg_hi:[0,0,1]
	v_mov_b32_e32 v37, v95
	s_delay_alu instid0(VALU_DEP_1)
	v_pk_add_f32 v[38:39], v[36:37], 0 neg_lo:[1,1] neg_hi:[1,1]
	ds_store_b64 v49, v[38:39]
.LBB65_617:                             ;   in Loop: Header=BB65_3 Depth=1
	s_or_b32 exec_lo, exec_lo, s66
	s_wait_dscnt 0x0
	;; [unrolled: 35-line block ×3, first 2 shown]
	s_barrier_signal -1
	s_barrier_wait -1
	s_barrier_signal -1
	s_barrier_wait -1
	s_and_saveexec_b32 s66, s2
; %bb.622:                              ;   in Loop: Header=BB65_3 Depth=1
	ds_store_b64 v54, v[36:37] offset:16064
; %bb.623:                              ;   in Loop: Header=BB65_3 Depth=1
	s_or_b32 exec_lo, exec_lo, s66
	s_wait_dscnt 0x0
	s_barrier_signal -1
	s_barrier_wait -1
	s_barrier_signal -1
	s_barrier_wait -1
	s_and_saveexec_b32 s66, vcc_hi
	s_cbranch_execz .LBB65_625
; %bb.624:                              ;   in Loop: Header=BB65_3 Depth=1
	ds_load_b64 v[36:37], v55 offset:14528
	s_wait_dscnt 0x0
	ds_store_b64 v68, v[36:37] offset:12512
	ds_load_b64 v[36:37], v55 offset:14536
	s_wait_dscnt 0x0
	ds_store_b64 v68, v[36:37] offset:13024
	ds_load_b64 v[36:37], v55 offset:14544
	s_wait_dscnt 0x0
	ds_store_b64 v68, v[36:37] offset:13536
	ds_load_b64 v[36:37], v55 offset:14552
	s_wait_dscnt 0x0
	ds_store_b64 v68, v[36:37] offset:14048
.LBB65_625:                             ;   in Loop: Header=BB65_3 Depth=1
	s_or_b32 exec_lo, exec_lo, s66
	s_wait_dscnt 0x0
	s_barrier_signal -1
	s_barrier_wait -1
	s_and_saveexec_b32 s66, s14
	s_cbranch_execz .LBB65_627
; %bb.626:                              ;   in Loop: Header=BB65_3 Depth=1
	v_add_nc_u32_e64 v4, 0xd0, 0
	ds_load_b64 v[40:41], v5 offset:14040
	ds_load_2addr_stride64_b64 v[36:39], v4 offset0:26 offset1:27
	s_wait_dscnt 0x0
	v_dual_mul_f32 v93, v41, v37 :: v_dual_mul_f32 v4, v40, v37
	s_delay_alu instid0(VALU_DEP_1) | instskip(NEXT) | instid1(VALU_DEP_1)
	v_xor_b32_e32 v94, 0x80000000, v93
	v_dual_fmac_f32 v4, v41, v36 :: v_dual_fmac_f32 v94, v40, v36
	s_delay_alu instid0(VALU_DEP_1) | instskip(SKIP_1) | instid1(VALU_DEP_2)
	v_pk_mul_f32 v[36:37], v[4:5], v[38:39] op_sel:[0,1] op_sel_hi:[0,0]
	v_add_nc_u32_e64 v4, 0x3000, 0
	v_pk_fma_f32 v[40:41], v[94:95], v[38:39], v[36:37] op_sel_hi:[0,1,1]
	v_pk_fma_f32 v[36:37], v[94:95], v[38:39], v[36:37] neg_lo:[0,0,1] neg_hi:[0,0,1]
	s_delay_alu instid0(VALU_DEP_2)
	v_mov_b32_e32 v37, v41
	ds_store_2addr_b64 v4, v[36:37], v[36:37] offset0:155 offset1:218
.LBB65_627:                             ;   in Loop: Header=BB65_3 Depth=1
	s_or_b32 exec_lo, exec_lo, s66
	v_dual_mov_b32 v36, 0 :: v_dual_mov_b32 v37, 0
	s_wait_dscnt 0x0
	s_barrier_signal -1
	s_barrier_wait -1
	global_wb scope:SCOPE_DEV
	s_wait_storecnt 0x0
	global_inv scope:SCOPE_DEV
	s_and_saveexec_b32 s66, s0
	s_cbranch_execz .LBB65_631
; %bb.628:                              ;   in Loop: Header=BB65_3 Depth=1
	ds_load_b64 v[36:37], v44 offset:13504
	ds_load_b64 v[38:39], v45 offset:14032
	s_wait_dscnt 0x0
	v_pk_mul_f32 v[40:41], v[38:39], v[36:37] op_sel:[1,1] op_sel_hi:[0,1]
	s_delay_alu instid0(VALU_DEP_1) | instskip(SKIP_1) | instid1(VALU_DEP_2)
	v_pk_fma_f32 v[94:95], v[38:39], v[36:37], v[40:41] op_sel_hi:[1,0,1]
	v_pk_fma_f32 v[36:37], v[38:39], v[36:37], v[40:41] neg_lo:[0,0,1] neg_hi:[0,0,1]
	v_mov_b32_e32 v37, v95
	s_delay_alu instid0(VALU_DEP_1)
	v_pk_add_f32 v[36:37], v[36:37], 0 op_sel_hi:[1,0]
	s_and_saveexec_b32 s67, s15
	s_cbranch_execz .LBB65_630
; %bb.629:                              ;   in Loop: Header=BB65_3 Depth=1
	ds_load_b64 v[38:39], v68 offset:14016
	ds_load_b64 v[40:41], v5 offset:14040
	s_wait_dscnt 0x0
	v_pk_mul_f32 v[94:95], v[40:41], v[38:39] op_sel:[1,1] op_sel_hi:[0,1]
	s_delay_alu instid0(VALU_DEP_1) | instskip(SKIP_1) | instid1(VALU_DEP_2)
	v_pk_fma_f32 v[96:97], v[40:41], v[38:39], v[94:95] op_sel_hi:[1,0,1]
	v_pk_fma_f32 v[38:39], v[40:41], v[38:39], v[94:95] neg_lo:[0,0,1] neg_hi:[0,0,1]
	v_mov_b32_e32 v39, v97
	s_delay_alu instid0(VALU_DEP_1)
	v_pk_add_f32 v[36:37], v[36:37], v[38:39]
.LBB65_630:                             ;   in Loop: Header=BB65_3 Depth=1
	s_or_b32 exec_lo, exec_lo, s67
.LBB65_631:                             ;   in Loop: Header=BB65_3 Depth=1
	s_delay_alu instid0(SALU_CYCLE_1)
	s_or_b32 exec_lo, exec_lo, s66
	s_and_saveexec_b32 s66, s96
	s_cbranch_execz .LBB65_633
; %bb.632:                              ;   in Loop: Header=BB65_3 Depth=1
	ds_load_b64 v[38:39], v5 offset:13000
	s_wait_dscnt 0x0
	v_pk_mul_f32 v[40:41], v[36:37], v[38:39] op_sel:[1,1] op_sel_hi:[1,0]
	s_delay_alu instid0(VALU_DEP_1) | instskip(SKIP_1) | instid1(VALU_DEP_2)
	v_pk_fma_f32 v[94:95], v[36:37], v[38:39], v[40:41] op_sel_hi:[0,1,1]
	v_pk_fma_f32 v[36:37], v[36:37], v[38:39], v[40:41] neg_lo:[0,0,1] neg_hi:[0,0,1]
	v_mov_b32_e32 v37, v95
	s_delay_alu instid0(VALU_DEP_1)
	v_pk_add_f32 v[38:39], v[36:37], 0 neg_lo:[1,1] neg_hi:[1,1]
	ds_store_b64 v3, v[38:39]
.LBB65_633:                             ;   in Loop: Header=BB65_3 Depth=1
	s_or_b32 exec_lo, exec_lo, s66
	s_wait_loadcnt_dscnt 0x0
	s_barrier_signal -1
	s_barrier_wait -1
	s_and_saveexec_b32 s66, s97
	s_cbranch_execz .LBB65_635
; %bb.634:                              ;   in Loop: Header=BB65_3 Depth=1
	ds_load_b64 v[38:39], v5 offset:12992
	ds_load_b64 v[40:41], v3
	s_wait_dscnt 0x0
	v_pk_mul_f32 v[94:95], v[40:41], v[38:39] op_sel:[1,1] op_sel_hi:[0,1]
	s_delay_alu instid0(VALU_DEP_1) | instskip(SKIP_1) | instid1(VALU_DEP_2)
	v_pk_fma_f32 v[96:97], v[40:41], v[38:39], v[94:95] op_sel_hi:[1,0,1]
	v_pk_fma_f32 v[38:39], v[40:41], v[38:39], v[94:95] neg_lo:[0,0,1] neg_hi:[0,0,1]
	v_mov_b32_e32 v39, v97
	s_delay_alu instid0(VALU_DEP_1)
	v_pk_add_f32 v[36:37], v[36:37], v[38:39] neg_lo:[0,1] neg_hi:[0,1]
.LBB65_635:                             ;   in Loop: Header=BB65_3 Depth=1
	s_or_b32 exec_lo, exec_lo, s66
	s_barrier_signal -1
	s_barrier_wait -1
	s_and_saveexec_b32 s66, s97
	s_cbranch_execz .LBB65_637
; %bb.636:                              ;   in Loop: Header=BB65_3 Depth=1
	ds_load_b64 v[38:39], v5 offset:12480
	s_wait_dscnt 0x0
	v_pk_mul_f32 v[40:41], v[36:37], v[38:39] op_sel:[1,1] op_sel_hi:[1,0]
	s_delay_alu instid0(VALU_DEP_1) | instskip(SKIP_1) | instid1(VALU_DEP_2)
	v_pk_fma_f32 v[94:95], v[36:37], v[38:39], v[40:41] op_sel_hi:[0,1,1]
	v_pk_fma_f32 v[36:37], v[36:37], v[38:39], v[40:41] neg_lo:[0,0,1] neg_hi:[0,0,1]
	v_mov_b32_e32 v37, v95
	s_delay_alu instid0(VALU_DEP_1)
	v_pk_add_f32 v[38:39], v[36:37], 0 neg_lo:[1,1] neg_hi:[1,1]
	ds_store_b64 v3, v[38:39]
.LBB65_637:                             ;   in Loop: Header=BB65_3 Depth=1
	s_or_b32 exec_lo, exec_lo, s66
	s_wait_dscnt 0x0
	s_barrier_signal -1
	s_barrier_wait -1
	s_barrier_signal -1
	s_barrier_wait -1
	s_and_saveexec_b32 s66, s0
; %bb.638:                              ;   in Loop: Header=BB65_3 Depth=1
	ds_store_b64 v47, v[36:37] offset:14016
; %bb.639:                              ;   in Loop: Header=BB65_3 Depth=1
	s_or_b32 exec_lo, exec_lo, s66
	s_wait_dscnt 0x0
	s_barrier_signal -1
	s_barrier_wait -1
	s_barrier_signal -1
	s_barrier_wait -1
	s_and_saveexec_b32 s66, s98
	s_cbranch_execz .LBB65_641
; %bb.640:                              ;   in Loop: Header=BB65_3 Depth=1
	ds_load_b64 v[36:37], v69 offset:13504
	s_wait_dscnt 0x0
	ds_store_b64 v68, v[36:37] offset:12496
	ds_load_b64 v[36:37], v69 offset:13512
	s_wait_dscnt 0x0
	ds_store_b64 v68, v[36:37] offset:13008
.LBB65_641:                             ;   in Loop: Header=BB65_3 Depth=1
	s_or_b32 exec_lo, exec_lo, s66
	s_wait_dscnt 0x0
	s_barrier_signal -1
	s_barrier_wait -1
	s_and_saveexec_b32 s66, s14
	s_cbranch_execz .LBB65_643
; %bb.642:                              ;   in Loop: Header=BB65_3 Depth=1
	v_add_nc_u32_e64 v4, 0xc0, 0
	ds_load_b64 v[40:41], v5 offset:13000
	ds_load_2addr_stride64_b64 v[36:39], v4 offset0:24 offset1:25
	s_wait_dscnt 0x0
	v_dual_mul_f32 v93, v41, v37 :: v_dual_mul_f32 v4, v40, v37
	s_delay_alu instid0(VALU_DEP_1) | instskip(NEXT) | instid1(VALU_DEP_1)
	v_xor_b32_e32 v94, 0x80000000, v93
	v_dual_fmac_f32 v4, v41, v36 :: v_dual_fmac_f32 v94, v40, v36
	s_delay_alu instid0(VALU_DEP_1) | instskip(SKIP_1) | instid1(VALU_DEP_2)
	v_pk_mul_f32 v[36:37], v[4:5], v[38:39] op_sel:[0,1] op_sel_hi:[0,0]
	v_add_nc_u32_e64 v4, 0x3000, 0
	v_pk_fma_f32 v[40:41], v[94:95], v[38:39], v[36:37] op_sel_hi:[0,1,1]
	v_pk_fma_f32 v[36:37], v[94:95], v[38:39], v[36:37] neg_lo:[0,0,1] neg_hi:[0,0,1]
	s_delay_alu instid0(VALU_DEP_2)
	v_mov_b32_e32 v37, v41
	ds_store_2addr_b64 v4, v[36:37], v[36:37] offset0:25 offset1:88
.LBB65_643:                             ;   in Loop: Header=BB65_3 Depth=1
	s_or_b32 exec_lo, exec_lo, s66
	v_mov_b64_e32 v[36:37], 0
	s_wait_dscnt 0x0
	s_barrier_signal -1
	s_barrier_wait -1
	global_wb scope:SCOPE_DEV
	s_wait_storecnt 0x0
	global_inv scope:SCOPE_DEV
	s_and_saveexec_b32 s66, s3
	s_cbranch_execz .LBB65_653
; %bb.644:                              ;   in Loop: Header=BB65_3 Depth=1
	ds_load_b64 v[36:37], v57 offset:12416
	ds_load_b64 v[38:39], v58 offset:16064
	s_wait_dscnt 0x0
	v_dual_mul_f32 v4, v39, v37 :: v_dual_mul_f32 v37, v38, v37
	s_delay_alu instid0(VALU_DEP_1) | instskip(NEXT) | instid1(VALU_DEP_1)
	v_dual_fma_f32 v4, v38, v36, -v4 :: v_dual_fmac_f32 v37, v39, v36
	v_dual_add_f32 v36, 0, v4 :: v_dual_add_f32 v37, 0, v37
	s_and_saveexec_b32 s67, s18
	s_cbranch_execnz .LBB65_1138
; %bb.645:                              ;   in Loop: Header=BB65_3 Depth=1
	s_or_b32 exec_lo, exec_lo, s67
	s_and_saveexec_b32 s67, s19
	s_cbranch_execnz .LBB65_1139
.LBB65_646:                             ;   in Loop: Header=BB65_3 Depth=1
	s_or_b32 exec_lo, exec_lo, s67
	s_and_saveexec_b32 s67, s20
	s_cbranch_execnz .LBB65_1140
.LBB65_647:                             ;   in Loop: Header=BB65_3 Depth=1
	s_or_b32 exec_lo, exec_lo, s67
	s_and_saveexec_b32 s67, s21
	s_cbranch_execnz .LBB65_1141
.LBB65_648:                             ;   in Loop: Header=BB65_3 Depth=1
	s_or_b32 exec_lo, exec_lo, s67
	s_and_saveexec_b32 s67, s22
	s_cbranch_execnz .LBB65_1142
.LBB65_649:                             ;   in Loop: Header=BB65_3 Depth=1
	s_or_b32 exec_lo, exec_lo, s67
	s_and_saveexec_b32 s67, s2
	s_cbranch_execnz .LBB65_1143
.LBB65_650:                             ;   in Loop: Header=BB65_3 Depth=1
	s_or_b32 exec_lo, exec_lo, s67
	s_and_saveexec_b32 s67, s17
	s_cbranch_execz .LBB65_652
.LBB65_651:                             ;   in Loop: Header=BB65_3 Depth=1
	ds_load_b64 v[38:39], v70 offset:16000
	ds_load_b64 v[40:41], v5 offset:16120
	s_wait_dscnt 0x0
	v_dual_mul_f32 v4, v41, v39 :: v_dual_mul_f32 v95, v40, v39
	s_delay_alu instid0(VALU_DEP_1) | instskip(NEXT) | instid1(VALU_DEP_1)
	v_dual_fma_f32 v94, v40, v38, -v4 :: v_dual_fmac_f32 v95, v41, v38
	v_pk_add_f32 v[36:37], v[36:37], v[94:95]
.LBB65_652:                             ;   in Loop: Header=BB65_3 Depth=1
	s_or_b32 exec_lo, exec_lo, s67
.LBB65_653:                             ;   in Loop: Header=BB65_3 Depth=1
	s_delay_alu instid0(SALU_CYCLE_1)
	s_or_b32 exec_lo, exec_lo, s66
	s_and_saveexec_b32 s66, s39
	s_cbranch_execz .LBB65_655
; %bb.654:                              ;   in Loop: Header=BB65_3 Depth=1
	ds_load_b64 v[38:39], v5 offset:11960
	s_wait_dscnt 0x0
	v_pk_mul_f32 v[40:41], v[36:37], v[38:39] op_sel:[1,1] op_sel_hi:[1,0]
	s_delay_alu instid0(VALU_DEP_1) | instskip(SKIP_1) | instid1(VALU_DEP_2)
	v_pk_fma_f32 v[94:95], v[36:37], v[38:39], v[40:41] op_sel_hi:[0,1,1]
	v_pk_fma_f32 v[36:37], v[36:37], v[38:39], v[40:41] neg_lo:[0,0,1] neg_hi:[0,0,1]
	v_mov_b32_e32 v37, v95
	s_delay_alu instid0(VALU_DEP_1)
	v_pk_add_f32 v[38:39], v[36:37], 0 neg_lo:[1,1] neg_hi:[1,1]
	ds_store_b64 v56, v[38:39]
.LBB65_655:                             ;   in Loop: Header=BB65_3 Depth=1
	s_or_b32 exec_lo, exec_lo, s66
	s_wait_loadcnt_dscnt 0x0
	s_barrier_signal -1
	s_barrier_wait -1
	s_and_saveexec_b32 s66, s40
	s_cbranch_execz .LBB65_657
; %bb.656:                              ;   in Loop: Header=BB65_3 Depth=1
	ds_load_b64 v[38:39], v57 offset:11904
	ds_load_b64 v[40:41], v56
	s_wait_dscnt 0x0
	v_pk_mul_f32 v[94:95], v[40:41], v[38:39] op_sel:[1,1] op_sel_hi:[0,1]
	s_delay_alu instid0(VALU_DEP_1) | instskip(SKIP_1) | instid1(VALU_DEP_2)
	v_pk_fma_f32 v[96:97], v[40:41], v[38:39], v[94:95] op_sel_hi:[1,0,1]
	v_pk_fma_f32 v[38:39], v[40:41], v[38:39], v[94:95] neg_lo:[0,0,1] neg_hi:[0,0,1]
	v_mov_b32_e32 v39, v97
	s_delay_alu instid0(VALU_DEP_1)
	v_pk_add_f32 v[36:37], v[36:37], v[38:39] neg_lo:[0,1] neg_hi:[0,1]
.LBB65_657:                             ;   in Loop: Header=BB65_3 Depth=1
	s_or_b32 exec_lo, exec_lo, s66
	s_barrier_signal -1
	s_barrier_wait -1
	s_and_saveexec_b32 s66, s41
	s_cbranch_execz .LBB65_659
; %bb.658:                              ;   in Loop: Header=BB65_3 Depth=1
	ds_load_b64 v[38:39], v5 offset:11440
	s_wait_dscnt 0x0
	v_pk_mul_f32 v[40:41], v[36:37], v[38:39] op_sel:[1,1] op_sel_hi:[1,0]
	s_delay_alu instid0(VALU_DEP_1) | instskip(SKIP_1) | instid1(VALU_DEP_2)
	v_pk_fma_f32 v[94:95], v[36:37], v[38:39], v[40:41] op_sel_hi:[0,1,1]
	v_pk_fma_f32 v[36:37], v[36:37], v[38:39], v[40:41] neg_lo:[0,0,1] neg_hi:[0,0,1]
	v_mov_b32_e32 v37, v95
	s_delay_alu instid0(VALU_DEP_1)
	v_pk_add_f32 v[38:39], v[36:37], 0 neg_lo:[1,1] neg_hi:[1,1]
	ds_store_b64 v56, v[38:39]
.LBB65_659:                             ;   in Loop: Header=BB65_3 Depth=1
	s_or_b32 exec_lo, exec_lo, s66
	s_wait_dscnt 0x0
	s_barrier_signal -1
	s_barrier_wait -1
	s_and_saveexec_b32 s66, s42
	s_cbranch_execz .LBB65_661
; %bb.660:                              ;   in Loop: Header=BB65_3 Depth=1
	ds_load_b64 v[38:39], v57 offset:11392
	ds_load_b64 v[40:41], v56
	s_wait_dscnt 0x0
	v_pk_mul_f32 v[94:95], v[40:41], v[38:39] op_sel:[1,1] op_sel_hi:[0,1]
	s_delay_alu instid0(VALU_DEP_1) | instskip(SKIP_1) | instid1(VALU_DEP_2)
	v_pk_fma_f32 v[96:97], v[40:41], v[38:39], v[94:95] op_sel_hi:[1,0,1]
	v_pk_fma_f32 v[38:39], v[40:41], v[38:39], v[94:95] neg_lo:[0,0,1] neg_hi:[0,0,1]
	v_mov_b32_e32 v39, v97
	s_delay_alu instid0(VALU_DEP_1)
	v_pk_add_f32 v[36:37], v[36:37], v[38:39] neg_lo:[0,1] neg_hi:[0,1]
.LBB65_661:                             ;   in Loop: Header=BB65_3 Depth=1
	s_or_b32 exec_lo, exec_lo, s66
	s_barrier_signal -1
	s_barrier_wait -1
	s_and_saveexec_b32 s66, s43
	s_cbranch_execz .LBB65_663
; %bb.662:                              ;   in Loop: Header=BB65_3 Depth=1
	ds_load_b64 v[38:39], v5 offset:10920
	s_wait_dscnt 0x0
	v_pk_mul_f32 v[40:41], v[36:37], v[38:39] op_sel:[1,1] op_sel_hi:[1,0]
	s_delay_alu instid0(VALU_DEP_1) | instskip(SKIP_1) | instid1(VALU_DEP_2)
	v_pk_fma_f32 v[94:95], v[36:37], v[38:39], v[40:41] op_sel_hi:[0,1,1]
	v_pk_fma_f32 v[36:37], v[36:37], v[38:39], v[40:41] neg_lo:[0,0,1] neg_hi:[0,0,1]
	v_mov_b32_e32 v37, v95
	s_delay_alu instid0(VALU_DEP_1)
	v_pk_add_f32 v[38:39], v[36:37], 0 neg_lo:[1,1] neg_hi:[1,1]
	ds_store_b64 v56, v[38:39]
.LBB65_663:                             ;   in Loop: Header=BB65_3 Depth=1
	s_or_b32 exec_lo, exec_lo, s66
	s_wait_dscnt 0x0
	s_barrier_signal -1
	s_barrier_wait -1
	s_and_saveexec_b32 s66, s44
	s_cbranch_execz .LBB65_665
; %bb.664:                              ;   in Loop: Header=BB65_3 Depth=1
	ds_load_b64 v[38:39], v57 offset:10880
	ds_load_b64 v[40:41], v56
	s_wait_dscnt 0x0
	v_pk_mul_f32 v[94:95], v[40:41], v[38:39] op_sel:[1,1] op_sel_hi:[0,1]
	s_delay_alu instid0(VALU_DEP_1) | instskip(SKIP_1) | instid1(VALU_DEP_2)
	v_pk_fma_f32 v[96:97], v[40:41], v[38:39], v[94:95] op_sel_hi:[1,0,1]
	v_pk_fma_f32 v[38:39], v[40:41], v[38:39], v[94:95] neg_lo:[0,0,1] neg_hi:[0,0,1]
	v_mov_b32_e32 v39, v97
	s_delay_alu instid0(VALU_DEP_1)
	v_pk_add_f32 v[36:37], v[36:37], v[38:39] neg_lo:[0,1] neg_hi:[0,1]
.LBB65_665:                             ;   in Loop: Header=BB65_3 Depth=1
	s_or_b32 exec_lo, exec_lo, s66
	s_barrier_signal -1
	s_barrier_wait -1
	s_and_saveexec_b32 s66, s45
	s_cbranch_execz .LBB65_667
; %bb.666:                              ;   in Loop: Header=BB65_3 Depth=1
	ds_load_b64 v[38:39], v5 offset:10400
	s_wait_dscnt 0x0
	v_pk_mul_f32 v[40:41], v[36:37], v[38:39]
	v_pk_mul_f32 v[36:37], v[36:37], v[38:39] op_sel:[1,0] op_sel_hi:[0,1]
	s_delay_alu instid0(VALU_DEP_1) | instskip(NEXT) | instid1(VALU_DEP_3)
	v_dual_mov_b32 v38, v40 :: v_dual_mov_b32 v39, v36
	v_mov_b32_e32 v36, v41
	s_delay_alu instid0(VALU_DEP_1) | instskip(SKIP_1) | instid1(VALU_DEP_2)
	v_pk_add_f32 v[40:41], v[38:39], v[36:37]
	v_pk_add_f32 v[36:37], v[38:39], v[36:37] neg_lo:[0,1] neg_hi:[0,1]
	v_mov_b32_e32 v37, v41
	s_delay_alu instid0(VALU_DEP_1)
	v_pk_add_f32 v[38:39], v[36:37], 0 neg_lo:[1,1] neg_hi:[1,1]
	ds_store_b64 v56, v[38:39]
.LBB65_667:                             ;   in Loop: Header=BB65_3 Depth=1
	s_or_b32 exec_lo, exec_lo, s66
	s_wait_dscnt 0x0
	s_barrier_signal -1
	s_barrier_wait -1
	s_and_saveexec_b32 s66, s46
	s_cbranch_execz .LBB65_669
; %bb.668:                              ;   in Loop: Header=BB65_3 Depth=1
	ds_load_b64 v[38:39], v57 offset:10368
	ds_load_b64 v[40:41], v56
	s_wait_dscnt 0x0
	v_dual_mul_f32 v4, v41, v39 :: v_dual_mul_f32 v39, v40, v39
	s_delay_alu instid0(VALU_DEP_1) | instskip(NEXT) | instid1(VALU_DEP_1)
	v_dual_fma_f32 v4, v40, v38, -v4 :: v_dual_fmac_f32 v39, v41, v38
	v_dual_sub_f32 v36, v36, v4 :: v_dual_sub_f32 v37, v37, v39
.LBB65_669:                             ;   in Loop: Header=BB65_3 Depth=1
	s_or_b32 exec_lo, exec_lo, s66
	s_barrier_signal -1
	s_barrier_wait -1
	s_and_saveexec_b32 s66, s47
	s_cbranch_execz .LBB65_671
; %bb.670:                              ;   in Loop: Header=BB65_3 Depth=1
	ds_load_b64 v[38:39], v5 offset:9880
	s_wait_dscnt 0x0
	v_dual_mul_f32 v4, v37, v38 :: v_dual_mul_f32 v40, v37, v39
	s_delay_alu instid0(VALU_DEP_1) | instskip(NEXT) | instid1(VALU_DEP_2)
	v_pk_fma_f32 v[94:95], v[36:37], v[38:39], v[4:5] op_sel:[1,0,0] op_sel_hi:[0,1,0]
	v_pk_fma_f32 v[36:37], v[36:37], v[38:39], v[40:41] op_sel_hi:[1,1,0] neg_lo:[0,0,1] neg_hi:[0,0,1]
	s_delay_alu instid0(VALU_DEP_2) | instskip(NEXT) | instid1(VALU_DEP_1)
	v_mov_b32_e32 v37, v95
	v_pk_add_f32 v[38:39], v[36:37], 0 neg_lo:[1,1] neg_hi:[1,1]
	ds_store_b64 v56, v[38:39]
.LBB65_671:                             ;   in Loop: Header=BB65_3 Depth=1
	s_or_b32 exec_lo, exec_lo, s66
	s_wait_dscnt 0x0
	s_barrier_signal -1
	s_barrier_wait -1
	s_and_saveexec_b32 s66, s48
	s_cbranch_execz .LBB65_673
; %bb.672:                              ;   in Loop: Header=BB65_3 Depth=1
	ds_load_b64 v[38:39], v57 offset:9856
	ds_load_b64 v[40:41], v56
	s_wait_dscnt 0x0
	v_pk_mul_f32 v[94:95], v[40:41], v[38:39] op_sel:[1,1] op_sel_hi:[0,1]
	s_delay_alu instid0(VALU_DEP_1) | instskip(SKIP_1) | instid1(VALU_DEP_2)
	v_pk_fma_f32 v[96:97], v[40:41], v[38:39], v[94:95] op_sel_hi:[1,0,1]
	v_pk_fma_f32 v[38:39], v[40:41], v[38:39], v[94:95] neg_lo:[0,0,1] neg_hi:[0,0,1]
	v_mov_b32_e32 v39, v97
	s_delay_alu instid0(VALU_DEP_1)
	v_pk_add_f32 v[36:37], v[36:37], v[38:39] neg_lo:[0,1] neg_hi:[0,1]
.LBB65_673:                             ;   in Loop: Header=BB65_3 Depth=1
	s_or_b32 exec_lo, exec_lo, s66
	s_barrier_signal -1
	s_barrier_wait -1
	s_and_saveexec_b32 s66, s49
	s_cbranch_execz .LBB65_675
; %bb.674:                              ;   in Loop: Header=BB65_3 Depth=1
	ds_load_b64 v[38:39], v5 offset:9360
	s_wait_dscnt 0x0
	v_pk_mul_f32 v[40:41], v[36:37], v[38:39] op_sel:[1,1] op_sel_hi:[1,0]
	s_delay_alu instid0(VALU_DEP_1) | instskip(SKIP_1) | instid1(VALU_DEP_2)
	v_pk_fma_f32 v[94:95], v[36:37], v[38:39], v[40:41] op_sel_hi:[0,1,1]
	v_pk_fma_f32 v[36:37], v[36:37], v[38:39], v[40:41] neg_lo:[0,0,1] neg_hi:[0,0,1]
	v_mov_b32_e32 v37, v95
	s_delay_alu instid0(VALU_DEP_1)
	v_pk_add_f32 v[38:39], v[36:37], 0 neg_lo:[1,1] neg_hi:[1,1]
	ds_store_b64 v56, v[38:39]
.LBB65_675:                             ;   in Loop: Header=BB65_3 Depth=1
	s_or_b32 exec_lo, exec_lo, s66
	s_wait_dscnt 0x0
	s_barrier_signal -1
	s_barrier_wait -1
	s_and_saveexec_b32 s66, s50
	s_cbranch_execz .LBB65_677
; %bb.676:                              ;   in Loop: Header=BB65_3 Depth=1
	ds_load_b64 v[38:39], v57 offset:9344
	ds_load_b64 v[40:41], v56
	s_wait_dscnt 0x0
	v_pk_mul_f32 v[94:95], v[40:41], v[38:39] op_sel:[1,1] op_sel_hi:[0,1]
	s_delay_alu instid0(VALU_DEP_1) | instskip(SKIP_1) | instid1(VALU_DEP_2)
	v_pk_fma_f32 v[96:97], v[40:41], v[38:39], v[94:95] op_sel_hi:[1,0,1]
	v_pk_fma_f32 v[38:39], v[40:41], v[38:39], v[94:95] neg_lo:[0,0,1] neg_hi:[0,0,1]
	v_mov_b32_e32 v39, v97
	s_delay_alu instid0(VALU_DEP_1)
	v_pk_add_f32 v[36:37], v[36:37], v[38:39] neg_lo:[0,1] neg_hi:[0,1]
.LBB65_677:                             ;   in Loop: Header=BB65_3 Depth=1
	s_or_b32 exec_lo, exec_lo, s66
	s_barrier_signal -1
	s_barrier_wait -1
	s_and_saveexec_b32 s66, s51
	s_cbranch_execz .LBB65_679
; %bb.678:                              ;   in Loop: Header=BB65_3 Depth=1
	ds_load_b64 v[38:39], v5 offset:8840
	s_wait_dscnt 0x0
	v_pk_mul_f32 v[40:41], v[36:37], v[38:39] op_sel:[1,1] op_sel_hi:[1,0]
	s_delay_alu instid0(VALU_DEP_1) | instskip(SKIP_1) | instid1(VALU_DEP_2)
	v_pk_fma_f32 v[94:95], v[36:37], v[38:39], v[40:41] op_sel_hi:[0,1,1]
	v_pk_fma_f32 v[36:37], v[36:37], v[38:39], v[40:41] neg_lo:[0,0,1] neg_hi:[0,0,1]
	v_mov_b32_e32 v37, v95
	s_delay_alu instid0(VALU_DEP_1)
	v_pk_add_f32 v[38:39], v[36:37], 0 neg_lo:[1,1] neg_hi:[1,1]
	ds_store_b64 v56, v[38:39]
.LBB65_679:                             ;   in Loop: Header=BB65_3 Depth=1
	s_or_b32 exec_lo, exec_lo, s66
	s_wait_dscnt 0x0
	s_barrier_signal -1
	s_barrier_wait -1
	s_and_saveexec_b32 s66, s52
	s_cbranch_execz .LBB65_681
; %bb.680:                              ;   in Loop: Header=BB65_3 Depth=1
	ds_load_b64 v[38:39], v5 offset:8832
	ds_load_b64 v[40:41], v56
	s_wait_dscnt 0x0
	v_pk_mul_f32 v[94:95], v[40:41], v[38:39] op_sel:[1,1] op_sel_hi:[0,1]
	s_delay_alu instid0(VALU_DEP_1) | instskip(SKIP_1) | instid1(VALU_DEP_2)
	v_pk_fma_f32 v[96:97], v[40:41], v[38:39], v[94:95] op_sel_hi:[1,0,1]
	v_pk_fma_f32 v[38:39], v[40:41], v[38:39], v[94:95] neg_lo:[0,0,1] neg_hi:[0,0,1]
	v_mov_b32_e32 v39, v97
	s_delay_alu instid0(VALU_DEP_1)
	v_pk_add_f32 v[36:37], v[36:37], v[38:39] neg_lo:[0,1] neg_hi:[0,1]
.LBB65_681:                             ;   in Loop: Header=BB65_3 Depth=1
	s_or_b32 exec_lo, exec_lo, s66
	s_barrier_signal -1
	s_barrier_wait -1
	s_and_saveexec_b32 s66, s52
	s_cbranch_execz .LBB65_683
; %bb.682:                              ;   in Loop: Header=BB65_3 Depth=1
	ds_load_b64 v[38:39], v5 offset:8320
	s_wait_dscnt 0x0
	v_pk_mul_f32 v[40:41], v[36:37], v[38:39] op_sel:[1,1] op_sel_hi:[1,0]
	s_delay_alu instid0(VALU_DEP_1) | instskip(SKIP_1) | instid1(VALU_DEP_2)
	v_pk_fma_f32 v[94:95], v[36:37], v[38:39], v[40:41] op_sel_hi:[0,1,1]
	v_pk_fma_f32 v[36:37], v[36:37], v[38:39], v[40:41] neg_lo:[0,0,1] neg_hi:[0,0,1]
	v_mov_b32_e32 v37, v95
	s_delay_alu instid0(VALU_DEP_1)
	v_pk_add_f32 v[38:39], v[36:37], 0 neg_lo:[1,1] neg_hi:[1,1]
	ds_store_b64 v56, v[38:39]
.LBB65_683:                             ;   in Loop: Header=BB65_3 Depth=1
	s_or_b32 exec_lo, exec_lo, s66
	s_wait_dscnt 0x0
	s_barrier_signal -1
	s_barrier_wait -1
	s_barrier_signal -1
	s_barrier_wait -1
	s_and_saveexec_b32 s66, s3
; %bb.684:                              ;   in Loop: Header=BB65_3 Depth=1
	ds_store_b64 v59, v[36:37] offset:16000
; %bb.685:                              ;   in Loop: Header=BB65_3 Depth=1
	s_or_b32 exec_lo, exec_lo, s66
	s_wait_dscnt 0x0
	s_barrier_signal -1
	s_barrier_wait -1
	s_barrier_signal -1
	s_barrier_wait -1
	s_and_saveexec_b32 s66, s53
	s_cbranch_execz .LBB65_687
; %bb.686:                              ;   in Loop: Header=BB65_3 Depth=1
	ds_load_b64 v[36:37], v72 offset:12416
	s_wait_dscnt 0x0
	ds_store_b64 v73, v[36:37] offset:8384
	ds_load_b64 v[36:37], v72 offset:12424
	s_wait_dscnt 0x0
	ds_store_b64 v73, v[36:37] offset:8896
	;; [unrolled: 3-line block ×8, first 2 shown]
.LBB65_687:                             ;   in Loop: Header=BB65_3 Depth=1
	s_or_b32 exec_lo, exec_lo, s66
	s_wait_dscnt 0x0
	s_barrier_signal -1
	s_barrier_wait -1
	s_and_saveexec_b32 s66, s14
	s_cbranch_execz .LBB65_689
; %bb.688:                              ;   in Loop: Header=BB65_3 Depth=1
	v_add_nc_u32_e64 v4, 0xb0, 0
	ds_load_b64 v[40:41], v5 offset:11960
	ds_load_2addr_stride64_b64 v[36:39], v4 offset0:22 offset1:23
	s_wait_dscnt 0x0
	v_dual_mul_f32 v93, v41, v37 :: v_dual_mul_f32 v4, v40, v37
	s_delay_alu instid0(VALU_DEP_1) | instskip(NEXT) | instid1(VALU_DEP_1)
	v_xor_b32_e32 v94, 0x80000000, v93
	v_dual_fmac_f32 v4, v41, v36 :: v_dual_fmac_f32 v94, v40, v36
	s_delay_alu instid0(VALU_DEP_1) | instskip(SKIP_1) | instid1(VALU_DEP_2)
	v_pk_mul_f32 v[36:37], v[4:5], v[38:39] op_sel:[0,1] op_sel_hi:[0,0]
	v_add_nc_u32_e64 v4, 0x2800, 0
	v_pk_fma_f32 v[40:41], v[94:95], v[38:39], v[36:37] op_sel_hi:[0,1,1]
	v_pk_fma_f32 v[36:37], v[94:95], v[38:39], v[36:37] neg_lo:[0,0,1] neg_hi:[0,0,1]
	s_delay_alu instid0(VALU_DEP_2)
	v_mov_b32_e32 v37, v41
	ds_store_2addr_b64 v4, v[36:37], v[36:37] offset0:151 offset1:214
.LBB65_689:                             ;   in Loop: Header=BB65_3 Depth=1
	s_or_b32 exec_lo, exec_lo, s66
	v_dual_mov_b32 v36, 0 :: v_dual_mov_b32 v37, 0
	s_wait_dscnt 0x0
	s_barrier_signal -1
	s_barrier_wait -1
	global_wb scope:SCOPE_DEV
	s_wait_storecnt 0x0
	global_inv scope:SCOPE_DEV
	s_and_saveexec_b32 s66, s0
	s_cbranch_execz .LBB65_693
; %bb.690:                              ;   in Loop: Header=BB65_3 Depth=1
	ds_load_b64 v[36:37], v44 offset:11424
	ds_load_b64 v[38:39], v45 offset:11952
	s_wait_dscnt 0x0
	v_pk_mul_f32 v[40:41], v[38:39], v[36:37] op_sel:[1,1] op_sel_hi:[0,1]
	s_delay_alu instid0(VALU_DEP_1) | instskip(SKIP_1) | instid1(VALU_DEP_2)
	v_pk_fma_f32 v[94:95], v[38:39], v[36:37], v[40:41] op_sel_hi:[1,0,1]
	v_pk_fma_f32 v[36:37], v[38:39], v[36:37], v[40:41] neg_lo:[0,0,1] neg_hi:[0,0,1]
	v_mov_b32_e32 v37, v95
	s_delay_alu instid0(VALU_DEP_1)
	v_pk_add_f32 v[36:37], v[36:37], 0 op_sel_hi:[1,0]
	s_and_saveexec_b32 s67, s15
	s_cbranch_execz .LBB65_692
; %bb.691:                              ;   in Loop: Header=BB65_3 Depth=1
	ds_load_b64 v[38:39], v73 offset:11936
	ds_load_b64 v[40:41], v5 offset:11960
	s_wait_dscnt 0x0
	v_pk_mul_f32 v[94:95], v[40:41], v[38:39] op_sel:[1,1] op_sel_hi:[0,1]
	s_delay_alu instid0(VALU_DEP_1) | instskip(SKIP_1) | instid1(VALU_DEP_2)
	v_pk_fma_f32 v[96:97], v[40:41], v[38:39], v[94:95] op_sel_hi:[1,0,1]
	v_pk_fma_f32 v[38:39], v[40:41], v[38:39], v[94:95] neg_lo:[0,0,1] neg_hi:[0,0,1]
	v_mov_b32_e32 v39, v97
	s_delay_alu instid0(VALU_DEP_1)
	v_pk_add_f32 v[36:37], v[36:37], v[38:39]
.LBB65_692:                             ;   in Loop: Header=BB65_3 Depth=1
	s_or_b32 exec_lo, exec_lo, s67
.LBB65_693:                             ;   in Loop: Header=BB65_3 Depth=1
	s_delay_alu instid0(SALU_CYCLE_1)
	s_or_b32 exec_lo, exec_lo, s66
	s_and_saveexec_b32 s66, s96
	s_cbranch_execz .LBB65_695
; %bb.694:                              ;   in Loop: Header=BB65_3 Depth=1
	ds_load_b64 v[38:39], v5 offset:10920
	s_wait_dscnt 0x0
	v_pk_mul_f32 v[40:41], v[36:37], v[38:39] op_sel:[1,1] op_sel_hi:[1,0]
	s_delay_alu instid0(VALU_DEP_1) | instskip(SKIP_1) | instid1(VALU_DEP_2)
	v_pk_fma_f32 v[94:95], v[36:37], v[38:39], v[40:41] op_sel_hi:[0,1,1]
	v_pk_fma_f32 v[36:37], v[36:37], v[38:39], v[40:41] neg_lo:[0,0,1] neg_hi:[0,0,1]
	v_mov_b32_e32 v37, v95
	s_delay_alu instid0(VALU_DEP_1)
	v_pk_add_f32 v[38:39], v[36:37], 0 neg_lo:[1,1] neg_hi:[1,1]
	ds_store_b64 v3, v[38:39]
.LBB65_695:                             ;   in Loop: Header=BB65_3 Depth=1
	s_or_b32 exec_lo, exec_lo, s66
	s_wait_loadcnt_dscnt 0x0
	s_barrier_signal -1
	s_barrier_wait -1
	s_and_saveexec_b32 s66, s97
	s_cbranch_execz .LBB65_697
; %bb.696:                              ;   in Loop: Header=BB65_3 Depth=1
	ds_load_b64 v[38:39], v5 offset:10912
	ds_load_b64 v[40:41], v3
	s_wait_dscnt 0x0
	v_pk_mul_f32 v[94:95], v[40:41], v[38:39] op_sel:[1,1] op_sel_hi:[0,1]
	s_delay_alu instid0(VALU_DEP_1) | instskip(SKIP_1) | instid1(VALU_DEP_2)
	v_pk_fma_f32 v[96:97], v[40:41], v[38:39], v[94:95] op_sel_hi:[1,0,1]
	v_pk_fma_f32 v[38:39], v[40:41], v[38:39], v[94:95] neg_lo:[0,0,1] neg_hi:[0,0,1]
	v_mov_b32_e32 v39, v97
	s_delay_alu instid0(VALU_DEP_1)
	v_pk_add_f32 v[36:37], v[36:37], v[38:39] neg_lo:[0,1] neg_hi:[0,1]
.LBB65_697:                             ;   in Loop: Header=BB65_3 Depth=1
	s_or_b32 exec_lo, exec_lo, s66
	s_barrier_signal -1
	s_barrier_wait -1
	s_and_saveexec_b32 s66, s97
	s_cbranch_execz .LBB65_699
; %bb.698:                              ;   in Loop: Header=BB65_3 Depth=1
	ds_load_b64 v[38:39], v5 offset:10400
	s_wait_dscnt 0x0
	v_pk_mul_f32 v[40:41], v[36:37], v[38:39] op_sel:[1,1] op_sel_hi:[1,0]
	s_delay_alu instid0(VALU_DEP_1) | instskip(SKIP_1) | instid1(VALU_DEP_2)
	v_pk_fma_f32 v[94:95], v[36:37], v[38:39], v[40:41] op_sel_hi:[0,1,1]
	v_pk_fma_f32 v[36:37], v[36:37], v[38:39], v[40:41] neg_lo:[0,0,1] neg_hi:[0,0,1]
	v_mov_b32_e32 v37, v95
	s_delay_alu instid0(VALU_DEP_1)
	v_pk_add_f32 v[38:39], v[36:37], 0 neg_lo:[1,1] neg_hi:[1,1]
	ds_store_b64 v3, v[38:39]
.LBB65_699:                             ;   in Loop: Header=BB65_3 Depth=1
	s_or_b32 exec_lo, exec_lo, s66
	s_wait_dscnt 0x0
	s_barrier_signal -1
	s_barrier_wait -1
	s_barrier_signal -1
	s_barrier_wait -1
	s_and_saveexec_b32 s66, s0
; %bb.700:                              ;   in Loop: Header=BB65_3 Depth=1
	ds_store_b64 v47, v[36:37] offset:11936
; %bb.701:                              ;   in Loop: Header=BB65_3 Depth=1
	s_or_b32 exec_lo, exec_lo, s66
	s_wait_dscnt 0x0
	s_barrier_signal -1
	s_barrier_wait -1
	s_barrier_signal -1
	s_barrier_wait -1
	s_and_saveexec_b32 s66, s98
	s_cbranch_execz .LBB65_703
; %bb.702:                              ;   in Loop: Header=BB65_3 Depth=1
	ds_load_b64 v[36:37], v74 offset:11424
	s_wait_dscnt 0x0
	ds_store_b64 v73, v[36:37] offset:10416
	ds_load_b64 v[36:37], v74 offset:11432
	s_wait_dscnt 0x0
	ds_store_b64 v73, v[36:37] offset:10928
.LBB65_703:                             ;   in Loop: Header=BB65_3 Depth=1
	s_or_b32 exec_lo, exec_lo, s66
	s_wait_dscnt 0x0
	s_barrier_signal -1
	s_barrier_wait -1
	s_and_saveexec_b32 s66, s14
	s_cbranch_execz .LBB65_705
; %bb.704:                              ;   in Loop: Header=BB65_3 Depth=1
	v_add_nc_u32_e64 v4, 0xa0, 0
	ds_load_b64 v[40:41], v5 offset:10920
	ds_load_2addr_stride64_b64 v[36:39], v4 offset0:20 offset1:21
	s_wait_dscnt 0x0
	v_dual_mul_f32 v93, v41, v37 :: v_dual_mul_f32 v4, v40, v37
	s_delay_alu instid0(VALU_DEP_1) | instskip(NEXT) | instid1(VALU_DEP_1)
	v_xor_b32_e32 v94, 0x80000000, v93
	v_dual_fmac_f32 v4, v41, v36 :: v_dual_fmac_f32 v94, v40, v36
	s_delay_alu instid0(VALU_DEP_1) | instskip(SKIP_1) | instid1(VALU_DEP_2)
	v_pk_mul_f32 v[36:37], v[4:5], v[38:39] op_sel:[0,1] op_sel_hi:[0,0]
	v_add_nc_u32_e64 v4, 0x2800, 0
	v_pk_fma_f32 v[40:41], v[94:95], v[38:39], v[36:37] op_sel_hi:[0,1,1]
	v_pk_fma_f32 v[36:37], v[94:95], v[38:39], v[36:37] neg_lo:[0,0,1] neg_hi:[0,0,1]
	s_delay_alu instid0(VALU_DEP_2)
	v_mov_b32_e32 v37, v41
	ds_store_2addr_b64 v4, v[36:37], v[36:37] offset0:21 offset1:84
.LBB65_705:                             ;   in Loop: Header=BB65_3 Depth=1
	s_or_b32 exec_lo, exec_lo, s66
	v_mov_b64_e32 v[36:37], 0
	s_wait_dscnt 0x0
	s_barrier_signal -1
	s_barrier_wait -1
	global_wb scope:SCOPE_DEV
	s_wait_storecnt 0x0
	global_inv scope:SCOPE_DEV
	s_and_saveexec_b32 s66, s2
	s_cbranch_execz .LBB65_711
; %bb.706:                              ;   in Loop: Header=BB65_3 Depth=1
	ds_load_b64 v[36:37], v50 offset:10368
	ds_load_b64 v[38:39], v51 offset:11936
	s_wait_dscnt 0x0
	v_dual_mul_f32 v4, v39, v37 :: v_dual_mul_f32 v37, v38, v37
	s_delay_alu instid0(VALU_DEP_1) | instskip(NEXT) | instid1(VALU_DEP_1)
	v_dual_fma_f32 v4, v38, v36, -v4 :: v_dual_fmac_f32 v37, v39, v36
	v_dual_add_f32 v36, 0, v4 :: v_dual_add_f32 v37, 0, v37
	s_and_saveexec_b32 s67, s16
	s_cbranch_execnz .LBB65_1144
; %bb.707:                              ;   in Loop: Header=BB65_3 Depth=1
	s_or_b32 exec_lo, exec_lo, s67
	s_and_saveexec_b32 s67, s17
	s_cbranch_execnz .LBB65_1145
.LBB65_708:                             ;   in Loop: Header=BB65_3 Depth=1
	s_or_b32 exec_lo, exec_lo, s67
	s_and_saveexec_b32 s67, s0
	s_cbranch_execz .LBB65_710
.LBB65_709:                             ;   in Loop: Header=BB65_3 Depth=1
	ds_load_b64 v[38:39], v75 offset:11904
	ds_load_b64 v[40:41], v5 offset:11960
	s_wait_dscnt 0x0
	v_dual_mul_f32 v4, v41, v39 :: v_dual_mul_f32 v39, v40, v39
	s_delay_alu instid0(VALU_DEP_1) | instskip(NEXT) | instid1(VALU_DEP_1)
	v_dual_fma_f32 v4, v40, v38, -v4 :: v_dual_fmac_f32 v39, v41, v38
	v_dual_add_f32 v36, v36, v4 :: v_dual_add_f32 v37, v37, v39
.LBB65_710:                             ;   in Loop: Header=BB65_3 Depth=1
	s_or_b32 exec_lo, exec_lo, s67
.LBB65_711:                             ;   in Loop: Header=BB65_3 Depth=1
	s_delay_alu instid0(SALU_CYCLE_1)
	s_or_b32 exec_lo, exec_lo, s66
	s_and_saveexec_b32 s66, s99
	s_cbranch_execz .LBB65_713
; %bb.712:                              ;   in Loop: Header=BB65_3 Depth=1
	ds_load_b64 v[38:39], v5 offset:9880
	s_wait_dscnt 0x0
	v_dual_mul_f32 v4, v37, v38 :: v_dual_mul_f32 v40, v37, v39
	s_delay_alu instid0(VALU_DEP_1) | instskip(NEXT) | instid1(VALU_DEP_2)
	v_pk_fma_f32 v[94:95], v[36:37], v[38:39], v[4:5] op_sel:[1,0,0] op_sel_hi:[0,1,0]
	v_pk_fma_f32 v[36:37], v[36:37], v[38:39], v[40:41] op_sel_hi:[1,1,0] neg_lo:[0,0,1] neg_hi:[0,0,1]
	s_delay_alu instid0(VALU_DEP_2) | instskip(NEXT) | instid1(VALU_DEP_1)
	v_mov_b32_e32 v37, v95
	v_pk_add_f32 v[38:39], v[36:37], 0 neg_lo:[1,1] neg_hi:[1,1]
	ds_store_b64 v49, v[38:39]
.LBB65_713:                             ;   in Loop: Header=BB65_3 Depth=1
	s_or_b32 exec_lo, exec_lo, s66
	s_wait_loadcnt_dscnt 0x0
	s_barrier_signal -1
	s_barrier_wait -1
	s_and_saveexec_b32 s66, s100
	s_cbranch_execz .LBB65_715
; %bb.714:                              ;   in Loop: Header=BB65_3 Depth=1
	ds_load_b64 v[38:39], v50 offset:9856
	ds_load_b64 v[40:41], v49
	s_wait_dscnt 0x0
	v_pk_mul_f32 v[94:95], v[40:41], v[38:39] op_sel:[1,1] op_sel_hi:[0,1]
	s_delay_alu instid0(VALU_DEP_1) | instskip(SKIP_1) | instid1(VALU_DEP_2)
	v_pk_fma_f32 v[96:97], v[40:41], v[38:39], v[94:95] op_sel_hi:[1,0,1]
	v_pk_fma_f32 v[38:39], v[40:41], v[38:39], v[94:95] neg_lo:[0,0,1] neg_hi:[0,0,1]
	v_mov_b32_e32 v39, v97
	s_delay_alu instid0(VALU_DEP_1)
	v_pk_add_f32 v[36:37], v[36:37], v[38:39] neg_lo:[0,1] neg_hi:[0,1]
.LBB65_715:                             ;   in Loop: Header=BB65_3 Depth=1
	s_or_b32 exec_lo, exec_lo, s66
	s_barrier_signal -1
	s_barrier_wait -1
	s_and_saveexec_b32 s66, s101
	s_cbranch_execz .LBB65_717
; %bb.716:                              ;   in Loop: Header=BB65_3 Depth=1
	ds_load_b64 v[38:39], v5 offset:9360
	s_wait_dscnt 0x0
	v_pk_mul_f32 v[40:41], v[36:37], v[38:39] op_sel:[1,1] op_sel_hi:[1,0]
	s_delay_alu instid0(VALU_DEP_1) | instskip(SKIP_1) | instid1(VALU_DEP_2)
	v_pk_fma_f32 v[94:95], v[36:37], v[38:39], v[40:41] op_sel_hi:[0,1,1]
	v_pk_fma_f32 v[36:37], v[36:37], v[38:39], v[40:41] neg_lo:[0,0,1] neg_hi:[0,0,1]
	v_mov_b32_e32 v37, v95
	s_delay_alu instid0(VALU_DEP_1)
	v_pk_add_f32 v[38:39], v[36:37], 0 neg_lo:[1,1] neg_hi:[1,1]
	ds_store_b64 v49, v[38:39]
.LBB65_717:                             ;   in Loop: Header=BB65_3 Depth=1
	s_or_b32 exec_lo, exec_lo, s66
	s_wait_dscnt 0x0
	s_barrier_signal -1
	s_barrier_wait -1
	s_and_saveexec_b32 s66, s102
	s_cbranch_execz .LBB65_719
; %bb.718:                              ;   in Loop: Header=BB65_3 Depth=1
	ds_load_b64 v[38:39], v50 offset:9344
	ds_load_b64 v[40:41], v49
	s_wait_dscnt 0x0
	v_pk_mul_f32 v[94:95], v[40:41], v[38:39] op_sel:[1,1] op_sel_hi:[0,1]
	s_delay_alu instid0(VALU_DEP_1) | instskip(SKIP_1) | instid1(VALU_DEP_2)
	v_pk_fma_f32 v[96:97], v[40:41], v[38:39], v[94:95] op_sel_hi:[1,0,1]
	v_pk_fma_f32 v[38:39], v[40:41], v[38:39], v[94:95] neg_lo:[0,0,1] neg_hi:[0,0,1]
	v_mov_b32_e32 v39, v97
	s_delay_alu instid0(VALU_DEP_1)
	v_pk_add_f32 v[36:37], v[36:37], v[38:39] neg_lo:[0,1] neg_hi:[0,1]
.LBB65_719:                             ;   in Loop: Header=BB65_3 Depth=1
	s_or_b32 exec_lo, exec_lo, s66
	s_barrier_signal -1
	s_barrier_wait -1
	s_and_saveexec_b32 s66, s103
	s_cbranch_execz .LBB65_721
; %bb.720:                              ;   in Loop: Header=BB65_3 Depth=1
	ds_load_b64 v[38:39], v5 offset:8840
	s_wait_dscnt 0x0
	v_pk_mul_f32 v[40:41], v[36:37], v[38:39] op_sel:[1,1] op_sel_hi:[1,0]
	s_delay_alu instid0(VALU_DEP_1) | instskip(SKIP_1) | instid1(VALU_DEP_2)
	v_pk_fma_f32 v[94:95], v[36:37], v[38:39], v[40:41] op_sel_hi:[0,1,1]
	v_pk_fma_f32 v[36:37], v[36:37], v[38:39], v[40:41] neg_lo:[0,0,1] neg_hi:[0,0,1]
	v_mov_b32_e32 v37, v95
	s_delay_alu instid0(VALU_DEP_1)
	v_pk_add_f32 v[38:39], v[36:37], 0 neg_lo:[1,1] neg_hi:[1,1]
	ds_store_b64 v49, v[38:39]
.LBB65_721:                             ;   in Loop: Header=BB65_3 Depth=1
	s_or_b32 exec_lo, exec_lo, s66
	s_wait_dscnt 0x0
	;; [unrolled: 35-line block ×3, first 2 shown]
	s_barrier_signal -1
	s_barrier_wait -1
	s_barrier_signal -1
	s_barrier_wait -1
	s_and_saveexec_b32 s66, s2
; %bb.726:                              ;   in Loop: Header=BB65_3 Depth=1
	ds_store_b64 v54, v[36:37] offset:11904
; %bb.727:                              ;   in Loop: Header=BB65_3 Depth=1
	s_or_b32 exec_lo, exec_lo, s66
	s_wait_dscnt 0x0
	s_barrier_signal -1
	s_barrier_wait -1
	s_barrier_signal -1
	s_barrier_wait -1
	s_and_saveexec_b32 s66, vcc_hi
	s_cbranch_execz .LBB65_729
; %bb.728:                              ;   in Loop: Header=BB65_3 Depth=1
	ds_load_b64 v[36:37], v78 offset:10368
	s_wait_dscnt 0x0
	ds_store_b64 v81, v[36:37] offset:8352
	ds_load_b64 v[36:37], v78 offset:10376
	s_wait_dscnt 0x0
	ds_store_b64 v81, v[36:37] offset:8864
	;; [unrolled: 3-line block ×4, first 2 shown]
.LBB65_729:                             ;   in Loop: Header=BB65_3 Depth=1
	s_or_b32 exec_lo, exec_lo, s66
	s_wait_dscnt 0x0
	s_barrier_signal -1
	s_barrier_wait -1
	s_and_saveexec_b32 s66, s14
	s_cbranch_execz .LBB65_731
; %bb.730:                              ;   in Loop: Header=BB65_3 Depth=1
	v_add_nc_u32_e64 v4, 0x90, 0
	ds_load_b64 v[40:41], v5 offset:9880
	ds_load_2addr_stride64_b64 v[36:39], v4 offset0:18 offset1:19
	s_wait_dscnt 0x0
	v_dual_mul_f32 v93, v41, v37 :: v_dual_mul_f32 v4, v40, v37
	s_delay_alu instid0(VALU_DEP_1) | instskip(NEXT) | instid1(VALU_DEP_1)
	v_xor_b32_e32 v94, 0x80000000, v93
	v_dual_fmac_f32 v4, v41, v36 :: v_dual_fmac_f32 v94, v40, v36
	s_delay_alu instid0(VALU_DEP_1) | instskip(SKIP_1) | instid1(VALU_DEP_2)
	v_pk_mul_f32 v[36:37], v[4:5], v[38:39] op_sel:[0,1] op_sel_hi:[0,0]
	v_add_nc_u32_e64 v4, 0x2000, 0
	v_pk_fma_f32 v[40:41], v[94:95], v[38:39], v[36:37] op_sel_hi:[0,1,1]
	v_pk_fma_f32 v[36:37], v[94:95], v[38:39], v[36:37] neg_lo:[0,0,1] neg_hi:[0,0,1]
	s_delay_alu instid0(VALU_DEP_2)
	v_mov_b32_e32 v37, v41
	ds_store_2addr_b64 v4, v[36:37], v[36:37] offset0:147 offset1:210
.LBB65_731:                             ;   in Loop: Header=BB65_3 Depth=1
	s_or_b32 exec_lo, exec_lo, s66
	v_dual_mov_b32 v36, 0 :: v_dual_mov_b32 v37, 0
	s_wait_dscnt 0x0
	s_barrier_signal -1
	s_barrier_wait -1
	global_wb scope:SCOPE_DEV
	s_wait_storecnt 0x0
	global_inv scope:SCOPE_DEV
	s_and_saveexec_b32 s66, s0
	s_cbranch_execz .LBB65_735
; %bb.732:                              ;   in Loop: Header=BB65_3 Depth=1
	ds_load_b64 v[36:37], v44 offset:9344
	ds_load_b64 v[38:39], v45 offset:9872
	s_wait_dscnt 0x0
	v_pk_mul_f32 v[40:41], v[38:39], v[36:37] op_sel:[1,1] op_sel_hi:[0,1]
	s_delay_alu instid0(VALU_DEP_1) | instskip(SKIP_1) | instid1(VALU_DEP_2)
	v_pk_fma_f32 v[94:95], v[38:39], v[36:37], v[40:41] op_sel_hi:[1,0,1]
	v_pk_fma_f32 v[36:37], v[38:39], v[36:37], v[40:41] neg_lo:[0,0,1] neg_hi:[0,0,1]
	v_mov_b32_e32 v37, v95
	s_delay_alu instid0(VALU_DEP_1)
	v_pk_add_f32 v[36:37], v[36:37], 0 op_sel_hi:[1,0]
	s_and_saveexec_b32 s67, s15
	s_cbranch_execz .LBB65_734
; %bb.733:                              ;   in Loop: Header=BB65_3 Depth=1
	ds_load_b64 v[38:39], v81 offset:9856
	ds_load_b64 v[40:41], v5 offset:9880
	s_wait_dscnt 0x0
	v_pk_mul_f32 v[94:95], v[40:41], v[38:39] op_sel:[1,1] op_sel_hi:[0,1]
	s_delay_alu instid0(VALU_DEP_1) | instskip(SKIP_1) | instid1(VALU_DEP_2)
	v_pk_fma_f32 v[96:97], v[40:41], v[38:39], v[94:95] op_sel_hi:[1,0,1]
	v_pk_fma_f32 v[38:39], v[40:41], v[38:39], v[94:95] neg_lo:[0,0,1] neg_hi:[0,0,1]
	v_mov_b32_e32 v39, v97
	s_delay_alu instid0(VALU_DEP_1)
	v_pk_add_f32 v[36:37], v[36:37], v[38:39]
.LBB65_734:                             ;   in Loop: Header=BB65_3 Depth=1
	s_or_b32 exec_lo, exec_lo, s67
.LBB65_735:                             ;   in Loop: Header=BB65_3 Depth=1
	s_delay_alu instid0(SALU_CYCLE_1)
	s_or_b32 exec_lo, exec_lo, s66
	s_and_saveexec_b32 s66, s96
	s_cbranch_execz .LBB65_737
; %bb.736:                              ;   in Loop: Header=BB65_3 Depth=1
	ds_load_b64 v[38:39], v5 offset:8840
	s_wait_dscnt 0x0
	v_pk_mul_f32 v[40:41], v[36:37], v[38:39] op_sel:[1,1] op_sel_hi:[1,0]
	s_delay_alu instid0(VALU_DEP_1) | instskip(SKIP_1) | instid1(VALU_DEP_2)
	v_pk_fma_f32 v[94:95], v[36:37], v[38:39], v[40:41] op_sel_hi:[0,1,1]
	v_pk_fma_f32 v[36:37], v[36:37], v[38:39], v[40:41] neg_lo:[0,0,1] neg_hi:[0,0,1]
	v_mov_b32_e32 v37, v95
	s_delay_alu instid0(VALU_DEP_1)
	v_pk_add_f32 v[38:39], v[36:37], 0 neg_lo:[1,1] neg_hi:[1,1]
	ds_store_b64 v3, v[38:39]
.LBB65_737:                             ;   in Loop: Header=BB65_3 Depth=1
	s_or_b32 exec_lo, exec_lo, s66
	s_wait_loadcnt_dscnt 0x0
	s_barrier_signal -1
	s_barrier_wait -1
	s_and_saveexec_b32 s66, s97
	s_cbranch_execz .LBB65_739
; %bb.738:                              ;   in Loop: Header=BB65_3 Depth=1
	ds_load_b64 v[38:39], v5 offset:8832
	ds_load_b64 v[40:41], v3
	s_wait_dscnt 0x0
	v_pk_mul_f32 v[94:95], v[40:41], v[38:39] op_sel:[1,1] op_sel_hi:[0,1]
	s_delay_alu instid0(VALU_DEP_1) | instskip(SKIP_1) | instid1(VALU_DEP_2)
	v_pk_fma_f32 v[96:97], v[40:41], v[38:39], v[94:95] op_sel_hi:[1,0,1]
	v_pk_fma_f32 v[38:39], v[40:41], v[38:39], v[94:95] neg_lo:[0,0,1] neg_hi:[0,0,1]
	v_mov_b32_e32 v39, v97
	s_delay_alu instid0(VALU_DEP_1)
	v_pk_add_f32 v[36:37], v[36:37], v[38:39] neg_lo:[0,1] neg_hi:[0,1]
.LBB65_739:                             ;   in Loop: Header=BB65_3 Depth=1
	s_or_b32 exec_lo, exec_lo, s66
	s_barrier_signal -1
	s_barrier_wait -1
	s_and_saveexec_b32 s66, s97
	s_cbranch_execz .LBB65_741
; %bb.740:                              ;   in Loop: Header=BB65_3 Depth=1
	ds_load_b64 v[38:39], v5 offset:8320
	s_wait_dscnt 0x0
	v_pk_mul_f32 v[40:41], v[36:37], v[38:39] op_sel:[1,1] op_sel_hi:[1,0]
	s_delay_alu instid0(VALU_DEP_1) | instskip(SKIP_1) | instid1(VALU_DEP_2)
	v_pk_fma_f32 v[94:95], v[36:37], v[38:39], v[40:41] op_sel_hi:[0,1,1]
	v_pk_fma_f32 v[36:37], v[36:37], v[38:39], v[40:41] neg_lo:[0,0,1] neg_hi:[0,0,1]
	v_mov_b32_e32 v37, v95
	s_delay_alu instid0(VALU_DEP_1)
	v_pk_add_f32 v[38:39], v[36:37], 0 neg_lo:[1,1] neg_hi:[1,1]
	ds_store_b64 v3, v[38:39]
.LBB65_741:                             ;   in Loop: Header=BB65_3 Depth=1
	s_or_b32 exec_lo, exec_lo, s66
	s_wait_dscnt 0x0
	s_barrier_signal -1
	s_barrier_wait -1
	s_barrier_signal -1
	s_barrier_wait -1
	s_and_saveexec_b32 s66, s0
; %bb.742:                              ;   in Loop: Header=BB65_3 Depth=1
	ds_store_b64 v47, v[36:37] offset:9856
; %bb.743:                              ;   in Loop: Header=BB65_3 Depth=1
	s_or_b32 exec_lo, exec_lo, s66
	s_wait_dscnt 0x0
	s_barrier_signal -1
	s_barrier_wait -1
	s_barrier_signal -1
	s_barrier_wait -1
	s_and_saveexec_b32 s66, s98
	s_cbranch_execz .LBB65_745
; %bb.744:                              ;   in Loop: Header=BB65_3 Depth=1
	ds_load_b64 v[36:37], v82 offset:9344
	s_wait_dscnt 0x0
	ds_store_b64 v81, v[36:37] offset:8336
	ds_load_b64 v[36:37], v82 offset:9352
	s_wait_dscnt 0x0
	ds_store_b64 v81, v[36:37] offset:8848
.LBB65_745:                             ;   in Loop: Header=BB65_3 Depth=1
	s_or_b32 exec_lo, exec_lo, s66
	s_wait_dscnt 0x0
	s_barrier_signal -1
	s_barrier_wait -1
	s_and_saveexec_b32 s66, s14
	s_cbranch_execz .LBB65_747
; %bb.746:                              ;   in Loop: Header=BB65_3 Depth=1
	v_add_nc_u32_e64 v4, 0x80, 0
	ds_load_b64 v[40:41], v5 offset:8840
	ds_load_2addr_stride64_b64 v[36:39], v4 offset0:16 offset1:17
	s_wait_dscnt 0x0
	v_dual_mul_f32 v93, v41, v37 :: v_dual_mul_f32 v4, v40, v37
	s_delay_alu instid0(VALU_DEP_1) | instskip(NEXT) | instid1(VALU_DEP_1)
	v_xor_b32_e32 v94, 0x80000000, v93
	v_dual_fmac_f32 v4, v41, v36 :: v_dual_fmac_f32 v94, v40, v36
	s_delay_alu instid0(VALU_DEP_1) | instskip(SKIP_1) | instid1(VALU_DEP_2)
	v_pk_mul_f32 v[36:37], v[4:5], v[38:39] op_sel:[0,1] op_sel_hi:[0,0]
	v_add_nc_u32_e64 v4, 0x2000, 0
	v_pk_fma_f32 v[40:41], v[94:95], v[38:39], v[36:37] op_sel_hi:[0,1,1]
	v_pk_fma_f32 v[36:37], v[94:95], v[38:39], v[36:37] neg_lo:[0,0,1] neg_hi:[0,0,1]
	s_delay_alu instid0(VALU_DEP_2)
	v_mov_b32_e32 v37, v41
	ds_store_2addr_b64 v4, v[36:37], v[36:37] offset0:17 offset1:80
.LBB65_747:                             ;   in Loop: Header=BB65_3 Depth=1
	s_or_b32 exec_lo, exec_lo, s66
	v_mov_b64_e32 v[36:37], 0
	s_wait_dscnt 0x0
	s_barrier_signal -1
	s_barrier_wait -1
	global_wb scope:SCOPE_DEV
	s_wait_storecnt 0x0
	global_inv scope:SCOPE_DEV
	s_and_saveexec_b32 s66, s4
	s_cbranch_execz .LBB65_775
; %bb.748:                              ;   in Loop: Header=BB65_3 Depth=1
	ds_load_b64 v[36:37], v61 offset:8192
	ds_load_b64 v[38:39], v62 offset:16000
	v_readlane_b32 s54, v104, 27
	s_wait_dscnt 0x0
	v_dual_mul_f32 v4, v39, v37 :: v_dual_mul_f32 v37, v38, v37
	s_delay_alu instid0(VALU_DEP_1) | instskip(NEXT) | instid1(VALU_DEP_1)
	v_dual_fma_f32 v4, v38, v36, -v4 :: v_dual_fmac_f32 v37, v39, v36
	v_dual_add_f32 v36, 0, v4 :: v_dual_add_f32 v37, 0, v37
	s_and_saveexec_b32 s67, s54
	s_cbranch_execz .LBB65_750
; %bb.749:                              ;   in Loop: Header=BB65_3 Depth=1
	ds_load_b64 v[38:39], v61 offset:8704
	ds_load_b64 v[40:41], v62 offset:16008
	s_wait_dscnt 0x0
	v_dual_mul_f32 v4, v41, v39 :: v_dual_mul_f32 v39, v40, v39
	s_delay_alu instid0(VALU_DEP_1) | instskip(NEXT) | instid1(VALU_DEP_1)
	v_dual_fma_f32 v4, v40, v38, -v4 :: v_dual_fmac_f32 v39, v41, v38
	v_dual_add_f32 v36, v36, v4 :: v_dual_add_f32 v37, v37, v39
.LBB65_750:                             ;   in Loop: Header=BB65_3 Depth=1
	s_or_b32 exec_lo, exec_lo, s67
	v_readlane_b32 s54, v104, 28
	s_and_saveexec_b32 s67, s54
	s_cbranch_execz .LBB65_752
; %bb.751:                              ;   in Loop: Header=BB65_3 Depth=1
	ds_load_b64 v[38:39], v61 offset:9216
	ds_load_b64 v[40:41], v62 offset:16016
	s_wait_dscnt 0x0
	v_dual_mul_f32 v4, v41, v39 :: v_dual_mul_f32 v39, v40, v39
	s_delay_alu instid0(VALU_DEP_1) | instskip(NEXT) | instid1(VALU_DEP_1)
	v_dual_fma_f32 v4, v40, v38, -v4 :: v_dual_fmac_f32 v39, v41, v38
	v_dual_add_f32 v36, v36, v4 :: v_dual_add_f32 v37, v37, v39
.LBB65_752:                             ;   in Loop: Header=BB65_3 Depth=1
	s_or_b32 exec_lo, exec_lo, s67
	v_readlane_b32 s54, v104, 29
	;; [unrolled: 13-line block ×10, first 2 shown]
	s_and_saveexec_b32 s67, s54
	s_cbranch_execnz .LBB65_1146
; %bb.769:                              ;   in Loop: Header=BB65_3 Depth=1
	s_or_b32 exec_lo, exec_lo, s67
	s_and_saveexec_b32 s67, s3
	s_cbranch_execnz .LBB65_1147
.LBB65_770:                             ;   in Loop: Header=BB65_3 Depth=1
	s_or_b32 exec_lo, exec_lo, s67
	s_and_saveexec_b32 s67, s19
	s_cbranch_execnz .LBB65_1148
.LBB65_771:                             ;   in Loop: Header=BB65_3 Depth=1
	s_or_b32 exec_lo, exec_lo, s67
	s_and_saveexec_b32 s67, s21
	s_cbranch_execnz .LBB65_1149
.LBB65_772:                             ;   in Loop: Header=BB65_3 Depth=1
	s_or_b32 exec_lo, exec_lo, s67
	s_and_saveexec_b32 s67, s2
	s_cbranch_execz .LBB65_774
.LBB65_773:                             ;   in Loop: Header=BB65_3 Depth=1
	ds_load_b64 v[38:39], v46 offset:15872
	ds_load_b64 v[40:41], v5 offset:16120
	s_wait_dscnt 0x0
	v_dual_mul_f32 v4, v41, v39 :: v_dual_mul_f32 v95, v40, v39
	s_delay_alu instid0(VALU_DEP_1) | instskip(NEXT) | instid1(VALU_DEP_1)
	v_dual_fma_f32 v94, v40, v38, -v4 :: v_dual_fmac_f32 v95, v41, v38
	v_pk_add_f32 v[36:37], v[36:37], v[94:95]
.LBB65_774:                             ;   in Loop: Header=BB65_3 Depth=1
	s_or_b32 exec_lo, exec_lo, s67
.LBB65_775:                             ;   in Loop: Header=BB65_3 Depth=1
	s_delay_alu instid0(SALU_CYCLE_1)
	s_or_b32 exec_lo, exec_lo, s66
	v_readlane_b32 s54, v104, 5
	s_and_saveexec_b32 s66, s54
	s_cbranch_execz .LBB65_777
; %bb.776:                              ;   in Loop: Header=BB65_3 Depth=1
	ds_load_b64 v[38:39], v5 offset:7800
	s_wait_dscnt 0x0
	v_pk_mul_f32 v[40:41], v[36:37], v[38:39] op_sel:[1,1] op_sel_hi:[1,0]
	s_delay_alu instid0(VALU_DEP_1) | instskip(SKIP_1) | instid1(VALU_DEP_2)
	v_pk_fma_f32 v[94:95], v[36:37], v[38:39], v[40:41] op_sel_hi:[0,1,1]
	v_pk_fma_f32 v[36:37], v[36:37], v[38:39], v[40:41] neg_lo:[0,0,1] neg_hi:[0,0,1]
	v_mov_b32_e32 v37, v95
	s_delay_alu instid0(VALU_DEP_1)
	v_pk_add_f32 v[38:39], v[36:37], 0 neg_lo:[1,1] neg_hi:[1,1]
	ds_store_b64 v60, v[38:39]
.LBB65_777:                             ;   in Loop: Header=BB65_3 Depth=1
	s_or_b32 exec_lo, exec_lo, s66
	s_wait_loadcnt_dscnt 0x0
	s_barrier_signal -1
	s_barrier_wait -1
	s_and_saveexec_b32 s66, s55
	s_cbranch_execz .LBB65_779
; %bb.778:                              ;   in Loop: Header=BB65_3 Depth=1
	ds_load_b64 v[38:39], v61 offset:7680
	ds_load_b64 v[40:41], v60
	s_wait_dscnt 0x0
	v_pk_mul_f32 v[94:95], v[40:41], v[38:39] op_sel:[1,1] op_sel_hi:[0,1]
	s_delay_alu instid0(VALU_DEP_1) | instskip(SKIP_1) | instid1(VALU_DEP_2)
	v_pk_fma_f32 v[96:97], v[40:41], v[38:39], v[94:95] op_sel_hi:[1,0,1]
	v_pk_fma_f32 v[38:39], v[40:41], v[38:39], v[94:95] neg_lo:[0,0,1] neg_hi:[0,0,1]
	v_mov_b32_e32 v39, v97
	s_delay_alu instid0(VALU_DEP_1)
	v_pk_add_f32 v[36:37], v[36:37], v[38:39] neg_lo:[0,1] neg_hi:[0,1]
.LBB65_779:                             ;   in Loop: Header=BB65_3 Depth=1
	s_or_b32 exec_lo, exec_lo, s66
	s_barrier_signal -1
	s_barrier_wait -1
	s_and_saveexec_b32 s66, s56
	s_cbranch_execz .LBB65_781
; %bb.780:                              ;   in Loop: Header=BB65_3 Depth=1
	ds_load_b64 v[38:39], v5 offset:7280
	s_wait_dscnt 0x0
	v_pk_mul_f32 v[40:41], v[36:37], v[38:39] op_sel:[1,1] op_sel_hi:[1,0]
	s_delay_alu instid0(VALU_DEP_1) | instskip(SKIP_1) | instid1(VALU_DEP_2)
	v_pk_fma_f32 v[94:95], v[36:37], v[38:39], v[40:41] op_sel_hi:[0,1,1]
	v_pk_fma_f32 v[36:37], v[36:37], v[38:39], v[40:41] neg_lo:[0,0,1] neg_hi:[0,0,1]
	v_mov_b32_e32 v37, v95
	s_delay_alu instid0(VALU_DEP_1)
	v_pk_add_f32 v[38:39], v[36:37], 0 neg_lo:[1,1] neg_hi:[1,1]
	ds_store_b64 v60, v[38:39]
.LBB65_781:                             ;   in Loop: Header=BB65_3 Depth=1
	s_or_b32 exec_lo, exec_lo, s66
	s_wait_dscnt 0x0
	s_barrier_signal -1
	s_barrier_wait -1
	s_and_saveexec_b32 s66, s57
	s_cbranch_execz .LBB65_783
; %bb.782:                              ;   in Loop: Header=BB65_3 Depth=1
	ds_load_b64 v[38:39], v61 offset:7168
	ds_load_b64 v[40:41], v60
	s_wait_dscnt 0x0
	v_pk_mul_f32 v[94:95], v[40:41], v[38:39] op_sel:[1,1] op_sel_hi:[0,1]
	s_delay_alu instid0(VALU_DEP_1) | instskip(SKIP_1) | instid1(VALU_DEP_2)
	v_pk_fma_f32 v[96:97], v[40:41], v[38:39], v[94:95] op_sel_hi:[1,0,1]
	v_pk_fma_f32 v[38:39], v[40:41], v[38:39], v[94:95] neg_lo:[0,0,1] neg_hi:[0,0,1]
	v_mov_b32_e32 v39, v97
	s_delay_alu instid0(VALU_DEP_1)
	v_pk_add_f32 v[36:37], v[36:37], v[38:39] neg_lo:[0,1] neg_hi:[0,1]
.LBB65_783:                             ;   in Loop: Header=BB65_3 Depth=1
	s_or_b32 exec_lo, exec_lo, s66
	s_barrier_signal -1
	s_barrier_wait -1
	s_and_saveexec_b32 s66, s58
	s_cbranch_execz .LBB65_785
; %bb.784:                              ;   in Loop: Header=BB65_3 Depth=1
	ds_load_b64 v[38:39], v5 offset:6760
	s_wait_dscnt 0x0
	v_pk_mul_f32 v[40:41], v[36:37], v[38:39] op_sel:[1,1] op_sel_hi:[1,0]
	s_delay_alu instid0(VALU_DEP_1) | instskip(SKIP_1) | instid1(VALU_DEP_2)
	v_pk_fma_f32 v[94:95], v[36:37], v[38:39], v[40:41] op_sel_hi:[0,1,1]
	v_pk_fma_f32 v[36:37], v[36:37], v[38:39], v[40:41] neg_lo:[0,0,1] neg_hi:[0,0,1]
	v_mov_b32_e32 v37, v95
	s_delay_alu instid0(VALU_DEP_1)
	v_pk_add_f32 v[38:39], v[36:37], 0 neg_lo:[1,1] neg_hi:[1,1]
	ds_store_b64 v60, v[38:39]
.LBB65_785:                             ;   in Loop: Header=BB65_3 Depth=1
	s_or_b32 exec_lo, exec_lo, s66
	s_wait_dscnt 0x0
	s_barrier_signal -1
	s_barrier_wait -1
	s_and_saveexec_b32 s66, s59
	s_cbranch_execz .LBB65_787
; %bb.786:                              ;   in Loop: Header=BB65_3 Depth=1
	ds_load_b64 v[38:39], v61 offset:6656
	ds_load_b64 v[40:41], v60
	s_wait_dscnt 0x0
	v_pk_mul_f32 v[94:95], v[40:41], v[38:39] op_sel:[1,1] op_sel_hi:[0,1]
	s_delay_alu instid0(VALU_DEP_1) | instskip(SKIP_1) | instid1(VALU_DEP_2)
	v_pk_fma_f32 v[96:97], v[40:41], v[38:39], v[94:95] op_sel_hi:[1,0,1]
	v_pk_fma_f32 v[38:39], v[40:41], v[38:39], v[94:95] neg_lo:[0,0,1] neg_hi:[0,0,1]
	v_mov_b32_e32 v39, v97
	s_delay_alu instid0(VALU_DEP_1)
	v_pk_add_f32 v[36:37], v[36:37], v[38:39] neg_lo:[0,1] neg_hi:[0,1]
.LBB65_787:                             ;   in Loop: Header=BB65_3 Depth=1
	s_or_b32 exec_lo, exec_lo, s66
	s_delay_alu instid0(VALU_DEP_1)
	v_dual_mov_b32 v38, v37 :: v_dual_mov_b32 v39, v36
	s_barrier_signal -1
	s_barrier_wait -1
	s_and_saveexec_b32 s66, s60
	s_cbranch_execz .LBB65_789
; %bb.788:                              ;   in Loop: Header=BB65_3 Depth=1
	ds_load_b64 v[40:41], v5 offset:6240
	s_wait_dscnt 0x0
	v_dual_mul_f32 v4, v39, v41 :: v_dual_mul_f32 v94, v37, v41
	s_delay_alu instid0(VALU_DEP_1) | instskip(NEXT) | instid1(VALU_DEP_2)
	v_pk_fma_f32 v[38:39], v[38:39], v[40:41], v[4:5] op_sel_hi:[1,1,0]
	v_pk_fma_f32 v[36:37], v[36:37], v[40:41], v[94:95] op_sel_hi:[1,1,0] neg_lo:[0,0,1] neg_hi:[0,0,1]
	s_delay_alu instid0(VALU_DEP_1) | instskip(NEXT) | instid1(VALU_DEP_1)
	v_dual_mov_b32 v37, v38 :: v_dual_mov_b32 v39, v36
	v_pk_add_f32 v[40:41], v[36:37], 0 neg_lo:[1,1] neg_hi:[1,1]
	ds_store_b64 v60, v[40:41]
.LBB65_789:                             ;   in Loop: Header=BB65_3 Depth=1
	s_or_b32 exec_lo, exec_lo, s66
	s_wait_dscnt 0x0
	s_barrier_signal -1
	s_barrier_wait -1
	s_and_saveexec_b32 s66, s61
	s_cbranch_execz .LBB65_791
; %bb.790:                              ;   in Loop: Header=BB65_3 Depth=1
	ds_load_b64 v[36:37], v61 offset:6144
	ds_load_b64 v[40:41], v60
	s_wait_dscnt 0x0
	v_dual_mul_f32 v4, v41, v37 :: v_dual_mul_f32 v94, v40, v37
	s_delay_alu instid0(VALU_DEP_1) | instskip(NEXT) | instid1(VALU_DEP_1)
	v_dual_fma_f32 v95, v40, v36, -v4 :: v_dual_fmac_f32 v94, v41, v36
	v_pk_add_f32 v[38:39], v[38:39], v[94:95] neg_lo:[0,1] neg_hi:[0,1]
.LBB65_791:                             ;   in Loop: Header=BB65_3 Depth=1
	s_or_b32 exec_lo, exec_lo, s66
	s_barrier_signal -1
	s_barrier_wait -1
	s_and_saveexec_b32 s66, s62
	s_cbranch_execz .LBB65_793
; %bb.792:                              ;   in Loop: Header=BB65_3 Depth=1
	ds_load_b64 v[36:37], v5 offset:5720
	s_wait_dscnt 0x0
	v_pk_mul_f32 v[40:41], v[38:39], v[36:37] op_sel_hi:[0,1]
	s_delay_alu instid0(VALU_DEP_1) | instskip(SKIP_1) | instid1(VALU_DEP_2)
	v_pk_fma_f32 v[94:95], v[38:39], v[36:37], v[40:41] op_sel:[1,1,0] op_sel_hi:[1,0,1] neg_lo:[0,0,1] neg_hi:[0,0,1]
	v_pk_fma_f32 v[38:39], v[38:39], v[36:37], v[40:41] op_sel:[1,1,0] op_sel_hi:[1,0,1]
	v_mov_b32_e32 v39, v95
	s_delay_alu instid0(VALU_DEP_2)
	v_xor_b32_e32 v37, 0x80000000, v38
	v_xor_b32_e32 v36, 0x80000000, v95
	ds_store_b64 v60, v[36:37]
.LBB65_793:                             ;   in Loop: Header=BB65_3 Depth=1
	s_or_b32 exec_lo, exec_lo, s66
	s_wait_dscnt 0x0
	s_barrier_signal -1
	s_barrier_wait -1
	s_and_saveexec_b32 s66, s63
	s_cbranch_execz .LBB65_795
; %bb.794:                              ;   in Loop: Header=BB65_3 Depth=1
	ds_load_b64 v[36:37], v61 offset:5632
	ds_load_b64 v[40:41], v60
	s_wait_dscnt 0x0
	v_pk_mul_f32 v[94:95], v[40:41], v[36:37] op_sel:[0,1]
	s_delay_alu instid0(VALU_DEP_1) | instskip(SKIP_1) | instid1(VALU_DEP_2)
	v_pk_fma_f32 v[96:97], v[40:41], v[36:37], v[94:95] op_sel:[1,0,0] op_sel_hi:[0,0,1] neg_lo:[0,0,1] neg_hi:[0,0,1]
	v_pk_fma_f32 v[36:37], v[40:41], v[36:37], v[94:95] op_sel:[1,0,0] op_sel_hi:[0,1,1]
	v_mov_b32_e32 v37, v97
	s_delay_alu instid0(VALU_DEP_1)
	v_pk_add_f32 v[38:39], v[38:39], v[36:37] neg_lo:[0,1] neg_hi:[0,1]
.LBB65_795:                             ;   in Loop: Header=BB65_3 Depth=1
	s_or_b32 exec_lo, exec_lo, s66
	s_barrier_signal -1
	s_barrier_wait -1
	s_and_saveexec_b32 s66, s64
	s_cbranch_execz .LBB65_797
; %bb.796:                              ;   in Loop: Header=BB65_3 Depth=1
	ds_load_b64 v[36:37], v5 offset:5200
	s_wait_dscnt 0x0
	v_pk_mul_f32 v[40:41], v[38:39], v[36:37] op_sel_hi:[0,1]
	s_delay_alu instid0(VALU_DEP_1) | instskip(SKIP_1) | instid1(VALU_DEP_2)
	v_pk_fma_f32 v[94:95], v[38:39], v[36:37], v[40:41] op_sel:[1,1,0] op_sel_hi:[1,0,1] neg_lo:[0,0,1] neg_hi:[0,0,1]
	v_pk_fma_f32 v[38:39], v[38:39], v[36:37], v[40:41] op_sel:[1,1,0] op_sel_hi:[1,0,1]
	v_mov_b32_e32 v39, v95
	s_delay_alu instid0(VALU_DEP_2)
	v_xor_b32_e32 v37, 0x80000000, v38
	v_xor_b32_e32 v36, 0x80000000, v95
	ds_store_b64 v60, v[36:37]
.LBB65_797:                             ;   in Loop: Header=BB65_3 Depth=1
	s_or_b32 exec_lo, exec_lo, s66
	s_wait_dscnt 0x0
	s_barrier_signal -1
	s_barrier_wait -1
	s_and_saveexec_b32 s66, s65
	s_cbranch_execz .LBB65_799
; %bb.798:                              ;   in Loop: Header=BB65_3 Depth=1
	ds_load_b64 v[36:37], v61 offset:5120
	ds_load_b64 v[40:41], v60
	s_wait_dscnt 0x0
	v_pk_mul_f32 v[94:95], v[40:41], v[36:37] op_sel:[0,1]
	s_delay_alu instid0(VALU_DEP_1) | instskip(SKIP_1) | instid1(VALU_DEP_2)
	v_pk_fma_f32 v[96:97], v[40:41], v[36:37], v[94:95] op_sel:[1,0,0] op_sel_hi:[0,0,1] neg_lo:[0,0,1] neg_hi:[0,0,1]
	v_pk_fma_f32 v[36:37], v[40:41], v[36:37], v[94:95] op_sel:[1,0,0] op_sel_hi:[0,1,1]
	v_mov_b32_e32 v37, v97
	s_delay_alu instid0(VALU_DEP_1)
	v_pk_add_f32 v[38:39], v[38:39], v[36:37] neg_lo:[0,1] neg_hi:[0,1]
.LBB65_799:                             ;   in Loop: Header=BB65_3 Depth=1
	;; [unrolled: 36-line block ×3, first 2 shown]
	s_or_b32 exec_lo, exec_lo, s66
	s_delay_alu instid0(VALU_DEP_1)
	v_dual_mov_b32 v36, v39 :: v_dual_mov_b32 v37, v38
	s_barrier_signal -1
	s_barrier_wait -1
	s_and_saveexec_b32 s66, s23
	s_cbranch_execz .LBB65_805
; %bb.804:                              ;   in Loop: Header=BB65_3 Depth=1
	ds_load_b64 v[40:41], v5 offset:4160
	s_wait_dscnt 0x0
	v_dual_mul_f32 v4, v38, v40 :: v_dual_mul_f32 v94, v37, v41
	s_delay_alu instid0(VALU_DEP_1) | instskip(NEXT) | instid1(VALU_DEP_2)
	v_pk_fma_f32 v[38:39], v[38:39], v[40:41], v[4:5] op_sel_hi:[1,1,0]
	v_pk_fma_f32 v[36:37], v[36:37], v[40:41], v[94:95] op_sel_hi:[1,1,0] neg_lo:[0,0,1] neg_hi:[0,0,1]
	s_delay_alu instid0(VALU_DEP_2) | instskip(NEXT) | instid1(VALU_DEP_1)
	v_mov_b32_e32 v37, v39
	v_pk_add_f32 v[38:39], v[36:37], 0 neg_lo:[1,1] neg_hi:[1,1]
	ds_store_b64 v60, v[38:39]
.LBB65_805:                             ;   in Loop: Header=BB65_3 Depth=1
	s_or_b32 exec_lo, exec_lo, s66
	s_wait_dscnt 0x0
	s_barrier_signal -1
	s_barrier_wait -1
	s_and_saveexec_b32 s66, s25
	s_cbranch_execz .LBB65_807
; %bb.806:                              ;   in Loop: Header=BB65_3 Depth=1
	ds_load_b64 v[38:39], v61 offset:4096
	ds_load_b64 v[40:41], v60
	s_wait_dscnt 0x0
	v_dual_mul_f32 v4, v41, v39 :: v_dual_mul_f32 v95, v40, v39
	s_delay_alu instid0(VALU_DEP_1) | instskip(NEXT) | instid1(VALU_DEP_1)
	v_dual_fma_f32 v94, v40, v38, -v4 :: v_dual_fmac_f32 v95, v41, v38
	v_pk_add_f32 v[36:37], v[36:37], v[94:95] neg_lo:[0,1] neg_hi:[0,1]
.LBB65_807:                             ;   in Loop: Header=BB65_3 Depth=1
	s_or_b32 exec_lo, exec_lo, s66
	s_barrier_signal -1
	s_barrier_wait -1
	s_and_saveexec_b32 s66, s27
	s_cbranch_execz .LBB65_809
; %bb.808:                              ;   in Loop: Header=BB65_3 Depth=1
	ds_load_b64 v[38:39], v5 offset:3640
	s_wait_dscnt 0x0
	v_pk_mul_f32 v[40:41], v[36:37], v[38:39] op_sel:[1,1] op_sel_hi:[1,0]
	s_delay_alu instid0(VALU_DEP_1) | instskip(SKIP_1) | instid1(VALU_DEP_2)
	v_pk_fma_f32 v[94:95], v[36:37], v[38:39], v[40:41] op_sel_hi:[0,1,1]
	v_pk_fma_f32 v[36:37], v[36:37], v[38:39], v[40:41] neg_lo:[0,0,1] neg_hi:[0,0,1]
	v_mov_b32_e32 v37, v95
	s_delay_alu instid0(VALU_DEP_1)
	v_pk_add_f32 v[38:39], v[36:37], 0 neg_lo:[1,1] neg_hi:[1,1]
	ds_store_b64 v60, v[38:39]
.LBB65_809:                             ;   in Loop: Header=BB65_3 Depth=1
	s_or_b32 exec_lo, exec_lo, s66
	s_wait_dscnt 0x0
	s_barrier_signal -1
	s_barrier_wait -1
	s_and_saveexec_b32 s66, s29
	s_cbranch_execz .LBB65_811
; %bb.810:                              ;   in Loop: Header=BB65_3 Depth=1
	ds_load_b64 v[38:39], v61 offset:3584
	ds_load_b64 v[40:41], v60
	s_wait_dscnt 0x0
	v_pk_mul_f32 v[94:95], v[40:41], v[38:39] op_sel:[1,1] op_sel_hi:[0,1]
	s_delay_alu instid0(VALU_DEP_1) | instskip(SKIP_1) | instid1(VALU_DEP_2)
	v_pk_fma_f32 v[96:97], v[40:41], v[38:39], v[94:95] op_sel_hi:[1,0,1]
	v_pk_fma_f32 v[38:39], v[40:41], v[38:39], v[94:95] neg_lo:[0,0,1] neg_hi:[0,0,1]
	v_mov_b32_e32 v39, v97
	s_delay_alu instid0(VALU_DEP_1)
	v_pk_add_f32 v[36:37], v[36:37], v[38:39] neg_lo:[0,1] neg_hi:[0,1]
.LBB65_811:                             ;   in Loop: Header=BB65_3 Depth=1
	s_or_b32 exec_lo, exec_lo, s66
	s_barrier_signal -1
	s_barrier_wait -1
	s_and_saveexec_b32 s66, s31
	s_cbranch_execz .LBB65_813
; %bb.812:                              ;   in Loop: Header=BB65_3 Depth=1
	ds_load_b64 v[38:39], v5 offset:3120
	s_wait_dscnt 0x0
	v_pk_mul_f32 v[40:41], v[36:37], v[38:39] op_sel:[1,1] op_sel_hi:[1,0]
	s_delay_alu instid0(VALU_DEP_1) | instskip(SKIP_1) | instid1(VALU_DEP_2)
	v_pk_fma_f32 v[94:95], v[36:37], v[38:39], v[40:41] op_sel_hi:[0,1,1]
	v_pk_fma_f32 v[36:37], v[36:37], v[38:39], v[40:41] neg_lo:[0,0,1] neg_hi:[0,0,1]
	v_mov_b32_e32 v37, v95
	s_delay_alu instid0(VALU_DEP_1)
	v_pk_add_f32 v[38:39], v[36:37], 0 neg_lo:[1,1] neg_hi:[1,1]
	ds_store_b64 v60, v[38:39]
.LBB65_813:                             ;   in Loop: Header=BB65_3 Depth=1
	s_or_b32 exec_lo, exec_lo, s66
	s_wait_dscnt 0x0
	s_barrier_signal -1
	s_barrier_wait -1
	s_and_saveexec_b32 s66, s34
	s_cbranch_execz .LBB65_815
; %bb.814:                              ;   in Loop: Header=BB65_3 Depth=1
	ds_load_b64 v[38:39], v61 offset:3072
	ds_load_b64 v[40:41], v60
	s_wait_dscnt 0x0
	v_pk_mul_f32 v[94:95], v[40:41], v[38:39] op_sel:[1,1] op_sel_hi:[0,1]
	s_delay_alu instid0(VALU_DEP_1) | instskip(SKIP_1) | instid1(VALU_DEP_2)
	v_pk_fma_f32 v[96:97], v[40:41], v[38:39], v[94:95] op_sel_hi:[1,0,1]
	v_pk_fma_f32 v[38:39], v[40:41], v[38:39], v[94:95] neg_lo:[0,0,1] neg_hi:[0,0,1]
	v_mov_b32_e32 v39, v97
	s_delay_alu instid0(VALU_DEP_1)
	v_pk_add_f32 v[36:37], v[36:37], v[38:39] neg_lo:[0,1] neg_hi:[0,1]
.LBB65_815:                             ;   in Loop: Header=BB65_3 Depth=1
	;; [unrolled: 35-line block ×3, first 2 shown]
	s_or_b32 exec_lo, exec_lo, s66
	s_barrier_signal -1
	s_barrier_wait -1
	s_and_saveexec_b32 s66, s87
	s_cbranch_execz .LBB65_821
; %bb.820:                              ;   in Loop: Header=BB65_3 Depth=1
	ds_load_b64 v[38:39], v5 offset:2080
	s_wait_dscnt 0x0
	v_pk_mul_f32 v[40:41], v[36:37], v[38:39]
	v_pk_mul_f32 v[36:37], v[36:37], v[38:39] op_sel:[1,0] op_sel_hi:[0,1]
	s_delay_alu instid0(VALU_DEP_1) | instskip(NEXT) | instid1(VALU_DEP_3)
	v_dual_mov_b32 v38, v40 :: v_dual_mov_b32 v39, v36
	v_mov_b32_e32 v36, v41
	s_delay_alu instid0(VALU_DEP_1) | instskip(SKIP_1) | instid1(VALU_DEP_2)
	v_pk_add_f32 v[40:41], v[38:39], v[36:37]
	v_pk_add_f32 v[36:37], v[38:39], v[36:37] neg_lo:[0,1] neg_hi:[0,1]
	v_mov_b32_e32 v37, v41
	s_delay_alu instid0(VALU_DEP_1)
	v_pk_add_f32 v[38:39], v[36:37], 0 neg_lo:[1,1] neg_hi:[1,1]
	ds_store_b64 v60, v[38:39]
.LBB65_821:                             ;   in Loop: Header=BB65_3 Depth=1
	s_or_b32 exec_lo, exec_lo, s66
	s_wait_dscnt 0x0
	s_barrier_signal -1
	s_barrier_wait -1
	s_and_saveexec_b32 s66, s84
	s_cbranch_execz .LBB65_823
; %bb.822:                              ;   in Loop: Header=BB65_3 Depth=1
	ds_load_b64 v[38:39], v61 offset:2048
	ds_load_b64 v[40:41], v60
	s_wait_dscnt 0x0
	v_dual_mul_f32 v4, v41, v39 :: v_dual_mul_f32 v39, v40, v39
	s_delay_alu instid0(VALU_DEP_1) | instskip(NEXT) | instid1(VALU_DEP_1)
	v_dual_fma_f32 v4, v40, v38, -v4 :: v_dual_fmac_f32 v39, v41, v38
	v_dual_sub_f32 v36, v36, v4 :: v_dual_sub_f32 v37, v37, v39
.LBB65_823:                             ;   in Loop: Header=BB65_3 Depth=1
	s_or_b32 exec_lo, exec_lo, s66
	s_barrier_signal -1
	s_barrier_wait -1
	s_and_saveexec_b32 s66, s85
	s_cbranch_execz .LBB65_825
; %bb.824:                              ;   in Loop: Header=BB65_3 Depth=1
	ds_load_b64 v[38:39], v5 offset:1560
	s_wait_dscnt 0x0
	v_dual_mul_f32 v4, v37, v38 :: v_dual_mul_f32 v40, v37, v39
	s_delay_alu instid0(VALU_DEP_1) | instskip(NEXT) | instid1(VALU_DEP_2)
	v_pk_fma_f32 v[94:95], v[36:37], v[38:39], v[4:5] op_sel:[1,0,0] op_sel_hi:[0,1,0]
	v_pk_fma_f32 v[36:37], v[36:37], v[38:39], v[40:41] op_sel_hi:[1,1,0] neg_lo:[0,0,1] neg_hi:[0,0,1]
	s_delay_alu instid0(VALU_DEP_2) | instskip(NEXT) | instid1(VALU_DEP_1)
	v_mov_b32_e32 v37, v95
	v_pk_add_f32 v[38:39], v[36:37], 0 neg_lo:[1,1] neg_hi:[1,1]
	ds_store_b64 v60, v[38:39]
.LBB65_825:                             ;   in Loop: Header=BB65_3 Depth=1
	s_or_b32 exec_lo, exec_lo, s66
	s_wait_dscnt 0x0
	s_barrier_signal -1
	s_barrier_wait -1
	s_and_saveexec_b32 s66, s24
	s_cbranch_execz .LBB65_827
; %bb.826:                              ;   in Loop: Header=BB65_3 Depth=1
	ds_load_b64 v[38:39], v61 offset:1536
	ds_load_b64 v[40:41], v60
	s_wait_dscnt 0x0
	v_pk_mul_f32 v[94:95], v[40:41], v[38:39] op_sel:[1,1] op_sel_hi:[0,1]
	s_delay_alu instid0(VALU_DEP_1) | instskip(SKIP_1) | instid1(VALU_DEP_2)
	v_pk_fma_f32 v[96:97], v[40:41], v[38:39], v[94:95] op_sel_hi:[1,0,1]
	v_pk_fma_f32 v[38:39], v[40:41], v[38:39], v[94:95] neg_lo:[0,0,1] neg_hi:[0,0,1]
	v_mov_b32_e32 v39, v97
	s_delay_alu instid0(VALU_DEP_1)
	v_pk_add_f32 v[36:37], v[36:37], v[38:39] neg_lo:[0,1] neg_hi:[0,1]
.LBB65_827:                             ;   in Loop: Header=BB65_3 Depth=1
	s_or_b32 exec_lo, exec_lo, s66
	s_barrier_signal -1
	s_barrier_wait -1
	s_and_saveexec_b32 s66, s26
	s_cbranch_execz .LBB65_829
; %bb.828:                              ;   in Loop: Header=BB65_3 Depth=1
	ds_load_b64 v[38:39], v5 offset:1040
	s_wait_dscnt 0x0
	v_pk_mul_f32 v[40:41], v[36:37], v[38:39] op_sel:[1,1] op_sel_hi:[1,0]
	s_delay_alu instid0(VALU_DEP_1) | instskip(SKIP_1) | instid1(VALU_DEP_2)
	v_pk_fma_f32 v[94:95], v[36:37], v[38:39], v[40:41] op_sel_hi:[0,1,1]
	v_pk_fma_f32 v[36:37], v[36:37], v[38:39], v[40:41] neg_lo:[0,0,1] neg_hi:[0,0,1]
	v_mov_b32_e32 v37, v95
	s_delay_alu instid0(VALU_DEP_1)
	v_pk_add_f32 v[38:39], v[36:37], 0 neg_lo:[1,1] neg_hi:[1,1]
	ds_store_b64 v60, v[38:39]
.LBB65_829:                             ;   in Loop: Header=BB65_3 Depth=1
	s_or_b32 exec_lo, exec_lo, s66
	s_wait_dscnt 0x0
	s_barrier_signal -1
	s_barrier_wait -1
	s_and_saveexec_b32 s66, s10
	s_cbranch_execz .LBB65_831
; %bb.830:                              ;   in Loop: Header=BB65_3 Depth=1
	ds_load_b64 v[38:39], v61 offset:1024
	ds_load_b64 v[40:41], v60
	s_wait_dscnt 0x0
	v_pk_mul_f32 v[94:95], v[40:41], v[38:39] op_sel:[1,1] op_sel_hi:[0,1]
	s_delay_alu instid0(VALU_DEP_1) | instskip(SKIP_1) | instid1(VALU_DEP_2)
	v_pk_fma_f32 v[96:97], v[40:41], v[38:39], v[94:95] op_sel_hi:[1,0,1]
	v_pk_fma_f32 v[38:39], v[40:41], v[38:39], v[94:95] neg_lo:[0,0,1] neg_hi:[0,0,1]
	v_mov_b32_e32 v39, v97
	s_delay_alu instid0(VALU_DEP_1)
	v_pk_add_f32 v[36:37], v[36:37], v[38:39] neg_lo:[0,1] neg_hi:[0,1]
.LBB65_831:                             ;   in Loop: Header=BB65_3 Depth=1
	s_or_b32 exec_lo, exec_lo, s66
	s_barrier_signal -1
	s_barrier_wait -1
	s_and_saveexec_b32 s66, s11
	s_cbranch_execz .LBB65_833
; %bb.832:                              ;   in Loop: Header=BB65_3 Depth=1
	ds_load_b64 v[38:39], v5 offset:520
	s_wait_dscnt 0x0
	v_pk_mul_f32 v[40:41], v[36:37], v[38:39] op_sel:[1,1] op_sel_hi:[1,0]
	s_delay_alu instid0(VALU_DEP_1) | instskip(SKIP_1) | instid1(VALU_DEP_2)
	v_pk_fma_f32 v[94:95], v[36:37], v[38:39], v[40:41] op_sel_hi:[0,1,1]
	v_pk_fma_f32 v[36:37], v[36:37], v[38:39], v[40:41] neg_lo:[0,0,1] neg_hi:[0,0,1]
	v_mov_b32_e32 v37, v95
	s_delay_alu instid0(VALU_DEP_1)
	v_pk_add_f32 v[38:39], v[36:37], 0 neg_lo:[1,1] neg_hi:[1,1]
	ds_store_b64 v60, v[38:39]
.LBB65_833:                             ;   in Loop: Header=BB65_3 Depth=1
	s_or_b32 exec_lo, exec_lo, s66
	s_wait_dscnt 0x0
	s_barrier_signal -1
	s_barrier_wait -1
	s_and_saveexec_b32 s66, s28
	s_cbranch_execz .LBB65_835
; %bb.834:                              ;   in Loop: Header=BB65_3 Depth=1
	ds_load_b64 v[38:39], v5 offset:512
	ds_load_b64 v[40:41], v60
	s_wait_dscnt 0x0
	v_pk_mul_f32 v[94:95], v[40:41], v[38:39] op_sel:[1,1] op_sel_hi:[0,1]
	s_delay_alu instid0(VALU_DEP_1) | instskip(SKIP_1) | instid1(VALU_DEP_2)
	v_pk_fma_f32 v[96:97], v[40:41], v[38:39], v[94:95] op_sel_hi:[1,0,1]
	v_pk_fma_f32 v[38:39], v[40:41], v[38:39], v[94:95] neg_lo:[0,0,1] neg_hi:[0,0,1]
	v_mov_b32_e32 v39, v97
	s_delay_alu instid0(VALU_DEP_1)
	v_pk_add_f32 v[36:37], v[36:37], v[38:39] neg_lo:[0,1] neg_hi:[0,1]
.LBB65_835:                             ;   in Loop: Header=BB65_3 Depth=1
	s_or_b32 exec_lo, exec_lo, s66
	s_barrier_signal -1
	s_barrier_wait -1
	s_and_saveexec_b32 s66, s28
	s_cbranch_execz .LBB65_837
; %bb.836:                              ;   in Loop: Header=BB65_3 Depth=1
	ds_load_b64 v[38:39], v5
	s_wait_dscnt 0x0
	v_pk_mul_f32 v[40:41], v[36:37], v[38:39] op_sel:[1,1] op_sel_hi:[1,0]
	s_delay_alu instid0(VALU_DEP_1) | instskip(SKIP_1) | instid1(VALU_DEP_2)
	v_pk_fma_f32 v[94:95], v[36:37], v[38:39], v[40:41] op_sel_hi:[0,1,1]
	v_pk_fma_f32 v[36:37], v[36:37], v[38:39], v[40:41] neg_lo:[0,0,1] neg_hi:[0,0,1]
	v_mov_b32_e32 v37, v95
	s_delay_alu instid0(VALU_DEP_1)
	v_pk_add_f32 v[38:39], v[36:37], 0 neg_lo:[1,1] neg_hi:[1,1]
	ds_store_b64 v60, v[38:39]
.LBB65_837:                             ;   in Loop: Header=BB65_3 Depth=1
	s_or_b32 exec_lo, exec_lo, s66
	s_wait_dscnt 0x0
	s_barrier_signal -1
	s_barrier_wait -1
	s_barrier_signal -1
	s_barrier_wait -1
	s_and_saveexec_b32 s66, s4
; %bb.838:                              ;   in Loop: Header=BB65_3 Depth=1
	ds_store_b64 v63, v[36:37] offset:15872
; %bb.839:                              ;   in Loop: Header=BB65_3 Depth=1
	s_or_b32 exec_lo, exec_lo, s66
	s_wait_dscnt 0x0
	s_barrier_signal -1
	s_barrier_wait -1
	s_barrier_signal -1
	s_barrier_wait -1
	s_and_saveexec_b32 s66, s30
	s_cbranch_execz .LBB65_841
; %bb.840:                              ;   in Loop: Header=BB65_3 Depth=1
	ds_load_b64 v[36:37], v48 offset:8192
	s_wait_dscnt 0x0
	ds_store_b64 v53, v[36:37] offset:128
	ds_load_b64 v[36:37], v48 offset:8200
	s_wait_dscnt 0x0
	ds_store_b64 v53, v[36:37] offset:640
	;; [unrolled: 3-line block ×16, first 2 shown]
.LBB65_841:                             ;   in Loop: Header=BB65_3 Depth=1
	s_or_b32 exec_lo, exec_lo, s66
	s_wait_dscnt 0x0
	s_barrier_signal -1
	s_barrier_wait -1
	s_and_saveexec_b32 s66, s14
	s_cbranch_execz .LBB65_843
; %bb.842:                              ;   in Loop: Header=BB65_3 Depth=1
	v_add_nc_u32_e64 v4, 0x70, 0
	ds_load_b64 v[40:41], v5 offset:7800
	ds_load_2addr_stride64_b64 v[36:39], v4 offset0:14 offset1:15
	s_wait_dscnt 0x0
	v_dual_mul_f32 v93, v41, v37 :: v_dual_mul_f32 v4, v40, v37
	s_delay_alu instid0(VALU_DEP_1) | instskip(NEXT) | instid1(VALU_DEP_1)
	v_xor_b32_e32 v94, 0x80000000, v93
	v_dual_fmac_f32 v4, v41, v36 :: v_dual_fmac_f32 v94, v40, v36
	s_delay_alu instid0(VALU_DEP_1) | instskip(SKIP_1) | instid1(VALU_DEP_2)
	v_pk_mul_f32 v[36:37], v[4:5], v[38:39] op_sel:[0,1] op_sel_hi:[0,0]
	v_add_nc_u32_e64 v4, 0x1800, 0
	v_pk_fma_f32 v[40:41], v[94:95], v[38:39], v[36:37] op_sel_hi:[0,1,1]
	v_pk_fma_f32 v[36:37], v[94:95], v[38:39], v[36:37] neg_lo:[0,0,1] neg_hi:[0,0,1]
	s_delay_alu instid0(VALU_DEP_2)
	v_mov_b32_e32 v37, v41
	ds_store_2addr_b64 v4, v[36:37], v[36:37] offset0:143 offset1:206
.LBB65_843:                             ;   in Loop: Header=BB65_3 Depth=1
	s_or_b32 exec_lo, exec_lo, s66
	v_dual_mov_b32 v36, 0 :: v_dual_mov_b32 v37, 0
	s_wait_dscnt 0x0
	s_barrier_signal -1
	s_barrier_wait -1
	global_wb scope:SCOPE_DEV
	s_wait_storecnt 0x0
	global_inv scope:SCOPE_DEV
	s_and_saveexec_b32 s66, s0
	s_cbranch_execz .LBB65_847
; %bb.844:                              ;   in Loop: Header=BB65_3 Depth=1
	ds_load_b64 v[36:37], v44 offset:7264
	ds_load_b64 v[38:39], v45 offset:7792
	s_wait_dscnt 0x0
	v_pk_mul_f32 v[40:41], v[38:39], v[36:37] op_sel:[1,1] op_sel_hi:[0,1]
	s_delay_alu instid0(VALU_DEP_1) | instskip(SKIP_1) | instid1(VALU_DEP_2)
	v_pk_fma_f32 v[94:95], v[38:39], v[36:37], v[40:41] op_sel_hi:[1,0,1]
	v_pk_fma_f32 v[36:37], v[38:39], v[36:37], v[40:41] neg_lo:[0,0,1] neg_hi:[0,0,1]
	v_mov_b32_e32 v37, v95
	s_delay_alu instid0(VALU_DEP_1)
	v_pk_add_f32 v[36:37], v[36:37], 0 op_sel_hi:[1,0]
	s_and_saveexec_b32 s67, s15
	s_cbranch_execz .LBB65_846
; %bb.845:                              ;   in Loop: Header=BB65_3 Depth=1
	ds_load_b64 v[38:39], v46 offset:7776
	ds_load_b64 v[40:41], v5 offset:7800
	s_wait_dscnt 0x0
	v_pk_mul_f32 v[94:95], v[40:41], v[38:39] op_sel:[1,1] op_sel_hi:[0,1]
	s_delay_alu instid0(VALU_DEP_1) | instskip(SKIP_1) | instid1(VALU_DEP_2)
	v_pk_fma_f32 v[96:97], v[40:41], v[38:39], v[94:95] op_sel_hi:[1,0,1]
	v_pk_fma_f32 v[38:39], v[40:41], v[38:39], v[94:95] neg_lo:[0,0,1] neg_hi:[0,0,1]
	v_mov_b32_e32 v39, v97
	s_delay_alu instid0(VALU_DEP_1)
	v_pk_add_f32 v[36:37], v[36:37], v[38:39]
.LBB65_846:                             ;   in Loop: Header=BB65_3 Depth=1
	s_or_b32 exec_lo, exec_lo, s67
.LBB65_847:                             ;   in Loop: Header=BB65_3 Depth=1
	s_delay_alu instid0(SALU_CYCLE_1)
	s_or_b32 exec_lo, exec_lo, s66
	s_and_saveexec_b32 s66, s96
	s_cbranch_execz .LBB65_849
; %bb.848:                              ;   in Loop: Header=BB65_3 Depth=1
	ds_load_b64 v[38:39], v5 offset:6760
	s_wait_dscnt 0x0
	v_pk_mul_f32 v[40:41], v[36:37], v[38:39] op_sel:[1,1] op_sel_hi:[1,0]
	s_delay_alu instid0(VALU_DEP_1) | instskip(SKIP_1) | instid1(VALU_DEP_2)
	v_pk_fma_f32 v[94:95], v[36:37], v[38:39], v[40:41] op_sel_hi:[0,1,1]
	v_pk_fma_f32 v[36:37], v[36:37], v[38:39], v[40:41] neg_lo:[0,0,1] neg_hi:[0,0,1]
	v_mov_b32_e32 v37, v95
	s_delay_alu instid0(VALU_DEP_1)
	v_pk_add_f32 v[38:39], v[36:37], 0 neg_lo:[1,1] neg_hi:[1,1]
	ds_store_b64 v3, v[38:39]
.LBB65_849:                             ;   in Loop: Header=BB65_3 Depth=1
	s_or_b32 exec_lo, exec_lo, s66
	s_wait_loadcnt_dscnt 0x0
	s_barrier_signal -1
	s_barrier_wait -1
	s_and_saveexec_b32 s66, s97
	s_cbranch_execz .LBB65_851
; %bb.850:                              ;   in Loop: Header=BB65_3 Depth=1
	ds_load_b64 v[38:39], v5 offset:6752
	ds_load_b64 v[40:41], v3
	s_wait_dscnt 0x0
	v_pk_mul_f32 v[94:95], v[40:41], v[38:39] op_sel:[1,1] op_sel_hi:[0,1]
	s_delay_alu instid0(VALU_DEP_1) | instskip(SKIP_1) | instid1(VALU_DEP_2)
	v_pk_fma_f32 v[96:97], v[40:41], v[38:39], v[94:95] op_sel_hi:[1,0,1]
	v_pk_fma_f32 v[38:39], v[40:41], v[38:39], v[94:95] neg_lo:[0,0,1] neg_hi:[0,0,1]
	v_mov_b32_e32 v39, v97
	s_delay_alu instid0(VALU_DEP_1)
	v_pk_add_f32 v[36:37], v[36:37], v[38:39] neg_lo:[0,1] neg_hi:[0,1]
.LBB65_851:                             ;   in Loop: Header=BB65_3 Depth=1
	s_or_b32 exec_lo, exec_lo, s66
	s_barrier_signal -1
	s_barrier_wait -1
	s_and_saveexec_b32 s66, s97
	s_cbranch_execz .LBB65_853
; %bb.852:                              ;   in Loop: Header=BB65_3 Depth=1
	ds_load_b64 v[38:39], v5 offset:6240
	s_wait_dscnt 0x0
	v_pk_mul_f32 v[40:41], v[36:37], v[38:39] op_sel:[1,1] op_sel_hi:[1,0]
	s_delay_alu instid0(VALU_DEP_1) | instskip(SKIP_1) | instid1(VALU_DEP_2)
	v_pk_fma_f32 v[94:95], v[36:37], v[38:39], v[40:41] op_sel_hi:[0,1,1]
	v_pk_fma_f32 v[36:37], v[36:37], v[38:39], v[40:41] neg_lo:[0,0,1] neg_hi:[0,0,1]
	v_mov_b32_e32 v37, v95
	s_delay_alu instid0(VALU_DEP_1)
	v_pk_add_f32 v[38:39], v[36:37], 0 neg_lo:[1,1] neg_hi:[1,1]
	ds_store_b64 v3, v[38:39]
.LBB65_853:                             ;   in Loop: Header=BB65_3 Depth=1
	s_or_b32 exec_lo, exec_lo, s66
	s_wait_dscnt 0x0
	s_barrier_signal -1
	s_barrier_wait -1
	s_barrier_signal -1
	s_barrier_wait -1
	s_and_saveexec_b32 s66, s0
; %bb.854:                              ;   in Loop: Header=BB65_3 Depth=1
	ds_store_b64 v47, v[36:37] offset:7776
; %bb.855:                              ;   in Loop: Header=BB65_3 Depth=1
	s_or_b32 exec_lo, exec_lo, s66
	s_wait_dscnt 0x0
	s_barrier_signal -1
	s_barrier_wait -1
	s_barrier_signal -1
	s_barrier_wait -1
	s_and_saveexec_b32 s66, s98
	s_cbranch_execz .LBB65_857
; %bb.856:                              ;   in Loop: Header=BB65_3 Depth=1
	ds_load_b64 v[36:37], v48 offset:7264
	s_wait_dscnt 0x0
	ds_store_b64 v46, v[36:37] offset:6256
	ds_load_b64 v[36:37], v48 offset:7272
	s_wait_dscnt 0x0
	ds_store_b64 v46, v[36:37] offset:6768
.LBB65_857:                             ;   in Loop: Header=BB65_3 Depth=1
	s_or_b32 exec_lo, exec_lo, s66
	s_wait_dscnt 0x0
	s_barrier_signal -1
	s_barrier_wait -1
	s_and_saveexec_b32 s66, s14
	s_cbranch_execz .LBB65_859
; %bb.858:                              ;   in Loop: Header=BB65_3 Depth=1
	v_add_nc_u32_e64 v4, 0x60, 0
	ds_load_b64 v[40:41], v5 offset:6760
	ds_load_2addr_stride64_b64 v[36:39], v4 offset0:12 offset1:13
	s_wait_dscnt 0x0
	v_dual_mul_f32 v93, v41, v37 :: v_dual_mul_f32 v4, v40, v37
	s_delay_alu instid0(VALU_DEP_1) | instskip(NEXT) | instid1(VALU_DEP_1)
	v_xor_b32_e32 v94, 0x80000000, v93
	v_dual_fmac_f32 v4, v41, v36 :: v_dual_fmac_f32 v94, v40, v36
	s_delay_alu instid0(VALU_DEP_1) | instskip(SKIP_1) | instid1(VALU_DEP_2)
	v_pk_mul_f32 v[36:37], v[4:5], v[38:39] op_sel:[0,1] op_sel_hi:[0,0]
	v_add_nc_u32_e64 v4, 0x1800, 0
	v_pk_fma_f32 v[40:41], v[94:95], v[38:39], v[36:37] op_sel_hi:[0,1,1]
	v_pk_fma_f32 v[36:37], v[94:95], v[38:39], v[36:37] neg_lo:[0,0,1] neg_hi:[0,0,1]
	s_delay_alu instid0(VALU_DEP_2)
	v_mov_b32_e32 v37, v41
	ds_store_2addr_b64 v4, v[36:37], v[36:37] offset0:13 offset1:76
.LBB65_859:                             ;   in Loop: Header=BB65_3 Depth=1
	s_or_b32 exec_lo, exec_lo, s66
	v_mov_b64_e32 v[36:37], 0
	s_wait_dscnt 0x0
	s_barrier_signal -1
	s_barrier_wait -1
	global_wb scope:SCOPE_DEV
	s_wait_storecnt 0x0
	global_inv scope:SCOPE_DEV
	s_and_saveexec_b32 s66, s2
	s_cbranch_execz .LBB65_865
; %bb.860:                              ;   in Loop: Header=BB65_3 Depth=1
	ds_load_b64 v[36:37], v50 offset:6208
	ds_load_b64 v[38:39], v51 offset:7776
	s_wait_dscnt 0x0
	v_dual_mul_f32 v4, v39, v37 :: v_dual_mul_f32 v37, v38, v37
	s_delay_alu instid0(VALU_DEP_1) | instskip(NEXT) | instid1(VALU_DEP_1)
	v_dual_fma_f32 v4, v38, v36, -v4 :: v_dual_fmac_f32 v37, v39, v36
	v_dual_add_f32 v36, 0, v4 :: v_dual_add_f32 v37, 0, v37
	s_and_saveexec_b32 s67, s16
	s_cbranch_execnz .LBB65_1150
; %bb.861:                              ;   in Loop: Header=BB65_3 Depth=1
	s_or_b32 exec_lo, exec_lo, s67
	s_and_saveexec_b32 s67, s17
	s_cbranch_execnz .LBB65_1151
.LBB65_862:                             ;   in Loop: Header=BB65_3 Depth=1
	s_or_b32 exec_lo, exec_lo, s67
	s_and_saveexec_b32 s67, s0
	s_cbranch_execz .LBB65_864
.LBB65_863:                             ;   in Loop: Header=BB65_3 Depth=1
	ds_load_b64 v[38:39], v53 offset:7744
	ds_load_b64 v[40:41], v5 offset:7800
	s_wait_dscnt 0x0
	v_dual_mul_f32 v4, v41, v39 :: v_dual_mul_f32 v39, v40, v39
	s_delay_alu instid0(VALU_DEP_1) | instskip(NEXT) | instid1(VALU_DEP_1)
	v_dual_fma_f32 v4, v40, v38, -v4 :: v_dual_fmac_f32 v39, v41, v38
	v_dual_add_f32 v36, v36, v4 :: v_dual_add_f32 v37, v37, v39
.LBB65_864:                             ;   in Loop: Header=BB65_3 Depth=1
	s_or_b32 exec_lo, exec_lo, s67
.LBB65_865:                             ;   in Loop: Header=BB65_3 Depth=1
	s_delay_alu instid0(SALU_CYCLE_1)
	s_or_b32 exec_lo, exec_lo, s66
	s_and_saveexec_b32 s66, s99
	s_cbranch_execz .LBB65_867
; %bb.866:                              ;   in Loop: Header=BB65_3 Depth=1
	ds_load_b64 v[38:39], v5 offset:5720
	s_wait_dscnt 0x0
	v_dual_mul_f32 v4, v37, v38 :: v_dual_mul_f32 v40, v37, v39
	s_delay_alu instid0(VALU_DEP_1) | instskip(NEXT) | instid1(VALU_DEP_2)
	v_pk_fma_f32 v[94:95], v[36:37], v[38:39], v[4:5] op_sel:[1,0,0] op_sel_hi:[0,1,0]
	v_pk_fma_f32 v[36:37], v[36:37], v[38:39], v[40:41] op_sel_hi:[1,1,0] neg_lo:[0,0,1] neg_hi:[0,0,1]
	s_delay_alu instid0(VALU_DEP_2) | instskip(NEXT) | instid1(VALU_DEP_1)
	v_mov_b32_e32 v37, v95
	v_pk_add_f32 v[38:39], v[36:37], 0 neg_lo:[1,1] neg_hi:[1,1]
	ds_store_b64 v49, v[38:39]
.LBB65_867:                             ;   in Loop: Header=BB65_3 Depth=1
	s_or_b32 exec_lo, exec_lo, s66
	s_wait_loadcnt_dscnt 0x0
	s_barrier_signal -1
	s_barrier_wait -1
	s_and_saveexec_b32 s66, s100
	s_cbranch_execz .LBB65_869
; %bb.868:                              ;   in Loop: Header=BB65_3 Depth=1
	ds_load_b64 v[38:39], v50 offset:5696
	ds_load_b64 v[40:41], v49
	s_wait_dscnt 0x0
	v_pk_mul_f32 v[94:95], v[40:41], v[38:39] op_sel:[1,1] op_sel_hi:[0,1]
	s_delay_alu instid0(VALU_DEP_1) | instskip(SKIP_1) | instid1(VALU_DEP_2)
	v_pk_fma_f32 v[96:97], v[40:41], v[38:39], v[94:95] op_sel_hi:[1,0,1]
	v_pk_fma_f32 v[38:39], v[40:41], v[38:39], v[94:95] neg_lo:[0,0,1] neg_hi:[0,0,1]
	v_mov_b32_e32 v39, v97
	s_delay_alu instid0(VALU_DEP_1)
	v_pk_add_f32 v[36:37], v[36:37], v[38:39] neg_lo:[0,1] neg_hi:[0,1]
.LBB65_869:                             ;   in Loop: Header=BB65_3 Depth=1
	s_or_b32 exec_lo, exec_lo, s66
	s_barrier_signal -1
	s_barrier_wait -1
	s_and_saveexec_b32 s66, s101
	s_cbranch_execz .LBB65_871
; %bb.870:                              ;   in Loop: Header=BB65_3 Depth=1
	ds_load_b64 v[38:39], v5 offset:5200
	s_wait_dscnt 0x0
	v_pk_mul_f32 v[40:41], v[36:37], v[38:39] op_sel:[1,1] op_sel_hi:[1,0]
	s_delay_alu instid0(VALU_DEP_1) | instskip(SKIP_1) | instid1(VALU_DEP_2)
	v_pk_fma_f32 v[94:95], v[36:37], v[38:39], v[40:41] op_sel_hi:[0,1,1]
	v_pk_fma_f32 v[36:37], v[36:37], v[38:39], v[40:41] neg_lo:[0,0,1] neg_hi:[0,0,1]
	v_mov_b32_e32 v37, v95
	s_delay_alu instid0(VALU_DEP_1)
	v_pk_add_f32 v[38:39], v[36:37], 0 neg_lo:[1,1] neg_hi:[1,1]
	ds_store_b64 v49, v[38:39]
.LBB65_871:                             ;   in Loop: Header=BB65_3 Depth=1
	s_or_b32 exec_lo, exec_lo, s66
	s_wait_dscnt 0x0
	s_barrier_signal -1
	s_barrier_wait -1
	s_and_saveexec_b32 s66, s102
	s_cbranch_execz .LBB65_873
; %bb.872:                              ;   in Loop: Header=BB65_3 Depth=1
	ds_load_b64 v[38:39], v50 offset:5184
	ds_load_b64 v[40:41], v49
	s_wait_dscnt 0x0
	v_pk_mul_f32 v[94:95], v[40:41], v[38:39] op_sel:[1,1] op_sel_hi:[0,1]
	s_delay_alu instid0(VALU_DEP_1) | instskip(SKIP_1) | instid1(VALU_DEP_2)
	v_pk_fma_f32 v[96:97], v[40:41], v[38:39], v[94:95] op_sel_hi:[1,0,1]
	v_pk_fma_f32 v[38:39], v[40:41], v[38:39], v[94:95] neg_lo:[0,0,1] neg_hi:[0,0,1]
	v_mov_b32_e32 v39, v97
	s_delay_alu instid0(VALU_DEP_1)
	v_pk_add_f32 v[36:37], v[36:37], v[38:39] neg_lo:[0,1] neg_hi:[0,1]
.LBB65_873:                             ;   in Loop: Header=BB65_3 Depth=1
	s_or_b32 exec_lo, exec_lo, s66
	s_barrier_signal -1
	s_barrier_wait -1
	s_and_saveexec_b32 s66, s103
	s_cbranch_execz .LBB65_875
; %bb.874:                              ;   in Loop: Header=BB65_3 Depth=1
	ds_load_b64 v[38:39], v5 offset:4680
	s_wait_dscnt 0x0
	v_pk_mul_f32 v[40:41], v[36:37], v[38:39] op_sel:[1,1] op_sel_hi:[1,0]
	s_delay_alu instid0(VALU_DEP_1) | instskip(SKIP_1) | instid1(VALU_DEP_2)
	v_pk_fma_f32 v[94:95], v[36:37], v[38:39], v[40:41] op_sel_hi:[0,1,1]
	v_pk_fma_f32 v[36:37], v[36:37], v[38:39], v[40:41] neg_lo:[0,0,1] neg_hi:[0,0,1]
	v_mov_b32_e32 v37, v95
	s_delay_alu instid0(VALU_DEP_1)
	v_pk_add_f32 v[38:39], v[36:37], 0 neg_lo:[1,1] neg_hi:[1,1]
	ds_store_b64 v49, v[38:39]
.LBB65_875:                             ;   in Loop: Header=BB65_3 Depth=1
	s_or_b32 exec_lo, exec_lo, s66
	s_wait_dscnt 0x0
	;; [unrolled: 35-line block ×3, first 2 shown]
	s_barrier_signal -1
	s_barrier_wait -1
	s_barrier_signal -1
	s_barrier_wait -1
	s_and_saveexec_b32 s66, s2
; %bb.880:                              ;   in Loop: Header=BB65_3 Depth=1
	ds_store_b64 v54, v[36:37] offset:7744
; %bb.881:                              ;   in Loop: Header=BB65_3 Depth=1
	s_or_b32 exec_lo, exec_lo, s66
	s_wait_dscnt 0x0
	s_barrier_signal -1
	s_barrier_wait -1
	s_barrier_signal -1
	s_barrier_wait -1
	s_and_saveexec_b32 s66, vcc_hi
	s_cbranch_execz .LBB65_883
; %bb.882:                              ;   in Loop: Header=BB65_3 Depth=1
	ds_load_b64 v[36:37], v55 offset:6208
	s_wait_dscnt 0x0
	ds_store_b64 v68, v[36:37] offset:4192
	ds_load_b64 v[36:37], v55 offset:6216
	s_wait_dscnt 0x0
	ds_store_b64 v68, v[36:37] offset:4704
	;; [unrolled: 3-line block ×4, first 2 shown]
.LBB65_883:                             ;   in Loop: Header=BB65_3 Depth=1
	s_or_b32 exec_lo, exec_lo, s66
	s_wait_dscnt 0x0
	s_barrier_signal -1
	s_barrier_wait -1
	s_and_saveexec_b32 s66, s14
	s_cbranch_execz .LBB65_885
; %bb.884:                              ;   in Loop: Header=BB65_3 Depth=1
	v_add_nc_u32_e64 v4, 0x50, 0
	ds_load_b64 v[40:41], v5 offset:5720
	ds_load_2addr_stride64_b64 v[36:39], v4 offset0:10 offset1:11
	s_wait_dscnt 0x0
	v_dual_mul_f32 v93, v41, v37 :: v_dual_mul_f32 v4, v40, v37
	s_delay_alu instid0(VALU_DEP_1) | instskip(NEXT) | instid1(VALU_DEP_1)
	v_xor_b32_e32 v94, 0x80000000, v93
	v_dual_fmac_f32 v4, v41, v36 :: v_dual_fmac_f32 v94, v40, v36
	s_delay_alu instid0(VALU_DEP_1) | instskip(SKIP_1) | instid1(VALU_DEP_2)
	v_pk_mul_f32 v[36:37], v[4:5], v[38:39] op_sel:[0,1] op_sel_hi:[0,0]
	v_add_nc_u32_e64 v4, 0x1000, 0
	v_pk_fma_f32 v[40:41], v[94:95], v[38:39], v[36:37] op_sel_hi:[0,1,1]
	v_pk_fma_f32 v[36:37], v[94:95], v[38:39], v[36:37] neg_lo:[0,0,1] neg_hi:[0,0,1]
	s_delay_alu instid0(VALU_DEP_2)
	v_mov_b32_e32 v37, v41
	ds_store_2addr_b64 v4, v[36:37], v[36:37] offset0:139 offset1:202
.LBB65_885:                             ;   in Loop: Header=BB65_3 Depth=1
	s_or_b32 exec_lo, exec_lo, s66
	v_dual_mov_b32 v36, 0 :: v_dual_mov_b32 v37, 0
	s_wait_dscnt 0x0
	s_barrier_signal -1
	s_barrier_wait -1
	global_wb scope:SCOPE_DEV
	s_wait_storecnt 0x0
	global_inv scope:SCOPE_DEV
	s_and_saveexec_b32 s66, s0
	s_cbranch_execz .LBB65_889
; %bb.886:                              ;   in Loop: Header=BB65_3 Depth=1
	ds_load_b64 v[36:37], v44 offset:5184
	ds_load_b64 v[38:39], v45 offset:5712
	s_wait_dscnt 0x0
	v_pk_mul_f32 v[40:41], v[38:39], v[36:37] op_sel:[1,1] op_sel_hi:[0,1]
	s_delay_alu instid0(VALU_DEP_1) | instskip(SKIP_1) | instid1(VALU_DEP_2)
	v_pk_fma_f32 v[94:95], v[38:39], v[36:37], v[40:41] op_sel_hi:[1,0,1]
	v_pk_fma_f32 v[36:37], v[38:39], v[36:37], v[40:41] neg_lo:[0,0,1] neg_hi:[0,0,1]
	v_mov_b32_e32 v37, v95
	s_delay_alu instid0(VALU_DEP_1)
	v_pk_add_f32 v[36:37], v[36:37], 0 op_sel_hi:[1,0]
	s_and_saveexec_b32 s67, s15
	s_cbranch_execz .LBB65_888
; %bb.887:                              ;   in Loop: Header=BB65_3 Depth=1
	ds_load_b64 v[38:39], v68 offset:5696
	ds_load_b64 v[40:41], v5 offset:5720
	s_wait_dscnt 0x0
	v_pk_mul_f32 v[94:95], v[40:41], v[38:39] op_sel:[1,1] op_sel_hi:[0,1]
	s_delay_alu instid0(VALU_DEP_1) | instskip(SKIP_1) | instid1(VALU_DEP_2)
	v_pk_fma_f32 v[96:97], v[40:41], v[38:39], v[94:95] op_sel_hi:[1,0,1]
	v_pk_fma_f32 v[38:39], v[40:41], v[38:39], v[94:95] neg_lo:[0,0,1] neg_hi:[0,0,1]
	v_mov_b32_e32 v39, v97
	s_delay_alu instid0(VALU_DEP_1)
	v_pk_add_f32 v[36:37], v[36:37], v[38:39]
.LBB65_888:                             ;   in Loop: Header=BB65_3 Depth=1
	s_or_b32 exec_lo, exec_lo, s67
.LBB65_889:                             ;   in Loop: Header=BB65_3 Depth=1
	s_delay_alu instid0(SALU_CYCLE_1)
	s_or_b32 exec_lo, exec_lo, s66
	s_and_saveexec_b32 s66, s96
	s_cbranch_execz .LBB65_891
; %bb.890:                              ;   in Loop: Header=BB65_3 Depth=1
	ds_load_b64 v[38:39], v5 offset:4680
	s_wait_dscnt 0x0
	v_pk_mul_f32 v[40:41], v[36:37], v[38:39] op_sel:[1,1] op_sel_hi:[1,0]
	s_delay_alu instid0(VALU_DEP_1) | instskip(SKIP_1) | instid1(VALU_DEP_2)
	v_pk_fma_f32 v[94:95], v[36:37], v[38:39], v[40:41] op_sel_hi:[0,1,1]
	v_pk_fma_f32 v[36:37], v[36:37], v[38:39], v[40:41] neg_lo:[0,0,1] neg_hi:[0,0,1]
	v_mov_b32_e32 v37, v95
	s_delay_alu instid0(VALU_DEP_1)
	v_pk_add_f32 v[38:39], v[36:37], 0 neg_lo:[1,1] neg_hi:[1,1]
	ds_store_b64 v3, v[38:39]
.LBB65_891:                             ;   in Loop: Header=BB65_3 Depth=1
	s_or_b32 exec_lo, exec_lo, s66
	s_wait_loadcnt_dscnt 0x0
	s_barrier_signal -1
	s_barrier_wait -1
	s_and_saveexec_b32 s66, s97
	s_cbranch_execz .LBB65_893
; %bb.892:                              ;   in Loop: Header=BB65_3 Depth=1
	ds_load_b64 v[38:39], v5 offset:4672
	ds_load_b64 v[40:41], v3
	s_wait_dscnt 0x0
	v_pk_mul_f32 v[94:95], v[40:41], v[38:39] op_sel:[1,1] op_sel_hi:[0,1]
	s_delay_alu instid0(VALU_DEP_1) | instskip(SKIP_1) | instid1(VALU_DEP_2)
	v_pk_fma_f32 v[96:97], v[40:41], v[38:39], v[94:95] op_sel_hi:[1,0,1]
	v_pk_fma_f32 v[38:39], v[40:41], v[38:39], v[94:95] neg_lo:[0,0,1] neg_hi:[0,0,1]
	v_mov_b32_e32 v39, v97
	s_delay_alu instid0(VALU_DEP_1)
	v_pk_add_f32 v[36:37], v[36:37], v[38:39] neg_lo:[0,1] neg_hi:[0,1]
.LBB65_893:                             ;   in Loop: Header=BB65_3 Depth=1
	s_or_b32 exec_lo, exec_lo, s66
	s_barrier_signal -1
	s_barrier_wait -1
	s_and_saveexec_b32 s66, s97
	s_cbranch_execz .LBB65_895
; %bb.894:                              ;   in Loop: Header=BB65_3 Depth=1
	ds_load_b64 v[38:39], v5 offset:4160
	s_wait_dscnt 0x0
	v_pk_mul_f32 v[40:41], v[36:37], v[38:39] op_sel:[1,1] op_sel_hi:[1,0]
	s_delay_alu instid0(VALU_DEP_1) | instskip(SKIP_1) | instid1(VALU_DEP_2)
	v_pk_fma_f32 v[94:95], v[36:37], v[38:39], v[40:41] op_sel_hi:[0,1,1]
	v_pk_fma_f32 v[36:37], v[36:37], v[38:39], v[40:41] neg_lo:[0,0,1] neg_hi:[0,0,1]
	v_mov_b32_e32 v37, v95
	s_delay_alu instid0(VALU_DEP_1)
	v_pk_add_f32 v[38:39], v[36:37], 0 neg_lo:[1,1] neg_hi:[1,1]
	ds_store_b64 v3, v[38:39]
.LBB65_895:                             ;   in Loop: Header=BB65_3 Depth=1
	s_or_b32 exec_lo, exec_lo, s66
	s_wait_dscnt 0x0
	s_barrier_signal -1
	s_barrier_wait -1
	s_barrier_signal -1
	s_barrier_wait -1
	s_and_saveexec_b32 s66, s0
; %bb.896:                              ;   in Loop: Header=BB65_3 Depth=1
	ds_store_b64 v47, v[36:37] offset:5696
; %bb.897:                              ;   in Loop: Header=BB65_3 Depth=1
	s_or_b32 exec_lo, exec_lo, s66
	s_wait_dscnt 0x0
	s_barrier_signal -1
	s_barrier_wait -1
	s_barrier_signal -1
	s_barrier_wait -1
	s_and_saveexec_b32 s66, s98
	s_cbranch_execz .LBB65_899
; %bb.898:                              ;   in Loop: Header=BB65_3 Depth=1
	ds_load_b64 v[36:37], v69 offset:5184
	s_wait_dscnt 0x0
	ds_store_b64 v68, v[36:37] offset:4176
	ds_load_b64 v[36:37], v69 offset:5192
	s_wait_dscnt 0x0
	ds_store_b64 v68, v[36:37] offset:4688
.LBB65_899:                             ;   in Loop: Header=BB65_3 Depth=1
	s_or_b32 exec_lo, exec_lo, s66
	s_wait_dscnt 0x0
	s_barrier_signal -1
	s_barrier_wait -1
	s_and_saveexec_b32 s66, s14
	s_cbranch_execz .LBB65_901
; %bb.900:                              ;   in Loop: Header=BB65_3 Depth=1
	v_add_nc_u32_e64 v4, 64, 0
	ds_load_b64 v[40:41], v5 offset:4680
	ds_load_2addr_stride64_b64 v[36:39], v4 offset0:8 offset1:9
	s_wait_dscnt 0x0
	v_dual_mul_f32 v93, v41, v37 :: v_dual_mul_f32 v4, v40, v37
	s_delay_alu instid0(VALU_DEP_1) | instskip(NEXT) | instid1(VALU_DEP_1)
	v_xor_b32_e32 v94, 0x80000000, v93
	v_dual_fmac_f32 v4, v41, v36 :: v_dual_fmac_f32 v94, v40, v36
	s_delay_alu instid0(VALU_DEP_1) | instskip(SKIP_1) | instid1(VALU_DEP_2)
	v_pk_mul_f32 v[36:37], v[4:5], v[38:39] op_sel:[0,1] op_sel_hi:[0,0]
	v_add_nc_u32_e64 v4, 0x1000, 0
	v_pk_fma_f32 v[40:41], v[94:95], v[38:39], v[36:37] op_sel_hi:[0,1,1]
	v_pk_fma_f32 v[36:37], v[94:95], v[38:39], v[36:37] neg_lo:[0,0,1] neg_hi:[0,0,1]
	s_delay_alu instid0(VALU_DEP_2)
	v_mov_b32_e32 v37, v41
	ds_store_2addr_b64 v4, v[36:37], v[36:37] offset0:9 offset1:72
.LBB65_901:                             ;   in Loop: Header=BB65_3 Depth=1
	s_or_b32 exec_lo, exec_lo, s66
	v_mov_b64_e32 v[36:37], 0
	s_wait_dscnt 0x0
	s_barrier_signal -1
	s_barrier_wait -1
	global_wb scope:SCOPE_DEV
	s_wait_storecnt 0x0
	global_inv scope:SCOPE_DEV
	s_and_saveexec_b32 s66, s3
	s_cbranch_execz .LBB65_911
; %bb.902:                              ;   in Loop: Header=BB65_3 Depth=1
	ds_load_b64 v[36:37], v57 offset:4096
	ds_load_b64 v[38:39], v58 offset:7744
	s_wait_dscnt 0x0
	v_dual_mul_f32 v4, v39, v37 :: v_dual_mul_f32 v37, v38, v37
	s_delay_alu instid0(VALU_DEP_1) | instskip(NEXT) | instid1(VALU_DEP_1)
	v_dual_fma_f32 v4, v38, v36, -v4 :: v_dual_fmac_f32 v37, v39, v36
	v_dual_add_f32 v36, 0, v4 :: v_dual_add_f32 v37, 0, v37
	s_and_saveexec_b32 s67, s18
	s_cbranch_execnz .LBB65_1152
; %bb.903:                              ;   in Loop: Header=BB65_3 Depth=1
	s_or_b32 exec_lo, exec_lo, s67
	s_and_saveexec_b32 s67, s19
	s_cbranch_execnz .LBB65_1153
.LBB65_904:                             ;   in Loop: Header=BB65_3 Depth=1
	s_or_b32 exec_lo, exec_lo, s67
	s_and_saveexec_b32 s67, s20
	s_cbranch_execnz .LBB65_1154
.LBB65_905:                             ;   in Loop: Header=BB65_3 Depth=1
	s_or_b32 exec_lo, exec_lo, s67
	s_and_saveexec_b32 s67, s21
	s_cbranch_execnz .LBB65_1155
.LBB65_906:                             ;   in Loop: Header=BB65_3 Depth=1
	s_or_b32 exec_lo, exec_lo, s67
	s_and_saveexec_b32 s67, s22
	s_cbranch_execnz .LBB65_1156
.LBB65_907:                             ;   in Loop: Header=BB65_3 Depth=1
	s_or_b32 exec_lo, exec_lo, s67
	s_and_saveexec_b32 s67, s2
	s_cbranch_execnz .LBB65_1157
.LBB65_908:                             ;   in Loop: Header=BB65_3 Depth=1
	s_or_b32 exec_lo, exec_lo, s67
	s_and_saveexec_b32 s67, s17
	s_cbranch_execz .LBB65_910
.LBB65_909:                             ;   in Loop: Header=BB65_3 Depth=1
	ds_load_b64 v[38:39], v70 offset:7680
	ds_load_b64 v[40:41], v5 offset:7800
	s_wait_dscnt 0x0
	v_dual_mul_f32 v4, v41, v39 :: v_dual_mul_f32 v95, v40, v39
	s_delay_alu instid0(VALU_DEP_1) | instskip(NEXT) | instid1(VALU_DEP_1)
	v_dual_fma_f32 v94, v40, v38, -v4 :: v_dual_fmac_f32 v95, v41, v38
	v_pk_add_f32 v[36:37], v[36:37], v[94:95]
.LBB65_910:                             ;   in Loop: Header=BB65_3 Depth=1
	s_or_b32 exec_lo, exec_lo, s67
.LBB65_911:                             ;   in Loop: Header=BB65_3 Depth=1
	s_delay_alu instid0(SALU_CYCLE_1)
	s_or_b32 exec_lo, exec_lo, s66
	s_and_saveexec_b32 s66, s39
	s_cbranch_execz .LBB65_913
; %bb.912:                              ;   in Loop: Header=BB65_3 Depth=1
	ds_load_b64 v[38:39], v5 offset:3640
	s_wait_dscnt 0x0
	v_pk_mul_f32 v[40:41], v[36:37], v[38:39] op_sel:[1,1] op_sel_hi:[1,0]
	s_delay_alu instid0(VALU_DEP_1) | instskip(SKIP_1) | instid1(VALU_DEP_2)
	v_pk_fma_f32 v[94:95], v[36:37], v[38:39], v[40:41] op_sel_hi:[0,1,1]
	v_pk_fma_f32 v[36:37], v[36:37], v[38:39], v[40:41] neg_lo:[0,0,1] neg_hi:[0,0,1]
	v_mov_b32_e32 v37, v95
	s_delay_alu instid0(VALU_DEP_1)
	v_pk_add_f32 v[38:39], v[36:37], 0 neg_lo:[1,1] neg_hi:[1,1]
	ds_store_b64 v56, v[38:39]
.LBB65_913:                             ;   in Loop: Header=BB65_3 Depth=1
	s_or_b32 exec_lo, exec_lo, s66
	s_wait_loadcnt_dscnt 0x0
	s_barrier_signal -1
	s_barrier_wait -1
	s_and_saveexec_b32 s66, s40
	s_cbranch_execz .LBB65_915
; %bb.914:                              ;   in Loop: Header=BB65_3 Depth=1
	ds_load_b64 v[38:39], v57 offset:3584
	ds_load_b64 v[40:41], v56
	s_wait_dscnt 0x0
	v_pk_mul_f32 v[94:95], v[40:41], v[38:39] op_sel:[1,1] op_sel_hi:[0,1]
	s_delay_alu instid0(VALU_DEP_1) | instskip(SKIP_1) | instid1(VALU_DEP_2)
	v_pk_fma_f32 v[96:97], v[40:41], v[38:39], v[94:95] op_sel_hi:[1,0,1]
	v_pk_fma_f32 v[38:39], v[40:41], v[38:39], v[94:95] neg_lo:[0,0,1] neg_hi:[0,0,1]
	v_mov_b32_e32 v39, v97
	s_delay_alu instid0(VALU_DEP_1)
	v_pk_add_f32 v[36:37], v[36:37], v[38:39] neg_lo:[0,1] neg_hi:[0,1]
.LBB65_915:                             ;   in Loop: Header=BB65_3 Depth=1
	s_or_b32 exec_lo, exec_lo, s66
	s_barrier_signal -1
	s_barrier_wait -1
	s_and_saveexec_b32 s66, s41
	s_cbranch_execz .LBB65_917
; %bb.916:                              ;   in Loop: Header=BB65_3 Depth=1
	ds_load_b64 v[38:39], v5 offset:3120
	s_wait_dscnt 0x0
	v_pk_mul_f32 v[40:41], v[36:37], v[38:39] op_sel:[1,1] op_sel_hi:[1,0]
	s_delay_alu instid0(VALU_DEP_1) | instskip(SKIP_1) | instid1(VALU_DEP_2)
	v_pk_fma_f32 v[94:95], v[36:37], v[38:39], v[40:41] op_sel_hi:[0,1,1]
	v_pk_fma_f32 v[36:37], v[36:37], v[38:39], v[40:41] neg_lo:[0,0,1] neg_hi:[0,0,1]
	v_mov_b32_e32 v37, v95
	s_delay_alu instid0(VALU_DEP_1)
	v_pk_add_f32 v[38:39], v[36:37], 0 neg_lo:[1,1] neg_hi:[1,1]
	ds_store_b64 v56, v[38:39]
.LBB65_917:                             ;   in Loop: Header=BB65_3 Depth=1
	s_or_b32 exec_lo, exec_lo, s66
	s_wait_dscnt 0x0
	s_barrier_signal -1
	s_barrier_wait -1
	s_and_saveexec_b32 s66, s42
	s_cbranch_execz .LBB65_919
; %bb.918:                              ;   in Loop: Header=BB65_3 Depth=1
	ds_load_b64 v[38:39], v57 offset:3072
	ds_load_b64 v[40:41], v56
	s_wait_dscnt 0x0
	v_pk_mul_f32 v[94:95], v[40:41], v[38:39] op_sel:[1,1] op_sel_hi:[0,1]
	s_delay_alu instid0(VALU_DEP_1) | instskip(SKIP_1) | instid1(VALU_DEP_2)
	v_pk_fma_f32 v[96:97], v[40:41], v[38:39], v[94:95] op_sel_hi:[1,0,1]
	v_pk_fma_f32 v[38:39], v[40:41], v[38:39], v[94:95] neg_lo:[0,0,1] neg_hi:[0,0,1]
	v_mov_b32_e32 v39, v97
	s_delay_alu instid0(VALU_DEP_1)
	v_pk_add_f32 v[36:37], v[36:37], v[38:39] neg_lo:[0,1] neg_hi:[0,1]
.LBB65_919:                             ;   in Loop: Header=BB65_3 Depth=1
	s_or_b32 exec_lo, exec_lo, s66
	s_barrier_signal -1
	s_barrier_wait -1
	s_and_saveexec_b32 s66, s43
	s_cbranch_execz .LBB65_921
; %bb.920:                              ;   in Loop: Header=BB65_3 Depth=1
	ds_load_b64 v[38:39], v5 offset:2600
	s_wait_dscnt 0x0
	v_pk_mul_f32 v[40:41], v[36:37], v[38:39] op_sel:[1,1] op_sel_hi:[1,0]
	s_delay_alu instid0(VALU_DEP_1) | instskip(SKIP_1) | instid1(VALU_DEP_2)
	v_pk_fma_f32 v[94:95], v[36:37], v[38:39], v[40:41] op_sel_hi:[0,1,1]
	v_pk_fma_f32 v[36:37], v[36:37], v[38:39], v[40:41] neg_lo:[0,0,1] neg_hi:[0,0,1]
	v_mov_b32_e32 v37, v95
	s_delay_alu instid0(VALU_DEP_1)
	v_pk_add_f32 v[38:39], v[36:37], 0 neg_lo:[1,1] neg_hi:[1,1]
	ds_store_b64 v56, v[38:39]
.LBB65_921:                             ;   in Loop: Header=BB65_3 Depth=1
	s_or_b32 exec_lo, exec_lo, s66
	s_wait_dscnt 0x0
	s_barrier_signal -1
	s_barrier_wait -1
	s_and_saveexec_b32 s66, s44
	s_cbranch_execz .LBB65_923
; %bb.922:                              ;   in Loop: Header=BB65_3 Depth=1
	ds_load_b64 v[38:39], v57 offset:2560
	ds_load_b64 v[40:41], v56
	s_wait_dscnt 0x0
	v_pk_mul_f32 v[94:95], v[40:41], v[38:39] op_sel:[1,1] op_sel_hi:[0,1]
	s_delay_alu instid0(VALU_DEP_1) | instskip(SKIP_1) | instid1(VALU_DEP_2)
	v_pk_fma_f32 v[96:97], v[40:41], v[38:39], v[94:95] op_sel_hi:[1,0,1]
	v_pk_fma_f32 v[38:39], v[40:41], v[38:39], v[94:95] neg_lo:[0,0,1] neg_hi:[0,0,1]
	v_mov_b32_e32 v39, v97
	s_delay_alu instid0(VALU_DEP_1)
	v_pk_add_f32 v[36:37], v[36:37], v[38:39] neg_lo:[0,1] neg_hi:[0,1]
.LBB65_923:                             ;   in Loop: Header=BB65_3 Depth=1
	s_or_b32 exec_lo, exec_lo, s66
	s_barrier_signal -1
	s_barrier_wait -1
	s_and_saveexec_b32 s66, s45
	s_cbranch_execz .LBB65_925
; %bb.924:                              ;   in Loop: Header=BB65_3 Depth=1
	ds_load_b64 v[38:39], v5 offset:2080
	s_wait_dscnt 0x0
	v_pk_mul_f32 v[40:41], v[36:37], v[38:39]
	v_pk_mul_f32 v[36:37], v[36:37], v[38:39] op_sel:[1,0] op_sel_hi:[0,1]
	s_delay_alu instid0(VALU_DEP_1) | instskip(NEXT) | instid1(VALU_DEP_3)
	v_dual_mov_b32 v38, v40 :: v_dual_mov_b32 v39, v36
	v_mov_b32_e32 v36, v41
	s_delay_alu instid0(VALU_DEP_1) | instskip(SKIP_1) | instid1(VALU_DEP_2)
	v_pk_add_f32 v[40:41], v[38:39], v[36:37]
	v_pk_add_f32 v[36:37], v[38:39], v[36:37] neg_lo:[0,1] neg_hi:[0,1]
	v_mov_b32_e32 v37, v41
	s_delay_alu instid0(VALU_DEP_1)
	v_pk_add_f32 v[38:39], v[36:37], 0 neg_lo:[1,1] neg_hi:[1,1]
	ds_store_b64 v56, v[38:39]
.LBB65_925:                             ;   in Loop: Header=BB65_3 Depth=1
	s_or_b32 exec_lo, exec_lo, s66
	s_wait_dscnt 0x0
	s_barrier_signal -1
	s_barrier_wait -1
	s_and_saveexec_b32 s66, s46
	s_cbranch_execz .LBB65_927
; %bb.926:                              ;   in Loop: Header=BB65_3 Depth=1
	ds_load_b64 v[38:39], v57 offset:2048
	ds_load_b64 v[40:41], v56
	s_wait_dscnt 0x0
	v_dual_mul_f32 v4, v41, v39 :: v_dual_mul_f32 v39, v40, v39
	s_delay_alu instid0(VALU_DEP_1) | instskip(NEXT) | instid1(VALU_DEP_1)
	v_dual_fma_f32 v4, v40, v38, -v4 :: v_dual_fmac_f32 v39, v41, v38
	v_dual_sub_f32 v36, v36, v4 :: v_dual_sub_f32 v37, v37, v39
.LBB65_927:                             ;   in Loop: Header=BB65_3 Depth=1
	s_or_b32 exec_lo, exec_lo, s66
	s_barrier_signal -1
	s_barrier_wait -1
	s_and_saveexec_b32 s66, s47
	s_cbranch_execz .LBB65_929
; %bb.928:                              ;   in Loop: Header=BB65_3 Depth=1
	ds_load_b64 v[38:39], v5 offset:1560
	s_wait_dscnt 0x0
	v_dual_mul_f32 v4, v37, v38 :: v_dual_mul_f32 v40, v37, v39
	s_delay_alu instid0(VALU_DEP_1) | instskip(NEXT) | instid1(VALU_DEP_2)
	v_pk_fma_f32 v[94:95], v[36:37], v[38:39], v[4:5] op_sel:[1,0,0] op_sel_hi:[0,1,0]
	v_pk_fma_f32 v[36:37], v[36:37], v[38:39], v[40:41] op_sel_hi:[1,1,0] neg_lo:[0,0,1] neg_hi:[0,0,1]
	s_delay_alu instid0(VALU_DEP_2) | instskip(NEXT) | instid1(VALU_DEP_1)
	v_mov_b32_e32 v37, v95
	v_pk_add_f32 v[38:39], v[36:37], 0 neg_lo:[1,1] neg_hi:[1,1]
	ds_store_b64 v56, v[38:39]
.LBB65_929:                             ;   in Loop: Header=BB65_3 Depth=1
	s_or_b32 exec_lo, exec_lo, s66
	s_wait_dscnt 0x0
	s_barrier_signal -1
	s_barrier_wait -1
	s_and_saveexec_b32 s66, s48
	s_cbranch_execz .LBB65_931
; %bb.930:                              ;   in Loop: Header=BB65_3 Depth=1
	ds_load_b64 v[38:39], v57 offset:1536
	ds_load_b64 v[40:41], v56
	s_wait_dscnt 0x0
	v_pk_mul_f32 v[94:95], v[40:41], v[38:39] op_sel:[1,1] op_sel_hi:[0,1]
	s_delay_alu instid0(VALU_DEP_1) | instskip(SKIP_1) | instid1(VALU_DEP_2)
	v_pk_fma_f32 v[96:97], v[40:41], v[38:39], v[94:95] op_sel_hi:[1,0,1]
	v_pk_fma_f32 v[38:39], v[40:41], v[38:39], v[94:95] neg_lo:[0,0,1] neg_hi:[0,0,1]
	v_mov_b32_e32 v39, v97
	s_delay_alu instid0(VALU_DEP_1)
	v_pk_add_f32 v[36:37], v[36:37], v[38:39] neg_lo:[0,1] neg_hi:[0,1]
.LBB65_931:                             ;   in Loop: Header=BB65_3 Depth=1
	s_or_b32 exec_lo, exec_lo, s66
	s_barrier_signal -1
	s_barrier_wait -1
	s_and_saveexec_b32 s66, s49
	s_cbranch_execz .LBB65_933
; %bb.932:                              ;   in Loop: Header=BB65_3 Depth=1
	ds_load_b64 v[38:39], v5 offset:1040
	s_wait_dscnt 0x0
	v_pk_mul_f32 v[40:41], v[36:37], v[38:39] op_sel:[1,1] op_sel_hi:[1,0]
	s_delay_alu instid0(VALU_DEP_1) | instskip(SKIP_1) | instid1(VALU_DEP_2)
	v_pk_fma_f32 v[94:95], v[36:37], v[38:39], v[40:41] op_sel_hi:[0,1,1]
	v_pk_fma_f32 v[36:37], v[36:37], v[38:39], v[40:41] neg_lo:[0,0,1] neg_hi:[0,0,1]
	v_mov_b32_e32 v37, v95
	s_delay_alu instid0(VALU_DEP_1)
	v_pk_add_f32 v[38:39], v[36:37], 0 neg_lo:[1,1] neg_hi:[1,1]
	ds_store_b64 v56, v[38:39]
.LBB65_933:                             ;   in Loop: Header=BB65_3 Depth=1
	s_or_b32 exec_lo, exec_lo, s66
	s_wait_dscnt 0x0
	s_barrier_signal -1
	s_barrier_wait -1
	s_and_saveexec_b32 s66, s50
	s_cbranch_execz .LBB65_935
; %bb.934:                              ;   in Loop: Header=BB65_3 Depth=1
	ds_load_b64 v[38:39], v57 offset:1024
	ds_load_b64 v[40:41], v56
	s_wait_dscnt 0x0
	v_pk_mul_f32 v[94:95], v[40:41], v[38:39] op_sel:[1,1] op_sel_hi:[0,1]
	s_delay_alu instid0(VALU_DEP_1) | instskip(SKIP_1) | instid1(VALU_DEP_2)
	v_pk_fma_f32 v[96:97], v[40:41], v[38:39], v[94:95] op_sel_hi:[1,0,1]
	v_pk_fma_f32 v[38:39], v[40:41], v[38:39], v[94:95] neg_lo:[0,0,1] neg_hi:[0,0,1]
	v_mov_b32_e32 v39, v97
	s_delay_alu instid0(VALU_DEP_1)
	v_pk_add_f32 v[36:37], v[36:37], v[38:39] neg_lo:[0,1] neg_hi:[0,1]
.LBB65_935:                             ;   in Loop: Header=BB65_3 Depth=1
	s_or_b32 exec_lo, exec_lo, s66
	s_barrier_signal -1
	s_barrier_wait -1
	s_and_saveexec_b32 s66, s51
	s_cbranch_execz .LBB65_937
; %bb.936:                              ;   in Loop: Header=BB65_3 Depth=1
	ds_load_b64 v[38:39], v5 offset:520
	s_wait_dscnt 0x0
	v_pk_mul_f32 v[40:41], v[36:37], v[38:39] op_sel:[1,1] op_sel_hi:[1,0]
	s_delay_alu instid0(VALU_DEP_1) | instskip(SKIP_1) | instid1(VALU_DEP_2)
	v_pk_fma_f32 v[94:95], v[36:37], v[38:39], v[40:41] op_sel_hi:[0,1,1]
	v_pk_fma_f32 v[36:37], v[36:37], v[38:39], v[40:41] neg_lo:[0,0,1] neg_hi:[0,0,1]
	v_mov_b32_e32 v37, v95
	s_delay_alu instid0(VALU_DEP_1)
	v_pk_add_f32 v[38:39], v[36:37], 0 neg_lo:[1,1] neg_hi:[1,1]
	ds_store_b64 v56, v[38:39]
.LBB65_937:                             ;   in Loop: Header=BB65_3 Depth=1
	s_or_b32 exec_lo, exec_lo, s66
	s_wait_dscnt 0x0
	s_barrier_signal -1
	s_barrier_wait -1
	s_and_saveexec_b32 s66, s52
	s_cbranch_execz .LBB65_939
; %bb.938:                              ;   in Loop: Header=BB65_3 Depth=1
	ds_load_b64 v[38:39], v5 offset:512
	ds_load_b64 v[40:41], v56
	s_wait_dscnt 0x0
	v_pk_mul_f32 v[94:95], v[40:41], v[38:39] op_sel:[1,1] op_sel_hi:[0,1]
	s_delay_alu instid0(VALU_DEP_1) | instskip(SKIP_1) | instid1(VALU_DEP_2)
	v_pk_fma_f32 v[96:97], v[40:41], v[38:39], v[94:95] op_sel_hi:[1,0,1]
	v_pk_fma_f32 v[38:39], v[40:41], v[38:39], v[94:95] neg_lo:[0,0,1] neg_hi:[0,0,1]
	v_mov_b32_e32 v39, v97
	s_delay_alu instid0(VALU_DEP_1)
	v_pk_add_f32 v[36:37], v[36:37], v[38:39] neg_lo:[0,1] neg_hi:[0,1]
.LBB65_939:                             ;   in Loop: Header=BB65_3 Depth=1
	s_or_b32 exec_lo, exec_lo, s66
	s_barrier_signal -1
	s_barrier_wait -1
	s_and_saveexec_b32 s66, s52
	s_cbranch_execz .LBB65_941
; %bb.940:                              ;   in Loop: Header=BB65_3 Depth=1
	ds_load_b64 v[38:39], v5
	s_wait_dscnt 0x0
	v_pk_mul_f32 v[40:41], v[36:37], v[38:39] op_sel:[1,1] op_sel_hi:[1,0]
	s_delay_alu instid0(VALU_DEP_1) | instskip(SKIP_1) | instid1(VALU_DEP_2)
	v_pk_fma_f32 v[94:95], v[36:37], v[38:39], v[40:41] op_sel_hi:[0,1,1]
	v_pk_fma_f32 v[36:37], v[36:37], v[38:39], v[40:41] neg_lo:[0,0,1] neg_hi:[0,0,1]
	v_mov_b32_e32 v37, v95
	s_delay_alu instid0(VALU_DEP_1)
	v_pk_add_f32 v[38:39], v[36:37], 0 neg_lo:[1,1] neg_hi:[1,1]
	ds_store_b64 v56, v[38:39]
.LBB65_941:                             ;   in Loop: Header=BB65_3 Depth=1
	s_or_b32 exec_lo, exec_lo, s66
	s_wait_dscnt 0x0
	s_barrier_signal -1
	s_barrier_wait -1
	s_barrier_signal -1
	s_barrier_wait -1
	s_and_saveexec_b32 s66, s3
; %bb.942:                              ;   in Loop: Header=BB65_3 Depth=1
	ds_store_b64 v59, v[36:37] offset:7680
; %bb.943:                              ;   in Loop: Header=BB65_3 Depth=1
	s_or_b32 exec_lo, exec_lo, s66
	s_wait_dscnt 0x0
	s_barrier_signal -1
	s_barrier_wait -1
	s_barrier_signal -1
	s_barrier_wait -1
	s_and_saveexec_b32 s66, s53
	s_cbranch_execz .LBB65_945
; %bb.944:                              ;   in Loop: Header=BB65_3 Depth=1
	ds_load_b64 v[36:37], v72 offset:4096
	s_wait_dscnt 0x0
	ds_store_b64 v73, v[36:37] offset:64
	ds_load_b64 v[36:37], v72 offset:4104
	s_wait_dscnt 0x0
	ds_store_b64 v73, v[36:37] offset:576
	;; [unrolled: 3-line block ×8, first 2 shown]
.LBB65_945:                             ;   in Loop: Header=BB65_3 Depth=1
	s_or_b32 exec_lo, exec_lo, s66
	s_wait_dscnt 0x0
	s_barrier_signal -1
	s_barrier_wait -1
	s_and_saveexec_b32 s66, s14
	s_cbranch_execz .LBB65_947
; %bb.946:                              ;   in Loop: Header=BB65_3 Depth=1
	v_add_nc_u32_e64 v4, 48, 0
	ds_load_b64 v[40:41], v5 offset:3640
	ds_load_2addr_stride64_b64 v[36:39], v4 offset0:6 offset1:7
	s_wait_dscnt 0x0
	v_dual_mul_f32 v93, v41, v37 :: v_dual_mul_f32 v4, v40, v37
	s_delay_alu instid0(VALU_DEP_1) | instskip(NEXT) | instid1(VALU_DEP_1)
	v_xor_b32_e32 v94, 0x80000000, v93
	v_dual_fmac_f32 v4, v41, v36 :: v_dual_fmac_f32 v94, v40, v36
	s_delay_alu instid0(VALU_DEP_1) | instskip(SKIP_1) | instid1(VALU_DEP_2)
	v_pk_mul_f32 v[36:37], v[4:5], v[38:39] op_sel:[0,1] op_sel_hi:[0,0]
	v_add_nc_u32_e64 v4, 0x800, 0
	v_pk_fma_f32 v[40:41], v[94:95], v[38:39], v[36:37] op_sel_hi:[0,1,1]
	v_pk_fma_f32 v[36:37], v[94:95], v[38:39], v[36:37] neg_lo:[0,0,1] neg_hi:[0,0,1]
	s_delay_alu instid0(VALU_DEP_2)
	v_mov_b32_e32 v37, v41
	ds_store_2addr_b64 v4, v[36:37], v[36:37] offset0:135 offset1:198
.LBB65_947:                             ;   in Loop: Header=BB65_3 Depth=1
	s_or_b32 exec_lo, exec_lo, s66
	v_dual_mov_b32 v36, 0 :: v_dual_mov_b32 v37, 0
	s_wait_dscnt 0x0
	s_barrier_signal -1
	s_barrier_wait -1
	global_wb scope:SCOPE_DEV
	s_wait_storecnt 0x0
	global_inv scope:SCOPE_DEV
	s_and_saveexec_b32 s66, s0
	s_cbranch_execz .LBB65_951
; %bb.948:                              ;   in Loop: Header=BB65_3 Depth=1
	ds_load_b64 v[36:37], v44 offset:3104
	ds_load_b64 v[38:39], v45 offset:3632
	s_wait_dscnt 0x0
	v_pk_mul_f32 v[40:41], v[38:39], v[36:37] op_sel:[1,1] op_sel_hi:[0,1]
	s_delay_alu instid0(VALU_DEP_1) | instskip(SKIP_1) | instid1(VALU_DEP_2)
	v_pk_fma_f32 v[94:95], v[38:39], v[36:37], v[40:41] op_sel_hi:[1,0,1]
	v_pk_fma_f32 v[36:37], v[38:39], v[36:37], v[40:41] neg_lo:[0,0,1] neg_hi:[0,0,1]
	v_mov_b32_e32 v37, v95
	s_delay_alu instid0(VALU_DEP_1)
	v_pk_add_f32 v[36:37], v[36:37], 0 op_sel_hi:[1,0]
	s_and_saveexec_b32 s67, s15
	s_cbranch_execz .LBB65_950
; %bb.949:                              ;   in Loop: Header=BB65_3 Depth=1
	ds_load_b64 v[38:39], v73 offset:3616
	ds_load_b64 v[40:41], v5 offset:3640
	s_wait_dscnt 0x0
	v_pk_mul_f32 v[94:95], v[40:41], v[38:39] op_sel:[1,1] op_sel_hi:[0,1]
	s_delay_alu instid0(VALU_DEP_1) | instskip(SKIP_1) | instid1(VALU_DEP_2)
	v_pk_fma_f32 v[96:97], v[40:41], v[38:39], v[94:95] op_sel_hi:[1,0,1]
	v_pk_fma_f32 v[38:39], v[40:41], v[38:39], v[94:95] neg_lo:[0,0,1] neg_hi:[0,0,1]
	v_mov_b32_e32 v39, v97
	s_delay_alu instid0(VALU_DEP_1)
	v_pk_add_f32 v[36:37], v[36:37], v[38:39]
.LBB65_950:                             ;   in Loop: Header=BB65_3 Depth=1
	s_or_b32 exec_lo, exec_lo, s67
.LBB65_951:                             ;   in Loop: Header=BB65_3 Depth=1
	s_delay_alu instid0(SALU_CYCLE_1)
	s_or_b32 exec_lo, exec_lo, s66
	s_and_saveexec_b32 s66, s96
	s_cbranch_execz .LBB65_953
; %bb.952:                              ;   in Loop: Header=BB65_3 Depth=1
	ds_load_b64 v[38:39], v5 offset:2600
	s_wait_dscnt 0x0
	v_pk_mul_f32 v[40:41], v[36:37], v[38:39] op_sel:[1,1] op_sel_hi:[1,0]
	s_delay_alu instid0(VALU_DEP_1) | instskip(SKIP_1) | instid1(VALU_DEP_2)
	v_pk_fma_f32 v[94:95], v[36:37], v[38:39], v[40:41] op_sel_hi:[0,1,1]
	v_pk_fma_f32 v[36:37], v[36:37], v[38:39], v[40:41] neg_lo:[0,0,1] neg_hi:[0,0,1]
	v_mov_b32_e32 v37, v95
	s_delay_alu instid0(VALU_DEP_1)
	v_pk_add_f32 v[38:39], v[36:37], 0 neg_lo:[1,1] neg_hi:[1,1]
	ds_store_b64 v3, v[38:39]
.LBB65_953:                             ;   in Loop: Header=BB65_3 Depth=1
	s_or_b32 exec_lo, exec_lo, s66
	s_wait_loadcnt_dscnt 0x0
	s_barrier_signal -1
	s_barrier_wait -1
	s_and_saveexec_b32 s66, s97
	s_cbranch_execz .LBB65_955
; %bb.954:                              ;   in Loop: Header=BB65_3 Depth=1
	ds_load_b64 v[38:39], v5 offset:2592
	ds_load_b64 v[40:41], v3
	s_wait_dscnt 0x0
	v_pk_mul_f32 v[94:95], v[40:41], v[38:39] op_sel:[1,1] op_sel_hi:[0,1]
	s_delay_alu instid0(VALU_DEP_1) | instskip(SKIP_1) | instid1(VALU_DEP_2)
	v_pk_fma_f32 v[96:97], v[40:41], v[38:39], v[94:95] op_sel_hi:[1,0,1]
	v_pk_fma_f32 v[38:39], v[40:41], v[38:39], v[94:95] neg_lo:[0,0,1] neg_hi:[0,0,1]
	v_mov_b32_e32 v39, v97
	s_delay_alu instid0(VALU_DEP_1)
	v_pk_add_f32 v[36:37], v[36:37], v[38:39] neg_lo:[0,1] neg_hi:[0,1]
.LBB65_955:                             ;   in Loop: Header=BB65_3 Depth=1
	s_or_b32 exec_lo, exec_lo, s66
	s_barrier_signal -1
	s_barrier_wait -1
	s_and_saveexec_b32 s66, s97
	s_cbranch_execz .LBB65_957
; %bb.956:                              ;   in Loop: Header=BB65_3 Depth=1
	ds_load_b64 v[38:39], v5 offset:2080
	s_wait_dscnt 0x0
	v_pk_mul_f32 v[40:41], v[36:37], v[38:39] op_sel:[1,1] op_sel_hi:[1,0]
	s_delay_alu instid0(VALU_DEP_1) | instskip(SKIP_1) | instid1(VALU_DEP_2)
	v_pk_fma_f32 v[94:95], v[36:37], v[38:39], v[40:41] op_sel_hi:[0,1,1]
	v_pk_fma_f32 v[36:37], v[36:37], v[38:39], v[40:41] neg_lo:[0,0,1] neg_hi:[0,0,1]
	v_mov_b32_e32 v37, v95
	s_delay_alu instid0(VALU_DEP_1)
	v_pk_add_f32 v[38:39], v[36:37], 0 neg_lo:[1,1] neg_hi:[1,1]
	ds_store_b64 v3, v[38:39]
.LBB65_957:                             ;   in Loop: Header=BB65_3 Depth=1
	s_or_b32 exec_lo, exec_lo, s66
	s_wait_dscnt 0x0
	s_barrier_signal -1
	s_barrier_wait -1
	s_barrier_signal -1
	s_barrier_wait -1
	s_and_saveexec_b32 s66, s0
; %bb.958:                              ;   in Loop: Header=BB65_3 Depth=1
	ds_store_b64 v47, v[36:37] offset:3616
; %bb.959:                              ;   in Loop: Header=BB65_3 Depth=1
	s_or_b32 exec_lo, exec_lo, s66
	s_wait_dscnt 0x0
	s_barrier_signal -1
	s_barrier_wait -1
	s_barrier_signal -1
	s_barrier_wait -1
	s_and_saveexec_b32 s66, s98
	s_cbranch_execz .LBB65_961
; %bb.960:                              ;   in Loop: Header=BB65_3 Depth=1
	ds_load_b64 v[36:37], v74 offset:3104
	s_wait_dscnt 0x0
	ds_store_b64 v73, v[36:37] offset:2096
	ds_load_b64 v[36:37], v74 offset:3112
	s_wait_dscnt 0x0
	ds_store_b64 v73, v[36:37] offset:2608
.LBB65_961:                             ;   in Loop: Header=BB65_3 Depth=1
	s_or_b32 exec_lo, exec_lo, s66
	s_wait_dscnt 0x0
	s_barrier_signal -1
	s_barrier_wait -1
	s_and_saveexec_b32 s66, s14
	s_cbranch_execz .LBB65_963
; %bb.962:                              ;   in Loop: Header=BB65_3 Depth=1
	v_add_nc_u32_e64 v4, 32, 0
	ds_load_b64 v[40:41], v5 offset:2600
	ds_load_2addr_stride64_b64 v[36:39], v4 offset0:4 offset1:5
	s_wait_dscnt 0x0
	v_dual_mul_f32 v93, v41, v37 :: v_dual_mul_f32 v4, v40, v37
	s_delay_alu instid0(VALU_DEP_1) | instskip(NEXT) | instid1(VALU_DEP_1)
	v_xor_b32_e32 v94, 0x80000000, v93
	v_dual_fmac_f32 v4, v41, v36 :: v_dual_fmac_f32 v94, v40, v36
	s_delay_alu instid0(VALU_DEP_1) | instskip(SKIP_1) | instid1(VALU_DEP_2)
	v_pk_mul_f32 v[36:37], v[4:5], v[38:39] op_sel:[0,1] op_sel_hi:[0,0]
	v_add_nc_u32_e64 v4, 0x800, 0
	v_pk_fma_f32 v[40:41], v[94:95], v[38:39], v[36:37] op_sel_hi:[0,1,1]
	v_pk_fma_f32 v[36:37], v[94:95], v[38:39], v[36:37] neg_lo:[0,0,1] neg_hi:[0,0,1]
	s_delay_alu instid0(VALU_DEP_2)
	v_mov_b32_e32 v37, v41
	ds_store_2addr_b64 v4, v[36:37], v[36:37] offset0:5 offset1:68
.LBB65_963:                             ;   in Loop: Header=BB65_3 Depth=1
	s_or_b32 exec_lo, exec_lo, s66
	v_mov_b64_e32 v[36:37], 0
	s_wait_dscnt 0x0
	s_barrier_signal -1
	s_barrier_wait -1
	global_wb scope:SCOPE_DEV
	s_wait_storecnt 0x0
	global_inv scope:SCOPE_DEV
	s_and_saveexec_b32 s66, s2
	s_cbranch_execz .LBB65_969
; %bb.964:                              ;   in Loop: Header=BB65_3 Depth=1
	ds_load_b64 v[36:37], v50 offset:2048
	ds_load_b64 v[38:39], v51 offset:3616
	s_wait_dscnt 0x0
	v_dual_mul_f32 v4, v39, v37 :: v_dual_mul_f32 v37, v38, v37
	s_delay_alu instid0(VALU_DEP_1) | instskip(NEXT) | instid1(VALU_DEP_1)
	v_dual_fma_f32 v4, v38, v36, -v4 :: v_dual_fmac_f32 v37, v39, v36
	v_dual_add_f32 v36, 0, v4 :: v_dual_add_f32 v37, 0, v37
	s_and_saveexec_b32 s67, s16
	s_cbranch_execnz .LBB65_1158
; %bb.965:                              ;   in Loop: Header=BB65_3 Depth=1
	s_or_b32 exec_lo, exec_lo, s67
	s_and_saveexec_b32 s67, s17
	s_cbranch_execnz .LBB65_1159
.LBB65_966:                             ;   in Loop: Header=BB65_3 Depth=1
	s_or_b32 exec_lo, exec_lo, s67
	s_and_saveexec_b32 s67, s0
	s_cbranch_execz .LBB65_968
.LBB65_967:                             ;   in Loop: Header=BB65_3 Depth=1
	ds_load_b64 v[38:39], v75 offset:3584
	ds_load_b64 v[40:41], v5 offset:3640
	s_wait_dscnt 0x0
	v_dual_mul_f32 v4, v41, v39 :: v_dual_mul_f32 v39, v40, v39
	s_delay_alu instid0(VALU_DEP_1) | instskip(NEXT) | instid1(VALU_DEP_1)
	v_dual_fma_f32 v4, v40, v38, -v4 :: v_dual_fmac_f32 v39, v41, v38
	v_dual_add_f32 v36, v36, v4 :: v_dual_add_f32 v37, v37, v39
.LBB65_968:                             ;   in Loop: Header=BB65_3 Depth=1
	s_or_b32 exec_lo, exec_lo, s67
.LBB65_969:                             ;   in Loop: Header=BB65_3 Depth=1
	s_delay_alu instid0(SALU_CYCLE_1)
	s_or_b32 exec_lo, exec_lo, s66
	s_and_saveexec_b32 s66, s99
	s_cbranch_execz .LBB65_971
; %bb.970:                              ;   in Loop: Header=BB65_3 Depth=1
	ds_load_b64 v[38:39], v5 offset:1560
	s_wait_dscnt 0x0
	v_dual_mul_f32 v4, v37, v38 :: v_dual_mul_f32 v40, v37, v39
	s_delay_alu instid0(VALU_DEP_1) | instskip(NEXT) | instid1(VALU_DEP_2)
	v_pk_fma_f32 v[94:95], v[36:37], v[38:39], v[4:5] op_sel:[1,0,0] op_sel_hi:[0,1,0]
	v_pk_fma_f32 v[36:37], v[36:37], v[38:39], v[40:41] op_sel_hi:[1,1,0] neg_lo:[0,0,1] neg_hi:[0,0,1]
	s_delay_alu instid0(VALU_DEP_2) | instskip(NEXT) | instid1(VALU_DEP_1)
	v_mov_b32_e32 v37, v95
	v_pk_add_f32 v[38:39], v[36:37], 0 neg_lo:[1,1] neg_hi:[1,1]
	ds_store_b64 v49, v[38:39]
.LBB65_971:                             ;   in Loop: Header=BB65_3 Depth=1
	s_or_b32 exec_lo, exec_lo, s66
	s_wait_loadcnt_dscnt 0x0
	s_barrier_signal -1
	s_barrier_wait -1
	s_and_saveexec_b32 s66, s100
	s_cbranch_execz .LBB65_973
; %bb.972:                              ;   in Loop: Header=BB65_3 Depth=1
	ds_load_b64 v[38:39], v50 offset:1536
	ds_load_b64 v[40:41], v49
	s_wait_dscnt 0x0
	v_pk_mul_f32 v[94:95], v[40:41], v[38:39] op_sel:[1,1] op_sel_hi:[0,1]
	s_delay_alu instid0(VALU_DEP_1) | instskip(SKIP_1) | instid1(VALU_DEP_2)
	v_pk_fma_f32 v[96:97], v[40:41], v[38:39], v[94:95] op_sel_hi:[1,0,1]
	v_pk_fma_f32 v[38:39], v[40:41], v[38:39], v[94:95] neg_lo:[0,0,1] neg_hi:[0,0,1]
	v_mov_b32_e32 v39, v97
	s_delay_alu instid0(VALU_DEP_1)
	v_pk_add_f32 v[36:37], v[36:37], v[38:39] neg_lo:[0,1] neg_hi:[0,1]
.LBB65_973:                             ;   in Loop: Header=BB65_3 Depth=1
	s_or_b32 exec_lo, exec_lo, s66
	s_barrier_signal -1
	s_barrier_wait -1
	s_and_saveexec_b32 s66, s101
	s_cbranch_execz .LBB65_975
; %bb.974:                              ;   in Loop: Header=BB65_3 Depth=1
	ds_load_b64 v[38:39], v5 offset:1040
	s_wait_dscnt 0x0
	v_pk_mul_f32 v[40:41], v[36:37], v[38:39] op_sel:[1,1] op_sel_hi:[1,0]
	s_delay_alu instid0(VALU_DEP_1) | instskip(SKIP_1) | instid1(VALU_DEP_2)
	v_pk_fma_f32 v[94:95], v[36:37], v[38:39], v[40:41] op_sel_hi:[0,1,1]
	v_pk_fma_f32 v[36:37], v[36:37], v[38:39], v[40:41] neg_lo:[0,0,1] neg_hi:[0,0,1]
	v_mov_b32_e32 v37, v95
	s_delay_alu instid0(VALU_DEP_1)
	v_pk_add_f32 v[38:39], v[36:37], 0 neg_lo:[1,1] neg_hi:[1,1]
	ds_store_b64 v49, v[38:39]
.LBB65_975:                             ;   in Loop: Header=BB65_3 Depth=1
	s_or_b32 exec_lo, exec_lo, s66
	s_wait_dscnt 0x0
	s_barrier_signal -1
	s_barrier_wait -1
	s_and_saveexec_b32 s66, s102
	s_cbranch_execz .LBB65_977
; %bb.976:                              ;   in Loop: Header=BB65_3 Depth=1
	ds_load_b64 v[38:39], v50 offset:1024
	ds_load_b64 v[40:41], v49
	s_wait_dscnt 0x0
	v_pk_mul_f32 v[94:95], v[40:41], v[38:39] op_sel:[1,1] op_sel_hi:[0,1]
	s_delay_alu instid0(VALU_DEP_1) | instskip(SKIP_1) | instid1(VALU_DEP_2)
	v_pk_fma_f32 v[96:97], v[40:41], v[38:39], v[94:95] op_sel_hi:[1,0,1]
	v_pk_fma_f32 v[38:39], v[40:41], v[38:39], v[94:95] neg_lo:[0,0,1] neg_hi:[0,0,1]
	v_mov_b32_e32 v39, v97
	s_delay_alu instid0(VALU_DEP_1)
	v_pk_add_f32 v[36:37], v[36:37], v[38:39] neg_lo:[0,1] neg_hi:[0,1]
.LBB65_977:                             ;   in Loop: Header=BB65_3 Depth=1
	s_or_b32 exec_lo, exec_lo, s66
	s_barrier_signal -1
	s_barrier_wait -1
	s_and_saveexec_b32 s66, s103
	s_cbranch_execz .LBB65_979
; %bb.978:                              ;   in Loop: Header=BB65_3 Depth=1
	ds_load_b64 v[38:39], v5 offset:520
	s_wait_dscnt 0x0
	v_pk_mul_f32 v[40:41], v[36:37], v[38:39] op_sel:[1,1] op_sel_hi:[1,0]
	s_delay_alu instid0(VALU_DEP_1) | instskip(SKIP_1) | instid1(VALU_DEP_2)
	v_pk_fma_f32 v[94:95], v[36:37], v[38:39], v[40:41] op_sel_hi:[0,1,1]
	v_pk_fma_f32 v[36:37], v[36:37], v[38:39], v[40:41] neg_lo:[0,0,1] neg_hi:[0,0,1]
	v_mov_b32_e32 v37, v95
	s_delay_alu instid0(VALU_DEP_1)
	v_pk_add_f32 v[38:39], v[36:37], 0 neg_lo:[1,1] neg_hi:[1,1]
	ds_store_b64 v49, v[38:39]
.LBB65_979:                             ;   in Loop: Header=BB65_3 Depth=1
	s_or_b32 exec_lo, exec_lo, s66
	s_wait_dscnt 0x0
	s_barrier_signal -1
	s_barrier_wait -1
	s_and_saveexec_b32 s66, s104
	s_cbranch_execz .LBB65_981
; %bb.980:                              ;   in Loop: Header=BB65_3 Depth=1
	ds_load_b64 v[38:39], v5 offset:512
	ds_load_b64 v[40:41], v49
	s_wait_dscnt 0x0
	v_pk_mul_f32 v[94:95], v[40:41], v[38:39] op_sel:[1,1] op_sel_hi:[0,1]
	s_delay_alu instid0(VALU_DEP_1) | instskip(SKIP_1) | instid1(VALU_DEP_2)
	v_pk_fma_f32 v[96:97], v[40:41], v[38:39], v[94:95] op_sel_hi:[1,0,1]
	v_pk_fma_f32 v[38:39], v[40:41], v[38:39], v[94:95] neg_lo:[0,0,1] neg_hi:[0,0,1]
	v_mov_b32_e32 v39, v97
	s_delay_alu instid0(VALU_DEP_1)
	v_pk_add_f32 v[36:37], v[36:37], v[38:39] neg_lo:[0,1] neg_hi:[0,1]
.LBB65_981:                             ;   in Loop: Header=BB65_3 Depth=1
	s_or_b32 exec_lo, exec_lo, s66
	s_barrier_signal -1
	s_barrier_wait -1
	s_and_saveexec_b32 s66, s104
	s_cbranch_execz .LBB65_983
; %bb.982:                              ;   in Loop: Header=BB65_3 Depth=1
	ds_load_b64 v[38:39], v5
	s_wait_dscnt 0x0
	v_pk_mul_f32 v[40:41], v[36:37], v[38:39] op_sel:[1,1] op_sel_hi:[1,0]
	s_delay_alu instid0(VALU_DEP_1) | instskip(SKIP_1) | instid1(VALU_DEP_2)
	v_pk_fma_f32 v[94:95], v[36:37], v[38:39], v[40:41] op_sel_hi:[0,1,1]
	v_pk_fma_f32 v[36:37], v[36:37], v[38:39], v[40:41] neg_lo:[0,0,1] neg_hi:[0,0,1]
	v_mov_b32_e32 v37, v95
	s_delay_alu instid0(VALU_DEP_1)
	v_pk_add_f32 v[38:39], v[36:37], 0 neg_lo:[1,1] neg_hi:[1,1]
	ds_store_b64 v49, v[38:39]
.LBB65_983:                             ;   in Loop: Header=BB65_3 Depth=1
	s_or_b32 exec_lo, exec_lo, s66
	s_wait_dscnt 0x0
	s_barrier_signal -1
	s_barrier_wait -1
	s_barrier_signal -1
	s_barrier_wait -1
	s_and_saveexec_b32 s66, s2
; %bb.984:                              ;   in Loop: Header=BB65_3 Depth=1
	ds_store_b64 v54, v[36:37] offset:3584
; %bb.985:                              ;   in Loop: Header=BB65_3 Depth=1
	s_or_b32 exec_lo, exec_lo, s66
	s_wait_dscnt 0x0
	s_barrier_signal -1
	s_barrier_wait -1
	s_barrier_signal -1
	s_barrier_wait -1
	s_and_saveexec_b32 s66, vcc_hi
	s_cbranch_execz .LBB65_987
; %bb.986:                              ;   in Loop: Header=BB65_3 Depth=1
	ds_load_b64 v[36:37], v78 offset:2048
	s_wait_dscnt 0x0
	ds_store_b64 v81, v[36:37] offset:32
	ds_load_b64 v[36:37], v78 offset:2056
	s_wait_dscnt 0x0
	ds_store_b64 v81, v[36:37] offset:544
	ds_load_b64 v[36:37], v78 offset:2064
	s_wait_dscnt 0x0
	ds_store_b64 v81, v[36:37] offset:1056
	ds_load_b64 v[36:37], v78 offset:2072
	s_wait_dscnt 0x0
	ds_store_b64 v81, v[36:37] offset:1568
.LBB65_987:                             ;   in Loop: Header=BB65_3 Depth=1
	s_or_b32 exec_lo, exec_lo, s66
	s_wait_dscnt 0x0
	s_barrier_signal -1
	s_barrier_wait -1
	s_and_saveexec_b32 s66, s14
	s_cbranch_execz .LBB65_989
; %bb.988:                              ;   in Loop: Header=BB65_3 Depth=1
	ds_load_2addr_b64 v[36:39], v5 offset0:130 offset1:194
	ds_load_b64 v[40:41], v5 offset:1560
	s_wait_dscnt 0x0
	v_dual_mul_f32 v93, v41, v37 :: v_dual_mul_f32 v4, v40, v37
	s_delay_alu instid0(VALU_DEP_1) | instskip(NEXT) | instid1(VALU_DEP_1)
	v_xor_b32_e32 v94, 0x80000000, v93
	v_dual_fmac_f32 v4, v41, v36 :: v_dual_fmac_f32 v94, v40, v36
	s_delay_alu instid0(VALU_DEP_1) | instskip(NEXT) | instid1(VALU_DEP_1)
	v_pk_mul_f32 v[36:37], v[4:5], v[38:39] op_sel:[0,1] op_sel_hi:[0,0]
	v_pk_fma_f32 v[40:41], v[94:95], v[38:39], v[36:37] op_sel_hi:[0,1,1]
	v_pk_fma_f32 v[36:37], v[94:95], v[38:39], v[36:37] neg_lo:[0,0,1] neg_hi:[0,0,1]
	s_delay_alu instid0(VALU_DEP_2)
	v_mov_b32_e32 v37, v41
	ds_store_2addr_b64 v5, v[36:37], v[36:37] offset0:131 offset1:194
.LBB65_989:                             ;   in Loop: Header=BB65_3 Depth=1
	s_or_b32 exec_lo, exec_lo, s66
	v_dual_mov_b32 v36, 0 :: v_dual_mov_b32 v37, 0
	s_wait_dscnt 0x0
	s_barrier_signal -1
	s_barrier_wait -1
	global_wb scope:SCOPE_DEV
	s_wait_storecnt 0x0
	global_inv scope:SCOPE_DEV
	s_and_saveexec_b32 s66, s0
	s_cbranch_execz .LBB65_993
; %bb.990:                              ;   in Loop: Header=BB65_3 Depth=1
	ds_load_b64 v[36:37], v44 offset:1024
	ds_load_b64 v[38:39], v45 offset:1552
	s_wait_dscnt 0x0
	v_pk_mul_f32 v[40:41], v[38:39], v[36:37] op_sel:[1,1] op_sel_hi:[0,1]
	s_delay_alu instid0(VALU_DEP_1) | instskip(SKIP_1) | instid1(VALU_DEP_2)
	v_pk_fma_f32 v[94:95], v[38:39], v[36:37], v[40:41] op_sel_hi:[1,0,1]
	v_pk_fma_f32 v[36:37], v[38:39], v[36:37], v[40:41] neg_lo:[0,0,1] neg_hi:[0,0,1]
	v_mov_b32_e32 v37, v95
	s_delay_alu instid0(VALU_DEP_1)
	v_pk_add_f32 v[36:37], v[36:37], 0 op_sel_hi:[1,0]
	s_and_saveexec_b32 s67, s15
	s_cbranch_execz .LBB65_992
; %bb.991:                              ;   in Loop: Header=BB65_3 Depth=1
	ds_load_b64 v[38:39], v81 offset:1536
	ds_load_b64 v[40:41], v5 offset:1560
	s_wait_dscnt 0x0
	v_pk_mul_f32 v[94:95], v[40:41], v[38:39] op_sel:[1,1] op_sel_hi:[0,1]
	s_delay_alu instid0(VALU_DEP_1) | instskip(SKIP_1) | instid1(VALU_DEP_2)
	v_pk_fma_f32 v[96:97], v[40:41], v[38:39], v[94:95] op_sel_hi:[1,0,1]
	v_pk_fma_f32 v[38:39], v[40:41], v[38:39], v[94:95] neg_lo:[0,0,1] neg_hi:[0,0,1]
	v_mov_b32_e32 v39, v97
	s_delay_alu instid0(VALU_DEP_1)
	v_pk_add_f32 v[36:37], v[36:37], v[38:39]
.LBB65_992:                             ;   in Loop: Header=BB65_3 Depth=1
	s_or_b32 exec_lo, exec_lo, s67
.LBB65_993:                             ;   in Loop: Header=BB65_3 Depth=1
	s_delay_alu instid0(SALU_CYCLE_1)
	s_or_b32 exec_lo, exec_lo, s66
	s_and_saveexec_b32 s66, s96
	s_cbranch_execz .LBB65_995
; %bb.994:                              ;   in Loop: Header=BB65_3 Depth=1
	ds_load_b64 v[38:39], v5 offset:520
	s_wait_dscnt 0x0
	v_pk_mul_f32 v[40:41], v[36:37], v[38:39] op_sel:[1,1] op_sel_hi:[1,0]
	s_delay_alu instid0(VALU_DEP_1) | instskip(SKIP_1) | instid1(VALU_DEP_2)
	v_pk_fma_f32 v[94:95], v[36:37], v[38:39], v[40:41] op_sel_hi:[0,1,1]
	v_pk_fma_f32 v[36:37], v[36:37], v[38:39], v[40:41] neg_lo:[0,0,1] neg_hi:[0,0,1]
	v_mov_b32_e32 v37, v95
	s_delay_alu instid0(VALU_DEP_1)
	v_pk_add_f32 v[38:39], v[36:37], 0 neg_lo:[1,1] neg_hi:[1,1]
	ds_store_b64 v3, v[38:39]
.LBB65_995:                             ;   in Loop: Header=BB65_3 Depth=1
	s_or_b32 exec_lo, exec_lo, s66
	s_wait_loadcnt_dscnt 0x0
	s_barrier_signal -1
	s_barrier_wait -1
	s_and_saveexec_b32 s66, s97
	s_cbranch_execz .LBB65_997
; %bb.996:                              ;   in Loop: Header=BB65_3 Depth=1
	ds_load_b64 v[38:39], v5 offset:512
	ds_load_b64 v[40:41], v3
	s_wait_dscnt 0x0
	v_pk_mul_f32 v[94:95], v[40:41], v[38:39] op_sel:[1,1] op_sel_hi:[0,1]
	s_delay_alu instid0(VALU_DEP_1) | instskip(SKIP_1) | instid1(VALU_DEP_2)
	v_pk_fma_f32 v[96:97], v[40:41], v[38:39], v[94:95] op_sel_hi:[1,0,1]
	v_pk_fma_f32 v[38:39], v[40:41], v[38:39], v[94:95] neg_lo:[0,0,1] neg_hi:[0,0,1]
	v_mov_b32_e32 v39, v97
	s_delay_alu instid0(VALU_DEP_1)
	v_pk_add_f32 v[36:37], v[36:37], v[38:39] neg_lo:[0,1] neg_hi:[0,1]
.LBB65_997:                             ;   in Loop: Header=BB65_3 Depth=1
	s_or_b32 exec_lo, exec_lo, s66
	s_barrier_signal -1
	s_barrier_wait -1
	s_and_saveexec_b32 s66, s97
	s_cbranch_execz .LBB65_999
; %bb.998:                              ;   in Loop: Header=BB65_3 Depth=1
	ds_load_b64 v[38:39], v5
	s_wait_dscnt 0x0
	v_pk_mul_f32 v[40:41], v[36:37], v[38:39] op_sel:[1,1] op_sel_hi:[1,0]
	s_delay_alu instid0(VALU_DEP_1) | instskip(SKIP_1) | instid1(VALU_DEP_2)
	v_pk_fma_f32 v[94:95], v[36:37], v[38:39], v[40:41] op_sel_hi:[0,1,1]
	v_pk_fma_f32 v[36:37], v[36:37], v[38:39], v[40:41] neg_lo:[0,0,1] neg_hi:[0,0,1]
	v_mov_b32_e32 v37, v95
	s_delay_alu instid0(VALU_DEP_1)
	v_pk_add_f32 v[38:39], v[36:37], 0 neg_lo:[1,1] neg_hi:[1,1]
	ds_store_b64 v3, v[38:39]
.LBB65_999:                             ;   in Loop: Header=BB65_3 Depth=1
	s_or_b32 exec_lo, exec_lo, s66
	s_wait_dscnt 0x0
	s_barrier_signal -1
	s_barrier_wait -1
	s_barrier_signal -1
	s_barrier_wait -1
	s_and_saveexec_b32 s66, s0
; %bb.1000:                             ;   in Loop: Header=BB65_3 Depth=1
	ds_store_b64 v47, v[36:37] offset:1536
; %bb.1001:                             ;   in Loop: Header=BB65_3 Depth=1
	s_or_b32 exec_lo, exec_lo, s66
	s_wait_dscnt 0x0
	s_barrier_signal -1
	s_barrier_wait -1
	s_barrier_signal -1
	s_barrier_wait -1
	s_and_saveexec_b32 s66, s98
	s_cbranch_execz .LBB65_1003
; %bb.1002:                             ;   in Loop: Header=BB65_3 Depth=1
	ds_load_b64 v[36:37], v82 offset:1024
	s_wait_dscnt 0x0
	ds_store_b64 v81, v[36:37] offset:16
	ds_load_b64 v[36:37], v82 offset:1032
	s_wait_dscnt 0x0
	ds_store_b64 v81, v[36:37] offset:528
.LBB65_1003:                            ;   in Loop: Header=BB65_3 Depth=1
	s_or_b32 exec_lo, exec_lo, s66
	s_wait_dscnt 0x0
	s_barrier_signal -1
	s_barrier_wait -1
	s_and_saveexec_b32 s66, s14
	s_cbranch_execz .LBB65_1005
; %bb.1004:                             ;   in Loop: Header=BB65_3 Depth=1
	ds_load_2addr_stride64_b64 v[36:39], v5 offset1:1
	ds_load_b64 v[40:41], v5 offset:520
	s_wait_dscnt 0x0
	v_dual_mul_f32 v93, v41, v37 :: v_dual_mul_f32 v4, v40, v37
	s_delay_alu instid0(VALU_DEP_1) | instskip(NEXT) | instid1(VALU_DEP_1)
	v_xor_b32_e32 v94, 0x80000000, v93
	v_dual_fmac_f32 v4, v41, v36 :: v_dual_fmac_f32 v94, v40, v36
	s_delay_alu instid0(VALU_DEP_1) | instskip(NEXT) | instid1(VALU_DEP_1)
	v_pk_mul_f32 v[36:37], v[4:5], v[38:39] op_sel:[0,1] op_sel_hi:[0,0]
	v_pk_fma_f32 v[40:41], v[94:95], v[38:39], v[36:37] op_sel_hi:[0,1,1]
	v_pk_fma_f32 v[36:37], v[94:95], v[38:39], v[36:37] neg_lo:[0,0,1] neg_hi:[0,0,1]
	s_delay_alu instid0(VALU_DEP_2)
	v_mov_b32_e32 v37, v41
	ds_store_2addr_b64 v5, v[36:37], v[36:37] offset0:1 offset1:64
.LBB65_1005:                            ;   in Loop: Header=BB65_3 Depth=1
	s_or_b32 exec_lo, exec_lo, s66
.LBB65_1006:                            ;   in Loop: Header=BB65_3 Depth=1
	v_readlane_b32 s68, v104, 2
	v_mov_b64_e32 v[36:37], 0
	v_readlane_b32 s69, v104, 3
	s_mul_u64 s[66:67], s[78:79], s[80:81]
	s_wait_dscnt 0x0
	s_lshl_b64 s[66:67], s[66:67], 3
	s_barrier_signal -1
	s_add_nc_u64 s[68:69], s[68:69], s[66:67]
	s_barrier_wait -1
	s_and_saveexec_b32 s66, s74
	s_cbranch_execz .LBB65_1008
; %bb.1007:                             ;   in Loop: Header=BB65_3 Depth=1
	v_lshl_add_u64 v[36:37], v[0:1], 3, s[68:69]
	v_readlane_b32 s88, v104, 23
	v_readlane_b32 s89, v104, 24
	global_load_b64 v[36:37], v[36:37], off
	v_mov_b64_e32 v[38:39], s[88:89]
	v_readlane_b32 s88, v104, 25
	v_readlane_b32 s89, v104, 26
	s_delay_alu instid0(VALU_DEP_1) | instskip(SKIP_1) | instid1(VALU_DEP_4)
	v_mov_b64_e32 v[40:41], s[88:89]
	s_wait_loadcnt 0x0
	v_pk_mul_f32 v[38:39], v[38:39], v[36:37]
	s_wait_xcnt 0x0
	s_delay_alu instid0(VALU_DEP_1)
	v_pk_fma_f32 v[36:37], v[40:41], v[36:37], v[38:39] op_sel:[0,0,1] op_sel_hi:[1,1,0] neg_lo:[1,0,0] neg_hi:[1,0,0]
.LBB65_1008:                            ;   in Loop: Header=BB65_3 Depth=1
	s_or_b32 exec_lo, exec_lo, s66
	s_delay_alu instid0(SALU_CYCLE_1)
	s_and_not1_b32 vcc_lo, exec_lo, s75
	s_cbranch_vccnz .LBB65_1027
; %bb.1009:                             ;   in Loop: Header=BB65_3 Depth=1
	v_mov_b32_e32 v40, -1
	s_lshl_b64 s[66:67], s[80:81], 2
	s_delay_alu instid0(SALU_CYCLE_1)
	s_add_nc_u64 s[88:89], s[82:83], s[66:67]
	s_mov_b32 s67, 0
	s_branch .LBB65_1011
.LBB65_1010:                            ;   in Loop: Header=BB65_1011 Depth=2
	s_or_b32 exec_lo, exec_lo, s66
	s_add_co_i32 s67, s67, 1
	s_delay_alu instid0(SALU_CYCLE_1)
	s_cmp_eq_u32 s67, s92
	s_cbranch_scc1 .LBB65_1027
.LBB65_1011:                            ;   Parent Loop BB65_3 Depth=1
                                        ; =>  This Loop Header: Depth=2
                                        ;       Child Loop BB65_1013 Depth 3
	v_cmp_gt_i32_e32 vcc_lo, s67, v40
	s_and_b32 s73, s36, vcc_lo
	s_delay_alu instid0(SALU_CYCLE_1)
	s_and_saveexec_b32 s66, s73
	s_cbranch_execz .LBB65_1014
; %bb.1012:                             ;   in Loop: Header=BB65_1011 Depth=2
	global_load_b32 v40, v5, s[88:89]
	s_wait_loadcnt 0x0
	v_cmp_le_i32_e32 vcc_lo, s67, v40
	s_cbranch_vccnz .LBB65_1014
.LBB65_1013:                            ;   Parent Loop BB65_3 Depth=1
                                        ;     Parent Loop BB65_1011 Depth=2
                                        ; =>    This Inner Loop Header: Depth=3
	global_wb scope:SCOPE_DEV
	s_wait_storecnt 0x0
	global_inv scope:SCOPE_DEV
	global_load_b32 v40, v5, s[88:89]
	s_wait_loadcnt 0x0
	v_cmp_gt_i32_e32 vcc_lo, s67, v40
	s_cbranch_vccnz .LBB65_1013
.LBB65_1014:                            ;   in Loop: Header=BB65_1011 Depth=2
	s_wait_xcnt 0x0
	s_or_b32 exec_lo, exec_lo, s66
	s_lshl_b32 s66, s67, 6
	global_wb scope:SCOPE_DEV
	s_wait_storecnt 0x0
	global_inv scope:SCOPE_DEV
	s_wait_loadcnt 0x0
	s_barrier_signal -1
	s_barrier_wait -1
	s_and_saveexec_b32 s73, s37
	s_cbranch_execz .LBB65_1019
; %bb.1015:                             ;   in Loop: Header=BB65_1011 Depth=2
	v_or_b32_e32 v4, s66, v6
	s_delay_alu instid0(VALU_DEP_1) | instskip(SKIP_1) | instid1(SALU_CYCLE_1)
	v_cmp_le_i32_e32 vcc_lo, s91, v4
	s_and_saveexec_b32 s93, vcc_lo
	s_xor_b32 vcc_lo, exec_lo, s93
; %bb.1016:                             ;   in Loop: Header=BB65_1011 Depth=2
	ds_store_b64 v86, v[32:33]
; %bb.1017:                             ;   in Loop: Header=BB65_1011 Depth=2
	s_and_not1_saveexec_b32 s54, vcc_lo
	s_cbranch_execz .LBB65_1019
; %bb.1018:                             ;   in Loop: Header=BB65_1011 Depth=2
	v_mul_u64_e32 v[38:39], s[76:77], v[4:5]
	s_delay_alu instid0(VALU_DEP_1)
	v_lshl_add_u64 v[38:39], v[38:39], 3, s[68:69]
	global_load_b64 v[38:39], v[38:39], off
	s_wait_loadcnt 0x0
	ds_store_b64 v86, v[38:39]
.LBB65_1019:                            ;   in Loop: Header=BB65_1011 Depth=2
	s_or_b32 exec_lo, exec_lo, s73
	v_add_nc_u32_e32 v4, s66, v42
	s_wait_dscnt 0x0
	v_cmp_eq_u32_e32 vcc_lo, s67, v43
	s_barrier_signal -1
	s_barrier_wait -1
	v_cmp_gt_i32_e64 s66, s91, v4
	v_lshl_add_u64 v[38:39], v[4:5], 3, v[34:35]
	s_and_b32 s54, s66, s5
	s_delay_alu instid0(SALU_CYCLE_1)
	s_and_saveexec_b32 s66, s54
	s_cbranch_execz .LBB65_1021
; %bb.1020:                             ;   in Loop: Header=BB65_1011 Depth=2
	s_delay_alu instid0(VALU_DEP_1) | instskip(SKIP_4) | instid1(VALU_DEP_1)
	v_dual_cndmask_b32 v95, v39, v23 :: v_dual_cndmask_b32 v94, v38, v22
	ds_load_b64 v[96:97], v83
	flat_load_b64 v[94:95], v[94:95]
	s_wait_loadcnt_dscnt 0x0
	v_dual_mul_f32 v41, v97, v95 :: v_dual_mul_f32 v93, v96, v95
	v_fmac_f32_e32 v93, v97, v94
	s_delay_alu instid0(VALU_DEP_1) | instskip(NEXT) | instid1(VALU_DEP_1)
	v_dual_fma_f32 v41, v96, v94, -v41 :: v_dual_add_f32 v37, v37, v93
	v_add_f32_e32 v36, v36, v41
.LBB65_1021:                            ;   in Loop: Header=BB65_1011 Depth=2
	s_or_b32 exec_lo, exec_lo, s66
	v_add_nc_u32_e32 v41, 16, v4
	s_delay_alu instid0(VALU_DEP_1) | instskip(SKIP_1) | instid1(SALU_CYCLE_1)
	v_cmp_gt_i32_e64 s66, s91, v41
	s_and_b32 s54, s66, s5
	s_and_saveexec_b32 s66, s54
	s_cbranch_execz .LBB65_1023
; %bb.1022:                             ;   in Loop: Header=BB65_1011 Depth=2
	v_add_nc_u64_e32 v[94:95], 0x80, v[38:39]
	ds_load_b64 v[96:97], v83 offset:128
	v_dual_cndmask_b32 v95, v95, v25 :: v_dual_cndmask_b32 v94, v94, v24
	flat_load_b64 v[94:95], v[94:95]
	s_wait_loadcnt_dscnt 0x0
	v_dual_mul_f32 v41, v97, v95 :: v_dual_mul_f32 v93, v96, v95
	s_delay_alu instid0(VALU_DEP_1) | instskip(NEXT) | instid1(VALU_DEP_1)
	v_fmac_f32_e32 v93, v97, v94
	v_dual_fma_f32 v41, v96, v94, -v41 :: v_dual_add_f32 v37, v37, v93
	s_delay_alu instid0(VALU_DEP_1)
	v_add_f32_e32 v36, v36, v41
.LBB65_1023:                            ;   in Loop: Header=BB65_1011 Depth=2
	s_or_b32 exec_lo, exec_lo, s66
	v_add_nc_u32_e32 v41, 32, v4
	s_delay_alu instid0(VALU_DEP_1) | instskip(SKIP_1) | instid1(SALU_CYCLE_1)
	v_cmp_gt_i32_e64 s66, s91, v41
	s_and_b32 s54, s66, s5
	s_and_saveexec_b32 s66, s54
	s_cbranch_execz .LBB65_1025
; %bb.1024:                             ;   in Loop: Header=BB65_1011 Depth=2
	v_add_nc_u64_e32 v[94:95], 0x100, v[38:39]
	ds_load_b64 v[96:97], v83 offset:256
	v_dual_cndmask_b32 v95, v95, v27 :: v_dual_cndmask_b32 v94, v94, v26
	flat_load_b64 v[94:95], v[94:95]
	s_wait_loadcnt_dscnt 0x0
	v_dual_mul_f32 v41, v97, v95 :: v_dual_mul_f32 v99, v96, v95
	s_delay_alu instid0(VALU_DEP_1) | instskip(NEXT) | instid1(VALU_DEP_1)
	v_dual_fma_f32 v98, v96, v94, -v41 :: v_dual_fmac_f32 v99, v97, v94
	v_pk_add_f32 v[36:37], v[36:37], v[98:99]
.LBB65_1025:                            ;   in Loop: Header=BB65_1011 Depth=2
	s_or_b32 exec_lo, exec_lo, s66
	v_add_nc_u32_e32 v4, 48, v4
	s_delay_alu instid0(VALU_DEP_1) | instskip(SKIP_1) | instid1(SALU_CYCLE_1)
	v_cmp_gt_i32_e64 s66, s91, v4
	s_and_b32 s54, s66, s5
	s_and_saveexec_b32 s66, s54
	s_cbranch_execz .LBB65_1010
; %bb.1026:                             ;   in Loop: Header=BB65_1011 Depth=2
	v_add_nc_u64_e32 v[38:39], 0x180, v[38:39]
	ds_load_b64 v[94:95], v83 offset:384
	v_dual_cndmask_b32 v39, v39, v29 :: v_dual_cndmask_b32 v38, v38, v28
	flat_load_b64 v[38:39], v[38:39]
	s_wait_loadcnt_dscnt 0x0
	v_pk_mul_f32 v[96:97], v[94:95], v[38:39] op_sel:[1,1] op_sel_hi:[0,1]
	s_delay_alu instid0(VALU_DEP_1) | instskip(SKIP_1) | instid1(VALU_DEP_2)
	v_pk_fma_f32 v[98:99], v[94:95], v[38:39], v[96:97] op_sel_hi:[1,0,1]
	v_pk_fma_f32 v[38:39], v[94:95], v[38:39], v[96:97] neg_lo:[0,0,1] neg_hi:[0,0,1]
	v_mov_b32_e32 v39, v99
	s_delay_alu instid0(VALU_DEP_1)
	v_pk_add_f32 v[36:37], v[36:37], v[38:39]
	s_branch .LBB65_1010
.LBB65_1027:                            ;   in Loop: Header=BB65_3 Depth=1
	ds_store_b64 v87, v[36:37]
	s_wait_dscnt 0x0
	s_barrier_signal -1
	s_barrier_wait -1
	s_and_saveexec_b32 s66, s1
	s_cbranch_execz .LBB65_1029
; %bb.1028:                             ;   in Loop: Header=BB65_3 Depth=1
	ds_load_2addr_stride64_b64 v[38:41], v88 offset0:1 offset1:2
	ds_load_2addr_stride64_b64 v[94:97], v88 offset0:3 offset1:4
	;; [unrolled: 1-line block ×3, first 2 shown]
	s_wait_dscnt 0x2
	v_pk_add_f32 v[34:35], v[36:37], v[38:39]
	s_delay_alu instid0(VALU_DEP_1) | instskip(SKIP_3) | instid1(VALU_DEP_1)
	v_pk_add_f32 v[38:39], v[34:35], v[40:41]
	ds_load_2addr_stride64_b64 v[34:37], v88 offset0:7 offset1:8
	s_wait_dscnt 0x2
	v_pk_add_f32 v[38:39], v[38:39], v[94:95]
	v_pk_add_f32 v[94:95], v[38:39], v[96:97]
	ds_load_2addr_stride64_b64 v[38:41], v88 offset0:9 offset1:10
	s_wait_dscnt 0x2
	v_pk_add_f32 v[94:95], v[94:95], v[98:99]
	s_delay_alu instid0(VALU_DEP_1) | instskip(SKIP_3) | instid1(VALU_DEP_1)
	v_pk_add_f32 v[98:99], v[94:95], v[100:101]
	ds_load_2addr_stride64_b64 v[94:97], v88 offset0:11 offset1:12
	s_wait_dscnt 0x2
	v_pk_add_f32 v[34:35], v[98:99], v[34:35]
	v_pk_add_f32 v[98:99], v[34:35], v[36:37]
	ds_load_2addr_stride64_b64 v[34:37], v88 offset0:13 offset1:14
	s_wait_dscnt 0x2
	v_pk_add_f32 v[38:39], v[98:99], v[38:39]
	s_delay_alu instid0(VALU_DEP_1) | instskip(SKIP_3) | instid1(VALU_DEP_1)
	v_pk_add_f32 v[38:39], v[38:39], v[40:41]
	ds_load_b64 v[40:41], v88 offset:7680
	s_wait_dscnt 0x2
	v_pk_add_f32 v[38:39], v[38:39], v[94:95]
	v_pk_add_f32 v[38:39], v[38:39], v[96:97]
	s_wait_dscnt 0x1
	s_delay_alu instid0(VALU_DEP_1) | instskip(NEXT) | instid1(VALU_DEP_1)
	v_pk_add_f32 v[34:35], v[38:39], v[34:35]
	v_pk_add_f32 v[34:35], v[34:35], v[36:37]
	s_wait_dscnt 0x0
	s_delay_alu instid0(VALU_DEP_1) | instskip(NEXT) | instid1(VALU_DEP_1)
	v_pk_add_f32 v[34:35], v[34:35], v[40:41]
	v_cndmask_b32_e64 v37, -v35, 0, s33
	s_delay_alu instid0(VALU_DEP_2)
	v_cndmask_b32_e64 v36, -v34, 0, s33
.LBB65_1029:                            ;   in Loop: Header=BB65_3 Depth=1
	s_or_b32 exec_lo, exec_lo, s66
	s_delay_alu instid0(SALU_CYCLE_1)
	s_and_not1_b32 vcc_lo, exec_lo, s95
	s_cbranch_vccnz .LBB65_1039
; %bb.1030:                             ;   in Loop: Header=BB65_3 Depth=1
	s_and_saveexec_b32 s66, s1
; %bb.1031:                             ;   in Loop: Header=BB65_3 Depth=1
	ds_store_b64 v90, v[36:37]
; %bb.1032:                             ;   in Loop: Header=BB65_3 Depth=1
	s_or_b32 exec_lo, exec_lo, s66
	v_mov_b64_e32 v[34:35], 0
	s_wait_dscnt 0x0
	s_barrier_signal -1
	s_barrier_wait -1
	s_and_saveexec_b32 s66, s6
	s_cbranch_execnz .LBB65_1102
; %bb.1033:                             ;   in Loop: Header=BB65_3 Depth=1
	s_or_b32 exec_lo, exec_lo, s66
	s_and_saveexec_b32 s66, s7
	s_cbranch_execnz .LBB65_1103
.LBB65_1034:                            ;   in Loop: Header=BB65_3 Depth=1
	s_or_b32 exec_lo, exec_lo, s66
	s_and_saveexec_b32 s66, s8
	s_cbranch_execnz .LBB65_1104
.LBB65_1035:                            ;   in Loop: Header=BB65_3 Depth=1
	s_or_b32 exec_lo, exec_lo, s66
	s_and_saveexec_b32 s66, s9
	s_cbranch_execz .LBB65_1037
.LBB65_1036:                            ;   in Loop: Header=BB65_3 Depth=1
	ds_load_b64 v[38:39], v89 offset:24576
	ds_load_b64 v[40:41], v83 offset:384
	s_wait_dscnt 0x0
	v_pk_mul_f32 v[94:95], v[40:41], v[38:39] op_sel:[1,1] op_sel_hi:[0,1]
	s_delay_alu instid0(VALU_DEP_1) | instskip(SKIP_1) | instid1(VALU_DEP_2)
	v_pk_fma_f32 v[96:97], v[40:41], v[38:39], v[94:95] op_sel_hi:[1,0,1]
	v_pk_fma_f32 v[38:39], v[40:41], v[38:39], v[94:95] neg_lo:[0,0,1] neg_hi:[0,0,1]
	v_mov_b32_e32 v39, v97
	s_delay_alu instid0(VALU_DEP_1)
	v_pk_add_f32 v[34:35], v[34:35], v[38:39]
.LBB65_1037:                            ;   in Loop: Header=BB65_3 Depth=1
	s_or_b32 exec_lo, exec_lo, s66
	s_mov_b32 s67, 0
	s_mov_b32 s66, 0
	ds_store_b64 v87, v[34:35]
	s_wait_dscnt 0x0
	s_barrier_signal -1
	s_barrier_wait -1
                                        ; implicit-def: $vgpr38_vgpr39
	s_and_saveexec_b32 s73, s1
	s_cbranch_execz .LBB65_1105
; %bb.1038:                             ;   in Loop: Header=BB65_3 Depth=1
	ds_load_2addr_stride64_b64 v[38:41], v88 offset0:1 offset1:2
	ds_load_2addr_stride64_b64 v[94:97], v88 offset0:3 offset1:4
	;; [unrolled: 1-line block ×3, first 2 shown]
	s_mov_b32 s66, exec_lo
	s_wait_dscnt 0x2
	v_pk_add_f32 v[34:35], v[34:35], v[38:39]
	s_delay_alu instid0(VALU_DEP_1) | instskip(SKIP_3) | instid1(VALU_DEP_1)
	v_pk_add_f32 v[34:35], v[34:35], v[40:41]
	ds_load_2addr_stride64_b64 v[38:41], v88 offset0:7 offset1:8
	s_wait_dscnt 0x2
	v_pk_add_f32 v[34:35], v[34:35], v[94:95]
	v_pk_add_f32 v[34:35], v[34:35], v[96:97]
	ds_load_2addr_stride64_b64 v[94:97], v88 offset0:9 offset1:10
	s_wait_dscnt 0x2
	v_pk_add_f32 v[34:35], v[34:35], v[98:99]
	s_delay_alu instid0(VALU_DEP_1) | instskip(SKIP_3) | instid1(VALU_DEP_1)
	v_pk_add_f32 v[34:35], v[34:35], v[100:101]
	ds_load_2addr_stride64_b64 v[98:101], v88 offset0:11 offset1:12
	s_wait_dscnt 0x2
	v_pk_add_f32 v[34:35], v[34:35], v[38:39]
	v_pk_add_f32 v[34:35], v[34:35], v[40:41]
	ds_load_2addr_stride64_b64 v[38:41], v88 offset0:13 offset1:14
	s_wait_dscnt 0x2
	v_pk_add_f32 v[34:35], v[34:35], v[94:95]
	ds_load_b64 v[94:95], v88 offset:7680
	v_pk_add_f32 v[34:35], v[34:35], v[96:97]
	s_wait_dscnt 0x2
	s_delay_alu instid0(VALU_DEP_1) | instskip(NEXT) | instid1(VALU_DEP_1)
	v_pk_add_f32 v[34:35], v[34:35], v[98:99]
	v_pk_add_f32 v[34:35], v[34:35], v[100:101]
	s_wait_dscnt 0x1
	s_delay_alu instid0(VALU_DEP_1) | instskip(NEXT) | instid1(VALU_DEP_1)
	v_pk_add_f32 v[34:35], v[34:35], v[38:39]
	v_pk_add_f32 v[34:35], v[34:35], v[40:41]
	s_wait_dscnt 0x0
	s_delay_alu instid0(VALU_DEP_1) | instskip(SKIP_1) | instid1(SALU_CYCLE_1)
	v_pk_add_f32 v[38:39], v[34:35], v[94:95]
	s_or_b32 exec_lo, exec_lo, s73
	s_and_b32 vcc_lo, exec_lo, s67
	s_cbranch_vccnz .LBB65_1040
	s_branch .LBB65_1106
.LBB65_1039:                            ;   in Loop: Header=BB65_3 Depth=1
	s_mov_b32 s66, 0
                                        ; implicit-def: $vgpr38_vgpr39
	s_cbranch_execz .LBB65_1106
.LBB65_1040:                            ;   in Loop: Header=BB65_3 Depth=1
	v_dual_mov_b32 v4, v2 :: v_dual_mov_b32 v34, v71
	s_mov_b32 s67, 0
	s_branch .LBB65_1042
.LBB65_1041:                            ;   in Loop: Header=BB65_1042 Depth=2
	s_or_b32 exec_lo, exec_lo, s73
	v_add_nc_u32_e32 v34, 0x400, v34
	v_add_nc_u32_e32 v4, -2, v4
	s_add_co_i32 s67, s67, 2
	s_delay_alu instid0(SALU_CYCLE_1)
	s_cmp_lg_u32 s67, 64
	s_barrier_signal -1
	s_barrier_wait -1
	s_cbranch_scc0 .LBB65_1050
.LBB65_1042:                            ;   Parent Loop BB65_3 Depth=1
                                        ; =>  This Inner Loop Header: Depth=2
	s_delay_alu instid0(VALU_DEP_1) | instskip(SKIP_2) | instid1(SALU_CYCLE_1)
	v_cmp_eq_u32_e32 vcc_lo, 0, v4
	v_add_nc_u32_e32 v35, v82, v46
	s_and_b32 s54, s1, vcc_lo
	s_and_saveexec_b32 s73, s54
	s_cbranch_execz .LBB65_1044
; %bb.1043:                             ;   in Loop: Header=BB65_1042 Depth=2
	ds_load_b64 v[38:39], v35
	s_wait_dscnt 0x0
	v_pk_mul_f32 v[40:41], v[36:37], v[38:39] op_sel:[1,1] op_sel_hi:[1,0]
	s_delay_alu instid0(VALU_DEP_1) | instskip(SKIP_1) | instid1(VALU_DEP_2)
	v_pk_fma_f32 v[94:95], v[36:37], v[38:39], v[40:41] op_sel_hi:[0,1,1]
	v_pk_fma_f32 v[38:39], v[36:37], v[38:39], v[40:41] neg_lo:[0,0,1] neg_hi:[0,0,1]
	v_mov_b32_e32 v39, v95
	s_delay_alu instid0(VALU_DEP_1)
	v_mov_b64_e32 v[36:37], v[38:39]
	ds_store_b64 v5, v[38:39] offset:41472
.LBB65_1044:                            ;   in Loop: Header=BB65_1042 Depth=2
	s_or_b32 exec_lo, exec_lo, s73
	v_cmp_lt_u32_e32 vcc_lo, s67, v2
	s_wait_dscnt 0x0
	s_barrier_signal -1
	s_barrier_wait -1
	s_and_b32 s54, s1, vcc_lo
	s_delay_alu instid0(SALU_CYCLE_1)
	s_and_saveexec_b32 s73, s54
	s_cbranch_execz .LBB65_1046
; %bb.1045:                             ;   in Loop: Header=BB65_1042 Depth=2
	ds_load_b64 v[38:39], v34
	ds_load_b64 v[40:41], v5 offset:41472
	s_wait_dscnt 0x0
	v_pk_mul_f32 v[94:95], v[40:41], v[38:39] op_sel:[1,1] op_sel_hi:[0,1]
	s_delay_alu instid0(VALU_DEP_1) | instskip(SKIP_1) | instid1(VALU_DEP_2)
	v_pk_fma_f32 v[96:97], v[40:41], v[38:39], v[94:95] op_sel_hi:[1,0,1]
	v_pk_fma_f32 v[38:39], v[40:41], v[38:39], v[94:95] neg_lo:[0,0,1] neg_hi:[0,0,1]
	v_mov_b32_e32 v39, v97
	s_delay_alu instid0(VALU_DEP_1)
	v_pk_add_f32 v[36:37], v[36:37], v[38:39]
.LBB65_1046:                            ;   in Loop: Header=BB65_1042 Depth=2
	s_or_b32 exec_lo, exec_lo, s73
	s_or_b32 s73, s67, 1
	s_delay_alu instid0(SALU_CYCLE_1) | instskip(SKIP_3) | instid1(SALU_CYCLE_1)
	v_cmp_eq_u32_e32 vcc_lo, s73, v2
	s_barrier_signal -1
	s_barrier_wait -1
	s_and_b32 s54, s1, vcc_lo
	s_and_saveexec_b32 s88, s54
	s_cbranch_execz .LBB65_1048
; %bb.1047:                             ;   in Loop: Header=BB65_1042 Depth=2
	ds_load_b64 v[38:39], v35
	s_wait_dscnt 0x0
	v_pk_mul_f32 v[40:41], v[36:37], v[38:39] op_sel:[1,1] op_sel_hi:[1,0]
	s_delay_alu instid0(VALU_DEP_1) | instskip(SKIP_1) | instid1(VALU_DEP_2)
	v_pk_fma_f32 v[94:95], v[36:37], v[38:39], v[40:41] op_sel_hi:[0,1,1]
	v_pk_fma_f32 v[38:39], v[36:37], v[38:39], v[40:41] neg_lo:[0,0,1] neg_hi:[0,0,1]
	v_mov_b32_e32 v39, v95
	s_delay_alu instid0(VALU_DEP_1)
	v_mov_b64_e32 v[36:37], v[38:39]
	ds_store_b64 v5, v[38:39] offset:41472
.LBB65_1048:                            ;   in Loop: Header=BB65_1042 Depth=2
	s_or_b32 exec_lo, exec_lo, s88
	v_cmp_lt_u32_e32 vcc_lo, s73, v2
	s_wait_dscnt 0x0
	s_barrier_signal -1
	s_barrier_wait -1
	s_and_b32 s54, s1, vcc_lo
	s_delay_alu instid0(SALU_CYCLE_1)
	s_and_saveexec_b32 s73, s54
	s_cbranch_execz .LBB65_1041
; %bb.1049:                             ;   in Loop: Header=BB65_1042 Depth=2
	ds_load_b64 v[38:39], v34 offset:512
	ds_load_b64 v[40:41], v5 offset:41472
	s_wait_dscnt 0x0
	v_pk_mul_f32 v[94:95], v[40:41], v[38:39] op_sel:[1,1] op_sel_hi:[0,1]
	s_delay_alu instid0(VALU_DEP_1) | instskip(SKIP_1) | instid1(VALU_DEP_2)
	v_pk_fma_f32 v[96:97], v[40:41], v[38:39], v[94:95] op_sel_hi:[1,0,1]
	v_pk_fma_f32 v[38:39], v[40:41], v[38:39], v[94:95] neg_lo:[0,0,1] neg_hi:[0,0,1]
	v_mov_b32_e32 v39, v97
	s_delay_alu instid0(VALU_DEP_1)
	v_pk_add_f32 v[36:37], v[36:37], v[38:39]
	s_branch .LBB65_1041
.LBB65_1050:                            ;   in Loop: Header=BB65_3 Depth=1
	s_and_b32 vcc_lo, exec_lo, s94
	s_mov_b32 s67, -1
	s_cbranch_vccz .LBB65_1052
; %bb.1051:                             ;   in Loop: Header=BB65_3 Depth=1
	s_and_not1_b32 s54, s66, exec_lo
	s_and_b32 s66, s1, exec_lo
	s_mov_b32 s67, 0
	s_or_b32 s66, s54, s66
.LBB65_1052:                            ;   in Loop: Header=BB65_3 Depth=1
	s_and_not1_b32 vcc_lo, exec_lo, s67
	s_cbranch_vccnz .LBB65_1054
; %bb.1053:                             ;   in Loop: Header=BB65_3 Depth=1
	s_and_not1_b32 s54, s66, exec_lo
	v_readlane_b32 s66, v104, 7
	s_and_b32 s66, s66, exec_lo
	s_delay_alu instid0(SALU_CYCLE_1)
	s_or_b32 s66, s54, s66
.LBB65_1054:                            ;   in Loop: Header=BB65_3 Depth=1
	v_mov_b64_e32 v[34:35], v[12:13]
	s_and_saveexec_b32 s67, s66
	s_cbranch_execnz .LBB65_1107
	s_branch .LBB65_1108
.LBB65_1055:                            ;   in Loop: Header=BB65_3 Depth=1
	v_readlane_b32 s54, v104, 15
	s_and_saveexec_b32 s69, s54
	s_delay_alu instid0(SALU_CYCLE_1)
	s_xor_b32 s69, exec_lo, s69
	s_cbranch_execz .LBB65_1059
; %bb.1056:                             ;   in Loop: Header=BB65_3 Depth=1
	v_readlane_b32 s54, v103, 7
	s_and_saveexec_b32 s73, s54
; %bb.1057:                             ;   in Loop: Header=BB65_3 Depth=1
	ds_store_b64 v76, v[32:33]
; %bb.1058:                             ;   in Loop: Header=BB65_3 Depth=1
	s_or_b32 exec_lo, exec_lo, s73
.LBB65_1059:                            ;   in Loop: Header=BB65_3 Depth=1
	s_and_not1_saveexec_b32 s69, s69
	s_cbranch_execz .LBB65_1065
; %bb.1060:                             ;   in Loop: Header=BB65_3 Depth=1
	v_lshl_add_u64 v[36:37], v[14:15], 3, s[66:67]
                                        ; implicit-def: $vgpr38_vgpr39
	global_load_b64 v[36:37], v[36:37], off
	s_wait_loadcnt 0x0
	v_cmp_ngt_f32_e64 s73, |v36|, |v37|
	s_wait_xcnt 0x0
	s_and_saveexec_b32 s88, s73
	s_delay_alu instid0(SALU_CYCLE_1)
	s_xor_b32 s73, exec_lo, s88
	s_cbranch_execz .LBB65_1062
; %bb.1061:                             ;   in Loop: Header=BB65_3 Depth=1
	v_div_scale_f32 v4, null, v37, v37, v36
	v_div_scale_f32 v40, vcc_lo, v36, v37, v36
	s_delay_alu instid0(VALU_DEP_2) | instskip(SKIP_1) | instid1(TRANS32_DEP_1)
	v_rcp_f32_e32 v38, v4
	v_nop
	v_fma_f32 v39, -v4, v38, 1.0
	s_delay_alu instid0(VALU_DEP_1) | instskip(NEXT) | instid1(VALU_DEP_1)
	v_fmac_f32_e32 v38, v39, v38
	v_mul_f32_e32 v39, v40, v38
	s_delay_alu instid0(VALU_DEP_1) | instskip(NEXT) | instid1(VALU_DEP_1)
	v_fma_f32 v41, -v4, v39, v40
	v_fmac_f32_e32 v39, v41, v38
	s_delay_alu instid0(VALU_DEP_1) | instskip(NEXT) | instid1(VALU_DEP_1)
	v_fma_f32 v4, -v4, v39, v40
	v_div_fmas_f32 v4, v4, v38, v39
	s_delay_alu instid0(VALU_DEP_1) | instskip(NEXT) | instid1(VALU_DEP_1)
	v_div_fixup_f32 v4, v4, v37, v36
	v_fmac_f32_e32 v37, v36, v4
	s_delay_alu instid0(VALU_DEP_1) | instskip(SKIP_1) | instid1(VALU_DEP_2)
	v_div_scale_f32 v36, null, v37, v37, 1.0
	v_div_scale_f32 v40, vcc_lo, 1.0, v37, 1.0
	v_rcp_f32_e32 v38, v36
	v_nop
	s_delay_alu instid0(TRANS32_DEP_1) | instskip(NEXT) | instid1(VALU_DEP_1)
	v_fma_f32 v39, -v36, v38, 1.0
	v_fmac_f32_e32 v38, v39, v38
	s_delay_alu instid0(VALU_DEP_1) | instskip(NEXT) | instid1(VALU_DEP_1)
	v_mul_f32_e32 v39, v40, v38
	v_fma_f32 v41, -v36, v39, v40
	s_delay_alu instid0(VALU_DEP_1) | instskip(NEXT) | instid1(VALU_DEP_1)
	v_fmac_f32_e32 v39, v41, v38
	v_fma_f32 v36, -v36, v39, v40
	s_delay_alu instid0(VALU_DEP_1) | instskip(NEXT) | instid1(VALU_DEP_1)
	v_div_fmas_f32 v36, v36, v38, v39
	v_div_fixup_f32 v36, v36, v37, 1.0
	s_delay_alu instid0(VALU_DEP_1)
	v_mul_f32_e32 v38, v4, v36
	v_xor_b32_e32 v39, 0x80000000, v36
                                        ; implicit-def: $vgpr36_vgpr37
.LBB65_1062:                            ;   in Loop: Header=BB65_3 Depth=1
	s_and_not1_saveexec_b32 s73, s73
	s_cbranch_execz .LBB65_1064
; %bb.1063:                             ;   in Loop: Header=BB65_3 Depth=1
	v_div_scale_f32 v4, null, v36, v36, v37
	v_div_scale_f32 v40, vcc_lo, v37, v36, v37
	s_delay_alu instid0(VALU_DEP_2) | instskip(SKIP_1) | instid1(TRANS32_DEP_1)
	v_rcp_f32_e32 v38, v4
	v_nop
	v_fma_f32 v39, -v4, v38, 1.0
	s_delay_alu instid0(VALU_DEP_1) | instskip(NEXT) | instid1(VALU_DEP_1)
	v_fmac_f32_e32 v38, v39, v38
	v_mul_f32_e32 v39, v40, v38
	s_delay_alu instid0(VALU_DEP_1) | instskip(NEXT) | instid1(VALU_DEP_1)
	v_fma_f32 v41, -v4, v39, v40
	v_fmac_f32_e32 v39, v41, v38
	s_delay_alu instid0(VALU_DEP_1) | instskip(NEXT) | instid1(VALU_DEP_1)
	v_fma_f32 v4, -v4, v39, v40
	v_div_fmas_f32 v4, v4, v38, v39
	s_delay_alu instid0(VALU_DEP_1) | instskip(NEXT) | instid1(VALU_DEP_1)
	v_div_fixup_f32 v4, v4, v36, v37
	v_fmac_f32_e32 v36, v37, v4
	s_delay_alu instid0(VALU_DEP_1) | instskip(NEXT) | instid1(VALU_DEP_1)
	v_div_scale_f32 v37, null, v36, v36, 1.0
	v_rcp_f32_e32 v38, v37
	v_nop
	s_delay_alu instid0(TRANS32_DEP_1) | instskip(NEXT) | instid1(VALU_DEP_1)
	v_fma_f32 v39, -v37, v38, 1.0
	v_fmac_f32_e32 v38, v39, v38
	v_div_scale_f32 v39, vcc_lo, 1.0, v36, 1.0
	s_delay_alu instid0(VALU_DEP_1) | instskip(NEXT) | instid1(VALU_DEP_1)
	v_mul_f32_e32 v40, v39, v38
	v_fma_f32 v41, -v37, v40, v39
	s_delay_alu instid0(VALU_DEP_1) | instskip(NEXT) | instid1(VALU_DEP_1)
	v_fmac_f32_e32 v40, v41, v38
	v_fma_f32 v37, -v37, v40, v39
	s_delay_alu instid0(VALU_DEP_1) | instskip(NEXT) | instid1(VALU_DEP_1)
	v_div_fmas_f32 v37, v37, v38, v40
	v_div_fixup_f32 v38, v37, v36, 1.0
	s_delay_alu instid0(VALU_DEP_1)
	v_mul_f32_e64 v39, v4, -v38
.LBB65_1064:                            ;   in Loop: Header=BB65_3 Depth=1
	s_or_b32 exec_lo, exec_lo, s73
	ds_store_b64 v76, v[38:39]
.LBB65_1065:                            ;   in Loop: Header=BB65_3 Depth=1
	s_or_b32 exec_lo, exec_lo, s69
	s_and_not1_saveexec_b32 s68, s68
	s_cbranch_execz .LBB65_19
.LBB65_1066:                            ;   in Loop: Header=BB65_3 Depth=1
	v_lshl_add_u64 v[36:37], v[14:15], 3, s[66:67]
	global_load_b64 v[36:37], v[36:37], off
	s_wait_loadcnt 0x0
	s_wait_xcnt 0x0
	v_pk_add_f32 v[36:37], v[36:37], 0 neg_lo:[1,1] neg_hi:[1,1]
	ds_store_b64 v76, v[36:37]
	s_or_b32 exec_lo, exec_lo, s68
	s_and_saveexec_b32 s68, s7
	s_delay_alu instid0(SALU_CYCLE_1)
	s_xor_b32 s68, exec_lo, s68
	s_cbranch_execz .LBB65_20
.LBB65_1067:                            ;   in Loop: Header=BB65_3 Depth=1
	v_readlane_b32 s54, v104, 17
	s_and_saveexec_b32 s69, s54
	s_delay_alu instid0(SALU_CYCLE_1)
	s_xor_b32 s69, exec_lo, s69
	s_cbranch_execz .LBB65_1071
; %bb.1068:                             ;   in Loop: Header=BB65_3 Depth=1
	v_readlane_b32 s54, v103, 8
	s_and_saveexec_b32 s73, s54
; %bb.1069:                             ;   in Loop: Header=BB65_3 Depth=1
	ds_store_b64 v77, v[32:33]
; %bb.1070:                             ;   in Loop: Header=BB65_3 Depth=1
	s_or_b32 exec_lo, exec_lo, s73
.LBB65_1071:                            ;   in Loop: Header=BB65_3 Depth=1
	s_and_not1_saveexec_b32 s69, s69
	s_cbranch_execz .LBB65_1077
; %bb.1072:                             ;   in Loop: Header=BB65_3 Depth=1
	v_lshl_add_u64 v[36:37], v[16:17], 3, s[66:67]
                                        ; implicit-def: $vgpr38_vgpr39
	global_load_b64 v[36:37], v[36:37], off
	s_wait_loadcnt 0x0
	v_cmp_ngt_f32_e64 s73, |v36|, |v37|
	s_wait_xcnt 0x0
	s_and_saveexec_b32 s88, s73
	s_delay_alu instid0(SALU_CYCLE_1)
	s_xor_b32 s73, exec_lo, s88
	s_cbranch_execz .LBB65_1074
; %bb.1073:                             ;   in Loop: Header=BB65_3 Depth=1
	v_div_scale_f32 v4, null, v37, v37, v36
	v_div_scale_f32 v40, vcc_lo, v36, v37, v36
	s_delay_alu instid0(VALU_DEP_2) | instskip(SKIP_1) | instid1(TRANS32_DEP_1)
	v_rcp_f32_e32 v38, v4
	v_nop
	v_fma_f32 v39, -v4, v38, 1.0
	s_delay_alu instid0(VALU_DEP_1) | instskip(NEXT) | instid1(VALU_DEP_1)
	v_fmac_f32_e32 v38, v39, v38
	v_mul_f32_e32 v39, v40, v38
	s_delay_alu instid0(VALU_DEP_1) | instskip(NEXT) | instid1(VALU_DEP_1)
	v_fma_f32 v41, -v4, v39, v40
	v_fmac_f32_e32 v39, v41, v38
	s_delay_alu instid0(VALU_DEP_1) | instskip(NEXT) | instid1(VALU_DEP_1)
	v_fma_f32 v4, -v4, v39, v40
	v_div_fmas_f32 v4, v4, v38, v39
	s_delay_alu instid0(VALU_DEP_1) | instskip(NEXT) | instid1(VALU_DEP_1)
	v_div_fixup_f32 v4, v4, v37, v36
	v_fmac_f32_e32 v37, v36, v4
	s_delay_alu instid0(VALU_DEP_1) | instskip(SKIP_1) | instid1(VALU_DEP_2)
	v_div_scale_f32 v36, null, v37, v37, 1.0
	v_div_scale_f32 v40, vcc_lo, 1.0, v37, 1.0
	v_rcp_f32_e32 v38, v36
	v_nop
	s_delay_alu instid0(TRANS32_DEP_1) | instskip(NEXT) | instid1(VALU_DEP_1)
	v_fma_f32 v39, -v36, v38, 1.0
	v_fmac_f32_e32 v38, v39, v38
	s_delay_alu instid0(VALU_DEP_1) | instskip(NEXT) | instid1(VALU_DEP_1)
	v_mul_f32_e32 v39, v40, v38
	v_fma_f32 v41, -v36, v39, v40
	s_delay_alu instid0(VALU_DEP_1) | instskip(NEXT) | instid1(VALU_DEP_1)
	v_fmac_f32_e32 v39, v41, v38
	v_fma_f32 v36, -v36, v39, v40
	s_delay_alu instid0(VALU_DEP_1) | instskip(NEXT) | instid1(VALU_DEP_1)
	v_div_fmas_f32 v36, v36, v38, v39
	v_div_fixup_f32 v36, v36, v37, 1.0
	s_delay_alu instid0(VALU_DEP_1)
	v_mul_f32_e32 v38, v4, v36
	v_xor_b32_e32 v39, 0x80000000, v36
                                        ; implicit-def: $vgpr36_vgpr37
.LBB65_1074:                            ;   in Loop: Header=BB65_3 Depth=1
	s_and_not1_saveexec_b32 s73, s73
	s_cbranch_execz .LBB65_1076
; %bb.1075:                             ;   in Loop: Header=BB65_3 Depth=1
	v_div_scale_f32 v4, null, v36, v36, v37
	v_div_scale_f32 v40, vcc_lo, v37, v36, v37
	s_delay_alu instid0(VALU_DEP_2) | instskip(SKIP_1) | instid1(TRANS32_DEP_1)
	v_rcp_f32_e32 v38, v4
	v_nop
	v_fma_f32 v39, -v4, v38, 1.0
	s_delay_alu instid0(VALU_DEP_1) | instskip(NEXT) | instid1(VALU_DEP_1)
	v_fmac_f32_e32 v38, v39, v38
	v_mul_f32_e32 v39, v40, v38
	s_delay_alu instid0(VALU_DEP_1) | instskip(NEXT) | instid1(VALU_DEP_1)
	v_fma_f32 v41, -v4, v39, v40
	v_fmac_f32_e32 v39, v41, v38
	s_delay_alu instid0(VALU_DEP_1) | instskip(NEXT) | instid1(VALU_DEP_1)
	v_fma_f32 v4, -v4, v39, v40
	v_div_fmas_f32 v4, v4, v38, v39
	s_delay_alu instid0(VALU_DEP_1) | instskip(NEXT) | instid1(VALU_DEP_1)
	v_div_fixup_f32 v4, v4, v36, v37
	v_fmac_f32_e32 v36, v37, v4
	s_delay_alu instid0(VALU_DEP_1) | instskip(NEXT) | instid1(VALU_DEP_1)
	v_div_scale_f32 v37, null, v36, v36, 1.0
	v_rcp_f32_e32 v38, v37
	v_nop
	s_delay_alu instid0(TRANS32_DEP_1) | instskip(NEXT) | instid1(VALU_DEP_1)
	v_fma_f32 v39, -v37, v38, 1.0
	v_fmac_f32_e32 v38, v39, v38
	v_div_scale_f32 v39, vcc_lo, 1.0, v36, 1.0
	s_delay_alu instid0(VALU_DEP_1) | instskip(NEXT) | instid1(VALU_DEP_1)
	v_mul_f32_e32 v40, v39, v38
	v_fma_f32 v41, -v37, v40, v39
	s_delay_alu instid0(VALU_DEP_1) | instskip(NEXT) | instid1(VALU_DEP_1)
	v_fmac_f32_e32 v40, v41, v38
	v_fma_f32 v37, -v37, v40, v39
	s_delay_alu instid0(VALU_DEP_1) | instskip(NEXT) | instid1(VALU_DEP_1)
	v_div_fmas_f32 v37, v37, v38, v40
	v_div_fixup_f32 v38, v37, v36, 1.0
	s_delay_alu instid0(VALU_DEP_1)
	v_mul_f32_e64 v39, v4, -v38
.LBB65_1076:                            ;   in Loop: Header=BB65_3 Depth=1
	s_or_b32 exec_lo, exec_lo, s73
	ds_store_b64 v77, v[38:39]
.LBB65_1077:                            ;   in Loop: Header=BB65_3 Depth=1
	s_or_b32 exec_lo, exec_lo, s69
	s_and_not1_saveexec_b32 s68, s68
	s_cbranch_execz .LBB65_21
.LBB65_1078:                            ;   in Loop: Header=BB65_3 Depth=1
	v_lshl_add_u64 v[36:37], v[16:17], 3, s[66:67]
	global_load_b64 v[36:37], v[36:37], off
	s_wait_loadcnt 0x0
	s_wait_xcnt 0x0
	v_pk_add_f32 v[36:37], v[36:37], 0 neg_lo:[1,1] neg_hi:[1,1]
	ds_store_b64 v77, v[36:37]
	s_or_b32 exec_lo, exec_lo, s68
	s_and_saveexec_b32 s68, s8
	s_delay_alu instid0(SALU_CYCLE_1)
	s_xor_b32 s68, exec_lo, s68
	s_cbranch_execz .LBB65_22
.LBB65_1079:                            ;   in Loop: Header=BB65_3 Depth=1
	v_readlane_b32 s54, v104, 19
	s_and_saveexec_b32 s69, s54
	s_delay_alu instid0(SALU_CYCLE_1)
	s_xor_b32 s69, exec_lo, s69
	s_cbranch_execz .LBB65_1083
; %bb.1080:                             ;   in Loop: Header=BB65_3 Depth=1
	v_readlane_b32 s54, v103, 9
	s_and_saveexec_b32 s73, s54
; %bb.1081:                             ;   in Loop: Header=BB65_3 Depth=1
	ds_store_b64 v79, v[32:33]
; %bb.1082:                             ;   in Loop: Header=BB65_3 Depth=1
	s_or_b32 exec_lo, exec_lo, s73
.LBB65_1083:                            ;   in Loop: Header=BB65_3 Depth=1
	s_and_not1_saveexec_b32 s69, s69
	s_cbranch_execz .LBB65_1089
; %bb.1084:                             ;   in Loop: Header=BB65_3 Depth=1
	v_lshl_add_u64 v[36:37], v[18:19], 3, s[66:67]
                                        ; implicit-def: $vgpr38_vgpr39
	global_load_b64 v[36:37], v[36:37], off
	s_wait_loadcnt 0x0
	v_cmp_ngt_f32_e64 s73, |v36|, |v37|
	s_wait_xcnt 0x0
	s_and_saveexec_b32 s88, s73
	s_delay_alu instid0(SALU_CYCLE_1)
	s_xor_b32 s73, exec_lo, s88
	s_cbranch_execz .LBB65_1086
; %bb.1085:                             ;   in Loop: Header=BB65_3 Depth=1
	v_div_scale_f32 v4, null, v37, v37, v36
	v_div_scale_f32 v40, vcc_lo, v36, v37, v36
	s_delay_alu instid0(VALU_DEP_2) | instskip(SKIP_1) | instid1(TRANS32_DEP_1)
	v_rcp_f32_e32 v38, v4
	v_nop
	v_fma_f32 v39, -v4, v38, 1.0
	s_delay_alu instid0(VALU_DEP_1) | instskip(NEXT) | instid1(VALU_DEP_1)
	v_fmac_f32_e32 v38, v39, v38
	v_mul_f32_e32 v39, v40, v38
	s_delay_alu instid0(VALU_DEP_1) | instskip(NEXT) | instid1(VALU_DEP_1)
	v_fma_f32 v41, -v4, v39, v40
	v_fmac_f32_e32 v39, v41, v38
	s_delay_alu instid0(VALU_DEP_1) | instskip(NEXT) | instid1(VALU_DEP_1)
	v_fma_f32 v4, -v4, v39, v40
	v_div_fmas_f32 v4, v4, v38, v39
	s_delay_alu instid0(VALU_DEP_1) | instskip(NEXT) | instid1(VALU_DEP_1)
	v_div_fixup_f32 v4, v4, v37, v36
	v_fmac_f32_e32 v37, v36, v4
	s_delay_alu instid0(VALU_DEP_1) | instskip(SKIP_1) | instid1(VALU_DEP_2)
	v_div_scale_f32 v36, null, v37, v37, 1.0
	v_div_scale_f32 v40, vcc_lo, 1.0, v37, 1.0
	v_rcp_f32_e32 v38, v36
	v_nop
	s_delay_alu instid0(TRANS32_DEP_1) | instskip(NEXT) | instid1(VALU_DEP_1)
	v_fma_f32 v39, -v36, v38, 1.0
	v_fmac_f32_e32 v38, v39, v38
	s_delay_alu instid0(VALU_DEP_1) | instskip(NEXT) | instid1(VALU_DEP_1)
	v_mul_f32_e32 v39, v40, v38
	v_fma_f32 v41, -v36, v39, v40
	s_delay_alu instid0(VALU_DEP_1) | instskip(NEXT) | instid1(VALU_DEP_1)
	v_fmac_f32_e32 v39, v41, v38
	v_fma_f32 v36, -v36, v39, v40
	s_delay_alu instid0(VALU_DEP_1) | instskip(NEXT) | instid1(VALU_DEP_1)
	v_div_fmas_f32 v36, v36, v38, v39
	v_div_fixup_f32 v36, v36, v37, 1.0
	s_delay_alu instid0(VALU_DEP_1)
	v_mul_f32_e32 v38, v4, v36
	v_xor_b32_e32 v39, 0x80000000, v36
                                        ; implicit-def: $vgpr36_vgpr37
.LBB65_1086:                            ;   in Loop: Header=BB65_3 Depth=1
	s_and_not1_saveexec_b32 s73, s73
	s_cbranch_execz .LBB65_1088
; %bb.1087:                             ;   in Loop: Header=BB65_3 Depth=1
	v_div_scale_f32 v4, null, v36, v36, v37
	v_div_scale_f32 v40, vcc_lo, v37, v36, v37
	s_delay_alu instid0(VALU_DEP_2) | instskip(SKIP_1) | instid1(TRANS32_DEP_1)
	v_rcp_f32_e32 v38, v4
	v_nop
	v_fma_f32 v39, -v4, v38, 1.0
	s_delay_alu instid0(VALU_DEP_1) | instskip(NEXT) | instid1(VALU_DEP_1)
	v_fmac_f32_e32 v38, v39, v38
	v_mul_f32_e32 v39, v40, v38
	s_delay_alu instid0(VALU_DEP_1) | instskip(NEXT) | instid1(VALU_DEP_1)
	v_fma_f32 v41, -v4, v39, v40
	v_fmac_f32_e32 v39, v41, v38
	s_delay_alu instid0(VALU_DEP_1) | instskip(NEXT) | instid1(VALU_DEP_1)
	v_fma_f32 v4, -v4, v39, v40
	v_div_fmas_f32 v4, v4, v38, v39
	s_delay_alu instid0(VALU_DEP_1) | instskip(NEXT) | instid1(VALU_DEP_1)
	v_div_fixup_f32 v4, v4, v36, v37
	v_fmac_f32_e32 v36, v37, v4
	s_delay_alu instid0(VALU_DEP_1) | instskip(NEXT) | instid1(VALU_DEP_1)
	v_div_scale_f32 v37, null, v36, v36, 1.0
	v_rcp_f32_e32 v38, v37
	v_nop
	s_delay_alu instid0(TRANS32_DEP_1) | instskip(NEXT) | instid1(VALU_DEP_1)
	v_fma_f32 v39, -v37, v38, 1.0
	v_fmac_f32_e32 v38, v39, v38
	v_div_scale_f32 v39, vcc_lo, 1.0, v36, 1.0
	s_delay_alu instid0(VALU_DEP_1) | instskip(NEXT) | instid1(VALU_DEP_1)
	v_mul_f32_e32 v40, v39, v38
	v_fma_f32 v41, -v37, v40, v39
	s_delay_alu instid0(VALU_DEP_1) | instskip(NEXT) | instid1(VALU_DEP_1)
	v_fmac_f32_e32 v40, v41, v38
	v_fma_f32 v37, -v37, v40, v39
	s_delay_alu instid0(VALU_DEP_1) | instskip(NEXT) | instid1(VALU_DEP_1)
	v_div_fmas_f32 v37, v37, v38, v40
	v_div_fixup_f32 v38, v37, v36, 1.0
	s_delay_alu instid0(VALU_DEP_1)
	v_mul_f32_e64 v39, v4, -v38
.LBB65_1088:                            ;   in Loop: Header=BB65_3 Depth=1
	s_or_b32 exec_lo, exec_lo, s73
	ds_store_b64 v79, v[38:39]
.LBB65_1089:                            ;   in Loop: Header=BB65_3 Depth=1
	s_or_b32 exec_lo, exec_lo, s69
	s_and_not1_saveexec_b32 s68, s68
	s_cbranch_execz .LBB65_23
.LBB65_1090:                            ;   in Loop: Header=BB65_3 Depth=1
	v_lshl_add_u64 v[36:37], v[18:19], 3, s[66:67]
	global_load_b64 v[36:37], v[36:37], off
	s_wait_loadcnt 0x0
	s_wait_xcnt 0x0
	v_pk_add_f32 v[36:37], v[36:37], 0 neg_lo:[1,1] neg_hi:[1,1]
	ds_store_b64 v79, v[36:37]
	s_or_b32 exec_lo, exec_lo, s68
	s_and_saveexec_b32 s68, s9
	s_delay_alu instid0(SALU_CYCLE_1)
	s_xor_b32 s68, exec_lo, s68
	s_cbranch_execz .LBB65_24
.LBB65_1091:                            ;   in Loop: Header=BB65_3 Depth=1
	v_readlane_b32 s54, v104, 21
	s_and_saveexec_b32 s69, s54
	s_delay_alu instid0(SALU_CYCLE_1)
	s_xor_b32 s69, exec_lo, s69
	s_cbranch_execz .LBB65_1095
; %bb.1092:                             ;   in Loop: Header=BB65_3 Depth=1
	v_readlane_b32 s54, v103, 10
	s_and_saveexec_b32 s73, s54
; %bb.1093:                             ;   in Loop: Header=BB65_3 Depth=1
	ds_store_b64 v80, v[32:33]
; %bb.1094:                             ;   in Loop: Header=BB65_3 Depth=1
	s_or_b32 exec_lo, exec_lo, s73
.LBB65_1095:                            ;   in Loop: Header=BB65_3 Depth=1
	s_and_not1_saveexec_b32 s69, s69
	s_cbranch_execz .LBB65_1101
; %bb.1096:                             ;   in Loop: Header=BB65_3 Depth=1
	v_lshl_add_u64 v[36:37], v[20:21], 3, s[66:67]
                                        ; implicit-def: $vgpr38_vgpr39
	global_load_b64 v[36:37], v[36:37], off
	s_wait_loadcnt 0x0
	v_cmp_ngt_f32_e64 s73, |v36|, |v37|
	s_wait_xcnt 0x0
	s_and_saveexec_b32 s88, s73
	s_delay_alu instid0(SALU_CYCLE_1)
	s_xor_b32 s73, exec_lo, s88
	s_cbranch_execz .LBB65_1098
; %bb.1097:                             ;   in Loop: Header=BB65_3 Depth=1
	v_div_scale_f32 v4, null, v37, v37, v36
	v_div_scale_f32 v40, vcc_lo, v36, v37, v36
	s_delay_alu instid0(VALU_DEP_2) | instskip(SKIP_1) | instid1(TRANS32_DEP_1)
	v_rcp_f32_e32 v38, v4
	v_nop
	v_fma_f32 v39, -v4, v38, 1.0
	s_delay_alu instid0(VALU_DEP_1) | instskip(NEXT) | instid1(VALU_DEP_1)
	v_fmac_f32_e32 v38, v39, v38
	v_mul_f32_e32 v39, v40, v38
	s_delay_alu instid0(VALU_DEP_1) | instskip(NEXT) | instid1(VALU_DEP_1)
	v_fma_f32 v41, -v4, v39, v40
	v_fmac_f32_e32 v39, v41, v38
	s_delay_alu instid0(VALU_DEP_1) | instskip(NEXT) | instid1(VALU_DEP_1)
	v_fma_f32 v4, -v4, v39, v40
	v_div_fmas_f32 v4, v4, v38, v39
	s_delay_alu instid0(VALU_DEP_1) | instskip(NEXT) | instid1(VALU_DEP_1)
	v_div_fixup_f32 v4, v4, v37, v36
	v_fmac_f32_e32 v37, v36, v4
	s_delay_alu instid0(VALU_DEP_1) | instskip(SKIP_1) | instid1(VALU_DEP_2)
	v_div_scale_f32 v36, null, v37, v37, 1.0
	v_div_scale_f32 v40, vcc_lo, 1.0, v37, 1.0
	v_rcp_f32_e32 v38, v36
	v_nop
	s_delay_alu instid0(TRANS32_DEP_1) | instskip(NEXT) | instid1(VALU_DEP_1)
	v_fma_f32 v39, -v36, v38, 1.0
	v_fmac_f32_e32 v38, v39, v38
	s_delay_alu instid0(VALU_DEP_1) | instskip(NEXT) | instid1(VALU_DEP_1)
	v_mul_f32_e32 v39, v40, v38
	v_fma_f32 v41, -v36, v39, v40
	s_delay_alu instid0(VALU_DEP_1) | instskip(NEXT) | instid1(VALU_DEP_1)
	v_fmac_f32_e32 v39, v41, v38
	v_fma_f32 v36, -v36, v39, v40
	s_delay_alu instid0(VALU_DEP_1) | instskip(NEXT) | instid1(VALU_DEP_1)
	v_div_fmas_f32 v36, v36, v38, v39
	v_div_fixup_f32 v36, v36, v37, 1.0
	s_delay_alu instid0(VALU_DEP_1)
	v_mul_f32_e32 v38, v4, v36
	v_xor_b32_e32 v39, 0x80000000, v36
                                        ; implicit-def: $vgpr36_vgpr37
.LBB65_1098:                            ;   in Loop: Header=BB65_3 Depth=1
	s_and_not1_saveexec_b32 s73, s73
	s_cbranch_execz .LBB65_1100
; %bb.1099:                             ;   in Loop: Header=BB65_3 Depth=1
	v_div_scale_f32 v4, null, v36, v36, v37
	v_div_scale_f32 v40, vcc_lo, v37, v36, v37
	s_delay_alu instid0(VALU_DEP_2) | instskip(SKIP_1) | instid1(TRANS32_DEP_1)
	v_rcp_f32_e32 v38, v4
	v_nop
	v_fma_f32 v39, -v4, v38, 1.0
	s_delay_alu instid0(VALU_DEP_1) | instskip(NEXT) | instid1(VALU_DEP_1)
	v_fmac_f32_e32 v38, v39, v38
	v_mul_f32_e32 v39, v40, v38
	s_delay_alu instid0(VALU_DEP_1) | instskip(NEXT) | instid1(VALU_DEP_1)
	v_fma_f32 v41, -v4, v39, v40
	v_fmac_f32_e32 v39, v41, v38
	s_delay_alu instid0(VALU_DEP_1) | instskip(NEXT) | instid1(VALU_DEP_1)
	v_fma_f32 v4, -v4, v39, v40
	v_div_fmas_f32 v4, v4, v38, v39
	s_delay_alu instid0(VALU_DEP_1) | instskip(NEXT) | instid1(VALU_DEP_1)
	v_div_fixup_f32 v4, v4, v36, v37
	v_fmac_f32_e32 v36, v37, v4
	s_delay_alu instid0(VALU_DEP_1) | instskip(NEXT) | instid1(VALU_DEP_1)
	v_div_scale_f32 v37, null, v36, v36, 1.0
	v_rcp_f32_e32 v38, v37
	v_nop
	s_delay_alu instid0(TRANS32_DEP_1) | instskip(NEXT) | instid1(VALU_DEP_1)
	v_fma_f32 v39, -v37, v38, 1.0
	v_fmac_f32_e32 v38, v39, v38
	v_div_scale_f32 v39, vcc_lo, 1.0, v36, 1.0
	s_delay_alu instid0(VALU_DEP_1) | instskip(NEXT) | instid1(VALU_DEP_1)
	v_mul_f32_e32 v40, v39, v38
	v_fma_f32 v41, -v37, v40, v39
	s_delay_alu instid0(VALU_DEP_1) | instskip(NEXT) | instid1(VALU_DEP_1)
	v_fmac_f32_e32 v40, v41, v38
	v_fma_f32 v37, -v37, v40, v39
	s_delay_alu instid0(VALU_DEP_1) | instskip(NEXT) | instid1(VALU_DEP_1)
	v_div_fmas_f32 v37, v37, v38, v40
	v_div_fixup_f32 v38, v37, v36, 1.0
	s_delay_alu instid0(VALU_DEP_1)
	v_mul_f32_e64 v39, v4, -v38
.LBB65_1100:                            ;   in Loop: Header=BB65_3 Depth=1
	s_or_b32 exec_lo, exec_lo, s73
	ds_store_b64 v80, v[38:39]
.LBB65_1101:                            ;   in Loop: Header=BB65_3 Depth=1
	s_or_b32 exec_lo, exec_lo, s69
	s_and_not1_saveexec_b32 s68, s68
	s_cbranch_execnz .LBB65_25
	s_branch .LBB65_26
.LBB65_1102:                            ;   in Loop: Header=BB65_3 Depth=1
	ds_load_b64 v[34:35], v89
	ds_load_b64 v[38:39], v83
	s_wait_dscnt 0x0
	v_dual_mul_f32 v4, v39, v35 :: v_dual_mul_f32 v35, v38, v35
	s_delay_alu instid0(VALU_DEP_1) | instskip(NEXT) | instid1(VALU_DEP_1)
	v_dual_fma_f32 v4, v38, v34, -v4 :: v_dual_fmac_f32 v35, v39, v34
	v_dual_add_f32 v34, 0, v4 :: v_dual_add_f32 v35, 0, v35
	s_or_b32 exec_lo, exec_lo, s66
	s_and_saveexec_b32 s66, s7
	s_cbranch_execz .LBB65_1034
.LBB65_1103:                            ;   in Loop: Header=BB65_3 Depth=1
	ds_load_b64 v[38:39], v89 offset:8192
	ds_load_b64 v[40:41], v83 offset:128
	s_wait_dscnt 0x0
	v_dual_mul_f32 v4, v41, v39 :: v_dual_mul_f32 v95, v40, v39
	s_delay_alu instid0(VALU_DEP_1) | instskip(NEXT) | instid1(VALU_DEP_1)
	v_dual_fma_f32 v94, v40, v38, -v4 :: v_dual_fmac_f32 v95, v41, v38
	v_pk_add_f32 v[34:35], v[34:35], v[94:95]
	s_or_b32 exec_lo, exec_lo, s66
	s_and_saveexec_b32 s66, s8
	s_cbranch_execz .LBB65_1035
.LBB65_1104:                            ;   in Loop: Header=BB65_3 Depth=1
	ds_load_b64 v[38:39], v89 offset:16384
	ds_load_b64 v[40:41], v83 offset:256
	s_wait_dscnt 0x0
	v_pk_mul_f32 v[94:95], v[40:41], v[38:39] op_sel:[1,1] op_sel_hi:[0,1]
	s_delay_alu instid0(VALU_DEP_1) | instskip(SKIP_1) | instid1(VALU_DEP_2)
	v_pk_fma_f32 v[96:97], v[40:41], v[38:39], v[94:95] op_sel_hi:[1,0,1]
	v_pk_fma_f32 v[38:39], v[40:41], v[38:39], v[94:95] neg_lo:[0,0,1] neg_hi:[0,0,1]
	v_mov_b32_e32 v39, v97
	s_delay_alu instid0(VALU_DEP_1)
	v_pk_add_f32 v[34:35], v[34:35], v[38:39]
	s_or_b32 exec_lo, exec_lo, s66
	s_and_saveexec_b32 s66, s9
	s_cbranch_execnz .LBB65_1036
	s_branch .LBB65_1037
.LBB65_1105:                            ;   in Loop: Header=BB65_3 Depth=1
	s_or_b32 exec_lo, exec_lo, s73
	s_delay_alu instid0(SALU_CYCLE_1)
	s_and_b32 vcc_lo, exec_lo, s67
	s_cbranch_vccnz .LBB65_1040
.LBB65_1106:                            ;   in Loop: Header=BB65_3 Depth=1
	v_mov_b64_e32 v[36:37], v[38:39]
	v_mov_b64_e32 v[34:35], v[30:31]
	s_and_saveexec_b32 s67, s66
	s_cbranch_execz .LBB65_1108
.LBB65_1107:                            ;   in Loop: Header=BB65_3 Depth=1
	s_delay_alu instid0(VALU_DEP_1)
	v_lshl_add_u64 v[34:35], v[34:35], 3, s[68:69]
	global_store_b64 v[34:35], v[36:37], off
.LBB65_1108:                            ;   in Loop: Header=BB65_3 Depth=1
	s_wait_xcnt 0x0
	s_or_b32 exec_lo, exec_lo, s67
	global_wb scope:SCOPE_DEV
	s_wait_storecnt 0x0
	global_inv scope:SCOPE_DEV
	s_wait_loadcnt 0x0
	s_barrier_signal -1
	s_barrier_wait -1
	s_and_saveexec_b32 s66, s36
	s_cbranch_execz .LBB65_2
; %bb.1109:                             ;   in Loop: Header=BB65_3 Depth=1
	s_lshl_b64 s[68:69], s[80:81], 2
	s_delay_alu instid0(SALU_CYCLE_1)
	s_add_nc_u64 s[68:69], s[82:83], s[68:69]
	global_load_b32 v4, v5, s[68:69]
	s_wait_loadcnt 0x0
	v_add_nc_u32_e32 v4, 1, v4
	global_store_b32 v5, v4, s[68:69]
	s_branch .LBB65_2
.LBB65_1110:                            ;   in Loop: Header=BB65_3 Depth=1
	ds_load_b64 v[38:39], v50 offset:31680
	ds_load_b64 v[40:41], v51 offset:32744
	s_wait_dscnt 0x0
	v_dual_mul_f32 v4, v41, v39 :: v_dual_mul_f32 v39, v40, v39
	s_delay_alu instid0(VALU_DEP_1) | instskip(NEXT) | instid1(VALU_DEP_1)
	v_dual_fma_f32 v4, v40, v38, -v4 :: v_dual_fmac_f32 v39, v41, v38
	v_dual_add_f32 v36, v36, v4 :: v_dual_add_f32 v37, v37, v39
	s_or_b32 exec_lo, exec_lo, s67
	s_and_saveexec_b32 s67, s17
	s_cbranch_execz .LBB65_106
.LBB65_1111:                            ;   in Loop: Header=BB65_3 Depth=1
	ds_load_b64 v[38:39], v50 offset:32192
	ds_load_b64 v[40:41], v51 offset:32752
	s_wait_dscnt 0x0
	v_dual_mul_f32 v4, v41, v39 :: v_dual_mul_f32 v39, v40, v39
	s_delay_alu instid0(VALU_DEP_1) | instskip(NEXT) | instid1(VALU_DEP_1)
	v_dual_fma_f32 v4, v40, v38, -v4 :: v_dual_fmac_f32 v39, v41, v38
	v_dual_add_f32 v36, v36, v4 :: v_dual_add_f32 v37, v37, v39
	s_or_b32 exec_lo, exec_lo, s67
	s_and_saveexec_b32 s67, s0
	s_cbranch_execnz .LBB65_107
	s_branch .LBB65_108
.LBB65_1112:                            ;   in Loop: Header=BB65_3 Depth=1
	ds_load_b64 v[38:39], v57 offset:29568
	ds_load_b64 v[40:41], v58 offset:32712
	s_wait_dscnt 0x0
	v_dual_mul_f32 v4, v41, v39 :: v_dual_mul_f32 v39, v40, v39
	s_delay_alu instid0(VALU_DEP_1) | instskip(NEXT) | instid1(VALU_DEP_1)
	v_dual_fma_f32 v4, v40, v38, -v4 :: v_dual_fmac_f32 v39, v41, v38
	v_dual_add_f32 v36, v36, v4 :: v_dual_add_f32 v37, v37, v39
	s_or_b32 exec_lo, exec_lo, s67
	s_and_saveexec_b32 s67, s19
	s_cbranch_execz .LBB65_148
.LBB65_1113:                            ;   in Loop: Header=BB65_3 Depth=1
	ds_load_b64 v[38:39], v57 offset:30080
	ds_load_b64 v[40:41], v58 offset:32720
	s_wait_dscnt 0x0
	v_dual_mul_f32 v4, v41, v39 :: v_dual_mul_f32 v39, v40, v39
	s_delay_alu instid0(VALU_DEP_1) | instskip(NEXT) | instid1(VALU_DEP_1)
	v_dual_fma_f32 v4, v40, v38, -v4 :: v_dual_fmac_f32 v39, v41, v38
	v_dual_add_f32 v36, v36, v4 :: v_dual_add_f32 v37, v37, v39
	s_or_b32 exec_lo, exec_lo, s67
	s_and_saveexec_b32 s67, s20
	s_cbranch_execz .LBB65_149
.LBB65_1114:                            ;   in Loop: Header=BB65_3 Depth=1
	ds_load_b64 v[38:39], v57 offset:30592
	ds_load_b64 v[40:41], v58 offset:32728
	s_wait_dscnt 0x0
	v_dual_mul_f32 v4, v41, v39 :: v_dual_mul_f32 v39, v40, v39
	s_delay_alu instid0(VALU_DEP_1) | instskip(NEXT) | instid1(VALU_DEP_1)
	v_dual_fma_f32 v4, v40, v38, -v4 :: v_dual_fmac_f32 v39, v41, v38
	v_dual_add_f32 v36, v36, v4 :: v_dual_add_f32 v37, v37, v39
	s_or_b32 exec_lo, exec_lo, s67
	s_and_saveexec_b32 s67, s21
	s_cbranch_execz .LBB65_150
.LBB65_1115:                            ;   in Loop: Header=BB65_3 Depth=1
	ds_load_b64 v[38:39], v57 offset:31104
	ds_load_b64 v[40:41], v58 offset:32736
	s_wait_dscnt 0x0
	v_dual_mul_f32 v4, v41, v39 :: v_dual_mul_f32 v39, v40, v39
	s_delay_alu instid0(VALU_DEP_1) | instskip(NEXT) | instid1(VALU_DEP_1)
	v_dual_fma_f32 v4, v40, v38, -v4 :: v_dual_fmac_f32 v39, v41, v38
	v_dual_add_f32 v36, v36, v4 :: v_dual_add_f32 v37, v37, v39
	s_or_b32 exec_lo, exec_lo, s67
	s_and_saveexec_b32 s67, s22
	s_cbranch_execz .LBB65_151
.LBB65_1116:                            ;   in Loop: Header=BB65_3 Depth=1
	ds_load_b64 v[38:39], v57 offset:31616
	ds_load_b64 v[40:41], v58 offset:32744
	s_wait_dscnt 0x0
	v_dual_mul_f32 v4, v41, v39 :: v_dual_mul_f32 v39, v40, v39
	s_delay_alu instid0(VALU_DEP_1) | instskip(NEXT) | instid1(VALU_DEP_1)
	v_dual_fma_f32 v4, v40, v38, -v4 :: v_dual_fmac_f32 v39, v41, v38
	v_dual_add_f32 v36, v36, v4 :: v_dual_add_f32 v37, v37, v39
	s_or_b32 exec_lo, exec_lo, s67
	s_and_saveexec_b32 s67, s2
	s_cbranch_execz .LBB65_152
.LBB65_1117:                            ;   in Loop: Header=BB65_3 Depth=1
	ds_load_b64 v[38:39], v57 offset:32128
	ds_load_b64 v[40:41], v58 offset:32752
	s_wait_dscnt 0x0
	v_dual_mul_f32 v4, v41, v39 :: v_dual_mul_f32 v39, v40, v39
	s_delay_alu instid0(VALU_DEP_1) | instskip(NEXT) | instid1(VALU_DEP_1)
	v_dual_fma_f32 v4, v40, v38, -v4 :: v_dual_fmac_f32 v39, v41, v38
	v_dual_add_f32 v36, v36, v4 :: v_dual_add_f32 v37, v37, v39
	s_or_b32 exec_lo, exec_lo, s67
	s_and_saveexec_b32 s67, s17
	s_cbranch_execnz .LBB65_153
	s_branch .LBB65_154
.LBB65_1118:                            ;   in Loop: Header=BB65_3 Depth=1
	ds_load_b64 v[38:39], v50 offset:27520
	ds_load_b64 v[40:41], v51 offset:28584
	s_wait_dscnt 0x0
	v_dual_mul_f32 v4, v41, v39 :: v_dual_mul_f32 v39, v40, v39
	s_delay_alu instid0(VALU_DEP_1) | instskip(NEXT) | instid1(VALU_DEP_1)
	v_dual_fma_f32 v4, v40, v38, -v4 :: v_dual_fmac_f32 v39, v41, v38
	v_dual_add_f32 v36, v36, v4 :: v_dual_add_f32 v37, v37, v39
	s_or_b32 exec_lo, exec_lo, s67
	s_and_saveexec_b32 s67, s17
	s_cbranch_execz .LBB65_210
.LBB65_1119:                            ;   in Loop: Header=BB65_3 Depth=1
	ds_load_b64 v[38:39], v50 offset:28032
	ds_load_b64 v[40:41], v51 offset:28592
	s_wait_dscnt 0x0
	v_dual_mul_f32 v4, v41, v39 :: v_dual_mul_f32 v39, v40, v39
	s_delay_alu instid0(VALU_DEP_1) | instskip(NEXT) | instid1(VALU_DEP_1)
	v_dual_fma_f32 v4, v40, v38, -v4 :: v_dual_fmac_f32 v39, v41, v38
	v_dual_add_f32 v36, v36, v4 :: v_dual_add_f32 v37, v37, v39
	s_or_b32 exec_lo, exec_lo, s67
	s_and_saveexec_b32 s67, s0
	s_cbranch_execnz .LBB65_211
	s_branch .LBB65_212
.LBB65_1120:                            ;   in Loop: Header=BB65_3 Depth=1
	ds_load_b64 v[38:39], v61 offset:30464
	ds_load_b64 v[40:41], v62 offset:32728
	s_wait_dscnt 0x0
	v_dual_mul_f32 v4, v41, v39 :: v_dual_mul_f32 v39, v40, v39
	s_delay_alu instid0(VALU_DEP_1) | instskip(NEXT) | instid1(VALU_DEP_1)
	v_dual_fma_f32 v4, v40, v38, -v4 :: v_dual_fmac_f32 v39, v41, v38
	v_dual_add_f32 v36, v36, v4 :: v_dual_add_f32 v37, v37, v39
	s_or_b32 exec_lo, exec_lo, s67
	s_and_saveexec_b32 s67, s3
	s_cbranch_execz .LBB65_272
.LBB65_1121:                            ;   in Loop: Header=BB65_3 Depth=1
	ds_load_b64 v[38:39], v61 offset:30976
	ds_load_b64 v[40:41], v62 offset:32736
	s_wait_dscnt 0x0
	v_dual_mul_f32 v4, v41, v39 :: v_dual_mul_f32 v39, v40, v39
	s_delay_alu instid0(VALU_DEP_1) | instskip(NEXT) | instid1(VALU_DEP_1)
	v_dual_fma_f32 v4, v40, v38, -v4 :: v_dual_fmac_f32 v39, v41, v38
	v_dual_add_f32 v36, v36, v4 :: v_dual_add_f32 v37, v37, v39
	s_or_b32 exec_lo, exec_lo, s67
	s_and_saveexec_b32 s67, s19
	s_cbranch_execz .LBB65_273
.LBB65_1122:                            ;   in Loop: Header=BB65_3 Depth=1
	ds_load_b64 v[38:39], v61 offset:31488
	ds_load_b64 v[40:41], v62 offset:32744
	s_wait_dscnt 0x0
	v_dual_mul_f32 v4, v41, v39 :: v_dual_mul_f32 v39, v40, v39
	s_delay_alu instid0(VALU_DEP_1) | instskip(NEXT) | instid1(VALU_DEP_1)
	v_dual_fma_f32 v4, v40, v38, -v4 :: v_dual_fmac_f32 v39, v41, v38
	v_dual_add_f32 v36, v36, v4 :: v_dual_add_f32 v37, v37, v39
	s_or_b32 exec_lo, exec_lo, s67
	s_and_saveexec_b32 s67, s21
	s_cbranch_execz .LBB65_274
.LBB65_1123:                            ;   in Loop: Header=BB65_3 Depth=1
	ds_load_b64 v[38:39], v61 offset:32000
	ds_load_b64 v[40:41], v62 offset:32752
	s_wait_dscnt 0x0
	v_dual_mul_f32 v4, v41, v39 :: v_dual_mul_f32 v39, v40, v39
	s_delay_alu instid0(VALU_DEP_1) | instskip(NEXT) | instid1(VALU_DEP_1)
	v_dual_fma_f32 v4, v40, v38, -v4 :: v_dual_fmac_f32 v39, v41, v38
	v_dual_add_f32 v36, v36, v4 :: v_dual_add_f32 v37, v37, v39
	s_or_b32 exec_lo, exec_lo, s67
	s_and_saveexec_b32 s67, s2
	s_cbranch_execnz .LBB65_275
	s_branch .LBB65_276
.LBB65_1124:                            ;   in Loop: Header=BB65_3 Depth=1
	ds_load_b64 v[38:39], v50 offset:23360
	ds_load_b64 v[40:41], v51 offset:24424
	s_wait_dscnt 0x0
	v_dual_mul_f32 v4, v41, v39 :: v_dual_mul_f32 v39, v40, v39
	s_delay_alu instid0(VALU_DEP_1) | instskip(NEXT) | instid1(VALU_DEP_1)
	v_dual_fma_f32 v4, v40, v38, -v4 :: v_dual_fmac_f32 v39, v41, v38
	v_dual_add_f32 v36, v36, v4 :: v_dual_add_f32 v37, v37, v39
	s_or_b32 exec_lo, exec_lo, s67
	s_and_saveexec_b32 s67, s17
	s_cbranch_execz .LBB65_364
.LBB65_1125:                            ;   in Loop: Header=BB65_3 Depth=1
	ds_load_b64 v[38:39], v50 offset:23872
	ds_load_b64 v[40:41], v51 offset:24432
	s_wait_dscnt 0x0
	v_dual_mul_f32 v4, v41, v39 :: v_dual_mul_f32 v39, v40, v39
	s_delay_alu instid0(VALU_DEP_1) | instskip(NEXT) | instid1(VALU_DEP_1)
	v_dual_fma_f32 v4, v40, v38, -v4 :: v_dual_fmac_f32 v39, v41, v38
	v_dual_add_f32 v36, v36, v4 :: v_dual_add_f32 v37, v37, v39
	s_or_b32 exec_lo, exec_lo, s67
	s_and_saveexec_b32 s67, s0
	s_cbranch_execnz .LBB65_365
	s_branch .LBB65_366
.LBB65_1126:                            ;   in Loop: Header=BB65_3 Depth=1
	ds_load_b64 v[38:39], v57 offset:21248
	ds_load_b64 v[40:41], v58 offset:24392
	s_wait_dscnt 0x0
	v_dual_mul_f32 v4, v41, v39 :: v_dual_mul_f32 v39, v40, v39
	s_delay_alu instid0(VALU_DEP_1) | instskip(NEXT) | instid1(VALU_DEP_1)
	v_dual_fma_f32 v4, v40, v38, -v4 :: v_dual_fmac_f32 v39, v41, v38
	v_dual_add_f32 v36, v36, v4 :: v_dual_add_f32 v37, v37, v39
	s_or_b32 exec_lo, exec_lo, s67
	s_and_saveexec_b32 s67, s19
	s_cbranch_execz .LBB65_406
.LBB65_1127:                            ;   in Loop: Header=BB65_3 Depth=1
	ds_load_b64 v[38:39], v57 offset:21760
	ds_load_b64 v[40:41], v58 offset:24400
	s_wait_dscnt 0x0
	v_dual_mul_f32 v4, v41, v39 :: v_dual_mul_f32 v39, v40, v39
	s_delay_alu instid0(VALU_DEP_1) | instskip(NEXT) | instid1(VALU_DEP_1)
	v_dual_fma_f32 v4, v40, v38, -v4 :: v_dual_fmac_f32 v39, v41, v38
	v_dual_add_f32 v36, v36, v4 :: v_dual_add_f32 v37, v37, v39
	s_or_b32 exec_lo, exec_lo, s67
	s_and_saveexec_b32 s67, s20
	s_cbranch_execz .LBB65_407
.LBB65_1128:                            ;   in Loop: Header=BB65_3 Depth=1
	ds_load_b64 v[38:39], v57 offset:22272
	ds_load_b64 v[40:41], v58 offset:24408
	s_wait_dscnt 0x0
	v_dual_mul_f32 v4, v41, v39 :: v_dual_mul_f32 v39, v40, v39
	s_delay_alu instid0(VALU_DEP_1) | instskip(NEXT) | instid1(VALU_DEP_1)
	v_dual_fma_f32 v4, v40, v38, -v4 :: v_dual_fmac_f32 v39, v41, v38
	v_dual_add_f32 v36, v36, v4 :: v_dual_add_f32 v37, v37, v39
	s_or_b32 exec_lo, exec_lo, s67
	s_and_saveexec_b32 s67, s21
	s_cbranch_execz .LBB65_408
.LBB65_1129:                            ;   in Loop: Header=BB65_3 Depth=1
	ds_load_b64 v[38:39], v57 offset:22784
	ds_load_b64 v[40:41], v58 offset:24416
	s_wait_dscnt 0x0
	v_dual_mul_f32 v4, v41, v39 :: v_dual_mul_f32 v39, v40, v39
	s_delay_alu instid0(VALU_DEP_1) | instskip(NEXT) | instid1(VALU_DEP_1)
	v_dual_fma_f32 v4, v40, v38, -v4 :: v_dual_fmac_f32 v39, v41, v38
	v_dual_add_f32 v36, v36, v4 :: v_dual_add_f32 v37, v37, v39
	s_or_b32 exec_lo, exec_lo, s67
	s_and_saveexec_b32 s67, s22
	s_cbranch_execz .LBB65_409
.LBB65_1130:                            ;   in Loop: Header=BB65_3 Depth=1
	ds_load_b64 v[38:39], v57 offset:23296
	ds_load_b64 v[40:41], v58 offset:24424
	s_wait_dscnt 0x0
	v_dual_mul_f32 v4, v41, v39 :: v_dual_mul_f32 v39, v40, v39
	s_delay_alu instid0(VALU_DEP_1) | instskip(NEXT) | instid1(VALU_DEP_1)
	v_dual_fma_f32 v4, v40, v38, -v4 :: v_dual_fmac_f32 v39, v41, v38
	v_dual_add_f32 v36, v36, v4 :: v_dual_add_f32 v37, v37, v39
	s_or_b32 exec_lo, exec_lo, s67
	s_and_saveexec_b32 s67, s2
	s_cbranch_execz .LBB65_410
.LBB65_1131:                            ;   in Loop: Header=BB65_3 Depth=1
	ds_load_b64 v[38:39], v57 offset:23808
	ds_load_b64 v[40:41], v58 offset:24432
	s_wait_dscnt 0x0
	v_dual_mul_f32 v4, v41, v39 :: v_dual_mul_f32 v39, v40, v39
	s_delay_alu instid0(VALU_DEP_1) | instskip(NEXT) | instid1(VALU_DEP_1)
	v_dual_fma_f32 v4, v40, v38, -v4 :: v_dual_fmac_f32 v39, v41, v38
	v_dual_add_f32 v36, v36, v4 :: v_dual_add_f32 v37, v37, v39
	s_or_b32 exec_lo, exec_lo, s67
	s_and_saveexec_b32 s67, s17
	s_cbranch_execnz .LBB65_411
	s_branch .LBB65_412
.LBB65_1132:                            ;   in Loop: Header=BB65_3 Depth=1
	ds_load_b64 v[38:39], v50 offset:19200
	ds_load_b64 v[40:41], v51 offset:20264
	s_wait_dscnt 0x0
	v_dual_mul_f32 v4, v41, v39 :: v_dual_mul_f32 v39, v40, v39
	s_delay_alu instid0(VALU_DEP_1) | instskip(NEXT) | instid1(VALU_DEP_1)
	v_dual_fma_f32 v4, v40, v38, -v4 :: v_dual_fmac_f32 v39, v41, v38
	v_dual_add_f32 v36, v36, v4 :: v_dual_add_f32 v37, v37, v39
	s_or_b32 exec_lo, exec_lo, s67
	s_and_saveexec_b32 s67, s17
	s_cbranch_execz .LBB65_468
.LBB65_1133:                            ;   in Loop: Header=BB65_3 Depth=1
	ds_load_b64 v[38:39], v50 offset:19712
	ds_load_b64 v[40:41], v51 offset:20272
	s_wait_dscnt 0x0
	v_dual_mul_f32 v4, v41, v39 :: v_dual_mul_f32 v39, v40, v39
	s_delay_alu instid0(VALU_DEP_1) | instskip(NEXT) | instid1(VALU_DEP_1)
	v_dual_fma_f32 v4, v40, v38, -v4 :: v_dual_fmac_f32 v39, v41, v38
	v_dual_add_f32 v36, v36, v4 :: v_dual_add_f32 v37, v37, v39
	s_or_b32 exec_lo, exec_lo, s67
	s_and_saveexec_b32 s67, s0
	s_cbranch_execnz .LBB65_469
	s_branch .LBB65_470
.LBB65_1134:                            ;   in Loop: Header=BB65_3 Depth=1
	ds_load_b64 v[38:39], v64 offset:31232
	ds_load_b64 v[40:41], v66 offset:32744
	s_wait_dscnt 0x0
	v_pk_mul_f32 v[94:95], v[40:41], v[38:39] op_sel:[1,1] op_sel_hi:[0,1]
	s_delay_alu instid0(VALU_DEP_1) | instskip(SKIP_1) | instid1(VALU_DEP_2)
	v_pk_fma_f32 v[96:97], v[40:41], v[38:39], v[94:95] op_sel_hi:[1,0,1]
	v_pk_fma_f32 v[38:39], v[40:41], v[38:39], v[94:95] neg_lo:[0,0,1] neg_hi:[0,0,1]
	v_mov_b32_e32 v39, v97
	s_delay_alu instid0(VALU_DEP_1)
	v_pk_add_f32 v[36:37], v[36:37], v[38:39]
	s_or_b32 exec_lo, exec_lo, s67
	s_and_saveexec_b32 s67, s3
	s_cbranch_execz .LBB65_566
.LBB65_1135:                            ;   in Loop: Header=BB65_3 Depth=1
	ds_load_b64 v[38:39], v64 offset:31744
	ds_load_b64 v[40:41], v66 offset:32752
	s_wait_dscnt 0x0
	v_pk_mul_f32 v[94:95], v[40:41], v[38:39] op_sel:[1,1] op_sel_hi:[0,1]
	s_delay_alu instid0(VALU_DEP_1) | instskip(SKIP_1) | instid1(VALU_DEP_2)
	v_pk_fma_f32 v[96:97], v[40:41], v[38:39], v[94:95] op_sel_hi:[1,0,1]
	v_pk_fma_f32 v[38:39], v[40:41], v[38:39], v[94:95] neg_lo:[0,0,1] neg_hi:[0,0,1]
	v_mov_b32_e32 v39, v97
	s_delay_alu instid0(VALU_DEP_1) | instskip(SKIP_2) | instid1(SALU_CYCLE_1)
	v_pk_add_f32 v[36:37], v[36:37], v[38:39]
	s_or_b32 exec_lo, exec_lo, s67
	s_and_saveexec_b32 s67, s21
	s_xor_b32 s67, exec_lo, s67
	s_cbranch_execnz .LBB65_567
	s_branch .LBB65_568
.LBB65_1136:                            ;   in Loop: Header=BB65_3 Depth=1
	ds_load_b64 v[38:39], v50 offset:15040
	ds_load_b64 v[40:41], v51 offset:16104
	s_wait_dscnt 0x0
	v_dual_mul_f32 v4, v41, v39 :: v_dual_mul_f32 v39, v40, v39
	s_delay_alu instid0(VALU_DEP_1) | instskip(NEXT) | instid1(VALU_DEP_1)
	v_dual_fma_f32 v4, v40, v38, -v4 :: v_dual_fmac_f32 v39, v41, v38
	v_dual_add_f32 v36, v36, v4 :: v_dual_add_f32 v37, v37, v39
	s_or_b32 exec_lo, exec_lo, s67
	s_and_saveexec_b32 s67, s17
	s_cbranch_execz .LBB65_604
.LBB65_1137:                            ;   in Loop: Header=BB65_3 Depth=1
	ds_load_b64 v[38:39], v50 offset:15552
	ds_load_b64 v[40:41], v51 offset:16112
	s_wait_dscnt 0x0
	v_dual_mul_f32 v4, v41, v39 :: v_dual_mul_f32 v39, v40, v39
	s_delay_alu instid0(VALU_DEP_1) | instskip(NEXT) | instid1(VALU_DEP_1)
	v_dual_fma_f32 v4, v40, v38, -v4 :: v_dual_fmac_f32 v39, v41, v38
	v_dual_add_f32 v36, v36, v4 :: v_dual_add_f32 v37, v37, v39
	s_or_b32 exec_lo, exec_lo, s67
	s_and_saveexec_b32 s67, s0
	s_cbranch_execnz .LBB65_605
	s_branch .LBB65_606
.LBB65_1138:                            ;   in Loop: Header=BB65_3 Depth=1
	ds_load_b64 v[38:39], v57 offset:12928
	ds_load_b64 v[40:41], v58 offset:16072
	s_wait_dscnt 0x0
	v_dual_mul_f32 v4, v41, v39 :: v_dual_mul_f32 v39, v40, v39
	s_delay_alu instid0(VALU_DEP_1) | instskip(NEXT) | instid1(VALU_DEP_1)
	v_dual_fma_f32 v4, v40, v38, -v4 :: v_dual_fmac_f32 v39, v41, v38
	v_dual_add_f32 v36, v36, v4 :: v_dual_add_f32 v37, v37, v39
	s_or_b32 exec_lo, exec_lo, s67
	s_and_saveexec_b32 s67, s19
	s_cbranch_execz .LBB65_646
.LBB65_1139:                            ;   in Loop: Header=BB65_3 Depth=1
	ds_load_b64 v[38:39], v57 offset:13440
	ds_load_b64 v[40:41], v58 offset:16080
	s_wait_dscnt 0x0
	v_dual_mul_f32 v4, v41, v39 :: v_dual_mul_f32 v39, v40, v39
	s_delay_alu instid0(VALU_DEP_1) | instskip(NEXT) | instid1(VALU_DEP_1)
	v_dual_fma_f32 v4, v40, v38, -v4 :: v_dual_fmac_f32 v39, v41, v38
	v_dual_add_f32 v36, v36, v4 :: v_dual_add_f32 v37, v37, v39
	s_or_b32 exec_lo, exec_lo, s67
	s_and_saveexec_b32 s67, s20
	s_cbranch_execz .LBB65_647
.LBB65_1140:                            ;   in Loop: Header=BB65_3 Depth=1
	ds_load_b64 v[38:39], v57 offset:13952
	ds_load_b64 v[40:41], v58 offset:16088
	s_wait_dscnt 0x0
	v_dual_mul_f32 v4, v41, v39 :: v_dual_mul_f32 v39, v40, v39
	s_delay_alu instid0(VALU_DEP_1) | instskip(NEXT) | instid1(VALU_DEP_1)
	v_dual_fma_f32 v4, v40, v38, -v4 :: v_dual_fmac_f32 v39, v41, v38
	v_dual_add_f32 v36, v36, v4 :: v_dual_add_f32 v37, v37, v39
	s_or_b32 exec_lo, exec_lo, s67
	s_and_saveexec_b32 s67, s21
	s_cbranch_execz .LBB65_648
.LBB65_1141:                            ;   in Loop: Header=BB65_3 Depth=1
	ds_load_b64 v[38:39], v57 offset:14464
	ds_load_b64 v[40:41], v58 offset:16096
	s_wait_dscnt 0x0
	v_dual_mul_f32 v4, v41, v39 :: v_dual_mul_f32 v39, v40, v39
	s_delay_alu instid0(VALU_DEP_1) | instskip(NEXT) | instid1(VALU_DEP_1)
	v_dual_fma_f32 v4, v40, v38, -v4 :: v_dual_fmac_f32 v39, v41, v38
	v_dual_add_f32 v36, v36, v4 :: v_dual_add_f32 v37, v37, v39
	s_or_b32 exec_lo, exec_lo, s67
	s_and_saveexec_b32 s67, s22
	s_cbranch_execz .LBB65_649
.LBB65_1142:                            ;   in Loop: Header=BB65_3 Depth=1
	ds_load_b64 v[38:39], v57 offset:14976
	ds_load_b64 v[40:41], v58 offset:16104
	s_wait_dscnt 0x0
	v_dual_mul_f32 v4, v41, v39 :: v_dual_mul_f32 v39, v40, v39
	s_delay_alu instid0(VALU_DEP_1) | instskip(NEXT) | instid1(VALU_DEP_1)
	v_dual_fma_f32 v4, v40, v38, -v4 :: v_dual_fmac_f32 v39, v41, v38
	v_dual_add_f32 v36, v36, v4 :: v_dual_add_f32 v37, v37, v39
	s_or_b32 exec_lo, exec_lo, s67
	s_and_saveexec_b32 s67, s2
	s_cbranch_execz .LBB65_650
.LBB65_1143:                            ;   in Loop: Header=BB65_3 Depth=1
	ds_load_b64 v[38:39], v57 offset:15488
	ds_load_b64 v[40:41], v58 offset:16112
	s_wait_dscnt 0x0
	v_dual_mul_f32 v4, v41, v39 :: v_dual_mul_f32 v39, v40, v39
	s_delay_alu instid0(VALU_DEP_1) | instskip(NEXT) | instid1(VALU_DEP_1)
	v_dual_fma_f32 v4, v40, v38, -v4 :: v_dual_fmac_f32 v39, v41, v38
	v_dual_add_f32 v36, v36, v4 :: v_dual_add_f32 v37, v37, v39
	s_or_b32 exec_lo, exec_lo, s67
	s_and_saveexec_b32 s67, s17
	s_cbranch_execnz .LBB65_651
	s_branch .LBB65_652
.LBB65_1144:                            ;   in Loop: Header=BB65_3 Depth=1
	ds_load_b64 v[38:39], v50 offset:10880
	ds_load_b64 v[40:41], v51 offset:11944
	s_wait_dscnt 0x0
	v_dual_mul_f32 v4, v41, v39 :: v_dual_mul_f32 v39, v40, v39
	s_delay_alu instid0(VALU_DEP_1) | instskip(NEXT) | instid1(VALU_DEP_1)
	v_dual_fma_f32 v4, v40, v38, -v4 :: v_dual_fmac_f32 v39, v41, v38
	v_dual_add_f32 v36, v36, v4 :: v_dual_add_f32 v37, v37, v39
	s_or_b32 exec_lo, exec_lo, s67
	s_and_saveexec_b32 s67, s17
	s_cbranch_execz .LBB65_708
.LBB65_1145:                            ;   in Loop: Header=BB65_3 Depth=1
	ds_load_b64 v[38:39], v50 offset:11392
	ds_load_b64 v[40:41], v51 offset:11952
	s_wait_dscnt 0x0
	v_dual_mul_f32 v4, v41, v39 :: v_dual_mul_f32 v39, v40, v39
	s_delay_alu instid0(VALU_DEP_1) | instskip(NEXT) | instid1(VALU_DEP_1)
	v_dual_fma_f32 v4, v40, v38, -v4 :: v_dual_fmac_f32 v39, v41, v38
	v_dual_add_f32 v36, v36, v4 :: v_dual_add_f32 v37, v37, v39
	s_or_b32 exec_lo, exec_lo, s67
	s_and_saveexec_b32 s67, s0
	s_cbranch_execnz .LBB65_709
	s_branch .LBB65_710
.LBB65_1146:                            ;   in Loop: Header=BB65_3 Depth=1
	ds_load_b64 v[38:39], v61 offset:13824
	ds_load_b64 v[40:41], v62 offset:16088
	s_wait_dscnt 0x0
	v_dual_mul_f32 v4, v41, v39 :: v_dual_mul_f32 v39, v40, v39
	s_delay_alu instid0(VALU_DEP_1) | instskip(NEXT) | instid1(VALU_DEP_1)
	v_dual_fma_f32 v4, v40, v38, -v4 :: v_dual_fmac_f32 v39, v41, v38
	v_dual_add_f32 v36, v36, v4 :: v_dual_add_f32 v37, v37, v39
	s_or_b32 exec_lo, exec_lo, s67
	s_and_saveexec_b32 s67, s3
	s_cbranch_execz .LBB65_770
.LBB65_1147:                            ;   in Loop: Header=BB65_3 Depth=1
	ds_load_b64 v[38:39], v61 offset:14336
	ds_load_b64 v[40:41], v62 offset:16096
	s_wait_dscnt 0x0
	v_dual_mul_f32 v4, v41, v39 :: v_dual_mul_f32 v39, v40, v39
	s_delay_alu instid0(VALU_DEP_1) | instskip(NEXT) | instid1(VALU_DEP_1)
	v_dual_fma_f32 v4, v40, v38, -v4 :: v_dual_fmac_f32 v39, v41, v38
	v_dual_add_f32 v36, v36, v4 :: v_dual_add_f32 v37, v37, v39
	s_or_b32 exec_lo, exec_lo, s67
	s_and_saveexec_b32 s67, s19
	s_cbranch_execz .LBB65_771
.LBB65_1148:                            ;   in Loop: Header=BB65_3 Depth=1
	ds_load_b64 v[38:39], v61 offset:14848
	ds_load_b64 v[40:41], v62 offset:16104
	s_wait_dscnt 0x0
	v_dual_mul_f32 v4, v41, v39 :: v_dual_mul_f32 v39, v40, v39
	s_delay_alu instid0(VALU_DEP_1) | instskip(NEXT) | instid1(VALU_DEP_1)
	v_dual_fma_f32 v4, v40, v38, -v4 :: v_dual_fmac_f32 v39, v41, v38
	v_dual_add_f32 v36, v36, v4 :: v_dual_add_f32 v37, v37, v39
	s_or_b32 exec_lo, exec_lo, s67
	s_and_saveexec_b32 s67, s21
	s_cbranch_execz .LBB65_772
.LBB65_1149:                            ;   in Loop: Header=BB65_3 Depth=1
	ds_load_b64 v[38:39], v61 offset:15360
	ds_load_b64 v[40:41], v62 offset:16112
	s_wait_dscnt 0x0
	v_dual_mul_f32 v4, v41, v39 :: v_dual_mul_f32 v39, v40, v39
	s_delay_alu instid0(VALU_DEP_1) | instskip(NEXT) | instid1(VALU_DEP_1)
	v_dual_fma_f32 v4, v40, v38, -v4 :: v_dual_fmac_f32 v39, v41, v38
	v_dual_add_f32 v36, v36, v4 :: v_dual_add_f32 v37, v37, v39
	s_or_b32 exec_lo, exec_lo, s67
	s_and_saveexec_b32 s67, s2
	s_cbranch_execnz .LBB65_773
	s_branch .LBB65_774
.LBB65_1150:                            ;   in Loop: Header=BB65_3 Depth=1
	ds_load_b64 v[38:39], v50 offset:6720
	ds_load_b64 v[40:41], v51 offset:7784
	s_wait_dscnt 0x0
	v_dual_mul_f32 v4, v41, v39 :: v_dual_mul_f32 v39, v40, v39
	s_delay_alu instid0(VALU_DEP_1) | instskip(NEXT) | instid1(VALU_DEP_1)
	v_dual_fma_f32 v4, v40, v38, -v4 :: v_dual_fmac_f32 v39, v41, v38
	v_dual_add_f32 v36, v36, v4 :: v_dual_add_f32 v37, v37, v39
	s_or_b32 exec_lo, exec_lo, s67
	s_and_saveexec_b32 s67, s17
	s_cbranch_execz .LBB65_862
.LBB65_1151:                            ;   in Loop: Header=BB65_3 Depth=1
	ds_load_b64 v[38:39], v50 offset:7232
	ds_load_b64 v[40:41], v51 offset:7792
	s_wait_dscnt 0x0
	v_dual_mul_f32 v4, v41, v39 :: v_dual_mul_f32 v39, v40, v39
	s_delay_alu instid0(VALU_DEP_1) | instskip(NEXT) | instid1(VALU_DEP_1)
	v_dual_fma_f32 v4, v40, v38, -v4 :: v_dual_fmac_f32 v39, v41, v38
	v_dual_add_f32 v36, v36, v4 :: v_dual_add_f32 v37, v37, v39
	s_or_b32 exec_lo, exec_lo, s67
	s_and_saveexec_b32 s67, s0
	s_cbranch_execnz .LBB65_863
	s_branch .LBB65_864
.LBB65_1152:                            ;   in Loop: Header=BB65_3 Depth=1
	ds_load_b64 v[38:39], v57 offset:4608
	ds_load_b64 v[40:41], v58 offset:7752
	s_wait_dscnt 0x0
	v_dual_mul_f32 v4, v41, v39 :: v_dual_mul_f32 v39, v40, v39
	s_delay_alu instid0(VALU_DEP_1) | instskip(NEXT) | instid1(VALU_DEP_1)
	v_dual_fma_f32 v4, v40, v38, -v4 :: v_dual_fmac_f32 v39, v41, v38
	v_dual_add_f32 v36, v36, v4 :: v_dual_add_f32 v37, v37, v39
	s_or_b32 exec_lo, exec_lo, s67
	s_and_saveexec_b32 s67, s19
	s_cbranch_execz .LBB65_904
.LBB65_1153:                            ;   in Loop: Header=BB65_3 Depth=1
	ds_load_b64 v[38:39], v57 offset:5120
	ds_load_b64 v[40:41], v58 offset:7760
	s_wait_dscnt 0x0
	v_dual_mul_f32 v4, v41, v39 :: v_dual_mul_f32 v39, v40, v39
	s_delay_alu instid0(VALU_DEP_1) | instskip(NEXT) | instid1(VALU_DEP_1)
	v_dual_fma_f32 v4, v40, v38, -v4 :: v_dual_fmac_f32 v39, v41, v38
	v_dual_add_f32 v36, v36, v4 :: v_dual_add_f32 v37, v37, v39
	s_or_b32 exec_lo, exec_lo, s67
	s_and_saveexec_b32 s67, s20
	s_cbranch_execz .LBB65_905
.LBB65_1154:                            ;   in Loop: Header=BB65_3 Depth=1
	ds_load_b64 v[38:39], v57 offset:5632
	ds_load_b64 v[40:41], v58 offset:7768
	s_wait_dscnt 0x0
	v_dual_mul_f32 v4, v41, v39 :: v_dual_mul_f32 v39, v40, v39
	s_delay_alu instid0(VALU_DEP_1) | instskip(NEXT) | instid1(VALU_DEP_1)
	v_dual_fma_f32 v4, v40, v38, -v4 :: v_dual_fmac_f32 v39, v41, v38
	v_dual_add_f32 v36, v36, v4 :: v_dual_add_f32 v37, v37, v39
	s_or_b32 exec_lo, exec_lo, s67
	s_and_saveexec_b32 s67, s21
	s_cbranch_execz .LBB65_906
.LBB65_1155:                            ;   in Loop: Header=BB65_3 Depth=1
	ds_load_b64 v[38:39], v57 offset:6144
	ds_load_b64 v[40:41], v58 offset:7776
	s_wait_dscnt 0x0
	v_dual_mul_f32 v4, v41, v39 :: v_dual_mul_f32 v39, v40, v39
	s_delay_alu instid0(VALU_DEP_1) | instskip(NEXT) | instid1(VALU_DEP_1)
	v_dual_fma_f32 v4, v40, v38, -v4 :: v_dual_fmac_f32 v39, v41, v38
	v_dual_add_f32 v36, v36, v4 :: v_dual_add_f32 v37, v37, v39
	s_or_b32 exec_lo, exec_lo, s67
	s_and_saveexec_b32 s67, s22
	s_cbranch_execz .LBB65_907
.LBB65_1156:                            ;   in Loop: Header=BB65_3 Depth=1
	ds_load_b64 v[38:39], v57 offset:6656
	ds_load_b64 v[40:41], v58 offset:7784
	s_wait_dscnt 0x0
	v_dual_mul_f32 v4, v41, v39 :: v_dual_mul_f32 v39, v40, v39
	s_delay_alu instid0(VALU_DEP_1) | instskip(NEXT) | instid1(VALU_DEP_1)
	v_dual_fma_f32 v4, v40, v38, -v4 :: v_dual_fmac_f32 v39, v41, v38
	v_dual_add_f32 v36, v36, v4 :: v_dual_add_f32 v37, v37, v39
	s_or_b32 exec_lo, exec_lo, s67
	s_and_saveexec_b32 s67, s2
	s_cbranch_execz .LBB65_908
.LBB65_1157:                            ;   in Loop: Header=BB65_3 Depth=1
	ds_load_b64 v[38:39], v57 offset:7168
	ds_load_b64 v[40:41], v58 offset:7792
	s_wait_dscnt 0x0
	v_dual_mul_f32 v4, v41, v39 :: v_dual_mul_f32 v39, v40, v39
	s_delay_alu instid0(VALU_DEP_1) | instskip(NEXT) | instid1(VALU_DEP_1)
	v_dual_fma_f32 v4, v40, v38, -v4 :: v_dual_fmac_f32 v39, v41, v38
	v_dual_add_f32 v36, v36, v4 :: v_dual_add_f32 v37, v37, v39
	s_or_b32 exec_lo, exec_lo, s67
	s_and_saveexec_b32 s67, s17
	s_cbranch_execnz .LBB65_909
	s_branch .LBB65_910
.LBB65_1158:                            ;   in Loop: Header=BB65_3 Depth=1
	ds_load_b64 v[38:39], v50 offset:2560
	ds_load_b64 v[40:41], v51 offset:3624
	s_wait_dscnt 0x0
	v_dual_mul_f32 v4, v41, v39 :: v_dual_mul_f32 v39, v40, v39
	s_delay_alu instid0(VALU_DEP_1) | instskip(NEXT) | instid1(VALU_DEP_1)
	v_dual_fma_f32 v4, v40, v38, -v4 :: v_dual_fmac_f32 v39, v41, v38
	v_dual_add_f32 v36, v36, v4 :: v_dual_add_f32 v37, v37, v39
	s_or_b32 exec_lo, exec_lo, s67
	s_and_saveexec_b32 s67, s17
	s_cbranch_execz .LBB65_966
.LBB65_1159:                            ;   in Loop: Header=BB65_3 Depth=1
	ds_load_b64 v[38:39], v50 offset:3072
	ds_load_b64 v[40:41], v51 offset:3632
	s_wait_dscnt 0x0
	v_dual_mul_f32 v4, v41, v39 :: v_dual_mul_f32 v39, v40, v39
	s_delay_alu instid0(VALU_DEP_1) | instskip(NEXT) | instid1(VALU_DEP_1)
	v_dual_fma_f32 v4, v40, v38, -v4 :: v_dual_fmac_f32 v39, v41, v38
	v_dual_add_f32 v36, v36, v4 :: v_dual_add_f32 v37, v37, v39
	s_or_b32 exec_lo, exec_lo, s67
	s_and_saveexec_b32 s67, s0
	s_cbranch_execnz .LBB65_967
	s_branch .LBB65_968
.LBB65_1160:
	s_endpgm
	.section	.rodata,"a",@progbits
	.p2align	6, 0x0
	.amdhsa_kernel _ZL19rocblas_trsv_deviceILi64ELi16ELb0ELb1ELb0ELb0E19rocblas_complex_numIfES1_PKS1_PS1_EviT7_lllT6_T8_lllPii
		.amdhsa_group_segment_fixed_size 41480
		.amdhsa_private_segment_fixed_size 48
		.amdhsa_kernarg_size 352
		.amdhsa_user_sgpr_count 2
		.amdhsa_user_sgpr_dispatch_ptr 0
		.amdhsa_user_sgpr_queue_ptr 0
		.amdhsa_user_sgpr_kernarg_segment_ptr 1
		.amdhsa_user_sgpr_dispatch_id 0
		.amdhsa_user_sgpr_kernarg_preload_length 0
		.amdhsa_user_sgpr_kernarg_preload_offset 0
		.amdhsa_user_sgpr_private_segment_size 0
		.amdhsa_wavefront_size32 1
		.amdhsa_uses_dynamic_stack 0
		.amdhsa_enable_private_segment 1
		.amdhsa_system_sgpr_workgroup_id_x 1
		.amdhsa_system_sgpr_workgroup_id_y 0
		.amdhsa_system_sgpr_workgroup_id_z 1
		.amdhsa_system_sgpr_workgroup_info 0
		.amdhsa_system_vgpr_workitem_id 1
		.amdhsa_next_free_vgpr 105
		.amdhsa_next_free_sgpr 105
		.amdhsa_named_barrier_count 0
		.amdhsa_reserve_vcc 1
		.amdhsa_float_round_mode_32 0
		.amdhsa_float_round_mode_16_64 0
		.amdhsa_float_denorm_mode_32 3
		.amdhsa_float_denorm_mode_16_64 3
		.amdhsa_fp16_overflow 0
		.amdhsa_memory_ordered 1
		.amdhsa_forward_progress 1
		.amdhsa_inst_pref_size 255
		.amdhsa_round_robin_scheduling 0
		.amdhsa_exception_fp_ieee_invalid_op 0
		.amdhsa_exception_fp_denorm_src 0
		.amdhsa_exception_fp_ieee_div_zero 0
		.amdhsa_exception_fp_ieee_overflow 0
		.amdhsa_exception_fp_ieee_underflow 0
		.amdhsa_exception_fp_ieee_inexact 0
		.amdhsa_exception_int_div_zero 0
	.end_amdhsa_kernel
	.section	.text._ZL19rocblas_trsv_deviceILi64ELi16ELb0ELb1ELb0ELb0E19rocblas_complex_numIfES1_PKS1_PS1_EviT7_lllT6_T8_lllPii,"axG",@progbits,_ZL19rocblas_trsv_deviceILi64ELi16ELb0ELb1ELb0ELb0E19rocblas_complex_numIfES1_PKS1_PS1_EviT7_lllT6_T8_lllPii,comdat
.Lfunc_end65:
	.size	_ZL19rocblas_trsv_deviceILi64ELi16ELb0ELb1ELb0ELb0E19rocblas_complex_numIfES1_PKS1_PS1_EviT7_lllT6_T8_lllPii, .Lfunc_end65-_ZL19rocblas_trsv_deviceILi64ELi16ELb0ELb1ELb0ELb0E19rocblas_complex_numIfES1_PKS1_PS1_EviT7_lllT6_T8_lllPii
                                        ; -- End function
	.set _ZL19rocblas_trsv_deviceILi64ELi16ELb0ELb1ELb0ELb0E19rocblas_complex_numIfES1_PKS1_PS1_EviT7_lllT6_T8_lllPii.num_vgpr, 105
	.set _ZL19rocblas_trsv_deviceILi64ELi16ELb0ELb1ELb0ELb0E19rocblas_complex_numIfES1_PKS1_PS1_EviT7_lllT6_T8_lllPii.num_agpr, 0
	.set _ZL19rocblas_trsv_deviceILi64ELi16ELb0ELb1ELb0ELb0E19rocblas_complex_numIfES1_PKS1_PS1_EviT7_lllT6_T8_lllPii.numbered_sgpr, 105
	.set _ZL19rocblas_trsv_deviceILi64ELi16ELb0ELb1ELb0ELb0E19rocblas_complex_numIfES1_PKS1_PS1_EviT7_lllT6_T8_lllPii.num_named_barrier, 0
	.set _ZL19rocblas_trsv_deviceILi64ELi16ELb0ELb1ELb0ELb0E19rocblas_complex_numIfES1_PKS1_PS1_EviT7_lllT6_T8_lllPii.private_seg_size, 48
	.set _ZL19rocblas_trsv_deviceILi64ELi16ELb0ELb1ELb0ELb0E19rocblas_complex_numIfES1_PKS1_PS1_EviT7_lllT6_T8_lllPii.uses_vcc, 1
	.set _ZL19rocblas_trsv_deviceILi64ELi16ELb0ELb1ELb0ELb0E19rocblas_complex_numIfES1_PKS1_PS1_EviT7_lllT6_T8_lllPii.uses_flat_scratch, 0
	.set _ZL19rocblas_trsv_deviceILi64ELi16ELb0ELb1ELb0ELb0E19rocblas_complex_numIfES1_PKS1_PS1_EviT7_lllT6_T8_lllPii.has_dyn_sized_stack, 0
	.set _ZL19rocblas_trsv_deviceILi64ELi16ELb0ELb1ELb0ELb0E19rocblas_complex_numIfES1_PKS1_PS1_EviT7_lllT6_T8_lllPii.has_recursion, 0
	.set _ZL19rocblas_trsv_deviceILi64ELi16ELb0ELb1ELb0ELb0E19rocblas_complex_numIfES1_PKS1_PS1_EviT7_lllT6_T8_lllPii.has_indirect_call, 0
	.section	.AMDGPU.csdata,"",@progbits
; Kernel info:
; codeLenInByte = 54440
; TotalNumSgprs: 107
; NumVgprs: 105
; ScratchSize: 48
; MemoryBound: 0
; FloatMode: 240
; IeeeMode: 1
; LDSByteSize: 41480 bytes/workgroup (compile time only)
; SGPRBlocks: 0
; VGPRBlocks: 6
; NumSGPRsForWavesPerEU: 107
; NumVGPRsForWavesPerEU: 105
; NamedBarCnt: 0
; Occupancy: 9
; WaveLimiterHint : 0
; COMPUTE_PGM_RSRC2:SCRATCH_EN: 1
; COMPUTE_PGM_RSRC2:USER_SGPR: 2
; COMPUTE_PGM_RSRC2:TRAP_HANDLER: 0
; COMPUTE_PGM_RSRC2:TGID_X_EN: 1
; COMPUTE_PGM_RSRC2:TGID_Y_EN: 0
; COMPUTE_PGM_RSRC2:TGID_Z_EN: 1
; COMPUTE_PGM_RSRC2:TIDIG_COMP_CNT: 1
	.section	.text._ZL19rocblas_trsv_deviceILi64ELi16ELb0ELb1ELb1ELb0E19rocblas_complex_numIfES1_PKS1_PS1_EviT7_lllT6_T8_lllPii,"axG",@progbits,_ZL19rocblas_trsv_deviceILi64ELi16ELb0ELb1ELb1ELb0E19rocblas_complex_numIfES1_PKS1_PS1_EviT7_lllT6_T8_lllPii,comdat
	.globl	_ZL19rocblas_trsv_deviceILi64ELi16ELb0ELb1ELb1ELb0E19rocblas_complex_numIfES1_PKS1_PS1_EviT7_lllT6_T8_lllPii ; -- Begin function _ZL19rocblas_trsv_deviceILi64ELi16ELb0ELb1ELb1ELb0E19rocblas_complex_numIfES1_PKS1_PS1_EviT7_lllT6_T8_lllPii
	.p2align	8
	.type	_ZL19rocblas_trsv_deviceILi64ELi16ELb0ELb1ELb1ELb0E19rocblas_complex_numIfES1_PKS1_PS1_EviT7_lllT6_T8_lllPii,@function
_ZL19rocblas_trsv_deviceILi64ELi16ELb0ELb1ELb1ELb0E19rocblas_complex_numIfES1_PKS1_PS1_EviT7_lllT6_T8_lllPii: ; @_ZL19rocblas_trsv_deviceILi64ELi16ELb0ELb1ELb1ELb0E19rocblas_complex_numIfES1_PKS1_PS1_EviT7_lllT6_T8_lllPii
; %bb.0:
	s_load_b32 s88, s[0:1], 0x58
	s_bfe_u32 s2, ttmp6, 0x40014
	s_lshr_b32 s3, ttmp7, 16
	s_add_co_i32 s2, s2, 1
	s_bfe_u32 s5, ttmp6, 0x40008
	s_mul_i32 s4, s3, s2
	s_getreg_b32 s2, hwreg(HW_REG_IB_STS2, 6, 4)
	s_add_co_i32 s5, s5, s4
	s_cmp_eq_u32 s2, 0
	s_mov_b32 s77, 0
	s_cselect_b32 s76, s3, s5
	s_wait_kmcnt 0x0
	s_cmp_ge_u32 s76, s88
	s_cbranch_scc1 .LBB66_1174
; %bb.1:
	s_clause 0x5
	s_load_b256 s[60:67], s[0:1], 0x8
	s_load_b256 s[68:75], s[0:1], 0x30
	s_load_b32 s3, s[0:1], 0x6c
	s_load_b32 s89, s[0:1], 0x0
	s_load_b64 s[78:79], s[0:1], 0x50
	s_load_b64 s[16:17], s[0:1], 0x28
	s_wait_xcnt 0x0
	s_bfe_u32 s1, ttmp6, 0x4000c
	s_and_b32 s0, ttmp6, 15
	s_add_co_i32 s1, s1, 1
                                        ; implicit-def: $vgpr104 : SGPR spill to VGPR lane
	v_bfe_u32 v43, v0, 10, 10
	s_mul_i32 s1, ttmp9, s1
	v_and_b32_e32 v2, 0x3ff, v0
	s_add_co_i32 s6, s0, s1
	s_delay_alu instid0(VALU_DEP_2) | instskip(SKIP_1) | instid1(VALU_DEP_3)
	v_dual_add_nc_u32 v26, 32, v43 :: v_dual_bitop2_b32 v18, 15, v0 bitop3:0x40
	v_add_nc_u32_e32 v28, 48, v43
	v_lshl_add_u32 v27, v43, 6, v2
	v_mul_i32_i24_e32 v53, 0xfffffe08, v2
                                        ; implicit-def: $vgpr103 : SGPR spill to VGPR lane
                                        ; implicit-def: $vgpr102 : SGPR spill to VGPR lane
	v_dual_lshlrev_b32 v1, 6, v2 :: v_dual_add_nc_u32 v23, 16, v43
	s_wait_kmcnt 0x0
	s_lshl_b64 s[0:1], s[62:63], 3
	s_lshl_b64 s[4:5], s[70:71], 3
	s_cmp_eq_u32 s2, 0
	s_add_nc_u64 s[0:1], s[60:61], s[0:1]
	s_cselect_b32 s90, ttmp9, s6
	s_and_b32 s2, s3, 0xffff
	s_add_co_i32 s3, s89, -1
	s_ashr_i32 s6, s89, 31
	s_ashr_i32 s7, s3, 31
	s_lshr_b32 s6, s6, 26
	s_lshr_b32 s7, s7, 26
	s_add_co_i32 s6, s89, s6
	s_add_co_i32 s3, s3, s7
	s_and_not1_b32 s6, s6, 63
	s_ashr_i32 s3, s3, 6
	s_sub_co_i32 s9, s89, s6
	v_writelane_b32 v104, s0, 0
	s_cmp_eq_u32 s3, s90
	s_add_nc_u64 s[4:5], s[68:69], s[4:5]
	s_cselect_b32 s3, -1, 0
	s_cmp_lg_u32 s9, 0
	v_writelane_b32 v104, s1, 1
	s_cselect_b32 s0, -1, 0
	s_lshl_b32 s10, s90, 6
	s_delay_alu instid0(SALU_CYCLE_1) | instskip(SKIP_2) | instid1(VALU_DEP_3)
	v_dual_mov_b32 v5, 0 :: v_dual_add_nc_u32 v22, s10, v43
	v_writelane_b32 v104, s4, 2
	v_sub_co_u32 v44, s1, s90, 1
	v_dual_mov_b32 v7, v5 :: v_dual_mov_b32 v3, v5
	s_delay_alu instid0(VALU_DEP_4)
	v_subrev_nc_u32_e32 v8, 64, v22
	v_add_nc_u32_e32 v12, s10, v2
	v_writelane_b32 v104, s5, 3
	s_and_b32 s14, s0, s3
	s_xor_b32 s0, s1, -1
	v_ashrrev_i32_e32 v9, 31, v8
	v_ashrrev_i32_e32 v13, 31, v12
	v_writelane_b32 v104, s0, 4
	s_add_nc_u64 s[0:1], s[64:65], 1
	s_xor_b32 s92, s14, -1
	v_mad_nc_u64_u32 v[20:21], s0, s10, v[2:3]
	v_add_nc_u32_e32 v3, v43, v1
	s_cmp_lt_i32 s90, 5
	v_add_nc_u32_e32 v4, v23, v1
	v_lshl_add_u32 v14, v23, 6, v2
	s_cselect_b32 vcc_lo, -1, 0
	s_ashr_i32 s11, s10, 31
	v_cndmask_b32_e32 v24, v27, v3, vcc_lo
	s_or_b32 vcc_lo, vcc_lo, s14
	s_delay_alu instid0(SALU_CYCLE_1) | instskip(SKIP_2) | instid1(VALU_DEP_2)
	v_dual_lshrrev_b32 v3, 1, v27 :: v_dual_cndmask_b32 v25, v14, v4, vcc_lo
	v_dual_lshrrev_b32 v4, 10, v0 :: v_dual_bitop2_b32 v14, 1, v0 bitop3:0x40
	s_mul_i32 s0, s0, s11
	v_lshlrev_b32_e32 v15, 9, v3
	s_mul_i32 s1, s1, s10
	v_mad_u32_u24 v6, v43, s2, v2
	v_lshlrev_b32_e32 v45, 3, v14
	v_add3_u32 v21, s0, s1, v21
	v_cmp_gt_u32_e64 s0, 4, v27
	v_dual_sub_nc_u32 v46, 0, v15 :: v_dual_lshlrev_b32 v47, 3, v2
	v_cmp_eq_u32_e64 s2, 1, v14
	v_cmp_eq_u32_e64 s3, 0, v14
	v_dual_sub_nc_u32 v48, v45, v15 :: v_dual_bitop2_b32 v15, 3, v0 bitop3:0x40
	v_bitop3_b32 v29, v0, v4, 0x3ff bitop3:0xa8
	v_cmp_eq_u32_e64 s1, 0, v43
	v_cmp_gt_u32_e64 s4, 2, v2
	s_and_b32 s94, s2, s0
	s_and_b32 s95, s3, s0
	v_lshrrev_b32_e32 v4, 2, v27
	v_cmp_gt_u32_e64 s2, 16, v27
	v_cmp_eq_u32_e64 s3, 3, v15
	s_and_b32 s96, s1, s4
	v_dual_lshlrev_b32 v51, 3, v15 :: v_dual_lshlrev_b32 v16, 9, v4
	v_cmp_ne_u32_e64 s4, 3, v15
	s_and_b32 s97, s3, s2
	v_cmp_eq_u32_e64 s3, 2, v15
	v_cmp_gt_u32_e64 s5, 2, v15
	v_sub_nc_u32_e32 v52, 0, v16
	s_and_b32 s98, s4, s2
	v_cmp_eq_u32_e64 s4, 1, v15
	v_cmp_eq_u32_e64 s6, 0, v15
	s_and_b32 s99, s3, s2
	v_cmp_gt_u32_e64 s3, 4, v2
	v_dual_sub_nc_u32 v55, v51, v16 :: v_dual_lshlrev_b32 v15, 6, v27
	v_and_b32_e32 v16, 7, v0
	s_and_b32 s100, s5, s2
	s_and_b32 s101, s4, s2
	;; [unrolled: 1-line block ×3, first 2 shown]
	v_cmp_gt_u32_e64 s3, 64, v27
	v_cmp_eq_u32_e64 s4, 7, v16
	v_cmp_ne_u32_e64 s5, 7, v16
	s_and_b32 s102, s6, s2
	v_cmp_eq_u32_e64 s6, 6, v16
	v_lshl_add_u32 v50, v4, 3, 0x8000
	s_and_b32 s104, s4, s3
	v_cmp_gt_u32_e64 s4, 6, v16
	s_and_b32 vcc_hi, s5, s3
	v_cmp_eq_u32_e64 s5, 5, v16
	v_and_b32_e32 v4, -8, v27
	s_and_b32 s38, s6, s3
	s_and_b32 s39, s4, s3
	v_cmp_eq_u32_e64 s4, 4, v16
	s_and_b32 s40, s5, s3
	v_cmp_eq_u32_e64 s5, 3, v16
	v_cmp_gt_u32_e64 s6, 5, v16
	v_cmp_gt_u32_e64 s7, 4, v16
	s_and_b32 s42, s4, s3
	v_cmp_gt_u32_e64 s4, 3, v16
	s_and_b32 s44, s5, s3
	v_cmp_gt_u32_e64 s5, 2, v16
	v_lshlrev_b32_e32 v58, 3, v16
	s_and_b32 s41, s6, s3
	s_and_b32 s43, s7, s3
	v_cmp_eq_u32_e64 s6, 2, v16
	v_cmp_eq_u32_e64 s7, 1, v16
	s_and_b32 s45, s4, s3
	v_cmp_eq_u32_e64 s4, 0, v16
	s_and_b32 s47, s5, s3
	v_cmp_gt_u32_e64 s5, 8, v2
	v_add_nc_u64_e32 v[16:17], s[10:11], v[6:7]
	v_dual_add_nc_u32 v0, v26, v1 :: v_dual_bitop2_b32 v7, 31, v0 bitop3:0x40
	v_add_nc_u32_e32 v1, v28, v1
	v_lshl_add_u32 v30, v28, 6, v2
	v_add_nc_u32_e32 v57, 0x8000, v4
	v_and_b32_e32 v4, 0xfffffe00, v15
	v_lshrrev_b32_e32 v15, 4, v27
	s_and_b32 s49, s4, s3
	s_and_b32 s50, s1, s5
	v_cmp_gt_u32_e64 s4, 0x100, v27
	s_and_b32 s46, s6, s3
	v_lshl_add_u32 v61, v15, 3, 0x8000
	v_lshlrev_b32_e32 v15, 9, v15
	v_cmp_eq_u32_e64 s5, 15, v18
	v_cmp_ne_u32_e64 s6, 15, v18
	s_and_b32 s48, s7, s3
	v_cmp_eq_u32_e64 s7, 14, v18
	v_cmp_gt_u32_e64 s8, 14, v18
	s_and_b32 s5, s5, s4
	s_and_b32 s52, s6, s4
	v_writelane_b32 v104, s5, 5
	v_cmp_eq_u32_e64 s5, 13, v18
	v_cmp_gt_u32_e64 s6, 13, v18
	s_and_b32 s53, s7, s4
	s_and_b32 s54, s8, s4
	v_cmp_eq_u32_e64 s7, 12, v18
	s_and_b32 s55, s5, s4
	v_cmp_gt_u32_e64 s5, 12, v18
	s_and_b32 s56, s6, s4
	v_cmp_gt_u32_e64 s6, 11, v18
	v_cmp_eq_u32_e64 s8, 11, v18
	s_and_b32 s57, s7, s4
	s_and_b32 s58, s5, s4
	v_cmp_eq_u32_e64 s5, 10, v18
	s_and_b32 s60, s6, s4
	v_cmp_eq_u32_e64 s6, 9, v18
	s_and_b32 s59, s8, s4
	v_cmp_gt_u32_e64 s7, 10, v18
	s_and_b32 s61, s5, s4
	v_cmp_eq_u32_e64 s5, 8, v18
	s_and_b32 s63, s6, s4
	v_cmp_gt_u32_e64 s6, 8, v18
	v_cmp_gt_u32_e64 s8, 9, v18
	s_and_b32 s62, s7, s4
	s_and_b32 s13, s5, s4
	v_cmp_gt_u32_e64 s5, 7, v18
	s_and_b32 s23, s6, s4
	v_cmp_gt_u32_e64 s6, 6, v18
	s_and_b32 s12, s8, s4
	v_cmp_eq_u32_e64 s7, 7, v18
	s_and_b32 s27, s5, s4
	v_cmp_eq_u32_e64 s5, 5, v18
	v_cmp_eq_u32_e64 s8, 6, v18
	s_and_b32 s31, s6, s4
	v_cmp_eq_u32_e64 s6, 4, v18
	s_and_b32 s25, s7, s4
	s_and_b32 s34, s5, s4
	v_cmp_eq_u32_e64 s5, 3, v18
	s_and_b32 s29, s8, s4
	v_cmp_gt_u32_e64 s7, 5, v18
	v_cmp_gt_u32_e64 s8, 4, v18
	s_and_b32 s83, s6, s4
	v_cmp_gt_u32_e64 s6, 3, v18
	s_and_b32 s81, s5, s4
	v_cmp_gt_u32_e64 s5, 2, v18
	v_dual_sub_nc_u32 v59, 0, v4 :: v_dual_sub_nc_u32 v60, v58, v4
	v_dual_lshlrev_b32 v62, 3, v18 :: v_dual_sub_nc_u32 v63, 0, v15
	s_and_b32 s82, s7, s4
	s_and_b32 s80, s8, s4
	v_cmp_eq_u32_e64 s7, 2, v18
	v_cmp_eq_u32_e64 s8, 1, v18
	s_and_b32 s24, s6, s4
	v_add_nc_u32_e32 v4, s10, v6
	v_cmp_eq_u32_e64 s6, 0, v18
	v_lshrrev_b32_e32 v18, 5, v27
	v_lshl_add_u32 v19, v26, 6, v2
	s_and_b32 s11, s5, s4
	v_cmp_gt_u32_e64 s5, 16, v2
	s_xor_b32 s93, vcc_lo, -1
	v_dual_sub_nc_u32 v64, v62, v15 :: v_dual_lshlrev_b32 v15, 9, v18
	v_dual_cndmask_b32 v31, v19, v0 :: v_dual_cndmask_b32 v30, v30, v1
	v_cmp_le_i32_e32 vcc_lo, s9, v2
	s_and_b32 s30, s1, s5
	v_cmp_gt_u32_e64 s5, 32, v2
	v_lshl_add_u32 v66, v18, 3, 0x8000
	v_mul_lo_u32 v18, v53, 6
	s_and_b32 s33, vcc_lo, s14
	s_and_b32 s28, s6, s4
	s_xor_b32 s6, s33, -1
	s_and_b32 s5, s1, s5
	s_and_b32 s70, s1, s6
	v_cmp_gt_i32_e64 s6, s9, v2
	v_mul_u32_u24_e32 v14, 0x1f8, v2
	s_and_b32 s26, s7, s4
	s_and_b32 s10, s8, s4
	v_writelane_b32 v104, s5, 6
	s_xor_b32 s18, s17, 0x80000000
	s_cmp_gt_i32 s90, 0
	v_cmp_gt_i32_e64 s5, s89, v12
	s_cselect_b32 s71, -1, 0
	v_cmp_gt_i32_e64 s7, s89, v8
	s_and_b32 s6, s1, s6
	v_mad_u32 v14, v14, 7, v18
	v_writelane_b32 v104, s6, 7
	v_subrev_nc_u32_e32 v18, 48, v22
	s_and_b32 s6, s7, s5
	v_subrev_nc_u32_e32 v32, 32, v22
	v_dual_lshlrev_b32 v65, 3, v7 :: v_dual_add_nc_u32 v22, -16, v22
	v_writelane_b32 v104, s6, 8
	v_cmp_gt_i32_e64 s6, s89, v18
	v_cmp_ne_u32_e64 s15, v2, v23
	v_cmp_ne_u32_e64 s19, v2, v26
	;; [unrolled: 1-line block ×3, first 2 shown]
	v_cmp_gt_u32_e64 s35, 0xf0, v27
	s_and_b32 s6, s6, s5
	v_lshlrev_b32_e32 v81, 3, v30
	v_writelane_b32 v104, s6, 9
	v_cmp_gt_i32_e64 s6, s89, v32
	v_dual_lshlrev_b32 v78, 3, v25 :: v_dual_lshlrev_b32 v80, 3, v31
	v_cmp_gt_u32_e64 s51, 64, v29
	v_or_b32_e32 v33, v26, v2
	s_and_b32 s6, s6, s5
	v_or_b32_e32 v34, v28, v2
	v_writelane_b32 v104, s6, 10
	v_cmp_gt_i32_e64 s6, s89, v22
	v_lshlrev_b32_e32 v22, 3, v43
	v_mad_u32_u24 v49, 0x1f8, v2, v47
	v_mul_u64_e32 v[10:11], s[64:65], v[12:13]
	v_mul_u64_e32 v[0:1], s[72:73], v[12:13]
	s_and_b32 s6, s6, s5
	v_or_b32_e32 v84, 0xa000, v22
	v_writelane_b32 v104, s6, 11
	v_cmp_le_i32_e64 s6, s9, v43
	v_or_b32_e32 v31, v23, v2
	v_mad_i32_i24 v54, 0xfffffe08, v2, v49
	v_add_nc_u32_e32 v91, v84, v47
	v_mul_u64_e32 v[12:13], s[72:73], v[16:17]
	s_or_b32 s7, s6, vcc_lo
	v_cmp_ge_u32_e64 s6, v2, v43
	v_mad_u32_u24 v56, 0x1f8, v2, v54
	v_mad_nc_u64_u32 v[16:17], s64, v23, v[20:21]
	v_dual_sub_nc_u32 v67, 0, v15 :: v_dual_sub_nc_u32 v68, v65, v15
	s_or_b32 s7, s7, s6
	s_delay_alu instid0(VALU_DEP_3)
	v_mad_i32_i24 v69, 0xfffffe08, v2, v56
	v_writelane_b32 v104, s7, 12
	v_cmp_le_i32_e64 s7, s9, v23
	v_mul_u32_u24_e32 v15, 0x1f0, v2
	v_mad_nc_u64_u32 v[18:19], s64, v26, v[20:21]
	v_mad_u32_u24 v70, 0x1f8, v2, v69
	v_lshlrev_b32_e32 v77, 3, v24
	s_or_b32 s8, s7, vcc_lo
	v_cmp_ge_u32_e64 s7, v2, v23
	v_mad_u32 v17, s65, v23, v17
	v_mad_i32_i24 v71, 0xfffffe08, v2, v70
	v_sub_nc_u32_e32 v72, v14, v15
	v_mad_nc_u64_u32 v[14:15], s64, v43, v[20:21]
	s_or_b32 s8, s8, s7
	v_mad_nc_u64_u32 v[20:21], s64, v28, v[20:21]
	v_writelane_b32 v104, s8, 13
	v_cmp_le_i32_e64 s8, s9, v26
	v_cmp_le_i32_e64 s9, s9, v28
	v_mad_u32_u24 v73, 0x1f8, v2, v71
	v_mad_u32 v19, s65, v26, v19
	v_mov_b64_e32 v[24:25], 0
	s_or_b32 s14, s8, vcc_lo
	v_cmp_ge_u32_e64 s8, v2, v26
	v_mad_i32_i24 v74, 0xfffffe08, v2, v73
	v_mad_u32 v15, s65, v43, v15
	v_mad_u32 v21, s65, v28, v21
	v_lshl_add_u32 v3, v3, 3, 0x8000
	s_or_b32 s14, s14, s8
	v_mad_u32_u24 v75, 0x1f8, v2, v74
	v_writelane_b32 v104, s14, 14
	s_or_b32 s14, s9, vcc_lo
	v_cmp_ge_u32_e64 s9, v2, v28
	v_lshl_add_u32 v86, v6, 3, 0xa000
	v_mad_i32_i24 v76, 0xfffffe08, v2, v75
	v_lshl_add_u32 v87, v27, 3, 0x8000
	v_add_nc_u32_e32 v88, 0x8000, v47
	s_or_b32 s14, s14, s9
	v_or_b32_e32 v92, 0x3c00, v65
	v_writelane_b32 v104, s14, 15
	v_cmp_ne_u32_e64 s14, v2, v43
	v_mad_u32_u24 v79, 0x1f8, v2, v76
	v_lshl_add_u32 v89, v43, 9, v76
	v_subrev_nc_u32_e32 v93, 31, v7
	v_cmp_gt_u32_e64 s21, 32, v27
	v_writelane_b32 v104, s14, 16
	s_or_b32 s14, vcc_lo, s14
	v_mad_i32_i24 v82, 0xfffffe08, v2, v79
	v_cmp_gt_u32_e64 s22, 24, v27
	v_cmp_eq_u32_e64 s36, 0, v6
	v_writelane_b32 v104, s14, 17
	s_or_b32 s14, vcc_lo, s15
	v_mad_u32_u24 v83, 0x1f8, v2, v82
	v_cmp_gt_u32_e64 s37, 64, v6
                                        ; implicit-def: $vgpr26
                                        ; implicit-def: $vgpr28
                                        ; implicit-def: $vgpr30
                                        ; implicit-def: $vgpr32
	v_writelane_b32 v104, s15, 18
	v_cmp_gt_u32_e64 s15, 2, v27
	s_delay_alu instid0(VALU_DEP_4) | instskip(SKIP_2) | instid1(VALU_DEP_2)
	v_dual_add_nc_u32 v85, v83, v22 :: v_dual_lshlrev_b32 v22, 9, v7
	v_writelane_b32 v104, s14, 19
	s_or_b32 s14, vcc_lo, s19
	v_add_nc_u32_e32 v90, v65, v22
	v_mul_u64_e32 v[22:23], s[72:73], v[4:5]
	v_writelane_b32 v104, s19, 20
	s_mov_b32 s19, s17
	s_mov_b32 s17, s16
	v_writelane_b32 v104, s14, 21
	s_or_b32 s14, vcc_lo, s20
	v_cmp_lt_u32_e32 vcc_lo, 0x3ff, v27
	v_writelane_b32 v104, s20, 22
	v_cmp_gt_u32_e64 s20, 40, v27
	s_xor_b32 s64, vcc_lo, -1
	v_writelane_b32 v104, s14, 23
	v_cmp_eq_u32_e64 s14, 0, v29
	v_writelane_b32 v104, s18, 24
	v_writelane_b32 v104, s19, 25
	v_cmp_gt_u32_e64 s18, 56, v27
	v_cmp_gt_u32_e64 s19, 48, v27
	v_writelane_b32 v104, s16, 26
	v_writelane_b32 v104, s17, 27
	v_cmp_gt_u32_e64 s16, 12, v27
	v_cmp_gt_u32_e64 s17, 8, v27
	v_writelane_b32 v104, s35, 28
	v_cmp_gt_u32_e64 s35, 0xe0, v27
	s_delay_alu instid0(VALU_DEP_1) | instskip(SKIP_1) | instid1(VALU_DEP_1)
	v_writelane_b32 v104, s35, 29
	v_cmp_gt_u32_e64 s35, 0xd0, v27
	v_writelane_b32 v104, s35, 30
	v_cmp_gt_u32_e64 s35, 0xc0, v27
	s_delay_alu instid0(VALU_DEP_1) | instskip(SKIP_1) | instid1(VALU_DEP_1)
	v_writelane_b32 v104, s35, 31
	;; [unrolled: 5-line block ×5, first 2 shown]
	v_cmp_gt_u32_e64 s35, 0x50, v27
	v_writelane_b32 v103, s35, 6
	v_cmp_gt_u32_e64 s35, 0x400, v27
	v_writelane_b32 v103, s51, 7
	v_cmp_gt_u32_e64 s51, 64, v31
	s_delay_alu instid0(VALU_DEP_1) | instskip(SKIP_1) | instid1(VALU_DEP_1)
	v_writelane_b32 v103, s51, 8
	v_cmp_gt_u32_e64 s51, 64, v33
	v_writelane_b32 v103, s51, 9
	v_cmp_gt_u32_e64 s51, 64, v34
	s_delay_alu instid0(VALU_DEP_1) | instskip(SKIP_1) | instid1(VALU_DEP_1)
	v_writelane_b32 v103, s51, 10
	v_cmp_gt_u32_e64 s51, 0x3e0, v27
	v_writelane_b32 v103, s51, 11
	v_cmp_gt_u32_e64 s51, 0x3c0, v27
	s_delay_alu instid0(VALU_DEP_1) | instskip(SKIP_1) | instid1(VALU_DEP_1)
	v_writelane_b32 v103, s51, 12
	v_cmp_gt_u32_e64 s51, 0x3a0, v27
	v_writelane_b32 v103, s51, 13
	v_cmp_gt_u32_e64 s51, 0x380, v27
	s_delay_alu instid0(VALU_DEP_1) | instskip(SKIP_1) | instid1(VALU_DEP_1)
	v_writelane_b32 v103, s51, 14
	v_cmp_gt_u32_e64 s51, 0x360, v27
	v_writelane_b32 v103, s51, 15
	v_cmp_gt_u32_e64 s51, 0x340, v27
	s_delay_alu instid0(VALU_DEP_1) | instskip(SKIP_1) | instid1(VALU_DEP_1)
	v_writelane_b32 v103, s51, 16
	v_cmp_gt_u32_e64 s51, 0x320, v27
	v_writelane_b32 v103, s51, 17
	v_cmp_gt_u32_e64 s51, 0x300, v27
	s_delay_alu instid0(VALU_DEP_1) | instskip(SKIP_1) | instid1(VALU_DEP_1)
	v_writelane_b32 v103, s51, 18
	v_cmp_gt_u32_e64 s51, 0x2e0, v27
	v_writelane_b32 v103, s51, 19
	v_cmp_gt_u32_e64 s51, 0x2c0, v27
	s_delay_alu instid0(VALU_DEP_1) | instskip(SKIP_1) | instid1(VALU_DEP_1)
	v_writelane_b32 v103, s51, 20
	v_cmp_gt_u32_e64 s51, 0x2a0, v27
	v_writelane_b32 v103, s51, 21
	v_cmp_gt_u32_e64 s51, 0x280, v27
	s_delay_alu instid0(VALU_DEP_1) | instskip(SKIP_1) | instid1(VALU_DEP_1)
	v_writelane_b32 v103, s51, 22
	v_cmp_gt_u32_e64 s51, 0x260, v27
	v_writelane_b32 v103, s51, 23
	v_cmp_gt_u32_e64 s51, 0x240, v27
	s_delay_alu instid0(VALU_DEP_1) | instskip(SKIP_1) | instid1(VALU_DEP_1)
	v_writelane_b32 v103, s51, 24
	v_cmp_gt_u32_e64 s51, 0x220, v27
	v_writelane_b32 v103, s51, 25
	v_cmp_gt_u32_e64 s51, 0x200, v27
	s_delay_alu instid0(VALU_DEP_1) | instskip(SKIP_1) | instid1(VALU_DEP_1)
	v_writelane_b32 v103, s51, 26
	v_cmp_gt_u32_e64 s51, 0x1e0, v27
	v_writelane_b32 v103, s51, 27
	v_cmp_gt_u32_e64 s51, 0x1c0, v27
	s_delay_alu instid0(VALU_DEP_1) | instskip(SKIP_1) | instid1(VALU_DEP_1)
	v_writelane_b32 v103, s51, 28
	v_cmp_gt_u32_e64 s51, 0x1a0, v27
	v_writelane_b32 v103, s51, 29
	v_cmp_gt_u32_e64 s51, 0x180, v27
	s_delay_alu instid0(VALU_DEP_1) | instskip(SKIP_1) | instid1(VALU_DEP_1)
	v_writelane_b32 v103, s51, 30
	v_cmp_gt_u32_e64 s51, 0x160, v27
	v_writelane_b32 v103, s51, 31
	v_cmp_gt_u32_e64 s51, 0x140, v27
	s_delay_alu instid0(VALU_DEP_1) | instskip(SKIP_1) | instid1(VALU_DEP_1)
	v_writelane_b32 v102, s51, 0
	v_cmp_gt_u32_e64 s51, 0x120, v27
	v_writelane_b32 v102, s51, 1
	s_branch .LBB66_3
.LBB66_2:                               ;   in Loop: Header=BB66_3 Depth=1
	s_wait_xcnt 0x0
	s_or_b32 exec_lo, exec_lo, s65
	s_add_co_i32 s76, s76, 0x10000
	global_wb scope:SCOPE_DEV
	s_wait_storecnt 0x0
	global_inv scope:SCOPE_DEV
	s_cmp_lt_u32 s76, s88
	s_cbranch_scc0 .LBB66_1174
.LBB66_3:                               ; =>This Loop Header: Depth=1
                                        ;     Child Loop BB66_569 Depth 2
                                        ;     Child Loop BB66_1010 Depth 2
                                        ;       Child Loop BB66_1012 Depth 3
                                        ;     Child Loop BB66_1056 Depth 2
	v_readlane_b32 s84, v104, 0
	v_readlane_b32 s85, v104, 1
	s_mul_u64 s[68:69], s[66:67], s[76:77]
	v_readlane_b32 s51, v104, 4
	s_lshl_b64 s[68:69], s[68:69], 3
	s_delay_alu instid0(SALU_CYCLE_1)
	s_add_nc_u64 s[84:85], s[84:85], s[68:69]
	s_and_not1_b32 vcc_lo, exec_lo, s51
	v_lshl_add_u64 v[34:35], v[10:11], 3, s[84:85]
	s_cbranch_vccz .LBB66_6
; %bb.4:                                ;   in Loop: Header=BB66_3 Depth=1
	s_and_not1_b32 vcc_lo, exec_lo, s92
	s_mov_b32 s65, -1
	s_cbranch_vccz .LBB66_15
.LBB66_5:                               ;   in Loop: Header=BB66_3 Depth=1
	s_and_b32 vcc_lo, exec_lo, s65
	s_cbranch_vccnz .LBB66_25
	s_branch .LBB66_82
.LBB66_6:                               ;   in Loop: Header=BB66_3 Depth=1
	s_delay_alu instid0(VALU_DEP_1)
	v_lshl_add_u64 v[36:37], v[8:9], 3, v[34:35]
	v_dual_mov_b32 v28, 0 :: v_dual_mov_b32 v26, 0
	v_mov_b32_e32 v27, 0
	v_readlane_b32 s51, v104, 8
	s_barrier_signal -1
	s_barrier_wait -1
	s_and_saveexec_b32 s65, s51
	s_cbranch_execz .LBB66_8
; %bb.7:                                ;   in Loop: Header=BB66_3 Depth=1
	global_load_b64 v[26:27], v[36:37], off
.LBB66_8:                               ;   in Loop: Header=BB66_3 Depth=1
	s_wait_xcnt 0x0
	s_or_b32 exec_lo, exec_lo, s65
	v_mov_b32_e32 v29, 0
	v_readlane_b32 s51, v104, 9
	s_wait_loadcnt 0x0
	s_barrier_signal -1
	s_barrier_wait -1
	s_and_saveexec_b32 s65, s51
	s_cbranch_execz .LBB66_10
; %bb.9:                                ;   in Loop: Header=BB66_3 Depth=1
	global_load_b64 v[28:29], v[36:37], off offset:128
.LBB66_10:                              ;   in Loop: Header=BB66_3 Depth=1
	s_wait_xcnt 0x0
	s_or_b32 exec_lo, exec_lo, s65
	v_dual_mov_b32 v33, 0 :: v_dual_mov_b32 v30, 0
	v_mov_b32_e32 v31, 0
	v_readlane_b32 s51, v104, 10
	s_wait_loadcnt 0x0
	s_barrier_signal -1
	s_barrier_wait -1
	s_and_saveexec_b32 s65, s51
	s_cbranch_execz .LBB66_12
; %bb.11:                               ;   in Loop: Header=BB66_3 Depth=1
	global_load_b64 v[30:31], v[36:37], off offset:256
.LBB66_12:                              ;   in Loop: Header=BB66_3 Depth=1
	s_wait_xcnt 0x0
	s_or_b32 exec_lo, exec_lo, s65
	v_mov_b32_e32 v32, 0
	v_readlane_b32 s51, v104, 11
	s_wait_loadcnt 0x0
	s_barrier_signal -1
	s_barrier_wait -1
	s_and_saveexec_b32 s65, s51
	s_cbranch_execz .LBB66_14
; %bb.13:                               ;   in Loop: Header=BB66_3 Depth=1
	global_load_b64 v[32:33], v[36:37], off offset:384
.LBB66_14:                              ;   in Loop: Header=BB66_3 Depth=1
	s_wait_xcnt 0x0
	s_or_b32 exec_lo, exec_lo, s65
	s_delay_alu instid0(SALU_CYCLE_1)
	s_and_not1_b32 vcc_lo, exec_lo, s92
	s_mov_b32 s65, -1
	s_cbranch_vccnz .LBB66_5
.LBB66_15:                              ;   in Loop: Header=BB66_3 Depth=1
	s_and_saveexec_b32 s65, s6
	s_delay_alu instid0(SALU_CYCLE_1)
	s_xor_b32 s65, exec_lo, s65
	s_cbranch_execnz .LBB66_1069
; %bb.16:                               ;   in Loop: Header=BB66_3 Depth=1
	s_and_not1_saveexec_b32 s65, s65
	s_cbranch_execnz .LBB66_1080
.LBB66_17:                              ;   in Loop: Header=BB66_3 Depth=1
	s_or_b32 exec_lo, exec_lo, s65
	s_and_saveexec_b32 s65, s7
	s_delay_alu instid0(SALU_CYCLE_1)
	s_xor_b32 s65, exec_lo, s65
	s_cbranch_execnz .LBB66_1081
.LBB66_18:                              ;   in Loop: Header=BB66_3 Depth=1
	s_and_not1_saveexec_b32 s65, s65
	s_cbranch_execnz .LBB66_1092
.LBB66_19:                              ;   in Loop: Header=BB66_3 Depth=1
	s_or_b32 exec_lo, exec_lo, s65
	s_and_saveexec_b32 s65, s8
	s_delay_alu instid0(SALU_CYCLE_1)
	s_xor_b32 s65, exec_lo, s65
	s_cbranch_execnz .LBB66_1093
.LBB66_20:                              ;   in Loop: Header=BB66_3 Depth=1
	s_and_not1_saveexec_b32 s65, s65
	s_cbranch_execnz .LBB66_1104
.LBB66_21:                              ;   in Loop: Header=BB66_3 Depth=1
	s_or_b32 exec_lo, exec_lo, s65
	s_and_saveexec_b32 s65, s9
	s_delay_alu instid0(SALU_CYCLE_1)
	s_xor_b32 s65, exec_lo, s65
	s_cbranch_execnz .LBB66_1105
.LBB66_22:                              ;   in Loop: Header=BB66_3 Depth=1
	s_and_not1_saveexec_b32 s65, s65
	s_cbranch_execz .LBB66_24
.LBB66_23:                              ;   in Loop: Header=BB66_3 Depth=1
	v_lshl_add_u64 v[36:37], v[20:21], 3, s[84:85]
	global_load_b64 v[36:37], v[36:37], off
	s_wait_loadcnt 0x0
	v_xor_b32_e32 v36, 0x80000000, v36
	ds_store_b64 v81, v[36:37]
.LBB66_24:                              ;   in Loop: Header=BB66_3 Depth=1
	s_or_b32 exec_lo, exec_lo, s65
	s_branch .LBB66_82
.LBB66_25:                              ;   in Loop: Header=BB66_3 Depth=1
	v_readlane_b32 s51, v104, 12
	s_and_saveexec_b32 s65, s51
	s_delay_alu instid0(SALU_CYCLE_1)
	s_xor_b32 s65, exec_lo, s65
	s_cbranch_execz .LBB66_37
; %bb.26:                               ;   in Loop: Header=BB66_3 Depth=1
	v_readlane_b32 s51, v104, 17
	s_and_saveexec_b32 s68, s51
	s_delay_alu instid0(SALU_CYCLE_1)
	s_xor_b32 s68, exec_lo, s68
	s_cbranch_execz .LBB66_30
; %bb.27:                               ;   in Loop: Header=BB66_3 Depth=1
	v_readlane_b32 s51, v103, 7
	s_and_saveexec_b32 s69, s51
; %bb.28:                               ;   in Loop: Header=BB66_3 Depth=1
	ds_store_b64 v85, v[24:25]
; %bb.29:                               ;   in Loop: Header=BB66_3 Depth=1
	s_or_b32 exec_lo, exec_lo, s69
.LBB66_30:                              ;   in Loop: Header=BB66_3 Depth=1
	s_and_not1_saveexec_b32 s68, s68
	s_cbranch_execz .LBB66_36
; %bb.31:                               ;   in Loop: Header=BB66_3 Depth=1
	v_lshl_add_u64 v[36:37], v[14:15], 3, s[84:85]
                                        ; implicit-def: $vgpr38_vgpr39
	global_load_b64 v[36:37], v[36:37], off
	s_wait_loadcnt 0x0
	v_cmp_ngt_f32_e64 s69, |v36|, |v37|
	s_and_saveexec_b32 s86, s69
	s_delay_alu instid0(SALU_CYCLE_1)
	s_xor_b32 s69, exec_lo, s86
	s_cbranch_execz .LBB66_33
; %bb.32:                               ;   in Loop: Header=BB66_3 Depth=1
	v_div_scale_f32 v4, null, -v37, -v37, v36
	v_div_scale_f32 v40, vcc_lo, v36, -v37, v36
	s_delay_alu instid0(VALU_DEP_2) | instskip(SKIP_1) | instid1(TRANS32_DEP_1)
	v_rcp_f32_e32 v38, v4
	v_nop
	v_fma_f32 v39, -v4, v38, 1.0
	s_delay_alu instid0(VALU_DEP_1) | instskip(NEXT) | instid1(VALU_DEP_1)
	v_fmac_f32_e32 v38, v39, v38
	v_mul_f32_e32 v39, v40, v38
	s_delay_alu instid0(VALU_DEP_1) | instskip(NEXT) | instid1(VALU_DEP_1)
	v_fma_f32 v41, -v4, v39, v40
	v_fmac_f32_e32 v39, v41, v38
	s_delay_alu instid0(VALU_DEP_1) | instskip(NEXT) | instid1(VALU_DEP_1)
	v_fma_f32 v4, -v4, v39, v40
	v_div_fmas_f32 v4, v4, v38, v39
	s_delay_alu instid0(VALU_DEP_1) | instskip(NEXT) | instid1(VALU_DEP_1)
	v_div_fixup_f32 v4, v4, -v37, v36
	v_fma_f32 v36, v36, v4, -v37
	s_delay_alu instid0(VALU_DEP_1) | instskip(SKIP_1) | instid1(VALU_DEP_2)
	v_div_scale_f32 v37, null, v36, v36, 1.0
	v_div_scale_f32 v40, vcc_lo, 1.0, v36, 1.0
	v_rcp_f32_e32 v38, v37
	v_nop
	s_delay_alu instid0(TRANS32_DEP_1) | instskip(NEXT) | instid1(VALU_DEP_1)
	v_fma_f32 v39, -v37, v38, 1.0
	v_fmac_f32_e32 v38, v39, v38
	s_delay_alu instid0(VALU_DEP_1) | instskip(NEXT) | instid1(VALU_DEP_1)
	v_mul_f32_e32 v39, v40, v38
	v_fma_f32 v41, -v37, v39, v40
	s_delay_alu instid0(VALU_DEP_1) | instskip(NEXT) | instid1(VALU_DEP_1)
	v_fmac_f32_e32 v39, v41, v38
	v_fma_f32 v37, -v37, v39, v40
	s_delay_alu instid0(VALU_DEP_1) | instskip(NEXT) | instid1(VALU_DEP_1)
	v_div_fmas_f32 v37, v37, v38, v39
	v_div_fixup_f32 v36, v37, v36, 1.0
	s_delay_alu instid0(VALU_DEP_1)
	v_mul_f32_e32 v38, v4, v36
	v_xor_b32_e32 v39, 0x80000000, v36
                                        ; implicit-def: $vgpr36_vgpr37
.LBB66_33:                              ;   in Loop: Header=BB66_3 Depth=1
	s_and_not1_saveexec_b32 s69, s69
	s_cbranch_execz .LBB66_35
; %bb.34:                               ;   in Loop: Header=BB66_3 Depth=1
	v_div_scale_f32 v4, null, v36, v36, -v37
	v_div_scale_f32 v40, vcc_lo, -v37, v36, -v37
	s_delay_alu instid0(VALU_DEP_2) | instskip(SKIP_1) | instid1(TRANS32_DEP_1)
	v_rcp_f32_e32 v38, v4
	v_nop
	v_fma_f32 v39, -v4, v38, 1.0
	s_delay_alu instid0(VALU_DEP_1) | instskip(NEXT) | instid1(VALU_DEP_1)
	v_fmac_f32_e32 v38, v39, v38
	v_mul_f32_e32 v39, v40, v38
	s_delay_alu instid0(VALU_DEP_1) | instskip(NEXT) | instid1(VALU_DEP_1)
	v_fma_f32 v41, -v4, v39, v40
	v_fmac_f32_e32 v39, v41, v38
	s_delay_alu instid0(VALU_DEP_1) | instskip(NEXT) | instid1(VALU_DEP_1)
	v_fma_f32 v4, -v4, v39, v40
	v_div_fmas_f32 v4, v4, v38, v39
	s_delay_alu instid0(VALU_DEP_1) | instskip(NEXT) | instid1(VALU_DEP_1)
	v_div_fixup_f32 v4, v4, v36, -v37
	v_fma_f32 v36, -v37, v4, v36
	s_delay_alu instid0(VALU_DEP_1) | instskip(NEXT) | instid1(VALU_DEP_1)
	v_div_scale_f32 v37, null, v36, v36, 1.0
	v_rcp_f32_e32 v38, v37
	v_nop
	s_delay_alu instid0(TRANS32_DEP_1) | instskip(NEXT) | instid1(VALU_DEP_1)
	v_fma_f32 v39, -v37, v38, 1.0
	v_fmac_f32_e32 v38, v39, v38
	v_div_scale_f32 v39, vcc_lo, 1.0, v36, 1.0
	s_delay_alu instid0(VALU_DEP_1) | instskip(NEXT) | instid1(VALU_DEP_1)
	v_mul_f32_e32 v40, v39, v38
	v_fma_f32 v41, -v37, v40, v39
	s_delay_alu instid0(VALU_DEP_1) | instskip(NEXT) | instid1(VALU_DEP_1)
	v_fmac_f32_e32 v40, v41, v38
	v_fma_f32 v37, -v37, v40, v39
	s_delay_alu instid0(VALU_DEP_1) | instskip(NEXT) | instid1(VALU_DEP_1)
	v_div_fmas_f32 v37, v37, v38, v40
	v_div_fixup_f32 v38, v37, v36, 1.0
	s_delay_alu instid0(VALU_DEP_1)
	v_mul_f32_e64 v39, v4, -v38
.LBB66_35:                              ;   in Loop: Header=BB66_3 Depth=1
	s_or_b32 exec_lo, exec_lo, s69
	ds_store_b64 v85, v[38:39]
.LBB66_36:                              ;   in Loop: Header=BB66_3 Depth=1
	s_or_b32 exec_lo, exec_lo, s68
.LBB66_37:                              ;   in Loop: Header=BB66_3 Depth=1
	s_and_not1_saveexec_b32 s65, s65
	s_cbranch_execz .LBB66_39
; %bb.38:                               ;   in Loop: Header=BB66_3 Depth=1
	v_lshl_add_u64 v[36:37], v[14:15], 3, s[84:85]
	global_load_b64 v[36:37], v[36:37], off
	s_wait_loadcnt 0x0
	v_xor_b32_e32 v36, 0x80000000, v36
	ds_store_b64 v85, v[36:37]
.LBB66_39:                              ;   in Loop: Header=BB66_3 Depth=1
	s_or_b32 exec_lo, exec_lo, s65
	v_readlane_b32 s51, v104, 13
	s_and_saveexec_b32 s65, s51
	s_delay_alu instid0(SALU_CYCLE_1)
	s_xor_b32 s65, exec_lo, s65
	s_cbranch_execz .LBB66_51
; %bb.40:                               ;   in Loop: Header=BB66_3 Depth=1
	v_readlane_b32 s51, v104, 19
	s_and_saveexec_b32 s68, s51
	s_delay_alu instid0(SALU_CYCLE_1)
	s_xor_b32 s68, exec_lo, s68
	s_cbranch_execz .LBB66_44
; %bb.41:                               ;   in Loop: Header=BB66_3 Depth=1
	v_readlane_b32 s51, v103, 8
	s_and_saveexec_b32 s69, s51
; %bb.42:                               ;   in Loop: Header=BB66_3 Depth=1
	ds_store_b64 v78, v[24:25]
; %bb.43:                               ;   in Loop: Header=BB66_3 Depth=1
	s_or_b32 exec_lo, exec_lo, s69
.LBB66_44:                              ;   in Loop: Header=BB66_3 Depth=1
	s_and_not1_saveexec_b32 s68, s68
	s_cbranch_execz .LBB66_50
; %bb.45:                               ;   in Loop: Header=BB66_3 Depth=1
	v_lshl_add_u64 v[36:37], v[16:17], 3, s[84:85]
                                        ; implicit-def: $vgpr38_vgpr39
	global_load_b64 v[36:37], v[36:37], off
	s_wait_loadcnt 0x0
	v_cmp_ngt_f32_e64 s69, |v36|, |v37|
	s_and_saveexec_b32 s86, s69
	s_delay_alu instid0(SALU_CYCLE_1)
	s_xor_b32 s69, exec_lo, s86
	s_cbranch_execz .LBB66_47
; %bb.46:                               ;   in Loop: Header=BB66_3 Depth=1
	v_div_scale_f32 v4, null, -v37, -v37, v36
	v_div_scale_f32 v40, vcc_lo, v36, -v37, v36
	s_delay_alu instid0(VALU_DEP_2) | instskip(SKIP_1) | instid1(TRANS32_DEP_1)
	v_rcp_f32_e32 v38, v4
	v_nop
	v_fma_f32 v39, -v4, v38, 1.0
	s_delay_alu instid0(VALU_DEP_1) | instskip(NEXT) | instid1(VALU_DEP_1)
	v_fmac_f32_e32 v38, v39, v38
	v_mul_f32_e32 v39, v40, v38
	s_delay_alu instid0(VALU_DEP_1) | instskip(NEXT) | instid1(VALU_DEP_1)
	v_fma_f32 v41, -v4, v39, v40
	v_fmac_f32_e32 v39, v41, v38
	s_delay_alu instid0(VALU_DEP_1) | instskip(NEXT) | instid1(VALU_DEP_1)
	v_fma_f32 v4, -v4, v39, v40
	v_div_fmas_f32 v4, v4, v38, v39
	s_delay_alu instid0(VALU_DEP_1) | instskip(NEXT) | instid1(VALU_DEP_1)
	v_div_fixup_f32 v4, v4, -v37, v36
	v_fma_f32 v36, v36, v4, -v37
	s_delay_alu instid0(VALU_DEP_1) | instskip(SKIP_1) | instid1(VALU_DEP_2)
	v_div_scale_f32 v37, null, v36, v36, 1.0
	v_div_scale_f32 v40, vcc_lo, 1.0, v36, 1.0
	v_rcp_f32_e32 v38, v37
	v_nop
	s_delay_alu instid0(TRANS32_DEP_1) | instskip(NEXT) | instid1(VALU_DEP_1)
	v_fma_f32 v39, -v37, v38, 1.0
	v_fmac_f32_e32 v38, v39, v38
	s_delay_alu instid0(VALU_DEP_1) | instskip(NEXT) | instid1(VALU_DEP_1)
	v_mul_f32_e32 v39, v40, v38
	v_fma_f32 v41, -v37, v39, v40
	s_delay_alu instid0(VALU_DEP_1) | instskip(NEXT) | instid1(VALU_DEP_1)
	v_fmac_f32_e32 v39, v41, v38
	v_fma_f32 v37, -v37, v39, v40
	s_delay_alu instid0(VALU_DEP_1) | instskip(NEXT) | instid1(VALU_DEP_1)
	v_div_fmas_f32 v37, v37, v38, v39
	v_div_fixup_f32 v36, v37, v36, 1.0
	s_delay_alu instid0(VALU_DEP_1)
	v_mul_f32_e32 v38, v4, v36
	v_xor_b32_e32 v39, 0x80000000, v36
                                        ; implicit-def: $vgpr36_vgpr37
.LBB66_47:                              ;   in Loop: Header=BB66_3 Depth=1
	s_and_not1_saveexec_b32 s69, s69
	s_cbranch_execz .LBB66_49
; %bb.48:                               ;   in Loop: Header=BB66_3 Depth=1
	v_div_scale_f32 v4, null, v36, v36, -v37
	v_div_scale_f32 v40, vcc_lo, -v37, v36, -v37
	s_delay_alu instid0(VALU_DEP_2) | instskip(SKIP_1) | instid1(TRANS32_DEP_1)
	v_rcp_f32_e32 v38, v4
	v_nop
	v_fma_f32 v39, -v4, v38, 1.0
	s_delay_alu instid0(VALU_DEP_1) | instskip(NEXT) | instid1(VALU_DEP_1)
	v_fmac_f32_e32 v38, v39, v38
	v_mul_f32_e32 v39, v40, v38
	s_delay_alu instid0(VALU_DEP_1) | instskip(NEXT) | instid1(VALU_DEP_1)
	v_fma_f32 v41, -v4, v39, v40
	v_fmac_f32_e32 v39, v41, v38
	s_delay_alu instid0(VALU_DEP_1) | instskip(NEXT) | instid1(VALU_DEP_1)
	v_fma_f32 v4, -v4, v39, v40
	v_div_fmas_f32 v4, v4, v38, v39
	s_delay_alu instid0(VALU_DEP_1) | instskip(NEXT) | instid1(VALU_DEP_1)
	v_div_fixup_f32 v4, v4, v36, -v37
	v_fma_f32 v36, -v37, v4, v36
	s_delay_alu instid0(VALU_DEP_1) | instskip(NEXT) | instid1(VALU_DEP_1)
	v_div_scale_f32 v37, null, v36, v36, 1.0
	v_rcp_f32_e32 v38, v37
	v_nop
	s_delay_alu instid0(TRANS32_DEP_1) | instskip(NEXT) | instid1(VALU_DEP_1)
	v_fma_f32 v39, -v37, v38, 1.0
	v_fmac_f32_e32 v38, v39, v38
	v_div_scale_f32 v39, vcc_lo, 1.0, v36, 1.0
	s_delay_alu instid0(VALU_DEP_1) | instskip(NEXT) | instid1(VALU_DEP_1)
	v_mul_f32_e32 v40, v39, v38
	v_fma_f32 v41, -v37, v40, v39
	s_delay_alu instid0(VALU_DEP_1) | instskip(NEXT) | instid1(VALU_DEP_1)
	v_fmac_f32_e32 v40, v41, v38
	v_fma_f32 v37, -v37, v40, v39
	s_delay_alu instid0(VALU_DEP_1) | instskip(NEXT) | instid1(VALU_DEP_1)
	v_div_fmas_f32 v37, v37, v38, v40
	v_div_fixup_f32 v38, v37, v36, 1.0
	s_delay_alu instid0(VALU_DEP_1)
	v_mul_f32_e64 v39, v4, -v38
.LBB66_49:                              ;   in Loop: Header=BB66_3 Depth=1
	s_or_b32 exec_lo, exec_lo, s69
	ds_store_b64 v78, v[38:39]
.LBB66_50:                              ;   in Loop: Header=BB66_3 Depth=1
	s_or_b32 exec_lo, exec_lo, s68
.LBB66_51:                              ;   in Loop: Header=BB66_3 Depth=1
	s_and_not1_saveexec_b32 s65, s65
	s_cbranch_execz .LBB66_53
; %bb.52:                               ;   in Loop: Header=BB66_3 Depth=1
	v_lshl_add_u64 v[36:37], v[16:17], 3, s[84:85]
	global_load_b64 v[36:37], v[36:37], off
	s_wait_loadcnt 0x0
	v_xor_b32_e32 v36, 0x80000000, v36
	ds_store_b64 v78, v[36:37]
.LBB66_53:                              ;   in Loop: Header=BB66_3 Depth=1
	s_or_b32 exec_lo, exec_lo, s65
	v_readlane_b32 s51, v104, 14
	s_and_saveexec_b32 s65, s51
	s_delay_alu instid0(SALU_CYCLE_1)
	s_xor_b32 s65, exec_lo, s65
	s_cbranch_execz .LBB66_65
; %bb.54:                               ;   in Loop: Header=BB66_3 Depth=1
	v_readlane_b32 s51, v104, 21
	s_and_saveexec_b32 s68, s51
	s_delay_alu instid0(SALU_CYCLE_1)
	s_xor_b32 s68, exec_lo, s68
	s_cbranch_execz .LBB66_58
; %bb.55:                               ;   in Loop: Header=BB66_3 Depth=1
	v_readlane_b32 s51, v103, 9
	s_and_saveexec_b32 s69, s51
; %bb.56:                               ;   in Loop: Header=BB66_3 Depth=1
	ds_store_b64 v80, v[24:25]
; %bb.57:                               ;   in Loop: Header=BB66_3 Depth=1
	s_or_b32 exec_lo, exec_lo, s69
.LBB66_58:                              ;   in Loop: Header=BB66_3 Depth=1
	s_and_not1_saveexec_b32 s68, s68
	s_cbranch_execz .LBB66_64
; %bb.59:                               ;   in Loop: Header=BB66_3 Depth=1
	v_lshl_add_u64 v[36:37], v[18:19], 3, s[84:85]
                                        ; implicit-def: $vgpr38_vgpr39
	global_load_b64 v[36:37], v[36:37], off
	s_wait_loadcnt 0x0
	v_cmp_ngt_f32_e64 s69, |v36|, |v37|
	s_and_saveexec_b32 s86, s69
	s_delay_alu instid0(SALU_CYCLE_1)
	s_xor_b32 s69, exec_lo, s86
	s_cbranch_execz .LBB66_61
; %bb.60:                               ;   in Loop: Header=BB66_3 Depth=1
	v_div_scale_f32 v4, null, -v37, -v37, v36
	v_div_scale_f32 v40, vcc_lo, v36, -v37, v36
	s_delay_alu instid0(VALU_DEP_2) | instskip(SKIP_1) | instid1(TRANS32_DEP_1)
	v_rcp_f32_e32 v38, v4
	v_nop
	v_fma_f32 v39, -v4, v38, 1.0
	s_delay_alu instid0(VALU_DEP_1) | instskip(NEXT) | instid1(VALU_DEP_1)
	v_fmac_f32_e32 v38, v39, v38
	v_mul_f32_e32 v39, v40, v38
	s_delay_alu instid0(VALU_DEP_1) | instskip(NEXT) | instid1(VALU_DEP_1)
	v_fma_f32 v41, -v4, v39, v40
	v_fmac_f32_e32 v39, v41, v38
	s_delay_alu instid0(VALU_DEP_1) | instskip(NEXT) | instid1(VALU_DEP_1)
	v_fma_f32 v4, -v4, v39, v40
	v_div_fmas_f32 v4, v4, v38, v39
	s_delay_alu instid0(VALU_DEP_1) | instskip(NEXT) | instid1(VALU_DEP_1)
	v_div_fixup_f32 v4, v4, -v37, v36
	v_fma_f32 v36, v36, v4, -v37
	s_delay_alu instid0(VALU_DEP_1) | instskip(SKIP_1) | instid1(VALU_DEP_2)
	v_div_scale_f32 v37, null, v36, v36, 1.0
	v_div_scale_f32 v40, vcc_lo, 1.0, v36, 1.0
	v_rcp_f32_e32 v38, v37
	v_nop
	s_delay_alu instid0(TRANS32_DEP_1) | instskip(NEXT) | instid1(VALU_DEP_1)
	v_fma_f32 v39, -v37, v38, 1.0
	v_fmac_f32_e32 v38, v39, v38
	s_delay_alu instid0(VALU_DEP_1) | instskip(NEXT) | instid1(VALU_DEP_1)
	v_mul_f32_e32 v39, v40, v38
	v_fma_f32 v41, -v37, v39, v40
	s_delay_alu instid0(VALU_DEP_1) | instskip(NEXT) | instid1(VALU_DEP_1)
	v_fmac_f32_e32 v39, v41, v38
	v_fma_f32 v37, -v37, v39, v40
	s_delay_alu instid0(VALU_DEP_1) | instskip(NEXT) | instid1(VALU_DEP_1)
	v_div_fmas_f32 v37, v37, v38, v39
	v_div_fixup_f32 v36, v37, v36, 1.0
	s_delay_alu instid0(VALU_DEP_1)
	v_mul_f32_e32 v38, v4, v36
	v_xor_b32_e32 v39, 0x80000000, v36
                                        ; implicit-def: $vgpr36_vgpr37
.LBB66_61:                              ;   in Loop: Header=BB66_3 Depth=1
	s_and_not1_saveexec_b32 s69, s69
	s_cbranch_execz .LBB66_63
; %bb.62:                               ;   in Loop: Header=BB66_3 Depth=1
	v_div_scale_f32 v4, null, v36, v36, -v37
	v_div_scale_f32 v40, vcc_lo, -v37, v36, -v37
	s_delay_alu instid0(VALU_DEP_2) | instskip(SKIP_1) | instid1(TRANS32_DEP_1)
	v_rcp_f32_e32 v38, v4
	v_nop
	v_fma_f32 v39, -v4, v38, 1.0
	s_delay_alu instid0(VALU_DEP_1) | instskip(NEXT) | instid1(VALU_DEP_1)
	v_fmac_f32_e32 v38, v39, v38
	v_mul_f32_e32 v39, v40, v38
	s_delay_alu instid0(VALU_DEP_1) | instskip(NEXT) | instid1(VALU_DEP_1)
	v_fma_f32 v41, -v4, v39, v40
	v_fmac_f32_e32 v39, v41, v38
	s_delay_alu instid0(VALU_DEP_1) | instskip(NEXT) | instid1(VALU_DEP_1)
	v_fma_f32 v4, -v4, v39, v40
	v_div_fmas_f32 v4, v4, v38, v39
	s_delay_alu instid0(VALU_DEP_1) | instskip(NEXT) | instid1(VALU_DEP_1)
	v_div_fixup_f32 v4, v4, v36, -v37
	v_fma_f32 v36, -v37, v4, v36
	s_delay_alu instid0(VALU_DEP_1) | instskip(NEXT) | instid1(VALU_DEP_1)
	v_div_scale_f32 v37, null, v36, v36, 1.0
	v_rcp_f32_e32 v38, v37
	v_nop
	s_delay_alu instid0(TRANS32_DEP_1) | instskip(NEXT) | instid1(VALU_DEP_1)
	v_fma_f32 v39, -v37, v38, 1.0
	v_fmac_f32_e32 v38, v39, v38
	v_div_scale_f32 v39, vcc_lo, 1.0, v36, 1.0
	s_delay_alu instid0(VALU_DEP_1) | instskip(NEXT) | instid1(VALU_DEP_1)
	v_mul_f32_e32 v40, v39, v38
	v_fma_f32 v41, -v37, v40, v39
	s_delay_alu instid0(VALU_DEP_1) | instskip(NEXT) | instid1(VALU_DEP_1)
	v_fmac_f32_e32 v40, v41, v38
	v_fma_f32 v37, -v37, v40, v39
	s_delay_alu instid0(VALU_DEP_1) | instskip(NEXT) | instid1(VALU_DEP_1)
	v_div_fmas_f32 v37, v37, v38, v40
	v_div_fixup_f32 v38, v37, v36, 1.0
	s_delay_alu instid0(VALU_DEP_1)
	v_mul_f32_e64 v39, v4, -v38
.LBB66_63:                              ;   in Loop: Header=BB66_3 Depth=1
	s_or_b32 exec_lo, exec_lo, s69
	ds_store_b64 v80, v[38:39]
.LBB66_64:                              ;   in Loop: Header=BB66_3 Depth=1
	s_or_b32 exec_lo, exec_lo, s68
.LBB66_65:                              ;   in Loop: Header=BB66_3 Depth=1
	s_and_not1_saveexec_b32 s65, s65
	s_cbranch_execz .LBB66_67
; %bb.66:                               ;   in Loop: Header=BB66_3 Depth=1
	v_lshl_add_u64 v[36:37], v[18:19], 3, s[84:85]
	global_load_b64 v[36:37], v[36:37], off
	s_wait_loadcnt 0x0
	v_xor_b32_e32 v36, 0x80000000, v36
	ds_store_b64 v80, v[36:37]
.LBB66_67:                              ;   in Loop: Header=BB66_3 Depth=1
	s_or_b32 exec_lo, exec_lo, s65
	v_readlane_b32 s51, v104, 15
	s_and_saveexec_b32 s65, s51
	s_delay_alu instid0(SALU_CYCLE_1)
	s_xor_b32 s65, exec_lo, s65
	s_cbranch_execz .LBB66_79
; %bb.68:                               ;   in Loop: Header=BB66_3 Depth=1
	v_readlane_b32 s51, v104, 23
	s_and_saveexec_b32 s68, s51
	s_delay_alu instid0(SALU_CYCLE_1)
	s_xor_b32 s68, exec_lo, s68
	s_cbranch_execz .LBB66_72
; %bb.69:                               ;   in Loop: Header=BB66_3 Depth=1
	v_readlane_b32 s51, v103, 10
	s_and_saveexec_b32 s69, s51
; %bb.70:                               ;   in Loop: Header=BB66_3 Depth=1
	ds_store_b64 v81, v[24:25]
; %bb.71:                               ;   in Loop: Header=BB66_3 Depth=1
	s_or_b32 exec_lo, exec_lo, s69
.LBB66_72:                              ;   in Loop: Header=BB66_3 Depth=1
	s_and_not1_saveexec_b32 s68, s68
	s_cbranch_execz .LBB66_78
; %bb.73:                               ;   in Loop: Header=BB66_3 Depth=1
	v_lshl_add_u64 v[36:37], v[20:21], 3, s[84:85]
                                        ; implicit-def: $vgpr38_vgpr39
	global_load_b64 v[36:37], v[36:37], off
	s_wait_loadcnt 0x0
	v_cmp_ngt_f32_e64 s69, |v36|, |v37|
	s_and_saveexec_b32 s86, s69
	s_delay_alu instid0(SALU_CYCLE_1)
	s_xor_b32 s69, exec_lo, s86
	s_cbranch_execz .LBB66_75
; %bb.74:                               ;   in Loop: Header=BB66_3 Depth=1
	v_div_scale_f32 v4, null, -v37, -v37, v36
	v_div_scale_f32 v40, vcc_lo, v36, -v37, v36
	s_delay_alu instid0(VALU_DEP_2) | instskip(SKIP_1) | instid1(TRANS32_DEP_1)
	v_rcp_f32_e32 v38, v4
	v_nop
	v_fma_f32 v39, -v4, v38, 1.0
	s_delay_alu instid0(VALU_DEP_1) | instskip(NEXT) | instid1(VALU_DEP_1)
	v_fmac_f32_e32 v38, v39, v38
	v_mul_f32_e32 v39, v40, v38
	s_delay_alu instid0(VALU_DEP_1) | instskip(NEXT) | instid1(VALU_DEP_1)
	v_fma_f32 v41, -v4, v39, v40
	v_fmac_f32_e32 v39, v41, v38
	s_delay_alu instid0(VALU_DEP_1) | instskip(NEXT) | instid1(VALU_DEP_1)
	v_fma_f32 v4, -v4, v39, v40
	v_div_fmas_f32 v4, v4, v38, v39
	s_delay_alu instid0(VALU_DEP_1) | instskip(NEXT) | instid1(VALU_DEP_1)
	v_div_fixup_f32 v4, v4, -v37, v36
	v_fma_f32 v36, v36, v4, -v37
	s_delay_alu instid0(VALU_DEP_1) | instskip(SKIP_1) | instid1(VALU_DEP_2)
	v_div_scale_f32 v37, null, v36, v36, 1.0
	v_div_scale_f32 v40, vcc_lo, 1.0, v36, 1.0
	v_rcp_f32_e32 v38, v37
	v_nop
	s_delay_alu instid0(TRANS32_DEP_1) | instskip(NEXT) | instid1(VALU_DEP_1)
	v_fma_f32 v39, -v37, v38, 1.0
	v_fmac_f32_e32 v38, v39, v38
	s_delay_alu instid0(VALU_DEP_1) | instskip(NEXT) | instid1(VALU_DEP_1)
	v_mul_f32_e32 v39, v40, v38
	v_fma_f32 v41, -v37, v39, v40
	s_delay_alu instid0(VALU_DEP_1) | instskip(NEXT) | instid1(VALU_DEP_1)
	v_fmac_f32_e32 v39, v41, v38
	v_fma_f32 v37, -v37, v39, v40
	s_delay_alu instid0(VALU_DEP_1) | instskip(NEXT) | instid1(VALU_DEP_1)
	v_div_fmas_f32 v37, v37, v38, v39
	v_div_fixup_f32 v36, v37, v36, 1.0
	s_delay_alu instid0(VALU_DEP_1)
	v_mul_f32_e32 v38, v4, v36
	v_xor_b32_e32 v39, 0x80000000, v36
                                        ; implicit-def: $vgpr36_vgpr37
.LBB66_75:                              ;   in Loop: Header=BB66_3 Depth=1
	s_and_not1_saveexec_b32 s69, s69
	s_cbranch_execz .LBB66_77
; %bb.76:                               ;   in Loop: Header=BB66_3 Depth=1
	v_div_scale_f32 v4, null, v36, v36, -v37
	v_div_scale_f32 v40, vcc_lo, -v37, v36, -v37
	s_delay_alu instid0(VALU_DEP_2) | instskip(SKIP_1) | instid1(TRANS32_DEP_1)
	v_rcp_f32_e32 v38, v4
	v_nop
	v_fma_f32 v39, -v4, v38, 1.0
	s_delay_alu instid0(VALU_DEP_1) | instskip(NEXT) | instid1(VALU_DEP_1)
	v_fmac_f32_e32 v38, v39, v38
	v_mul_f32_e32 v39, v40, v38
	s_delay_alu instid0(VALU_DEP_1) | instskip(NEXT) | instid1(VALU_DEP_1)
	v_fma_f32 v41, -v4, v39, v40
	v_fmac_f32_e32 v39, v41, v38
	s_delay_alu instid0(VALU_DEP_1) | instskip(NEXT) | instid1(VALU_DEP_1)
	v_fma_f32 v4, -v4, v39, v40
	v_div_fmas_f32 v4, v4, v38, v39
	s_delay_alu instid0(VALU_DEP_1) | instskip(NEXT) | instid1(VALU_DEP_1)
	v_div_fixup_f32 v4, v4, v36, -v37
	v_fma_f32 v36, -v37, v4, v36
	s_delay_alu instid0(VALU_DEP_1) | instskip(NEXT) | instid1(VALU_DEP_1)
	v_div_scale_f32 v37, null, v36, v36, 1.0
	v_rcp_f32_e32 v38, v37
	v_nop
	s_delay_alu instid0(TRANS32_DEP_1) | instskip(NEXT) | instid1(VALU_DEP_1)
	v_fma_f32 v39, -v37, v38, 1.0
	v_fmac_f32_e32 v38, v39, v38
	v_div_scale_f32 v39, vcc_lo, 1.0, v36, 1.0
	s_delay_alu instid0(VALU_DEP_1) | instskip(NEXT) | instid1(VALU_DEP_1)
	v_mul_f32_e32 v40, v39, v38
	v_fma_f32 v41, -v37, v40, v39
	s_delay_alu instid0(VALU_DEP_1) | instskip(NEXT) | instid1(VALU_DEP_1)
	v_fmac_f32_e32 v40, v41, v38
	v_fma_f32 v37, -v37, v40, v39
	s_delay_alu instid0(VALU_DEP_1) | instskip(NEXT) | instid1(VALU_DEP_1)
	v_div_fmas_f32 v37, v37, v38, v40
	v_div_fixup_f32 v38, v37, v36, 1.0
	s_delay_alu instid0(VALU_DEP_1)
	v_mul_f32_e64 v39, v4, -v38
.LBB66_77:                              ;   in Loop: Header=BB66_3 Depth=1
	s_or_b32 exec_lo, exec_lo, s69
	ds_store_b64 v81, v[38:39]
.LBB66_78:                              ;   in Loop: Header=BB66_3 Depth=1
	s_or_b32 exec_lo, exec_lo, s68
.LBB66_79:                              ;   in Loop: Header=BB66_3 Depth=1
	s_and_not1_saveexec_b32 s65, s65
	s_cbranch_execz .LBB66_81
; %bb.80:                               ;   in Loop: Header=BB66_3 Depth=1
	v_lshl_add_u64 v[36:37], v[20:21], 3, s[84:85]
	global_load_b64 v[36:37], v[36:37], off
	s_wait_loadcnt 0x0
	v_xor_b32_e32 v36, 0x80000000, v36
	ds_store_b64 v81, v[36:37]
.LBB66_81:                              ;   in Loop: Header=BB66_3 Depth=1
	s_or_b32 exec_lo, exec_lo, s65
.LBB66_82:                              ;   in Loop: Header=BB66_3 Depth=1
	s_delay_alu instid0(SALU_CYCLE_1)
	s_and_not1_b32 vcc_lo, exec_lo, s93
	s_wait_loadcnt_dscnt 0x0
	s_barrier_signal -1
	s_barrier_wait -1
	s_cbranch_vccnz .LBB66_1004
; %bb.83:                               ;   in Loop: Header=BB66_3 Depth=1
	s_and_saveexec_b32 s65, s14
	s_cbranch_execz .LBB66_85
; %bb.84:                               ;   in Loop: Header=BB66_3 Depth=1
	v_add_nc_u32_e64 v4, 0x1f0, 0
	ds_load_b64 v[40:41], v5 offset:32760
	ds_load_2addr_stride64_b64 v[36:39], v4 offset0:62 offset1:63
	s_wait_dscnt 0x0
	v_dual_mul_f32 v42, v41, v37 :: v_dual_mul_f32 v4, v40, v37
	s_delay_alu instid0(VALU_DEP_1) | instskip(NEXT) | instid1(VALU_DEP_1)
	v_xor_b32_e32 v42, 0x80000000, v42
	v_dual_fmac_f32 v4, v41, v36 :: v_dual_fmac_f32 v42, v40, v36
	s_delay_alu instid0(VALU_DEP_1) | instskip(SKIP_1) | instid1(VALU_DEP_2)
	v_pk_mul_f32 v[36:37], v[4:5], v[38:39] op_sel:[0,1] op_sel_hi:[0,0]
	v_add_nc_u32_e64 v4, 0x7800, 0
	v_pk_fma_f32 v[40:41], v[42:43], v[38:39], v[36:37] op_sel_hi:[0,1,1]
	v_pk_fma_f32 v[36:37], v[42:43], v[38:39], v[36:37] neg_lo:[0,0,1] neg_hi:[0,0,1]
	s_delay_alu instid0(VALU_DEP_2)
	v_mov_b32_e32 v37, v41
	ds_store_2addr_b64 v4, v[36:37], v[36:37] offset0:191 offset1:254
.LBB66_85:                              ;   in Loop: Header=BB66_3 Depth=1
	s_or_b32 exec_lo, exec_lo, s65
	v_dual_mov_b32 v36, 0 :: v_dual_mov_b32 v37, 0
	s_wait_dscnt 0x0
	s_barrier_signal -1
	s_barrier_wait -1
	global_wb scope:SCOPE_DEV
	s_wait_storecnt 0x0
	global_inv scope:SCOPE_DEV
	s_and_saveexec_b32 s65, s0
	s_cbranch_execz .LBB66_89
; %bb.86:                               ;   in Loop: Header=BB66_3 Depth=1
	ds_load_b64 v[36:37], v45 offset:32224
	ds_load_b64 v[38:39], v46 offset:32752
	s_wait_dscnt 0x0
	v_pk_mul_f32 v[40:41], v[38:39], v[36:37] op_sel:[1,1] op_sel_hi:[0,1]
	s_delay_alu instid0(VALU_DEP_1) | instskip(SKIP_1) | instid1(VALU_DEP_2)
	v_pk_fma_f32 v[94:95], v[38:39], v[36:37], v[40:41] op_sel_hi:[1,0,1]
	v_pk_fma_f32 v[36:37], v[38:39], v[36:37], v[40:41] neg_lo:[0,0,1] neg_hi:[0,0,1]
	v_mov_b32_e32 v37, v95
	s_delay_alu instid0(VALU_DEP_1)
	v_pk_add_f32 v[36:37], v[36:37], 0 op_sel_hi:[1,0]
	s_and_saveexec_b32 s68, s15
	s_cbranch_execz .LBB66_88
; %bb.87:                               ;   in Loop: Header=BB66_3 Depth=1
	ds_load_b64 v[38:39], v47 offset:32736
	ds_load_b64 v[40:41], v5 offset:32760
	s_wait_dscnt 0x0
	v_pk_mul_f32 v[94:95], v[40:41], v[38:39] op_sel:[1,1] op_sel_hi:[0,1]
	s_delay_alu instid0(VALU_DEP_1) | instskip(SKIP_1) | instid1(VALU_DEP_2)
	v_pk_fma_f32 v[96:97], v[40:41], v[38:39], v[94:95] op_sel_hi:[1,0,1]
	v_pk_fma_f32 v[38:39], v[40:41], v[38:39], v[94:95] neg_lo:[0,0,1] neg_hi:[0,0,1]
	v_mov_b32_e32 v39, v97
	s_delay_alu instid0(VALU_DEP_1)
	v_pk_add_f32 v[36:37], v[36:37], v[38:39]
.LBB66_88:                              ;   in Loop: Header=BB66_3 Depth=1
	s_or_b32 exec_lo, exec_lo, s68
.LBB66_89:                              ;   in Loop: Header=BB66_3 Depth=1
	s_delay_alu instid0(SALU_CYCLE_1)
	s_or_b32 exec_lo, exec_lo, s65
	s_and_saveexec_b32 s65, s94
	s_cbranch_execz .LBB66_91
; %bb.90:                               ;   in Loop: Header=BB66_3 Depth=1
	ds_load_b64 v[38:39], v5 offset:31720
	s_wait_dscnt 0x0
	v_pk_mul_f32 v[40:41], v[36:37], v[38:39] op_sel:[1,1] op_sel_hi:[1,0]
	s_delay_alu instid0(VALU_DEP_1) | instskip(SKIP_1) | instid1(VALU_DEP_2)
	v_pk_fma_f32 v[94:95], v[36:37], v[38:39], v[40:41] op_sel_hi:[0,1,1]
	v_pk_fma_f32 v[36:37], v[36:37], v[38:39], v[40:41] neg_lo:[0,0,1] neg_hi:[0,0,1]
	v_mov_b32_e32 v37, v95
	s_delay_alu instid0(VALU_DEP_1)
	v_pk_add_f32 v[38:39], v[36:37], 0 neg_lo:[1,1] neg_hi:[1,1]
	ds_store_b64 v3, v[38:39]
.LBB66_91:                              ;   in Loop: Header=BB66_3 Depth=1
	s_or_b32 exec_lo, exec_lo, s65
	s_wait_loadcnt_dscnt 0x0
	s_barrier_signal -1
	s_barrier_wait -1
	s_and_saveexec_b32 s65, s95
	s_cbranch_execz .LBB66_93
; %bb.92:                               ;   in Loop: Header=BB66_3 Depth=1
	ds_load_b64 v[38:39], v5 offset:31712
	ds_load_b64 v[40:41], v3
	s_wait_dscnt 0x0
	v_pk_mul_f32 v[94:95], v[40:41], v[38:39] op_sel:[1,1] op_sel_hi:[0,1]
	s_delay_alu instid0(VALU_DEP_1) | instskip(SKIP_1) | instid1(VALU_DEP_2)
	v_pk_fma_f32 v[96:97], v[40:41], v[38:39], v[94:95] op_sel_hi:[1,0,1]
	v_pk_fma_f32 v[38:39], v[40:41], v[38:39], v[94:95] neg_lo:[0,0,1] neg_hi:[0,0,1]
	v_mov_b32_e32 v39, v97
	s_delay_alu instid0(VALU_DEP_1)
	v_pk_add_f32 v[36:37], v[36:37], v[38:39] neg_lo:[0,1] neg_hi:[0,1]
.LBB66_93:                              ;   in Loop: Header=BB66_3 Depth=1
	s_or_b32 exec_lo, exec_lo, s65
	s_barrier_signal -1
	s_barrier_wait -1
	s_and_saveexec_b32 s65, s95
	s_cbranch_execz .LBB66_95
; %bb.94:                               ;   in Loop: Header=BB66_3 Depth=1
	ds_load_b64 v[38:39], v5 offset:31200
	s_wait_dscnt 0x0
	v_pk_mul_f32 v[40:41], v[36:37], v[38:39] op_sel:[1,1] op_sel_hi:[1,0]
	s_delay_alu instid0(VALU_DEP_1) | instskip(SKIP_1) | instid1(VALU_DEP_2)
	v_pk_fma_f32 v[94:95], v[36:37], v[38:39], v[40:41] op_sel_hi:[0,1,1]
	v_pk_fma_f32 v[36:37], v[36:37], v[38:39], v[40:41] neg_lo:[0,0,1] neg_hi:[0,0,1]
	v_mov_b32_e32 v37, v95
	s_delay_alu instid0(VALU_DEP_1)
	v_pk_add_f32 v[38:39], v[36:37], 0 neg_lo:[1,1] neg_hi:[1,1]
	ds_store_b64 v3, v[38:39]
.LBB66_95:                              ;   in Loop: Header=BB66_3 Depth=1
	s_or_b32 exec_lo, exec_lo, s65
	s_wait_dscnt 0x0
	s_barrier_signal -1
	s_barrier_wait -1
	s_barrier_signal -1
	s_barrier_wait -1
	s_and_saveexec_b32 s65, s0
; %bb.96:                               ;   in Loop: Header=BB66_3 Depth=1
	ds_store_b64 v48, v[36:37] offset:32736
; %bb.97:                               ;   in Loop: Header=BB66_3 Depth=1
	s_or_b32 exec_lo, exec_lo, s65
	s_wait_dscnt 0x0
	s_barrier_signal -1
	s_barrier_wait -1
	s_barrier_signal -1
	s_barrier_wait -1
	s_and_saveexec_b32 s65, s96
	s_cbranch_execz .LBB66_99
; %bb.98:                               ;   in Loop: Header=BB66_3 Depth=1
	ds_load_b64 v[36:37], v49 offset:32224
	s_wait_dscnt 0x0
	ds_store_b64 v47, v[36:37] offset:31216
	ds_load_b64 v[36:37], v49 offset:32232
	s_wait_dscnt 0x0
	ds_store_b64 v47, v[36:37] offset:31728
.LBB66_99:                              ;   in Loop: Header=BB66_3 Depth=1
	s_or_b32 exec_lo, exec_lo, s65
	s_wait_dscnt 0x0
	s_barrier_signal -1
	s_barrier_wait -1
	s_and_saveexec_b32 s65, s14
	s_cbranch_execz .LBB66_101
; %bb.100:                              ;   in Loop: Header=BB66_3 Depth=1
	v_add_nc_u32_e64 v4, 0x1e0, 0
	ds_load_b64 v[40:41], v5 offset:31720
	ds_load_2addr_stride64_b64 v[36:39], v4 offset0:60 offset1:61
	s_wait_dscnt 0x0
	v_dual_mul_f32 v42, v41, v37 :: v_dual_mul_f32 v4, v40, v37
	s_delay_alu instid0(VALU_DEP_1) | instskip(NEXT) | instid1(VALU_DEP_1)
	v_xor_b32_e32 v42, 0x80000000, v42
	v_dual_fmac_f32 v4, v41, v36 :: v_dual_fmac_f32 v42, v40, v36
	s_delay_alu instid0(VALU_DEP_1) | instskip(SKIP_1) | instid1(VALU_DEP_2)
	v_pk_mul_f32 v[36:37], v[4:5], v[38:39] op_sel:[0,1] op_sel_hi:[0,0]
	v_add_nc_u32_e64 v4, 0x7800, 0
	v_pk_fma_f32 v[40:41], v[42:43], v[38:39], v[36:37] op_sel_hi:[0,1,1]
	v_pk_fma_f32 v[36:37], v[42:43], v[38:39], v[36:37] neg_lo:[0,0,1] neg_hi:[0,0,1]
	s_delay_alu instid0(VALU_DEP_2)
	v_mov_b32_e32 v37, v41
	ds_store_2addr_b64 v4, v[36:37], v[36:37] offset0:61 offset1:124
.LBB66_101:                             ;   in Loop: Header=BB66_3 Depth=1
	s_or_b32 exec_lo, exec_lo, s65
	v_mov_b64_e32 v[36:37], 0
	s_wait_dscnt 0x0
	s_barrier_signal -1
	s_barrier_wait -1
	global_wb scope:SCOPE_DEV
	s_wait_storecnt 0x0
	global_inv scope:SCOPE_DEV
	s_and_saveexec_b32 s65, s2
	s_cbranch_execz .LBB66_107
; %bb.102:                              ;   in Loop: Header=BB66_3 Depth=1
	ds_load_b64 v[36:37], v51 offset:31168
	ds_load_b64 v[38:39], v52 offset:32736
	s_wait_dscnt 0x0
	v_dual_mul_f32 v4, v39, v37 :: v_dual_mul_f32 v37, v38, v37
	s_delay_alu instid0(VALU_DEP_1) | instskip(NEXT) | instid1(VALU_DEP_1)
	v_dual_fma_f32 v4, v38, v36, -v4 :: v_dual_fmac_f32 v37, v39, v36
	v_dual_add_f32 v36, 0, v4 :: v_dual_add_f32 v37, 0, v37
	s_and_saveexec_b32 s68, s16
	s_cbranch_execnz .LBB66_1124
; %bb.103:                              ;   in Loop: Header=BB66_3 Depth=1
	s_or_b32 exec_lo, exec_lo, s68
	s_and_saveexec_b32 s68, s17
	s_cbranch_execnz .LBB66_1125
.LBB66_104:                             ;   in Loop: Header=BB66_3 Depth=1
	s_or_b32 exec_lo, exec_lo, s68
	s_and_saveexec_b32 s68, s0
	s_cbranch_execz .LBB66_106
.LBB66_105:                             ;   in Loop: Header=BB66_3 Depth=1
	ds_load_b64 v[38:39], v54 offset:32704
	ds_load_b64 v[40:41], v5 offset:32760
	s_wait_dscnt 0x0
	v_dual_mul_f32 v4, v41, v39 :: v_dual_mul_f32 v39, v40, v39
	s_delay_alu instid0(VALU_DEP_1) | instskip(NEXT) | instid1(VALU_DEP_1)
	v_dual_fma_f32 v4, v40, v38, -v4 :: v_dual_fmac_f32 v39, v41, v38
	v_dual_add_f32 v36, v36, v4 :: v_dual_add_f32 v37, v37, v39
.LBB66_106:                             ;   in Loop: Header=BB66_3 Depth=1
	s_or_b32 exec_lo, exec_lo, s68
.LBB66_107:                             ;   in Loop: Header=BB66_3 Depth=1
	s_delay_alu instid0(SALU_CYCLE_1)
	s_or_b32 exec_lo, exec_lo, s65
	s_and_saveexec_b32 s65, s97
	s_cbranch_execz .LBB66_109
; %bb.108:                              ;   in Loop: Header=BB66_3 Depth=1
	ds_load_b64 v[38:39], v5 offset:30680
	s_wait_dscnt 0x0
	v_dual_mul_f32 v4, v37, v38 :: v_dual_mul_f32 v40, v37, v39
	s_delay_alu instid0(VALU_DEP_1) | instskip(NEXT) | instid1(VALU_DEP_2)
	v_pk_fma_f32 v[94:95], v[36:37], v[38:39], v[4:5] op_sel:[1,0,0] op_sel_hi:[0,1,0]
	v_pk_fma_f32 v[36:37], v[36:37], v[38:39], v[40:41] op_sel_hi:[1,1,0] neg_lo:[0,0,1] neg_hi:[0,0,1]
	s_delay_alu instid0(VALU_DEP_2) | instskip(NEXT) | instid1(VALU_DEP_1)
	v_mov_b32_e32 v37, v95
	v_pk_add_f32 v[38:39], v[36:37], 0 neg_lo:[1,1] neg_hi:[1,1]
	ds_store_b64 v50, v[38:39]
.LBB66_109:                             ;   in Loop: Header=BB66_3 Depth=1
	s_or_b32 exec_lo, exec_lo, s65
	s_wait_loadcnt_dscnt 0x0
	s_barrier_signal -1
	s_barrier_wait -1
	s_and_saveexec_b32 s65, s98
	s_cbranch_execz .LBB66_111
; %bb.110:                              ;   in Loop: Header=BB66_3 Depth=1
	ds_load_b64 v[38:39], v51 offset:30656
	ds_load_b64 v[40:41], v50
	s_wait_dscnt 0x0
	v_pk_mul_f32 v[94:95], v[40:41], v[38:39] op_sel:[1,1] op_sel_hi:[0,1]
	s_delay_alu instid0(VALU_DEP_1) | instskip(SKIP_1) | instid1(VALU_DEP_2)
	v_pk_fma_f32 v[96:97], v[40:41], v[38:39], v[94:95] op_sel_hi:[1,0,1]
	v_pk_fma_f32 v[38:39], v[40:41], v[38:39], v[94:95] neg_lo:[0,0,1] neg_hi:[0,0,1]
	v_mov_b32_e32 v39, v97
	s_delay_alu instid0(VALU_DEP_1)
	v_pk_add_f32 v[36:37], v[36:37], v[38:39] neg_lo:[0,1] neg_hi:[0,1]
.LBB66_111:                             ;   in Loop: Header=BB66_3 Depth=1
	s_or_b32 exec_lo, exec_lo, s65
	s_barrier_signal -1
	s_barrier_wait -1
	s_and_saveexec_b32 s65, s99
	s_cbranch_execz .LBB66_113
; %bb.112:                              ;   in Loop: Header=BB66_3 Depth=1
	ds_load_b64 v[38:39], v5 offset:30160
	s_wait_dscnt 0x0
	v_pk_mul_f32 v[40:41], v[36:37], v[38:39] op_sel:[1,1] op_sel_hi:[1,0]
	s_delay_alu instid0(VALU_DEP_1) | instskip(SKIP_1) | instid1(VALU_DEP_2)
	v_pk_fma_f32 v[94:95], v[36:37], v[38:39], v[40:41] op_sel_hi:[0,1,1]
	v_pk_fma_f32 v[36:37], v[36:37], v[38:39], v[40:41] neg_lo:[0,0,1] neg_hi:[0,0,1]
	v_mov_b32_e32 v37, v95
	s_delay_alu instid0(VALU_DEP_1)
	v_pk_add_f32 v[38:39], v[36:37], 0 neg_lo:[1,1] neg_hi:[1,1]
	ds_store_b64 v50, v[38:39]
.LBB66_113:                             ;   in Loop: Header=BB66_3 Depth=1
	s_or_b32 exec_lo, exec_lo, s65
	s_wait_dscnt 0x0
	s_barrier_signal -1
	s_barrier_wait -1
	s_and_saveexec_b32 s65, s100
	s_cbranch_execz .LBB66_115
; %bb.114:                              ;   in Loop: Header=BB66_3 Depth=1
	ds_load_b64 v[38:39], v51 offset:30144
	ds_load_b64 v[40:41], v50
	s_wait_dscnt 0x0
	v_pk_mul_f32 v[94:95], v[40:41], v[38:39] op_sel:[1,1] op_sel_hi:[0,1]
	s_delay_alu instid0(VALU_DEP_1) | instskip(SKIP_1) | instid1(VALU_DEP_2)
	v_pk_fma_f32 v[96:97], v[40:41], v[38:39], v[94:95] op_sel_hi:[1,0,1]
	v_pk_fma_f32 v[38:39], v[40:41], v[38:39], v[94:95] neg_lo:[0,0,1] neg_hi:[0,0,1]
	v_mov_b32_e32 v39, v97
	s_delay_alu instid0(VALU_DEP_1)
	v_pk_add_f32 v[36:37], v[36:37], v[38:39] neg_lo:[0,1] neg_hi:[0,1]
.LBB66_115:                             ;   in Loop: Header=BB66_3 Depth=1
	s_or_b32 exec_lo, exec_lo, s65
	s_barrier_signal -1
	s_barrier_wait -1
	s_and_saveexec_b32 s65, s101
	s_cbranch_execz .LBB66_117
; %bb.116:                              ;   in Loop: Header=BB66_3 Depth=1
	ds_load_b64 v[38:39], v5 offset:29640
	s_wait_dscnt 0x0
	v_pk_mul_f32 v[40:41], v[36:37], v[38:39] op_sel:[1,1] op_sel_hi:[1,0]
	s_delay_alu instid0(VALU_DEP_1) | instskip(SKIP_1) | instid1(VALU_DEP_2)
	v_pk_fma_f32 v[94:95], v[36:37], v[38:39], v[40:41] op_sel_hi:[0,1,1]
	v_pk_fma_f32 v[36:37], v[36:37], v[38:39], v[40:41] neg_lo:[0,0,1] neg_hi:[0,0,1]
	v_mov_b32_e32 v37, v95
	s_delay_alu instid0(VALU_DEP_1)
	v_pk_add_f32 v[38:39], v[36:37], 0 neg_lo:[1,1] neg_hi:[1,1]
	ds_store_b64 v50, v[38:39]
.LBB66_117:                             ;   in Loop: Header=BB66_3 Depth=1
	s_or_b32 exec_lo, exec_lo, s65
	s_wait_dscnt 0x0
	;; [unrolled: 35-line block ×3, first 2 shown]
	s_barrier_signal -1
	s_barrier_wait -1
	s_barrier_signal -1
	s_barrier_wait -1
	s_and_saveexec_b32 s65, s2
; %bb.122:                              ;   in Loop: Header=BB66_3 Depth=1
	ds_store_b64 v55, v[36:37] offset:32704
; %bb.123:                              ;   in Loop: Header=BB66_3 Depth=1
	s_or_b32 exec_lo, exec_lo, s65
	s_wait_dscnt 0x0
	s_barrier_signal -1
	s_barrier_wait -1
	s_barrier_signal -1
	s_barrier_wait -1
	s_and_saveexec_b32 s65, s103
	s_cbranch_execz .LBB66_125
; %bb.124:                              ;   in Loop: Header=BB66_3 Depth=1
	ds_load_b64 v[36:37], v56 offset:31168
	s_wait_dscnt 0x0
	ds_store_b64 v69, v[36:37] offset:29152
	ds_load_b64 v[36:37], v56 offset:31176
	s_wait_dscnt 0x0
	ds_store_b64 v69, v[36:37] offset:29664
	;; [unrolled: 3-line block ×4, first 2 shown]
.LBB66_125:                             ;   in Loop: Header=BB66_3 Depth=1
	s_or_b32 exec_lo, exec_lo, s65
	s_wait_dscnt 0x0
	s_barrier_signal -1
	s_barrier_wait -1
	s_and_saveexec_b32 s65, s14
	s_cbranch_execz .LBB66_127
; %bb.126:                              ;   in Loop: Header=BB66_3 Depth=1
	v_add_nc_u32_e64 v4, 0x1d0, 0
	ds_load_b64 v[40:41], v5 offset:30680
	ds_load_2addr_stride64_b64 v[36:39], v4 offset0:58 offset1:59
	s_wait_dscnt 0x0
	v_dual_mul_f32 v42, v41, v37 :: v_dual_mul_f32 v4, v40, v37
	s_delay_alu instid0(VALU_DEP_1) | instskip(NEXT) | instid1(VALU_DEP_1)
	v_xor_b32_e32 v42, 0x80000000, v42
	v_dual_fmac_f32 v4, v41, v36 :: v_dual_fmac_f32 v42, v40, v36
	s_delay_alu instid0(VALU_DEP_1) | instskip(SKIP_1) | instid1(VALU_DEP_2)
	v_pk_mul_f32 v[36:37], v[4:5], v[38:39] op_sel:[0,1] op_sel_hi:[0,0]
	v_add_nc_u32_e64 v4, 0x7000, 0
	v_pk_fma_f32 v[40:41], v[42:43], v[38:39], v[36:37] op_sel_hi:[0,1,1]
	v_pk_fma_f32 v[36:37], v[42:43], v[38:39], v[36:37] neg_lo:[0,0,1] neg_hi:[0,0,1]
	s_delay_alu instid0(VALU_DEP_2)
	v_mov_b32_e32 v37, v41
	ds_store_2addr_b64 v4, v[36:37], v[36:37] offset0:187 offset1:250
.LBB66_127:                             ;   in Loop: Header=BB66_3 Depth=1
	s_or_b32 exec_lo, exec_lo, s65
	v_dual_mov_b32 v36, 0 :: v_dual_mov_b32 v37, 0
	s_wait_dscnt 0x0
	s_barrier_signal -1
	s_barrier_wait -1
	global_wb scope:SCOPE_DEV
	s_wait_storecnt 0x0
	global_inv scope:SCOPE_DEV
	s_and_saveexec_b32 s65, s0
	s_cbranch_execz .LBB66_131
; %bb.128:                              ;   in Loop: Header=BB66_3 Depth=1
	ds_load_b64 v[36:37], v45 offset:30144
	ds_load_b64 v[38:39], v46 offset:30672
	s_wait_dscnt 0x0
	v_pk_mul_f32 v[40:41], v[38:39], v[36:37] op_sel:[1,1] op_sel_hi:[0,1]
	s_delay_alu instid0(VALU_DEP_1) | instskip(SKIP_1) | instid1(VALU_DEP_2)
	v_pk_fma_f32 v[94:95], v[38:39], v[36:37], v[40:41] op_sel_hi:[1,0,1]
	v_pk_fma_f32 v[36:37], v[38:39], v[36:37], v[40:41] neg_lo:[0,0,1] neg_hi:[0,0,1]
	v_mov_b32_e32 v37, v95
	s_delay_alu instid0(VALU_DEP_1)
	v_pk_add_f32 v[36:37], v[36:37], 0 op_sel_hi:[1,0]
	s_and_saveexec_b32 s68, s15
	s_cbranch_execz .LBB66_130
; %bb.129:                              ;   in Loop: Header=BB66_3 Depth=1
	ds_load_b64 v[38:39], v69 offset:30656
	ds_load_b64 v[40:41], v5 offset:30680
	s_wait_dscnt 0x0
	v_pk_mul_f32 v[94:95], v[40:41], v[38:39] op_sel:[1,1] op_sel_hi:[0,1]
	s_delay_alu instid0(VALU_DEP_1) | instskip(SKIP_1) | instid1(VALU_DEP_2)
	v_pk_fma_f32 v[96:97], v[40:41], v[38:39], v[94:95] op_sel_hi:[1,0,1]
	v_pk_fma_f32 v[38:39], v[40:41], v[38:39], v[94:95] neg_lo:[0,0,1] neg_hi:[0,0,1]
	v_mov_b32_e32 v39, v97
	s_delay_alu instid0(VALU_DEP_1)
	v_pk_add_f32 v[36:37], v[36:37], v[38:39]
.LBB66_130:                             ;   in Loop: Header=BB66_3 Depth=1
	s_or_b32 exec_lo, exec_lo, s68
.LBB66_131:                             ;   in Loop: Header=BB66_3 Depth=1
	s_delay_alu instid0(SALU_CYCLE_1)
	s_or_b32 exec_lo, exec_lo, s65
	s_and_saveexec_b32 s65, s94
	s_cbranch_execz .LBB66_133
; %bb.132:                              ;   in Loop: Header=BB66_3 Depth=1
	ds_load_b64 v[38:39], v5 offset:29640
	s_wait_dscnt 0x0
	v_pk_mul_f32 v[40:41], v[36:37], v[38:39] op_sel:[1,1] op_sel_hi:[1,0]
	s_delay_alu instid0(VALU_DEP_1) | instskip(SKIP_1) | instid1(VALU_DEP_2)
	v_pk_fma_f32 v[94:95], v[36:37], v[38:39], v[40:41] op_sel_hi:[0,1,1]
	v_pk_fma_f32 v[36:37], v[36:37], v[38:39], v[40:41] neg_lo:[0,0,1] neg_hi:[0,0,1]
	v_mov_b32_e32 v37, v95
	s_delay_alu instid0(VALU_DEP_1)
	v_pk_add_f32 v[38:39], v[36:37], 0 neg_lo:[1,1] neg_hi:[1,1]
	ds_store_b64 v3, v[38:39]
.LBB66_133:                             ;   in Loop: Header=BB66_3 Depth=1
	s_or_b32 exec_lo, exec_lo, s65
	s_wait_loadcnt_dscnt 0x0
	s_barrier_signal -1
	s_barrier_wait -1
	s_and_saveexec_b32 s65, s95
	s_cbranch_execz .LBB66_135
; %bb.134:                              ;   in Loop: Header=BB66_3 Depth=1
	ds_load_b64 v[38:39], v5 offset:29632
	ds_load_b64 v[40:41], v3
	s_wait_dscnt 0x0
	v_pk_mul_f32 v[94:95], v[40:41], v[38:39] op_sel:[1,1] op_sel_hi:[0,1]
	s_delay_alu instid0(VALU_DEP_1) | instskip(SKIP_1) | instid1(VALU_DEP_2)
	v_pk_fma_f32 v[96:97], v[40:41], v[38:39], v[94:95] op_sel_hi:[1,0,1]
	v_pk_fma_f32 v[38:39], v[40:41], v[38:39], v[94:95] neg_lo:[0,0,1] neg_hi:[0,0,1]
	v_mov_b32_e32 v39, v97
	s_delay_alu instid0(VALU_DEP_1)
	v_pk_add_f32 v[36:37], v[36:37], v[38:39] neg_lo:[0,1] neg_hi:[0,1]
.LBB66_135:                             ;   in Loop: Header=BB66_3 Depth=1
	s_or_b32 exec_lo, exec_lo, s65
	s_barrier_signal -1
	s_barrier_wait -1
	s_and_saveexec_b32 s65, s95
	s_cbranch_execz .LBB66_137
; %bb.136:                              ;   in Loop: Header=BB66_3 Depth=1
	ds_load_b64 v[38:39], v5 offset:29120
	s_wait_dscnt 0x0
	v_pk_mul_f32 v[40:41], v[36:37], v[38:39] op_sel:[1,1] op_sel_hi:[1,0]
	s_delay_alu instid0(VALU_DEP_1) | instskip(SKIP_1) | instid1(VALU_DEP_2)
	v_pk_fma_f32 v[94:95], v[36:37], v[38:39], v[40:41] op_sel_hi:[0,1,1]
	v_pk_fma_f32 v[36:37], v[36:37], v[38:39], v[40:41] neg_lo:[0,0,1] neg_hi:[0,0,1]
	v_mov_b32_e32 v37, v95
	s_delay_alu instid0(VALU_DEP_1)
	v_pk_add_f32 v[38:39], v[36:37], 0 neg_lo:[1,1] neg_hi:[1,1]
	ds_store_b64 v3, v[38:39]
.LBB66_137:                             ;   in Loop: Header=BB66_3 Depth=1
	s_or_b32 exec_lo, exec_lo, s65
	s_wait_dscnt 0x0
	s_barrier_signal -1
	s_barrier_wait -1
	s_barrier_signal -1
	s_barrier_wait -1
	s_and_saveexec_b32 s65, s0
; %bb.138:                              ;   in Loop: Header=BB66_3 Depth=1
	ds_store_b64 v48, v[36:37] offset:30656
; %bb.139:                              ;   in Loop: Header=BB66_3 Depth=1
	s_or_b32 exec_lo, exec_lo, s65
	s_wait_dscnt 0x0
	s_barrier_signal -1
	s_barrier_wait -1
	s_barrier_signal -1
	s_barrier_wait -1
	s_and_saveexec_b32 s65, s96
	s_cbranch_execz .LBB66_141
; %bb.140:                              ;   in Loop: Header=BB66_3 Depth=1
	ds_load_b64 v[36:37], v70 offset:30144
	s_wait_dscnt 0x0
	ds_store_b64 v69, v[36:37] offset:29136
	ds_load_b64 v[36:37], v70 offset:30152
	s_wait_dscnt 0x0
	ds_store_b64 v69, v[36:37] offset:29648
.LBB66_141:                             ;   in Loop: Header=BB66_3 Depth=1
	s_or_b32 exec_lo, exec_lo, s65
	s_wait_dscnt 0x0
	s_barrier_signal -1
	s_barrier_wait -1
	s_and_saveexec_b32 s65, s14
	s_cbranch_execz .LBB66_143
; %bb.142:                              ;   in Loop: Header=BB66_3 Depth=1
	v_add_nc_u32_e64 v4, 0x1c0, 0
	ds_load_b64 v[40:41], v5 offset:29640
	ds_load_2addr_stride64_b64 v[36:39], v4 offset0:56 offset1:57
	s_wait_dscnt 0x0
	v_dual_mul_f32 v42, v41, v37 :: v_dual_mul_f32 v4, v40, v37
	s_delay_alu instid0(VALU_DEP_1) | instskip(NEXT) | instid1(VALU_DEP_1)
	v_xor_b32_e32 v42, 0x80000000, v42
	v_dual_fmac_f32 v4, v41, v36 :: v_dual_fmac_f32 v42, v40, v36
	s_delay_alu instid0(VALU_DEP_1) | instskip(SKIP_1) | instid1(VALU_DEP_2)
	v_pk_mul_f32 v[36:37], v[4:5], v[38:39] op_sel:[0,1] op_sel_hi:[0,0]
	v_add_nc_u32_e64 v4, 0x7000, 0
	v_pk_fma_f32 v[40:41], v[42:43], v[38:39], v[36:37] op_sel_hi:[0,1,1]
	v_pk_fma_f32 v[36:37], v[42:43], v[38:39], v[36:37] neg_lo:[0,0,1] neg_hi:[0,0,1]
	s_delay_alu instid0(VALU_DEP_2)
	v_mov_b32_e32 v37, v41
	ds_store_2addr_b64 v4, v[36:37], v[36:37] offset0:57 offset1:120
.LBB66_143:                             ;   in Loop: Header=BB66_3 Depth=1
	s_or_b32 exec_lo, exec_lo, s65
	v_mov_b64_e32 v[36:37], 0
	s_wait_dscnt 0x0
	s_barrier_signal -1
	s_barrier_wait -1
	global_wb scope:SCOPE_DEV
	s_wait_storecnt 0x0
	global_inv scope:SCOPE_DEV
	s_and_saveexec_b32 s65, s3
	s_cbranch_execz .LBB66_153
; %bb.144:                              ;   in Loop: Header=BB66_3 Depth=1
	ds_load_b64 v[36:37], v58 offset:29056
	ds_load_b64 v[38:39], v59 offset:32704
	s_wait_dscnt 0x0
	v_dual_mul_f32 v4, v39, v37 :: v_dual_mul_f32 v37, v38, v37
	s_delay_alu instid0(VALU_DEP_1) | instskip(NEXT) | instid1(VALU_DEP_1)
	v_dual_fma_f32 v4, v38, v36, -v4 :: v_dual_fmac_f32 v37, v39, v36
	v_dual_add_f32 v36, 0, v4 :: v_dual_add_f32 v37, 0, v37
	s_and_saveexec_b32 s68, s18
	s_cbranch_execnz .LBB66_1126
; %bb.145:                              ;   in Loop: Header=BB66_3 Depth=1
	s_or_b32 exec_lo, exec_lo, s68
	s_and_saveexec_b32 s68, s19
	s_cbranch_execnz .LBB66_1127
.LBB66_146:                             ;   in Loop: Header=BB66_3 Depth=1
	s_or_b32 exec_lo, exec_lo, s68
	s_and_saveexec_b32 s68, s20
	s_cbranch_execnz .LBB66_1128
.LBB66_147:                             ;   in Loop: Header=BB66_3 Depth=1
	s_or_b32 exec_lo, exec_lo, s68
	s_and_saveexec_b32 s68, s21
	s_cbranch_execnz .LBB66_1129
.LBB66_148:                             ;   in Loop: Header=BB66_3 Depth=1
	s_or_b32 exec_lo, exec_lo, s68
	s_and_saveexec_b32 s68, s22
	s_cbranch_execnz .LBB66_1130
.LBB66_149:                             ;   in Loop: Header=BB66_3 Depth=1
	s_or_b32 exec_lo, exec_lo, s68
	s_and_saveexec_b32 s68, s2
	s_cbranch_execnz .LBB66_1131
.LBB66_150:                             ;   in Loop: Header=BB66_3 Depth=1
	s_or_b32 exec_lo, exec_lo, s68
	s_and_saveexec_b32 s68, s17
	s_cbranch_execz .LBB66_152
.LBB66_151:                             ;   in Loop: Header=BB66_3 Depth=1
	ds_load_b64 v[38:39], v71 offset:32640
	ds_load_b64 v[40:41], v5 offset:32760
	s_wait_dscnt 0x0
	v_dual_mul_f32 v4, v41, v39 :: v_dual_mul_f32 v95, v40, v39
	s_delay_alu instid0(VALU_DEP_1) | instskip(NEXT) | instid1(VALU_DEP_1)
	v_dual_fma_f32 v94, v40, v38, -v4 :: v_dual_fmac_f32 v95, v41, v38
	v_pk_add_f32 v[36:37], v[36:37], v[94:95]
.LBB66_152:                             ;   in Loop: Header=BB66_3 Depth=1
	s_or_b32 exec_lo, exec_lo, s68
.LBB66_153:                             ;   in Loop: Header=BB66_3 Depth=1
	s_delay_alu instid0(SALU_CYCLE_1)
	s_or_b32 exec_lo, exec_lo, s65
	s_and_saveexec_b32 s65, s104
	s_cbranch_execz .LBB66_155
; %bb.154:                              ;   in Loop: Header=BB66_3 Depth=1
	ds_load_b64 v[38:39], v5 offset:28600
	s_wait_dscnt 0x0
	v_pk_mul_f32 v[40:41], v[36:37], v[38:39] op_sel:[1,1] op_sel_hi:[1,0]
	s_delay_alu instid0(VALU_DEP_1) | instskip(SKIP_1) | instid1(VALU_DEP_2)
	v_pk_fma_f32 v[94:95], v[36:37], v[38:39], v[40:41] op_sel_hi:[0,1,1]
	v_pk_fma_f32 v[36:37], v[36:37], v[38:39], v[40:41] neg_lo:[0,0,1] neg_hi:[0,0,1]
	v_mov_b32_e32 v37, v95
	s_delay_alu instid0(VALU_DEP_1)
	v_pk_add_f32 v[38:39], v[36:37], 0 neg_lo:[1,1] neg_hi:[1,1]
	ds_store_b64 v57, v[38:39]
.LBB66_155:                             ;   in Loop: Header=BB66_3 Depth=1
	s_or_b32 exec_lo, exec_lo, s65
	s_wait_loadcnt_dscnt 0x0
	s_barrier_signal -1
	s_barrier_wait -1
	s_and_saveexec_b32 s65, vcc_hi
	s_cbranch_execz .LBB66_157
; %bb.156:                              ;   in Loop: Header=BB66_3 Depth=1
	ds_load_b64 v[38:39], v58 offset:28544
	ds_load_b64 v[40:41], v57
	s_wait_dscnt 0x0
	v_pk_mul_f32 v[94:95], v[40:41], v[38:39] op_sel:[1,1] op_sel_hi:[0,1]
	s_delay_alu instid0(VALU_DEP_1) | instskip(SKIP_1) | instid1(VALU_DEP_2)
	v_pk_fma_f32 v[96:97], v[40:41], v[38:39], v[94:95] op_sel_hi:[1,0,1]
	v_pk_fma_f32 v[38:39], v[40:41], v[38:39], v[94:95] neg_lo:[0,0,1] neg_hi:[0,0,1]
	v_mov_b32_e32 v39, v97
	s_delay_alu instid0(VALU_DEP_1)
	v_pk_add_f32 v[36:37], v[36:37], v[38:39] neg_lo:[0,1] neg_hi:[0,1]
.LBB66_157:                             ;   in Loop: Header=BB66_3 Depth=1
	s_or_b32 exec_lo, exec_lo, s65
	s_barrier_signal -1
	s_barrier_wait -1
	s_and_saveexec_b32 s65, s38
	s_cbranch_execz .LBB66_159
; %bb.158:                              ;   in Loop: Header=BB66_3 Depth=1
	ds_load_b64 v[38:39], v5 offset:28080
	s_wait_dscnt 0x0
	v_pk_mul_f32 v[40:41], v[36:37], v[38:39] op_sel:[1,1] op_sel_hi:[1,0]
	s_delay_alu instid0(VALU_DEP_1) | instskip(SKIP_1) | instid1(VALU_DEP_2)
	v_pk_fma_f32 v[94:95], v[36:37], v[38:39], v[40:41] op_sel_hi:[0,1,1]
	v_pk_fma_f32 v[36:37], v[36:37], v[38:39], v[40:41] neg_lo:[0,0,1] neg_hi:[0,0,1]
	v_mov_b32_e32 v37, v95
	s_delay_alu instid0(VALU_DEP_1)
	v_pk_add_f32 v[38:39], v[36:37], 0 neg_lo:[1,1] neg_hi:[1,1]
	ds_store_b64 v57, v[38:39]
.LBB66_159:                             ;   in Loop: Header=BB66_3 Depth=1
	s_or_b32 exec_lo, exec_lo, s65
	s_wait_dscnt 0x0
	s_barrier_signal -1
	s_barrier_wait -1
	s_and_saveexec_b32 s65, s39
	s_cbranch_execz .LBB66_161
; %bb.160:                              ;   in Loop: Header=BB66_3 Depth=1
	ds_load_b64 v[38:39], v58 offset:28032
	ds_load_b64 v[40:41], v57
	s_wait_dscnt 0x0
	v_pk_mul_f32 v[94:95], v[40:41], v[38:39] op_sel:[1,1] op_sel_hi:[0,1]
	s_delay_alu instid0(VALU_DEP_1) | instskip(SKIP_1) | instid1(VALU_DEP_2)
	v_pk_fma_f32 v[96:97], v[40:41], v[38:39], v[94:95] op_sel_hi:[1,0,1]
	v_pk_fma_f32 v[38:39], v[40:41], v[38:39], v[94:95] neg_lo:[0,0,1] neg_hi:[0,0,1]
	v_mov_b32_e32 v39, v97
	s_delay_alu instid0(VALU_DEP_1)
	v_pk_add_f32 v[36:37], v[36:37], v[38:39] neg_lo:[0,1] neg_hi:[0,1]
.LBB66_161:                             ;   in Loop: Header=BB66_3 Depth=1
	s_or_b32 exec_lo, exec_lo, s65
	s_barrier_signal -1
	s_barrier_wait -1
	s_and_saveexec_b32 s65, s40
	s_cbranch_execz .LBB66_163
; %bb.162:                              ;   in Loop: Header=BB66_3 Depth=1
	ds_load_b64 v[38:39], v5 offset:27560
	s_wait_dscnt 0x0
	v_pk_mul_f32 v[40:41], v[36:37], v[38:39] op_sel:[1,1] op_sel_hi:[1,0]
	s_delay_alu instid0(VALU_DEP_1) | instskip(SKIP_1) | instid1(VALU_DEP_2)
	v_pk_fma_f32 v[94:95], v[36:37], v[38:39], v[40:41] op_sel_hi:[0,1,1]
	v_pk_fma_f32 v[36:37], v[36:37], v[38:39], v[40:41] neg_lo:[0,0,1] neg_hi:[0,0,1]
	v_mov_b32_e32 v37, v95
	s_delay_alu instid0(VALU_DEP_1)
	v_pk_add_f32 v[38:39], v[36:37], 0 neg_lo:[1,1] neg_hi:[1,1]
	ds_store_b64 v57, v[38:39]
.LBB66_163:                             ;   in Loop: Header=BB66_3 Depth=1
	s_or_b32 exec_lo, exec_lo, s65
	s_wait_dscnt 0x0
	s_barrier_signal -1
	s_barrier_wait -1
	s_and_saveexec_b32 s65, s41
	s_cbranch_execz .LBB66_165
; %bb.164:                              ;   in Loop: Header=BB66_3 Depth=1
	ds_load_b64 v[38:39], v58 offset:27520
	ds_load_b64 v[40:41], v57
	s_wait_dscnt 0x0
	v_pk_mul_f32 v[94:95], v[40:41], v[38:39] op_sel:[1,1] op_sel_hi:[0,1]
	s_delay_alu instid0(VALU_DEP_1) | instskip(SKIP_1) | instid1(VALU_DEP_2)
	v_pk_fma_f32 v[96:97], v[40:41], v[38:39], v[94:95] op_sel_hi:[1,0,1]
	v_pk_fma_f32 v[38:39], v[40:41], v[38:39], v[94:95] neg_lo:[0,0,1] neg_hi:[0,0,1]
	v_mov_b32_e32 v39, v97
	s_delay_alu instid0(VALU_DEP_1)
	v_pk_add_f32 v[36:37], v[36:37], v[38:39] neg_lo:[0,1] neg_hi:[0,1]
.LBB66_165:                             ;   in Loop: Header=BB66_3 Depth=1
	s_or_b32 exec_lo, exec_lo, s65
	s_barrier_signal -1
	s_barrier_wait -1
	s_and_saveexec_b32 s65, s42
	s_cbranch_execz .LBB66_167
; %bb.166:                              ;   in Loop: Header=BB66_3 Depth=1
	ds_load_b64 v[38:39], v5 offset:27040
	s_wait_dscnt 0x0
	v_pk_mul_f32 v[40:41], v[36:37], v[38:39]
	v_pk_mul_f32 v[36:37], v[36:37], v[38:39] op_sel:[1,0] op_sel_hi:[0,1]
	s_delay_alu instid0(VALU_DEP_1) | instskip(NEXT) | instid1(VALU_DEP_3)
	v_dual_mov_b32 v38, v40 :: v_dual_mov_b32 v39, v36
	v_mov_b32_e32 v36, v41
	s_delay_alu instid0(VALU_DEP_1) | instskip(SKIP_1) | instid1(VALU_DEP_2)
	v_pk_add_f32 v[40:41], v[38:39], v[36:37]
	v_pk_add_f32 v[36:37], v[38:39], v[36:37] neg_lo:[0,1] neg_hi:[0,1]
	v_mov_b32_e32 v37, v41
	s_delay_alu instid0(VALU_DEP_1)
	v_pk_add_f32 v[38:39], v[36:37], 0 neg_lo:[1,1] neg_hi:[1,1]
	ds_store_b64 v57, v[38:39]
.LBB66_167:                             ;   in Loop: Header=BB66_3 Depth=1
	s_or_b32 exec_lo, exec_lo, s65
	s_wait_dscnt 0x0
	s_barrier_signal -1
	s_barrier_wait -1
	s_and_saveexec_b32 s65, s43
	s_cbranch_execz .LBB66_169
; %bb.168:                              ;   in Loop: Header=BB66_3 Depth=1
	ds_load_b64 v[38:39], v58 offset:27008
	ds_load_b64 v[40:41], v57
	s_wait_dscnt 0x0
	v_dual_mul_f32 v4, v41, v39 :: v_dual_mul_f32 v39, v40, v39
	s_delay_alu instid0(VALU_DEP_1) | instskip(NEXT) | instid1(VALU_DEP_1)
	v_dual_fma_f32 v4, v40, v38, -v4 :: v_dual_fmac_f32 v39, v41, v38
	v_dual_sub_f32 v36, v36, v4 :: v_dual_sub_f32 v37, v37, v39
.LBB66_169:                             ;   in Loop: Header=BB66_3 Depth=1
	s_or_b32 exec_lo, exec_lo, s65
	s_barrier_signal -1
	s_barrier_wait -1
	s_and_saveexec_b32 s65, s44
	s_cbranch_execz .LBB66_171
; %bb.170:                              ;   in Loop: Header=BB66_3 Depth=1
	ds_load_b64 v[38:39], v5 offset:26520
	s_wait_dscnt 0x0
	v_dual_mul_f32 v4, v37, v38 :: v_dual_mul_f32 v40, v37, v39
	s_delay_alu instid0(VALU_DEP_1) | instskip(NEXT) | instid1(VALU_DEP_2)
	v_pk_fma_f32 v[94:95], v[36:37], v[38:39], v[4:5] op_sel:[1,0,0] op_sel_hi:[0,1,0]
	v_pk_fma_f32 v[36:37], v[36:37], v[38:39], v[40:41] op_sel_hi:[1,1,0] neg_lo:[0,0,1] neg_hi:[0,0,1]
	s_delay_alu instid0(VALU_DEP_2) | instskip(NEXT) | instid1(VALU_DEP_1)
	v_mov_b32_e32 v37, v95
	v_pk_add_f32 v[38:39], v[36:37], 0 neg_lo:[1,1] neg_hi:[1,1]
	ds_store_b64 v57, v[38:39]
.LBB66_171:                             ;   in Loop: Header=BB66_3 Depth=1
	s_or_b32 exec_lo, exec_lo, s65
	s_wait_dscnt 0x0
	s_barrier_signal -1
	s_barrier_wait -1
	s_and_saveexec_b32 s65, s45
	s_cbranch_execz .LBB66_173
; %bb.172:                              ;   in Loop: Header=BB66_3 Depth=1
	ds_load_b64 v[38:39], v58 offset:26496
	ds_load_b64 v[40:41], v57
	s_wait_dscnt 0x0
	v_pk_mul_f32 v[94:95], v[40:41], v[38:39] op_sel:[1,1] op_sel_hi:[0,1]
	s_delay_alu instid0(VALU_DEP_1) | instskip(SKIP_1) | instid1(VALU_DEP_2)
	v_pk_fma_f32 v[96:97], v[40:41], v[38:39], v[94:95] op_sel_hi:[1,0,1]
	v_pk_fma_f32 v[38:39], v[40:41], v[38:39], v[94:95] neg_lo:[0,0,1] neg_hi:[0,0,1]
	v_mov_b32_e32 v39, v97
	s_delay_alu instid0(VALU_DEP_1)
	v_pk_add_f32 v[36:37], v[36:37], v[38:39] neg_lo:[0,1] neg_hi:[0,1]
.LBB66_173:                             ;   in Loop: Header=BB66_3 Depth=1
	s_or_b32 exec_lo, exec_lo, s65
	s_barrier_signal -1
	s_barrier_wait -1
	s_and_saveexec_b32 s65, s46
	s_cbranch_execz .LBB66_175
; %bb.174:                              ;   in Loop: Header=BB66_3 Depth=1
	ds_load_b64 v[38:39], v5 offset:26000
	s_wait_dscnt 0x0
	v_pk_mul_f32 v[40:41], v[36:37], v[38:39] op_sel:[1,1] op_sel_hi:[1,0]
	s_delay_alu instid0(VALU_DEP_1) | instskip(SKIP_1) | instid1(VALU_DEP_2)
	v_pk_fma_f32 v[94:95], v[36:37], v[38:39], v[40:41] op_sel_hi:[0,1,1]
	v_pk_fma_f32 v[36:37], v[36:37], v[38:39], v[40:41] neg_lo:[0,0,1] neg_hi:[0,0,1]
	v_mov_b32_e32 v37, v95
	s_delay_alu instid0(VALU_DEP_1)
	v_pk_add_f32 v[38:39], v[36:37], 0 neg_lo:[1,1] neg_hi:[1,1]
	ds_store_b64 v57, v[38:39]
.LBB66_175:                             ;   in Loop: Header=BB66_3 Depth=1
	s_or_b32 exec_lo, exec_lo, s65
	s_wait_dscnt 0x0
	s_barrier_signal -1
	s_barrier_wait -1
	s_and_saveexec_b32 s65, s47
	s_cbranch_execz .LBB66_177
; %bb.176:                              ;   in Loop: Header=BB66_3 Depth=1
	ds_load_b64 v[38:39], v58 offset:25984
	ds_load_b64 v[40:41], v57
	s_wait_dscnt 0x0
	v_pk_mul_f32 v[94:95], v[40:41], v[38:39] op_sel:[1,1] op_sel_hi:[0,1]
	s_delay_alu instid0(VALU_DEP_1) | instskip(SKIP_1) | instid1(VALU_DEP_2)
	v_pk_fma_f32 v[96:97], v[40:41], v[38:39], v[94:95] op_sel_hi:[1,0,1]
	v_pk_fma_f32 v[38:39], v[40:41], v[38:39], v[94:95] neg_lo:[0,0,1] neg_hi:[0,0,1]
	v_mov_b32_e32 v39, v97
	s_delay_alu instid0(VALU_DEP_1)
	v_pk_add_f32 v[36:37], v[36:37], v[38:39] neg_lo:[0,1] neg_hi:[0,1]
.LBB66_177:                             ;   in Loop: Header=BB66_3 Depth=1
	s_or_b32 exec_lo, exec_lo, s65
	s_barrier_signal -1
	s_barrier_wait -1
	s_and_saveexec_b32 s65, s48
	s_cbranch_execz .LBB66_179
; %bb.178:                              ;   in Loop: Header=BB66_3 Depth=1
	ds_load_b64 v[38:39], v5 offset:25480
	s_wait_dscnt 0x0
	v_pk_mul_f32 v[40:41], v[36:37], v[38:39] op_sel:[1,1] op_sel_hi:[1,0]
	s_delay_alu instid0(VALU_DEP_1) | instskip(SKIP_1) | instid1(VALU_DEP_2)
	v_pk_fma_f32 v[94:95], v[36:37], v[38:39], v[40:41] op_sel_hi:[0,1,1]
	v_pk_fma_f32 v[36:37], v[36:37], v[38:39], v[40:41] neg_lo:[0,0,1] neg_hi:[0,0,1]
	v_mov_b32_e32 v37, v95
	s_delay_alu instid0(VALU_DEP_1)
	v_pk_add_f32 v[38:39], v[36:37], 0 neg_lo:[1,1] neg_hi:[1,1]
	ds_store_b64 v57, v[38:39]
.LBB66_179:                             ;   in Loop: Header=BB66_3 Depth=1
	;; [unrolled: 35-line block ×3, first 2 shown]
	s_or_b32 exec_lo, exec_lo, s65
	s_wait_dscnt 0x0
	s_barrier_signal -1
	s_barrier_wait -1
	s_barrier_signal -1
	s_barrier_wait -1
	s_and_saveexec_b32 s65, s3
; %bb.184:                              ;   in Loop: Header=BB66_3 Depth=1
	ds_store_b64 v60, v[36:37] offset:32640
; %bb.185:                              ;   in Loop: Header=BB66_3 Depth=1
	s_or_b32 exec_lo, exec_lo, s65
	s_wait_dscnt 0x0
	s_barrier_signal -1
	s_barrier_wait -1
	s_barrier_signal -1
	s_barrier_wait -1
	s_and_saveexec_b32 s65, s50
	s_cbranch_execz .LBB66_187
; %bb.186:                              ;   in Loop: Header=BB66_3 Depth=1
	ds_load_b64 v[36:37], v73 offset:29056
	s_wait_dscnt 0x0
	ds_store_b64 v74, v[36:37] offset:25024
	ds_load_b64 v[36:37], v73 offset:29064
	s_wait_dscnt 0x0
	ds_store_b64 v74, v[36:37] offset:25536
	;; [unrolled: 3-line block ×8, first 2 shown]
.LBB66_187:                             ;   in Loop: Header=BB66_3 Depth=1
	s_or_b32 exec_lo, exec_lo, s65
	s_wait_dscnt 0x0
	s_barrier_signal -1
	s_barrier_wait -1
	s_and_saveexec_b32 s65, s14
	s_cbranch_execz .LBB66_189
; %bb.188:                              ;   in Loop: Header=BB66_3 Depth=1
	v_add_nc_u32_e64 v4, 0x1b0, 0
	ds_load_b64 v[40:41], v5 offset:28600
	ds_load_2addr_stride64_b64 v[36:39], v4 offset0:54 offset1:55
	s_wait_dscnt 0x0
	v_dual_mul_f32 v42, v41, v37 :: v_dual_mul_f32 v4, v40, v37
	s_delay_alu instid0(VALU_DEP_1) | instskip(NEXT) | instid1(VALU_DEP_1)
	v_xor_b32_e32 v42, 0x80000000, v42
	v_dual_fmac_f32 v4, v41, v36 :: v_dual_fmac_f32 v42, v40, v36
	s_delay_alu instid0(VALU_DEP_1) | instskip(SKIP_1) | instid1(VALU_DEP_2)
	v_pk_mul_f32 v[36:37], v[4:5], v[38:39] op_sel:[0,1] op_sel_hi:[0,0]
	v_add_nc_u32_e64 v4, 0x6800, 0
	v_pk_fma_f32 v[40:41], v[42:43], v[38:39], v[36:37] op_sel_hi:[0,1,1]
	v_pk_fma_f32 v[36:37], v[42:43], v[38:39], v[36:37] neg_lo:[0,0,1] neg_hi:[0,0,1]
	s_delay_alu instid0(VALU_DEP_2)
	v_mov_b32_e32 v37, v41
	ds_store_2addr_b64 v4, v[36:37], v[36:37] offset0:183 offset1:246
.LBB66_189:                             ;   in Loop: Header=BB66_3 Depth=1
	s_or_b32 exec_lo, exec_lo, s65
	v_dual_mov_b32 v36, 0 :: v_dual_mov_b32 v37, 0
	s_wait_dscnt 0x0
	s_barrier_signal -1
	s_barrier_wait -1
	global_wb scope:SCOPE_DEV
	s_wait_storecnt 0x0
	global_inv scope:SCOPE_DEV
	s_and_saveexec_b32 s65, s0
	s_cbranch_execz .LBB66_193
; %bb.190:                              ;   in Loop: Header=BB66_3 Depth=1
	ds_load_b64 v[36:37], v45 offset:28064
	ds_load_b64 v[38:39], v46 offset:28592
	s_wait_dscnt 0x0
	v_pk_mul_f32 v[40:41], v[38:39], v[36:37] op_sel:[1,1] op_sel_hi:[0,1]
	s_delay_alu instid0(VALU_DEP_1) | instskip(SKIP_1) | instid1(VALU_DEP_2)
	v_pk_fma_f32 v[94:95], v[38:39], v[36:37], v[40:41] op_sel_hi:[1,0,1]
	v_pk_fma_f32 v[36:37], v[38:39], v[36:37], v[40:41] neg_lo:[0,0,1] neg_hi:[0,0,1]
	v_mov_b32_e32 v37, v95
	s_delay_alu instid0(VALU_DEP_1)
	v_pk_add_f32 v[36:37], v[36:37], 0 op_sel_hi:[1,0]
	s_and_saveexec_b32 s68, s15
	s_cbranch_execz .LBB66_192
; %bb.191:                              ;   in Loop: Header=BB66_3 Depth=1
	ds_load_b64 v[38:39], v74 offset:28576
	ds_load_b64 v[40:41], v5 offset:28600
	s_wait_dscnt 0x0
	v_pk_mul_f32 v[94:95], v[40:41], v[38:39] op_sel:[1,1] op_sel_hi:[0,1]
	s_delay_alu instid0(VALU_DEP_1) | instskip(SKIP_1) | instid1(VALU_DEP_2)
	v_pk_fma_f32 v[96:97], v[40:41], v[38:39], v[94:95] op_sel_hi:[1,0,1]
	v_pk_fma_f32 v[38:39], v[40:41], v[38:39], v[94:95] neg_lo:[0,0,1] neg_hi:[0,0,1]
	v_mov_b32_e32 v39, v97
	s_delay_alu instid0(VALU_DEP_1)
	v_pk_add_f32 v[36:37], v[36:37], v[38:39]
.LBB66_192:                             ;   in Loop: Header=BB66_3 Depth=1
	s_or_b32 exec_lo, exec_lo, s68
.LBB66_193:                             ;   in Loop: Header=BB66_3 Depth=1
	s_delay_alu instid0(SALU_CYCLE_1)
	s_or_b32 exec_lo, exec_lo, s65
	s_and_saveexec_b32 s65, s94
	s_cbranch_execz .LBB66_195
; %bb.194:                              ;   in Loop: Header=BB66_3 Depth=1
	ds_load_b64 v[38:39], v5 offset:27560
	s_wait_dscnt 0x0
	v_pk_mul_f32 v[40:41], v[36:37], v[38:39] op_sel:[1,1] op_sel_hi:[1,0]
	s_delay_alu instid0(VALU_DEP_1) | instskip(SKIP_1) | instid1(VALU_DEP_2)
	v_pk_fma_f32 v[94:95], v[36:37], v[38:39], v[40:41] op_sel_hi:[0,1,1]
	v_pk_fma_f32 v[36:37], v[36:37], v[38:39], v[40:41] neg_lo:[0,0,1] neg_hi:[0,0,1]
	v_mov_b32_e32 v37, v95
	s_delay_alu instid0(VALU_DEP_1)
	v_pk_add_f32 v[38:39], v[36:37], 0 neg_lo:[1,1] neg_hi:[1,1]
	ds_store_b64 v3, v[38:39]
.LBB66_195:                             ;   in Loop: Header=BB66_3 Depth=1
	s_or_b32 exec_lo, exec_lo, s65
	s_wait_loadcnt_dscnt 0x0
	s_barrier_signal -1
	s_barrier_wait -1
	s_and_saveexec_b32 s65, s95
	s_cbranch_execz .LBB66_197
; %bb.196:                              ;   in Loop: Header=BB66_3 Depth=1
	ds_load_b64 v[38:39], v5 offset:27552
	ds_load_b64 v[40:41], v3
	s_wait_dscnt 0x0
	v_pk_mul_f32 v[94:95], v[40:41], v[38:39] op_sel:[1,1] op_sel_hi:[0,1]
	s_delay_alu instid0(VALU_DEP_1) | instskip(SKIP_1) | instid1(VALU_DEP_2)
	v_pk_fma_f32 v[96:97], v[40:41], v[38:39], v[94:95] op_sel_hi:[1,0,1]
	v_pk_fma_f32 v[38:39], v[40:41], v[38:39], v[94:95] neg_lo:[0,0,1] neg_hi:[0,0,1]
	v_mov_b32_e32 v39, v97
	s_delay_alu instid0(VALU_DEP_1)
	v_pk_add_f32 v[36:37], v[36:37], v[38:39] neg_lo:[0,1] neg_hi:[0,1]
.LBB66_197:                             ;   in Loop: Header=BB66_3 Depth=1
	s_or_b32 exec_lo, exec_lo, s65
	s_barrier_signal -1
	s_barrier_wait -1
	s_and_saveexec_b32 s65, s95
	s_cbranch_execz .LBB66_199
; %bb.198:                              ;   in Loop: Header=BB66_3 Depth=1
	ds_load_b64 v[38:39], v5 offset:27040
	s_wait_dscnt 0x0
	v_pk_mul_f32 v[40:41], v[36:37], v[38:39] op_sel:[1,1] op_sel_hi:[1,0]
	s_delay_alu instid0(VALU_DEP_1) | instskip(SKIP_1) | instid1(VALU_DEP_2)
	v_pk_fma_f32 v[94:95], v[36:37], v[38:39], v[40:41] op_sel_hi:[0,1,1]
	v_pk_fma_f32 v[36:37], v[36:37], v[38:39], v[40:41] neg_lo:[0,0,1] neg_hi:[0,0,1]
	v_mov_b32_e32 v37, v95
	s_delay_alu instid0(VALU_DEP_1)
	v_pk_add_f32 v[38:39], v[36:37], 0 neg_lo:[1,1] neg_hi:[1,1]
	ds_store_b64 v3, v[38:39]
.LBB66_199:                             ;   in Loop: Header=BB66_3 Depth=1
	s_or_b32 exec_lo, exec_lo, s65
	s_wait_dscnt 0x0
	s_barrier_signal -1
	s_barrier_wait -1
	s_barrier_signal -1
	s_barrier_wait -1
	s_and_saveexec_b32 s65, s0
; %bb.200:                              ;   in Loop: Header=BB66_3 Depth=1
	ds_store_b64 v48, v[36:37] offset:28576
; %bb.201:                              ;   in Loop: Header=BB66_3 Depth=1
	s_or_b32 exec_lo, exec_lo, s65
	s_wait_dscnt 0x0
	s_barrier_signal -1
	s_barrier_wait -1
	s_barrier_signal -1
	s_barrier_wait -1
	s_and_saveexec_b32 s65, s96
	s_cbranch_execz .LBB66_203
; %bb.202:                              ;   in Loop: Header=BB66_3 Depth=1
	ds_load_b64 v[36:37], v75 offset:28064
	s_wait_dscnt 0x0
	ds_store_b64 v74, v[36:37] offset:27056
	ds_load_b64 v[36:37], v75 offset:28072
	s_wait_dscnt 0x0
	ds_store_b64 v74, v[36:37] offset:27568
.LBB66_203:                             ;   in Loop: Header=BB66_3 Depth=1
	s_or_b32 exec_lo, exec_lo, s65
	s_wait_dscnt 0x0
	s_barrier_signal -1
	s_barrier_wait -1
	s_and_saveexec_b32 s65, s14
	s_cbranch_execz .LBB66_205
; %bb.204:                              ;   in Loop: Header=BB66_3 Depth=1
	v_add_nc_u32_e64 v4, 0x1a0, 0
	ds_load_b64 v[40:41], v5 offset:27560
	ds_load_2addr_stride64_b64 v[36:39], v4 offset0:52 offset1:53
	s_wait_dscnt 0x0
	v_dual_mul_f32 v42, v41, v37 :: v_dual_mul_f32 v4, v40, v37
	s_delay_alu instid0(VALU_DEP_1) | instskip(NEXT) | instid1(VALU_DEP_1)
	v_xor_b32_e32 v42, 0x80000000, v42
	v_dual_fmac_f32 v4, v41, v36 :: v_dual_fmac_f32 v42, v40, v36
	s_delay_alu instid0(VALU_DEP_1) | instskip(SKIP_1) | instid1(VALU_DEP_2)
	v_pk_mul_f32 v[36:37], v[4:5], v[38:39] op_sel:[0,1] op_sel_hi:[0,0]
	v_add_nc_u32_e64 v4, 0x6800, 0
	v_pk_fma_f32 v[40:41], v[42:43], v[38:39], v[36:37] op_sel_hi:[0,1,1]
	v_pk_fma_f32 v[36:37], v[42:43], v[38:39], v[36:37] neg_lo:[0,0,1] neg_hi:[0,0,1]
	s_delay_alu instid0(VALU_DEP_2)
	v_mov_b32_e32 v37, v41
	ds_store_2addr_b64 v4, v[36:37], v[36:37] offset0:53 offset1:116
.LBB66_205:                             ;   in Loop: Header=BB66_3 Depth=1
	s_or_b32 exec_lo, exec_lo, s65
	v_mov_b64_e32 v[36:37], 0
	s_wait_dscnt 0x0
	s_barrier_signal -1
	s_barrier_wait -1
	global_wb scope:SCOPE_DEV
	s_wait_storecnt 0x0
	global_inv scope:SCOPE_DEV
	s_and_saveexec_b32 s65, s2
	s_cbranch_execz .LBB66_211
; %bb.206:                              ;   in Loop: Header=BB66_3 Depth=1
	ds_load_b64 v[36:37], v51 offset:27008
	ds_load_b64 v[38:39], v52 offset:28576
	s_wait_dscnt 0x0
	v_dual_mul_f32 v4, v39, v37 :: v_dual_mul_f32 v37, v38, v37
	s_delay_alu instid0(VALU_DEP_1) | instskip(NEXT) | instid1(VALU_DEP_1)
	v_dual_fma_f32 v4, v38, v36, -v4 :: v_dual_fmac_f32 v37, v39, v36
	v_dual_add_f32 v36, 0, v4 :: v_dual_add_f32 v37, 0, v37
	s_and_saveexec_b32 s68, s16
	s_cbranch_execnz .LBB66_1132
; %bb.207:                              ;   in Loop: Header=BB66_3 Depth=1
	s_or_b32 exec_lo, exec_lo, s68
	s_and_saveexec_b32 s68, s17
	s_cbranch_execnz .LBB66_1133
.LBB66_208:                             ;   in Loop: Header=BB66_3 Depth=1
	s_or_b32 exec_lo, exec_lo, s68
	s_and_saveexec_b32 s68, s0
	s_cbranch_execz .LBB66_210
.LBB66_209:                             ;   in Loop: Header=BB66_3 Depth=1
	ds_load_b64 v[38:39], v76 offset:28544
	ds_load_b64 v[40:41], v5 offset:28600
	s_wait_dscnt 0x0
	v_dual_mul_f32 v4, v41, v39 :: v_dual_mul_f32 v39, v40, v39
	s_delay_alu instid0(VALU_DEP_1) | instskip(NEXT) | instid1(VALU_DEP_1)
	v_dual_fma_f32 v4, v40, v38, -v4 :: v_dual_fmac_f32 v39, v41, v38
	v_dual_add_f32 v36, v36, v4 :: v_dual_add_f32 v37, v37, v39
.LBB66_210:                             ;   in Loop: Header=BB66_3 Depth=1
	s_or_b32 exec_lo, exec_lo, s68
.LBB66_211:                             ;   in Loop: Header=BB66_3 Depth=1
	s_delay_alu instid0(SALU_CYCLE_1)
	s_or_b32 exec_lo, exec_lo, s65
	s_and_saveexec_b32 s65, s97
	s_cbranch_execz .LBB66_213
; %bb.212:                              ;   in Loop: Header=BB66_3 Depth=1
	ds_load_b64 v[38:39], v5 offset:26520
	s_wait_dscnt 0x0
	v_dual_mul_f32 v4, v37, v38 :: v_dual_mul_f32 v40, v37, v39
	s_delay_alu instid0(VALU_DEP_1) | instskip(NEXT) | instid1(VALU_DEP_2)
	v_pk_fma_f32 v[94:95], v[36:37], v[38:39], v[4:5] op_sel:[1,0,0] op_sel_hi:[0,1,0]
	v_pk_fma_f32 v[36:37], v[36:37], v[38:39], v[40:41] op_sel_hi:[1,1,0] neg_lo:[0,0,1] neg_hi:[0,0,1]
	s_delay_alu instid0(VALU_DEP_2) | instskip(NEXT) | instid1(VALU_DEP_1)
	v_mov_b32_e32 v37, v95
	v_pk_add_f32 v[38:39], v[36:37], 0 neg_lo:[1,1] neg_hi:[1,1]
	ds_store_b64 v50, v[38:39]
.LBB66_213:                             ;   in Loop: Header=BB66_3 Depth=1
	s_or_b32 exec_lo, exec_lo, s65
	s_wait_loadcnt_dscnt 0x0
	s_barrier_signal -1
	s_barrier_wait -1
	s_and_saveexec_b32 s65, s98
	s_cbranch_execz .LBB66_215
; %bb.214:                              ;   in Loop: Header=BB66_3 Depth=1
	ds_load_b64 v[38:39], v51 offset:26496
	ds_load_b64 v[40:41], v50
	s_wait_dscnt 0x0
	v_pk_mul_f32 v[94:95], v[40:41], v[38:39] op_sel:[1,1] op_sel_hi:[0,1]
	s_delay_alu instid0(VALU_DEP_1) | instskip(SKIP_1) | instid1(VALU_DEP_2)
	v_pk_fma_f32 v[96:97], v[40:41], v[38:39], v[94:95] op_sel_hi:[1,0,1]
	v_pk_fma_f32 v[38:39], v[40:41], v[38:39], v[94:95] neg_lo:[0,0,1] neg_hi:[0,0,1]
	v_mov_b32_e32 v39, v97
	s_delay_alu instid0(VALU_DEP_1)
	v_pk_add_f32 v[36:37], v[36:37], v[38:39] neg_lo:[0,1] neg_hi:[0,1]
.LBB66_215:                             ;   in Loop: Header=BB66_3 Depth=1
	s_or_b32 exec_lo, exec_lo, s65
	s_barrier_signal -1
	s_barrier_wait -1
	s_and_saveexec_b32 s65, s99
	s_cbranch_execz .LBB66_217
; %bb.216:                              ;   in Loop: Header=BB66_3 Depth=1
	ds_load_b64 v[38:39], v5 offset:26000
	s_wait_dscnt 0x0
	v_pk_mul_f32 v[40:41], v[36:37], v[38:39] op_sel:[1,1] op_sel_hi:[1,0]
	s_delay_alu instid0(VALU_DEP_1) | instskip(SKIP_1) | instid1(VALU_DEP_2)
	v_pk_fma_f32 v[94:95], v[36:37], v[38:39], v[40:41] op_sel_hi:[0,1,1]
	v_pk_fma_f32 v[36:37], v[36:37], v[38:39], v[40:41] neg_lo:[0,0,1] neg_hi:[0,0,1]
	v_mov_b32_e32 v37, v95
	s_delay_alu instid0(VALU_DEP_1)
	v_pk_add_f32 v[38:39], v[36:37], 0 neg_lo:[1,1] neg_hi:[1,1]
	ds_store_b64 v50, v[38:39]
.LBB66_217:                             ;   in Loop: Header=BB66_3 Depth=1
	s_or_b32 exec_lo, exec_lo, s65
	s_wait_dscnt 0x0
	s_barrier_signal -1
	s_barrier_wait -1
	s_and_saveexec_b32 s65, s100
	s_cbranch_execz .LBB66_219
; %bb.218:                              ;   in Loop: Header=BB66_3 Depth=1
	ds_load_b64 v[38:39], v51 offset:25984
	ds_load_b64 v[40:41], v50
	s_wait_dscnt 0x0
	v_pk_mul_f32 v[94:95], v[40:41], v[38:39] op_sel:[1,1] op_sel_hi:[0,1]
	s_delay_alu instid0(VALU_DEP_1) | instskip(SKIP_1) | instid1(VALU_DEP_2)
	v_pk_fma_f32 v[96:97], v[40:41], v[38:39], v[94:95] op_sel_hi:[1,0,1]
	v_pk_fma_f32 v[38:39], v[40:41], v[38:39], v[94:95] neg_lo:[0,0,1] neg_hi:[0,0,1]
	v_mov_b32_e32 v39, v97
	s_delay_alu instid0(VALU_DEP_1)
	v_pk_add_f32 v[36:37], v[36:37], v[38:39] neg_lo:[0,1] neg_hi:[0,1]
.LBB66_219:                             ;   in Loop: Header=BB66_3 Depth=1
	s_or_b32 exec_lo, exec_lo, s65
	s_barrier_signal -1
	s_barrier_wait -1
	s_and_saveexec_b32 s65, s101
	s_cbranch_execz .LBB66_221
; %bb.220:                              ;   in Loop: Header=BB66_3 Depth=1
	ds_load_b64 v[38:39], v5 offset:25480
	s_wait_dscnt 0x0
	v_pk_mul_f32 v[40:41], v[36:37], v[38:39] op_sel:[1,1] op_sel_hi:[1,0]
	s_delay_alu instid0(VALU_DEP_1) | instskip(SKIP_1) | instid1(VALU_DEP_2)
	v_pk_fma_f32 v[94:95], v[36:37], v[38:39], v[40:41] op_sel_hi:[0,1,1]
	v_pk_fma_f32 v[36:37], v[36:37], v[38:39], v[40:41] neg_lo:[0,0,1] neg_hi:[0,0,1]
	v_mov_b32_e32 v37, v95
	s_delay_alu instid0(VALU_DEP_1)
	v_pk_add_f32 v[38:39], v[36:37], 0 neg_lo:[1,1] neg_hi:[1,1]
	ds_store_b64 v50, v[38:39]
.LBB66_221:                             ;   in Loop: Header=BB66_3 Depth=1
	s_or_b32 exec_lo, exec_lo, s65
	s_wait_dscnt 0x0
	;; [unrolled: 35-line block ×3, first 2 shown]
	s_barrier_signal -1
	s_barrier_wait -1
	s_barrier_signal -1
	s_barrier_wait -1
	s_and_saveexec_b32 s65, s2
; %bb.226:                              ;   in Loop: Header=BB66_3 Depth=1
	ds_store_b64 v55, v[36:37] offset:28544
; %bb.227:                              ;   in Loop: Header=BB66_3 Depth=1
	s_or_b32 exec_lo, exec_lo, s65
	s_wait_dscnt 0x0
	s_barrier_signal -1
	s_barrier_wait -1
	s_barrier_signal -1
	s_barrier_wait -1
	s_and_saveexec_b32 s65, s103
	s_cbranch_execz .LBB66_229
; %bb.228:                              ;   in Loop: Header=BB66_3 Depth=1
	ds_load_b64 v[36:37], v79 offset:27008
	s_wait_dscnt 0x0
	ds_store_b64 v82, v[36:37] offset:24992
	ds_load_b64 v[36:37], v79 offset:27016
	s_wait_dscnt 0x0
	ds_store_b64 v82, v[36:37] offset:25504
	;; [unrolled: 3-line block ×4, first 2 shown]
.LBB66_229:                             ;   in Loop: Header=BB66_3 Depth=1
	s_or_b32 exec_lo, exec_lo, s65
	s_wait_dscnt 0x0
	s_barrier_signal -1
	s_barrier_wait -1
	s_and_saveexec_b32 s65, s14
	s_cbranch_execz .LBB66_231
; %bb.230:                              ;   in Loop: Header=BB66_3 Depth=1
	v_add_nc_u32_e64 v4, 0x190, 0
	ds_load_b64 v[40:41], v5 offset:26520
	ds_load_2addr_stride64_b64 v[36:39], v4 offset0:50 offset1:51
	s_wait_dscnt 0x0
	v_dual_mul_f32 v42, v41, v37 :: v_dual_mul_f32 v4, v40, v37
	s_delay_alu instid0(VALU_DEP_1) | instskip(NEXT) | instid1(VALU_DEP_1)
	v_xor_b32_e32 v42, 0x80000000, v42
	v_dual_fmac_f32 v4, v41, v36 :: v_dual_fmac_f32 v42, v40, v36
	s_delay_alu instid0(VALU_DEP_1) | instskip(SKIP_1) | instid1(VALU_DEP_2)
	v_pk_mul_f32 v[36:37], v[4:5], v[38:39] op_sel:[0,1] op_sel_hi:[0,0]
	v_add_nc_u32_e64 v4, 0x6000, 0
	v_pk_fma_f32 v[40:41], v[42:43], v[38:39], v[36:37] op_sel_hi:[0,1,1]
	v_pk_fma_f32 v[36:37], v[42:43], v[38:39], v[36:37] neg_lo:[0,0,1] neg_hi:[0,0,1]
	s_delay_alu instid0(VALU_DEP_2)
	v_mov_b32_e32 v37, v41
	ds_store_2addr_b64 v4, v[36:37], v[36:37] offset0:179 offset1:242
.LBB66_231:                             ;   in Loop: Header=BB66_3 Depth=1
	s_or_b32 exec_lo, exec_lo, s65
	v_dual_mov_b32 v36, 0 :: v_dual_mov_b32 v37, 0
	s_wait_dscnt 0x0
	s_barrier_signal -1
	s_barrier_wait -1
	global_wb scope:SCOPE_DEV
	s_wait_storecnt 0x0
	global_inv scope:SCOPE_DEV
	s_and_saveexec_b32 s65, s0
	s_cbranch_execz .LBB66_235
; %bb.232:                              ;   in Loop: Header=BB66_3 Depth=1
	ds_load_b64 v[36:37], v45 offset:25984
	ds_load_b64 v[38:39], v46 offset:26512
	s_wait_dscnt 0x0
	v_pk_mul_f32 v[40:41], v[38:39], v[36:37] op_sel:[1,1] op_sel_hi:[0,1]
	s_delay_alu instid0(VALU_DEP_1) | instskip(SKIP_1) | instid1(VALU_DEP_2)
	v_pk_fma_f32 v[94:95], v[38:39], v[36:37], v[40:41] op_sel_hi:[1,0,1]
	v_pk_fma_f32 v[36:37], v[38:39], v[36:37], v[40:41] neg_lo:[0,0,1] neg_hi:[0,0,1]
	v_mov_b32_e32 v37, v95
	s_delay_alu instid0(VALU_DEP_1)
	v_pk_add_f32 v[36:37], v[36:37], 0 op_sel_hi:[1,0]
	s_and_saveexec_b32 s68, s15
	s_cbranch_execz .LBB66_234
; %bb.233:                              ;   in Loop: Header=BB66_3 Depth=1
	ds_load_b64 v[38:39], v82 offset:26496
	ds_load_b64 v[40:41], v5 offset:26520
	s_wait_dscnt 0x0
	v_pk_mul_f32 v[94:95], v[40:41], v[38:39] op_sel:[1,1] op_sel_hi:[0,1]
	s_delay_alu instid0(VALU_DEP_1) | instskip(SKIP_1) | instid1(VALU_DEP_2)
	v_pk_fma_f32 v[96:97], v[40:41], v[38:39], v[94:95] op_sel_hi:[1,0,1]
	v_pk_fma_f32 v[38:39], v[40:41], v[38:39], v[94:95] neg_lo:[0,0,1] neg_hi:[0,0,1]
	v_mov_b32_e32 v39, v97
	s_delay_alu instid0(VALU_DEP_1)
	v_pk_add_f32 v[36:37], v[36:37], v[38:39]
.LBB66_234:                             ;   in Loop: Header=BB66_3 Depth=1
	s_or_b32 exec_lo, exec_lo, s68
.LBB66_235:                             ;   in Loop: Header=BB66_3 Depth=1
	s_delay_alu instid0(SALU_CYCLE_1)
	s_or_b32 exec_lo, exec_lo, s65
	s_and_saveexec_b32 s65, s94
	s_cbranch_execz .LBB66_237
; %bb.236:                              ;   in Loop: Header=BB66_3 Depth=1
	ds_load_b64 v[38:39], v5 offset:25480
	s_wait_dscnt 0x0
	v_pk_mul_f32 v[40:41], v[36:37], v[38:39] op_sel:[1,1] op_sel_hi:[1,0]
	s_delay_alu instid0(VALU_DEP_1) | instskip(SKIP_1) | instid1(VALU_DEP_2)
	v_pk_fma_f32 v[94:95], v[36:37], v[38:39], v[40:41] op_sel_hi:[0,1,1]
	v_pk_fma_f32 v[36:37], v[36:37], v[38:39], v[40:41] neg_lo:[0,0,1] neg_hi:[0,0,1]
	v_mov_b32_e32 v37, v95
	s_delay_alu instid0(VALU_DEP_1)
	v_pk_add_f32 v[38:39], v[36:37], 0 neg_lo:[1,1] neg_hi:[1,1]
	ds_store_b64 v3, v[38:39]
.LBB66_237:                             ;   in Loop: Header=BB66_3 Depth=1
	s_or_b32 exec_lo, exec_lo, s65
	s_wait_loadcnt_dscnt 0x0
	s_barrier_signal -1
	s_barrier_wait -1
	s_and_saveexec_b32 s65, s95
	s_cbranch_execz .LBB66_239
; %bb.238:                              ;   in Loop: Header=BB66_3 Depth=1
	ds_load_b64 v[38:39], v5 offset:25472
	ds_load_b64 v[40:41], v3
	s_wait_dscnt 0x0
	v_pk_mul_f32 v[94:95], v[40:41], v[38:39] op_sel:[1,1] op_sel_hi:[0,1]
	s_delay_alu instid0(VALU_DEP_1) | instskip(SKIP_1) | instid1(VALU_DEP_2)
	v_pk_fma_f32 v[96:97], v[40:41], v[38:39], v[94:95] op_sel_hi:[1,0,1]
	v_pk_fma_f32 v[38:39], v[40:41], v[38:39], v[94:95] neg_lo:[0,0,1] neg_hi:[0,0,1]
	v_mov_b32_e32 v39, v97
	s_delay_alu instid0(VALU_DEP_1)
	v_pk_add_f32 v[36:37], v[36:37], v[38:39] neg_lo:[0,1] neg_hi:[0,1]
.LBB66_239:                             ;   in Loop: Header=BB66_3 Depth=1
	s_or_b32 exec_lo, exec_lo, s65
	s_barrier_signal -1
	s_barrier_wait -1
	s_and_saveexec_b32 s65, s95
	s_cbranch_execz .LBB66_241
; %bb.240:                              ;   in Loop: Header=BB66_3 Depth=1
	ds_load_b64 v[38:39], v5 offset:24960
	s_wait_dscnt 0x0
	v_pk_mul_f32 v[40:41], v[36:37], v[38:39] op_sel:[1,1] op_sel_hi:[1,0]
	s_delay_alu instid0(VALU_DEP_1) | instskip(SKIP_1) | instid1(VALU_DEP_2)
	v_pk_fma_f32 v[94:95], v[36:37], v[38:39], v[40:41] op_sel_hi:[0,1,1]
	v_pk_fma_f32 v[36:37], v[36:37], v[38:39], v[40:41] neg_lo:[0,0,1] neg_hi:[0,0,1]
	v_mov_b32_e32 v37, v95
	s_delay_alu instid0(VALU_DEP_1)
	v_pk_add_f32 v[38:39], v[36:37], 0 neg_lo:[1,1] neg_hi:[1,1]
	ds_store_b64 v3, v[38:39]
.LBB66_241:                             ;   in Loop: Header=BB66_3 Depth=1
	s_or_b32 exec_lo, exec_lo, s65
	s_wait_dscnt 0x0
	s_barrier_signal -1
	s_barrier_wait -1
	s_barrier_signal -1
	s_barrier_wait -1
	s_and_saveexec_b32 s65, s0
; %bb.242:                              ;   in Loop: Header=BB66_3 Depth=1
	ds_store_b64 v48, v[36:37] offset:26496
; %bb.243:                              ;   in Loop: Header=BB66_3 Depth=1
	s_or_b32 exec_lo, exec_lo, s65
	s_wait_dscnt 0x0
	s_barrier_signal -1
	s_barrier_wait -1
	s_barrier_signal -1
	s_barrier_wait -1
	s_and_saveexec_b32 s65, s96
	s_cbranch_execz .LBB66_245
; %bb.244:                              ;   in Loop: Header=BB66_3 Depth=1
	ds_load_b64 v[36:37], v83 offset:25984
	s_wait_dscnt 0x0
	ds_store_b64 v82, v[36:37] offset:24976
	ds_load_b64 v[36:37], v83 offset:25992
	s_wait_dscnt 0x0
	ds_store_b64 v82, v[36:37] offset:25488
.LBB66_245:                             ;   in Loop: Header=BB66_3 Depth=1
	s_or_b32 exec_lo, exec_lo, s65
	s_wait_dscnt 0x0
	s_barrier_signal -1
	s_barrier_wait -1
	s_and_saveexec_b32 s65, s14
	s_cbranch_execz .LBB66_247
; %bb.246:                              ;   in Loop: Header=BB66_3 Depth=1
	v_add_nc_u32_e64 v4, 0x180, 0
	ds_load_b64 v[40:41], v5 offset:25480
	ds_load_2addr_stride64_b64 v[36:39], v4 offset0:48 offset1:49
	s_wait_dscnt 0x0
	v_dual_mul_f32 v42, v41, v37 :: v_dual_mul_f32 v4, v40, v37
	s_delay_alu instid0(VALU_DEP_1) | instskip(NEXT) | instid1(VALU_DEP_1)
	v_xor_b32_e32 v42, 0x80000000, v42
	v_dual_fmac_f32 v4, v41, v36 :: v_dual_fmac_f32 v42, v40, v36
	s_delay_alu instid0(VALU_DEP_1) | instskip(SKIP_1) | instid1(VALU_DEP_2)
	v_pk_mul_f32 v[36:37], v[4:5], v[38:39] op_sel:[0,1] op_sel_hi:[0,0]
	v_add_nc_u32_e64 v4, 0x6000, 0
	v_pk_fma_f32 v[40:41], v[42:43], v[38:39], v[36:37] op_sel_hi:[0,1,1]
	v_pk_fma_f32 v[36:37], v[42:43], v[38:39], v[36:37] neg_lo:[0,0,1] neg_hi:[0,0,1]
	s_delay_alu instid0(VALU_DEP_2)
	v_mov_b32_e32 v37, v41
	ds_store_2addr_b64 v4, v[36:37], v[36:37] offset0:49 offset1:112
.LBB66_247:                             ;   in Loop: Header=BB66_3 Depth=1
	s_or_b32 exec_lo, exec_lo, s65
	v_mov_b64_e32 v[36:37], 0
	s_wait_dscnt 0x0
	s_barrier_signal -1
	s_barrier_wait -1
	global_wb scope:SCOPE_DEV
	s_wait_storecnt 0x0
	global_inv scope:SCOPE_DEV
	s_and_saveexec_b32 s65, s4
	s_cbranch_execz .LBB66_275
; %bb.248:                              ;   in Loop: Header=BB66_3 Depth=1
	ds_load_b64 v[36:37], v62 offset:24832
	ds_load_b64 v[38:39], v63 offset:32640
	v_readlane_b32 s51, v104, 28
	s_wait_dscnt 0x0
	v_dual_mul_f32 v4, v39, v37 :: v_dual_mul_f32 v37, v38, v37
	s_delay_alu instid0(VALU_DEP_1) | instskip(NEXT) | instid1(VALU_DEP_1)
	v_dual_fma_f32 v4, v38, v36, -v4 :: v_dual_fmac_f32 v37, v39, v36
	v_dual_add_f32 v36, 0, v4 :: v_dual_add_f32 v37, 0, v37
	s_and_saveexec_b32 s68, s51
	s_cbranch_execz .LBB66_250
; %bb.249:                              ;   in Loop: Header=BB66_3 Depth=1
	ds_load_b64 v[38:39], v62 offset:25344
	ds_load_b64 v[40:41], v63 offset:32648
	s_wait_dscnt 0x0
	v_dual_mul_f32 v4, v41, v39 :: v_dual_mul_f32 v39, v40, v39
	s_delay_alu instid0(VALU_DEP_1) | instskip(NEXT) | instid1(VALU_DEP_1)
	v_dual_fma_f32 v4, v40, v38, -v4 :: v_dual_fmac_f32 v39, v41, v38
	v_dual_add_f32 v36, v36, v4 :: v_dual_add_f32 v37, v37, v39
.LBB66_250:                             ;   in Loop: Header=BB66_3 Depth=1
	s_or_b32 exec_lo, exec_lo, s68
	v_readlane_b32 s51, v104, 29
	s_and_saveexec_b32 s68, s51
	s_cbranch_execz .LBB66_252
; %bb.251:                              ;   in Loop: Header=BB66_3 Depth=1
	ds_load_b64 v[38:39], v62 offset:25856
	ds_load_b64 v[40:41], v63 offset:32656
	s_wait_dscnt 0x0
	v_dual_mul_f32 v4, v41, v39 :: v_dual_mul_f32 v39, v40, v39
	s_delay_alu instid0(VALU_DEP_1) | instskip(NEXT) | instid1(VALU_DEP_1)
	v_dual_fma_f32 v4, v40, v38, -v4 :: v_dual_fmac_f32 v39, v41, v38
	v_dual_add_f32 v36, v36, v4 :: v_dual_add_f32 v37, v37, v39
.LBB66_252:                             ;   in Loop: Header=BB66_3 Depth=1
	s_or_b32 exec_lo, exec_lo, s68
	v_readlane_b32 s51, v104, 30
	;; [unrolled: 13-line block ×10, first 2 shown]
	s_and_saveexec_b32 s68, s51
	s_cbranch_execnz .LBB66_1134
; %bb.269:                              ;   in Loop: Header=BB66_3 Depth=1
	s_or_b32 exec_lo, exec_lo, s68
	s_and_saveexec_b32 s68, s3
	s_cbranch_execnz .LBB66_1135
.LBB66_270:                             ;   in Loop: Header=BB66_3 Depth=1
	s_or_b32 exec_lo, exec_lo, s68
	s_and_saveexec_b32 s68, s19
	s_cbranch_execnz .LBB66_1136
.LBB66_271:                             ;   in Loop: Header=BB66_3 Depth=1
	s_or_b32 exec_lo, exec_lo, s68
	s_and_saveexec_b32 s68, s21
	s_cbranch_execnz .LBB66_1137
.LBB66_272:                             ;   in Loop: Header=BB66_3 Depth=1
	s_or_b32 exec_lo, exec_lo, s68
	s_and_saveexec_b32 s68, s2
	s_cbranch_execz .LBB66_274
.LBB66_273:                             ;   in Loop: Header=BB66_3 Depth=1
	ds_load_b64 v[38:39], v47 offset:32512
	ds_load_b64 v[40:41], v5 offset:32760
	s_wait_dscnt 0x0
	v_dual_mul_f32 v4, v41, v39 :: v_dual_mul_f32 v95, v40, v39
	s_delay_alu instid0(VALU_DEP_1) | instskip(NEXT) | instid1(VALU_DEP_1)
	v_dual_fma_f32 v94, v40, v38, -v4 :: v_dual_fmac_f32 v95, v41, v38
	v_pk_add_f32 v[36:37], v[36:37], v[94:95]
.LBB66_274:                             ;   in Loop: Header=BB66_3 Depth=1
	s_or_b32 exec_lo, exec_lo, s68
.LBB66_275:                             ;   in Loop: Header=BB66_3 Depth=1
	s_delay_alu instid0(SALU_CYCLE_1)
	s_or_b32 exec_lo, exec_lo, s65
	v_readlane_b32 s51, v104, 5
	s_and_saveexec_b32 s65, s51
	s_cbranch_execz .LBB66_277
; %bb.276:                              ;   in Loop: Header=BB66_3 Depth=1
	ds_load_b64 v[38:39], v5 offset:24440
	s_wait_dscnt 0x0
	v_pk_mul_f32 v[40:41], v[36:37], v[38:39] op_sel:[1,1] op_sel_hi:[1,0]
	s_delay_alu instid0(VALU_DEP_1) | instskip(SKIP_1) | instid1(VALU_DEP_2)
	v_pk_fma_f32 v[94:95], v[36:37], v[38:39], v[40:41] op_sel_hi:[0,1,1]
	v_pk_fma_f32 v[36:37], v[36:37], v[38:39], v[40:41] neg_lo:[0,0,1] neg_hi:[0,0,1]
	v_mov_b32_e32 v37, v95
	s_delay_alu instid0(VALU_DEP_1)
	v_pk_add_f32 v[38:39], v[36:37], 0 neg_lo:[1,1] neg_hi:[1,1]
	ds_store_b64 v61, v[38:39]
.LBB66_277:                             ;   in Loop: Header=BB66_3 Depth=1
	s_or_b32 exec_lo, exec_lo, s65
	s_wait_loadcnt_dscnt 0x0
	s_barrier_signal -1
	s_barrier_wait -1
	s_and_saveexec_b32 s65, s52
	s_cbranch_execz .LBB66_279
; %bb.278:                              ;   in Loop: Header=BB66_3 Depth=1
	ds_load_b64 v[38:39], v62 offset:24320
	ds_load_b64 v[40:41], v61
	s_wait_dscnt 0x0
	v_pk_mul_f32 v[94:95], v[40:41], v[38:39] op_sel:[1,1] op_sel_hi:[0,1]
	s_delay_alu instid0(VALU_DEP_1) | instskip(SKIP_1) | instid1(VALU_DEP_2)
	v_pk_fma_f32 v[96:97], v[40:41], v[38:39], v[94:95] op_sel_hi:[1,0,1]
	v_pk_fma_f32 v[38:39], v[40:41], v[38:39], v[94:95] neg_lo:[0,0,1] neg_hi:[0,0,1]
	v_mov_b32_e32 v39, v97
	s_delay_alu instid0(VALU_DEP_1)
	v_pk_add_f32 v[36:37], v[36:37], v[38:39] neg_lo:[0,1] neg_hi:[0,1]
.LBB66_279:                             ;   in Loop: Header=BB66_3 Depth=1
	s_or_b32 exec_lo, exec_lo, s65
	s_barrier_signal -1
	s_barrier_wait -1
	s_and_saveexec_b32 s65, s53
	s_cbranch_execz .LBB66_281
; %bb.280:                              ;   in Loop: Header=BB66_3 Depth=1
	ds_load_b64 v[38:39], v5 offset:23920
	s_wait_dscnt 0x0
	v_pk_mul_f32 v[40:41], v[36:37], v[38:39] op_sel:[1,1] op_sel_hi:[1,0]
	s_delay_alu instid0(VALU_DEP_1) | instskip(SKIP_1) | instid1(VALU_DEP_2)
	v_pk_fma_f32 v[94:95], v[36:37], v[38:39], v[40:41] op_sel_hi:[0,1,1]
	v_pk_fma_f32 v[36:37], v[36:37], v[38:39], v[40:41] neg_lo:[0,0,1] neg_hi:[0,0,1]
	v_mov_b32_e32 v37, v95
	s_delay_alu instid0(VALU_DEP_1)
	v_pk_add_f32 v[38:39], v[36:37], 0 neg_lo:[1,1] neg_hi:[1,1]
	ds_store_b64 v61, v[38:39]
.LBB66_281:                             ;   in Loop: Header=BB66_3 Depth=1
	s_or_b32 exec_lo, exec_lo, s65
	s_wait_dscnt 0x0
	s_barrier_signal -1
	s_barrier_wait -1
	s_and_saveexec_b32 s65, s54
	s_cbranch_execz .LBB66_283
; %bb.282:                              ;   in Loop: Header=BB66_3 Depth=1
	ds_load_b64 v[38:39], v62 offset:23808
	ds_load_b64 v[40:41], v61
	s_wait_dscnt 0x0
	v_pk_mul_f32 v[94:95], v[40:41], v[38:39] op_sel:[1,1] op_sel_hi:[0,1]
	s_delay_alu instid0(VALU_DEP_1) | instskip(SKIP_1) | instid1(VALU_DEP_2)
	v_pk_fma_f32 v[96:97], v[40:41], v[38:39], v[94:95] op_sel_hi:[1,0,1]
	v_pk_fma_f32 v[38:39], v[40:41], v[38:39], v[94:95] neg_lo:[0,0,1] neg_hi:[0,0,1]
	v_mov_b32_e32 v39, v97
	s_delay_alu instid0(VALU_DEP_1)
	v_pk_add_f32 v[36:37], v[36:37], v[38:39] neg_lo:[0,1] neg_hi:[0,1]
.LBB66_283:                             ;   in Loop: Header=BB66_3 Depth=1
	s_or_b32 exec_lo, exec_lo, s65
	s_barrier_signal -1
	s_barrier_wait -1
	s_and_saveexec_b32 s65, s55
	s_cbranch_execz .LBB66_285
; %bb.284:                              ;   in Loop: Header=BB66_3 Depth=1
	ds_load_b64 v[38:39], v5 offset:23400
	s_wait_dscnt 0x0
	v_pk_mul_f32 v[40:41], v[36:37], v[38:39] op_sel:[1,1] op_sel_hi:[1,0]
	s_delay_alu instid0(VALU_DEP_1) | instskip(SKIP_1) | instid1(VALU_DEP_2)
	v_pk_fma_f32 v[94:95], v[36:37], v[38:39], v[40:41] op_sel_hi:[0,1,1]
	v_pk_fma_f32 v[36:37], v[36:37], v[38:39], v[40:41] neg_lo:[0,0,1] neg_hi:[0,0,1]
	v_mov_b32_e32 v37, v95
	s_delay_alu instid0(VALU_DEP_1)
	v_pk_add_f32 v[38:39], v[36:37], 0 neg_lo:[1,1] neg_hi:[1,1]
	ds_store_b64 v61, v[38:39]
.LBB66_285:                             ;   in Loop: Header=BB66_3 Depth=1
	s_or_b32 exec_lo, exec_lo, s65
	s_wait_dscnt 0x0
	s_barrier_signal -1
	s_barrier_wait -1
	s_and_saveexec_b32 s65, s56
	s_cbranch_execz .LBB66_287
; %bb.286:                              ;   in Loop: Header=BB66_3 Depth=1
	ds_load_b64 v[38:39], v62 offset:23296
	ds_load_b64 v[40:41], v61
	s_wait_dscnt 0x0
	v_pk_mul_f32 v[94:95], v[40:41], v[38:39] op_sel:[1,1] op_sel_hi:[0,1]
	s_delay_alu instid0(VALU_DEP_1) | instskip(SKIP_1) | instid1(VALU_DEP_2)
	v_pk_fma_f32 v[96:97], v[40:41], v[38:39], v[94:95] op_sel_hi:[1,0,1]
	v_pk_fma_f32 v[38:39], v[40:41], v[38:39], v[94:95] neg_lo:[0,0,1] neg_hi:[0,0,1]
	v_mov_b32_e32 v39, v97
	s_delay_alu instid0(VALU_DEP_1)
	v_pk_add_f32 v[36:37], v[36:37], v[38:39] neg_lo:[0,1] neg_hi:[0,1]
.LBB66_287:                             ;   in Loop: Header=BB66_3 Depth=1
	s_or_b32 exec_lo, exec_lo, s65
	s_delay_alu instid0(VALU_DEP_1)
	v_dual_mov_b32 v38, v37 :: v_dual_mov_b32 v39, v36
	s_barrier_signal -1
	s_barrier_wait -1
	s_and_saveexec_b32 s65, s57
	s_cbranch_execz .LBB66_289
; %bb.288:                              ;   in Loop: Header=BB66_3 Depth=1
	ds_load_b64 v[40:41], v5 offset:22880
	s_wait_dscnt 0x0
	v_dual_mul_f32 v4, v39, v41 :: v_dual_mul_f32 v42, v37, v41
	s_delay_alu instid0(VALU_DEP_1) | instskip(NEXT) | instid1(VALU_DEP_2)
	v_pk_fma_f32 v[38:39], v[38:39], v[40:41], v[4:5] op_sel_hi:[1,1,0]
	v_pk_fma_f32 v[36:37], v[36:37], v[40:41], v[42:43] op_sel_hi:[1,1,0] neg_lo:[0,0,1] neg_hi:[0,0,1]
	s_delay_alu instid0(VALU_DEP_1) | instskip(NEXT) | instid1(VALU_DEP_1)
	v_dual_mov_b32 v37, v38 :: v_dual_mov_b32 v39, v36
	v_pk_add_f32 v[40:41], v[36:37], 0 neg_lo:[1,1] neg_hi:[1,1]
	ds_store_b64 v61, v[40:41]
.LBB66_289:                             ;   in Loop: Header=BB66_3 Depth=1
	s_or_b32 exec_lo, exec_lo, s65
	s_wait_dscnt 0x0
	s_barrier_signal -1
	s_barrier_wait -1
	s_and_saveexec_b32 s65, s58
	s_cbranch_execz .LBB66_291
; %bb.290:                              ;   in Loop: Header=BB66_3 Depth=1
	ds_load_b64 v[36:37], v62 offset:22784
	ds_load_b64 v[40:41], v61
	s_wait_dscnt 0x0
	v_dual_mul_f32 v4, v41, v37 :: v_dual_mul_f32 v94, v40, v37
	s_delay_alu instid0(VALU_DEP_1) | instskip(NEXT) | instid1(VALU_DEP_1)
	v_dual_fma_f32 v95, v40, v36, -v4 :: v_dual_fmac_f32 v94, v41, v36
	v_pk_add_f32 v[38:39], v[38:39], v[94:95] neg_lo:[0,1] neg_hi:[0,1]
.LBB66_291:                             ;   in Loop: Header=BB66_3 Depth=1
	s_or_b32 exec_lo, exec_lo, s65
	s_barrier_signal -1
	s_barrier_wait -1
	s_and_saveexec_b32 s65, s59
	s_cbranch_execz .LBB66_293
; %bb.292:                              ;   in Loop: Header=BB66_3 Depth=1
	ds_load_b64 v[36:37], v5 offset:22360
	s_wait_dscnt 0x0
	v_pk_mul_f32 v[40:41], v[38:39], v[36:37] op_sel_hi:[0,1]
	s_delay_alu instid0(VALU_DEP_1) | instskip(SKIP_1) | instid1(VALU_DEP_2)
	v_pk_fma_f32 v[94:95], v[38:39], v[36:37], v[40:41] op_sel:[1,1,0] op_sel_hi:[1,0,1] neg_lo:[0,0,1] neg_hi:[0,0,1]
	v_pk_fma_f32 v[38:39], v[38:39], v[36:37], v[40:41] op_sel:[1,1,0] op_sel_hi:[1,0,1]
	v_mov_b32_e32 v39, v95
	s_delay_alu instid0(VALU_DEP_2)
	v_xor_b32_e32 v37, 0x80000000, v38
	v_xor_b32_e32 v36, 0x80000000, v95
	ds_store_b64 v61, v[36:37]
.LBB66_293:                             ;   in Loop: Header=BB66_3 Depth=1
	s_or_b32 exec_lo, exec_lo, s65
	s_wait_dscnt 0x0
	s_barrier_signal -1
	s_barrier_wait -1
	s_and_saveexec_b32 s65, s60
	s_cbranch_execz .LBB66_295
; %bb.294:                              ;   in Loop: Header=BB66_3 Depth=1
	ds_load_b64 v[36:37], v62 offset:22272
	ds_load_b64 v[40:41], v61
	s_wait_dscnt 0x0
	v_pk_mul_f32 v[94:95], v[40:41], v[36:37] op_sel:[0,1]
	s_delay_alu instid0(VALU_DEP_1) | instskip(SKIP_1) | instid1(VALU_DEP_2)
	v_pk_fma_f32 v[96:97], v[40:41], v[36:37], v[94:95] op_sel:[1,0,0] op_sel_hi:[0,0,1] neg_lo:[0,0,1] neg_hi:[0,0,1]
	v_pk_fma_f32 v[36:37], v[40:41], v[36:37], v[94:95] op_sel:[1,0,0] op_sel_hi:[0,1,1]
	v_mov_b32_e32 v37, v97
	s_delay_alu instid0(VALU_DEP_1)
	v_pk_add_f32 v[38:39], v[38:39], v[36:37] neg_lo:[0,1] neg_hi:[0,1]
.LBB66_295:                             ;   in Loop: Header=BB66_3 Depth=1
	s_or_b32 exec_lo, exec_lo, s65
	s_barrier_signal -1
	s_barrier_wait -1
	s_and_saveexec_b32 s65, s61
	s_cbranch_execz .LBB66_297
; %bb.296:                              ;   in Loop: Header=BB66_3 Depth=1
	ds_load_b64 v[36:37], v5 offset:21840
	s_wait_dscnt 0x0
	v_pk_mul_f32 v[40:41], v[38:39], v[36:37] op_sel_hi:[0,1]
	s_delay_alu instid0(VALU_DEP_1) | instskip(SKIP_1) | instid1(VALU_DEP_2)
	v_pk_fma_f32 v[94:95], v[38:39], v[36:37], v[40:41] op_sel:[1,1,0] op_sel_hi:[1,0,1] neg_lo:[0,0,1] neg_hi:[0,0,1]
	v_pk_fma_f32 v[38:39], v[38:39], v[36:37], v[40:41] op_sel:[1,1,0] op_sel_hi:[1,0,1]
	v_mov_b32_e32 v39, v95
	s_delay_alu instid0(VALU_DEP_2)
	v_xor_b32_e32 v37, 0x80000000, v38
	v_xor_b32_e32 v36, 0x80000000, v95
	ds_store_b64 v61, v[36:37]
.LBB66_297:                             ;   in Loop: Header=BB66_3 Depth=1
	s_or_b32 exec_lo, exec_lo, s65
	s_wait_dscnt 0x0
	s_barrier_signal -1
	s_barrier_wait -1
	s_and_saveexec_b32 s65, s62
	s_cbranch_execz .LBB66_299
; %bb.298:                              ;   in Loop: Header=BB66_3 Depth=1
	ds_load_b64 v[36:37], v62 offset:21760
	ds_load_b64 v[40:41], v61
	s_wait_dscnt 0x0
	v_pk_mul_f32 v[94:95], v[40:41], v[36:37] op_sel:[0,1]
	s_delay_alu instid0(VALU_DEP_1) | instskip(SKIP_1) | instid1(VALU_DEP_2)
	v_pk_fma_f32 v[96:97], v[40:41], v[36:37], v[94:95] op_sel:[1,0,0] op_sel_hi:[0,0,1] neg_lo:[0,0,1] neg_hi:[0,0,1]
	v_pk_fma_f32 v[36:37], v[40:41], v[36:37], v[94:95] op_sel:[1,0,0] op_sel_hi:[0,1,1]
	v_mov_b32_e32 v37, v97
	s_delay_alu instid0(VALU_DEP_1)
	v_pk_add_f32 v[38:39], v[38:39], v[36:37] neg_lo:[0,1] neg_hi:[0,1]
.LBB66_299:                             ;   in Loop: Header=BB66_3 Depth=1
	;; [unrolled: 36-line block ×3, first 2 shown]
	s_or_b32 exec_lo, exec_lo, s65
	s_delay_alu instid0(VALU_DEP_1)
	v_dual_mov_b32 v36, v39 :: v_dual_mov_b32 v37, v38
	s_barrier_signal -1
	s_barrier_wait -1
	s_and_saveexec_b32 s65, s13
	s_cbranch_execz .LBB66_305
; %bb.304:                              ;   in Loop: Header=BB66_3 Depth=1
	ds_load_b64 v[40:41], v5 offset:20800
	s_wait_dscnt 0x0
	v_dual_mul_f32 v4, v38, v40 :: v_dual_mul_f32 v42, v37, v41
	s_delay_alu instid0(VALU_DEP_1) | instskip(NEXT) | instid1(VALU_DEP_2)
	v_pk_fma_f32 v[38:39], v[38:39], v[40:41], v[4:5] op_sel_hi:[1,1,0]
	v_pk_fma_f32 v[36:37], v[36:37], v[40:41], v[42:43] op_sel_hi:[1,1,0] neg_lo:[0,0,1] neg_hi:[0,0,1]
	s_delay_alu instid0(VALU_DEP_2) | instskip(NEXT) | instid1(VALU_DEP_1)
	v_mov_b32_e32 v37, v39
	v_pk_add_f32 v[38:39], v[36:37], 0 neg_lo:[1,1] neg_hi:[1,1]
	ds_store_b64 v61, v[38:39]
.LBB66_305:                             ;   in Loop: Header=BB66_3 Depth=1
	s_or_b32 exec_lo, exec_lo, s65
	s_wait_dscnt 0x0
	s_barrier_signal -1
	s_barrier_wait -1
	s_and_saveexec_b32 s65, s23
	s_cbranch_execz .LBB66_307
; %bb.306:                              ;   in Loop: Header=BB66_3 Depth=1
	ds_load_b64 v[38:39], v62 offset:20736
	ds_load_b64 v[40:41], v61
	s_wait_dscnt 0x0
	v_dual_mul_f32 v4, v41, v39 :: v_dual_mul_f32 v95, v40, v39
	s_delay_alu instid0(VALU_DEP_1) | instskip(NEXT) | instid1(VALU_DEP_1)
	v_dual_fma_f32 v94, v40, v38, -v4 :: v_dual_fmac_f32 v95, v41, v38
	v_pk_add_f32 v[36:37], v[36:37], v[94:95] neg_lo:[0,1] neg_hi:[0,1]
.LBB66_307:                             ;   in Loop: Header=BB66_3 Depth=1
	s_or_b32 exec_lo, exec_lo, s65
	s_barrier_signal -1
	s_barrier_wait -1
	s_and_saveexec_b32 s65, s25
	s_cbranch_execz .LBB66_309
; %bb.308:                              ;   in Loop: Header=BB66_3 Depth=1
	ds_load_b64 v[38:39], v5 offset:20280
	s_wait_dscnt 0x0
	v_pk_mul_f32 v[40:41], v[36:37], v[38:39] op_sel:[1,1] op_sel_hi:[1,0]
	s_delay_alu instid0(VALU_DEP_1) | instskip(SKIP_1) | instid1(VALU_DEP_2)
	v_pk_fma_f32 v[94:95], v[36:37], v[38:39], v[40:41] op_sel_hi:[0,1,1]
	v_pk_fma_f32 v[36:37], v[36:37], v[38:39], v[40:41] neg_lo:[0,0,1] neg_hi:[0,0,1]
	v_mov_b32_e32 v37, v95
	s_delay_alu instid0(VALU_DEP_1)
	v_pk_add_f32 v[38:39], v[36:37], 0 neg_lo:[1,1] neg_hi:[1,1]
	ds_store_b64 v61, v[38:39]
.LBB66_309:                             ;   in Loop: Header=BB66_3 Depth=1
	s_or_b32 exec_lo, exec_lo, s65
	s_wait_dscnt 0x0
	s_barrier_signal -1
	s_barrier_wait -1
	s_and_saveexec_b32 s65, s27
	s_cbranch_execz .LBB66_311
; %bb.310:                              ;   in Loop: Header=BB66_3 Depth=1
	ds_load_b64 v[38:39], v62 offset:20224
	ds_load_b64 v[40:41], v61
	s_wait_dscnt 0x0
	v_pk_mul_f32 v[94:95], v[40:41], v[38:39] op_sel:[1,1] op_sel_hi:[0,1]
	s_delay_alu instid0(VALU_DEP_1) | instskip(SKIP_1) | instid1(VALU_DEP_2)
	v_pk_fma_f32 v[96:97], v[40:41], v[38:39], v[94:95] op_sel_hi:[1,0,1]
	v_pk_fma_f32 v[38:39], v[40:41], v[38:39], v[94:95] neg_lo:[0,0,1] neg_hi:[0,0,1]
	v_mov_b32_e32 v39, v97
	s_delay_alu instid0(VALU_DEP_1)
	v_pk_add_f32 v[36:37], v[36:37], v[38:39] neg_lo:[0,1] neg_hi:[0,1]
.LBB66_311:                             ;   in Loop: Header=BB66_3 Depth=1
	s_or_b32 exec_lo, exec_lo, s65
	s_barrier_signal -1
	s_barrier_wait -1
	s_and_saveexec_b32 s65, s29
	s_cbranch_execz .LBB66_313
; %bb.312:                              ;   in Loop: Header=BB66_3 Depth=1
	ds_load_b64 v[38:39], v5 offset:19760
	s_wait_dscnt 0x0
	v_pk_mul_f32 v[40:41], v[36:37], v[38:39] op_sel:[1,1] op_sel_hi:[1,0]
	s_delay_alu instid0(VALU_DEP_1) | instskip(SKIP_1) | instid1(VALU_DEP_2)
	v_pk_fma_f32 v[94:95], v[36:37], v[38:39], v[40:41] op_sel_hi:[0,1,1]
	v_pk_fma_f32 v[36:37], v[36:37], v[38:39], v[40:41] neg_lo:[0,0,1] neg_hi:[0,0,1]
	v_mov_b32_e32 v37, v95
	s_delay_alu instid0(VALU_DEP_1)
	v_pk_add_f32 v[38:39], v[36:37], 0 neg_lo:[1,1] neg_hi:[1,1]
	ds_store_b64 v61, v[38:39]
.LBB66_313:                             ;   in Loop: Header=BB66_3 Depth=1
	s_or_b32 exec_lo, exec_lo, s65
	s_wait_dscnt 0x0
	s_barrier_signal -1
	s_barrier_wait -1
	s_and_saveexec_b32 s65, s31
	s_cbranch_execz .LBB66_315
; %bb.314:                              ;   in Loop: Header=BB66_3 Depth=1
	ds_load_b64 v[38:39], v62 offset:19712
	ds_load_b64 v[40:41], v61
	s_wait_dscnt 0x0
	v_pk_mul_f32 v[94:95], v[40:41], v[38:39] op_sel:[1,1] op_sel_hi:[0,1]
	s_delay_alu instid0(VALU_DEP_1) | instskip(SKIP_1) | instid1(VALU_DEP_2)
	v_pk_fma_f32 v[96:97], v[40:41], v[38:39], v[94:95] op_sel_hi:[1,0,1]
	v_pk_fma_f32 v[38:39], v[40:41], v[38:39], v[94:95] neg_lo:[0,0,1] neg_hi:[0,0,1]
	v_mov_b32_e32 v39, v97
	s_delay_alu instid0(VALU_DEP_1)
	v_pk_add_f32 v[36:37], v[36:37], v[38:39] neg_lo:[0,1] neg_hi:[0,1]
.LBB66_315:                             ;   in Loop: Header=BB66_3 Depth=1
	s_or_b32 exec_lo, exec_lo, s65
	s_barrier_signal -1
	s_barrier_wait -1
	s_and_saveexec_b32 s65, s34
	s_cbranch_execz .LBB66_317
; %bb.316:                              ;   in Loop: Header=BB66_3 Depth=1
	ds_load_b64 v[38:39], v5 offset:19240
	s_wait_dscnt 0x0
	v_pk_mul_f32 v[40:41], v[36:37], v[38:39] op_sel:[1,1] op_sel_hi:[1,0]
	s_delay_alu instid0(VALU_DEP_1) | instskip(SKIP_1) | instid1(VALU_DEP_2)
	v_pk_fma_f32 v[94:95], v[36:37], v[38:39], v[40:41] op_sel_hi:[0,1,1]
	v_pk_fma_f32 v[36:37], v[36:37], v[38:39], v[40:41] neg_lo:[0,0,1] neg_hi:[0,0,1]
	v_mov_b32_e32 v37, v95
	s_delay_alu instid0(VALU_DEP_1)
	v_pk_add_f32 v[38:39], v[36:37], 0 neg_lo:[1,1] neg_hi:[1,1]
	ds_store_b64 v61, v[38:39]
.LBB66_317:                             ;   in Loop: Header=BB66_3 Depth=1
	s_or_b32 exec_lo, exec_lo, s65
	s_wait_dscnt 0x0
	s_barrier_signal -1
	s_barrier_wait -1
	s_and_saveexec_b32 s65, s82
	s_cbranch_execz .LBB66_319
; %bb.318:                              ;   in Loop: Header=BB66_3 Depth=1
	ds_load_b64 v[38:39], v62 offset:19200
	ds_load_b64 v[40:41], v61
	s_wait_dscnt 0x0
	v_pk_mul_f32 v[94:95], v[40:41], v[38:39] op_sel:[1,1] op_sel_hi:[0,1]
	s_delay_alu instid0(VALU_DEP_1) | instskip(SKIP_1) | instid1(VALU_DEP_2)
	v_pk_fma_f32 v[96:97], v[40:41], v[38:39], v[94:95] op_sel_hi:[1,0,1]
	v_pk_fma_f32 v[38:39], v[40:41], v[38:39], v[94:95] neg_lo:[0,0,1] neg_hi:[0,0,1]
	v_mov_b32_e32 v39, v97
	s_delay_alu instid0(VALU_DEP_1)
	v_pk_add_f32 v[36:37], v[36:37], v[38:39] neg_lo:[0,1] neg_hi:[0,1]
.LBB66_319:                             ;   in Loop: Header=BB66_3 Depth=1
	s_or_b32 exec_lo, exec_lo, s65
	s_barrier_signal -1
	s_barrier_wait -1
	s_and_saveexec_b32 s65, s83
	s_cbranch_execz .LBB66_321
; %bb.320:                              ;   in Loop: Header=BB66_3 Depth=1
	ds_load_b64 v[38:39], v5 offset:18720
	s_wait_dscnt 0x0
	v_pk_mul_f32 v[40:41], v[36:37], v[38:39]
	v_pk_mul_f32 v[36:37], v[36:37], v[38:39] op_sel:[1,0] op_sel_hi:[0,1]
	s_delay_alu instid0(VALU_DEP_1) | instskip(NEXT) | instid1(VALU_DEP_3)
	v_dual_mov_b32 v38, v40 :: v_dual_mov_b32 v39, v36
	v_mov_b32_e32 v36, v41
	s_delay_alu instid0(VALU_DEP_1) | instskip(SKIP_1) | instid1(VALU_DEP_2)
	v_pk_add_f32 v[40:41], v[38:39], v[36:37]
	v_pk_add_f32 v[36:37], v[38:39], v[36:37] neg_lo:[0,1] neg_hi:[0,1]
	v_mov_b32_e32 v37, v41
	s_delay_alu instid0(VALU_DEP_1)
	v_pk_add_f32 v[38:39], v[36:37], 0 neg_lo:[1,1] neg_hi:[1,1]
	ds_store_b64 v61, v[38:39]
.LBB66_321:                             ;   in Loop: Header=BB66_3 Depth=1
	s_or_b32 exec_lo, exec_lo, s65
	s_wait_dscnt 0x0
	s_barrier_signal -1
	s_barrier_wait -1
	s_and_saveexec_b32 s65, s80
	s_cbranch_execz .LBB66_323
; %bb.322:                              ;   in Loop: Header=BB66_3 Depth=1
	ds_load_b64 v[38:39], v62 offset:18688
	ds_load_b64 v[40:41], v61
	s_wait_dscnt 0x0
	v_dual_mul_f32 v4, v41, v39 :: v_dual_mul_f32 v39, v40, v39
	s_delay_alu instid0(VALU_DEP_1) | instskip(NEXT) | instid1(VALU_DEP_1)
	v_dual_fma_f32 v4, v40, v38, -v4 :: v_dual_fmac_f32 v39, v41, v38
	v_dual_sub_f32 v36, v36, v4 :: v_dual_sub_f32 v37, v37, v39
.LBB66_323:                             ;   in Loop: Header=BB66_3 Depth=1
	s_or_b32 exec_lo, exec_lo, s65
	s_barrier_signal -1
	s_barrier_wait -1
	s_and_saveexec_b32 s65, s81
	s_cbranch_execz .LBB66_325
; %bb.324:                              ;   in Loop: Header=BB66_3 Depth=1
	ds_load_b64 v[38:39], v5 offset:18200
	s_wait_dscnt 0x0
	v_dual_mul_f32 v4, v37, v38 :: v_dual_mul_f32 v40, v37, v39
	s_delay_alu instid0(VALU_DEP_1) | instskip(NEXT) | instid1(VALU_DEP_2)
	v_pk_fma_f32 v[94:95], v[36:37], v[38:39], v[4:5] op_sel:[1,0,0] op_sel_hi:[0,1,0]
	v_pk_fma_f32 v[36:37], v[36:37], v[38:39], v[40:41] op_sel_hi:[1,1,0] neg_lo:[0,0,1] neg_hi:[0,0,1]
	s_delay_alu instid0(VALU_DEP_2) | instskip(NEXT) | instid1(VALU_DEP_1)
	v_mov_b32_e32 v37, v95
	v_pk_add_f32 v[38:39], v[36:37], 0 neg_lo:[1,1] neg_hi:[1,1]
	ds_store_b64 v61, v[38:39]
.LBB66_325:                             ;   in Loop: Header=BB66_3 Depth=1
	s_or_b32 exec_lo, exec_lo, s65
	s_wait_dscnt 0x0
	s_barrier_signal -1
	s_barrier_wait -1
	s_and_saveexec_b32 s65, s24
	s_cbranch_execz .LBB66_327
; %bb.326:                              ;   in Loop: Header=BB66_3 Depth=1
	ds_load_b64 v[38:39], v62 offset:18176
	ds_load_b64 v[40:41], v61
	s_wait_dscnt 0x0
	v_pk_mul_f32 v[94:95], v[40:41], v[38:39] op_sel:[1,1] op_sel_hi:[0,1]
	s_delay_alu instid0(VALU_DEP_1) | instskip(SKIP_1) | instid1(VALU_DEP_2)
	v_pk_fma_f32 v[96:97], v[40:41], v[38:39], v[94:95] op_sel_hi:[1,0,1]
	v_pk_fma_f32 v[38:39], v[40:41], v[38:39], v[94:95] neg_lo:[0,0,1] neg_hi:[0,0,1]
	v_mov_b32_e32 v39, v97
	s_delay_alu instid0(VALU_DEP_1)
	v_pk_add_f32 v[36:37], v[36:37], v[38:39] neg_lo:[0,1] neg_hi:[0,1]
.LBB66_327:                             ;   in Loop: Header=BB66_3 Depth=1
	s_or_b32 exec_lo, exec_lo, s65
	s_barrier_signal -1
	s_barrier_wait -1
	s_and_saveexec_b32 s65, s26
	s_cbranch_execz .LBB66_329
; %bb.328:                              ;   in Loop: Header=BB66_3 Depth=1
	ds_load_b64 v[38:39], v5 offset:17680
	s_wait_dscnt 0x0
	v_pk_mul_f32 v[40:41], v[36:37], v[38:39] op_sel:[1,1] op_sel_hi:[1,0]
	s_delay_alu instid0(VALU_DEP_1) | instskip(SKIP_1) | instid1(VALU_DEP_2)
	v_pk_fma_f32 v[94:95], v[36:37], v[38:39], v[40:41] op_sel_hi:[0,1,1]
	v_pk_fma_f32 v[36:37], v[36:37], v[38:39], v[40:41] neg_lo:[0,0,1] neg_hi:[0,0,1]
	v_mov_b32_e32 v37, v95
	s_delay_alu instid0(VALU_DEP_1)
	v_pk_add_f32 v[38:39], v[36:37], 0 neg_lo:[1,1] neg_hi:[1,1]
	ds_store_b64 v61, v[38:39]
.LBB66_329:                             ;   in Loop: Header=BB66_3 Depth=1
	s_or_b32 exec_lo, exec_lo, s65
	s_wait_dscnt 0x0
	s_barrier_signal -1
	s_barrier_wait -1
	s_and_saveexec_b32 s65, s11
	s_cbranch_execz .LBB66_331
; %bb.330:                              ;   in Loop: Header=BB66_3 Depth=1
	ds_load_b64 v[38:39], v62 offset:17664
	ds_load_b64 v[40:41], v61
	s_wait_dscnt 0x0
	v_pk_mul_f32 v[94:95], v[40:41], v[38:39] op_sel:[1,1] op_sel_hi:[0,1]
	s_delay_alu instid0(VALU_DEP_1) | instskip(SKIP_1) | instid1(VALU_DEP_2)
	v_pk_fma_f32 v[96:97], v[40:41], v[38:39], v[94:95] op_sel_hi:[1,0,1]
	v_pk_fma_f32 v[38:39], v[40:41], v[38:39], v[94:95] neg_lo:[0,0,1] neg_hi:[0,0,1]
	v_mov_b32_e32 v39, v97
	s_delay_alu instid0(VALU_DEP_1)
	v_pk_add_f32 v[36:37], v[36:37], v[38:39] neg_lo:[0,1] neg_hi:[0,1]
.LBB66_331:                             ;   in Loop: Header=BB66_3 Depth=1
	s_or_b32 exec_lo, exec_lo, s65
	s_barrier_signal -1
	s_barrier_wait -1
	s_and_saveexec_b32 s65, s10
	s_cbranch_execz .LBB66_333
; %bb.332:                              ;   in Loop: Header=BB66_3 Depth=1
	ds_load_b64 v[38:39], v5 offset:17160
	s_wait_dscnt 0x0
	v_pk_mul_f32 v[40:41], v[36:37], v[38:39] op_sel:[1,1] op_sel_hi:[1,0]
	s_delay_alu instid0(VALU_DEP_1) | instskip(SKIP_1) | instid1(VALU_DEP_2)
	v_pk_fma_f32 v[94:95], v[36:37], v[38:39], v[40:41] op_sel_hi:[0,1,1]
	v_pk_fma_f32 v[36:37], v[36:37], v[38:39], v[40:41] neg_lo:[0,0,1] neg_hi:[0,0,1]
	v_mov_b32_e32 v37, v95
	s_delay_alu instid0(VALU_DEP_1)
	v_pk_add_f32 v[38:39], v[36:37], 0 neg_lo:[1,1] neg_hi:[1,1]
	ds_store_b64 v61, v[38:39]
.LBB66_333:                             ;   in Loop: Header=BB66_3 Depth=1
	;; [unrolled: 35-line block ×3, first 2 shown]
	s_or_b32 exec_lo, exec_lo, s65
	s_wait_dscnt 0x0
	s_barrier_signal -1
	s_barrier_wait -1
	s_barrier_signal -1
	s_barrier_wait -1
	s_and_saveexec_b32 s65, s4
; %bb.338:                              ;   in Loop: Header=BB66_3 Depth=1
	ds_store_b64 v64, v[36:37] offset:32512
; %bb.339:                              ;   in Loop: Header=BB66_3 Depth=1
	s_or_b32 exec_lo, exec_lo, s65
	s_wait_dscnt 0x0
	s_barrier_signal -1
	s_barrier_wait -1
	s_barrier_signal -1
	s_barrier_wait -1
	s_and_saveexec_b32 s65, s30
	s_cbranch_execz .LBB66_341
; %bb.340:                              ;   in Loop: Header=BB66_3 Depth=1
	ds_load_b64 v[36:37], v49 offset:24832
	s_wait_dscnt 0x0
	ds_store_b64 v54, v[36:37] offset:16768
	ds_load_b64 v[36:37], v49 offset:24840
	s_wait_dscnt 0x0
	ds_store_b64 v54, v[36:37] offset:17280
	;; [unrolled: 3-line block ×16, first 2 shown]
.LBB66_341:                             ;   in Loop: Header=BB66_3 Depth=1
	s_or_b32 exec_lo, exec_lo, s65
	s_wait_dscnt 0x0
	s_barrier_signal -1
	s_barrier_wait -1
	s_and_saveexec_b32 s65, s14
	s_cbranch_execz .LBB66_343
; %bb.342:                              ;   in Loop: Header=BB66_3 Depth=1
	v_add_nc_u32_e64 v4, 0x170, 0
	ds_load_b64 v[40:41], v5 offset:24440
	ds_load_2addr_stride64_b64 v[36:39], v4 offset0:46 offset1:47
	s_wait_dscnt 0x0
	v_dual_mul_f32 v42, v41, v37 :: v_dual_mul_f32 v4, v40, v37
	s_delay_alu instid0(VALU_DEP_1) | instskip(NEXT) | instid1(VALU_DEP_1)
	v_xor_b32_e32 v42, 0x80000000, v42
	v_dual_fmac_f32 v4, v41, v36 :: v_dual_fmac_f32 v42, v40, v36
	s_delay_alu instid0(VALU_DEP_1) | instskip(SKIP_1) | instid1(VALU_DEP_2)
	v_pk_mul_f32 v[36:37], v[4:5], v[38:39] op_sel:[0,1] op_sel_hi:[0,0]
	v_add_nc_u32_e64 v4, 0x5800, 0
	v_pk_fma_f32 v[40:41], v[42:43], v[38:39], v[36:37] op_sel_hi:[0,1,1]
	v_pk_fma_f32 v[36:37], v[42:43], v[38:39], v[36:37] neg_lo:[0,0,1] neg_hi:[0,0,1]
	s_delay_alu instid0(VALU_DEP_2)
	v_mov_b32_e32 v37, v41
	ds_store_2addr_b64 v4, v[36:37], v[36:37] offset0:175 offset1:238
.LBB66_343:                             ;   in Loop: Header=BB66_3 Depth=1
	s_or_b32 exec_lo, exec_lo, s65
	v_dual_mov_b32 v36, 0 :: v_dual_mov_b32 v37, 0
	s_wait_dscnt 0x0
	s_barrier_signal -1
	s_barrier_wait -1
	global_wb scope:SCOPE_DEV
	s_wait_storecnt 0x0
	global_inv scope:SCOPE_DEV
	s_and_saveexec_b32 s65, s0
	s_cbranch_execz .LBB66_347
; %bb.344:                              ;   in Loop: Header=BB66_3 Depth=1
	ds_load_b64 v[36:37], v45 offset:23904
	ds_load_b64 v[38:39], v46 offset:24432
	s_wait_dscnt 0x0
	v_pk_mul_f32 v[40:41], v[38:39], v[36:37] op_sel:[1,1] op_sel_hi:[0,1]
	s_delay_alu instid0(VALU_DEP_1) | instskip(SKIP_1) | instid1(VALU_DEP_2)
	v_pk_fma_f32 v[94:95], v[38:39], v[36:37], v[40:41] op_sel_hi:[1,0,1]
	v_pk_fma_f32 v[36:37], v[38:39], v[36:37], v[40:41] neg_lo:[0,0,1] neg_hi:[0,0,1]
	v_mov_b32_e32 v37, v95
	s_delay_alu instid0(VALU_DEP_1)
	v_pk_add_f32 v[36:37], v[36:37], 0 op_sel_hi:[1,0]
	s_and_saveexec_b32 s68, s15
	s_cbranch_execz .LBB66_346
; %bb.345:                              ;   in Loop: Header=BB66_3 Depth=1
	ds_load_b64 v[38:39], v47 offset:24416
	ds_load_b64 v[40:41], v5 offset:24440
	s_wait_dscnt 0x0
	v_pk_mul_f32 v[94:95], v[40:41], v[38:39] op_sel:[1,1] op_sel_hi:[0,1]
	s_delay_alu instid0(VALU_DEP_1) | instskip(SKIP_1) | instid1(VALU_DEP_2)
	v_pk_fma_f32 v[96:97], v[40:41], v[38:39], v[94:95] op_sel_hi:[1,0,1]
	v_pk_fma_f32 v[38:39], v[40:41], v[38:39], v[94:95] neg_lo:[0,0,1] neg_hi:[0,0,1]
	v_mov_b32_e32 v39, v97
	s_delay_alu instid0(VALU_DEP_1)
	v_pk_add_f32 v[36:37], v[36:37], v[38:39]
.LBB66_346:                             ;   in Loop: Header=BB66_3 Depth=1
	s_or_b32 exec_lo, exec_lo, s68
.LBB66_347:                             ;   in Loop: Header=BB66_3 Depth=1
	s_delay_alu instid0(SALU_CYCLE_1)
	s_or_b32 exec_lo, exec_lo, s65
	s_and_saveexec_b32 s65, s94
	s_cbranch_execz .LBB66_349
; %bb.348:                              ;   in Loop: Header=BB66_3 Depth=1
	ds_load_b64 v[38:39], v5 offset:23400
	s_wait_dscnt 0x0
	v_pk_mul_f32 v[40:41], v[36:37], v[38:39] op_sel:[1,1] op_sel_hi:[1,0]
	s_delay_alu instid0(VALU_DEP_1) | instskip(SKIP_1) | instid1(VALU_DEP_2)
	v_pk_fma_f32 v[94:95], v[36:37], v[38:39], v[40:41] op_sel_hi:[0,1,1]
	v_pk_fma_f32 v[36:37], v[36:37], v[38:39], v[40:41] neg_lo:[0,0,1] neg_hi:[0,0,1]
	v_mov_b32_e32 v37, v95
	s_delay_alu instid0(VALU_DEP_1)
	v_pk_add_f32 v[38:39], v[36:37], 0 neg_lo:[1,1] neg_hi:[1,1]
	ds_store_b64 v3, v[38:39]
.LBB66_349:                             ;   in Loop: Header=BB66_3 Depth=1
	s_or_b32 exec_lo, exec_lo, s65
	s_wait_loadcnt_dscnt 0x0
	s_barrier_signal -1
	s_barrier_wait -1
	s_and_saveexec_b32 s65, s95
	s_cbranch_execz .LBB66_351
; %bb.350:                              ;   in Loop: Header=BB66_3 Depth=1
	ds_load_b64 v[38:39], v5 offset:23392
	ds_load_b64 v[40:41], v3
	s_wait_dscnt 0x0
	v_pk_mul_f32 v[94:95], v[40:41], v[38:39] op_sel:[1,1] op_sel_hi:[0,1]
	s_delay_alu instid0(VALU_DEP_1) | instskip(SKIP_1) | instid1(VALU_DEP_2)
	v_pk_fma_f32 v[96:97], v[40:41], v[38:39], v[94:95] op_sel_hi:[1,0,1]
	v_pk_fma_f32 v[38:39], v[40:41], v[38:39], v[94:95] neg_lo:[0,0,1] neg_hi:[0,0,1]
	v_mov_b32_e32 v39, v97
	s_delay_alu instid0(VALU_DEP_1)
	v_pk_add_f32 v[36:37], v[36:37], v[38:39] neg_lo:[0,1] neg_hi:[0,1]
.LBB66_351:                             ;   in Loop: Header=BB66_3 Depth=1
	s_or_b32 exec_lo, exec_lo, s65
	s_barrier_signal -1
	s_barrier_wait -1
	s_and_saveexec_b32 s65, s95
	s_cbranch_execz .LBB66_353
; %bb.352:                              ;   in Loop: Header=BB66_3 Depth=1
	ds_load_b64 v[38:39], v5 offset:22880
	s_wait_dscnt 0x0
	v_pk_mul_f32 v[40:41], v[36:37], v[38:39] op_sel:[1,1] op_sel_hi:[1,0]
	s_delay_alu instid0(VALU_DEP_1) | instskip(SKIP_1) | instid1(VALU_DEP_2)
	v_pk_fma_f32 v[94:95], v[36:37], v[38:39], v[40:41] op_sel_hi:[0,1,1]
	v_pk_fma_f32 v[36:37], v[36:37], v[38:39], v[40:41] neg_lo:[0,0,1] neg_hi:[0,0,1]
	v_mov_b32_e32 v37, v95
	s_delay_alu instid0(VALU_DEP_1)
	v_pk_add_f32 v[38:39], v[36:37], 0 neg_lo:[1,1] neg_hi:[1,1]
	ds_store_b64 v3, v[38:39]
.LBB66_353:                             ;   in Loop: Header=BB66_3 Depth=1
	s_or_b32 exec_lo, exec_lo, s65
	s_wait_dscnt 0x0
	s_barrier_signal -1
	s_barrier_wait -1
	s_barrier_signal -1
	s_barrier_wait -1
	s_and_saveexec_b32 s65, s0
; %bb.354:                              ;   in Loop: Header=BB66_3 Depth=1
	ds_store_b64 v48, v[36:37] offset:24416
; %bb.355:                              ;   in Loop: Header=BB66_3 Depth=1
	s_or_b32 exec_lo, exec_lo, s65
	s_wait_dscnt 0x0
	s_barrier_signal -1
	s_barrier_wait -1
	s_barrier_signal -1
	s_barrier_wait -1
	s_and_saveexec_b32 s65, s96
	s_cbranch_execz .LBB66_357
; %bb.356:                              ;   in Loop: Header=BB66_3 Depth=1
	ds_load_b64 v[36:37], v49 offset:23904
	s_wait_dscnt 0x0
	ds_store_b64 v47, v[36:37] offset:22896
	ds_load_b64 v[36:37], v49 offset:23912
	s_wait_dscnt 0x0
	ds_store_b64 v47, v[36:37] offset:23408
.LBB66_357:                             ;   in Loop: Header=BB66_3 Depth=1
	s_or_b32 exec_lo, exec_lo, s65
	s_wait_dscnt 0x0
	s_barrier_signal -1
	s_barrier_wait -1
	s_and_saveexec_b32 s65, s14
	s_cbranch_execz .LBB66_359
; %bb.358:                              ;   in Loop: Header=BB66_3 Depth=1
	v_add_nc_u32_e64 v4, 0x160, 0
	ds_load_b64 v[40:41], v5 offset:23400
	ds_load_2addr_stride64_b64 v[36:39], v4 offset0:44 offset1:45
	s_wait_dscnt 0x0
	v_dual_mul_f32 v42, v41, v37 :: v_dual_mul_f32 v4, v40, v37
	s_delay_alu instid0(VALU_DEP_1) | instskip(NEXT) | instid1(VALU_DEP_1)
	v_xor_b32_e32 v42, 0x80000000, v42
	v_dual_fmac_f32 v4, v41, v36 :: v_dual_fmac_f32 v42, v40, v36
	s_delay_alu instid0(VALU_DEP_1) | instskip(SKIP_1) | instid1(VALU_DEP_2)
	v_pk_mul_f32 v[36:37], v[4:5], v[38:39] op_sel:[0,1] op_sel_hi:[0,0]
	v_add_nc_u32_e64 v4, 0x5800, 0
	v_pk_fma_f32 v[40:41], v[42:43], v[38:39], v[36:37] op_sel_hi:[0,1,1]
	v_pk_fma_f32 v[36:37], v[42:43], v[38:39], v[36:37] neg_lo:[0,0,1] neg_hi:[0,0,1]
	s_delay_alu instid0(VALU_DEP_2)
	v_mov_b32_e32 v37, v41
	ds_store_2addr_b64 v4, v[36:37], v[36:37] offset0:45 offset1:108
.LBB66_359:                             ;   in Loop: Header=BB66_3 Depth=1
	s_or_b32 exec_lo, exec_lo, s65
	v_mov_b64_e32 v[36:37], 0
	s_wait_dscnt 0x0
	s_barrier_signal -1
	s_barrier_wait -1
	global_wb scope:SCOPE_DEV
	s_wait_storecnt 0x0
	global_inv scope:SCOPE_DEV
	s_and_saveexec_b32 s65, s2
	s_cbranch_execz .LBB66_365
; %bb.360:                              ;   in Loop: Header=BB66_3 Depth=1
	ds_load_b64 v[36:37], v51 offset:22848
	ds_load_b64 v[38:39], v52 offset:24416
	s_wait_dscnt 0x0
	v_dual_mul_f32 v4, v39, v37 :: v_dual_mul_f32 v37, v38, v37
	s_delay_alu instid0(VALU_DEP_1) | instskip(NEXT) | instid1(VALU_DEP_1)
	v_dual_fma_f32 v4, v38, v36, -v4 :: v_dual_fmac_f32 v37, v39, v36
	v_dual_add_f32 v36, 0, v4 :: v_dual_add_f32 v37, 0, v37
	s_and_saveexec_b32 s68, s16
	s_cbranch_execnz .LBB66_1138
; %bb.361:                              ;   in Loop: Header=BB66_3 Depth=1
	s_or_b32 exec_lo, exec_lo, s68
	s_and_saveexec_b32 s68, s17
	s_cbranch_execnz .LBB66_1139
.LBB66_362:                             ;   in Loop: Header=BB66_3 Depth=1
	s_or_b32 exec_lo, exec_lo, s68
	s_and_saveexec_b32 s68, s0
	s_cbranch_execz .LBB66_364
.LBB66_363:                             ;   in Loop: Header=BB66_3 Depth=1
	ds_load_b64 v[38:39], v54 offset:24384
	ds_load_b64 v[40:41], v5 offset:24440
	s_wait_dscnt 0x0
	v_dual_mul_f32 v4, v41, v39 :: v_dual_mul_f32 v39, v40, v39
	s_delay_alu instid0(VALU_DEP_1) | instskip(NEXT) | instid1(VALU_DEP_1)
	v_dual_fma_f32 v4, v40, v38, -v4 :: v_dual_fmac_f32 v39, v41, v38
	v_dual_add_f32 v36, v36, v4 :: v_dual_add_f32 v37, v37, v39
.LBB66_364:                             ;   in Loop: Header=BB66_3 Depth=1
	s_or_b32 exec_lo, exec_lo, s68
.LBB66_365:                             ;   in Loop: Header=BB66_3 Depth=1
	s_delay_alu instid0(SALU_CYCLE_1)
	s_or_b32 exec_lo, exec_lo, s65
	s_and_saveexec_b32 s65, s97
	s_cbranch_execz .LBB66_367
; %bb.366:                              ;   in Loop: Header=BB66_3 Depth=1
	ds_load_b64 v[38:39], v5 offset:22360
	s_wait_dscnt 0x0
	v_dual_mul_f32 v4, v37, v38 :: v_dual_mul_f32 v40, v37, v39
	s_delay_alu instid0(VALU_DEP_1) | instskip(NEXT) | instid1(VALU_DEP_2)
	v_pk_fma_f32 v[94:95], v[36:37], v[38:39], v[4:5] op_sel:[1,0,0] op_sel_hi:[0,1,0]
	v_pk_fma_f32 v[36:37], v[36:37], v[38:39], v[40:41] op_sel_hi:[1,1,0] neg_lo:[0,0,1] neg_hi:[0,0,1]
	s_delay_alu instid0(VALU_DEP_2) | instskip(NEXT) | instid1(VALU_DEP_1)
	v_mov_b32_e32 v37, v95
	v_pk_add_f32 v[38:39], v[36:37], 0 neg_lo:[1,1] neg_hi:[1,1]
	ds_store_b64 v50, v[38:39]
.LBB66_367:                             ;   in Loop: Header=BB66_3 Depth=1
	s_or_b32 exec_lo, exec_lo, s65
	s_wait_loadcnt_dscnt 0x0
	s_barrier_signal -1
	s_barrier_wait -1
	s_and_saveexec_b32 s65, s98
	s_cbranch_execz .LBB66_369
; %bb.368:                              ;   in Loop: Header=BB66_3 Depth=1
	ds_load_b64 v[38:39], v51 offset:22336
	ds_load_b64 v[40:41], v50
	s_wait_dscnt 0x0
	v_pk_mul_f32 v[94:95], v[40:41], v[38:39] op_sel:[1,1] op_sel_hi:[0,1]
	s_delay_alu instid0(VALU_DEP_1) | instskip(SKIP_1) | instid1(VALU_DEP_2)
	v_pk_fma_f32 v[96:97], v[40:41], v[38:39], v[94:95] op_sel_hi:[1,0,1]
	v_pk_fma_f32 v[38:39], v[40:41], v[38:39], v[94:95] neg_lo:[0,0,1] neg_hi:[0,0,1]
	v_mov_b32_e32 v39, v97
	s_delay_alu instid0(VALU_DEP_1)
	v_pk_add_f32 v[36:37], v[36:37], v[38:39] neg_lo:[0,1] neg_hi:[0,1]
.LBB66_369:                             ;   in Loop: Header=BB66_3 Depth=1
	s_or_b32 exec_lo, exec_lo, s65
	s_barrier_signal -1
	s_barrier_wait -1
	s_and_saveexec_b32 s65, s99
	s_cbranch_execz .LBB66_371
; %bb.370:                              ;   in Loop: Header=BB66_3 Depth=1
	ds_load_b64 v[38:39], v5 offset:21840
	s_wait_dscnt 0x0
	v_pk_mul_f32 v[40:41], v[36:37], v[38:39] op_sel:[1,1] op_sel_hi:[1,0]
	s_delay_alu instid0(VALU_DEP_1) | instskip(SKIP_1) | instid1(VALU_DEP_2)
	v_pk_fma_f32 v[94:95], v[36:37], v[38:39], v[40:41] op_sel_hi:[0,1,1]
	v_pk_fma_f32 v[36:37], v[36:37], v[38:39], v[40:41] neg_lo:[0,0,1] neg_hi:[0,0,1]
	v_mov_b32_e32 v37, v95
	s_delay_alu instid0(VALU_DEP_1)
	v_pk_add_f32 v[38:39], v[36:37], 0 neg_lo:[1,1] neg_hi:[1,1]
	ds_store_b64 v50, v[38:39]
.LBB66_371:                             ;   in Loop: Header=BB66_3 Depth=1
	s_or_b32 exec_lo, exec_lo, s65
	s_wait_dscnt 0x0
	s_barrier_signal -1
	s_barrier_wait -1
	s_and_saveexec_b32 s65, s100
	s_cbranch_execz .LBB66_373
; %bb.372:                              ;   in Loop: Header=BB66_3 Depth=1
	ds_load_b64 v[38:39], v51 offset:21824
	ds_load_b64 v[40:41], v50
	s_wait_dscnt 0x0
	v_pk_mul_f32 v[94:95], v[40:41], v[38:39] op_sel:[1,1] op_sel_hi:[0,1]
	s_delay_alu instid0(VALU_DEP_1) | instskip(SKIP_1) | instid1(VALU_DEP_2)
	v_pk_fma_f32 v[96:97], v[40:41], v[38:39], v[94:95] op_sel_hi:[1,0,1]
	v_pk_fma_f32 v[38:39], v[40:41], v[38:39], v[94:95] neg_lo:[0,0,1] neg_hi:[0,0,1]
	v_mov_b32_e32 v39, v97
	s_delay_alu instid0(VALU_DEP_1)
	v_pk_add_f32 v[36:37], v[36:37], v[38:39] neg_lo:[0,1] neg_hi:[0,1]
.LBB66_373:                             ;   in Loop: Header=BB66_3 Depth=1
	s_or_b32 exec_lo, exec_lo, s65
	s_barrier_signal -1
	s_barrier_wait -1
	s_and_saveexec_b32 s65, s101
	s_cbranch_execz .LBB66_375
; %bb.374:                              ;   in Loop: Header=BB66_3 Depth=1
	ds_load_b64 v[38:39], v5 offset:21320
	s_wait_dscnt 0x0
	v_pk_mul_f32 v[40:41], v[36:37], v[38:39] op_sel:[1,1] op_sel_hi:[1,0]
	s_delay_alu instid0(VALU_DEP_1) | instskip(SKIP_1) | instid1(VALU_DEP_2)
	v_pk_fma_f32 v[94:95], v[36:37], v[38:39], v[40:41] op_sel_hi:[0,1,1]
	v_pk_fma_f32 v[36:37], v[36:37], v[38:39], v[40:41] neg_lo:[0,0,1] neg_hi:[0,0,1]
	v_mov_b32_e32 v37, v95
	s_delay_alu instid0(VALU_DEP_1)
	v_pk_add_f32 v[38:39], v[36:37], 0 neg_lo:[1,1] neg_hi:[1,1]
	ds_store_b64 v50, v[38:39]
.LBB66_375:                             ;   in Loop: Header=BB66_3 Depth=1
	s_or_b32 exec_lo, exec_lo, s65
	s_wait_dscnt 0x0
	;; [unrolled: 35-line block ×3, first 2 shown]
	s_barrier_signal -1
	s_barrier_wait -1
	s_barrier_signal -1
	s_barrier_wait -1
	s_and_saveexec_b32 s65, s2
; %bb.380:                              ;   in Loop: Header=BB66_3 Depth=1
	ds_store_b64 v55, v[36:37] offset:24384
; %bb.381:                              ;   in Loop: Header=BB66_3 Depth=1
	s_or_b32 exec_lo, exec_lo, s65
	s_wait_dscnt 0x0
	s_barrier_signal -1
	s_barrier_wait -1
	s_barrier_signal -1
	s_barrier_wait -1
	s_and_saveexec_b32 s65, s103
	s_cbranch_execz .LBB66_383
; %bb.382:                              ;   in Loop: Header=BB66_3 Depth=1
	ds_load_b64 v[36:37], v56 offset:22848
	s_wait_dscnt 0x0
	ds_store_b64 v69, v[36:37] offset:20832
	ds_load_b64 v[36:37], v56 offset:22856
	s_wait_dscnt 0x0
	ds_store_b64 v69, v[36:37] offset:21344
	;; [unrolled: 3-line block ×4, first 2 shown]
.LBB66_383:                             ;   in Loop: Header=BB66_3 Depth=1
	s_or_b32 exec_lo, exec_lo, s65
	s_wait_dscnt 0x0
	s_barrier_signal -1
	s_barrier_wait -1
	s_and_saveexec_b32 s65, s14
	s_cbranch_execz .LBB66_385
; %bb.384:                              ;   in Loop: Header=BB66_3 Depth=1
	v_add_nc_u32_e64 v4, 0x150, 0
	ds_load_b64 v[40:41], v5 offset:22360
	ds_load_2addr_stride64_b64 v[36:39], v4 offset0:42 offset1:43
	s_wait_dscnt 0x0
	v_dual_mul_f32 v42, v41, v37 :: v_dual_mul_f32 v4, v40, v37
	s_delay_alu instid0(VALU_DEP_1) | instskip(NEXT) | instid1(VALU_DEP_1)
	v_xor_b32_e32 v42, 0x80000000, v42
	v_dual_fmac_f32 v4, v41, v36 :: v_dual_fmac_f32 v42, v40, v36
	s_delay_alu instid0(VALU_DEP_1) | instskip(SKIP_1) | instid1(VALU_DEP_2)
	v_pk_mul_f32 v[36:37], v[4:5], v[38:39] op_sel:[0,1] op_sel_hi:[0,0]
	v_add_nc_u32_e64 v4, 0x5000, 0
	v_pk_fma_f32 v[40:41], v[42:43], v[38:39], v[36:37] op_sel_hi:[0,1,1]
	v_pk_fma_f32 v[36:37], v[42:43], v[38:39], v[36:37] neg_lo:[0,0,1] neg_hi:[0,0,1]
	s_delay_alu instid0(VALU_DEP_2)
	v_mov_b32_e32 v37, v41
	ds_store_2addr_b64 v4, v[36:37], v[36:37] offset0:171 offset1:234
.LBB66_385:                             ;   in Loop: Header=BB66_3 Depth=1
	s_or_b32 exec_lo, exec_lo, s65
	v_dual_mov_b32 v36, 0 :: v_dual_mov_b32 v37, 0
	s_wait_dscnt 0x0
	s_barrier_signal -1
	s_barrier_wait -1
	global_wb scope:SCOPE_DEV
	s_wait_storecnt 0x0
	global_inv scope:SCOPE_DEV
	s_and_saveexec_b32 s65, s0
	s_cbranch_execz .LBB66_389
; %bb.386:                              ;   in Loop: Header=BB66_3 Depth=1
	ds_load_b64 v[36:37], v45 offset:21824
	ds_load_b64 v[38:39], v46 offset:22352
	s_wait_dscnt 0x0
	v_pk_mul_f32 v[40:41], v[38:39], v[36:37] op_sel:[1,1] op_sel_hi:[0,1]
	s_delay_alu instid0(VALU_DEP_1) | instskip(SKIP_1) | instid1(VALU_DEP_2)
	v_pk_fma_f32 v[94:95], v[38:39], v[36:37], v[40:41] op_sel_hi:[1,0,1]
	v_pk_fma_f32 v[36:37], v[38:39], v[36:37], v[40:41] neg_lo:[0,0,1] neg_hi:[0,0,1]
	v_mov_b32_e32 v37, v95
	s_delay_alu instid0(VALU_DEP_1)
	v_pk_add_f32 v[36:37], v[36:37], 0 op_sel_hi:[1,0]
	s_and_saveexec_b32 s68, s15
	s_cbranch_execz .LBB66_388
; %bb.387:                              ;   in Loop: Header=BB66_3 Depth=1
	ds_load_b64 v[38:39], v69 offset:22336
	ds_load_b64 v[40:41], v5 offset:22360
	s_wait_dscnt 0x0
	v_pk_mul_f32 v[94:95], v[40:41], v[38:39] op_sel:[1,1] op_sel_hi:[0,1]
	s_delay_alu instid0(VALU_DEP_1) | instskip(SKIP_1) | instid1(VALU_DEP_2)
	v_pk_fma_f32 v[96:97], v[40:41], v[38:39], v[94:95] op_sel_hi:[1,0,1]
	v_pk_fma_f32 v[38:39], v[40:41], v[38:39], v[94:95] neg_lo:[0,0,1] neg_hi:[0,0,1]
	v_mov_b32_e32 v39, v97
	s_delay_alu instid0(VALU_DEP_1)
	v_pk_add_f32 v[36:37], v[36:37], v[38:39]
.LBB66_388:                             ;   in Loop: Header=BB66_3 Depth=1
	s_or_b32 exec_lo, exec_lo, s68
.LBB66_389:                             ;   in Loop: Header=BB66_3 Depth=1
	s_delay_alu instid0(SALU_CYCLE_1)
	s_or_b32 exec_lo, exec_lo, s65
	s_and_saveexec_b32 s65, s94
	s_cbranch_execz .LBB66_391
; %bb.390:                              ;   in Loop: Header=BB66_3 Depth=1
	ds_load_b64 v[38:39], v5 offset:21320
	s_wait_dscnt 0x0
	v_pk_mul_f32 v[40:41], v[36:37], v[38:39] op_sel:[1,1] op_sel_hi:[1,0]
	s_delay_alu instid0(VALU_DEP_1) | instskip(SKIP_1) | instid1(VALU_DEP_2)
	v_pk_fma_f32 v[94:95], v[36:37], v[38:39], v[40:41] op_sel_hi:[0,1,1]
	v_pk_fma_f32 v[36:37], v[36:37], v[38:39], v[40:41] neg_lo:[0,0,1] neg_hi:[0,0,1]
	v_mov_b32_e32 v37, v95
	s_delay_alu instid0(VALU_DEP_1)
	v_pk_add_f32 v[38:39], v[36:37], 0 neg_lo:[1,1] neg_hi:[1,1]
	ds_store_b64 v3, v[38:39]
.LBB66_391:                             ;   in Loop: Header=BB66_3 Depth=1
	s_or_b32 exec_lo, exec_lo, s65
	s_wait_loadcnt_dscnt 0x0
	s_barrier_signal -1
	s_barrier_wait -1
	s_and_saveexec_b32 s65, s95
	s_cbranch_execz .LBB66_393
; %bb.392:                              ;   in Loop: Header=BB66_3 Depth=1
	ds_load_b64 v[38:39], v5 offset:21312
	ds_load_b64 v[40:41], v3
	s_wait_dscnt 0x0
	v_pk_mul_f32 v[94:95], v[40:41], v[38:39] op_sel:[1,1] op_sel_hi:[0,1]
	s_delay_alu instid0(VALU_DEP_1) | instskip(SKIP_1) | instid1(VALU_DEP_2)
	v_pk_fma_f32 v[96:97], v[40:41], v[38:39], v[94:95] op_sel_hi:[1,0,1]
	v_pk_fma_f32 v[38:39], v[40:41], v[38:39], v[94:95] neg_lo:[0,0,1] neg_hi:[0,0,1]
	v_mov_b32_e32 v39, v97
	s_delay_alu instid0(VALU_DEP_1)
	v_pk_add_f32 v[36:37], v[36:37], v[38:39] neg_lo:[0,1] neg_hi:[0,1]
.LBB66_393:                             ;   in Loop: Header=BB66_3 Depth=1
	s_or_b32 exec_lo, exec_lo, s65
	s_barrier_signal -1
	s_barrier_wait -1
	s_and_saveexec_b32 s65, s95
	s_cbranch_execz .LBB66_395
; %bb.394:                              ;   in Loop: Header=BB66_3 Depth=1
	ds_load_b64 v[38:39], v5 offset:20800
	s_wait_dscnt 0x0
	v_pk_mul_f32 v[40:41], v[36:37], v[38:39] op_sel:[1,1] op_sel_hi:[1,0]
	s_delay_alu instid0(VALU_DEP_1) | instskip(SKIP_1) | instid1(VALU_DEP_2)
	v_pk_fma_f32 v[94:95], v[36:37], v[38:39], v[40:41] op_sel_hi:[0,1,1]
	v_pk_fma_f32 v[36:37], v[36:37], v[38:39], v[40:41] neg_lo:[0,0,1] neg_hi:[0,0,1]
	v_mov_b32_e32 v37, v95
	s_delay_alu instid0(VALU_DEP_1)
	v_pk_add_f32 v[38:39], v[36:37], 0 neg_lo:[1,1] neg_hi:[1,1]
	ds_store_b64 v3, v[38:39]
.LBB66_395:                             ;   in Loop: Header=BB66_3 Depth=1
	s_or_b32 exec_lo, exec_lo, s65
	s_wait_dscnt 0x0
	s_barrier_signal -1
	s_barrier_wait -1
	s_barrier_signal -1
	s_barrier_wait -1
	s_and_saveexec_b32 s65, s0
; %bb.396:                              ;   in Loop: Header=BB66_3 Depth=1
	ds_store_b64 v48, v[36:37] offset:22336
; %bb.397:                              ;   in Loop: Header=BB66_3 Depth=1
	s_or_b32 exec_lo, exec_lo, s65
	s_wait_dscnt 0x0
	s_barrier_signal -1
	s_barrier_wait -1
	s_barrier_signal -1
	s_barrier_wait -1
	s_and_saveexec_b32 s65, s96
	s_cbranch_execz .LBB66_399
; %bb.398:                              ;   in Loop: Header=BB66_3 Depth=1
	ds_load_b64 v[36:37], v70 offset:21824
	s_wait_dscnt 0x0
	ds_store_b64 v69, v[36:37] offset:20816
	ds_load_b64 v[36:37], v70 offset:21832
	s_wait_dscnt 0x0
	ds_store_b64 v69, v[36:37] offset:21328
.LBB66_399:                             ;   in Loop: Header=BB66_3 Depth=1
	s_or_b32 exec_lo, exec_lo, s65
	s_wait_dscnt 0x0
	s_barrier_signal -1
	s_barrier_wait -1
	s_and_saveexec_b32 s65, s14
	s_cbranch_execz .LBB66_401
; %bb.400:                              ;   in Loop: Header=BB66_3 Depth=1
	v_add_nc_u32_e64 v4, 0x140, 0
	ds_load_b64 v[40:41], v5 offset:21320
	ds_load_2addr_stride64_b64 v[36:39], v4 offset0:40 offset1:41
	s_wait_dscnt 0x0
	v_dual_mul_f32 v42, v41, v37 :: v_dual_mul_f32 v4, v40, v37
	s_delay_alu instid0(VALU_DEP_1) | instskip(NEXT) | instid1(VALU_DEP_1)
	v_xor_b32_e32 v42, 0x80000000, v42
	v_dual_fmac_f32 v4, v41, v36 :: v_dual_fmac_f32 v42, v40, v36
	s_delay_alu instid0(VALU_DEP_1) | instskip(SKIP_1) | instid1(VALU_DEP_2)
	v_pk_mul_f32 v[36:37], v[4:5], v[38:39] op_sel:[0,1] op_sel_hi:[0,0]
	v_add_nc_u32_e64 v4, 0x5000, 0
	v_pk_fma_f32 v[40:41], v[42:43], v[38:39], v[36:37] op_sel_hi:[0,1,1]
	v_pk_fma_f32 v[36:37], v[42:43], v[38:39], v[36:37] neg_lo:[0,0,1] neg_hi:[0,0,1]
	s_delay_alu instid0(VALU_DEP_2)
	v_mov_b32_e32 v37, v41
	ds_store_2addr_b64 v4, v[36:37], v[36:37] offset0:41 offset1:104
.LBB66_401:                             ;   in Loop: Header=BB66_3 Depth=1
	s_or_b32 exec_lo, exec_lo, s65
	v_mov_b64_e32 v[36:37], 0
	s_wait_dscnt 0x0
	s_barrier_signal -1
	s_barrier_wait -1
	global_wb scope:SCOPE_DEV
	s_wait_storecnt 0x0
	global_inv scope:SCOPE_DEV
	s_and_saveexec_b32 s65, s3
	s_cbranch_execz .LBB66_411
; %bb.402:                              ;   in Loop: Header=BB66_3 Depth=1
	ds_load_b64 v[36:37], v58 offset:20736
	ds_load_b64 v[38:39], v59 offset:24384
	s_wait_dscnt 0x0
	v_dual_mul_f32 v4, v39, v37 :: v_dual_mul_f32 v37, v38, v37
	s_delay_alu instid0(VALU_DEP_1) | instskip(NEXT) | instid1(VALU_DEP_1)
	v_dual_fma_f32 v4, v38, v36, -v4 :: v_dual_fmac_f32 v37, v39, v36
	v_dual_add_f32 v36, 0, v4 :: v_dual_add_f32 v37, 0, v37
	s_and_saveexec_b32 s68, s18
	s_cbranch_execnz .LBB66_1140
; %bb.403:                              ;   in Loop: Header=BB66_3 Depth=1
	s_or_b32 exec_lo, exec_lo, s68
	s_and_saveexec_b32 s68, s19
	s_cbranch_execnz .LBB66_1141
.LBB66_404:                             ;   in Loop: Header=BB66_3 Depth=1
	s_or_b32 exec_lo, exec_lo, s68
	s_and_saveexec_b32 s68, s20
	s_cbranch_execnz .LBB66_1142
.LBB66_405:                             ;   in Loop: Header=BB66_3 Depth=1
	s_or_b32 exec_lo, exec_lo, s68
	s_and_saveexec_b32 s68, s21
	s_cbranch_execnz .LBB66_1143
.LBB66_406:                             ;   in Loop: Header=BB66_3 Depth=1
	s_or_b32 exec_lo, exec_lo, s68
	s_and_saveexec_b32 s68, s22
	s_cbranch_execnz .LBB66_1144
.LBB66_407:                             ;   in Loop: Header=BB66_3 Depth=1
	s_or_b32 exec_lo, exec_lo, s68
	s_and_saveexec_b32 s68, s2
	s_cbranch_execnz .LBB66_1145
.LBB66_408:                             ;   in Loop: Header=BB66_3 Depth=1
	s_or_b32 exec_lo, exec_lo, s68
	s_and_saveexec_b32 s68, s17
	s_cbranch_execz .LBB66_410
.LBB66_409:                             ;   in Loop: Header=BB66_3 Depth=1
	ds_load_b64 v[38:39], v71 offset:24320
	ds_load_b64 v[40:41], v5 offset:24440
	s_wait_dscnt 0x0
	v_dual_mul_f32 v4, v41, v39 :: v_dual_mul_f32 v95, v40, v39
	s_delay_alu instid0(VALU_DEP_1) | instskip(NEXT) | instid1(VALU_DEP_1)
	v_dual_fma_f32 v94, v40, v38, -v4 :: v_dual_fmac_f32 v95, v41, v38
	v_pk_add_f32 v[36:37], v[36:37], v[94:95]
.LBB66_410:                             ;   in Loop: Header=BB66_3 Depth=1
	s_or_b32 exec_lo, exec_lo, s68
.LBB66_411:                             ;   in Loop: Header=BB66_3 Depth=1
	s_delay_alu instid0(SALU_CYCLE_1)
	s_or_b32 exec_lo, exec_lo, s65
	s_and_saveexec_b32 s65, s104
	s_cbranch_execz .LBB66_413
; %bb.412:                              ;   in Loop: Header=BB66_3 Depth=1
	ds_load_b64 v[38:39], v5 offset:20280
	s_wait_dscnt 0x0
	v_pk_mul_f32 v[40:41], v[36:37], v[38:39] op_sel:[1,1] op_sel_hi:[1,0]
	s_delay_alu instid0(VALU_DEP_1) | instskip(SKIP_1) | instid1(VALU_DEP_2)
	v_pk_fma_f32 v[94:95], v[36:37], v[38:39], v[40:41] op_sel_hi:[0,1,1]
	v_pk_fma_f32 v[36:37], v[36:37], v[38:39], v[40:41] neg_lo:[0,0,1] neg_hi:[0,0,1]
	v_mov_b32_e32 v37, v95
	s_delay_alu instid0(VALU_DEP_1)
	v_pk_add_f32 v[38:39], v[36:37], 0 neg_lo:[1,1] neg_hi:[1,1]
	ds_store_b64 v57, v[38:39]
.LBB66_413:                             ;   in Loop: Header=BB66_3 Depth=1
	s_or_b32 exec_lo, exec_lo, s65
	s_wait_loadcnt_dscnt 0x0
	s_barrier_signal -1
	s_barrier_wait -1
	s_and_saveexec_b32 s65, vcc_hi
	s_cbranch_execz .LBB66_415
; %bb.414:                              ;   in Loop: Header=BB66_3 Depth=1
	ds_load_b64 v[38:39], v58 offset:20224
	ds_load_b64 v[40:41], v57
	s_wait_dscnt 0x0
	v_pk_mul_f32 v[94:95], v[40:41], v[38:39] op_sel:[1,1] op_sel_hi:[0,1]
	s_delay_alu instid0(VALU_DEP_1) | instskip(SKIP_1) | instid1(VALU_DEP_2)
	v_pk_fma_f32 v[96:97], v[40:41], v[38:39], v[94:95] op_sel_hi:[1,0,1]
	v_pk_fma_f32 v[38:39], v[40:41], v[38:39], v[94:95] neg_lo:[0,0,1] neg_hi:[0,0,1]
	v_mov_b32_e32 v39, v97
	s_delay_alu instid0(VALU_DEP_1)
	v_pk_add_f32 v[36:37], v[36:37], v[38:39] neg_lo:[0,1] neg_hi:[0,1]
.LBB66_415:                             ;   in Loop: Header=BB66_3 Depth=1
	s_or_b32 exec_lo, exec_lo, s65
	s_barrier_signal -1
	s_barrier_wait -1
	s_and_saveexec_b32 s65, s38
	s_cbranch_execz .LBB66_417
; %bb.416:                              ;   in Loop: Header=BB66_3 Depth=1
	ds_load_b64 v[38:39], v5 offset:19760
	s_wait_dscnt 0x0
	v_pk_mul_f32 v[40:41], v[36:37], v[38:39] op_sel:[1,1] op_sel_hi:[1,0]
	s_delay_alu instid0(VALU_DEP_1) | instskip(SKIP_1) | instid1(VALU_DEP_2)
	v_pk_fma_f32 v[94:95], v[36:37], v[38:39], v[40:41] op_sel_hi:[0,1,1]
	v_pk_fma_f32 v[36:37], v[36:37], v[38:39], v[40:41] neg_lo:[0,0,1] neg_hi:[0,0,1]
	v_mov_b32_e32 v37, v95
	s_delay_alu instid0(VALU_DEP_1)
	v_pk_add_f32 v[38:39], v[36:37], 0 neg_lo:[1,1] neg_hi:[1,1]
	ds_store_b64 v57, v[38:39]
.LBB66_417:                             ;   in Loop: Header=BB66_3 Depth=1
	s_or_b32 exec_lo, exec_lo, s65
	s_wait_dscnt 0x0
	s_barrier_signal -1
	s_barrier_wait -1
	s_and_saveexec_b32 s65, s39
	s_cbranch_execz .LBB66_419
; %bb.418:                              ;   in Loop: Header=BB66_3 Depth=1
	ds_load_b64 v[38:39], v58 offset:19712
	ds_load_b64 v[40:41], v57
	s_wait_dscnt 0x0
	v_pk_mul_f32 v[94:95], v[40:41], v[38:39] op_sel:[1,1] op_sel_hi:[0,1]
	s_delay_alu instid0(VALU_DEP_1) | instskip(SKIP_1) | instid1(VALU_DEP_2)
	v_pk_fma_f32 v[96:97], v[40:41], v[38:39], v[94:95] op_sel_hi:[1,0,1]
	v_pk_fma_f32 v[38:39], v[40:41], v[38:39], v[94:95] neg_lo:[0,0,1] neg_hi:[0,0,1]
	v_mov_b32_e32 v39, v97
	s_delay_alu instid0(VALU_DEP_1)
	v_pk_add_f32 v[36:37], v[36:37], v[38:39] neg_lo:[0,1] neg_hi:[0,1]
.LBB66_419:                             ;   in Loop: Header=BB66_3 Depth=1
	s_or_b32 exec_lo, exec_lo, s65
	s_barrier_signal -1
	s_barrier_wait -1
	s_and_saveexec_b32 s65, s40
	s_cbranch_execz .LBB66_421
; %bb.420:                              ;   in Loop: Header=BB66_3 Depth=1
	ds_load_b64 v[38:39], v5 offset:19240
	s_wait_dscnt 0x0
	v_pk_mul_f32 v[40:41], v[36:37], v[38:39] op_sel:[1,1] op_sel_hi:[1,0]
	s_delay_alu instid0(VALU_DEP_1) | instskip(SKIP_1) | instid1(VALU_DEP_2)
	v_pk_fma_f32 v[94:95], v[36:37], v[38:39], v[40:41] op_sel_hi:[0,1,1]
	v_pk_fma_f32 v[36:37], v[36:37], v[38:39], v[40:41] neg_lo:[0,0,1] neg_hi:[0,0,1]
	v_mov_b32_e32 v37, v95
	s_delay_alu instid0(VALU_DEP_1)
	v_pk_add_f32 v[38:39], v[36:37], 0 neg_lo:[1,1] neg_hi:[1,1]
	ds_store_b64 v57, v[38:39]
.LBB66_421:                             ;   in Loop: Header=BB66_3 Depth=1
	s_or_b32 exec_lo, exec_lo, s65
	s_wait_dscnt 0x0
	s_barrier_signal -1
	s_barrier_wait -1
	s_and_saveexec_b32 s65, s41
	s_cbranch_execz .LBB66_423
; %bb.422:                              ;   in Loop: Header=BB66_3 Depth=1
	ds_load_b64 v[38:39], v58 offset:19200
	ds_load_b64 v[40:41], v57
	s_wait_dscnt 0x0
	v_pk_mul_f32 v[94:95], v[40:41], v[38:39] op_sel:[1,1] op_sel_hi:[0,1]
	s_delay_alu instid0(VALU_DEP_1) | instskip(SKIP_1) | instid1(VALU_DEP_2)
	v_pk_fma_f32 v[96:97], v[40:41], v[38:39], v[94:95] op_sel_hi:[1,0,1]
	v_pk_fma_f32 v[38:39], v[40:41], v[38:39], v[94:95] neg_lo:[0,0,1] neg_hi:[0,0,1]
	v_mov_b32_e32 v39, v97
	s_delay_alu instid0(VALU_DEP_1)
	v_pk_add_f32 v[36:37], v[36:37], v[38:39] neg_lo:[0,1] neg_hi:[0,1]
.LBB66_423:                             ;   in Loop: Header=BB66_3 Depth=1
	s_or_b32 exec_lo, exec_lo, s65
	s_barrier_signal -1
	s_barrier_wait -1
	s_and_saveexec_b32 s65, s42
	s_cbranch_execz .LBB66_425
; %bb.424:                              ;   in Loop: Header=BB66_3 Depth=1
	ds_load_b64 v[38:39], v5 offset:18720
	s_wait_dscnt 0x0
	v_pk_mul_f32 v[40:41], v[36:37], v[38:39]
	v_pk_mul_f32 v[36:37], v[36:37], v[38:39] op_sel:[1,0] op_sel_hi:[0,1]
	s_delay_alu instid0(VALU_DEP_1) | instskip(NEXT) | instid1(VALU_DEP_3)
	v_dual_mov_b32 v38, v40 :: v_dual_mov_b32 v39, v36
	v_mov_b32_e32 v36, v41
	s_delay_alu instid0(VALU_DEP_1) | instskip(SKIP_1) | instid1(VALU_DEP_2)
	v_pk_add_f32 v[40:41], v[38:39], v[36:37]
	v_pk_add_f32 v[36:37], v[38:39], v[36:37] neg_lo:[0,1] neg_hi:[0,1]
	v_mov_b32_e32 v37, v41
	s_delay_alu instid0(VALU_DEP_1)
	v_pk_add_f32 v[38:39], v[36:37], 0 neg_lo:[1,1] neg_hi:[1,1]
	ds_store_b64 v57, v[38:39]
.LBB66_425:                             ;   in Loop: Header=BB66_3 Depth=1
	s_or_b32 exec_lo, exec_lo, s65
	s_wait_dscnt 0x0
	s_barrier_signal -1
	s_barrier_wait -1
	s_and_saveexec_b32 s65, s43
	s_cbranch_execz .LBB66_427
; %bb.426:                              ;   in Loop: Header=BB66_3 Depth=1
	ds_load_b64 v[38:39], v58 offset:18688
	ds_load_b64 v[40:41], v57
	s_wait_dscnt 0x0
	v_dual_mul_f32 v4, v41, v39 :: v_dual_mul_f32 v39, v40, v39
	s_delay_alu instid0(VALU_DEP_1) | instskip(NEXT) | instid1(VALU_DEP_1)
	v_dual_fma_f32 v4, v40, v38, -v4 :: v_dual_fmac_f32 v39, v41, v38
	v_dual_sub_f32 v36, v36, v4 :: v_dual_sub_f32 v37, v37, v39
.LBB66_427:                             ;   in Loop: Header=BB66_3 Depth=1
	s_or_b32 exec_lo, exec_lo, s65
	s_barrier_signal -1
	s_barrier_wait -1
	s_and_saveexec_b32 s65, s44
	s_cbranch_execz .LBB66_429
; %bb.428:                              ;   in Loop: Header=BB66_3 Depth=1
	ds_load_b64 v[38:39], v5 offset:18200
	s_wait_dscnt 0x0
	v_dual_mul_f32 v4, v37, v38 :: v_dual_mul_f32 v40, v37, v39
	s_delay_alu instid0(VALU_DEP_1) | instskip(NEXT) | instid1(VALU_DEP_2)
	v_pk_fma_f32 v[94:95], v[36:37], v[38:39], v[4:5] op_sel:[1,0,0] op_sel_hi:[0,1,0]
	v_pk_fma_f32 v[36:37], v[36:37], v[38:39], v[40:41] op_sel_hi:[1,1,0] neg_lo:[0,0,1] neg_hi:[0,0,1]
	s_delay_alu instid0(VALU_DEP_2) | instskip(NEXT) | instid1(VALU_DEP_1)
	v_mov_b32_e32 v37, v95
	v_pk_add_f32 v[38:39], v[36:37], 0 neg_lo:[1,1] neg_hi:[1,1]
	ds_store_b64 v57, v[38:39]
.LBB66_429:                             ;   in Loop: Header=BB66_3 Depth=1
	s_or_b32 exec_lo, exec_lo, s65
	s_wait_dscnt 0x0
	s_barrier_signal -1
	s_barrier_wait -1
	s_and_saveexec_b32 s65, s45
	s_cbranch_execz .LBB66_431
; %bb.430:                              ;   in Loop: Header=BB66_3 Depth=1
	ds_load_b64 v[38:39], v58 offset:18176
	ds_load_b64 v[40:41], v57
	s_wait_dscnt 0x0
	v_pk_mul_f32 v[94:95], v[40:41], v[38:39] op_sel:[1,1] op_sel_hi:[0,1]
	s_delay_alu instid0(VALU_DEP_1) | instskip(SKIP_1) | instid1(VALU_DEP_2)
	v_pk_fma_f32 v[96:97], v[40:41], v[38:39], v[94:95] op_sel_hi:[1,0,1]
	v_pk_fma_f32 v[38:39], v[40:41], v[38:39], v[94:95] neg_lo:[0,0,1] neg_hi:[0,0,1]
	v_mov_b32_e32 v39, v97
	s_delay_alu instid0(VALU_DEP_1)
	v_pk_add_f32 v[36:37], v[36:37], v[38:39] neg_lo:[0,1] neg_hi:[0,1]
.LBB66_431:                             ;   in Loop: Header=BB66_3 Depth=1
	s_or_b32 exec_lo, exec_lo, s65
	s_barrier_signal -1
	s_barrier_wait -1
	s_and_saveexec_b32 s65, s46
	s_cbranch_execz .LBB66_433
; %bb.432:                              ;   in Loop: Header=BB66_3 Depth=1
	ds_load_b64 v[38:39], v5 offset:17680
	s_wait_dscnt 0x0
	v_pk_mul_f32 v[40:41], v[36:37], v[38:39] op_sel:[1,1] op_sel_hi:[1,0]
	s_delay_alu instid0(VALU_DEP_1) | instskip(SKIP_1) | instid1(VALU_DEP_2)
	v_pk_fma_f32 v[94:95], v[36:37], v[38:39], v[40:41] op_sel_hi:[0,1,1]
	v_pk_fma_f32 v[36:37], v[36:37], v[38:39], v[40:41] neg_lo:[0,0,1] neg_hi:[0,0,1]
	v_mov_b32_e32 v37, v95
	s_delay_alu instid0(VALU_DEP_1)
	v_pk_add_f32 v[38:39], v[36:37], 0 neg_lo:[1,1] neg_hi:[1,1]
	ds_store_b64 v57, v[38:39]
.LBB66_433:                             ;   in Loop: Header=BB66_3 Depth=1
	s_or_b32 exec_lo, exec_lo, s65
	s_wait_dscnt 0x0
	s_barrier_signal -1
	s_barrier_wait -1
	s_and_saveexec_b32 s65, s47
	s_cbranch_execz .LBB66_435
; %bb.434:                              ;   in Loop: Header=BB66_3 Depth=1
	ds_load_b64 v[38:39], v58 offset:17664
	ds_load_b64 v[40:41], v57
	s_wait_dscnt 0x0
	v_pk_mul_f32 v[94:95], v[40:41], v[38:39] op_sel:[1,1] op_sel_hi:[0,1]
	s_delay_alu instid0(VALU_DEP_1) | instskip(SKIP_1) | instid1(VALU_DEP_2)
	v_pk_fma_f32 v[96:97], v[40:41], v[38:39], v[94:95] op_sel_hi:[1,0,1]
	v_pk_fma_f32 v[38:39], v[40:41], v[38:39], v[94:95] neg_lo:[0,0,1] neg_hi:[0,0,1]
	v_mov_b32_e32 v39, v97
	s_delay_alu instid0(VALU_DEP_1)
	v_pk_add_f32 v[36:37], v[36:37], v[38:39] neg_lo:[0,1] neg_hi:[0,1]
.LBB66_435:                             ;   in Loop: Header=BB66_3 Depth=1
	s_or_b32 exec_lo, exec_lo, s65
	s_barrier_signal -1
	s_barrier_wait -1
	s_and_saveexec_b32 s65, s48
	s_cbranch_execz .LBB66_437
; %bb.436:                              ;   in Loop: Header=BB66_3 Depth=1
	ds_load_b64 v[38:39], v5 offset:17160
	s_wait_dscnt 0x0
	v_pk_mul_f32 v[40:41], v[36:37], v[38:39] op_sel:[1,1] op_sel_hi:[1,0]
	s_delay_alu instid0(VALU_DEP_1) | instskip(SKIP_1) | instid1(VALU_DEP_2)
	v_pk_fma_f32 v[94:95], v[36:37], v[38:39], v[40:41] op_sel_hi:[0,1,1]
	v_pk_fma_f32 v[36:37], v[36:37], v[38:39], v[40:41] neg_lo:[0,0,1] neg_hi:[0,0,1]
	v_mov_b32_e32 v37, v95
	s_delay_alu instid0(VALU_DEP_1)
	v_pk_add_f32 v[38:39], v[36:37], 0 neg_lo:[1,1] neg_hi:[1,1]
	ds_store_b64 v57, v[38:39]
.LBB66_437:                             ;   in Loop: Header=BB66_3 Depth=1
	;; [unrolled: 35-line block ×3, first 2 shown]
	s_or_b32 exec_lo, exec_lo, s65
	s_wait_dscnt 0x0
	s_barrier_signal -1
	s_barrier_wait -1
	s_barrier_signal -1
	s_barrier_wait -1
	s_and_saveexec_b32 s65, s3
; %bb.442:                              ;   in Loop: Header=BB66_3 Depth=1
	ds_store_b64 v60, v[36:37] offset:24320
; %bb.443:                              ;   in Loop: Header=BB66_3 Depth=1
	s_or_b32 exec_lo, exec_lo, s65
	s_wait_dscnt 0x0
	s_barrier_signal -1
	s_barrier_wait -1
	s_barrier_signal -1
	s_barrier_wait -1
	s_and_saveexec_b32 s65, s50
	s_cbranch_execz .LBB66_445
; %bb.444:                              ;   in Loop: Header=BB66_3 Depth=1
	ds_load_b64 v[36:37], v73 offset:20736
	s_wait_dscnt 0x0
	ds_store_b64 v74, v[36:37] offset:16704
	ds_load_b64 v[36:37], v73 offset:20744
	s_wait_dscnt 0x0
	ds_store_b64 v74, v[36:37] offset:17216
	;; [unrolled: 3-line block ×8, first 2 shown]
.LBB66_445:                             ;   in Loop: Header=BB66_3 Depth=1
	s_or_b32 exec_lo, exec_lo, s65
	s_wait_dscnt 0x0
	s_barrier_signal -1
	s_barrier_wait -1
	s_and_saveexec_b32 s65, s14
	s_cbranch_execz .LBB66_447
; %bb.446:                              ;   in Loop: Header=BB66_3 Depth=1
	v_add_nc_u32_e64 v4, 0x130, 0
	ds_load_b64 v[40:41], v5 offset:20280
	ds_load_2addr_stride64_b64 v[36:39], v4 offset0:38 offset1:39
	s_wait_dscnt 0x0
	v_dual_mul_f32 v42, v41, v37 :: v_dual_mul_f32 v4, v40, v37
	s_delay_alu instid0(VALU_DEP_1) | instskip(NEXT) | instid1(VALU_DEP_1)
	v_xor_b32_e32 v42, 0x80000000, v42
	v_dual_fmac_f32 v4, v41, v36 :: v_dual_fmac_f32 v42, v40, v36
	s_delay_alu instid0(VALU_DEP_1) | instskip(SKIP_1) | instid1(VALU_DEP_2)
	v_pk_mul_f32 v[36:37], v[4:5], v[38:39] op_sel:[0,1] op_sel_hi:[0,0]
	v_add_nc_u32_e64 v4, 0x4800, 0
	v_pk_fma_f32 v[40:41], v[42:43], v[38:39], v[36:37] op_sel_hi:[0,1,1]
	v_pk_fma_f32 v[36:37], v[42:43], v[38:39], v[36:37] neg_lo:[0,0,1] neg_hi:[0,0,1]
	s_delay_alu instid0(VALU_DEP_2)
	v_mov_b32_e32 v37, v41
	ds_store_2addr_b64 v4, v[36:37], v[36:37] offset0:167 offset1:230
.LBB66_447:                             ;   in Loop: Header=BB66_3 Depth=1
	s_or_b32 exec_lo, exec_lo, s65
	v_dual_mov_b32 v36, 0 :: v_dual_mov_b32 v37, 0
	s_wait_dscnt 0x0
	s_barrier_signal -1
	s_barrier_wait -1
	global_wb scope:SCOPE_DEV
	s_wait_storecnt 0x0
	global_inv scope:SCOPE_DEV
	s_and_saveexec_b32 s65, s0
	s_cbranch_execz .LBB66_451
; %bb.448:                              ;   in Loop: Header=BB66_3 Depth=1
	ds_load_b64 v[36:37], v45 offset:19744
	ds_load_b64 v[38:39], v46 offset:20272
	s_wait_dscnt 0x0
	v_pk_mul_f32 v[40:41], v[38:39], v[36:37] op_sel:[1,1] op_sel_hi:[0,1]
	s_delay_alu instid0(VALU_DEP_1) | instskip(SKIP_1) | instid1(VALU_DEP_2)
	v_pk_fma_f32 v[94:95], v[38:39], v[36:37], v[40:41] op_sel_hi:[1,0,1]
	v_pk_fma_f32 v[36:37], v[38:39], v[36:37], v[40:41] neg_lo:[0,0,1] neg_hi:[0,0,1]
	v_mov_b32_e32 v37, v95
	s_delay_alu instid0(VALU_DEP_1)
	v_pk_add_f32 v[36:37], v[36:37], 0 op_sel_hi:[1,0]
	s_and_saveexec_b32 s68, s15
	s_cbranch_execz .LBB66_450
; %bb.449:                              ;   in Loop: Header=BB66_3 Depth=1
	ds_load_b64 v[38:39], v74 offset:20256
	ds_load_b64 v[40:41], v5 offset:20280
	s_wait_dscnt 0x0
	v_pk_mul_f32 v[94:95], v[40:41], v[38:39] op_sel:[1,1] op_sel_hi:[0,1]
	s_delay_alu instid0(VALU_DEP_1) | instskip(SKIP_1) | instid1(VALU_DEP_2)
	v_pk_fma_f32 v[96:97], v[40:41], v[38:39], v[94:95] op_sel_hi:[1,0,1]
	v_pk_fma_f32 v[38:39], v[40:41], v[38:39], v[94:95] neg_lo:[0,0,1] neg_hi:[0,0,1]
	v_mov_b32_e32 v39, v97
	s_delay_alu instid0(VALU_DEP_1)
	v_pk_add_f32 v[36:37], v[36:37], v[38:39]
.LBB66_450:                             ;   in Loop: Header=BB66_3 Depth=1
	s_or_b32 exec_lo, exec_lo, s68
.LBB66_451:                             ;   in Loop: Header=BB66_3 Depth=1
	s_delay_alu instid0(SALU_CYCLE_1)
	s_or_b32 exec_lo, exec_lo, s65
	s_and_saveexec_b32 s65, s94
	s_cbranch_execz .LBB66_453
; %bb.452:                              ;   in Loop: Header=BB66_3 Depth=1
	ds_load_b64 v[38:39], v5 offset:19240
	s_wait_dscnt 0x0
	v_pk_mul_f32 v[40:41], v[36:37], v[38:39] op_sel:[1,1] op_sel_hi:[1,0]
	s_delay_alu instid0(VALU_DEP_1) | instskip(SKIP_1) | instid1(VALU_DEP_2)
	v_pk_fma_f32 v[94:95], v[36:37], v[38:39], v[40:41] op_sel_hi:[0,1,1]
	v_pk_fma_f32 v[36:37], v[36:37], v[38:39], v[40:41] neg_lo:[0,0,1] neg_hi:[0,0,1]
	v_mov_b32_e32 v37, v95
	s_delay_alu instid0(VALU_DEP_1)
	v_pk_add_f32 v[38:39], v[36:37], 0 neg_lo:[1,1] neg_hi:[1,1]
	ds_store_b64 v3, v[38:39]
.LBB66_453:                             ;   in Loop: Header=BB66_3 Depth=1
	s_or_b32 exec_lo, exec_lo, s65
	s_wait_loadcnt_dscnt 0x0
	s_barrier_signal -1
	s_barrier_wait -1
	s_and_saveexec_b32 s65, s95
	s_cbranch_execz .LBB66_455
; %bb.454:                              ;   in Loop: Header=BB66_3 Depth=1
	ds_load_b64 v[38:39], v5 offset:19232
	ds_load_b64 v[40:41], v3
	s_wait_dscnt 0x0
	v_pk_mul_f32 v[94:95], v[40:41], v[38:39] op_sel:[1,1] op_sel_hi:[0,1]
	s_delay_alu instid0(VALU_DEP_1) | instskip(SKIP_1) | instid1(VALU_DEP_2)
	v_pk_fma_f32 v[96:97], v[40:41], v[38:39], v[94:95] op_sel_hi:[1,0,1]
	v_pk_fma_f32 v[38:39], v[40:41], v[38:39], v[94:95] neg_lo:[0,0,1] neg_hi:[0,0,1]
	v_mov_b32_e32 v39, v97
	s_delay_alu instid0(VALU_DEP_1)
	v_pk_add_f32 v[36:37], v[36:37], v[38:39] neg_lo:[0,1] neg_hi:[0,1]
.LBB66_455:                             ;   in Loop: Header=BB66_3 Depth=1
	s_or_b32 exec_lo, exec_lo, s65
	s_barrier_signal -1
	s_barrier_wait -1
	s_and_saveexec_b32 s65, s95
	s_cbranch_execz .LBB66_457
; %bb.456:                              ;   in Loop: Header=BB66_3 Depth=1
	ds_load_b64 v[38:39], v5 offset:18720
	s_wait_dscnt 0x0
	v_pk_mul_f32 v[40:41], v[36:37], v[38:39] op_sel:[1,1] op_sel_hi:[1,0]
	s_delay_alu instid0(VALU_DEP_1) | instskip(SKIP_1) | instid1(VALU_DEP_2)
	v_pk_fma_f32 v[94:95], v[36:37], v[38:39], v[40:41] op_sel_hi:[0,1,1]
	v_pk_fma_f32 v[36:37], v[36:37], v[38:39], v[40:41] neg_lo:[0,0,1] neg_hi:[0,0,1]
	v_mov_b32_e32 v37, v95
	s_delay_alu instid0(VALU_DEP_1)
	v_pk_add_f32 v[38:39], v[36:37], 0 neg_lo:[1,1] neg_hi:[1,1]
	ds_store_b64 v3, v[38:39]
.LBB66_457:                             ;   in Loop: Header=BB66_3 Depth=1
	s_or_b32 exec_lo, exec_lo, s65
	s_wait_dscnt 0x0
	s_barrier_signal -1
	s_barrier_wait -1
	s_barrier_signal -1
	s_barrier_wait -1
	s_and_saveexec_b32 s65, s0
; %bb.458:                              ;   in Loop: Header=BB66_3 Depth=1
	ds_store_b64 v48, v[36:37] offset:20256
; %bb.459:                              ;   in Loop: Header=BB66_3 Depth=1
	s_or_b32 exec_lo, exec_lo, s65
	s_wait_dscnt 0x0
	s_barrier_signal -1
	s_barrier_wait -1
	s_barrier_signal -1
	s_barrier_wait -1
	s_and_saveexec_b32 s65, s96
	s_cbranch_execz .LBB66_461
; %bb.460:                              ;   in Loop: Header=BB66_3 Depth=1
	ds_load_b64 v[36:37], v75 offset:19744
	s_wait_dscnt 0x0
	ds_store_b64 v74, v[36:37] offset:18736
	ds_load_b64 v[36:37], v75 offset:19752
	s_wait_dscnt 0x0
	ds_store_b64 v74, v[36:37] offset:19248
.LBB66_461:                             ;   in Loop: Header=BB66_3 Depth=1
	s_or_b32 exec_lo, exec_lo, s65
	s_wait_dscnt 0x0
	s_barrier_signal -1
	s_barrier_wait -1
	s_and_saveexec_b32 s65, s14
	s_cbranch_execz .LBB66_463
; %bb.462:                              ;   in Loop: Header=BB66_3 Depth=1
	v_add_nc_u32_e64 v4, 0x120, 0
	ds_load_b64 v[40:41], v5 offset:19240
	ds_load_2addr_stride64_b64 v[36:39], v4 offset0:36 offset1:37
	s_wait_dscnt 0x0
	v_dual_mul_f32 v42, v41, v37 :: v_dual_mul_f32 v4, v40, v37
	s_delay_alu instid0(VALU_DEP_1) | instskip(NEXT) | instid1(VALU_DEP_1)
	v_xor_b32_e32 v42, 0x80000000, v42
	v_dual_fmac_f32 v4, v41, v36 :: v_dual_fmac_f32 v42, v40, v36
	s_delay_alu instid0(VALU_DEP_1) | instskip(SKIP_1) | instid1(VALU_DEP_2)
	v_pk_mul_f32 v[36:37], v[4:5], v[38:39] op_sel:[0,1] op_sel_hi:[0,0]
	v_add_nc_u32_e64 v4, 0x4800, 0
	v_pk_fma_f32 v[40:41], v[42:43], v[38:39], v[36:37] op_sel_hi:[0,1,1]
	v_pk_fma_f32 v[36:37], v[42:43], v[38:39], v[36:37] neg_lo:[0,0,1] neg_hi:[0,0,1]
	s_delay_alu instid0(VALU_DEP_2)
	v_mov_b32_e32 v37, v41
	ds_store_2addr_b64 v4, v[36:37], v[36:37] offset0:37 offset1:100
.LBB66_463:                             ;   in Loop: Header=BB66_3 Depth=1
	s_or_b32 exec_lo, exec_lo, s65
	v_mov_b64_e32 v[36:37], 0
	s_wait_dscnt 0x0
	s_barrier_signal -1
	s_barrier_wait -1
	global_wb scope:SCOPE_DEV
	s_wait_storecnt 0x0
	global_inv scope:SCOPE_DEV
	s_and_saveexec_b32 s65, s2
	s_cbranch_execz .LBB66_469
; %bb.464:                              ;   in Loop: Header=BB66_3 Depth=1
	ds_load_b64 v[36:37], v51 offset:18688
	ds_load_b64 v[38:39], v52 offset:20256
	s_wait_dscnt 0x0
	v_dual_mul_f32 v4, v39, v37 :: v_dual_mul_f32 v37, v38, v37
	s_delay_alu instid0(VALU_DEP_1) | instskip(NEXT) | instid1(VALU_DEP_1)
	v_dual_fma_f32 v4, v38, v36, -v4 :: v_dual_fmac_f32 v37, v39, v36
	v_dual_add_f32 v36, 0, v4 :: v_dual_add_f32 v37, 0, v37
	s_and_saveexec_b32 s68, s16
	s_cbranch_execnz .LBB66_1146
; %bb.465:                              ;   in Loop: Header=BB66_3 Depth=1
	s_or_b32 exec_lo, exec_lo, s68
	s_and_saveexec_b32 s68, s17
	s_cbranch_execnz .LBB66_1147
.LBB66_466:                             ;   in Loop: Header=BB66_3 Depth=1
	s_or_b32 exec_lo, exec_lo, s68
	s_and_saveexec_b32 s68, s0
	s_cbranch_execz .LBB66_468
.LBB66_467:                             ;   in Loop: Header=BB66_3 Depth=1
	ds_load_b64 v[38:39], v76 offset:20224
	ds_load_b64 v[40:41], v5 offset:20280
	s_wait_dscnt 0x0
	v_dual_mul_f32 v4, v41, v39 :: v_dual_mul_f32 v39, v40, v39
	s_delay_alu instid0(VALU_DEP_1) | instskip(NEXT) | instid1(VALU_DEP_1)
	v_dual_fma_f32 v4, v40, v38, -v4 :: v_dual_fmac_f32 v39, v41, v38
	v_dual_add_f32 v36, v36, v4 :: v_dual_add_f32 v37, v37, v39
.LBB66_468:                             ;   in Loop: Header=BB66_3 Depth=1
	s_or_b32 exec_lo, exec_lo, s68
.LBB66_469:                             ;   in Loop: Header=BB66_3 Depth=1
	s_delay_alu instid0(SALU_CYCLE_1)
	s_or_b32 exec_lo, exec_lo, s65
	s_and_saveexec_b32 s65, s97
	s_cbranch_execz .LBB66_471
; %bb.470:                              ;   in Loop: Header=BB66_3 Depth=1
	ds_load_b64 v[38:39], v5 offset:18200
	s_wait_dscnt 0x0
	v_dual_mul_f32 v4, v37, v38 :: v_dual_mul_f32 v40, v37, v39
	s_delay_alu instid0(VALU_DEP_1) | instskip(NEXT) | instid1(VALU_DEP_2)
	v_pk_fma_f32 v[94:95], v[36:37], v[38:39], v[4:5] op_sel:[1,0,0] op_sel_hi:[0,1,0]
	v_pk_fma_f32 v[36:37], v[36:37], v[38:39], v[40:41] op_sel_hi:[1,1,0] neg_lo:[0,0,1] neg_hi:[0,0,1]
	s_delay_alu instid0(VALU_DEP_2) | instskip(NEXT) | instid1(VALU_DEP_1)
	v_mov_b32_e32 v37, v95
	v_pk_add_f32 v[38:39], v[36:37], 0 neg_lo:[1,1] neg_hi:[1,1]
	ds_store_b64 v50, v[38:39]
.LBB66_471:                             ;   in Loop: Header=BB66_3 Depth=1
	s_or_b32 exec_lo, exec_lo, s65
	s_wait_loadcnt_dscnt 0x0
	s_barrier_signal -1
	s_barrier_wait -1
	s_and_saveexec_b32 s65, s98
	s_cbranch_execz .LBB66_473
; %bb.472:                              ;   in Loop: Header=BB66_3 Depth=1
	ds_load_b64 v[38:39], v51 offset:18176
	ds_load_b64 v[40:41], v50
	s_wait_dscnt 0x0
	v_pk_mul_f32 v[94:95], v[40:41], v[38:39] op_sel:[1,1] op_sel_hi:[0,1]
	s_delay_alu instid0(VALU_DEP_1) | instskip(SKIP_1) | instid1(VALU_DEP_2)
	v_pk_fma_f32 v[96:97], v[40:41], v[38:39], v[94:95] op_sel_hi:[1,0,1]
	v_pk_fma_f32 v[38:39], v[40:41], v[38:39], v[94:95] neg_lo:[0,0,1] neg_hi:[0,0,1]
	v_mov_b32_e32 v39, v97
	s_delay_alu instid0(VALU_DEP_1)
	v_pk_add_f32 v[36:37], v[36:37], v[38:39] neg_lo:[0,1] neg_hi:[0,1]
.LBB66_473:                             ;   in Loop: Header=BB66_3 Depth=1
	s_or_b32 exec_lo, exec_lo, s65
	s_barrier_signal -1
	s_barrier_wait -1
	s_and_saveexec_b32 s65, s99
	s_cbranch_execz .LBB66_475
; %bb.474:                              ;   in Loop: Header=BB66_3 Depth=1
	ds_load_b64 v[38:39], v5 offset:17680
	s_wait_dscnt 0x0
	v_pk_mul_f32 v[40:41], v[36:37], v[38:39] op_sel:[1,1] op_sel_hi:[1,0]
	s_delay_alu instid0(VALU_DEP_1) | instskip(SKIP_1) | instid1(VALU_DEP_2)
	v_pk_fma_f32 v[94:95], v[36:37], v[38:39], v[40:41] op_sel_hi:[0,1,1]
	v_pk_fma_f32 v[36:37], v[36:37], v[38:39], v[40:41] neg_lo:[0,0,1] neg_hi:[0,0,1]
	v_mov_b32_e32 v37, v95
	s_delay_alu instid0(VALU_DEP_1)
	v_pk_add_f32 v[38:39], v[36:37], 0 neg_lo:[1,1] neg_hi:[1,1]
	ds_store_b64 v50, v[38:39]
.LBB66_475:                             ;   in Loop: Header=BB66_3 Depth=1
	s_or_b32 exec_lo, exec_lo, s65
	s_wait_dscnt 0x0
	s_barrier_signal -1
	s_barrier_wait -1
	s_and_saveexec_b32 s65, s100
	s_cbranch_execz .LBB66_477
; %bb.476:                              ;   in Loop: Header=BB66_3 Depth=1
	ds_load_b64 v[38:39], v51 offset:17664
	ds_load_b64 v[40:41], v50
	s_wait_dscnt 0x0
	v_pk_mul_f32 v[94:95], v[40:41], v[38:39] op_sel:[1,1] op_sel_hi:[0,1]
	s_delay_alu instid0(VALU_DEP_1) | instskip(SKIP_1) | instid1(VALU_DEP_2)
	v_pk_fma_f32 v[96:97], v[40:41], v[38:39], v[94:95] op_sel_hi:[1,0,1]
	v_pk_fma_f32 v[38:39], v[40:41], v[38:39], v[94:95] neg_lo:[0,0,1] neg_hi:[0,0,1]
	v_mov_b32_e32 v39, v97
	s_delay_alu instid0(VALU_DEP_1)
	v_pk_add_f32 v[36:37], v[36:37], v[38:39] neg_lo:[0,1] neg_hi:[0,1]
.LBB66_477:                             ;   in Loop: Header=BB66_3 Depth=1
	s_or_b32 exec_lo, exec_lo, s65
	s_barrier_signal -1
	s_barrier_wait -1
	s_and_saveexec_b32 s65, s101
	s_cbranch_execz .LBB66_479
; %bb.478:                              ;   in Loop: Header=BB66_3 Depth=1
	ds_load_b64 v[38:39], v5 offset:17160
	s_wait_dscnt 0x0
	v_pk_mul_f32 v[40:41], v[36:37], v[38:39] op_sel:[1,1] op_sel_hi:[1,0]
	s_delay_alu instid0(VALU_DEP_1) | instskip(SKIP_1) | instid1(VALU_DEP_2)
	v_pk_fma_f32 v[94:95], v[36:37], v[38:39], v[40:41] op_sel_hi:[0,1,1]
	v_pk_fma_f32 v[36:37], v[36:37], v[38:39], v[40:41] neg_lo:[0,0,1] neg_hi:[0,0,1]
	v_mov_b32_e32 v37, v95
	s_delay_alu instid0(VALU_DEP_1)
	v_pk_add_f32 v[38:39], v[36:37], 0 neg_lo:[1,1] neg_hi:[1,1]
	ds_store_b64 v50, v[38:39]
.LBB66_479:                             ;   in Loop: Header=BB66_3 Depth=1
	s_or_b32 exec_lo, exec_lo, s65
	s_wait_dscnt 0x0
	;; [unrolled: 35-line block ×3, first 2 shown]
	s_barrier_signal -1
	s_barrier_wait -1
	s_barrier_signal -1
	s_barrier_wait -1
	s_and_saveexec_b32 s65, s2
; %bb.484:                              ;   in Loop: Header=BB66_3 Depth=1
	ds_store_b64 v55, v[36:37] offset:20224
; %bb.485:                              ;   in Loop: Header=BB66_3 Depth=1
	s_or_b32 exec_lo, exec_lo, s65
	s_wait_dscnt 0x0
	s_barrier_signal -1
	s_barrier_wait -1
	s_barrier_signal -1
	s_barrier_wait -1
	s_and_saveexec_b32 s65, s103
	s_cbranch_execz .LBB66_487
; %bb.486:                              ;   in Loop: Header=BB66_3 Depth=1
	ds_load_b64 v[36:37], v79 offset:18688
	s_wait_dscnt 0x0
	ds_store_b64 v82, v[36:37] offset:16672
	ds_load_b64 v[36:37], v79 offset:18696
	s_wait_dscnt 0x0
	ds_store_b64 v82, v[36:37] offset:17184
	;; [unrolled: 3-line block ×4, first 2 shown]
.LBB66_487:                             ;   in Loop: Header=BB66_3 Depth=1
	s_or_b32 exec_lo, exec_lo, s65
	s_wait_dscnt 0x0
	s_barrier_signal -1
	s_barrier_wait -1
	s_and_saveexec_b32 s65, s14
	s_cbranch_execz .LBB66_489
; %bb.488:                              ;   in Loop: Header=BB66_3 Depth=1
	v_add_nc_u32_e64 v4, 0x110, 0
	ds_load_b64 v[40:41], v5 offset:18200
	ds_load_2addr_stride64_b64 v[36:39], v4 offset0:34 offset1:35
	s_wait_dscnt 0x0
	v_dual_mul_f32 v42, v41, v37 :: v_dual_mul_f32 v4, v40, v37
	s_delay_alu instid0(VALU_DEP_1) | instskip(NEXT) | instid1(VALU_DEP_1)
	v_xor_b32_e32 v42, 0x80000000, v42
	v_dual_fmac_f32 v4, v41, v36 :: v_dual_fmac_f32 v42, v40, v36
	s_delay_alu instid0(VALU_DEP_1) | instskip(SKIP_1) | instid1(VALU_DEP_2)
	v_pk_mul_f32 v[36:37], v[4:5], v[38:39] op_sel:[0,1] op_sel_hi:[0,0]
	v_add_nc_u32_e64 v4, 0x4000, 0
	v_pk_fma_f32 v[40:41], v[42:43], v[38:39], v[36:37] op_sel_hi:[0,1,1]
	v_pk_fma_f32 v[36:37], v[42:43], v[38:39], v[36:37] neg_lo:[0,0,1] neg_hi:[0,0,1]
	s_delay_alu instid0(VALU_DEP_2)
	v_mov_b32_e32 v37, v41
	ds_store_2addr_b64 v4, v[36:37], v[36:37] offset0:163 offset1:226
.LBB66_489:                             ;   in Loop: Header=BB66_3 Depth=1
	s_or_b32 exec_lo, exec_lo, s65
	v_dual_mov_b32 v36, 0 :: v_dual_mov_b32 v37, 0
	s_wait_dscnt 0x0
	s_barrier_signal -1
	s_barrier_wait -1
	global_wb scope:SCOPE_DEV
	s_wait_storecnt 0x0
	global_inv scope:SCOPE_DEV
	s_and_saveexec_b32 s65, s0
	s_cbranch_execz .LBB66_493
; %bb.490:                              ;   in Loop: Header=BB66_3 Depth=1
	ds_load_b64 v[36:37], v45 offset:17664
	ds_load_b64 v[38:39], v46 offset:18192
	s_wait_dscnt 0x0
	v_pk_mul_f32 v[40:41], v[38:39], v[36:37] op_sel:[1,1] op_sel_hi:[0,1]
	s_delay_alu instid0(VALU_DEP_1) | instskip(SKIP_1) | instid1(VALU_DEP_2)
	v_pk_fma_f32 v[94:95], v[38:39], v[36:37], v[40:41] op_sel_hi:[1,0,1]
	v_pk_fma_f32 v[36:37], v[38:39], v[36:37], v[40:41] neg_lo:[0,0,1] neg_hi:[0,0,1]
	v_mov_b32_e32 v37, v95
	s_delay_alu instid0(VALU_DEP_1)
	v_pk_add_f32 v[36:37], v[36:37], 0 op_sel_hi:[1,0]
	s_and_saveexec_b32 s68, s15
	s_cbranch_execz .LBB66_492
; %bb.491:                              ;   in Loop: Header=BB66_3 Depth=1
	ds_load_b64 v[38:39], v82 offset:18176
	ds_load_b64 v[40:41], v5 offset:18200
	s_wait_dscnt 0x0
	v_pk_mul_f32 v[94:95], v[40:41], v[38:39] op_sel:[1,1] op_sel_hi:[0,1]
	s_delay_alu instid0(VALU_DEP_1) | instskip(SKIP_1) | instid1(VALU_DEP_2)
	v_pk_fma_f32 v[96:97], v[40:41], v[38:39], v[94:95] op_sel_hi:[1,0,1]
	v_pk_fma_f32 v[38:39], v[40:41], v[38:39], v[94:95] neg_lo:[0,0,1] neg_hi:[0,0,1]
	v_mov_b32_e32 v39, v97
	s_delay_alu instid0(VALU_DEP_1)
	v_pk_add_f32 v[36:37], v[36:37], v[38:39]
.LBB66_492:                             ;   in Loop: Header=BB66_3 Depth=1
	s_or_b32 exec_lo, exec_lo, s68
.LBB66_493:                             ;   in Loop: Header=BB66_3 Depth=1
	s_delay_alu instid0(SALU_CYCLE_1)
	s_or_b32 exec_lo, exec_lo, s65
	s_and_saveexec_b32 s65, s94
	s_cbranch_execz .LBB66_495
; %bb.494:                              ;   in Loop: Header=BB66_3 Depth=1
	ds_load_b64 v[38:39], v5 offset:17160
	s_wait_dscnt 0x0
	v_pk_mul_f32 v[40:41], v[36:37], v[38:39] op_sel:[1,1] op_sel_hi:[1,0]
	s_delay_alu instid0(VALU_DEP_1) | instskip(SKIP_1) | instid1(VALU_DEP_2)
	v_pk_fma_f32 v[94:95], v[36:37], v[38:39], v[40:41] op_sel_hi:[0,1,1]
	v_pk_fma_f32 v[36:37], v[36:37], v[38:39], v[40:41] neg_lo:[0,0,1] neg_hi:[0,0,1]
	v_mov_b32_e32 v37, v95
	s_delay_alu instid0(VALU_DEP_1)
	v_pk_add_f32 v[38:39], v[36:37], 0 neg_lo:[1,1] neg_hi:[1,1]
	ds_store_b64 v3, v[38:39]
.LBB66_495:                             ;   in Loop: Header=BB66_3 Depth=1
	s_or_b32 exec_lo, exec_lo, s65
	s_wait_loadcnt_dscnt 0x0
	s_barrier_signal -1
	s_barrier_wait -1
	s_and_saveexec_b32 s65, s95
	s_cbranch_execz .LBB66_497
; %bb.496:                              ;   in Loop: Header=BB66_3 Depth=1
	ds_load_b64 v[38:39], v5 offset:17152
	ds_load_b64 v[40:41], v3
	s_wait_dscnt 0x0
	v_pk_mul_f32 v[94:95], v[40:41], v[38:39] op_sel:[1,1] op_sel_hi:[0,1]
	s_delay_alu instid0(VALU_DEP_1) | instskip(SKIP_1) | instid1(VALU_DEP_2)
	v_pk_fma_f32 v[96:97], v[40:41], v[38:39], v[94:95] op_sel_hi:[1,0,1]
	v_pk_fma_f32 v[38:39], v[40:41], v[38:39], v[94:95] neg_lo:[0,0,1] neg_hi:[0,0,1]
	v_mov_b32_e32 v39, v97
	s_delay_alu instid0(VALU_DEP_1)
	v_pk_add_f32 v[36:37], v[36:37], v[38:39] neg_lo:[0,1] neg_hi:[0,1]
.LBB66_497:                             ;   in Loop: Header=BB66_3 Depth=1
	s_or_b32 exec_lo, exec_lo, s65
	s_barrier_signal -1
	s_barrier_wait -1
	s_and_saveexec_b32 s65, s95
	s_cbranch_execz .LBB66_499
; %bb.498:                              ;   in Loop: Header=BB66_3 Depth=1
	ds_load_b64 v[38:39], v5 offset:16640
	s_wait_dscnt 0x0
	v_pk_mul_f32 v[40:41], v[36:37], v[38:39] op_sel:[1,1] op_sel_hi:[1,0]
	s_delay_alu instid0(VALU_DEP_1) | instskip(SKIP_1) | instid1(VALU_DEP_2)
	v_pk_fma_f32 v[94:95], v[36:37], v[38:39], v[40:41] op_sel_hi:[0,1,1]
	v_pk_fma_f32 v[36:37], v[36:37], v[38:39], v[40:41] neg_lo:[0,0,1] neg_hi:[0,0,1]
	v_mov_b32_e32 v37, v95
	s_delay_alu instid0(VALU_DEP_1)
	v_pk_add_f32 v[38:39], v[36:37], 0 neg_lo:[1,1] neg_hi:[1,1]
	ds_store_b64 v3, v[38:39]
.LBB66_499:                             ;   in Loop: Header=BB66_3 Depth=1
	s_or_b32 exec_lo, exec_lo, s65
	s_wait_dscnt 0x0
	s_barrier_signal -1
	s_barrier_wait -1
	s_barrier_signal -1
	s_barrier_wait -1
	s_and_saveexec_b32 s65, s0
; %bb.500:                              ;   in Loop: Header=BB66_3 Depth=1
	ds_store_b64 v48, v[36:37] offset:18176
; %bb.501:                              ;   in Loop: Header=BB66_3 Depth=1
	s_or_b32 exec_lo, exec_lo, s65
	s_wait_dscnt 0x0
	s_barrier_signal -1
	s_barrier_wait -1
	s_barrier_signal -1
	s_barrier_wait -1
	s_and_saveexec_b32 s65, s96
	s_cbranch_execz .LBB66_503
; %bb.502:                              ;   in Loop: Header=BB66_3 Depth=1
	ds_load_b64 v[36:37], v83 offset:17664
	s_wait_dscnt 0x0
	ds_store_b64 v82, v[36:37] offset:16656
	ds_load_b64 v[36:37], v83 offset:17672
	s_wait_dscnt 0x0
	ds_store_b64 v82, v[36:37] offset:17168
.LBB66_503:                             ;   in Loop: Header=BB66_3 Depth=1
	s_or_b32 exec_lo, exec_lo, s65
	s_wait_dscnt 0x0
	s_barrier_signal -1
	s_barrier_wait -1
	s_and_saveexec_b32 s65, s14
	s_cbranch_execz .LBB66_505
; %bb.504:                              ;   in Loop: Header=BB66_3 Depth=1
	v_add_nc_u32_e64 v4, 0x100, 0
	ds_load_b64 v[40:41], v5 offset:17160
	ds_load_2addr_stride64_b64 v[36:39], v4 offset0:32 offset1:33
	s_wait_dscnt 0x0
	v_dual_mul_f32 v42, v41, v37 :: v_dual_mul_f32 v4, v40, v37
	s_delay_alu instid0(VALU_DEP_1) | instskip(NEXT) | instid1(VALU_DEP_1)
	v_xor_b32_e32 v42, 0x80000000, v42
	v_dual_fmac_f32 v4, v41, v36 :: v_dual_fmac_f32 v42, v40, v36
	s_delay_alu instid0(VALU_DEP_1) | instskip(SKIP_1) | instid1(VALU_DEP_2)
	v_pk_mul_f32 v[36:37], v[4:5], v[38:39] op_sel:[0,1] op_sel_hi:[0,0]
	v_add_nc_u32_e64 v4, 0x4000, 0
	v_pk_fma_f32 v[40:41], v[42:43], v[38:39], v[36:37] op_sel_hi:[0,1,1]
	v_pk_fma_f32 v[36:37], v[42:43], v[38:39], v[36:37] neg_lo:[0,0,1] neg_hi:[0,0,1]
	s_delay_alu instid0(VALU_DEP_2)
	v_mov_b32_e32 v37, v41
	ds_store_2addr_b64 v4, v[36:37], v[36:37] offset0:33 offset1:96
.LBB66_505:                             ;   in Loop: Header=BB66_3 Depth=1
	s_or_b32 exec_lo, exec_lo, s65
	v_mov_b64_e32 v[36:37], 0
	s_wait_dscnt 0x0
	s_barrier_signal -1
	s_barrier_wait -1
	global_wb scope:SCOPE_DEV
	s_wait_storecnt 0x0
	global_inv scope:SCOPE_DEV
	s_and_saveexec_b32 s65, s35
	s_cbranch_execz .LBB66_567
; %bb.506:                              ;   in Loop: Header=BB66_3 Depth=1
	ds_load_b64 v[36:37], v65 offset:16384
	ds_load_b64 v[38:39], v67 offset:32512
	v_readlane_b32 s51, v103, 11
	s_wait_dscnt 0x0
	v_dual_mul_f32 v4, v39, v37 :: v_dual_mul_f32 v37, v38, v37
	s_delay_alu instid0(VALU_DEP_1) | instskip(NEXT) | instid1(VALU_DEP_1)
	v_dual_fma_f32 v4, v38, v36, -v4 :: v_dual_fmac_f32 v37, v39, v36
	v_dual_add_f32 v36, 0, v4 :: v_dual_add_f32 v37, 0, v37
	s_and_saveexec_b32 s68, s51
	s_cbranch_execz .LBB66_508
; %bb.507:                              ;   in Loop: Header=BB66_3 Depth=1
	ds_load_b64 v[38:39], v65 offset:16896
	ds_load_b64 v[40:41], v67 offset:32520
	s_wait_dscnt 0x0
	v_dual_mul_f32 v4, v41, v39 :: v_dual_mul_f32 v39, v40, v39
	s_delay_alu instid0(VALU_DEP_1) | instskip(NEXT) | instid1(VALU_DEP_1)
	v_dual_fma_f32 v4, v40, v38, -v4 :: v_dual_fmac_f32 v39, v41, v38
	v_dual_add_f32 v36, v36, v4 :: v_dual_add_f32 v37, v37, v39
.LBB66_508:                             ;   in Loop: Header=BB66_3 Depth=1
	s_or_b32 exec_lo, exec_lo, s68
	v_readlane_b32 s51, v103, 12
	s_and_saveexec_b32 s68, s51
	s_cbranch_execz .LBB66_510
; %bb.509:                              ;   in Loop: Header=BB66_3 Depth=1
	ds_load_b64 v[38:39], v65 offset:17408
	ds_load_b64 v[40:41], v67 offset:32528
	s_wait_dscnt 0x0
	v_dual_mul_f32 v4, v41, v39 :: v_dual_mul_f32 v39, v40, v39
	s_delay_alu instid0(VALU_DEP_1) | instskip(NEXT) | instid1(VALU_DEP_1)
	v_dual_fma_f32 v4, v40, v38, -v4 :: v_dual_fmac_f32 v39, v41, v38
	v_dual_add_f32 v36, v36, v4 :: v_dual_add_f32 v37, v37, v39
.LBB66_510:                             ;   in Loop: Header=BB66_3 Depth=1
	s_or_b32 exec_lo, exec_lo, s68
	v_readlane_b32 s51, v103, 13
	;; [unrolled: 13-line block ×22, first 2 shown]
	s_and_saveexec_b32 s68, s51
	s_cbranch_execz .LBB66_552
; %bb.551:                              ;   in Loop: Header=BB66_3 Depth=1
	ds_load_b64 v[38:39], v65 offset:28160
	ds_load_b64 v[40:41], v67 offset:32696
	s_wait_dscnt 0x0
	v_dual_mul_f32 v4, v41, v39 :: v_dual_mul_f32 v39, v40, v39
	s_delay_alu instid0(VALU_DEP_1) | instskip(NEXT) | instid1(VALU_DEP_1)
	v_dual_fma_f32 v4, v40, v38, -v4 :: v_dual_fmac_f32 v39, v41, v38
	v_dual_add_f32 v36, v36, v4 :: v_dual_add_f32 v37, v37, v39
.LBB66_552:                             ;   in Loop: Header=BB66_3 Depth=1
	s_or_b32 exec_lo, exec_lo, s68
	s_and_saveexec_b32 s68, s4
	s_cbranch_execz .LBB66_554
; %bb.553:                              ;   in Loop: Header=BB66_3 Depth=1
	ds_load_b64 v[38:39], v65 offset:28672
	ds_load_b64 v[40:41], v67 offset:32704
	s_wait_dscnt 0x0
	v_dual_mul_f32 v4, v41, v39 :: v_dual_mul_f32 v39, v40, v39
	s_delay_alu instid0(VALU_DEP_1) | instskip(NEXT) | instid1(VALU_DEP_1)
	v_dual_fma_f32 v4, v40, v38, -v4 :: v_dual_fmac_f32 v39, v41, v38
	v_dual_add_f32 v36, v36, v4 :: v_dual_add_f32 v37, v37, v39
.LBB66_554:                             ;   in Loop: Header=BB66_3 Depth=1
	s_or_b32 exec_lo, exec_lo, s68
	v_readlane_b32 s51, v104, 29
	s_and_saveexec_b32 s68, s51
	s_cbranch_execz .LBB66_556
; %bb.555:                              ;   in Loop: Header=BB66_3 Depth=1
	ds_load_b64 v[38:39], v65 offset:29184
	ds_load_b64 v[40:41], v67 offset:32712
	s_wait_dscnt 0x0
	v_dual_mul_f32 v4, v41, v39 :: v_dual_mul_f32 v39, v40, v39
	s_delay_alu instid0(VALU_DEP_1) | instskip(NEXT) | instid1(VALU_DEP_1)
	v_dual_fma_f32 v4, v40, v38, -v4 :: v_dual_fmac_f32 v39, v41, v38
	v_dual_add_f32 v36, v36, v4 :: v_dual_add_f32 v37, v37, v39
.LBB66_556:                             ;   in Loop: Header=BB66_3 Depth=1
	s_or_b32 exec_lo, exec_lo, s68
	v_readlane_b32 s51, v104, 31
	;; [unrolled: 13-line block ×4, first 2 shown]
	s_and_saveexec_b32 s68, s51
	s_cbranch_execz .LBB66_562
; %bb.561:                              ;   in Loop: Header=BB66_3 Depth=1
	ds_load_b64 v[38:39], v65 offset:30720
	ds_load_b64 v[40:41], v67 offset:32736
	s_wait_dscnt 0x0
	v_dual_mul_f32 v4, v41, v39 :: v_dual_mul_f32 v95, v40, v39
	s_delay_alu instid0(VALU_DEP_1) | instskip(NEXT) | instid1(VALU_DEP_1)
	v_dual_fma_f32 v94, v40, v38, -v4 :: v_dual_fmac_f32 v95, v41, v38
	v_pk_add_f32 v[36:37], v[36:37], v[94:95]
.LBB66_562:                             ;   in Loop: Header=BB66_3 Depth=1
	s_or_b32 exec_lo, exec_lo, s68
	v_readlane_b32 s51, v103, 5
	s_and_saveexec_b32 s68, s51
	s_cbranch_execnz .LBB66_1148
; %bb.563:                              ;   in Loop: Header=BB66_3 Depth=1
	s_or_b32 exec_lo, exec_lo, s68
	s_and_saveexec_b32 s68, s3
	s_cbranch_execnz .LBB66_1149
.LBB66_564:                             ;   in Loop: Header=BB66_3 Depth=1
	s_or_b32 exec_lo, exec_lo, s68
	s_and_saveexec_b32 s68, s21
	s_delay_alu instid0(SALU_CYCLE_1)
	s_xor_b32 s68, exec_lo, s68
	s_cbranch_execz .LBB66_566
.LBB66_565:                             ;   in Loop: Header=BB66_3 Depth=1
	ds_load_b64 v[38:39], v65 offset:32256
	ds_load_b64 v[40:41], v67 offset:32760
	s_wait_dscnt 0x0
	v_pk_mul_f32 v[94:95], v[40:41], v[38:39] op_sel:[1,1] op_sel_hi:[0,1]
	s_delay_alu instid0(VALU_DEP_1) | instskip(SKIP_1) | instid1(VALU_DEP_2)
	v_pk_fma_f32 v[96:97], v[40:41], v[38:39], v[94:95] op_sel_hi:[1,0,1]
	v_pk_fma_f32 v[38:39], v[40:41], v[38:39], v[94:95] neg_lo:[0,0,1] neg_hi:[0,0,1]
	v_mov_b32_e32 v39, v97
	s_delay_alu instid0(VALU_DEP_1)
	v_pk_add_f32 v[36:37], v[36:37], v[38:39]
.LBB66_566:                             ;   in Loop: Header=BB66_3 Depth=1
	s_or_b32 exec_lo, exec_lo, s68
.LBB66_567:                             ;   in Loop: Header=BB66_3 Depth=1
	s_delay_alu instid0(SALU_CYCLE_1)
	s_or_b32 exec_lo, exec_lo, s65
	v_dual_mov_b32 v4, v93 :: v_dual_mov_b32 v38, v92
	s_mov_b32 s65, 31
	s_branch .LBB66_569
.LBB66_568:                             ;   in Loop: Header=BB66_569 Depth=2
	s_or_b32 exec_lo, exec_lo, s69
	v_add_nc_u32_e32 v38, 0xfffffc00, v38
	v_add_nc_u32_e32 v4, 2, v4
	s_add_co_i32 s65, s65, -2
	s_cmp_eq_u32 s68, 0
	s_barrier_signal -1
	s_barrier_wait -1
	s_cbranch_scc1 .LBB66_577
.LBB66_569:                             ;   Parent Loop BB66_3 Depth=1
                                        ; =>  This Inner Loop Header: Depth=2
	s_delay_alu instid0(VALU_DEP_1) | instskip(SKIP_1) | instid1(SALU_CYCLE_1)
	v_cmp_eq_u32_e32 vcc_lo, 0, v4
	s_and_b32 s69, s64, vcc_lo
	s_and_saveexec_b32 s68, s69
	s_cbranch_execz .LBB66_571
; %bb.570:                              ;   in Loop: Header=BB66_569 Depth=2
	ds_load_b64 v[40:41], v90
	s_wait_dscnt 0x0
	v_pk_mul_f32 v[94:95], v[36:37], v[40:41] op_sel:[1,1] op_sel_hi:[1,0]
	s_delay_alu instid0(VALU_DEP_1) | instskip(SKIP_1) | instid1(VALU_DEP_2)
	v_pk_fma_f32 v[96:97], v[36:37], v[40:41], v[94:95] op_sel_hi:[0,1,1]
	v_pk_fma_f32 v[36:37], v[36:37], v[40:41], v[94:95] neg_lo:[0,0,1] neg_hi:[0,0,1]
	v_mov_b32_e32 v37, v97
	s_delay_alu instid0(VALU_DEP_1)
	v_pk_add_f32 v[40:41], v[36:37], 0 neg_lo:[1,1] neg_hi:[1,1]
	ds_store_b64 v66, v[40:41]
.LBB66_571:                             ;   in Loop: Header=BB66_569 Depth=2
	s_or_b32 exec_lo, exec_lo, s68
	v_cmp_gt_u32_e32 vcc_lo, s65, v7
	s_wait_loadcnt_dscnt 0x0
	s_barrier_signal -1
	s_barrier_wait -1
	s_and_b32 s69, s64, vcc_lo
	s_delay_alu instid0(SALU_CYCLE_1)
	s_and_saveexec_b32 s68, s69
	s_cbranch_execz .LBB66_573
; %bb.572:                              ;   in Loop: Header=BB66_569 Depth=2
	ds_load_b64 v[40:41], v38 offset:512
	ds_load_b64 v[94:95], v66
	s_wait_dscnt 0x0
	v_pk_mul_f32 v[96:97], v[94:95], v[40:41] op_sel:[1,1] op_sel_hi:[0,1]
	s_delay_alu instid0(VALU_DEP_1) | instskip(SKIP_1) | instid1(VALU_DEP_2)
	v_pk_fma_f32 v[98:99], v[94:95], v[40:41], v[96:97] op_sel_hi:[1,0,1]
	v_pk_fma_f32 v[40:41], v[94:95], v[40:41], v[96:97] neg_lo:[0,0,1] neg_hi:[0,0,1]
	v_mov_b32_e32 v41, v99
	s_delay_alu instid0(VALU_DEP_1)
	v_pk_add_f32 v[36:37], v[36:37], v[40:41] neg_lo:[0,1] neg_hi:[0,1]
.LBB66_573:                             ;   in Loop: Header=BB66_569 Depth=2
	s_or_b32 exec_lo, exec_lo, s68
	s_add_co_i32 s68, s65, -1
	s_delay_alu instid0(SALU_CYCLE_1) | instskip(SKIP_3) | instid1(SALU_CYCLE_1)
	v_cmp_eq_u32_e32 vcc_lo, s68, v7
	s_barrier_signal -1
	s_barrier_wait -1
	s_and_b32 s84, s64, vcc_lo
	s_and_saveexec_b32 s69, s84
	s_cbranch_execz .LBB66_575
; %bb.574:                              ;   in Loop: Header=BB66_569 Depth=2
	ds_load_b64 v[40:41], v90
	s_wait_dscnt 0x0
	v_pk_mul_f32 v[94:95], v[36:37], v[40:41] op_sel:[1,1] op_sel_hi:[1,0]
	s_delay_alu instid0(VALU_DEP_1) | instskip(SKIP_1) | instid1(VALU_DEP_2)
	v_pk_fma_f32 v[96:97], v[36:37], v[40:41], v[94:95] op_sel_hi:[0,1,1]
	v_pk_fma_f32 v[36:37], v[36:37], v[40:41], v[94:95] neg_lo:[0,0,1] neg_hi:[0,0,1]
	v_mov_b32_e32 v37, v97
	s_delay_alu instid0(VALU_DEP_1)
	v_pk_add_f32 v[40:41], v[36:37], 0 neg_lo:[1,1] neg_hi:[1,1]
	ds_store_b64 v66, v[40:41]
.LBB66_575:                             ;   in Loop: Header=BB66_569 Depth=2
	s_or_b32 exec_lo, exec_lo, s69
	v_cmp_gt_u32_e32 vcc_lo, s68, v7
	s_wait_dscnt 0x0
	s_barrier_signal -1
	s_barrier_wait -1
	s_and_b32 s84, s64, vcc_lo
	s_delay_alu instid0(SALU_CYCLE_1)
	s_and_saveexec_b32 s69, s84
	s_cbranch_execz .LBB66_568
; %bb.576:                              ;   in Loop: Header=BB66_569 Depth=2
	ds_load_b64 v[40:41], v38
	ds_load_b64 v[94:95], v66
	s_wait_dscnt 0x0
	v_pk_mul_f32 v[96:97], v[94:95], v[40:41] op_sel:[1,1] op_sel_hi:[0,1]
	s_delay_alu instid0(VALU_DEP_1) | instskip(SKIP_1) | instid1(VALU_DEP_2)
	v_pk_fma_f32 v[98:99], v[94:95], v[40:41], v[96:97] op_sel_hi:[1,0,1]
	v_pk_fma_f32 v[40:41], v[94:95], v[40:41], v[96:97] neg_lo:[0,0,1] neg_hi:[0,0,1]
	v_mov_b32_e32 v41, v99
	s_delay_alu instid0(VALU_DEP_1)
	v_pk_add_f32 v[36:37], v[36:37], v[40:41] neg_lo:[0,1] neg_hi:[0,1]
	s_branch .LBB66_568
.LBB66_577:                             ;   in Loop: Header=BB66_3 Depth=1
	s_and_saveexec_b32 s65, s35
; %bb.578:                              ;   in Loop: Header=BB66_3 Depth=1
	ds_store_b64 v68, v[36:37] offset:32256
; %bb.579:                              ;   in Loop: Header=BB66_3 Depth=1
	s_or_b32 exec_lo, exec_lo, s65
	v_readlane_b32 s51, v104, 6
	s_wait_dscnt 0x0
	s_barrier_signal -1
	s_barrier_wait -1
	s_barrier_signal -1
	s_barrier_wait -1
	s_and_saveexec_b32 s65, s51
	s_cbranch_execz .LBB66_581
; %bb.580:                              ;   in Loop: Header=BB66_3 Depth=1
	ds_load_b64 v[36:37], v83 offset:16384
	v_add_nc_u32_e32 v4, v83, v53
	s_wait_dscnt 0x0
	ds_store_b64 v4, v[36:37] offset:256
	ds_load_b64 v[36:37], v83 offset:16392
	s_wait_dscnt 0x0
	ds_store_b64 v4, v[36:37] offset:768
	ds_load_b64 v[36:37], v83 offset:16400
	s_wait_dscnt 0x0
	ds_store_b64 v4, v[36:37] offset:1280
	ds_load_b64 v[36:37], v83 offset:16408
	s_wait_dscnt 0x0
	ds_store_b64 v4, v[36:37] offset:1792
	ds_load_b64 v[36:37], v83 offset:16416
	s_wait_dscnt 0x0
	ds_store_b64 v4, v[36:37] offset:2304
	ds_load_b64 v[36:37], v83 offset:16424
	s_wait_dscnt 0x0
	ds_store_b64 v4, v[36:37] offset:2816
	ds_load_b64 v[36:37], v83 offset:16432
	s_wait_dscnt 0x0
	ds_store_b64 v4, v[36:37] offset:3328
	ds_load_b64 v[36:37], v83 offset:16440
	s_wait_dscnt 0x0
	ds_store_b64 v4, v[36:37] offset:3840
	ds_load_b64 v[36:37], v83 offset:16448
	s_wait_dscnt 0x0
	ds_store_b64 v4, v[36:37] offset:4352
	ds_load_b64 v[36:37], v83 offset:16456
	s_wait_dscnt 0x0
	ds_store_b64 v4, v[36:37] offset:4864
	ds_load_b64 v[36:37], v83 offset:16464
	s_wait_dscnt 0x0
	ds_store_b64 v4, v[36:37] offset:5376
	ds_load_b64 v[36:37], v83 offset:16472
	s_wait_dscnt 0x0
	ds_store_b64 v4, v[36:37] offset:5888
	ds_load_b64 v[36:37], v83 offset:16480
	s_wait_dscnt 0x0
	ds_store_b64 v4, v[36:37] offset:6400
	ds_load_b64 v[36:37], v83 offset:16488
	s_wait_dscnt 0x0
	ds_store_b64 v4, v[36:37] offset:6912
	ds_load_b64 v[36:37], v83 offset:16496
	s_wait_dscnt 0x0
	ds_store_b64 v4, v[36:37] offset:7424
	ds_load_b64 v[36:37], v83 offset:16504
	s_wait_dscnt 0x0
	ds_store_b64 v4, v[36:37] offset:7936
	ds_load_b64 v[36:37], v83 offset:16512
	s_wait_dscnt 0x0
	ds_store_b64 v4, v[36:37] offset:8448
	ds_load_b64 v[36:37], v83 offset:16520
	s_wait_dscnt 0x0
	ds_store_b64 v4, v[36:37] offset:8960
	ds_load_b64 v[36:37], v83 offset:16528
	s_wait_dscnt 0x0
	ds_store_b64 v4, v[36:37] offset:9472
	ds_load_b64 v[36:37], v83 offset:16536
	s_wait_dscnt 0x0
	ds_store_b64 v4, v[36:37] offset:9984
	ds_load_b64 v[36:37], v83 offset:16544
	s_wait_dscnt 0x0
	ds_store_b64 v4, v[36:37] offset:10496
	ds_load_b64 v[36:37], v83 offset:16552
	s_wait_dscnt 0x0
	ds_store_b64 v4, v[36:37] offset:11008
	ds_load_b64 v[36:37], v83 offset:16560
	s_wait_dscnt 0x0
	ds_store_b64 v4, v[36:37] offset:11520
	ds_load_b64 v[36:37], v83 offset:16568
	s_wait_dscnt 0x0
	ds_store_b64 v4, v[36:37] offset:12032
	ds_load_b64 v[36:37], v83 offset:16576
	s_wait_dscnt 0x0
	ds_store_b64 v4, v[36:37] offset:12544
	ds_load_b64 v[36:37], v83 offset:16584
	s_wait_dscnt 0x0
	ds_store_b64 v4, v[36:37] offset:13056
	ds_load_b64 v[36:37], v83 offset:16592
	s_wait_dscnt 0x0
	ds_store_b64 v4, v[36:37] offset:13568
	ds_load_b64 v[36:37], v83 offset:16600
	s_wait_dscnt 0x0
	ds_store_b64 v4, v[36:37] offset:14080
	ds_load_b64 v[36:37], v83 offset:16608
	s_wait_dscnt 0x0
	ds_store_b64 v4, v[36:37] offset:14592
	ds_load_b64 v[36:37], v83 offset:16616
	s_wait_dscnt 0x0
	ds_store_b64 v4, v[36:37] offset:15104
	ds_load_b64 v[36:37], v83 offset:16624
	s_wait_dscnt 0x0
	ds_store_b64 v4, v[36:37] offset:15616
	ds_load_b64 v[36:37], v83 offset:16632
	s_wait_dscnt 0x0
	ds_store_b64 v4, v[36:37] offset:16128
.LBB66_581:                             ;   in Loop: Header=BB66_3 Depth=1
	s_or_b32 exec_lo, exec_lo, s65
	s_wait_dscnt 0x0
	s_barrier_signal -1
	s_barrier_wait -1
	s_and_saveexec_b32 s65, s14
	s_cbranch_execz .LBB66_583
; %bb.582:                              ;   in Loop: Header=BB66_3 Depth=1
	v_add_nc_u32_e64 v4, 0xf0, 0
	ds_load_b64 v[40:41], v5 offset:16120
	ds_load_2addr_stride64_b64 v[36:39], v4 offset0:30 offset1:31
	s_wait_dscnt 0x0
	v_dual_mul_f32 v42, v41, v37 :: v_dual_mul_f32 v4, v40, v37
	s_delay_alu instid0(VALU_DEP_1) | instskip(NEXT) | instid1(VALU_DEP_1)
	v_xor_b32_e32 v42, 0x80000000, v42
	v_dual_fmac_f32 v4, v41, v36 :: v_dual_fmac_f32 v42, v40, v36
	s_delay_alu instid0(VALU_DEP_1) | instskip(SKIP_1) | instid1(VALU_DEP_2)
	v_pk_mul_f32 v[36:37], v[4:5], v[38:39] op_sel:[0,1] op_sel_hi:[0,0]
	v_add_nc_u32_e64 v4, 0x3800, 0
	v_pk_fma_f32 v[40:41], v[42:43], v[38:39], v[36:37] op_sel_hi:[0,1,1]
	v_pk_fma_f32 v[36:37], v[42:43], v[38:39], v[36:37] neg_lo:[0,0,1] neg_hi:[0,0,1]
	s_delay_alu instid0(VALU_DEP_2)
	v_mov_b32_e32 v37, v41
	ds_store_2addr_b64 v4, v[36:37], v[36:37] offset0:159 offset1:222
.LBB66_583:                             ;   in Loop: Header=BB66_3 Depth=1
	s_or_b32 exec_lo, exec_lo, s65
	v_dual_mov_b32 v36, 0 :: v_dual_mov_b32 v37, 0
	s_wait_dscnt 0x0
	s_barrier_signal -1
	s_barrier_wait -1
	global_wb scope:SCOPE_DEV
	s_wait_storecnt 0x0
	global_inv scope:SCOPE_DEV
	s_and_saveexec_b32 s65, s0
	s_cbranch_execz .LBB66_587
; %bb.584:                              ;   in Loop: Header=BB66_3 Depth=1
	ds_load_b64 v[36:37], v45 offset:15584
	ds_load_b64 v[38:39], v46 offset:16112
	s_wait_dscnt 0x0
	v_pk_mul_f32 v[40:41], v[38:39], v[36:37] op_sel:[1,1] op_sel_hi:[0,1]
	s_delay_alu instid0(VALU_DEP_1) | instskip(SKIP_1) | instid1(VALU_DEP_2)
	v_pk_fma_f32 v[94:95], v[38:39], v[36:37], v[40:41] op_sel_hi:[1,0,1]
	v_pk_fma_f32 v[36:37], v[38:39], v[36:37], v[40:41] neg_lo:[0,0,1] neg_hi:[0,0,1]
	v_mov_b32_e32 v37, v95
	s_delay_alu instid0(VALU_DEP_1)
	v_pk_add_f32 v[36:37], v[36:37], 0 op_sel_hi:[1,0]
	s_and_saveexec_b32 s68, s15
	s_cbranch_execz .LBB66_586
; %bb.585:                              ;   in Loop: Header=BB66_3 Depth=1
	ds_load_b64 v[38:39], v47 offset:16096
	ds_load_b64 v[40:41], v5 offset:16120
	s_wait_dscnt 0x0
	v_pk_mul_f32 v[94:95], v[40:41], v[38:39] op_sel:[1,1] op_sel_hi:[0,1]
	s_delay_alu instid0(VALU_DEP_1) | instskip(SKIP_1) | instid1(VALU_DEP_2)
	v_pk_fma_f32 v[96:97], v[40:41], v[38:39], v[94:95] op_sel_hi:[1,0,1]
	v_pk_fma_f32 v[38:39], v[40:41], v[38:39], v[94:95] neg_lo:[0,0,1] neg_hi:[0,0,1]
	v_mov_b32_e32 v39, v97
	s_delay_alu instid0(VALU_DEP_1)
	v_pk_add_f32 v[36:37], v[36:37], v[38:39]
.LBB66_586:                             ;   in Loop: Header=BB66_3 Depth=1
	s_or_b32 exec_lo, exec_lo, s68
.LBB66_587:                             ;   in Loop: Header=BB66_3 Depth=1
	s_delay_alu instid0(SALU_CYCLE_1)
	s_or_b32 exec_lo, exec_lo, s65
	s_and_saveexec_b32 s65, s94
	s_cbranch_execz .LBB66_589
; %bb.588:                              ;   in Loop: Header=BB66_3 Depth=1
	ds_load_b64 v[38:39], v5 offset:15080
	s_wait_dscnt 0x0
	v_pk_mul_f32 v[40:41], v[36:37], v[38:39] op_sel:[1,1] op_sel_hi:[1,0]
	s_delay_alu instid0(VALU_DEP_1) | instskip(SKIP_1) | instid1(VALU_DEP_2)
	v_pk_fma_f32 v[94:95], v[36:37], v[38:39], v[40:41] op_sel_hi:[0,1,1]
	v_pk_fma_f32 v[36:37], v[36:37], v[38:39], v[40:41] neg_lo:[0,0,1] neg_hi:[0,0,1]
	v_mov_b32_e32 v37, v95
	s_delay_alu instid0(VALU_DEP_1)
	v_pk_add_f32 v[38:39], v[36:37], 0 neg_lo:[1,1] neg_hi:[1,1]
	ds_store_b64 v3, v[38:39]
.LBB66_589:                             ;   in Loop: Header=BB66_3 Depth=1
	s_or_b32 exec_lo, exec_lo, s65
	s_wait_loadcnt_dscnt 0x0
	s_barrier_signal -1
	s_barrier_wait -1
	s_and_saveexec_b32 s65, s95
	s_cbranch_execz .LBB66_591
; %bb.590:                              ;   in Loop: Header=BB66_3 Depth=1
	ds_load_b64 v[38:39], v5 offset:15072
	ds_load_b64 v[40:41], v3
	s_wait_dscnt 0x0
	v_pk_mul_f32 v[94:95], v[40:41], v[38:39] op_sel:[1,1] op_sel_hi:[0,1]
	s_delay_alu instid0(VALU_DEP_1) | instskip(SKIP_1) | instid1(VALU_DEP_2)
	v_pk_fma_f32 v[96:97], v[40:41], v[38:39], v[94:95] op_sel_hi:[1,0,1]
	v_pk_fma_f32 v[38:39], v[40:41], v[38:39], v[94:95] neg_lo:[0,0,1] neg_hi:[0,0,1]
	v_mov_b32_e32 v39, v97
	s_delay_alu instid0(VALU_DEP_1)
	v_pk_add_f32 v[36:37], v[36:37], v[38:39] neg_lo:[0,1] neg_hi:[0,1]
.LBB66_591:                             ;   in Loop: Header=BB66_3 Depth=1
	s_or_b32 exec_lo, exec_lo, s65
	s_barrier_signal -1
	s_barrier_wait -1
	s_and_saveexec_b32 s65, s95
	s_cbranch_execz .LBB66_593
; %bb.592:                              ;   in Loop: Header=BB66_3 Depth=1
	ds_load_b64 v[38:39], v5 offset:14560
	s_wait_dscnt 0x0
	v_pk_mul_f32 v[40:41], v[36:37], v[38:39] op_sel:[1,1] op_sel_hi:[1,0]
	s_delay_alu instid0(VALU_DEP_1) | instskip(SKIP_1) | instid1(VALU_DEP_2)
	v_pk_fma_f32 v[94:95], v[36:37], v[38:39], v[40:41] op_sel_hi:[0,1,1]
	v_pk_fma_f32 v[36:37], v[36:37], v[38:39], v[40:41] neg_lo:[0,0,1] neg_hi:[0,0,1]
	v_mov_b32_e32 v37, v95
	s_delay_alu instid0(VALU_DEP_1)
	v_pk_add_f32 v[38:39], v[36:37], 0 neg_lo:[1,1] neg_hi:[1,1]
	ds_store_b64 v3, v[38:39]
.LBB66_593:                             ;   in Loop: Header=BB66_3 Depth=1
	s_or_b32 exec_lo, exec_lo, s65
	s_wait_dscnt 0x0
	s_barrier_signal -1
	s_barrier_wait -1
	s_barrier_signal -1
	s_barrier_wait -1
	s_and_saveexec_b32 s65, s0
; %bb.594:                              ;   in Loop: Header=BB66_3 Depth=1
	ds_store_b64 v48, v[36:37] offset:16096
; %bb.595:                              ;   in Loop: Header=BB66_3 Depth=1
	s_or_b32 exec_lo, exec_lo, s65
	s_wait_dscnt 0x0
	s_barrier_signal -1
	s_barrier_wait -1
	s_barrier_signal -1
	s_barrier_wait -1
	s_and_saveexec_b32 s65, s96
	s_cbranch_execz .LBB66_597
; %bb.596:                              ;   in Loop: Header=BB66_3 Depth=1
	ds_load_b64 v[36:37], v49 offset:15584
	s_wait_dscnt 0x0
	ds_store_b64 v47, v[36:37] offset:14576
	ds_load_b64 v[36:37], v49 offset:15592
	s_wait_dscnt 0x0
	ds_store_b64 v47, v[36:37] offset:15088
.LBB66_597:                             ;   in Loop: Header=BB66_3 Depth=1
	s_or_b32 exec_lo, exec_lo, s65
	s_wait_dscnt 0x0
	s_barrier_signal -1
	s_barrier_wait -1
	s_and_saveexec_b32 s65, s14
	s_cbranch_execz .LBB66_599
; %bb.598:                              ;   in Loop: Header=BB66_3 Depth=1
	v_add_nc_u32_e64 v4, 0xe0, 0
	ds_load_b64 v[40:41], v5 offset:15080
	ds_load_2addr_stride64_b64 v[36:39], v4 offset0:28 offset1:29
	s_wait_dscnt 0x0
	v_dual_mul_f32 v42, v41, v37 :: v_dual_mul_f32 v4, v40, v37
	s_delay_alu instid0(VALU_DEP_1) | instskip(NEXT) | instid1(VALU_DEP_1)
	v_xor_b32_e32 v42, 0x80000000, v42
	v_dual_fmac_f32 v4, v41, v36 :: v_dual_fmac_f32 v42, v40, v36
	s_delay_alu instid0(VALU_DEP_1) | instskip(SKIP_1) | instid1(VALU_DEP_2)
	v_pk_mul_f32 v[36:37], v[4:5], v[38:39] op_sel:[0,1] op_sel_hi:[0,0]
	v_add_nc_u32_e64 v4, 0x3800, 0
	v_pk_fma_f32 v[40:41], v[42:43], v[38:39], v[36:37] op_sel_hi:[0,1,1]
	v_pk_fma_f32 v[36:37], v[42:43], v[38:39], v[36:37] neg_lo:[0,0,1] neg_hi:[0,0,1]
	s_delay_alu instid0(VALU_DEP_2)
	v_mov_b32_e32 v37, v41
	ds_store_2addr_b64 v4, v[36:37], v[36:37] offset0:29 offset1:92
.LBB66_599:                             ;   in Loop: Header=BB66_3 Depth=1
	s_or_b32 exec_lo, exec_lo, s65
	v_mov_b64_e32 v[36:37], 0
	s_wait_dscnt 0x0
	s_barrier_signal -1
	s_barrier_wait -1
	global_wb scope:SCOPE_DEV
	s_wait_storecnt 0x0
	global_inv scope:SCOPE_DEV
	s_and_saveexec_b32 s65, s2
	s_cbranch_execz .LBB66_605
; %bb.600:                              ;   in Loop: Header=BB66_3 Depth=1
	ds_load_b64 v[36:37], v51 offset:14528
	ds_load_b64 v[38:39], v52 offset:16096
	s_wait_dscnt 0x0
	v_dual_mul_f32 v4, v39, v37 :: v_dual_mul_f32 v37, v38, v37
	s_delay_alu instid0(VALU_DEP_1) | instskip(NEXT) | instid1(VALU_DEP_1)
	v_dual_fma_f32 v4, v38, v36, -v4 :: v_dual_fmac_f32 v37, v39, v36
	v_dual_add_f32 v36, 0, v4 :: v_dual_add_f32 v37, 0, v37
	s_and_saveexec_b32 s68, s16
	s_cbranch_execnz .LBB66_1150
; %bb.601:                              ;   in Loop: Header=BB66_3 Depth=1
	s_or_b32 exec_lo, exec_lo, s68
	s_and_saveexec_b32 s68, s17
	s_cbranch_execnz .LBB66_1151
.LBB66_602:                             ;   in Loop: Header=BB66_3 Depth=1
	s_or_b32 exec_lo, exec_lo, s68
	s_and_saveexec_b32 s68, s0
	s_cbranch_execz .LBB66_604
.LBB66_603:                             ;   in Loop: Header=BB66_3 Depth=1
	ds_load_b64 v[38:39], v54 offset:16064
	ds_load_b64 v[40:41], v5 offset:16120
	s_wait_dscnt 0x0
	v_dual_mul_f32 v4, v41, v39 :: v_dual_mul_f32 v39, v40, v39
	s_delay_alu instid0(VALU_DEP_1) | instskip(NEXT) | instid1(VALU_DEP_1)
	v_dual_fma_f32 v4, v40, v38, -v4 :: v_dual_fmac_f32 v39, v41, v38
	v_dual_add_f32 v36, v36, v4 :: v_dual_add_f32 v37, v37, v39
.LBB66_604:                             ;   in Loop: Header=BB66_3 Depth=1
	s_or_b32 exec_lo, exec_lo, s68
.LBB66_605:                             ;   in Loop: Header=BB66_3 Depth=1
	s_delay_alu instid0(SALU_CYCLE_1)
	s_or_b32 exec_lo, exec_lo, s65
	s_and_saveexec_b32 s65, s97
	s_cbranch_execz .LBB66_607
; %bb.606:                              ;   in Loop: Header=BB66_3 Depth=1
	ds_load_b64 v[38:39], v5 offset:14040
	s_wait_dscnt 0x0
	v_dual_mul_f32 v4, v37, v38 :: v_dual_mul_f32 v40, v37, v39
	s_delay_alu instid0(VALU_DEP_1) | instskip(NEXT) | instid1(VALU_DEP_2)
	v_pk_fma_f32 v[94:95], v[36:37], v[38:39], v[4:5] op_sel:[1,0,0] op_sel_hi:[0,1,0]
	v_pk_fma_f32 v[36:37], v[36:37], v[38:39], v[40:41] op_sel_hi:[1,1,0] neg_lo:[0,0,1] neg_hi:[0,0,1]
	s_delay_alu instid0(VALU_DEP_2) | instskip(NEXT) | instid1(VALU_DEP_1)
	v_mov_b32_e32 v37, v95
	v_pk_add_f32 v[38:39], v[36:37], 0 neg_lo:[1,1] neg_hi:[1,1]
	ds_store_b64 v50, v[38:39]
.LBB66_607:                             ;   in Loop: Header=BB66_3 Depth=1
	s_or_b32 exec_lo, exec_lo, s65
	s_wait_loadcnt_dscnt 0x0
	s_barrier_signal -1
	s_barrier_wait -1
	s_and_saveexec_b32 s65, s98
	s_cbranch_execz .LBB66_609
; %bb.608:                              ;   in Loop: Header=BB66_3 Depth=1
	ds_load_b64 v[38:39], v51 offset:14016
	ds_load_b64 v[40:41], v50
	s_wait_dscnt 0x0
	v_pk_mul_f32 v[94:95], v[40:41], v[38:39] op_sel:[1,1] op_sel_hi:[0,1]
	s_delay_alu instid0(VALU_DEP_1) | instskip(SKIP_1) | instid1(VALU_DEP_2)
	v_pk_fma_f32 v[96:97], v[40:41], v[38:39], v[94:95] op_sel_hi:[1,0,1]
	v_pk_fma_f32 v[38:39], v[40:41], v[38:39], v[94:95] neg_lo:[0,0,1] neg_hi:[0,0,1]
	v_mov_b32_e32 v39, v97
	s_delay_alu instid0(VALU_DEP_1)
	v_pk_add_f32 v[36:37], v[36:37], v[38:39] neg_lo:[0,1] neg_hi:[0,1]
.LBB66_609:                             ;   in Loop: Header=BB66_3 Depth=1
	s_or_b32 exec_lo, exec_lo, s65
	s_barrier_signal -1
	s_barrier_wait -1
	s_and_saveexec_b32 s65, s99
	s_cbranch_execz .LBB66_611
; %bb.610:                              ;   in Loop: Header=BB66_3 Depth=1
	ds_load_b64 v[38:39], v5 offset:13520
	s_wait_dscnt 0x0
	v_pk_mul_f32 v[40:41], v[36:37], v[38:39] op_sel:[1,1] op_sel_hi:[1,0]
	s_delay_alu instid0(VALU_DEP_1) | instskip(SKIP_1) | instid1(VALU_DEP_2)
	v_pk_fma_f32 v[94:95], v[36:37], v[38:39], v[40:41] op_sel_hi:[0,1,1]
	v_pk_fma_f32 v[36:37], v[36:37], v[38:39], v[40:41] neg_lo:[0,0,1] neg_hi:[0,0,1]
	v_mov_b32_e32 v37, v95
	s_delay_alu instid0(VALU_DEP_1)
	v_pk_add_f32 v[38:39], v[36:37], 0 neg_lo:[1,1] neg_hi:[1,1]
	ds_store_b64 v50, v[38:39]
.LBB66_611:                             ;   in Loop: Header=BB66_3 Depth=1
	s_or_b32 exec_lo, exec_lo, s65
	s_wait_dscnt 0x0
	s_barrier_signal -1
	s_barrier_wait -1
	s_and_saveexec_b32 s65, s100
	s_cbranch_execz .LBB66_613
; %bb.612:                              ;   in Loop: Header=BB66_3 Depth=1
	ds_load_b64 v[38:39], v51 offset:13504
	ds_load_b64 v[40:41], v50
	s_wait_dscnt 0x0
	v_pk_mul_f32 v[94:95], v[40:41], v[38:39] op_sel:[1,1] op_sel_hi:[0,1]
	s_delay_alu instid0(VALU_DEP_1) | instskip(SKIP_1) | instid1(VALU_DEP_2)
	v_pk_fma_f32 v[96:97], v[40:41], v[38:39], v[94:95] op_sel_hi:[1,0,1]
	v_pk_fma_f32 v[38:39], v[40:41], v[38:39], v[94:95] neg_lo:[0,0,1] neg_hi:[0,0,1]
	v_mov_b32_e32 v39, v97
	s_delay_alu instid0(VALU_DEP_1)
	v_pk_add_f32 v[36:37], v[36:37], v[38:39] neg_lo:[0,1] neg_hi:[0,1]
.LBB66_613:                             ;   in Loop: Header=BB66_3 Depth=1
	s_or_b32 exec_lo, exec_lo, s65
	s_barrier_signal -1
	s_barrier_wait -1
	s_and_saveexec_b32 s65, s101
	s_cbranch_execz .LBB66_615
; %bb.614:                              ;   in Loop: Header=BB66_3 Depth=1
	ds_load_b64 v[38:39], v5 offset:13000
	s_wait_dscnt 0x0
	v_pk_mul_f32 v[40:41], v[36:37], v[38:39] op_sel:[1,1] op_sel_hi:[1,0]
	s_delay_alu instid0(VALU_DEP_1) | instskip(SKIP_1) | instid1(VALU_DEP_2)
	v_pk_fma_f32 v[94:95], v[36:37], v[38:39], v[40:41] op_sel_hi:[0,1,1]
	v_pk_fma_f32 v[36:37], v[36:37], v[38:39], v[40:41] neg_lo:[0,0,1] neg_hi:[0,0,1]
	v_mov_b32_e32 v37, v95
	s_delay_alu instid0(VALU_DEP_1)
	v_pk_add_f32 v[38:39], v[36:37], 0 neg_lo:[1,1] neg_hi:[1,1]
	ds_store_b64 v50, v[38:39]
.LBB66_615:                             ;   in Loop: Header=BB66_3 Depth=1
	s_or_b32 exec_lo, exec_lo, s65
	s_wait_dscnt 0x0
	s_barrier_signal -1
	s_barrier_wait -1
	s_and_saveexec_b32 s65, s102
	s_cbranch_execz .LBB66_617
; %bb.616:                              ;   in Loop: Header=BB66_3 Depth=1
	ds_load_b64 v[38:39], v5 offset:12992
	ds_load_b64 v[40:41], v50
	s_wait_dscnt 0x0
	v_pk_mul_f32 v[94:95], v[40:41], v[38:39] op_sel:[1,1] op_sel_hi:[0,1]
	s_delay_alu instid0(VALU_DEP_1) | instskip(SKIP_1) | instid1(VALU_DEP_2)
	v_pk_fma_f32 v[96:97], v[40:41], v[38:39], v[94:95] op_sel_hi:[1,0,1]
	v_pk_fma_f32 v[38:39], v[40:41], v[38:39], v[94:95] neg_lo:[0,0,1] neg_hi:[0,0,1]
	v_mov_b32_e32 v39, v97
	s_delay_alu instid0(VALU_DEP_1)
	v_pk_add_f32 v[36:37], v[36:37], v[38:39] neg_lo:[0,1] neg_hi:[0,1]
.LBB66_617:                             ;   in Loop: Header=BB66_3 Depth=1
	s_or_b32 exec_lo, exec_lo, s65
	s_barrier_signal -1
	s_barrier_wait -1
	s_and_saveexec_b32 s65, s102
	s_cbranch_execz .LBB66_619
; %bb.618:                              ;   in Loop: Header=BB66_3 Depth=1
	ds_load_b64 v[38:39], v5 offset:12480
	s_wait_dscnt 0x0
	v_pk_mul_f32 v[40:41], v[36:37], v[38:39] op_sel:[1,1] op_sel_hi:[1,0]
	s_delay_alu instid0(VALU_DEP_1) | instskip(SKIP_1) | instid1(VALU_DEP_2)
	v_pk_fma_f32 v[94:95], v[36:37], v[38:39], v[40:41] op_sel_hi:[0,1,1]
	v_pk_fma_f32 v[36:37], v[36:37], v[38:39], v[40:41] neg_lo:[0,0,1] neg_hi:[0,0,1]
	v_mov_b32_e32 v37, v95
	s_delay_alu instid0(VALU_DEP_1)
	v_pk_add_f32 v[38:39], v[36:37], 0 neg_lo:[1,1] neg_hi:[1,1]
	ds_store_b64 v50, v[38:39]
.LBB66_619:                             ;   in Loop: Header=BB66_3 Depth=1
	s_or_b32 exec_lo, exec_lo, s65
	s_wait_dscnt 0x0
	s_barrier_signal -1
	s_barrier_wait -1
	s_barrier_signal -1
	s_barrier_wait -1
	s_and_saveexec_b32 s65, s2
; %bb.620:                              ;   in Loop: Header=BB66_3 Depth=1
	ds_store_b64 v55, v[36:37] offset:16064
; %bb.621:                              ;   in Loop: Header=BB66_3 Depth=1
	s_or_b32 exec_lo, exec_lo, s65
	s_wait_dscnt 0x0
	s_barrier_signal -1
	s_barrier_wait -1
	s_barrier_signal -1
	s_barrier_wait -1
	s_and_saveexec_b32 s65, s103
	s_cbranch_execz .LBB66_623
; %bb.622:                              ;   in Loop: Header=BB66_3 Depth=1
	ds_load_b64 v[36:37], v56 offset:14528
	s_wait_dscnt 0x0
	ds_store_b64 v69, v[36:37] offset:12512
	ds_load_b64 v[36:37], v56 offset:14536
	s_wait_dscnt 0x0
	ds_store_b64 v69, v[36:37] offset:13024
	;; [unrolled: 3-line block ×4, first 2 shown]
.LBB66_623:                             ;   in Loop: Header=BB66_3 Depth=1
	s_or_b32 exec_lo, exec_lo, s65
	s_wait_dscnt 0x0
	s_barrier_signal -1
	s_barrier_wait -1
	s_and_saveexec_b32 s65, s14
	s_cbranch_execz .LBB66_625
; %bb.624:                              ;   in Loop: Header=BB66_3 Depth=1
	v_add_nc_u32_e64 v4, 0xd0, 0
	ds_load_b64 v[40:41], v5 offset:14040
	ds_load_2addr_stride64_b64 v[36:39], v4 offset0:26 offset1:27
	s_wait_dscnt 0x0
	v_dual_mul_f32 v42, v41, v37 :: v_dual_mul_f32 v4, v40, v37
	s_delay_alu instid0(VALU_DEP_1) | instskip(NEXT) | instid1(VALU_DEP_1)
	v_xor_b32_e32 v42, 0x80000000, v42
	v_dual_fmac_f32 v4, v41, v36 :: v_dual_fmac_f32 v42, v40, v36
	s_delay_alu instid0(VALU_DEP_1) | instskip(SKIP_1) | instid1(VALU_DEP_2)
	v_pk_mul_f32 v[36:37], v[4:5], v[38:39] op_sel:[0,1] op_sel_hi:[0,0]
	v_add_nc_u32_e64 v4, 0x3000, 0
	v_pk_fma_f32 v[40:41], v[42:43], v[38:39], v[36:37] op_sel_hi:[0,1,1]
	v_pk_fma_f32 v[36:37], v[42:43], v[38:39], v[36:37] neg_lo:[0,0,1] neg_hi:[0,0,1]
	s_delay_alu instid0(VALU_DEP_2)
	v_mov_b32_e32 v37, v41
	ds_store_2addr_b64 v4, v[36:37], v[36:37] offset0:155 offset1:218
.LBB66_625:                             ;   in Loop: Header=BB66_3 Depth=1
	s_or_b32 exec_lo, exec_lo, s65
	v_dual_mov_b32 v36, 0 :: v_dual_mov_b32 v37, 0
	s_wait_dscnt 0x0
	s_barrier_signal -1
	s_barrier_wait -1
	global_wb scope:SCOPE_DEV
	s_wait_storecnt 0x0
	global_inv scope:SCOPE_DEV
	s_and_saveexec_b32 s65, s0
	s_cbranch_execz .LBB66_629
; %bb.626:                              ;   in Loop: Header=BB66_3 Depth=1
	ds_load_b64 v[36:37], v45 offset:13504
	ds_load_b64 v[38:39], v46 offset:14032
	s_wait_dscnt 0x0
	v_pk_mul_f32 v[40:41], v[38:39], v[36:37] op_sel:[1,1] op_sel_hi:[0,1]
	s_delay_alu instid0(VALU_DEP_1) | instskip(SKIP_1) | instid1(VALU_DEP_2)
	v_pk_fma_f32 v[94:95], v[38:39], v[36:37], v[40:41] op_sel_hi:[1,0,1]
	v_pk_fma_f32 v[36:37], v[38:39], v[36:37], v[40:41] neg_lo:[0,0,1] neg_hi:[0,0,1]
	v_mov_b32_e32 v37, v95
	s_delay_alu instid0(VALU_DEP_1)
	v_pk_add_f32 v[36:37], v[36:37], 0 op_sel_hi:[1,0]
	s_and_saveexec_b32 s68, s15
	s_cbranch_execz .LBB66_628
; %bb.627:                              ;   in Loop: Header=BB66_3 Depth=1
	ds_load_b64 v[38:39], v69 offset:14016
	ds_load_b64 v[40:41], v5 offset:14040
	s_wait_dscnt 0x0
	v_pk_mul_f32 v[94:95], v[40:41], v[38:39] op_sel:[1,1] op_sel_hi:[0,1]
	s_delay_alu instid0(VALU_DEP_1) | instskip(SKIP_1) | instid1(VALU_DEP_2)
	v_pk_fma_f32 v[96:97], v[40:41], v[38:39], v[94:95] op_sel_hi:[1,0,1]
	v_pk_fma_f32 v[38:39], v[40:41], v[38:39], v[94:95] neg_lo:[0,0,1] neg_hi:[0,0,1]
	v_mov_b32_e32 v39, v97
	s_delay_alu instid0(VALU_DEP_1)
	v_pk_add_f32 v[36:37], v[36:37], v[38:39]
.LBB66_628:                             ;   in Loop: Header=BB66_3 Depth=1
	s_or_b32 exec_lo, exec_lo, s68
.LBB66_629:                             ;   in Loop: Header=BB66_3 Depth=1
	s_delay_alu instid0(SALU_CYCLE_1)
	s_or_b32 exec_lo, exec_lo, s65
	s_and_saveexec_b32 s65, s94
	s_cbranch_execz .LBB66_631
; %bb.630:                              ;   in Loop: Header=BB66_3 Depth=1
	ds_load_b64 v[38:39], v5 offset:13000
	s_wait_dscnt 0x0
	v_pk_mul_f32 v[40:41], v[36:37], v[38:39] op_sel:[1,1] op_sel_hi:[1,0]
	s_delay_alu instid0(VALU_DEP_1) | instskip(SKIP_1) | instid1(VALU_DEP_2)
	v_pk_fma_f32 v[94:95], v[36:37], v[38:39], v[40:41] op_sel_hi:[0,1,1]
	v_pk_fma_f32 v[36:37], v[36:37], v[38:39], v[40:41] neg_lo:[0,0,1] neg_hi:[0,0,1]
	v_mov_b32_e32 v37, v95
	s_delay_alu instid0(VALU_DEP_1)
	v_pk_add_f32 v[38:39], v[36:37], 0 neg_lo:[1,1] neg_hi:[1,1]
	ds_store_b64 v3, v[38:39]
.LBB66_631:                             ;   in Loop: Header=BB66_3 Depth=1
	s_or_b32 exec_lo, exec_lo, s65
	s_wait_loadcnt_dscnt 0x0
	s_barrier_signal -1
	s_barrier_wait -1
	s_and_saveexec_b32 s65, s95
	s_cbranch_execz .LBB66_633
; %bb.632:                              ;   in Loop: Header=BB66_3 Depth=1
	ds_load_b64 v[38:39], v5 offset:12992
	ds_load_b64 v[40:41], v3
	s_wait_dscnt 0x0
	v_pk_mul_f32 v[94:95], v[40:41], v[38:39] op_sel:[1,1] op_sel_hi:[0,1]
	s_delay_alu instid0(VALU_DEP_1) | instskip(SKIP_1) | instid1(VALU_DEP_2)
	v_pk_fma_f32 v[96:97], v[40:41], v[38:39], v[94:95] op_sel_hi:[1,0,1]
	v_pk_fma_f32 v[38:39], v[40:41], v[38:39], v[94:95] neg_lo:[0,0,1] neg_hi:[0,0,1]
	v_mov_b32_e32 v39, v97
	s_delay_alu instid0(VALU_DEP_1)
	v_pk_add_f32 v[36:37], v[36:37], v[38:39] neg_lo:[0,1] neg_hi:[0,1]
.LBB66_633:                             ;   in Loop: Header=BB66_3 Depth=1
	s_or_b32 exec_lo, exec_lo, s65
	s_barrier_signal -1
	s_barrier_wait -1
	s_and_saveexec_b32 s65, s95
	s_cbranch_execz .LBB66_635
; %bb.634:                              ;   in Loop: Header=BB66_3 Depth=1
	ds_load_b64 v[38:39], v5 offset:12480
	s_wait_dscnt 0x0
	v_pk_mul_f32 v[40:41], v[36:37], v[38:39] op_sel:[1,1] op_sel_hi:[1,0]
	s_delay_alu instid0(VALU_DEP_1) | instskip(SKIP_1) | instid1(VALU_DEP_2)
	v_pk_fma_f32 v[94:95], v[36:37], v[38:39], v[40:41] op_sel_hi:[0,1,1]
	v_pk_fma_f32 v[36:37], v[36:37], v[38:39], v[40:41] neg_lo:[0,0,1] neg_hi:[0,0,1]
	v_mov_b32_e32 v37, v95
	s_delay_alu instid0(VALU_DEP_1)
	v_pk_add_f32 v[38:39], v[36:37], 0 neg_lo:[1,1] neg_hi:[1,1]
	ds_store_b64 v3, v[38:39]
.LBB66_635:                             ;   in Loop: Header=BB66_3 Depth=1
	s_or_b32 exec_lo, exec_lo, s65
	s_wait_dscnt 0x0
	s_barrier_signal -1
	s_barrier_wait -1
	s_barrier_signal -1
	s_barrier_wait -1
	s_and_saveexec_b32 s65, s0
; %bb.636:                              ;   in Loop: Header=BB66_3 Depth=1
	ds_store_b64 v48, v[36:37] offset:14016
; %bb.637:                              ;   in Loop: Header=BB66_3 Depth=1
	s_or_b32 exec_lo, exec_lo, s65
	s_wait_dscnt 0x0
	s_barrier_signal -1
	s_barrier_wait -1
	s_barrier_signal -1
	s_barrier_wait -1
	s_and_saveexec_b32 s65, s96
	s_cbranch_execz .LBB66_639
; %bb.638:                              ;   in Loop: Header=BB66_3 Depth=1
	ds_load_b64 v[36:37], v70 offset:13504
	s_wait_dscnt 0x0
	ds_store_b64 v69, v[36:37] offset:12496
	ds_load_b64 v[36:37], v70 offset:13512
	s_wait_dscnt 0x0
	ds_store_b64 v69, v[36:37] offset:13008
.LBB66_639:                             ;   in Loop: Header=BB66_3 Depth=1
	s_or_b32 exec_lo, exec_lo, s65
	s_wait_dscnt 0x0
	s_barrier_signal -1
	s_barrier_wait -1
	s_and_saveexec_b32 s65, s14
	s_cbranch_execz .LBB66_641
; %bb.640:                              ;   in Loop: Header=BB66_3 Depth=1
	v_add_nc_u32_e64 v4, 0xc0, 0
	ds_load_b64 v[40:41], v5 offset:13000
	ds_load_2addr_stride64_b64 v[36:39], v4 offset0:24 offset1:25
	s_wait_dscnt 0x0
	v_dual_mul_f32 v42, v41, v37 :: v_dual_mul_f32 v4, v40, v37
	s_delay_alu instid0(VALU_DEP_1) | instskip(NEXT) | instid1(VALU_DEP_1)
	v_xor_b32_e32 v42, 0x80000000, v42
	v_dual_fmac_f32 v4, v41, v36 :: v_dual_fmac_f32 v42, v40, v36
	s_delay_alu instid0(VALU_DEP_1) | instskip(SKIP_1) | instid1(VALU_DEP_2)
	v_pk_mul_f32 v[36:37], v[4:5], v[38:39] op_sel:[0,1] op_sel_hi:[0,0]
	v_add_nc_u32_e64 v4, 0x3000, 0
	v_pk_fma_f32 v[40:41], v[42:43], v[38:39], v[36:37] op_sel_hi:[0,1,1]
	v_pk_fma_f32 v[36:37], v[42:43], v[38:39], v[36:37] neg_lo:[0,0,1] neg_hi:[0,0,1]
	s_delay_alu instid0(VALU_DEP_2)
	v_mov_b32_e32 v37, v41
	ds_store_2addr_b64 v4, v[36:37], v[36:37] offset0:25 offset1:88
.LBB66_641:                             ;   in Loop: Header=BB66_3 Depth=1
	s_or_b32 exec_lo, exec_lo, s65
	v_mov_b64_e32 v[36:37], 0
	s_wait_dscnt 0x0
	s_barrier_signal -1
	s_barrier_wait -1
	global_wb scope:SCOPE_DEV
	s_wait_storecnt 0x0
	global_inv scope:SCOPE_DEV
	s_and_saveexec_b32 s65, s3
	s_cbranch_execz .LBB66_651
; %bb.642:                              ;   in Loop: Header=BB66_3 Depth=1
	ds_load_b64 v[36:37], v58 offset:12416
	ds_load_b64 v[38:39], v59 offset:16064
	s_wait_dscnt 0x0
	v_dual_mul_f32 v4, v39, v37 :: v_dual_mul_f32 v37, v38, v37
	s_delay_alu instid0(VALU_DEP_1) | instskip(NEXT) | instid1(VALU_DEP_1)
	v_dual_fma_f32 v4, v38, v36, -v4 :: v_dual_fmac_f32 v37, v39, v36
	v_dual_add_f32 v36, 0, v4 :: v_dual_add_f32 v37, 0, v37
	s_and_saveexec_b32 s68, s18
	s_cbranch_execnz .LBB66_1152
; %bb.643:                              ;   in Loop: Header=BB66_3 Depth=1
	s_or_b32 exec_lo, exec_lo, s68
	s_and_saveexec_b32 s68, s19
	s_cbranch_execnz .LBB66_1153
.LBB66_644:                             ;   in Loop: Header=BB66_3 Depth=1
	s_or_b32 exec_lo, exec_lo, s68
	s_and_saveexec_b32 s68, s20
	s_cbranch_execnz .LBB66_1154
.LBB66_645:                             ;   in Loop: Header=BB66_3 Depth=1
	s_or_b32 exec_lo, exec_lo, s68
	s_and_saveexec_b32 s68, s21
	s_cbranch_execnz .LBB66_1155
.LBB66_646:                             ;   in Loop: Header=BB66_3 Depth=1
	s_or_b32 exec_lo, exec_lo, s68
	s_and_saveexec_b32 s68, s22
	s_cbranch_execnz .LBB66_1156
.LBB66_647:                             ;   in Loop: Header=BB66_3 Depth=1
	s_or_b32 exec_lo, exec_lo, s68
	s_and_saveexec_b32 s68, s2
	s_cbranch_execnz .LBB66_1157
.LBB66_648:                             ;   in Loop: Header=BB66_3 Depth=1
	s_or_b32 exec_lo, exec_lo, s68
	s_and_saveexec_b32 s68, s17
	s_cbranch_execz .LBB66_650
.LBB66_649:                             ;   in Loop: Header=BB66_3 Depth=1
	ds_load_b64 v[38:39], v71 offset:16000
	ds_load_b64 v[40:41], v5 offset:16120
	s_wait_dscnt 0x0
	v_dual_mul_f32 v4, v41, v39 :: v_dual_mul_f32 v95, v40, v39
	s_delay_alu instid0(VALU_DEP_1) | instskip(NEXT) | instid1(VALU_DEP_1)
	v_dual_fma_f32 v94, v40, v38, -v4 :: v_dual_fmac_f32 v95, v41, v38
	v_pk_add_f32 v[36:37], v[36:37], v[94:95]
.LBB66_650:                             ;   in Loop: Header=BB66_3 Depth=1
	s_or_b32 exec_lo, exec_lo, s68
.LBB66_651:                             ;   in Loop: Header=BB66_3 Depth=1
	s_delay_alu instid0(SALU_CYCLE_1)
	s_or_b32 exec_lo, exec_lo, s65
	s_and_saveexec_b32 s65, s104
	s_cbranch_execz .LBB66_653
; %bb.652:                              ;   in Loop: Header=BB66_3 Depth=1
	ds_load_b64 v[38:39], v5 offset:11960
	s_wait_dscnt 0x0
	v_pk_mul_f32 v[40:41], v[36:37], v[38:39] op_sel:[1,1] op_sel_hi:[1,0]
	s_delay_alu instid0(VALU_DEP_1) | instskip(SKIP_1) | instid1(VALU_DEP_2)
	v_pk_fma_f32 v[94:95], v[36:37], v[38:39], v[40:41] op_sel_hi:[0,1,1]
	v_pk_fma_f32 v[36:37], v[36:37], v[38:39], v[40:41] neg_lo:[0,0,1] neg_hi:[0,0,1]
	v_mov_b32_e32 v37, v95
	s_delay_alu instid0(VALU_DEP_1)
	v_pk_add_f32 v[38:39], v[36:37], 0 neg_lo:[1,1] neg_hi:[1,1]
	ds_store_b64 v57, v[38:39]
.LBB66_653:                             ;   in Loop: Header=BB66_3 Depth=1
	s_or_b32 exec_lo, exec_lo, s65
	s_wait_loadcnt_dscnt 0x0
	s_barrier_signal -1
	s_barrier_wait -1
	s_and_saveexec_b32 s65, vcc_hi
	s_cbranch_execz .LBB66_655
; %bb.654:                              ;   in Loop: Header=BB66_3 Depth=1
	ds_load_b64 v[38:39], v58 offset:11904
	ds_load_b64 v[40:41], v57
	s_wait_dscnt 0x0
	v_pk_mul_f32 v[94:95], v[40:41], v[38:39] op_sel:[1,1] op_sel_hi:[0,1]
	s_delay_alu instid0(VALU_DEP_1) | instskip(SKIP_1) | instid1(VALU_DEP_2)
	v_pk_fma_f32 v[96:97], v[40:41], v[38:39], v[94:95] op_sel_hi:[1,0,1]
	v_pk_fma_f32 v[38:39], v[40:41], v[38:39], v[94:95] neg_lo:[0,0,1] neg_hi:[0,0,1]
	v_mov_b32_e32 v39, v97
	s_delay_alu instid0(VALU_DEP_1)
	v_pk_add_f32 v[36:37], v[36:37], v[38:39] neg_lo:[0,1] neg_hi:[0,1]
.LBB66_655:                             ;   in Loop: Header=BB66_3 Depth=1
	s_or_b32 exec_lo, exec_lo, s65
	s_barrier_signal -1
	s_barrier_wait -1
	s_and_saveexec_b32 s65, s38
	s_cbranch_execz .LBB66_657
; %bb.656:                              ;   in Loop: Header=BB66_3 Depth=1
	ds_load_b64 v[38:39], v5 offset:11440
	s_wait_dscnt 0x0
	v_pk_mul_f32 v[40:41], v[36:37], v[38:39] op_sel:[1,1] op_sel_hi:[1,0]
	s_delay_alu instid0(VALU_DEP_1) | instskip(SKIP_1) | instid1(VALU_DEP_2)
	v_pk_fma_f32 v[94:95], v[36:37], v[38:39], v[40:41] op_sel_hi:[0,1,1]
	v_pk_fma_f32 v[36:37], v[36:37], v[38:39], v[40:41] neg_lo:[0,0,1] neg_hi:[0,0,1]
	v_mov_b32_e32 v37, v95
	s_delay_alu instid0(VALU_DEP_1)
	v_pk_add_f32 v[38:39], v[36:37], 0 neg_lo:[1,1] neg_hi:[1,1]
	ds_store_b64 v57, v[38:39]
.LBB66_657:                             ;   in Loop: Header=BB66_3 Depth=1
	s_or_b32 exec_lo, exec_lo, s65
	s_wait_dscnt 0x0
	s_barrier_signal -1
	s_barrier_wait -1
	s_and_saveexec_b32 s65, s39
	s_cbranch_execz .LBB66_659
; %bb.658:                              ;   in Loop: Header=BB66_3 Depth=1
	ds_load_b64 v[38:39], v58 offset:11392
	ds_load_b64 v[40:41], v57
	s_wait_dscnt 0x0
	v_pk_mul_f32 v[94:95], v[40:41], v[38:39] op_sel:[1,1] op_sel_hi:[0,1]
	s_delay_alu instid0(VALU_DEP_1) | instskip(SKIP_1) | instid1(VALU_DEP_2)
	v_pk_fma_f32 v[96:97], v[40:41], v[38:39], v[94:95] op_sel_hi:[1,0,1]
	v_pk_fma_f32 v[38:39], v[40:41], v[38:39], v[94:95] neg_lo:[0,0,1] neg_hi:[0,0,1]
	v_mov_b32_e32 v39, v97
	s_delay_alu instid0(VALU_DEP_1)
	v_pk_add_f32 v[36:37], v[36:37], v[38:39] neg_lo:[0,1] neg_hi:[0,1]
.LBB66_659:                             ;   in Loop: Header=BB66_3 Depth=1
	s_or_b32 exec_lo, exec_lo, s65
	s_barrier_signal -1
	s_barrier_wait -1
	s_and_saveexec_b32 s65, s40
	s_cbranch_execz .LBB66_661
; %bb.660:                              ;   in Loop: Header=BB66_3 Depth=1
	ds_load_b64 v[38:39], v5 offset:10920
	s_wait_dscnt 0x0
	v_pk_mul_f32 v[40:41], v[36:37], v[38:39] op_sel:[1,1] op_sel_hi:[1,0]
	s_delay_alu instid0(VALU_DEP_1) | instskip(SKIP_1) | instid1(VALU_DEP_2)
	v_pk_fma_f32 v[94:95], v[36:37], v[38:39], v[40:41] op_sel_hi:[0,1,1]
	v_pk_fma_f32 v[36:37], v[36:37], v[38:39], v[40:41] neg_lo:[0,0,1] neg_hi:[0,0,1]
	v_mov_b32_e32 v37, v95
	s_delay_alu instid0(VALU_DEP_1)
	v_pk_add_f32 v[38:39], v[36:37], 0 neg_lo:[1,1] neg_hi:[1,1]
	ds_store_b64 v57, v[38:39]
.LBB66_661:                             ;   in Loop: Header=BB66_3 Depth=1
	s_or_b32 exec_lo, exec_lo, s65
	s_wait_dscnt 0x0
	s_barrier_signal -1
	s_barrier_wait -1
	s_and_saveexec_b32 s65, s41
	s_cbranch_execz .LBB66_663
; %bb.662:                              ;   in Loop: Header=BB66_3 Depth=1
	ds_load_b64 v[38:39], v58 offset:10880
	ds_load_b64 v[40:41], v57
	s_wait_dscnt 0x0
	v_pk_mul_f32 v[94:95], v[40:41], v[38:39] op_sel:[1,1] op_sel_hi:[0,1]
	s_delay_alu instid0(VALU_DEP_1) | instskip(SKIP_1) | instid1(VALU_DEP_2)
	v_pk_fma_f32 v[96:97], v[40:41], v[38:39], v[94:95] op_sel_hi:[1,0,1]
	v_pk_fma_f32 v[38:39], v[40:41], v[38:39], v[94:95] neg_lo:[0,0,1] neg_hi:[0,0,1]
	v_mov_b32_e32 v39, v97
	s_delay_alu instid0(VALU_DEP_1)
	v_pk_add_f32 v[36:37], v[36:37], v[38:39] neg_lo:[0,1] neg_hi:[0,1]
.LBB66_663:                             ;   in Loop: Header=BB66_3 Depth=1
	s_or_b32 exec_lo, exec_lo, s65
	s_barrier_signal -1
	s_barrier_wait -1
	s_and_saveexec_b32 s65, s42
	s_cbranch_execz .LBB66_665
; %bb.664:                              ;   in Loop: Header=BB66_3 Depth=1
	ds_load_b64 v[38:39], v5 offset:10400
	s_wait_dscnt 0x0
	v_pk_mul_f32 v[40:41], v[36:37], v[38:39]
	v_pk_mul_f32 v[36:37], v[36:37], v[38:39] op_sel:[1,0] op_sel_hi:[0,1]
	s_delay_alu instid0(VALU_DEP_1) | instskip(NEXT) | instid1(VALU_DEP_3)
	v_dual_mov_b32 v38, v40 :: v_dual_mov_b32 v39, v36
	v_mov_b32_e32 v36, v41
	s_delay_alu instid0(VALU_DEP_1) | instskip(SKIP_1) | instid1(VALU_DEP_2)
	v_pk_add_f32 v[40:41], v[38:39], v[36:37]
	v_pk_add_f32 v[36:37], v[38:39], v[36:37] neg_lo:[0,1] neg_hi:[0,1]
	v_mov_b32_e32 v37, v41
	s_delay_alu instid0(VALU_DEP_1)
	v_pk_add_f32 v[38:39], v[36:37], 0 neg_lo:[1,1] neg_hi:[1,1]
	ds_store_b64 v57, v[38:39]
.LBB66_665:                             ;   in Loop: Header=BB66_3 Depth=1
	s_or_b32 exec_lo, exec_lo, s65
	s_wait_dscnt 0x0
	s_barrier_signal -1
	s_barrier_wait -1
	s_and_saveexec_b32 s65, s43
	s_cbranch_execz .LBB66_667
; %bb.666:                              ;   in Loop: Header=BB66_3 Depth=1
	ds_load_b64 v[38:39], v58 offset:10368
	ds_load_b64 v[40:41], v57
	s_wait_dscnt 0x0
	v_dual_mul_f32 v4, v41, v39 :: v_dual_mul_f32 v39, v40, v39
	s_delay_alu instid0(VALU_DEP_1) | instskip(NEXT) | instid1(VALU_DEP_1)
	v_dual_fma_f32 v4, v40, v38, -v4 :: v_dual_fmac_f32 v39, v41, v38
	v_dual_sub_f32 v36, v36, v4 :: v_dual_sub_f32 v37, v37, v39
.LBB66_667:                             ;   in Loop: Header=BB66_3 Depth=1
	s_or_b32 exec_lo, exec_lo, s65
	s_barrier_signal -1
	s_barrier_wait -1
	s_and_saveexec_b32 s65, s44
	s_cbranch_execz .LBB66_669
; %bb.668:                              ;   in Loop: Header=BB66_3 Depth=1
	ds_load_b64 v[38:39], v5 offset:9880
	s_wait_dscnt 0x0
	v_dual_mul_f32 v4, v37, v38 :: v_dual_mul_f32 v40, v37, v39
	s_delay_alu instid0(VALU_DEP_1) | instskip(NEXT) | instid1(VALU_DEP_2)
	v_pk_fma_f32 v[94:95], v[36:37], v[38:39], v[4:5] op_sel:[1,0,0] op_sel_hi:[0,1,0]
	v_pk_fma_f32 v[36:37], v[36:37], v[38:39], v[40:41] op_sel_hi:[1,1,0] neg_lo:[0,0,1] neg_hi:[0,0,1]
	s_delay_alu instid0(VALU_DEP_2) | instskip(NEXT) | instid1(VALU_DEP_1)
	v_mov_b32_e32 v37, v95
	v_pk_add_f32 v[38:39], v[36:37], 0 neg_lo:[1,1] neg_hi:[1,1]
	ds_store_b64 v57, v[38:39]
.LBB66_669:                             ;   in Loop: Header=BB66_3 Depth=1
	s_or_b32 exec_lo, exec_lo, s65
	s_wait_dscnt 0x0
	s_barrier_signal -1
	s_barrier_wait -1
	s_and_saveexec_b32 s65, s45
	s_cbranch_execz .LBB66_671
; %bb.670:                              ;   in Loop: Header=BB66_3 Depth=1
	ds_load_b64 v[38:39], v58 offset:9856
	ds_load_b64 v[40:41], v57
	s_wait_dscnt 0x0
	v_pk_mul_f32 v[94:95], v[40:41], v[38:39] op_sel:[1,1] op_sel_hi:[0,1]
	s_delay_alu instid0(VALU_DEP_1) | instskip(SKIP_1) | instid1(VALU_DEP_2)
	v_pk_fma_f32 v[96:97], v[40:41], v[38:39], v[94:95] op_sel_hi:[1,0,1]
	v_pk_fma_f32 v[38:39], v[40:41], v[38:39], v[94:95] neg_lo:[0,0,1] neg_hi:[0,0,1]
	v_mov_b32_e32 v39, v97
	s_delay_alu instid0(VALU_DEP_1)
	v_pk_add_f32 v[36:37], v[36:37], v[38:39] neg_lo:[0,1] neg_hi:[0,1]
.LBB66_671:                             ;   in Loop: Header=BB66_3 Depth=1
	s_or_b32 exec_lo, exec_lo, s65
	s_barrier_signal -1
	s_barrier_wait -1
	s_and_saveexec_b32 s65, s46
	s_cbranch_execz .LBB66_673
; %bb.672:                              ;   in Loop: Header=BB66_3 Depth=1
	ds_load_b64 v[38:39], v5 offset:9360
	s_wait_dscnt 0x0
	v_pk_mul_f32 v[40:41], v[36:37], v[38:39] op_sel:[1,1] op_sel_hi:[1,0]
	s_delay_alu instid0(VALU_DEP_1) | instskip(SKIP_1) | instid1(VALU_DEP_2)
	v_pk_fma_f32 v[94:95], v[36:37], v[38:39], v[40:41] op_sel_hi:[0,1,1]
	v_pk_fma_f32 v[36:37], v[36:37], v[38:39], v[40:41] neg_lo:[0,0,1] neg_hi:[0,0,1]
	v_mov_b32_e32 v37, v95
	s_delay_alu instid0(VALU_DEP_1)
	v_pk_add_f32 v[38:39], v[36:37], 0 neg_lo:[1,1] neg_hi:[1,1]
	ds_store_b64 v57, v[38:39]
.LBB66_673:                             ;   in Loop: Header=BB66_3 Depth=1
	s_or_b32 exec_lo, exec_lo, s65
	s_wait_dscnt 0x0
	s_barrier_signal -1
	s_barrier_wait -1
	s_and_saveexec_b32 s65, s47
	s_cbranch_execz .LBB66_675
; %bb.674:                              ;   in Loop: Header=BB66_3 Depth=1
	ds_load_b64 v[38:39], v58 offset:9344
	ds_load_b64 v[40:41], v57
	s_wait_dscnt 0x0
	v_pk_mul_f32 v[94:95], v[40:41], v[38:39] op_sel:[1,1] op_sel_hi:[0,1]
	s_delay_alu instid0(VALU_DEP_1) | instskip(SKIP_1) | instid1(VALU_DEP_2)
	v_pk_fma_f32 v[96:97], v[40:41], v[38:39], v[94:95] op_sel_hi:[1,0,1]
	v_pk_fma_f32 v[38:39], v[40:41], v[38:39], v[94:95] neg_lo:[0,0,1] neg_hi:[0,0,1]
	v_mov_b32_e32 v39, v97
	s_delay_alu instid0(VALU_DEP_1)
	v_pk_add_f32 v[36:37], v[36:37], v[38:39] neg_lo:[0,1] neg_hi:[0,1]
.LBB66_675:                             ;   in Loop: Header=BB66_3 Depth=1
	s_or_b32 exec_lo, exec_lo, s65
	s_barrier_signal -1
	s_barrier_wait -1
	s_and_saveexec_b32 s65, s48
	s_cbranch_execz .LBB66_677
; %bb.676:                              ;   in Loop: Header=BB66_3 Depth=1
	ds_load_b64 v[38:39], v5 offset:8840
	s_wait_dscnt 0x0
	v_pk_mul_f32 v[40:41], v[36:37], v[38:39] op_sel:[1,1] op_sel_hi:[1,0]
	s_delay_alu instid0(VALU_DEP_1) | instskip(SKIP_1) | instid1(VALU_DEP_2)
	v_pk_fma_f32 v[94:95], v[36:37], v[38:39], v[40:41] op_sel_hi:[0,1,1]
	v_pk_fma_f32 v[36:37], v[36:37], v[38:39], v[40:41] neg_lo:[0,0,1] neg_hi:[0,0,1]
	v_mov_b32_e32 v37, v95
	s_delay_alu instid0(VALU_DEP_1)
	v_pk_add_f32 v[38:39], v[36:37], 0 neg_lo:[1,1] neg_hi:[1,1]
	ds_store_b64 v57, v[38:39]
.LBB66_677:                             ;   in Loop: Header=BB66_3 Depth=1
	;; [unrolled: 35-line block ×3, first 2 shown]
	s_or_b32 exec_lo, exec_lo, s65
	s_wait_dscnt 0x0
	s_barrier_signal -1
	s_barrier_wait -1
	s_barrier_signal -1
	s_barrier_wait -1
	s_and_saveexec_b32 s65, s3
; %bb.682:                              ;   in Loop: Header=BB66_3 Depth=1
	ds_store_b64 v60, v[36:37] offset:16000
; %bb.683:                              ;   in Loop: Header=BB66_3 Depth=1
	s_or_b32 exec_lo, exec_lo, s65
	s_wait_dscnt 0x0
	s_barrier_signal -1
	s_barrier_wait -1
	s_barrier_signal -1
	s_barrier_wait -1
	s_and_saveexec_b32 s65, s50
	s_cbranch_execz .LBB66_685
; %bb.684:                              ;   in Loop: Header=BB66_3 Depth=1
	ds_load_b64 v[36:37], v73 offset:12416
	s_wait_dscnt 0x0
	ds_store_b64 v74, v[36:37] offset:8384
	ds_load_b64 v[36:37], v73 offset:12424
	s_wait_dscnt 0x0
	ds_store_b64 v74, v[36:37] offset:8896
	;; [unrolled: 3-line block ×8, first 2 shown]
.LBB66_685:                             ;   in Loop: Header=BB66_3 Depth=1
	s_or_b32 exec_lo, exec_lo, s65
	s_wait_dscnt 0x0
	s_barrier_signal -1
	s_barrier_wait -1
	s_and_saveexec_b32 s65, s14
	s_cbranch_execz .LBB66_687
; %bb.686:                              ;   in Loop: Header=BB66_3 Depth=1
	v_add_nc_u32_e64 v4, 0xb0, 0
	ds_load_b64 v[40:41], v5 offset:11960
	ds_load_2addr_stride64_b64 v[36:39], v4 offset0:22 offset1:23
	s_wait_dscnt 0x0
	v_dual_mul_f32 v42, v41, v37 :: v_dual_mul_f32 v4, v40, v37
	s_delay_alu instid0(VALU_DEP_1) | instskip(NEXT) | instid1(VALU_DEP_1)
	v_xor_b32_e32 v42, 0x80000000, v42
	v_dual_fmac_f32 v4, v41, v36 :: v_dual_fmac_f32 v42, v40, v36
	s_delay_alu instid0(VALU_DEP_1) | instskip(SKIP_1) | instid1(VALU_DEP_2)
	v_pk_mul_f32 v[36:37], v[4:5], v[38:39] op_sel:[0,1] op_sel_hi:[0,0]
	v_add_nc_u32_e64 v4, 0x2800, 0
	v_pk_fma_f32 v[40:41], v[42:43], v[38:39], v[36:37] op_sel_hi:[0,1,1]
	v_pk_fma_f32 v[36:37], v[42:43], v[38:39], v[36:37] neg_lo:[0,0,1] neg_hi:[0,0,1]
	s_delay_alu instid0(VALU_DEP_2)
	v_mov_b32_e32 v37, v41
	ds_store_2addr_b64 v4, v[36:37], v[36:37] offset0:151 offset1:214
.LBB66_687:                             ;   in Loop: Header=BB66_3 Depth=1
	s_or_b32 exec_lo, exec_lo, s65
	v_dual_mov_b32 v36, 0 :: v_dual_mov_b32 v37, 0
	s_wait_dscnt 0x0
	s_barrier_signal -1
	s_barrier_wait -1
	global_wb scope:SCOPE_DEV
	s_wait_storecnt 0x0
	global_inv scope:SCOPE_DEV
	s_and_saveexec_b32 s65, s0
	s_cbranch_execz .LBB66_691
; %bb.688:                              ;   in Loop: Header=BB66_3 Depth=1
	ds_load_b64 v[36:37], v45 offset:11424
	ds_load_b64 v[38:39], v46 offset:11952
	s_wait_dscnt 0x0
	v_pk_mul_f32 v[40:41], v[38:39], v[36:37] op_sel:[1,1] op_sel_hi:[0,1]
	s_delay_alu instid0(VALU_DEP_1) | instskip(SKIP_1) | instid1(VALU_DEP_2)
	v_pk_fma_f32 v[94:95], v[38:39], v[36:37], v[40:41] op_sel_hi:[1,0,1]
	v_pk_fma_f32 v[36:37], v[38:39], v[36:37], v[40:41] neg_lo:[0,0,1] neg_hi:[0,0,1]
	v_mov_b32_e32 v37, v95
	s_delay_alu instid0(VALU_DEP_1)
	v_pk_add_f32 v[36:37], v[36:37], 0 op_sel_hi:[1,0]
	s_and_saveexec_b32 s68, s15
	s_cbranch_execz .LBB66_690
; %bb.689:                              ;   in Loop: Header=BB66_3 Depth=1
	ds_load_b64 v[38:39], v74 offset:11936
	ds_load_b64 v[40:41], v5 offset:11960
	s_wait_dscnt 0x0
	v_pk_mul_f32 v[94:95], v[40:41], v[38:39] op_sel:[1,1] op_sel_hi:[0,1]
	s_delay_alu instid0(VALU_DEP_1) | instskip(SKIP_1) | instid1(VALU_DEP_2)
	v_pk_fma_f32 v[96:97], v[40:41], v[38:39], v[94:95] op_sel_hi:[1,0,1]
	v_pk_fma_f32 v[38:39], v[40:41], v[38:39], v[94:95] neg_lo:[0,0,1] neg_hi:[0,0,1]
	v_mov_b32_e32 v39, v97
	s_delay_alu instid0(VALU_DEP_1)
	v_pk_add_f32 v[36:37], v[36:37], v[38:39]
.LBB66_690:                             ;   in Loop: Header=BB66_3 Depth=1
	s_or_b32 exec_lo, exec_lo, s68
.LBB66_691:                             ;   in Loop: Header=BB66_3 Depth=1
	s_delay_alu instid0(SALU_CYCLE_1)
	s_or_b32 exec_lo, exec_lo, s65
	s_and_saveexec_b32 s65, s94
	s_cbranch_execz .LBB66_693
; %bb.692:                              ;   in Loop: Header=BB66_3 Depth=1
	ds_load_b64 v[38:39], v5 offset:10920
	s_wait_dscnt 0x0
	v_pk_mul_f32 v[40:41], v[36:37], v[38:39] op_sel:[1,1] op_sel_hi:[1,0]
	s_delay_alu instid0(VALU_DEP_1) | instskip(SKIP_1) | instid1(VALU_DEP_2)
	v_pk_fma_f32 v[94:95], v[36:37], v[38:39], v[40:41] op_sel_hi:[0,1,1]
	v_pk_fma_f32 v[36:37], v[36:37], v[38:39], v[40:41] neg_lo:[0,0,1] neg_hi:[0,0,1]
	v_mov_b32_e32 v37, v95
	s_delay_alu instid0(VALU_DEP_1)
	v_pk_add_f32 v[38:39], v[36:37], 0 neg_lo:[1,1] neg_hi:[1,1]
	ds_store_b64 v3, v[38:39]
.LBB66_693:                             ;   in Loop: Header=BB66_3 Depth=1
	s_or_b32 exec_lo, exec_lo, s65
	s_wait_loadcnt_dscnt 0x0
	s_barrier_signal -1
	s_barrier_wait -1
	s_and_saveexec_b32 s65, s95
	s_cbranch_execz .LBB66_695
; %bb.694:                              ;   in Loop: Header=BB66_3 Depth=1
	ds_load_b64 v[38:39], v5 offset:10912
	ds_load_b64 v[40:41], v3
	s_wait_dscnt 0x0
	v_pk_mul_f32 v[94:95], v[40:41], v[38:39] op_sel:[1,1] op_sel_hi:[0,1]
	s_delay_alu instid0(VALU_DEP_1) | instskip(SKIP_1) | instid1(VALU_DEP_2)
	v_pk_fma_f32 v[96:97], v[40:41], v[38:39], v[94:95] op_sel_hi:[1,0,1]
	v_pk_fma_f32 v[38:39], v[40:41], v[38:39], v[94:95] neg_lo:[0,0,1] neg_hi:[0,0,1]
	v_mov_b32_e32 v39, v97
	s_delay_alu instid0(VALU_DEP_1)
	v_pk_add_f32 v[36:37], v[36:37], v[38:39] neg_lo:[0,1] neg_hi:[0,1]
.LBB66_695:                             ;   in Loop: Header=BB66_3 Depth=1
	s_or_b32 exec_lo, exec_lo, s65
	s_barrier_signal -1
	s_barrier_wait -1
	s_and_saveexec_b32 s65, s95
	s_cbranch_execz .LBB66_697
; %bb.696:                              ;   in Loop: Header=BB66_3 Depth=1
	ds_load_b64 v[38:39], v5 offset:10400
	s_wait_dscnt 0x0
	v_pk_mul_f32 v[40:41], v[36:37], v[38:39] op_sel:[1,1] op_sel_hi:[1,0]
	s_delay_alu instid0(VALU_DEP_1) | instskip(SKIP_1) | instid1(VALU_DEP_2)
	v_pk_fma_f32 v[94:95], v[36:37], v[38:39], v[40:41] op_sel_hi:[0,1,1]
	v_pk_fma_f32 v[36:37], v[36:37], v[38:39], v[40:41] neg_lo:[0,0,1] neg_hi:[0,0,1]
	v_mov_b32_e32 v37, v95
	s_delay_alu instid0(VALU_DEP_1)
	v_pk_add_f32 v[38:39], v[36:37], 0 neg_lo:[1,1] neg_hi:[1,1]
	ds_store_b64 v3, v[38:39]
.LBB66_697:                             ;   in Loop: Header=BB66_3 Depth=1
	s_or_b32 exec_lo, exec_lo, s65
	s_wait_dscnt 0x0
	s_barrier_signal -1
	s_barrier_wait -1
	s_barrier_signal -1
	s_barrier_wait -1
	s_and_saveexec_b32 s65, s0
; %bb.698:                              ;   in Loop: Header=BB66_3 Depth=1
	ds_store_b64 v48, v[36:37] offset:11936
; %bb.699:                              ;   in Loop: Header=BB66_3 Depth=1
	s_or_b32 exec_lo, exec_lo, s65
	s_wait_dscnt 0x0
	s_barrier_signal -1
	s_barrier_wait -1
	s_barrier_signal -1
	s_barrier_wait -1
	s_and_saveexec_b32 s65, s96
	s_cbranch_execz .LBB66_701
; %bb.700:                              ;   in Loop: Header=BB66_3 Depth=1
	ds_load_b64 v[36:37], v75 offset:11424
	s_wait_dscnt 0x0
	ds_store_b64 v74, v[36:37] offset:10416
	ds_load_b64 v[36:37], v75 offset:11432
	s_wait_dscnt 0x0
	ds_store_b64 v74, v[36:37] offset:10928
.LBB66_701:                             ;   in Loop: Header=BB66_3 Depth=1
	s_or_b32 exec_lo, exec_lo, s65
	s_wait_dscnt 0x0
	s_barrier_signal -1
	s_barrier_wait -1
	s_and_saveexec_b32 s65, s14
	s_cbranch_execz .LBB66_703
; %bb.702:                              ;   in Loop: Header=BB66_3 Depth=1
	v_add_nc_u32_e64 v4, 0xa0, 0
	ds_load_b64 v[40:41], v5 offset:10920
	ds_load_2addr_stride64_b64 v[36:39], v4 offset0:20 offset1:21
	s_wait_dscnt 0x0
	v_dual_mul_f32 v42, v41, v37 :: v_dual_mul_f32 v4, v40, v37
	s_delay_alu instid0(VALU_DEP_1) | instskip(NEXT) | instid1(VALU_DEP_1)
	v_xor_b32_e32 v42, 0x80000000, v42
	v_dual_fmac_f32 v4, v41, v36 :: v_dual_fmac_f32 v42, v40, v36
	s_delay_alu instid0(VALU_DEP_1) | instskip(SKIP_1) | instid1(VALU_DEP_2)
	v_pk_mul_f32 v[36:37], v[4:5], v[38:39] op_sel:[0,1] op_sel_hi:[0,0]
	v_add_nc_u32_e64 v4, 0x2800, 0
	v_pk_fma_f32 v[40:41], v[42:43], v[38:39], v[36:37] op_sel_hi:[0,1,1]
	v_pk_fma_f32 v[36:37], v[42:43], v[38:39], v[36:37] neg_lo:[0,0,1] neg_hi:[0,0,1]
	s_delay_alu instid0(VALU_DEP_2)
	v_mov_b32_e32 v37, v41
	ds_store_2addr_b64 v4, v[36:37], v[36:37] offset0:21 offset1:84
.LBB66_703:                             ;   in Loop: Header=BB66_3 Depth=1
	s_or_b32 exec_lo, exec_lo, s65
	v_mov_b64_e32 v[36:37], 0
	s_wait_dscnt 0x0
	s_barrier_signal -1
	s_barrier_wait -1
	global_wb scope:SCOPE_DEV
	s_wait_storecnt 0x0
	global_inv scope:SCOPE_DEV
	s_and_saveexec_b32 s65, s2
	s_cbranch_execz .LBB66_709
; %bb.704:                              ;   in Loop: Header=BB66_3 Depth=1
	ds_load_b64 v[36:37], v51 offset:10368
	ds_load_b64 v[38:39], v52 offset:11936
	s_wait_dscnt 0x0
	v_dual_mul_f32 v4, v39, v37 :: v_dual_mul_f32 v37, v38, v37
	s_delay_alu instid0(VALU_DEP_1) | instskip(NEXT) | instid1(VALU_DEP_1)
	v_dual_fma_f32 v4, v38, v36, -v4 :: v_dual_fmac_f32 v37, v39, v36
	v_dual_add_f32 v36, 0, v4 :: v_dual_add_f32 v37, 0, v37
	s_and_saveexec_b32 s68, s16
	s_cbranch_execnz .LBB66_1158
; %bb.705:                              ;   in Loop: Header=BB66_3 Depth=1
	s_or_b32 exec_lo, exec_lo, s68
	s_and_saveexec_b32 s68, s17
	s_cbranch_execnz .LBB66_1159
.LBB66_706:                             ;   in Loop: Header=BB66_3 Depth=1
	s_or_b32 exec_lo, exec_lo, s68
	s_and_saveexec_b32 s68, s0
	s_cbranch_execz .LBB66_708
.LBB66_707:                             ;   in Loop: Header=BB66_3 Depth=1
	ds_load_b64 v[38:39], v76 offset:11904
	ds_load_b64 v[40:41], v5 offset:11960
	s_wait_dscnt 0x0
	v_dual_mul_f32 v4, v41, v39 :: v_dual_mul_f32 v39, v40, v39
	s_delay_alu instid0(VALU_DEP_1) | instskip(NEXT) | instid1(VALU_DEP_1)
	v_dual_fma_f32 v4, v40, v38, -v4 :: v_dual_fmac_f32 v39, v41, v38
	v_dual_add_f32 v36, v36, v4 :: v_dual_add_f32 v37, v37, v39
.LBB66_708:                             ;   in Loop: Header=BB66_3 Depth=1
	s_or_b32 exec_lo, exec_lo, s68
.LBB66_709:                             ;   in Loop: Header=BB66_3 Depth=1
	s_delay_alu instid0(SALU_CYCLE_1)
	s_or_b32 exec_lo, exec_lo, s65
	s_and_saveexec_b32 s65, s97
	s_cbranch_execz .LBB66_711
; %bb.710:                              ;   in Loop: Header=BB66_3 Depth=1
	ds_load_b64 v[38:39], v5 offset:9880
	s_wait_dscnt 0x0
	v_dual_mul_f32 v4, v37, v38 :: v_dual_mul_f32 v40, v37, v39
	s_delay_alu instid0(VALU_DEP_1) | instskip(NEXT) | instid1(VALU_DEP_2)
	v_pk_fma_f32 v[94:95], v[36:37], v[38:39], v[4:5] op_sel:[1,0,0] op_sel_hi:[0,1,0]
	v_pk_fma_f32 v[36:37], v[36:37], v[38:39], v[40:41] op_sel_hi:[1,1,0] neg_lo:[0,0,1] neg_hi:[0,0,1]
	s_delay_alu instid0(VALU_DEP_2) | instskip(NEXT) | instid1(VALU_DEP_1)
	v_mov_b32_e32 v37, v95
	v_pk_add_f32 v[38:39], v[36:37], 0 neg_lo:[1,1] neg_hi:[1,1]
	ds_store_b64 v50, v[38:39]
.LBB66_711:                             ;   in Loop: Header=BB66_3 Depth=1
	s_or_b32 exec_lo, exec_lo, s65
	s_wait_loadcnt_dscnt 0x0
	s_barrier_signal -1
	s_barrier_wait -1
	s_and_saveexec_b32 s65, s98
	s_cbranch_execz .LBB66_713
; %bb.712:                              ;   in Loop: Header=BB66_3 Depth=1
	ds_load_b64 v[38:39], v51 offset:9856
	ds_load_b64 v[40:41], v50
	s_wait_dscnt 0x0
	v_pk_mul_f32 v[94:95], v[40:41], v[38:39] op_sel:[1,1] op_sel_hi:[0,1]
	s_delay_alu instid0(VALU_DEP_1) | instskip(SKIP_1) | instid1(VALU_DEP_2)
	v_pk_fma_f32 v[96:97], v[40:41], v[38:39], v[94:95] op_sel_hi:[1,0,1]
	v_pk_fma_f32 v[38:39], v[40:41], v[38:39], v[94:95] neg_lo:[0,0,1] neg_hi:[0,0,1]
	v_mov_b32_e32 v39, v97
	s_delay_alu instid0(VALU_DEP_1)
	v_pk_add_f32 v[36:37], v[36:37], v[38:39] neg_lo:[0,1] neg_hi:[0,1]
.LBB66_713:                             ;   in Loop: Header=BB66_3 Depth=1
	s_or_b32 exec_lo, exec_lo, s65
	s_barrier_signal -1
	s_barrier_wait -1
	s_and_saveexec_b32 s65, s99
	s_cbranch_execz .LBB66_715
; %bb.714:                              ;   in Loop: Header=BB66_3 Depth=1
	ds_load_b64 v[38:39], v5 offset:9360
	s_wait_dscnt 0x0
	v_pk_mul_f32 v[40:41], v[36:37], v[38:39] op_sel:[1,1] op_sel_hi:[1,0]
	s_delay_alu instid0(VALU_DEP_1) | instskip(SKIP_1) | instid1(VALU_DEP_2)
	v_pk_fma_f32 v[94:95], v[36:37], v[38:39], v[40:41] op_sel_hi:[0,1,1]
	v_pk_fma_f32 v[36:37], v[36:37], v[38:39], v[40:41] neg_lo:[0,0,1] neg_hi:[0,0,1]
	v_mov_b32_e32 v37, v95
	s_delay_alu instid0(VALU_DEP_1)
	v_pk_add_f32 v[38:39], v[36:37], 0 neg_lo:[1,1] neg_hi:[1,1]
	ds_store_b64 v50, v[38:39]
.LBB66_715:                             ;   in Loop: Header=BB66_3 Depth=1
	s_or_b32 exec_lo, exec_lo, s65
	s_wait_dscnt 0x0
	s_barrier_signal -1
	s_barrier_wait -1
	s_and_saveexec_b32 s65, s100
	s_cbranch_execz .LBB66_717
; %bb.716:                              ;   in Loop: Header=BB66_3 Depth=1
	ds_load_b64 v[38:39], v51 offset:9344
	ds_load_b64 v[40:41], v50
	s_wait_dscnt 0x0
	v_pk_mul_f32 v[94:95], v[40:41], v[38:39] op_sel:[1,1] op_sel_hi:[0,1]
	s_delay_alu instid0(VALU_DEP_1) | instskip(SKIP_1) | instid1(VALU_DEP_2)
	v_pk_fma_f32 v[96:97], v[40:41], v[38:39], v[94:95] op_sel_hi:[1,0,1]
	v_pk_fma_f32 v[38:39], v[40:41], v[38:39], v[94:95] neg_lo:[0,0,1] neg_hi:[0,0,1]
	v_mov_b32_e32 v39, v97
	s_delay_alu instid0(VALU_DEP_1)
	v_pk_add_f32 v[36:37], v[36:37], v[38:39] neg_lo:[0,1] neg_hi:[0,1]
.LBB66_717:                             ;   in Loop: Header=BB66_3 Depth=1
	s_or_b32 exec_lo, exec_lo, s65
	s_barrier_signal -1
	s_barrier_wait -1
	s_and_saveexec_b32 s65, s101
	s_cbranch_execz .LBB66_719
; %bb.718:                              ;   in Loop: Header=BB66_3 Depth=1
	ds_load_b64 v[38:39], v5 offset:8840
	s_wait_dscnt 0x0
	v_pk_mul_f32 v[40:41], v[36:37], v[38:39] op_sel:[1,1] op_sel_hi:[1,0]
	s_delay_alu instid0(VALU_DEP_1) | instskip(SKIP_1) | instid1(VALU_DEP_2)
	v_pk_fma_f32 v[94:95], v[36:37], v[38:39], v[40:41] op_sel_hi:[0,1,1]
	v_pk_fma_f32 v[36:37], v[36:37], v[38:39], v[40:41] neg_lo:[0,0,1] neg_hi:[0,0,1]
	v_mov_b32_e32 v37, v95
	s_delay_alu instid0(VALU_DEP_1)
	v_pk_add_f32 v[38:39], v[36:37], 0 neg_lo:[1,1] neg_hi:[1,1]
	ds_store_b64 v50, v[38:39]
.LBB66_719:                             ;   in Loop: Header=BB66_3 Depth=1
	s_or_b32 exec_lo, exec_lo, s65
	s_wait_dscnt 0x0
	s_barrier_signal -1
	s_barrier_wait -1
	s_and_saveexec_b32 s65, s102
	s_cbranch_execz .LBB66_721
; %bb.720:                              ;   in Loop: Header=BB66_3 Depth=1
	ds_load_b64 v[38:39], v5 offset:8832
	ds_load_b64 v[40:41], v50
	s_wait_dscnt 0x0
	v_pk_mul_f32 v[94:95], v[40:41], v[38:39] op_sel:[1,1] op_sel_hi:[0,1]
	s_delay_alu instid0(VALU_DEP_1) | instskip(SKIP_1) | instid1(VALU_DEP_2)
	v_pk_fma_f32 v[96:97], v[40:41], v[38:39], v[94:95] op_sel_hi:[1,0,1]
	v_pk_fma_f32 v[38:39], v[40:41], v[38:39], v[94:95] neg_lo:[0,0,1] neg_hi:[0,0,1]
	v_mov_b32_e32 v39, v97
	s_delay_alu instid0(VALU_DEP_1)
	v_pk_add_f32 v[36:37], v[36:37], v[38:39] neg_lo:[0,1] neg_hi:[0,1]
.LBB66_721:                             ;   in Loop: Header=BB66_3 Depth=1
	s_or_b32 exec_lo, exec_lo, s65
	s_barrier_signal -1
	s_barrier_wait -1
	s_and_saveexec_b32 s65, s102
	s_cbranch_execz .LBB66_723
; %bb.722:                              ;   in Loop: Header=BB66_3 Depth=1
	ds_load_b64 v[38:39], v5 offset:8320
	s_wait_dscnt 0x0
	v_pk_mul_f32 v[40:41], v[36:37], v[38:39] op_sel:[1,1] op_sel_hi:[1,0]
	s_delay_alu instid0(VALU_DEP_1) | instskip(SKIP_1) | instid1(VALU_DEP_2)
	v_pk_fma_f32 v[94:95], v[36:37], v[38:39], v[40:41] op_sel_hi:[0,1,1]
	v_pk_fma_f32 v[36:37], v[36:37], v[38:39], v[40:41] neg_lo:[0,0,1] neg_hi:[0,0,1]
	v_mov_b32_e32 v37, v95
	s_delay_alu instid0(VALU_DEP_1)
	v_pk_add_f32 v[38:39], v[36:37], 0 neg_lo:[1,1] neg_hi:[1,1]
	ds_store_b64 v50, v[38:39]
.LBB66_723:                             ;   in Loop: Header=BB66_3 Depth=1
	s_or_b32 exec_lo, exec_lo, s65
	s_wait_dscnt 0x0
	s_barrier_signal -1
	s_barrier_wait -1
	s_barrier_signal -1
	s_barrier_wait -1
	s_and_saveexec_b32 s65, s2
; %bb.724:                              ;   in Loop: Header=BB66_3 Depth=1
	ds_store_b64 v55, v[36:37] offset:11904
; %bb.725:                              ;   in Loop: Header=BB66_3 Depth=1
	s_or_b32 exec_lo, exec_lo, s65
	s_wait_dscnt 0x0
	s_barrier_signal -1
	s_barrier_wait -1
	s_barrier_signal -1
	s_barrier_wait -1
	s_and_saveexec_b32 s65, s103
	s_cbranch_execz .LBB66_727
; %bb.726:                              ;   in Loop: Header=BB66_3 Depth=1
	ds_load_b64 v[36:37], v79 offset:10368
	s_wait_dscnt 0x0
	ds_store_b64 v82, v[36:37] offset:8352
	ds_load_b64 v[36:37], v79 offset:10376
	s_wait_dscnt 0x0
	ds_store_b64 v82, v[36:37] offset:8864
	;; [unrolled: 3-line block ×4, first 2 shown]
.LBB66_727:                             ;   in Loop: Header=BB66_3 Depth=1
	s_or_b32 exec_lo, exec_lo, s65
	s_wait_dscnt 0x0
	s_barrier_signal -1
	s_barrier_wait -1
	s_and_saveexec_b32 s65, s14
	s_cbranch_execz .LBB66_729
; %bb.728:                              ;   in Loop: Header=BB66_3 Depth=1
	v_add_nc_u32_e64 v4, 0x90, 0
	ds_load_b64 v[40:41], v5 offset:9880
	ds_load_2addr_stride64_b64 v[36:39], v4 offset0:18 offset1:19
	s_wait_dscnt 0x0
	v_dual_mul_f32 v42, v41, v37 :: v_dual_mul_f32 v4, v40, v37
	s_delay_alu instid0(VALU_DEP_1) | instskip(NEXT) | instid1(VALU_DEP_1)
	v_xor_b32_e32 v42, 0x80000000, v42
	v_dual_fmac_f32 v4, v41, v36 :: v_dual_fmac_f32 v42, v40, v36
	s_delay_alu instid0(VALU_DEP_1) | instskip(SKIP_1) | instid1(VALU_DEP_2)
	v_pk_mul_f32 v[36:37], v[4:5], v[38:39] op_sel:[0,1] op_sel_hi:[0,0]
	v_add_nc_u32_e64 v4, 0x2000, 0
	v_pk_fma_f32 v[40:41], v[42:43], v[38:39], v[36:37] op_sel_hi:[0,1,1]
	v_pk_fma_f32 v[36:37], v[42:43], v[38:39], v[36:37] neg_lo:[0,0,1] neg_hi:[0,0,1]
	s_delay_alu instid0(VALU_DEP_2)
	v_mov_b32_e32 v37, v41
	ds_store_2addr_b64 v4, v[36:37], v[36:37] offset0:147 offset1:210
.LBB66_729:                             ;   in Loop: Header=BB66_3 Depth=1
	s_or_b32 exec_lo, exec_lo, s65
	v_dual_mov_b32 v36, 0 :: v_dual_mov_b32 v37, 0
	s_wait_dscnt 0x0
	s_barrier_signal -1
	s_barrier_wait -1
	global_wb scope:SCOPE_DEV
	s_wait_storecnt 0x0
	global_inv scope:SCOPE_DEV
	s_and_saveexec_b32 s65, s0
	s_cbranch_execz .LBB66_733
; %bb.730:                              ;   in Loop: Header=BB66_3 Depth=1
	ds_load_b64 v[36:37], v45 offset:9344
	ds_load_b64 v[38:39], v46 offset:9872
	s_wait_dscnt 0x0
	v_pk_mul_f32 v[40:41], v[38:39], v[36:37] op_sel:[1,1] op_sel_hi:[0,1]
	s_delay_alu instid0(VALU_DEP_1) | instskip(SKIP_1) | instid1(VALU_DEP_2)
	v_pk_fma_f32 v[94:95], v[38:39], v[36:37], v[40:41] op_sel_hi:[1,0,1]
	v_pk_fma_f32 v[36:37], v[38:39], v[36:37], v[40:41] neg_lo:[0,0,1] neg_hi:[0,0,1]
	v_mov_b32_e32 v37, v95
	s_delay_alu instid0(VALU_DEP_1)
	v_pk_add_f32 v[36:37], v[36:37], 0 op_sel_hi:[1,0]
	s_and_saveexec_b32 s68, s15
	s_cbranch_execz .LBB66_732
; %bb.731:                              ;   in Loop: Header=BB66_3 Depth=1
	ds_load_b64 v[38:39], v82 offset:9856
	ds_load_b64 v[40:41], v5 offset:9880
	s_wait_dscnt 0x0
	v_pk_mul_f32 v[94:95], v[40:41], v[38:39] op_sel:[1,1] op_sel_hi:[0,1]
	s_delay_alu instid0(VALU_DEP_1) | instskip(SKIP_1) | instid1(VALU_DEP_2)
	v_pk_fma_f32 v[96:97], v[40:41], v[38:39], v[94:95] op_sel_hi:[1,0,1]
	v_pk_fma_f32 v[38:39], v[40:41], v[38:39], v[94:95] neg_lo:[0,0,1] neg_hi:[0,0,1]
	v_mov_b32_e32 v39, v97
	s_delay_alu instid0(VALU_DEP_1)
	v_pk_add_f32 v[36:37], v[36:37], v[38:39]
.LBB66_732:                             ;   in Loop: Header=BB66_3 Depth=1
	s_or_b32 exec_lo, exec_lo, s68
.LBB66_733:                             ;   in Loop: Header=BB66_3 Depth=1
	s_delay_alu instid0(SALU_CYCLE_1)
	s_or_b32 exec_lo, exec_lo, s65
	s_and_saveexec_b32 s65, s94
	s_cbranch_execz .LBB66_735
; %bb.734:                              ;   in Loop: Header=BB66_3 Depth=1
	ds_load_b64 v[38:39], v5 offset:8840
	s_wait_dscnt 0x0
	v_pk_mul_f32 v[40:41], v[36:37], v[38:39] op_sel:[1,1] op_sel_hi:[1,0]
	s_delay_alu instid0(VALU_DEP_1) | instskip(SKIP_1) | instid1(VALU_DEP_2)
	v_pk_fma_f32 v[94:95], v[36:37], v[38:39], v[40:41] op_sel_hi:[0,1,1]
	v_pk_fma_f32 v[36:37], v[36:37], v[38:39], v[40:41] neg_lo:[0,0,1] neg_hi:[0,0,1]
	v_mov_b32_e32 v37, v95
	s_delay_alu instid0(VALU_DEP_1)
	v_pk_add_f32 v[38:39], v[36:37], 0 neg_lo:[1,1] neg_hi:[1,1]
	ds_store_b64 v3, v[38:39]
.LBB66_735:                             ;   in Loop: Header=BB66_3 Depth=1
	s_or_b32 exec_lo, exec_lo, s65
	s_wait_loadcnt_dscnt 0x0
	s_barrier_signal -1
	s_barrier_wait -1
	s_and_saveexec_b32 s65, s95
	s_cbranch_execz .LBB66_737
; %bb.736:                              ;   in Loop: Header=BB66_3 Depth=1
	ds_load_b64 v[38:39], v5 offset:8832
	ds_load_b64 v[40:41], v3
	s_wait_dscnt 0x0
	v_pk_mul_f32 v[94:95], v[40:41], v[38:39] op_sel:[1,1] op_sel_hi:[0,1]
	s_delay_alu instid0(VALU_DEP_1) | instskip(SKIP_1) | instid1(VALU_DEP_2)
	v_pk_fma_f32 v[96:97], v[40:41], v[38:39], v[94:95] op_sel_hi:[1,0,1]
	v_pk_fma_f32 v[38:39], v[40:41], v[38:39], v[94:95] neg_lo:[0,0,1] neg_hi:[0,0,1]
	v_mov_b32_e32 v39, v97
	s_delay_alu instid0(VALU_DEP_1)
	v_pk_add_f32 v[36:37], v[36:37], v[38:39] neg_lo:[0,1] neg_hi:[0,1]
.LBB66_737:                             ;   in Loop: Header=BB66_3 Depth=1
	s_or_b32 exec_lo, exec_lo, s65
	s_barrier_signal -1
	s_barrier_wait -1
	s_and_saveexec_b32 s65, s95
	s_cbranch_execz .LBB66_739
; %bb.738:                              ;   in Loop: Header=BB66_3 Depth=1
	ds_load_b64 v[38:39], v5 offset:8320
	s_wait_dscnt 0x0
	v_pk_mul_f32 v[40:41], v[36:37], v[38:39] op_sel:[1,1] op_sel_hi:[1,0]
	s_delay_alu instid0(VALU_DEP_1) | instskip(SKIP_1) | instid1(VALU_DEP_2)
	v_pk_fma_f32 v[94:95], v[36:37], v[38:39], v[40:41] op_sel_hi:[0,1,1]
	v_pk_fma_f32 v[36:37], v[36:37], v[38:39], v[40:41] neg_lo:[0,0,1] neg_hi:[0,0,1]
	v_mov_b32_e32 v37, v95
	s_delay_alu instid0(VALU_DEP_1)
	v_pk_add_f32 v[38:39], v[36:37], 0 neg_lo:[1,1] neg_hi:[1,1]
	ds_store_b64 v3, v[38:39]
.LBB66_739:                             ;   in Loop: Header=BB66_3 Depth=1
	s_or_b32 exec_lo, exec_lo, s65
	s_wait_dscnt 0x0
	s_barrier_signal -1
	s_barrier_wait -1
	s_barrier_signal -1
	s_barrier_wait -1
	s_and_saveexec_b32 s65, s0
; %bb.740:                              ;   in Loop: Header=BB66_3 Depth=1
	ds_store_b64 v48, v[36:37] offset:9856
; %bb.741:                              ;   in Loop: Header=BB66_3 Depth=1
	s_or_b32 exec_lo, exec_lo, s65
	s_wait_dscnt 0x0
	s_barrier_signal -1
	s_barrier_wait -1
	s_barrier_signal -1
	s_barrier_wait -1
	s_and_saveexec_b32 s65, s96
	s_cbranch_execz .LBB66_743
; %bb.742:                              ;   in Loop: Header=BB66_3 Depth=1
	ds_load_b64 v[36:37], v83 offset:9344
	s_wait_dscnt 0x0
	ds_store_b64 v82, v[36:37] offset:8336
	ds_load_b64 v[36:37], v83 offset:9352
	s_wait_dscnt 0x0
	ds_store_b64 v82, v[36:37] offset:8848
.LBB66_743:                             ;   in Loop: Header=BB66_3 Depth=1
	s_or_b32 exec_lo, exec_lo, s65
	s_wait_dscnt 0x0
	s_barrier_signal -1
	s_barrier_wait -1
	s_and_saveexec_b32 s65, s14
	s_cbranch_execz .LBB66_745
; %bb.744:                              ;   in Loop: Header=BB66_3 Depth=1
	v_add_nc_u32_e64 v4, 0x80, 0
	ds_load_b64 v[40:41], v5 offset:8840
	ds_load_2addr_stride64_b64 v[36:39], v4 offset0:16 offset1:17
	s_wait_dscnt 0x0
	v_dual_mul_f32 v42, v41, v37 :: v_dual_mul_f32 v4, v40, v37
	s_delay_alu instid0(VALU_DEP_1) | instskip(NEXT) | instid1(VALU_DEP_1)
	v_xor_b32_e32 v42, 0x80000000, v42
	v_dual_fmac_f32 v4, v41, v36 :: v_dual_fmac_f32 v42, v40, v36
	s_delay_alu instid0(VALU_DEP_1) | instskip(SKIP_1) | instid1(VALU_DEP_2)
	v_pk_mul_f32 v[36:37], v[4:5], v[38:39] op_sel:[0,1] op_sel_hi:[0,0]
	v_add_nc_u32_e64 v4, 0x2000, 0
	v_pk_fma_f32 v[40:41], v[42:43], v[38:39], v[36:37] op_sel_hi:[0,1,1]
	v_pk_fma_f32 v[36:37], v[42:43], v[38:39], v[36:37] neg_lo:[0,0,1] neg_hi:[0,0,1]
	s_delay_alu instid0(VALU_DEP_2)
	v_mov_b32_e32 v37, v41
	ds_store_2addr_b64 v4, v[36:37], v[36:37] offset0:17 offset1:80
.LBB66_745:                             ;   in Loop: Header=BB66_3 Depth=1
	s_or_b32 exec_lo, exec_lo, s65
	v_mov_b64_e32 v[36:37], 0
	s_wait_dscnt 0x0
	s_barrier_signal -1
	s_barrier_wait -1
	global_wb scope:SCOPE_DEV
	s_wait_storecnt 0x0
	global_inv scope:SCOPE_DEV
	s_and_saveexec_b32 s65, s4
	s_cbranch_execz .LBB66_773
; %bb.746:                              ;   in Loop: Header=BB66_3 Depth=1
	ds_load_b64 v[36:37], v62 offset:8192
	ds_load_b64 v[38:39], v63 offset:16000
	v_readlane_b32 s51, v104, 28
	s_wait_dscnt 0x0
	v_dual_mul_f32 v4, v39, v37 :: v_dual_mul_f32 v37, v38, v37
	s_delay_alu instid0(VALU_DEP_1) | instskip(NEXT) | instid1(VALU_DEP_1)
	v_dual_fma_f32 v4, v38, v36, -v4 :: v_dual_fmac_f32 v37, v39, v36
	v_dual_add_f32 v36, 0, v4 :: v_dual_add_f32 v37, 0, v37
	s_and_saveexec_b32 s68, s51
	s_cbranch_execz .LBB66_748
; %bb.747:                              ;   in Loop: Header=BB66_3 Depth=1
	ds_load_b64 v[38:39], v62 offset:8704
	ds_load_b64 v[40:41], v63 offset:16008
	s_wait_dscnt 0x0
	v_dual_mul_f32 v4, v41, v39 :: v_dual_mul_f32 v39, v40, v39
	s_delay_alu instid0(VALU_DEP_1) | instskip(NEXT) | instid1(VALU_DEP_1)
	v_dual_fma_f32 v4, v40, v38, -v4 :: v_dual_fmac_f32 v39, v41, v38
	v_dual_add_f32 v36, v36, v4 :: v_dual_add_f32 v37, v37, v39
.LBB66_748:                             ;   in Loop: Header=BB66_3 Depth=1
	s_or_b32 exec_lo, exec_lo, s68
	v_readlane_b32 s51, v104, 29
	s_and_saveexec_b32 s68, s51
	s_cbranch_execz .LBB66_750
; %bb.749:                              ;   in Loop: Header=BB66_3 Depth=1
	ds_load_b64 v[38:39], v62 offset:9216
	ds_load_b64 v[40:41], v63 offset:16016
	s_wait_dscnt 0x0
	v_dual_mul_f32 v4, v41, v39 :: v_dual_mul_f32 v39, v40, v39
	s_delay_alu instid0(VALU_DEP_1) | instskip(NEXT) | instid1(VALU_DEP_1)
	v_dual_fma_f32 v4, v40, v38, -v4 :: v_dual_fmac_f32 v39, v41, v38
	v_dual_add_f32 v36, v36, v4 :: v_dual_add_f32 v37, v37, v39
.LBB66_750:                             ;   in Loop: Header=BB66_3 Depth=1
	s_or_b32 exec_lo, exec_lo, s68
	v_readlane_b32 s51, v104, 30
	s_and_saveexec_b32 s68, s51
	s_cbranch_execz .LBB66_752
; %bb.751:                              ;   in Loop: Header=BB66_3 Depth=1
	ds_load_b64 v[38:39], v62 offset:9728
	ds_load_b64 v[40:41], v63 offset:16024
	s_wait_dscnt 0x0
	v_dual_mul_f32 v4, v41, v39 :: v_dual_mul_f32 v39, v40, v39
	s_delay_alu instid0(VALU_DEP_1) | instskip(NEXT) | instid1(VALU_DEP_1)
	v_dual_fma_f32 v4, v40, v38, -v4 :: v_dual_fmac_f32 v39, v41, v38
	v_dual_add_f32 v36, v36, v4 :: v_dual_add_f32 v37, v37, v39
.LBB66_752:                             ;   in Loop: Header=BB66_3 Depth=1
	s_or_b32 exec_lo, exec_lo, s68
	v_readlane_b32 s51, v104, 31
	s_and_saveexec_b32 s68, s51
	s_cbranch_execz .LBB66_754
; %bb.753:                              ;   in Loop: Header=BB66_3 Depth=1
	ds_load_b64 v[38:39], v62 offset:10240
	ds_load_b64 v[40:41], v63 offset:16032
	s_wait_dscnt 0x0
	v_dual_mul_f32 v4, v41, v39 :: v_dual_mul_f32 v39, v40, v39
	s_delay_alu instid0(VALU_DEP_1) | instskip(NEXT) | instid1(VALU_DEP_1)
	v_dual_fma_f32 v4, v40, v38, -v4 :: v_dual_fmac_f32 v39, v41, v38
	v_dual_add_f32 v36, v36, v4 :: v_dual_add_f32 v37, v37, v39
.LBB66_754:                             ;   in Loop: Header=BB66_3 Depth=1
	s_or_b32 exec_lo, exec_lo, s68
	v_readlane_b32 s51, v103, 0
	s_and_saveexec_b32 s68, s51
	s_cbranch_execz .LBB66_756
; %bb.755:                              ;   in Loop: Header=BB66_3 Depth=1
	ds_load_b64 v[38:39], v62 offset:10752
	ds_load_b64 v[40:41], v63 offset:16040
	s_wait_dscnt 0x0
	v_dual_mul_f32 v4, v41, v39 :: v_dual_mul_f32 v39, v40, v39
	s_delay_alu instid0(VALU_DEP_1) | instskip(NEXT) | instid1(VALU_DEP_1)
	v_dual_fma_f32 v4, v40, v38, -v4 :: v_dual_fmac_f32 v39, v41, v38
	v_dual_add_f32 v36, v36, v4 :: v_dual_add_f32 v37, v37, v39
.LBB66_756:                             ;   in Loop: Header=BB66_3 Depth=1
	s_or_b32 exec_lo, exec_lo, s68
	v_readlane_b32 s51, v103, 1
	s_and_saveexec_b32 s68, s51
	s_cbranch_execz .LBB66_758
; %bb.757:                              ;   in Loop: Header=BB66_3 Depth=1
	ds_load_b64 v[38:39], v62 offset:11264
	ds_load_b64 v[40:41], v63 offset:16048
	s_wait_dscnt 0x0
	v_dual_mul_f32 v4, v41, v39 :: v_dual_mul_f32 v39, v40, v39
	s_delay_alu instid0(VALU_DEP_1) | instskip(NEXT) | instid1(VALU_DEP_1)
	v_dual_fma_f32 v4, v40, v38, -v4 :: v_dual_fmac_f32 v39, v41, v38
	v_dual_add_f32 v36, v36, v4 :: v_dual_add_f32 v37, v37, v39
.LBB66_758:                             ;   in Loop: Header=BB66_3 Depth=1
	s_or_b32 exec_lo, exec_lo, s68
	v_readlane_b32 s51, v103, 2
	s_and_saveexec_b32 s68, s51
	s_cbranch_execz .LBB66_760
; %bb.759:                              ;   in Loop: Header=BB66_3 Depth=1
	ds_load_b64 v[38:39], v62 offset:11776
	ds_load_b64 v[40:41], v63 offset:16056
	s_wait_dscnt 0x0
	v_dual_mul_f32 v4, v41, v39 :: v_dual_mul_f32 v39, v40, v39
	s_delay_alu instid0(VALU_DEP_1) | instskip(NEXT) | instid1(VALU_DEP_1)
	v_dual_fma_f32 v4, v40, v38, -v4 :: v_dual_fmac_f32 v39, v41, v38
	v_dual_add_f32 v36, v36, v4 :: v_dual_add_f32 v37, v37, v39
.LBB66_760:                             ;   in Loop: Header=BB66_3 Depth=1
	s_or_b32 exec_lo, exec_lo, s68
	v_readlane_b32 s51, v103, 3
	s_and_saveexec_b32 s68, s51
	s_cbranch_execz .LBB66_762
; %bb.761:                              ;   in Loop: Header=BB66_3 Depth=1
	ds_load_b64 v[38:39], v62 offset:12288
	ds_load_b64 v[40:41], v63 offset:16064
	s_wait_dscnt 0x0
	v_dual_mul_f32 v4, v41, v39 :: v_dual_mul_f32 v39, v40, v39
	s_delay_alu instid0(VALU_DEP_1) | instskip(NEXT) | instid1(VALU_DEP_1)
	v_dual_fma_f32 v4, v40, v38, -v4 :: v_dual_fmac_f32 v39, v41, v38
	v_dual_add_f32 v36, v36, v4 :: v_dual_add_f32 v37, v37, v39
.LBB66_762:                             ;   in Loop: Header=BB66_3 Depth=1
	s_or_b32 exec_lo, exec_lo, s68
	v_readlane_b32 s51, v103, 4
	s_and_saveexec_b32 s68, s51
	s_cbranch_execz .LBB66_764
; %bb.763:                              ;   in Loop: Header=BB66_3 Depth=1
	ds_load_b64 v[38:39], v62 offset:12800
	ds_load_b64 v[40:41], v63 offset:16072
	s_wait_dscnt 0x0
	v_dual_mul_f32 v4, v41, v39 :: v_dual_mul_f32 v39, v40, v39
	s_delay_alu instid0(VALU_DEP_1) | instskip(NEXT) | instid1(VALU_DEP_1)
	v_dual_fma_f32 v4, v40, v38, -v4 :: v_dual_fmac_f32 v39, v41, v38
	v_dual_add_f32 v36, v36, v4 :: v_dual_add_f32 v37, v37, v39
.LBB66_764:                             ;   in Loop: Header=BB66_3 Depth=1
	s_or_b32 exec_lo, exec_lo, s68
	v_readlane_b32 s51, v103, 5
	s_and_saveexec_b32 s68, s51
	s_cbranch_execz .LBB66_766
; %bb.765:                              ;   in Loop: Header=BB66_3 Depth=1
	ds_load_b64 v[38:39], v62 offset:13312
	ds_load_b64 v[40:41], v63 offset:16080
	s_wait_dscnt 0x0
	v_dual_mul_f32 v4, v41, v39 :: v_dual_mul_f32 v39, v40, v39
	s_delay_alu instid0(VALU_DEP_1) | instskip(NEXT) | instid1(VALU_DEP_1)
	v_dual_fma_f32 v4, v40, v38, -v4 :: v_dual_fmac_f32 v39, v41, v38
	v_dual_add_f32 v36, v36, v4 :: v_dual_add_f32 v37, v37, v39
.LBB66_766:                             ;   in Loop: Header=BB66_3 Depth=1
	s_or_b32 exec_lo, exec_lo, s68
	v_readlane_b32 s51, v103, 6
	s_and_saveexec_b32 s68, s51
	s_cbranch_execnz .LBB66_1160
; %bb.767:                              ;   in Loop: Header=BB66_3 Depth=1
	s_or_b32 exec_lo, exec_lo, s68
	s_and_saveexec_b32 s68, s3
	s_cbranch_execnz .LBB66_1161
.LBB66_768:                             ;   in Loop: Header=BB66_3 Depth=1
	s_or_b32 exec_lo, exec_lo, s68
	s_and_saveexec_b32 s68, s19
	s_cbranch_execnz .LBB66_1162
.LBB66_769:                             ;   in Loop: Header=BB66_3 Depth=1
	s_or_b32 exec_lo, exec_lo, s68
	s_and_saveexec_b32 s68, s21
	s_cbranch_execnz .LBB66_1163
.LBB66_770:                             ;   in Loop: Header=BB66_3 Depth=1
	s_or_b32 exec_lo, exec_lo, s68
	s_and_saveexec_b32 s68, s2
	s_cbranch_execz .LBB66_772
.LBB66_771:                             ;   in Loop: Header=BB66_3 Depth=1
	ds_load_b64 v[38:39], v47 offset:15872
	ds_load_b64 v[40:41], v5 offset:16120
	s_wait_dscnt 0x0
	v_dual_mul_f32 v4, v41, v39 :: v_dual_mul_f32 v95, v40, v39
	s_delay_alu instid0(VALU_DEP_1) | instskip(NEXT) | instid1(VALU_DEP_1)
	v_dual_fma_f32 v94, v40, v38, -v4 :: v_dual_fmac_f32 v95, v41, v38
	v_pk_add_f32 v[36:37], v[36:37], v[94:95]
.LBB66_772:                             ;   in Loop: Header=BB66_3 Depth=1
	s_or_b32 exec_lo, exec_lo, s68
.LBB66_773:                             ;   in Loop: Header=BB66_3 Depth=1
	s_delay_alu instid0(SALU_CYCLE_1)
	s_or_b32 exec_lo, exec_lo, s65
	v_readlane_b32 s51, v104, 5
	s_and_saveexec_b32 s65, s51
	s_cbranch_execz .LBB66_775
; %bb.774:                              ;   in Loop: Header=BB66_3 Depth=1
	ds_load_b64 v[38:39], v5 offset:7800
	s_wait_dscnt 0x0
	v_pk_mul_f32 v[40:41], v[36:37], v[38:39] op_sel:[1,1] op_sel_hi:[1,0]
	s_delay_alu instid0(VALU_DEP_1) | instskip(SKIP_1) | instid1(VALU_DEP_2)
	v_pk_fma_f32 v[94:95], v[36:37], v[38:39], v[40:41] op_sel_hi:[0,1,1]
	v_pk_fma_f32 v[36:37], v[36:37], v[38:39], v[40:41] neg_lo:[0,0,1] neg_hi:[0,0,1]
	v_mov_b32_e32 v37, v95
	s_delay_alu instid0(VALU_DEP_1)
	v_pk_add_f32 v[38:39], v[36:37], 0 neg_lo:[1,1] neg_hi:[1,1]
	ds_store_b64 v61, v[38:39]
.LBB66_775:                             ;   in Loop: Header=BB66_3 Depth=1
	s_or_b32 exec_lo, exec_lo, s65
	s_wait_loadcnt_dscnt 0x0
	s_barrier_signal -1
	s_barrier_wait -1
	s_and_saveexec_b32 s65, s52
	s_cbranch_execz .LBB66_777
; %bb.776:                              ;   in Loop: Header=BB66_3 Depth=1
	ds_load_b64 v[38:39], v62 offset:7680
	ds_load_b64 v[40:41], v61
	s_wait_dscnt 0x0
	v_pk_mul_f32 v[94:95], v[40:41], v[38:39] op_sel:[1,1] op_sel_hi:[0,1]
	s_delay_alu instid0(VALU_DEP_1) | instskip(SKIP_1) | instid1(VALU_DEP_2)
	v_pk_fma_f32 v[96:97], v[40:41], v[38:39], v[94:95] op_sel_hi:[1,0,1]
	v_pk_fma_f32 v[38:39], v[40:41], v[38:39], v[94:95] neg_lo:[0,0,1] neg_hi:[0,0,1]
	v_mov_b32_e32 v39, v97
	s_delay_alu instid0(VALU_DEP_1)
	v_pk_add_f32 v[36:37], v[36:37], v[38:39] neg_lo:[0,1] neg_hi:[0,1]
.LBB66_777:                             ;   in Loop: Header=BB66_3 Depth=1
	s_or_b32 exec_lo, exec_lo, s65
	s_barrier_signal -1
	s_barrier_wait -1
	s_and_saveexec_b32 s65, s53
	s_cbranch_execz .LBB66_779
; %bb.778:                              ;   in Loop: Header=BB66_3 Depth=1
	ds_load_b64 v[38:39], v5 offset:7280
	s_wait_dscnt 0x0
	v_pk_mul_f32 v[40:41], v[36:37], v[38:39] op_sel:[1,1] op_sel_hi:[1,0]
	s_delay_alu instid0(VALU_DEP_1) | instskip(SKIP_1) | instid1(VALU_DEP_2)
	v_pk_fma_f32 v[94:95], v[36:37], v[38:39], v[40:41] op_sel_hi:[0,1,1]
	v_pk_fma_f32 v[36:37], v[36:37], v[38:39], v[40:41] neg_lo:[0,0,1] neg_hi:[0,0,1]
	v_mov_b32_e32 v37, v95
	s_delay_alu instid0(VALU_DEP_1)
	v_pk_add_f32 v[38:39], v[36:37], 0 neg_lo:[1,1] neg_hi:[1,1]
	ds_store_b64 v61, v[38:39]
.LBB66_779:                             ;   in Loop: Header=BB66_3 Depth=1
	s_or_b32 exec_lo, exec_lo, s65
	s_wait_dscnt 0x0
	s_barrier_signal -1
	s_barrier_wait -1
	s_and_saveexec_b32 s65, s54
	s_cbranch_execz .LBB66_781
; %bb.780:                              ;   in Loop: Header=BB66_3 Depth=1
	ds_load_b64 v[38:39], v62 offset:7168
	ds_load_b64 v[40:41], v61
	s_wait_dscnt 0x0
	v_pk_mul_f32 v[94:95], v[40:41], v[38:39] op_sel:[1,1] op_sel_hi:[0,1]
	s_delay_alu instid0(VALU_DEP_1) | instskip(SKIP_1) | instid1(VALU_DEP_2)
	v_pk_fma_f32 v[96:97], v[40:41], v[38:39], v[94:95] op_sel_hi:[1,0,1]
	v_pk_fma_f32 v[38:39], v[40:41], v[38:39], v[94:95] neg_lo:[0,0,1] neg_hi:[0,0,1]
	v_mov_b32_e32 v39, v97
	s_delay_alu instid0(VALU_DEP_1)
	v_pk_add_f32 v[36:37], v[36:37], v[38:39] neg_lo:[0,1] neg_hi:[0,1]
.LBB66_781:                             ;   in Loop: Header=BB66_3 Depth=1
	s_or_b32 exec_lo, exec_lo, s65
	s_barrier_signal -1
	s_barrier_wait -1
	s_and_saveexec_b32 s65, s55
	s_cbranch_execz .LBB66_783
; %bb.782:                              ;   in Loop: Header=BB66_3 Depth=1
	ds_load_b64 v[38:39], v5 offset:6760
	s_wait_dscnt 0x0
	v_pk_mul_f32 v[40:41], v[36:37], v[38:39] op_sel:[1,1] op_sel_hi:[1,0]
	s_delay_alu instid0(VALU_DEP_1) | instskip(SKIP_1) | instid1(VALU_DEP_2)
	v_pk_fma_f32 v[94:95], v[36:37], v[38:39], v[40:41] op_sel_hi:[0,1,1]
	v_pk_fma_f32 v[36:37], v[36:37], v[38:39], v[40:41] neg_lo:[0,0,1] neg_hi:[0,0,1]
	v_mov_b32_e32 v37, v95
	s_delay_alu instid0(VALU_DEP_1)
	v_pk_add_f32 v[38:39], v[36:37], 0 neg_lo:[1,1] neg_hi:[1,1]
	ds_store_b64 v61, v[38:39]
.LBB66_783:                             ;   in Loop: Header=BB66_3 Depth=1
	s_or_b32 exec_lo, exec_lo, s65
	s_wait_dscnt 0x0
	s_barrier_signal -1
	s_barrier_wait -1
	s_and_saveexec_b32 s65, s56
	s_cbranch_execz .LBB66_785
; %bb.784:                              ;   in Loop: Header=BB66_3 Depth=1
	ds_load_b64 v[38:39], v62 offset:6656
	ds_load_b64 v[40:41], v61
	s_wait_dscnt 0x0
	v_pk_mul_f32 v[94:95], v[40:41], v[38:39] op_sel:[1,1] op_sel_hi:[0,1]
	s_delay_alu instid0(VALU_DEP_1) | instskip(SKIP_1) | instid1(VALU_DEP_2)
	v_pk_fma_f32 v[96:97], v[40:41], v[38:39], v[94:95] op_sel_hi:[1,0,1]
	v_pk_fma_f32 v[38:39], v[40:41], v[38:39], v[94:95] neg_lo:[0,0,1] neg_hi:[0,0,1]
	v_mov_b32_e32 v39, v97
	s_delay_alu instid0(VALU_DEP_1)
	v_pk_add_f32 v[36:37], v[36:37], v[38:39] neg_lo:[0,1] neg_hi:[0,1]
.LBB66_785:                             ;   in Loop: Header=BB66_3 Depth=1
	s_or_b32 exec_lo, exec_lo, s65
	s_delay_alu instid0(VALU_DEP_1)
	v_dual_mov_b32 v38, v37 :: v_dual_mov_b32 v39, v36
	s_barrier_signal -1
	s_barrier_wait -1
	s_and_saveexec_b32 s65, s57
	s_cbranch_execz .LBB66_787
; %bb.786:                              ;   in Loop: Header=BB66_3 Depth=1
	ds_load_b64 v[40:41], v5 offset:6240
	s_wait_dscnt 0x0
	v_dual_mul_f32 v4, v39, v41 :: v_dual_mul_f32 v42, v37, v41
	s_delay_alu instid0(VALU_DEP_1) | instskip(NEXT) | instid1(VALU_DEP_2)
	v_pk_fma_f32 v[38:39], v[38:39], v[40:41], v[4:5] op_sel_hi:[1,1,0]
	v_pk_fma_f32 v[36:37], v[36:37], v[40:41], v[42:43] op_sel_hi:[1,1,0] neg_lo:[0,0,1] neg_hi:[0,0,1]
	s_delay_alu instid0(VALU_DEP_1) | instskip(NEXT) | instid1(VALU_DEP_1)
	v_dual_mov_b32 v37, v38 :: v_dual_mov_b32 v39, v36
	v_pk_add_f32 v[40:41], v[36:37], 0 neg_lo:[1,1] neg_hi:[1,1]
	ds_store_b64 v61, v[40:41]
.LBB66_787:                             ;   in Loop: Header=BB66_3 Depth=1
	s_or_b32 exec_lo, exec_lo, s65
	s_wait_dscnt 0x0
	s_barrier_signal -1
	s_barrier_wait -1
	s_and_saveexec_b32 s65, s58
	s_cbranch_execz .LBB66_789
; %bb.788:                              ;   in Loop: Header=BB66_3 Depth=1
	ds_load_b64 v[36:37], v62 offset:6144
	ds_load_b64 v[40:41], v61
	s_wait_dscnt 0x0
	v_dual_mul_f32 v4, v41, v37 :: v_dual_mul_f32 v94, v40, v37
	s_delay_alu instid0(VALU_DEP_1) | instskip(NEXT) | instid1(VALU_DEP_1)
	v_dual_fma_f32 v95, v40, v36, -v4 :: v_dual_fmac_f32 v94, v41, v36
	v_pk_add_f32 v[38:39], v[38:39], v[94:95] neg_lo:[0,1] neg_hi:[0,1]
.LBB66_789:                             ;   in Loop: Header=BB66_3 Depth=1
	s_or_b32 exec_lo, exec_lo, s65
	s_barrier_signal -1
	s_barrier_wait -1
	s_and_saveexec_b32 s65, s59
	s_cbranch_execz .LBB66_791
; %bb.790:                              ;   in Loop: Header=BB66_3 Depth=1
	ds_load_b64 v[36:37], v5 offset:5720
	s_wait_dscnt 0x0
	v_pk_mul_f32 v[40:41], v[38:39], v[36:37] op_sel_hi:[0,1]
	s_delay_alu instid0(VALU_DEP_1) | instskip(SKIP_1) | instid1(VALU_DEP_2)
	v_pk_fma_f32 v[94:95], v[38:39], v[36:37], v[40:41] op_sel:[1,1,0] op_sel_hi:[1,0,1] neg_lo:[0,0,1] neg_hi:[0,0,1]
	v_pk_fma_f32 v[38:39], v[38:39], v[36:37], v[40:41] op_sel:[1,1,0] op_sel_hi:[1,0,1]
	v_mov_b32_e32 v39, v95
	s_delay_alu instid0(VALU_DEP_2)
	v_xor_b32_e32 v37, 0x80000000, v38
	v_xor_b32_e32 v36, 0x80000000, v95
	ds_store_b64 v61, v[36:37]
.LBB66_791:                             ;   in Loop: Header=BB66_3 Depth=1
	s_or_b32 exec_lo, exec_lo, s65
	s_wait_dscnt 0x0
	s_barrier_signal -1
	s_barrier_wait -1
	s_and_saveexec_b32 s65, s60
	s_cbranch_execz .LBB66_793
; %bb.792:                              ;   in Loop: Header=BB66_3 Depth=1
	ds_load_b64 v[36:37], v62 offset:5632
	ds_load_b64 v[40:41], v61
	s_wait_dscnt 0x0
	v_pk_mul_f32 v[94:95], v[40:41], v[36:37] op_sel:[0,1]
	s_delay_alu instid0(VALU_DEP_1) | instskip(SKIP_1) | instid1(VALU_DEP_2)
	v_pk_fma_f32 v[96:97], v[40:41], v[36:37], v[94:95] op_sel:[1,0,0] op_sel_hi:[0,0,1] neg_lo:[0,0,1] neg_hi:[0,0,1]
	v_pk_fma_f32 v[36:37], v[40:41], v[36:37], v[94:95] op_sel:[1,0,0] op_sel_hi:[0,1,1]
	v_mov_b32_e32 v37, v97
	s_delay_alu instid0(VALU_DEP_1)
	v_pk_add_f32 v[38:39], v[38:39], v[36:37] neg_lo:[0,1] neg_hi:[0,1]
.LBB66_793:                             ;   in Loop: Header=BB66_3 Depth=1
	s_or_b32 exec_lo, exec_lo, s65
	s_barrier_signal -1
	s_barrier_wait -1
	s_and_saveexec_b32 s65, s61
	s_cbranch_execz .LBB66_795
; %bb.794:                              ;   in Loop: Header=BB66_3 Depth=1
	ds_load_b64 v[36:37], v5 offset:5200
	s_wait_dscnt 0x0
	v_pk_mul_f32 v[40:41], v[38:39], v[36:37] op_sel_hi:[0,1]
	s_delay_alu instid0(VALU_DEP_1) | instskip(SKIP_1) | instid1(VALU_DEP_2)
	v_pk_fma_f32 v[94:95], v[38:39], v[36:37], v[40:41] op_sel:[1,1,0] op_sel_hi:[1,0,1] neg_lo:[0,0,1] neg_hi:[0,0,1]
	v_pk_fma_f32 v[38:39], v[38:39], v[36:37], v[40:41] op_sel:[1,1,0] op_sel_hi:[1,0,1]
	v_mov_b32_e32 v39, v95
	s_delay_alu instid0(VALU_DEP_2)
	v_xor_b32_e32 v37, 0x80000000, v38
	v_xor_b32_e32 v36, 0x80000000, v95
	ds_store_b64 v61, v[36:37]
.LBB66_795:                             ;   in Loop: Header=BB66_3 Depth=1
	s_or_b32 exec_lo, exec_lo, s65
	s_wait_dscnt 0x0
	s_barrier_signal -1
	s_barrier_wait -1
	s_and_saveexec_b32 s65, s62
	s_cbranch_execz .LBB66_797
; %bb.796:                              ;   in Loop: Header=BB66_3 Depth=1
	ds_load_b64 v[36:37], v62 offset:5120
	ds_load_b64 v[40:41], v61
	s_wait_dscnt 0x0
	v_pk_mul_f32 v[94:95], v[40:41], v[36:37] op_sel:[0,1]
	s_delay_alu instid0(VALU_DEP_1) | instskip(SKIP_1) | instid1(VALU_DEP_2)
	v_pk_fma_f32 v[96:97], v[40:41], v[36:37], v[94:95] op_sel:[1,0,0] op_sel_hi:[0,0,1] neg_lo:[0,0,1] neg_hi:[0,0,1]
	v_pk_fma_f32 v[36:37], v[40:41], v[36:37], v[94:95] op_sel:[1,0,0] op_sel_hi:[0,1,1]
	v_mov_b32_e32 v37, v97
	s_delay_alu instid0(VALU_DEP_1)
	v_pk_add_f32 v[38:39], v[38:39], v[36:37] neg_lo:[0,1] neg_hi:[0,1]
.LBB66_797:                             ;   in Loop: Header=BB66_3 Depth=1
	;; [unrolled: 36-line block ×3, first 2 shown]
	s_or_b32 exec_lo, exec_lo, s65
	s_delay_alu instid0(VALU_DEP_1)
	v_dual_mov_b32 v36, v39 :: v_dual_mov_b32 v37, v38
	s_barrier_signal -1
	s_barrier_wait -1
	s_and_saveexec_b32 s65, s13
	s_cbranch_execz .LBB66_803
; %bb.802:                              ;   in Loop: Header=BB66_3 Depth=1
	ds_load_b64 v[40:41], v5 offset:4160
	s_wait_dscnt 0x0
	v_dual_mul_f32 v4, v38, v40 :: v_dual_mul_f32 v42, v37, v41
	s_delay_alu instid0(VALU_DEP_1) | instskip(NEXT) | instid1(VALU_DEP_2)
	v_pk_fma_f32 v[38:39], v[38:39], v[40:41], v[4:5] op_sel_hi:[1,1,0]
	v_pk_fma_f32 v[36:37], v[36:37], v[40:41], v[42:43] op_sel_hi:[1,1,0] neg_lo:[0,0,1] neg_hi:[0,0,1]
	s_delay_alu instid0(VALU_DEP_2) | instskip(NEXT) | instid1(VALU_DEP_1)
	v_mov_b32_e32 v37, v39
	v_pk_add_f32 v[38:39], v[36:37], 0 neg_lo:[1,1] neg_hi:[1,1]
	ds_store_b64 v61, v[38:39]
.LBB66_803:                             ;   in Loop: Header=BB66_3 Depth=1
	s_or_b32 exec_lo, exec_lo, s65
	s_wait_dscnt 0x0
	s_barrier_signal -1
	s_barrier_wait -1
	s_and_saveexec_b32 s65, s23
	s_cbranch_execz .LBB66_805
; %bb.804:                              ;   in Loop: Header=BB66_3 Depth=1
	ds_load_b64 v[38:39], v62 offset:4096
	ds_load_b64 v[40:41], v61
	s_wait_dscnt 0x0
	v_dual_mul_f32 v4, v41, v39 :: v_dual_mul_f32 v95, v40, v39
	s_delay_alu instid0(VALU_DEP_1) | instskip(NEXT) | instid1(VALU_DEP_1)
	v_dual_fma_f32 v94, v40, v38, -v4 :: v_dual_fmac_f32 v95, v41, v38
	v_pk_add_f32 v[36:37], v[36:37], v[94:95] neg_lo:[0,1] neg_hi:[0,1]
.LBB66_805:                             ;   in Loop: Header=BB66_3 Depth=1
	s_or_b32 exec_lo, exec_lo, s65
	s_barrier_signal -1
	s_barrier_wait -1
	s_and_saveexec_b32 s65, s25
	s_cbranch_execz .LBB66_807
; %bb.806:                              ;   in Loop: Header=BB66_3 Depth=1
	ds_load_b64 v[38:39], v5 offset:3640
	s_wait_dscnt 0x0
	v_pk_mul_f32 v[40:41], v[36:37], v[38:39] op_sel:[1,1] op_sel_hi:[1,0]
	s_delay_alu instid0(VALU_DEP_1) | instskip(SKIP_1) | instid1(VALU_DEP_2)
	v_pk_fma_f32 v[94:95], v[36:37], v[38:39], v[40:41] op_sel_hi:[0,1,1]
	v_pk_fma_f32 v[36:37], v[36:37], v[38:39], v[40:41] neg_lo:[0,0,1] neg_hi:[0,0,1]
	v_mov_b32_e32 v37, v95
	s_delay_alu instid0(VALU_DEP_1)
	v_pk_add_f32 v[38:39], v[36:37], 0 neg_lo:[1,1] neg_hi:[1,1]
	ds_store_b64 v61, v[38:39]
.LBB66_807:                             ;   in Loop: Header=BB66_3 Depth=1
	s_or_b32 exec_lo, exec_lo, s65
	s_wait_dscnt 0x0
	s_barrier_signal -1
	s_barrier_wait -1
	s_and_saveexec_b32 s65, s27
	s_cbranch_execz .LBB66_809
; %bb.808:                              ;   in Loop: Header=BB66_3 Depth=1
	ds_load_b64 v[38:39], v62 offset:3584
	ds_load_b64 v[40:41], v61
	s_wait_dscnt 0x0
	v_pk_mul_f32 v[94:95], v[40:41], v[38:39] op_sel:[1,1] op_sel_hi:[0,1]
	s_delay_alu instid0(VALU_DEP_1) | instskip(SKIP_1) | instid1(VALU_DEP_2)
	v_pk_fma_f32 v[96:97], v[40:41], v[38:39], v[94:95] op_sel_hi:[1,0,1]
	v_pk_fma_f32 v[38:39], v[40:41], v[38:39], v[94:95] neg_lo:[0,0,1] neg_hi:[0,0,1]
	v_mov_b32_e32 v39, v97
	s_delay_alu instid0(VALU_DEP_1)
	v_pk_add_f32 v[36:37], v[36:37], v[38:39] neg_lo:[0,1] neg_hi:[0,1]
.LBB66_809:                             ;   in Loop: Header=BB66_3 Depth=1
	s_or_b32 exec_lo, exec_lo, s65
	s_barrier_signal -1
	s_barrier_wait -1
	s_and_saveexec_b32 s65, s29
	s_cbranch_execz .LBB66_811
; %bb.810:                              ;   in Loop: Header=BB66_3 Depth=1
	ds_load_b64 v[38:39], v5 offset:3120
	s_wait_dscnt 0x0
	v_pk_mul_f32 v[40:41], v[36:37], v[38:39] op_sel:[1,1] op_sel_hi:[1,0]
	s_delay_alu instid0(VALU_DEP_1) | instskip(SKIP_1) | instid1(VALU_DEP_2)
	v_pk_fma_f32 v[94:95], v[36:37], v[38:39], v[40:41] op_sel_hi:[0,1,1]
	v_pk_fma_f32 v[36:37], v[36:37], v[38:39], v[40:41] neg_lo:[0,0,1] neg_hi:[0,0,1]
	v_mov_b32_e32 v37, v95
	s_delay_alu instid0(VALU_DEP_1)
	v_pk_add_f32 v[38:39], v[36:37], 0 neg_lo:[1,1] neg_hi:[1,1]
	ds_store_b64 v61, v[38:39]
.LBB66_811:                             ;   in Loop: Header=BB66_3 Depth=1
	s_or_b32 exec_lo, exec_lo, s65
	s_wait_dscnt 0x0
	s_barrier_signal -1
	s_barrier_wait -1
	s_and_saveexec_b32 s65, s31
	s_cbranch_execz .LBB66_813
; %bb.812:                              ;   in Loop: Header=BB66_3 Depth=1
	ds_load_b64 v[38:39], v62 offset:3072
	ds_load_b64 v[40:41], v61
	s_wait_dscnt 0x0
	v_pk_mul_f32 v[94:95], v[40:41], v[38:39] op_sel:[1,1] op_sel_hi:[0,1]
	s_delay_alu instid0(VALU_DEP_1) | instskip(SKIP_1) | instid1(VALU_DEP_2)
	v_pk_fma_f32 v[96:97], v[40:41], v[38:39], v[94:95] op_sel_hi:[1,0,1]
	v_pk_fma_f32 v[38:39], v[40:41], v[38:39], v[94:95] neg_lo:[0,0,1] neg_hi:[0,0,1]
	v_mov_b32_e32 v39, v97
	s_delay_alu instid0(VALU_DEP_1)
	v_pk_add_f32 v[36:37], v[36:37], v[38:39] neg_lo:[0,1] neg_hi:[0,1]
.LBB66_813:                             ;   in Loop: Header=BB66_3 Depth=1
	;; [unrolled: 35-line block ×3, first 2 shown]
	s_or_b32 exec_lo, exec_lo, s65
	s_barrier_signal -1
	s_barrier_wait -1
	s_and_saveexec_b32 s65, s83
	s_cbranch_execz .LBB66_819
; %bb.818:                              ;   in Loop: Header=BB66_3 Depth=1
	ds_load_b64 v[38:39], v5 offset:2080
	s_wait_dscnt 0x0
	v_pk_mul_f32 v[40:41], v[36:37], v[38:39]
	v_pk_mul_f32 v[36:37], v[36:37], v[38:39] op_sel:[1,0] op_sel_hi:[0,1]
	s_delay_alu instid0(VALU_DEP_1) | instskip(NEXT) | instid1(VALU_DEP_3)
	v_dual_mov_b32 v38, v40 :: v_dual_mov_b32 v39, v36
	v_mov_b32_e32 v36, v41
	s_delay_alu instid0(VALU_DEP_1) | instskip(SKIP_1) | instid1(VALU_DEP_2)
	v_pk_add_f32 v[40:41], v[38:39], v[36:37]
	v_pk_add_f32 v[36:37], v[38:39], v[36:37] neg_lo:[0,1] neg_hi:[0,1]
	v_mov_b32_e32 v37, v41
	s_delay_alu instid0(VALU_DEP_1)
	v_pk_add_f32 v[38:39], v[36:37], 0 neg_lo:[1,1] neg_hi:[1,1]
	ds_store_b64 v61, v[38:39]
.LBB66_819:                             ;   in Loop: Header=BB66_3 Depth=1
	s_or_b32 exec_lo, exec_lo, s65
	s_wait_dscnt 0x0
	s_barrier_signal -1
	s_barrier_wait -1
	s_and_saveexec_b32 s65, s80
	s_cbranch_execz .LBB66_821
; %bb.820:                              ;   in Loop: Header=BB66_3 Depth=1
	ds_load_b64 v[38:39], v62 offset:2048
	ds_load_b64 v[40:41], v61
	s_wait_dscnt 0x0
	v_dual_mul_f32 v4, v41, v39 :: v_dual_mul_f32 v39, v40, v39
	s_delay_alu instid0(VALU_DEP_1) | instskip(NEXT) | instid1(VALU_DEP_1)
	v_dual_fma_f32 v4, v40, v38, -v4 :: v_dual_fmac_f32 v39, v41, v38
	v_dual_sub_f32 v36, v36, v4 :: v_dual_sub_f32 v37, v37, v39
.LBB66_821:                             ;   in Loop: Header=BB66_3 Depth=1
	s_or_b32 exec_lo, exec_lo, s65
	s_barrier_signal -1
	s_barrier_wait -1
	s_and_saveexec_b32 s65, s81
	s_cbranch_execz .LBB66_823
; %bb.822:                              ;   in Loop: Header=BB66_3 Depth=1
	ds_load_b64 v[38:39], v5 offset:1560
	s_wait_dscnt 0x0
	v_dual_mul_f32 v4, v37, v38 :: v_dual_mul_f32 v40, v37, v39
	s_delay_alu instid0(VALU_DEP_1) | instskip(NEXT) | instid1(VALU_DEP_2)
	v_pk_fma_f32 v[94:95], v[36:37], v[38:39], v[4:5] op_sel:[1,0,0] op_sel_hi:[0,1,0]
	v_pk_fma_f32 v[36:37], v[36:37], v[38:39], v[40:41] op_sel_hi:[1,1,0] neg_lo:[0,0,1] neg_hi:[0,0,1]
	s_delay_alu instid0(VALU_DEP_2) | instskip(NEXT) | instid1(VALU_DEP_1)
	v_mov_b32_e32 v37, v95
	v_pk_add_f32 v[38:39], v[36:37], 0 neg_lo:[1,1] neg_hi:[1,1]
	ds_store_b64 v61, v[38:39]
.LBB66_823:                             ;   in Loop: Header=BB66_3 Depth=1
	s_or_b32 exec_lo, exec_lo, s65
	s_wait_dscnt 0x0
	s_barrier_signal -1
	s_barrier_wait -1
	s_and_saveexec_b32 s65, s24
	s_cbranch_execz .LBB66_825
; %bb.824:                              ;   in Loop: Header=BB66_3 Depth=1
	ds_load_b64 v[38:39], v62 offset:1536
	ds_load_b64 v[40:41], v61
	s_wait_dscnt 0x0
	v_pk_mul_f32 v[94:95], v[40:41], v[38:39] op_sel:[1,1] op_sel_hi:[0,1]
	s_delay_alu instid0(VALU_DEP_1) | instskip(SKIP_1) | instid1(VALU_DEP_2)
	v_pk_fma_f32 v[96:97], v[40:41], v[38:39], v[94:95] op_sel_hi:[1,0,1]
	v_pk_fma_f32 v[38:39], v[40:41], v[38:39], v[94:95] neg_lo:[0,0,1] neg_hi:[0,0,1]
	v_mov_b32_e32 v39, v97
	s_delay_alu instid0(VALU_DEP_1)
	v_pk_add_f32 v[36:37], v[36:37], v[38:39] neg_lo:[0,1] neg_hi:[0,1]
.LBB66_825:                             ;   in Loop: Header=BB66_3 Depth=1
	s_or_b32 exec_lo, exec_lo, s65
	s_barrier_signal -1
	s_barrier_wait -1
	s_and_saveexec_b32 s65, s26
	s_cbranch_execz .LBB66_827
; %bb.826:                              ;   in Loop: Header=BB66_3 Depth=1
	ds_load_b64 v[38:39], v5 offset:1040
	s_wait_dscnt 0x0
	v_pk_mul_f32 v[40:41], v[36:37], v[38:39] op_sel:[1,1] op_sel_hi:[1,0]
	s_delay_alu instid0(VALU_DEP_1) | instskip(SKIP_1) | instid1(VALU_DEP_2)
	v_pk_fma_f32 v[94:95], v[36:37], v[38:39], v[40:41] op_sel_hi:[0,1,1]
	v_pk_fma_f32 v[36:37], v[36:37], v[38:39], v[40:41] neg_lo:[0,0,1] neg_hi:[0,0,1]
	v_mov_b32_e32 v37, v95
	s_delay_alu instid0(VALU_DEP_1)
	v_pk_add_f32 v[38:39], v[36:37], 0 neg_lo:[1,1] neg_hi:[1,1]
	ds_store_b64 v61, v[38:39]
.LBB66_827:                             ;   in Loop: Header=BB66_3 Depth=1
	s_or_b32 exec_lo, exec_lo, s65
	s_wait_dscnt 0x0
	s_barrier_signal -1
	s_barrier_wait -1
	s_and_saveexec_b32 s65, s11
	s_cbranch_execz .LBB66_829
; %bb.828:                              ;   in Loop: Header=BB66_3 Depth=1
	ds_load_b64 v[38:39], v62 offset:1024
	ds_load_b64 v[40:41], v61
	s_wait_dscnt 0x0
	v_pk_mul_f32 v[94:95], v[40:41], v[38:39] op_sel:[1,1] op_sel_hi:[0,1]
	s_delay_alu instid0(VALU_DEP_1) | instskip(SKIP_1) | instid1(VALU_DEP_2)
	v_pk_fma_f32 v[96:97], v[40:41], v[38:39], v[94:95] op_sel_hi:[1,0,1]
	v_pk_fma_f32 v[38:39], v[40:41], v[38:39], v[94:95] neg_lo:[0,0,1] neg_hi:[0,0,1]
	v_mov_b32_e32 v39, v97
	s_delay_alu instid0(VALU_DEP_1)
	v_pk_add_f32 v[36:37], v[36:37], v[38:39] neg_lo:[0,1] neg_hi:[0,1]
.LBB66_829:                             ;   in Loop: Header=BB66_3 Depth=1
	s_or_b32 exec_lo, exec_lo, s65
	s_barrier_signal -1
	s_barrier_wait -1
	s_and_saveexec_b32 s65, s10
	s_cbranch_execz .LBB66_831
; %bb.830:                              ;   in Loop: Header=BB66_3 Depth=1
	ds_load_b64 v[38:39], v5 offset:520
	s_wait_dscnt 0x0
	v_pk_mul_f32 v[40:41], v[36:37], v[38:39] op_sel:[1,1] op_sel_hi:[1,0]
	s_delay_alu instid0(VALU_DEP_1) | instskip(SKIP_1) | instid1(VALU_DEP_2)
	v_pk_fma_f32 v[94:95], v[36:37], v[38:39], v[40:41] op_sel_hi:[0,1,1]
	v_pk_fma_f32 v[36:37], v[36:37], v[38:39], v[40:41] neg_lo:[0,0,1] neg_hi:[0,0,1]
	v_mov_b32_e32 v37, v95
	s_delay_alu instid0(VALU_DEP_1)
	v_pk_add_f32 v[38:39], v[36:37], 0 neg_lo:[1,1] neg_hi:[1,1]
	ds_store_b64 v61, v[38:39]
.LBB66_831:                             ;   in Loop: Header=BB66_3 Depth=1
	s_or_b32 exec_lo, exec_lo, s65
	s_wait_dscnt 0x0
	s_barrier_signal -1
	s_barrier_wait -1
	s_and_saveexec_b32 s65, s28
	s_cbranch_execz .LBB66_833
; %bb.832:                              ;   in Loop: Header=BB66_3 Depth=1
	ds_load_b64 v[38:39], v5 offset:512
	ds_load_b64 v[40:41], v61
	s_wait_dscnt 0x0
	v_pk_mul_f32 v[94:95], v[40:41], v[38:39] op_sel:[1,1] op_sel_hi:[0,1]
	s_delay_alu instid0(VALU_DEP_1) | instskip(SKIP_1) | instid1(VALU_DEP_2)
	v_pk_fma_f32 v[96:97], v[40:41], v[38:39], v[94:95] op_sel_hi:[1,0,1]
	v_pk_fma_f32 v[38:39], v[40:41], v[38:39], v[94:95] neg_lo:[0,0,1] neg_hi:[0,0,1]
	v_mov_b32_e32 v39, v97
	s_delay_alu instid0(VALU_DEP_1)
	v_pk_add_f32 v[36:37], v[36:37], v[38:39] neg_lo:[0,1] neg_hi:[0,1]
.LBB66_833:                             ;   in Loop: Header=BB66_3 Depth=1
	s_or_b32 exec_lo, exec_lo, s65
	s_barrier_signal -1
	s_barrier_wait -1
	s_and_saveexec_b32 s65, s28
	s_cbranch_execz .LBB66_835
; %bb.834:                              ;   in Loop: Header=BB66_3 Depth=1
	ds_load_b64 v[38:39], v5
	s_wait_dscnt 0x0
	v_pk_mul_f32 v[40:41], v[36:37], v[38:39] op_sel:[1,1] op_sel_hi:[1,0]
	s_delay_alu instid0(VALU_DEP_1) | instskip(SKIP_1) | instid1(VALU_DEP_2)
	v_pk_fma_f32 v[94:95], v[36:37], v[38:39], v[40:41] op_sel_hi:[0,1,1]
	v_pk_fma_f32 v[36:37], v[36:37], v[38:39], v[40:41] neg_lo:[0,0,1] neg_hi:[0,0,1]
	v_mov_b32_e32 v37, v95
	s_delay_alu instid0(VALU_DEP_1)
	v_pk_add_f32 v[38:39], v[36:37], 0 neg_lo:[1,1] neg_hi:[1,1]
	ds_store_b64 v61, v[38:39]
.LBB66_835:                             ;   in Loop: Header=BB66_3 Depth=1
	s_or_b32 exec_lo, exec_lo, s65
	s_wait_dscnt 0x0
	s_barrier_signal -1
	s_barrier_wait -1
	s_barrier_signal -1
	s_barrier_wait -1
	s_and_saveexec_b32 s65, s4
; %bb.836:                              ;   in Loop: Header=BB66_3 Depth=1
	ds_store_b64 v64, v[36:37] offset:15872
; %bb.837:                              ;   in Loop: Header=BB66_3 Depth=1
	s_or_b32 exec_lo, exec_lo, s65
	s_wait_dscnt 0x0
	s_barrier_signal -1
	s_barrier_wait -1
	s_barrier_signal -1
	s_barrier_wait -1
	s_and_saveexec_b32 s65, s30
	s_cbranch_execz .LBB66_839
; %bb.838:                              ;   in Loop: Header=BB66_3 Depth=1
	ds_load_b64 v[36:37], v49 offset:8192
	s_wait_dscnt 0x0
	ds_store_b64 v54, v[36:37] offset:128
	ds_load_b64 v[36:37], v49 offset:8200
	s_wait_dscnt 0x0
	ds_store_b64 v54, v[36:37] offset:640
	;; [unrolled: 3-line block ×16, first 2 shown]
.LBB66_839:                             ;   in Loop: Header=BB66_3 Depth=1
	s_or_b32 exec_lo, exec_lo, s65
	s_wait_dscnt 0x0
	s_barrier_signal -1
	s_barrier_wait -1
	s_and_saveexec_b32 s65, s14
	s_cbranch_execz .LBB66_841
; %bb.840:                              ;   in Loop: Header=BB66_3 Depth=1
	v_add_nc_u32_e64 v4, 0x70, 0
	ds_load_b64 v[40:41], v5 offset:7800
	ds_load_2addr_stride64_b64 v[36:39], v4 offset0:14 offset1:15
	s_wait_dscnt 0x0
	v_dual_mul_f32 v42, v41, v37 :: v_dual_mul_f32 v4, v40, v37
	s_delay_alu instid0(VALU_DEP_1) | instskip(NEXT) | instid1(VALU_DEP_1)
	v_xor_b32_e32 v42, 0x80000000, v42
	v_dual_fmac_f32 v4, v41, v36 :: v_dual_fmac_f32 v42, v40, v36
	s_delay_alu instid0(VALU_DEP_1) | instskip(SKIP_1) | instid1(VALU_DEP_2)
	v_pk_mul_f32 v[36:37], v[4:5], v[38:39] op_sel:[0,1] op_sel_hi:[0,0]
	v_add_nc_u32_e64 v4, 0x1800, 0
	v_pk_fma_f32 v[40:41], v[42:43], v[38:39], v[36:37] op_sel_hi:[0,1,1]
	v_pk_fma_f32 v[36:37], v[42:43], v[38:39], v[36:37] neg_lo:[0,0,1] neg_hi:[0,0,1]
	s_delay_alu instid0(VALU_DEP_2)
	v_mov_b32_e32 v37, v41
	ds_store_2addr_b64 v4, v[36:37], v[36:37] offset0:143 offset1:206
.LBB66_841:                             ;   in Loop: Header=BB66_3 Depth=1
	s_or_b32 exec_lo, exec_lo, s65
	v_dual_mov_b32 v36, 0 :: v_dual_mov_b32 v37, 0
	s_wait_dscnt 0x0
	s_barrier_signal -1
	s_barrier_wait -1
	global_wb scope:SCOPE_DEV
	s_wait_storecnt 0x0
	global_inv scope:SCOPE_DEV
	s_and_saveexec_b32 s65, s0
	s_cbranch_execz .LBB66_845
; %bb.842:                              ;   in Loop: Header=BB66_3 Depth=1
	ds_load_b64 v[36:37], v45 offset:7264
	ds_load_b64 v[38:39], v46 offset:7792
	s_wait_dscnt 0x0
	v_pk_mul_f32 v[40:41], v[38:39], v[36:37] op_sel:[1,1] op_sel_hi:[0,1]
	s_delay_alu instid0(VALU_DEP_1) | instskip(SKIP_1) | instid1(VALU_DEP_2)
	v_pk_fma_f32 v[94:95], v[38:39], v[36:37], v[40:41] op_sel_hi:[1,0,1]
	v_pk_fma_f32 v[36:37], v[38:39], v[36:37], v[40:41] neg_lo:[0,0,1] neg_hi:[0,0,1]
	v_mov_b32_e32 v37, v95
	s_delay_alu instid0(VALU_DEP_1)
	v_pk_add_f32 v[36:37], v[36:37], 0 op_sel_hi:[1,0]
	s_and_saveexec_b32 s68, s15
	s_cbranch_execz .LBB66_844
; %bb.843:                              ;   in Loop: Header=BB66_3 Depth=1
	ds_load_b64 v[38:39], v47 offset:7776
	ds_load_b64 v[40:41], v5 offset:7800
	s_wait_dscnt 0x0
	v_pk_mul_f32 v[94:95], v[40:41], v[38:39] op_sel:[1,1] op_sel_hi:[0,1]
	s_delay_alu instid0(VALU_DEP_1) | instskip(SKIP_1) | instid1(VALU_DEP_2)
	v_pk_fma_f32 v[96:97], v[40:41], v[38:39], v[94:95] op_sel_hi:[1,0,1]
	v_pk_fma_f32 v[38:39], v[40:41], v[38:39], v[94:95] neg_lo:[0,0,1] neg_hi:[0,0,1]
	v_mov_b32_e32 v39, v97
	s_delay_alu instid0(VALU_DEP_1)
	v_pk_add_f32 v[36:37], v[36:37], v[38:39]
.LBB66_844:                             ;   in Loop: Header=BB66_3 Depth=1
	s_or_b32 exec_lo, exec_lo, s68
.LBB66_845:                             ;   in Loop: Header=BB66_3 Depth=1
	s_delay_alu instid0(SALU_CYCLE_1)
	s_or_b32 exec_lo, exec_lo, s65
	s_and_saveexec_b32 s65, s94
	s_cbranch_execz .LBB66_847
; %bb.846:                              ;   in Loop: Header=BB66_3 Depth=1
	ds_load_b64 v[38:39], v5 offset:6760
	s_wait_dscnt 0x0
	v_pk_mul_f32 v[40:41], v[36:37], v[38:39] op_sel:[1,1] op_sel_hi:[1,0]
	s_delay_alu instid0(VALU_DEP_1) | instskip(SKIP_1) | instid1(VALU_DEP_2)
	v_pk_fma_f32 v[94:95], v[36:37], v[38:39], v[40:41] op_sel_hi:[0,1,1]
	v_pk_fma_f32 v[36:37], v[36:37], v[38:39], v[40:41] neg_lo:[0,0,1] neg_hi:[0,0,1]
	v_mov_b32_e32 v37, v95
	s_delay_alu instid0(VALU_DEP_1)
	v_pk_add_f32 v[38:39], v[36:37], 0 neg_lo:[1,1] neg_hi:[1,1]
	ds_store_b64 v3, v[38:39]
.LBB66_847:                             ;   in Loop: Header=BB66_3 Depth=1
	s_or_b32 exec_lo, exec_lo, s65
	s_wait_loadcnt_dscnt 0x0
	s_barrier_signal -1
	s_barrier_wait -1
	s_and_saveexec_b32 s65, s95
	s_cbranch_execz .LBB66_849
; %bb.848:                              ;   in Loop: Header=BB66_3 Depth=1
	ds_load_b64 v[38:39], v5 offset:6752
	ds_load_b64 v[40:41], v3
	s_wait_dscnt 0x0
	v_pk_mul_f32 v[94:95], v[40:41], v[38:39] op_sel:[1,1] op_sel_hi:[0,1]
	s_delay_alu instid0(VALU_DEP_1) | instskip(SKIP_1) | instid1(VALU_DEP_2)
	v_pk_fma_f32 v[96:97], v[40:41], v[38:39], v[94:95] op_sel_hi:[1,0,1]
	v_pk_fma_f32 v[38:39], v[40:41], v[38:39], v[94:95] neg_lo:[0,0,1] neg_hi:[0,0,1]
	v_mov_b32_e32 v39, v97
	s_delay_alu instid0(VALU_DEP_1)
	v_pk_add_f32 v[36:37], v[36:37], v[38:39] neg_lo:[0,1] neg_hi:[0,1]
.LBB66_849:                             ;   in Loop: Header=BB66_3 Depth=1
	s_or_b32 exec_lo, exec_lo, s65
	s_barrier_signal -1
	s_barrier_wait -1
	s_and_saveexec_b32 s65, s95
	s_cbranch_execz .LBB66_851
; %bb.850:                              ;   in Loop: Header=BB66_3 Depth=1
	ds_load_b64 v[38:39], v5 offset:6240
	s_wait_dscnt 0x0
	v_pk_mul_f32 v[40:41], v[36:37], v[38:39] op_sel:[1,1] op_sel_hi:[1,0]
	s_delay_alu instid0(VALU_DEP_1) | instskip(SKIP_1) | instid1(VALU_DEP_2)
	v_pk_fma_f32 v[94:95], v[36:37], v[38:39], v[40:41] op_sel_hi:[0,1,1]
	v_pk_fma_f32 v[36:37], v[36:37], v[38:39], v[40:41] neg_lo:[0,0,1] neg_hi:[0,0,1]
	v_mov_b32_e32 v37, v95
	s_delay_alu instid0(VALU_DEP_1)
	v_pk_add_f32 v[38:39], v[36:37], 0 neg_lo:[1,1] neg_hi:[1,1]
	ds_store_b64 v3, v[38:39]
.LBB66_851:                             ;   in Loop: Header=BB66_3 Depth=1
	s_or_b32 exec_lo, exec_lo, s65
	s_wait_dscnt 0x0
	s_barrier_signal -1
	s_barrier_wait -1
	s_barrier_signal -1
	s_barrier_wait -1
	s_and_saveexec_b32 s65, s0
; %bb.852:                              ;   in Loop: Header=BB66_3 Depth=1
	ds_store_b64 v48, v[36:37] offset:7776
; %bb.853:                              ;   in Loop: Header=BB66_3 Depth=1
	s_or_b32 exec_lo, exec_lo, s65
	s_wait_dscnt 0x0
	s_barrier_signal -1
	s_barrier_wait -1
	s_barrier_signal -1
	s_barrier_wait -1
	s_and_saveexec_b32 s65, s96
	s_cbranch_execz .LBB66_855
; %bb.854:                              ;   in Loop: Header=BB66_3 Depth=1
	ds_load_b64 v[36:37], v49 offset:7264
	s_wait_dscnt 0x0
	ds_store_b64 v47, v[36:37] offset:6256
	ds_load_b64 v[36:37], v49 offset:7272
	s_wait_dscnt 0x0
	ds_store_b64 v47, v[36:37] offset:6768
.LBB66_855:                             ;   in Loop: Header=BB66_3 Depth=1
	s_or_b32 exec_lo, exec_lo, s65
	s_wait_dscnt 0x0
	s_barrier_signal -1
	s_barrier_wait -1
	s_and_saveexec_b32 s65, s14
	s_cbranch_execz .LBB66_857
; %bb.856:                              ;   in Loop: Header=BB66_3 Depth=1
	v_add_nc_u32_e64 v4, 0x60, 0
	ds_load_b64 v[40:41], v5 offset:6760
	ds_load_2addr_stride64_b64 v[36:39], v4 offset0:12 offset1:13
	s_wait_dscnt 0x0
	v_dual_mul_f32 v42, v41, v37 :: v_dual_mul_f32 v4, v40, v37
	s_delay_alu instid0(VALU_DEP_1) | instskip(NEXT) | instid1(VALU_DEP_1)
	v_xor_b32_e32 v42, 0x80000000, v42
	v_dual_fmac_f32 v4, v41, v36 :: v_dual_fmac_f32 v42, v40, v36
	s_delay_alu instid0(VALU_DEP_1) | instskip(SKIP_1) | instid1(VALU_DEP_2)
	v_pk_mul_f32 v[36:37], v[4:5], v[38:39] op_sel:[0,1] op_sel_hi:[0,0]
	v_add_nc_u32_e64 v4, 0x1800, 0
	v_pk_fma_f32 v[40:41], v[42:43], v[38:39], v[36:37] op_sel_hi:[0,1,1]
	v_pk_fma_f32 v[36:37], v[42:43], v[38:39], v[36:37] neg_lo:[0,0,1] neg_hi:[0,0,1]
	s_delay_alu instid0(VALU_DEP_2)
	v_mov_b32_e32 v37, v41
	ds_store_2addr_b64 v4, v[36:37], v[36:37] offset0:13 offset1:76
.LBB66_857:                             ;   in Loop: Header=BB66_3 Depth=1
	s_or_b32 exec_lo, exec_lo, s65
	v_mov_b64_e32 v[36:37], 0
	s_wait_dscnt 0x0
	s_barrier_signal -1
	s_barrier_wait -1
	global_wb scope:SCOPE_DEV
	s_wait_storecnt 0x0
	global_inv scope:SCOPE_DEV
	s_and_saveexec_b32 s65, s2
	s_cbranch_execz .LBB66_863
; %bb.858:                              ;   in Loop: Header=BB66_3 Depth=1
	ds_load_b64 v[36:37], v51 offset:6208
	ds_load_b64 v[38:39], v52 offset:7776
	s_wait_dscnt 0x0
	v_dual_mul_f32 v4, v39, v37 :: v_dual_mul_f32 v37, v38, v37
	s_delay_alu instid0(VALU_DEP_1) | instskip(NEXT) | instid1(VALU_DEP_1)
	v_dual_fma_f32 v4, v38, v36, -v4 :: v_dual_fmac_f32 v37, v39, v36
	v_dual_add_f32 v36, 0, v4 :: v_dual_add_f32 v37, 0, v37
	s_and_saveexec_b32 s68, s16
	s_cbranch_execnz .LBB66_1164
; %bb.859:                              ;   in Loop: Header=BB66_3 Depth=1
	s_or_b32 exec_lo, exec_lo, s68
	s_and_saveexec_b32 s68, s17
	s_cbranch_execnz .LBB66_1165
.LBB66_860:                             ;   in Loop: Header=BB66_3 Depth=1
	s_or_b32 exec_lo, exec_lo, s68
	s_and_saveexec_b32 s68, s0
	s_cbranch_execz .LBB66_862
.LBB66_861:                             ;   in Loop: Header=BB66_3 Depth=1
	ds_load_b64 v[38:39], v54 offset:7744
	ds_load_b64 v[40:41], v5 offset:7800
	s_wait_dscnt 0x0
	v_dual_mul_f32 v4, v41, v39 :: v_dual_mul_f32 v39, v40, v39
	s_delay_alu instid0(VALU_DEP_1) | instskip(NEXT) | instid1(VALU_DEP_1)
	v_dual_fma_f32 v4, v40, v38, -v4 :: v_dual_fmac_f32 v39, v41, v38
	v_dual_add_f32 v36, v36, v4 :: v_dual_add_f32 v37, v37, v39
.LBB66_862:                             ;   in Loop: Header=BB66_3 Depth=1
	s_or_b32 exec_lo, exec_lo, s68
.LBB66_863:                             ;   in Loop: Header=BB66_3 Depth=1
	s_delay_alu instid0(SALU_CYCLE_1)
	s_or_b32 exec_lo, exec_lo, s65
	s_and_saveexec_b32 s65, s97
	s_cbranch_execz .LBB66_865
; %bb.864:                              ;   in Loop: Header=BB66_3 Depth=1
	ds_load_b64 v[38:39], v5 offset:5720
	s_wait_dscnt 0x0
	v_dual_mul_f32 v4, v37, v38 :: v_dual_mul_f32 v40, v37, v39
	s_delay_alu instid0(VALU_DEP_1) | instskip(NEXT) | instid1(VALU_DEP_2)
	v_pk_fma_f32 v[94:95], v[36:37], v[38:39], v[4:5] op_sel:[1,0,0] op_sel_hi:[0,1,0]
	v_pk_fma_f32 v[36:37], v[36:37], v[38:39], v[40:41] op_sel_hi:[1,1,0] neg_lo:[0,0,1] neg_hi:[0,0,1]
	s_delay_alu instid0(VALU_DEP_2) | instskip(NEXT) | instid1(VALU_DEP_1)
	v_mov_b32_e32 v37, v95
	v_pk_add_f32 v[38:39], v[36:37], 0 neg_lo:[1,1] neg_hi:[1,1]
	ds_store_b64 v50, v[38:39]
.LBB66_865:                             ;   in Loop: Header=BB66_3 Depth=1
	s_or_b32 exec_lo, exec_lo, s65
	s_wait_loadcnt_dscnt 0x0
	s_barrier_signal -1
	s_barrier_wait -1
	s_and_saveexec_b32 s65, s98
	s_cbranch_execz .LBB66_867
; %bb.866:                              ;   in Loop: Header=BB66_3 Depth=1
	ds_load_b64 v[38:39], v51 offset:5696
	ds_load_b64 v[40:41], v50
	s_wait_dscnt 0x0
	v_pk_mul_f32 v[94:95], v[40:41], v[38:39] op_sel:[1,1] op_sel_hi:[0,1]
	s_delay_alu instid0(VALU_DEP_1) | instskip(SKIP_1) | instid1(VALU_DEP_2)
	v_pk_fma_f32 v[96:97], v[40:41], v[38:39], v[94:95] op_sel_hi:[1,0,1]
	v_pk_fma_f32 v[38:39], v[40:41], v[38:39], v[94:95] neg_lo:[0,0,1] neg_hi:[0,0,1]
	v_mov_b32_e32 v39, v97
	s_delay_alu instid0(VALU_DEP_1)
	v_pk_add_f32 v[36:37], v[36:37], v[38:39] neg_lo:[0,1] neg_hi:[0,1]
.LBB66_867:                             ;   in Loop: Header=BB66_3 Depth=1
	s_or_b32 exec_lo, exec_lo, s65
	s_barrier_signal -1
	s_barrier_wait -1
	s_and_saveexec_b32 s65, s99
	s_cbranch_execz .LBB66_869
; %bb.868:                              ;   in Loop: Header=BB66_3 Depth=1
	ds_load_b64 v[38:39], v5 offset:5200
	s_wait_dscnt 0x0
	v_pk_mul_f32 v[40:41], v[36:37], v[38:39] op_sel:[1,1] op_sel_hi:[1,0]
	s_delay_alu instid0(VALU_DEP_1) | instskip(SKIP_1) | instid1(VALU_DEP_2)
	v_pk_fma_f32 v[94:95], v[36:37], v[38:39], v[40:41] op_sel_hi:[0,1,1]
	v_pk_fma_f32 v[36:37], v[36:37], v[38:39], v[40:41] neg_lo:[0,0,1] neg_hi:[0,0,1]
	v_mov_b32_e32 v37, v95
	s_delay_alu instid0(VALU_DEP_1)
	v_pk_add_f32 v[38:39], v[36:37], 0 neg_lo:[1,1] neg_hi:[1,1]
	ds_store_b64 v50, v[38:39]
.LBB66_869:                             ;   in Loop: Header=BB66_3 Depth=1
	s_or_b32 exec_lo, exec_lo, s65
	s_wait_dscnt 0x0
	s_barrier_signal -1
	s_barrier_wait -1
	s_and_saveexec_b32 s65, s100
	s_cbranch_execz .LBB66_871
; %bb.870:                              ;   in Loop: Header=BB66_3 Depth=1
	ds_load_b64 v[38:39], v51 offset:5184
	ds_load_b64 v[40:41], v50
	s_wait_dscnt 0x0
	v_pk_mul_f32 v[94:95], v[40:41], v[38:39] op_sel:[1,1] op_sel_hi:[0,1]
	s_delay_alu instid0(VALU_DEP_1) | instskip(SKIP_1) | instid1(VALU_DEP_2)
	v_pk_fma_f32 v[96:97], v[40:41], v[38:39], v[94:95] op_sel_hi:[1,0,1]
	v_pk_fma_f32 v[38:39], v[40:41], v[38:39], v[94:95] neg_lo:[0,0,1] neg_hi:[0,0,1]
	v_mov_b32_e32 v39, v97
	s_delay_alu instid0(VALU_DEP_1)
	v_pk_add_f32 v[36:37], v[36:37], v[38:39] neg_lo:[0,1] neg_hi:[0,1]
.LBB66_871:                             ;   in Loop: Header=BB66_3 Depth=1
	s_or_b32 exec_lo, exec_lo, s65
	s_barrier_signal -1
	s_barrier_wait -1
	s_and_saveexec_b32 s65, s101
	s_cbranch_execz .LBB66_873
; %bb.872:                              ;   in Loop: Header=BB66_3 Depth=1
	ds_load_b64 v[38:39], v5 offset:4680
	s_wait_dscnt 0x0
	v_pk_mul_f32 v[40:41], v[36:37], v[38:39] op_sel:[1,1] op_sel_hi:[1,0]
	s_delay_alu instid0(VALU_DEP_1) | instskip(SKIP_1) | instid1(VALU_DEP_2)
	v_pk_fma_f32 v[94:95], v[36:37], v[38:39], v[40:41] op_sel_hi:[0,1,1]
	v_pk_fma_f32 v[36:37], v[36:37], v[38:39], v[40:41] neg_lo:[0,0,1] neg_hi:[0,0,1]
	v_mov_b32_e32 v37, v95
	s_delay_alu instid0(VALU_DEP_1)
	v_pk_add_f32 v[38:39], v[36:37], 0 neg_lo:[1,1] neg_hi:[1,1]
	ds_store_b64 v50, v[38:39]
.LBB66_873:                             ;   in Loop: Header=BB66_3 Depth=1
	s_or_b32 exec_lo, exec_lo, s65
	s_wait_dscnt 0x0
	;; [unrolled: 35-line block ×3, first 2 shown]
	s_barrier_signal -1
	s_barrier_wait -1
	s_barrier_signal -1
	s_barrier_wait -1
	s_and_saveexec_b32 s65, s2
; %bb.878:                              ;   in Loop: Header=BB66_3 Depth=1
	ds_store_b64 v55, v[36:37] offset:7744
; %bb.879:                              ;   in Loop: Header=BB66_3 Depth=1
	s_or_b32 exec_lo, exec_lo, s65
	s_wait_dscnt 0x0
	s_barrier_signal -1
	s_barrier_wait -1
	s_barrier_signal -1
	s_barrier_wait -1
	s_and_saveexec_b32 s65, s103
	s_cbranch_execz .LBB66_881
; %bb.880:                              ;   in Loop: Header=BB66_3 Depth=1
	ds_load_b64 v[36:37], v56 offset:6208
	s_wait_dscnt 0x0
	ds_store_b64 v69, v[36:37] offset:4192
	ds_load_b64 v[36:37], v56 offset:6216
	s_wait_dscnt 0x0
	ds_store_b64 v69, v[36:37] offset:4704
	;; [unrolled: 3-line block ×4, first 2 shown]
.LBB66_881:                             ;   in Loop: Header=BB66_3 Depth=1
	s_or_b32 exec_lo, exec_lo, s65
	s_wait_dscnt 0x0
	s_barrier_signal -1
	s_barrier_wait -1
	s_and_saveexec_b32 s65, s14
	s_cbranch_execz .LBB66_883
; %bb.882:                              ;   in Loop: Header=BB66_3 Depth=1
	v_add_nc_u32_e64 v4, 0x50, 0
	ds_load_b64 v[40:41], v5 offset:5720
	ds_load_2addr_stride64_b64 v[36:39], v4 offset0:10 offset1:11
	s_wait_dscnt 0x0
	v_dual_mul_f32 v42, v41, v37 :: v_dual_mul_f32 v4, v40, v37
	s_delay_alu instid0(VALU_DEP_1) | instskip(NEXT) | instid1(VALU_DEP_1)
	v_xor_b32_e32 v42, 0x80000000, v42
	v_dual_fmac_f32 v4, v41, v36 :: v_dual_fmac_f32 v42, v40, v36
	s_delay_alu instid0(VALU_DEP_1) | instskip(SKIP_1) | instid1(VALU_DEP_2)
	v_pk_mul_f32 v[36:37], v[4:5], v[38:39] op_sel:[0,1] op_sel_hi:[0,0]
	v_add_nc_u32_e64 v4, 0x1000, 0
	v_pk_fma_f32 v[40:41], v[42:43], v[38:39], v[36:37] op_sel_hi:[0,1,1]
	v_pk_fma_f32 v[36:37], v[42:43], v[38:39], v[36:37] neg_lo:[0,0,1] neg_hi:[0,0,1]
	s_delay_alu instid0(VALU_DEP_2)
	v_mov_b32_e32 v37, v41
	ds_store_2addr_b64 v4, v[36:37], v[36:37] offset0:139 offset1:202
.LBB66_883:                             ;   in Loop: Header=BB66_3 Depth=1
	s_or_b32 exec_lo, exec_lo, s65
	v_dual_mov_b32 v36, 0 :: v_dual_mov_b32 v37, 0
	s_wait_dscnt 0x0
	s_barrier_signal -1
	s_barrier_wait -1
	global_wb scope:SCOPE_DEV
	s_wait_storecnt 0x0
	global_inv scope:SCOPE_DEV
	s_and_saveexec_b32 s65, s0
	s_cbranch_execz .LBB66_887
; %bb.884:                              ;   in Loop: Header=BB66_3 Depth=1
	ds_load_b64 v[36:37], v45 offset:5184
	ds_load_b64 v[38:39], v46 offset:5712
	s_wait_dscnt 0x0
	v_pk_mul_f32 v[40:41], v[38:39], v[36:37] op_sel:[1,1] op_sel_hi:[0,1]
	s_delay_alu instid0(VALU_DEP_1) | instskip(SKIP_1) | instid1(VALU_DEP_2)
	v_pk_fma_f32 v[94:95], v[38:39], v[36:37], v[40:41] op_sel_hi:[1,0,1]
	v_pk_fma_f32 v[36:37], v[38:39], v[36:37], v[40:41] neg_lo:[0,0,1] neg_hi:[0,0,1]
	v_mov_b32_e32 v37, v95
	s_delay_alu instid0(VALU_DEP_1)
	v_pk_add_f32 v[36:37], v[36:37], 0 op_sel_hi:[1,0]
	s_and_saveexec_b32 s68, s15
	s_cbranch_execz .LBB66_886
; %bb.885:                              ;   in Loop: Header=BB66_3 Depth=1
	ds_load_b64 v[38:39], v69 offset:5696
	ds_load_b64 v[40:41], v5 offset:5720
	s_wait_dscnt 0x0
	v_pk_mul_f32 v[94:95], v[40:41], v[38:39] op_sel:[1,1] op_sel_hi:[0,1]
	s_delay_alu instid0(VALU_DEP_1) | instskip(SKIP_1) | instid1(VALU_DEP_2)
	v_pk_fma_f32 v[96:97], v[40:41], v[38:39], v[94:95] op_sel_hi:[1,0,1]
	v_pk_fma_f32 v[38:39], v[40:41], v[38:39], v[94:95] neg_lo:[0,0,1] neg_hi:[0,0,1]
	v_mov_b32_e32 v39, v97
	s_delay_alu instid0(VALU_DEP_1)
	v_pk_add_f32 v[36:37], v[36:37], v[38:39]
.LBB66_886:                             ;   in Loop: Header=BB66_3 Depth=1
	s_or_b32 exec_lo, exec_lo, s68
.LBB66_887:                             ;   in Loop: Header=BB66_3 Depth=1
	s_delay_alu instid0(SALU_CYCLE_1)
	s_or_b32 exec_lo, exec_lo, s65
	s_and_saveexec_b32 s65, s94
	s_cbranch_execz .LBB66_889
; %bb.888:                              ;   in Loop: Header=BB66_3 Depth=1
	ds_load_b64 v[38:39], v5 offset:4680
	s_wait_dscnt 0x0
	v_pk_mul_f32 v[40:41], v[36:37], v[38:39] op_sel:[1,1] op_sel_hi:[1,0]
	s_delay_alu instid0(VALU_DEP_1) | instskip(SKIP_1) | instid1(VALU_DEP_2)
	v_pk_fma_f32 v[94:95], v[36:37], v[38:39], v[40:41] op_sel_hi:[0,1,1]
	v_pk_fma_f32 v[36:37], v[36:37], v[38:39], v[40:41] neg_lo:[0,0,1] neg_hi:[0,0,1]
	v_mov_b32_e32 v37, v95
	s_delay_alu instid0(VALU_DEP_1)
	v_pk_add_f32 v[38:39], v[36:37], 0 neg_lo:[1,1] neg_hi:[1,1]
	ds_store_b64 v3, v[38:39]
.LBB66_889:                             ;   in Loop: Header=BB66_3 Depth=1
	s_or_b32 exec_lo, exec_lo, s65
	s_wait_loadcnt_dscnt 0x0
	s_barrier_signal -1
	s_barrier_wait -1
	s_and_saveexec_b32 s65, s95
	s_cbranch_execz .LBB66_891
; %bb.890:                              ;   in Loop: Header=BB66_3 Depth=1
	ds_load_b64 v[38:39], v5 offset:4672
	ds_load_b64 v[40:41], v3
	s_wait_dscnt 0x0
	v_pk_mul_f32 v[94:95], v[40:41], v[38:39] op_sel:[1,1] op_sel_hi:[0,1]
	s_delay_alu instid0(VALU_DEP_1) | instskip(SKIP_1) | instid1(VALU_DEP_2)
	v_pk_fma_f32 v[96:97], v[40:41], v[38:39], v[94:95] op_sel_hi:[1,0,1]
	v_pk_fma_f32 v[38:39], v[40:41], v[38:39], v[94:95] neg_lo:[0,0,1] neg_hi:[0,0,1]
	v_mov_b32_e32 v39, v97
	s_delay_alu instid0(VALU_DEP_1)
	v_pk_add_f32 v[36:37], v[36:37], v[38:39] neg_lo:[0,1] neg_hi:[0,1]
.LBB66_891:                             ;   in Loop: Header=BB66_3 Depth=1
	s_or_b32 exec_lo, exec_lo, s65
	s_barrier_signal -1
	s_barrier_wait -1
	s_and_saveexec_b32 s65, s95
	s_cbranch_execz .LBB66_893
; %bb.892:                              ;   in Loop: Header=BB66_3 Depth=1
	ds_load_b64 v[38:39], v5 offset:4160
	s_wait_dscnt 0x0
	v_pk_mul_f32 v[40:41], v[36:37], v[38:39] op_sel:[1,1] op_sel_hi:[1,0]
	s_delay_alu instid0(VALU_DEP_1) | instskip(SKIP_1) | instid1(VALU_DEP_2)
	v_pk_fma_f32 v[94:95], v[36:37], v[38:39], v[40:41] op_sel_hi:[0,1,1]
	v_pk_fma_f32 v[36:37], v[36:37], v[38:39], v[40:41] neg_lo:[0,0,1] neg_hi:[0,0,1]
	v_mov_b32_e32 v37, v95
	s_delay_alu instid0(VALU_DEP_1)
	v_pk_add_f32 v[38:39], v[36:37], 0 neg_lo:[1,1] neg_hi:[1,1]
	ds_store_b64 v3, v[38:39]
.LBB66_893:                             ;   in Loop: Header=BB66_3 Depth=1
	s_or_b32 exec_lo, exec_lo, s65
	s_wait_dscnt 0x0
	s_barrier_signal -1
	s_barrier_wait -1
	s_barrier_signal -1
	s_barrier_wait -1
	s_and_saveexec_b32 s65, s0
; %bb.894:                              ;   in Loop: Header=BB66_3 Depth=1
	ds_store_b64 v48, v[36:37] offset:5696
; %bb.895:                              ;   in Loop: Header=BB66_3 Depth=1
	s_or_b32 exec_lo, exec_lo, s65
	s_wait_dscnt 0x0
	s_barrier_signal -1
	s_barrier_wait -1
	s_barrier_signal -1
	s_barrier_wait -1
	s_and_saveexec_b32 s65, s96
	s_cbranch_execz .LBB66_897
; %bb.896:                              ;   in Loop: Header=BB66_3 Depth=1
	ds_load_b64 v[36:37], v70 offset:5184
	s_wait_dscnt 0x0
	ds_store_b64 v69, v[36:37] offset:4176
	ds_load_b64 v[36:37], v70 offset:5192
	s_wait_dscnt 0x0
	ds_store_b64 v69, v[36:37] offset:4688
.LBB66_897:                             ;   in Loop: Header=BB66_3 Depth=1
	s_or_b32 exec_lo, exec_lo, s65
	s_wait_dscnt 0x0
	s_barrier_signal -1
	s_barrier_wait -1
	s_and_saveexec_b32 s65, s14
	s_cbranch_execz .LBB66_899
; %bb.898:                              ;   in Loop: Header=BB66_3 Depth=1
	v_add_nc_u32_e64 v4, 64, 0
	ds_load_b64 v[40:41], v5 offset:4680
	ds_load_2addr_stride64_b64 v[36:39], v4 offset0:8 offset1:9
	s_wait_dscnt 0x0
	v_dual_mul_f32 v42, v41, v37 :: v_dual_mul_f32 v4, v40, v37
	s_delay_alu instid0(VALU_DEP_1) | instskip(NEXT) | instid1(VALU_DEP_1)
	v_xor_b32_e32 v42, 0x80000000, v42
	v_dual_fmac_f32 v4, v41, v36 :: v_dual_fmac_f32 v42, v40, v36
	s_delay_alu instid0(VALU_DEP_1) | instskip(SKIP_1) | instid1(VALU_DEP_2)
	v_pk_mul_f32 v[36:37], v[4:5], v[38:39] op_sel:[0,1] op_sel_hi:[0,0]
	v_add_nc_u32_e64 v4, 0x1000, 0
	v_pk_fma_f32 v[40:41], v[42:43], v[38:39], v[36:37] op_sel_hi:[0,1,1]
	v_pk_fma_f32 v[36:37], v[42:43], v[38:39], v[36:37] neg_lo:[0,0,1] neg_hi:[0,0,1]
	s_delay_alu instid0(VALU_DEP_2)
	v_mov_b32_e32 v37, v41
	ds_store_2addr_b64 v4, v[36:37], v[36:37] offset0:9 offset1:72
.LBB66_899:                             ;   in Loop: Header=BB66_3 Depth=1
	s_or_b32 exec_lo, exec_lo, s65
	v_mov_b64_e32 v[36:37], 0
	s_wait_dscnt 0x0
	s_barrier_signal -1
	s_barrier_wait -1
	global_wb scope:SCOPE_DEV
	s_wait_storecnt 0x0
	global_inv scope:SCOPE_DEV
	s_and_saveexec_b32 s65, s3
	s_cbranch_execz .LBB66_909
; %bb.900:                              ;   in Loop: Header=BB66_3 Depth=1
	ds_load_b64 v[36:37], v58 offset:4096
	ds_load_b64 v[38:39], v59 offset:7744
	s_wait_dscnt 0x0
	v_dual_mul_f32 v4, v39, v37 :: v_dual_mul_f32 v37, v38, v37
	s_delay_alu instid0(VALU_DEP_1) | instskip(NEXT) | instid1(VALU_DEP_1)
	v_dual_fma_f32 v4, v38, v36, -v4 :: v_dual_fmac_f32 v37, v39, v36
	v_dual_add_f32 v36, 0, v4 :: v_dual_add_f32 v37, 0, v37
	s_and_saveexec_b32 s68, s18
	s_cbranch_execnz .LBB66_1166
; %bb.901:                              ;   in Loop: Header=BB66_3 Depth=1
	s_or_b32 exec_lo, exec_lo, s68
	s_and_saveexec_b32 s68, s19
	s_cbranch_execnz .LBB66_1167
.LBB66_902:                             ;   in Loop: Header=BB66_3 Depth=1
	s_or_b32 exec_lo, exec_lo, s68
	s_and_saveexec_b32 s68, s20
	s_cbranch_execnz .LBB66_1168
.LBB66_903:                             ;   in Loop: Header=BB66_3 Depth=1
	s_or_b32 exec_lo, exec_lo, s68
	s_and_saveexec_b32 s68, s21
	s_cbranch_execnz .LBB66_1169
.LBB66_904:                             ;   in Loop: Header=BB66_3 Depth=1
	s_or_b32 exec_lo, exec_lo, s68
	s_and_saveexec_b32 s68, s22
	s_cbranch_execnz .LBB66_1170
.LBB66_905:                             ;   in Loop: Header=BB66_3 Depth=1
	s_or_b32 exec_lo, exec_lo, s68
	s_and_saveexec_b32 s68, s2
	s_cbranch_execnz .LBB66_1171
.LBB66_906:                             ;   in Loop: Header=BB66_3 Depth=1
	s_or_b32 exec_lo, exec_lo, s68
	s_and_saveexec_b32 s68, s17
	s_cbranch_execz .LBB66_908
.LBB66_907:                             ;   in Loop: Header=BB66_3 Depth=1
	ds_load_b64 v[38:39], v71 offset:7680
	ds_load_b64 v[40:41], v5 offset:7800
	s_wait_dscnt 0x0
	v_dual_mul_f32 v4, v41, v39 :: v_dual_mul_f32 v95, v40, v39
	s_delay_alu instid0(VALU_DEP_1) | instskip(NEXT) | instid1(VALU_DEP_1)
	v_dual_fma_f32 v94, v40, v38, -v4 :: v_dual_fmac_f32 v95, v41, v38
	v_pk_add_f32 v[36:37], v[36:37], v[94:95]
.LBB66_908:                             ;   in Loop: Header=BB66_3 Depth=1
	s_or_b32 exec_lo, exec_lo, s68
.LBB66_909:                             ;   in Loop: Header=BB66_3 Depth=1
	s_delay_alu instid0(SALU_CYCLE_1)
	s_or_b32 exec_lo, exec_lo, s65
	s_and_saveexec_b32 s65, s104
	s_cbranch_execz .LBB66_911
; %bb.910:                              ;   in Loop: Header=BB66_3 Depth=1
	ds_load_b64 v[38:39], v5 offset:3640
	s_wait_dscnt 0x0
	v_pk_mul_f32 v[40:41], v[36:37], v[38:39] op_sel:[1,1] op_sel_hi:[1,0]
	s_delay_alu instid0(VALU_DEP_1) | instskip(SKIP_1) | instid1(VALU_DEP_2)
	v_pk_fma_f32 v[94:95], v[36:37], v[38:39], v[40:41] op_sel_hi:[0,1,1]
	v_pk_fma_f32 v[36:37], v[36:37], v[38:39], v[40:41] neg_lo:[0,0,1] neg_hi:[0,0,1]
	v_mov_b32_e32 v37, v95
	s_delay_alu instid0(VALU_DEP_1)
	v_pk_add_f32 v[38:39], v[36:37], 0 neg_lo:[1,1] neg_hi:[1,1]
	ds_store_b64 v57, v[38:39]
.LBB66_911:                             ;   in Loop: Header=BB66_3 Depth=1
	s_or_b32 exec_lo, exec_lo, s65
	s_wait_loadcnt_dscnt 0x0
	s_barrier_signal -1
	s_barrier_wait -1
	s_and_saveexec_b32 s65, vcc_hi
	s_cbranch_execz .LBB66_913
; %bb.912:                              ;   in Loop: Header=BB66_3 Depth=1
	ds_load_b64 v[38:39], v58 offset:3584
	ds_load_b64 v[40:41], v57
	s_wait_dscnt 0x0
	v_pk_mul_f32 v[94:95], v[40:41], v[38:39] op_sel:[1,1] op_sel_hi:[0,1]
	s_delay_alu instid0(VALU_DEP_1) | instskip(SKIP_1) | instid1(VALU_DEP_2)
	v_pk_fma_f32 v[96:97], v[40:41], v[38:39], v[94:95] op_sel_hi:[1,0,1]
	v_pk_fma_f32 v[38:39], v[40:41], v[38:39], v[94:95] neg_lo:[0,0,1] neg_hi:[0,0,1]
	v_mov_b32_e32 v39, v97
	s_delay_alu instid0(VALU_DEP_1)
	v_pk_add_f32 v[36:37], v[36:37], v[38:39] neg_lo:[0,1] neg_hi:[0,1]
.LBB66_913:                             ;   in Loop: Header=BB66_3 Depth=1
	s_or_b32 exec_lo, exec_lo, s65
	s_barrier_signal -1
	s_barrier_wait -1
	s_and_saveexec_b32 s65, s38
	s_cbranch_execz .LBB66_915
; %bb.914:                              ;   in Loop: Header=BB66_3 Depth=1
	ds_load_b64 v[38:39], v5 offset:3120
	s_wait_dscnt 0x0
	v_pk_mul_f32 v[40:41], v[36:37], v[38:39] op_sel:[1,1] op_sel_hi:[1,0]
	s_delay_alu instid0(VALU_DEP_1) | instskip(SKIP_1) | instid1(VALU_DEP_2)
	v_pk_fma_f32 v[94:95], v[36:37], v[38:39], v[40:41] op_sel_hi:[0,1,1]
	v_pk_fma_f32 v[36:37], v[36:37], v[38:39], v[40:41] neg_lo:[0,0,1] neg_hi:[0,0,1]
	v_mov_b32_e32 v37, v95
	s_delay_alu instid0(VALU_DEP_1)
	v_pk_add_f32 v[38:39], v[36:37], 0 neg_lo:[1,1] neg_hi:[1,1]
	ds_store_b64 v57, v[38:39]
.LBB66_915:                             ;   in Loop: Header=BB66_3 Depth=1
	s_or_b32 exec_lo, exec_lo, s65
	s_wait_dscnt 0x0
	s_barrier_signal -1
	s_barrier_wait -1
	s_and_saveexec_b32 s65, s39
	s_cbranch_execz .LBB66_917
; %bb.916:                              ;   in Loop: Header=BB66_3 Depth=1
	ds_load_b64 v[38:39], v58 offset:3072
	ds_load_b64 v[40:41], v57
	s_wait_dscnt 0x0
	v_pk_mul_f32 v[94:95], v[40:41], v[38:39] op_sel:[1,1] op_sel_hi:[0,1]
	s_delay_alu instid0(VALU_DEP_1) | instskip(SKIP_1) | instid1(VALU_DEP_2)
	v_pk_fma_f32 v[96:97], v[40:41], v[38:39], v[94:95] op_sel_hi:[1,0,1]
	v_pk_fma_f32 v[38:39], v[40:41], v[38:39], v[94:95] neg_lo:[0,0,1] neg_hi:[0,0,1]
	v_mov_b32_e32 v39, v97
	s_delay_alu instid0(VALU_DEP_1)
	v_pk_add_f32 v[36:37], v[36:37], v[38:39] neg_lo:[0,1] neg_hi:[0,1]
.LBB66_917:                             ;   in Loop: Header=BB66_3 Depth=1
	s_or_b32 exec_lo, exec_lo, s65
	s_barrier_signal -1
	s_barrier_wait -1
	s_and_saveexec_b32 s65, s40
	s_cbranch_execz .LBB66_919
; %bb.918:                              ;   in Loop: Header=BB66_3 Depth=1
	ds_load_b64 v[38:39], v5 offset:2600
	s_wait_dscnt 0x0
	v_pk_mul_f32 v[40:41], v[36:37], v[38:39] op_sel:[1,1] op_sel_hi:[1,0]
	s_delay_alu instid0(VALU_DEP_1) | instskip(SKIP_1) | instid1(VALU_DEP_2)
	v_pk_fma_f32 v[94:95], v[36:37], v[38:39], v[40:41] op_sel_hi:[0,1,1]
	v_pk_fma_f32 v[36:37], v[36:37], v[38:39], v[40:41] neg_lo:[0,0,1] neg_hi:[0,0,1]
	v_mov_b32_e32 v37, v95
	s_delay_alu instid0(VALU_DEP_1)
	v_pk_add_f32 v[38:39], v[36:37], 0 neg_lo:[1,1] neg_hi:[1,1]
	ds_store_b64 v57, v[38:39]
.LBB66_919:                             ;   in Loop: Header=BB66_3 Depth=1
	s_or_b32 exec_lo, exec_lo, s65
	s_wait_dscnt 0x0
	s_barrier_signal -1
	s_barrier_wait -1
	s_and_saveexec_b32 s65, s41
	s_cbranch_execz .LBB66_921
; %bb.920:                              ;   in Loop: Header=BB66_3 Depth=1
	ds_load_b64 v[38:39], v58 offset:2560
	ds_load_b64 v[40:41], v57
	s_wait_dscnt 0x0
	v_pk_mul_f32 v[94:95], v[40:41], v[38:39] op_sel:[1,1] op_sel_hi:[0,1]
	s_delay_alu instid0(VALU_DEP_1) | instskip(SKIP_1) | instid1(VALU_DEP_2)
	v_pk_fma_f32 v[96:97], v[40:41], v[38:39], v[94:95] op_sel_hi:[1,0,1]
	v_pk_fma_f32 v[38:39], v[40:41], v[38:39], v[94:95] neg_lo:[0,0,1] neg_hi:[0,0,1]
	v_mov_b32_e32 v39, v97
	s_delay_alu instid0(VALU_DEP_1)
	v_pk_add_f32 v[36:37], v[36:37], v[38:39] neg_lo:[0,1] neg_hi:[0,1]
.LBB66_921:                             ;   in Loop: Header=BB66_3 Depth=1
	s_or_b32 exec_lo, exec_lo, s65
	s_barrier_signal -1
	s_barrier_wait -1
	s_and_saveexec_b32 s65, s42
	s_cbranch_execz .LBB66_923
; %bb.922:                              ;   in Loop: Header=BB66_3 Depth=1
	ds_load_b64 v[38:39], v5 offset:2080
	s_wait_dscnt 0x0
	v_pk_mul_f32 v[40:41], v[36:37], v[38:39]
	v_pk_mul_f32 v[36:37], v[36:37], v[38:39] op_sel:[1,0] op_sel_hi:[0,1]
	s_delay_alu instid0(VALU_DEP_1) | instskip(NEXT) | instid1(VALU_DEP_3)
	v_dual_mov_b32 v38, v40 :: v_dual_mov_b32 v39, v36
	v_mov_b32_e32 v36, v41
	s_delay_alu instid0(VALU_DEP_1) | instskip(SKIP_1) | instid1(VALU_DEP_2)
	v_pk_add_f32 v[40:41], v[38:39], v[36:37]
	v_pk_add_f32 v[36:37], v[38:39], v[36:37] neg_lo:[0,1] neg_hi:[0,1]
	v_mov_b32_e32 v37, v41
	s_delay_alu instid0(VALU_DEP_1)
	v_pk_add_f32 v[38:39], v[36:37], 0 neg_lo:[1,1] neg_hi:[1,1]
	ds_store_b64 v57, v[38:39]
.LBB66_923:                             ;   in Loop: Header=BB66_3 Depth=1
	s_or_b32 exec_lo, exec_lo, s65
	s_wait_dscnt 0x0
	s_barrier_signal -1
	s_barrier_wait -1
	s_and_saveexec_b32 s65, s43
	s_cbranch_execz .LBB66_925
; %bb.924:                              ;   in Loop: Header=BB66_3 Depth=1
	ds_load_b64 v[38:39], v58 offset:2048
	ds_load_b64 v[40:41], v57
	s_wait_dscnt 0x0
	v_dual_mul_f32 v4, v41, v39 :: v_dual_mul_f32 v39, v40, v39
	s_delay_alu instid0(VALU_DEP_1) | instskip(NEXT) | instid1(VALU_DEP_1)
	v_dual_fma_f32 v4, v40, v38, -v4 :: v_dual_fmac_f32 v39, v41, v38
	v_dual_sub_f32 v36, v36, v4 :: v_dual_sub_f32 v37, v37, v39
.LBB66_925:                             ;   in Loop: Header=BB66_3 Depth=1
	s_or_b32 exec_lo, exec_lo, s65
	s_barrier_signal -1
	s_barrier_wait -1
	s_and_saveexec_b32 s65, s44
	s_cbranch_execz .LBB66_927
; %bb.926:                              ;   in Loop: Header=BB66_3 Depth=1
	ds_load_b64 v[38:39], v5 offset:1560
	s_wait_dscnt 0x0
	v_dual_mul_f32 v4, v37, v38 :: v_dual_mul_f32 v40, v37, v39
	s_delay_alu instid0(VALU_DEP_1) | instskip(NEXT) | instid1(VALU_DEP_2)
	v_pk_fma_f32 v[94:95], v[36:37], v[38:39], v[4:5] op_sel:[1,0,0] op_sel_hi:[0,1,0]
	v_pk_fma_f32 v[36:37], v[36:37], v[38:39], v[40:41] op_sel_hi:[1,1,0] neg_lo:[0,0,1] neg_hi:[0,0,1]
	s_delay_alu instid0(VALU_DEP_2) | instskip(NEXT) | instid1(VALU_DEP_1)
	v_mov_b32_e32 v37, v95
	v_pk_add_f32 v[38:39], v[36:37], 0 neg_lo:[1,1] neg_hi:[1,1]
	ds_store_b64 v57, v[38:39]
.LBB66_927:                             ;   in Loop: Header=BB66_3 Depth=1
	s_or_b32 exec_lo, exec_lo, s65
	s_wait_dscnt 0x0
	s_barrier_signal -1
	s_barrier_wait -1
	s_and_saveexec_b32 s65, s45
	s_cbranch_execz .LBB66_929
; %bb.928:                              ;   in Loop: Header=BB66_3 Depth=1
	ds_load_b64 v[38:39], v58 offset:1536
	ds_load_b64 v[40:41], v57
	s_wait_dscnt 0x0
	v_pk_mul_f32 v[94:95], v[40:41], v[38:39] op_sel:[1,1] op_sel_hi:[0,1]
	s_delay_alu instid0(VALU_DEP_1) | instskip(SKIP_1) | instid1(VALU_DEP_2)
	v_pk_fma_f32 v[96:97], v[40:41], v[38:39], v[94:95] op_sel_hi:[1,0,1]
	v_pk_fma_f32 v[38:39], v[40:41], v[38:39], v[94:95] neg_lo:[0,0,1] neg_hi:[0,0,1]
	v_mov_b32_e32 v39, v97
	s_delay_alu instid0(VALU_DEP_1)
	v_pk_add_f32 v[36:37], v[36:37], v[38:39] neg_lo:[0,1] neg_hi:[0,1]
.LBB66_929:                             ;   in Loop: Header=BB66_3 Depth=1
	s_or_b32 exec_lo, exec_lo, s65
	s_barrier_signal -1
	s_barrier_wait -1
	s_and_saveexec_b32 s65, s46
	s_cbranch_execz .LBB66_931
; %bb.930:                              ;   in Loop: Header=BB66_3 Depth=1
	ds_load_b64 v[38:39], v5 offset:1040
	s_wait_dscnt 0x0
	v_pk_mul_f32 v[40:41], v[36:37], v[38:39] op_sel:[1,1] op_sel_hi:[1,0]
	s_delay_alu instid0(VALU_DEP_1) | instskip(SKIP_1) | instid1(VALU_DEP_2)
	v_pk_fma_f32 v[94:95], v[36:37], v[38:39], v[40:41] op_sel_hi:[0,1,1]
	v_pk_fma_f32 v[36:37], v[36:37], v[38:39], v[40:41] neg_lo:[0,0,1] neg_hi:[0,0,1]
	v_mov_b32_e32 v37, v95
	s_delay_alu instid0(VALU_DEP_1)
	v_pk_add_f32 v[38:39], v[36:37], 0 neg_lo:[1,1] neg_hi:[1,1]
	ds_store_b64 v57, v[38:39]
.LBB66_931:                             ;   in Loop: Header=BB66_3 Depth=1
	s_or_b32 exec_lo, exec_lo, s65
	s_wait_dscnt 0x0
	s_barrier_signal -1
	s_barrier_wait -1
	s_and_saveexec_b32 s65, s47
	s_cbranch_execz .LBB66_933
; %bb.932:                              ;   in Loop: Header=BB66_3 Depth=1
	ds_load_b64 v[38:39], v58 offset:1024
	ds_load_b64 v[40:41], v57
	s_wait_dscnt 0x0
	v_pk_mul_f32 v[94:95], v[40:41], v[38:39] op_sel:[1,1] op_sel_hi:[0,1]
	s_delay_alu instid0(VALU_DEP_1) | instskip(SKIP_1) | instid1(VALU_DEP_2)
	v_pk_fma_f32 v[96:97], v[40:41], v[38:39], v[94:95] op_sel_hi:[1,0,1]
	v_pk_fma_f32 v[38:39], v[40:41], v[38:39], v[94:95] neg_lo:[0,0,1] neg_hi:[0,0,1]
	v_mov_b32_e32 v39, v97
	s_delay_alu instid0(VALU_DEP_1)
	v_pk_add_f32 v[36:37], v[36:37], v[38:39] neg_lo:[0,1] neg_hi:[0,1]
.LBB66_933:                             ;   in Loop: Header=BB66_3 Depth=1
	s_or_b32 exec_lo, exec_lo, s65
	s_barrier_signal -1
	s_barrier_wait -1
	s_and_saveexec_b32 s65, s48
	s_cbranch_execz .LBB66_935
; %bb.934:                              ;   in Loop: Header=BB66_3 Depth=1
	ds_load_b64 v[38:39], v5 offset:520
	s_wait_dscnt 0x0
	v_pk_mul_f32 v[40:41], v[36:37], v[38:39] op_sel:[1,1] op_sel_hi:[1,0]
	s_delay_alu instid0(VALU_DEP_1) | instskip(SKIP_1) | instid1(VALU_DEP_2)
	v_pk_fma_f32 v[94:95], v[36:37], v[38:39], v[40:41] op_sel_hi:[0,1,1]
	v_pk_fma_f32 v[36:37], v[36:37], v[38:39], v[40:41] neg_lo:[0,0,1] neg_hi:[0,0,1]
	v_mov_b32_e32 v37, v95
	s_delay_alu instid0(VALU_DEP_1)
	v_pk_add_f32 v[38:39], v[36:37], 0 neg_lo:[1,1] neg_hi:[1,1]
	ds_store_b64 v57, v[38:39]
.LBB66_935:                             ;   in Loop: Header=BB66_3 Depth=1
	s_or_b32 exec_lo, exec_lo, s65
	s_wait_dscnt 0x0
	s_barrier_signal -1
	s_barrier_wait -1
	s_and_saveexec_b32 s65, s49
	s_cbranch_execz .LBB66_937
; %bb.936:                              ;   in Loop: Header=BB66_3 Depth=1
	ds_load_b64 v[38:39], v5 offset:512
	ds_load_b64 v[40:41], v57
	s_wait_dscnt 0x0
	v_pk_mul_f32 v[94:95], v[40:41], v[38:39] op_sel:[1,1] op_sel_hi:[0,1]
	s_delay_alu instid0(VALU_DEP_1) | instskip(SKIP_1) | instid1(VALU_DEP_2)
	v_pk_fma_f32 v[96:97], v[40:41], v[38:39], v[94:95] op_sel_hi:[1,0,1]
	v_pk_fma_f32 v[38:39], v[40:41], v[38:39], v[94:95] neg_lo:[0,0,1] neg_hi:[0,0,1]
	v_mov_b32_e32 v39, v97
	s_delay_alu instid0(VALU_DEP_1)
	v_pk_add_f32 v[36:37], v[36:37], v[38:39] neg_lo:[0,1] neg_hi:[0,1]
.LBB66_937:                             ;   in Loop: Header=BB66_3 Depth=1
	s_or_b32 exec_lo, exec_lo, s65
	s_barrier_signal -1
	s_barrier_wait -1
	s_and_saveexec_b32 s65, s49
	s_cbranch_execz .LBB66_939
; %bb.938:                              ;   in Loop: Header=BB66_3 Depth=1
	ds_load_b64 v[38:39], v5
	s_wait_dscnt 0x0
	v_pk_mul_f32 v[40:41], v[36:37], v[38:39] op_sel:[1,1] op_sel_hi:[1,0]
	s_delay_alu instid0(VALU_DEP_1) | instskip(SKIP_1) | instid1(VALU_DEP_2)
	v_pk_fma_f32 v[94:95], v[36:37], v[38:39], v[40:41] op_sel_hi:[0,1,1]
	v_pk_fma_f32 v[36:37], v[36:37], v[38:39], v[40:41] neg_lo:[0,0,1] neg_hi:[0,0,1]
	v_mov_b32_e32 v37, v95
	s_delay_alu instid0(VALU_DEP_1)
	v_pk_add_f32 v[38:39], v[36:37], 0 neg_lo:[1,1] neg_hi:[1,1]
	ds_store_b64 v57, v[38:39]
.LBB66_939:                             ;   in Loop: Header=BB66_3 Depth=1
	s_or_b32 exec_lo, exec_lo, s65
	s_wait_dscnt 0x0
	s_barrier_signal -1
	s_barrier_wait -1
	s_barrier_signal -1
	s_barrier_wait -1
	s_and_saveexec_b32 s65, s3
; %bb.940:                              ;   in Loop: Header=BB66_3 Depth=1
	ds_store_b64 v60, v[36:37] offset:7680
; %bb.941:                              ;   in Loop: Header=BB66_3 Depth=1
	s_or_b32 exec_lo, exec_lo, s65
	s_wait_dscnt 0x0
	s_barrier_signal -1
	s_barrier_wait -1
	s_barrier_signal -1
	s_barrier_wait -1
	s_and_saveexec_b32 s65, s50
	s_cbranch_execz .LBB66_943
; %bb.942:                              ;   in Loop: Header=BB66_3 Depth=1
	ds_load_b64 v[36:37], v73 offset:4096
	s_wait_dscnt 0x0
	ds_store_b64 v74, v[36:37] offset:64
	ds_load_b64 v[36:37], v73 offset:4104
	s_wait_dscnt 0x0
	ds_store_b64 v74, v[36:37] offset:576
	;; [unrolled: 3-line block ×8, first 2 shown]
.LBB66_943:                             ;   in Loop: Header=BB66_3 Depth=1
	s_or_b32 exec_lo, exec_lo, s65
	s_wait_dscnt 0x0
	s_barrier_signal -1
	s_barrier_wait -1
	s_and_saveexec_b32 s65, s14
	s_cbranch_execz .LBB66_945
; %bb.944:                              ;   in Loop: Header=BB66_3 Depth=1
	v_add_nc_u32_e64 v4, 48, 0
	ds_load_b64 v[40:41], v5 offset:3640
	ds_load_2addr_stride64_b64 v[36:39], v4 offset0:6 offset1:7
	s_wait_dscnt 0x0
	v_dual_mul_f32 v42, v41, v37 :: v_dual_mul_f32 v4, v40, v37
	s_delay_alu instid0(VALU_DEP_1) | instskip(NEXT) | instid1(VALU_DEP_1)
	v_xor_b32_e32 v42, 0x80000000, v42
	v_dual_fmac_f32 v4, v41, v36 :: v_dual_fmac_f32 v42, v40, v36
	s_delay_alu instid0(VALU_DEP_1) | instskip(SKIP_1) | instid1(VALU_DEP_2)
	v_pk_mul_f32 v[36:37], v[4:5], v[38:39] op_sel:[0,1] op_sel_hi:[0,0]
	v_add_nc_u32_e64 v4, 0x800, 0
	v_pk_fma_f32 v[40:41], v[42:43], v[38:39], v[36:37] op_sel_hi:[0,1,1]
	v_pk_fma_f32 v[36:37], v[42:43], v[38:39], v[36:37] neg_lo:[0,0,1] neg_hi:[0,0,1]
	s_delay_alu instid0(VALU_DEP_2)
	v_mov_b32_e32 v37, v41
	ds_store_2addr_b64 v4, v[36:37], v[36:37] offset0:135 offset1:198
.LBB66_945:                             ;   in Loop: Header=BB66_3 Depth=1
	s_or_b32 exec_lo, exec_lo, s65
	v_dual_mov_b32 v36, 0 :: v_dual_mov_b32 v37, 0
	s_wait_dscnt 0x0
	s_barrier_signal -1
	s_barrier_wait -1
	global_wb scope:SCOPE_DEV
	s_wait_storecnt 0x0
	global_inv scope:SCOPE_DEV
	s_and_saveexec_b32 s65, s0
	s_cbranch_execz .LBB66_949
; %bb.946:                              ;   in Loop: Header=BB66_3 Depth=1
	ds_load_b64 v[36:37], v45 offset:3104
	ds_load_b64 v[38:39], v46 offset:3632
	s_wait_dscnt 0x0
	v_pk_mul_f32 v[40:41], v[38:39], v[36:37] op_sel:[1,1] op_sel_hi:[0,1]
	s_delay_alu instid0(VALU_DEP_1) | instskip(SKIP_1) | instid1(VALU_DEP_2)
	v_pk_fma_f32 v[94:95], v[38:39], v[36:37], v[40:41] op_sel_hi:[1,0,1]
	v_pk_fma_f32 v[36:37], v[38:39], v[36:37], v[40:41] neg_lo:[0,0,1] neg_hi:[0,0,1]
	v_mov_b32_e32 v37, v95
	s_delay_alu instid0(VALU_DEP_1)
	v_pk_add_f32 v[36:37], v[36:37], 0 op_sel_hi:[1,0]
	s_and_saveexec_b32 s68, s15
	s_cbranch_execz .LBB66_948
; %bb.947:                              ;   in Loop: Header=BB66_3 Depth=1
	ds_load_b64 v[38:39], v74 offset:3616
	ds_load_b64 v[40:41], v5 offset:3640
	s_wait_dscnt 0x0
	v_pk_mul_f32 v[94:95], v[40:41], v[38:39] op_sel:[1,1] op_sel_hi:[0,1]
	s_delay_alu instid0(VALU_DEP_1) | instskip(SKIP_1) | instid1(VALU_DEP_2)
	v_pk_fma_f32 v[96:97], v[40:41], v[38:39], v[94:95] op_sel_hi:[1,0,1]
	v_pk_fma_f32 v[38:39], v[40:41], v[38:39], v[94:95] neg_lo:[0,0,1] neg_hi:[0,0,1]
	v_mov_b32_e32 v39, v97
	s_delay_alu instid0(VALU_DEP_1)
	v_pk_add_f32 v[36:37], v[36:37], v[38:39]
.LBB66_948:                             ;   in Loop: Header=BB66_3 Depth=1
	s_or_b32 exec_lo, exec_lo, s68
.LBB66_949:                             ;   in Loop: Header=BB66_3 Depth=1
	s_delay_alu instid0(SALU_CYCLE_1)
	s_or_b32 exec_lo, exec_lo, s65
	s_and_saveexec_b32 s65, s94
	s_cbranch_execz .LBB66_951
; %bb.950:                              ;   in Loop: Header=BB66_3 Depth=1
	ds_load_b64 v[38:39], v5 offset:2600
	s_wait_dscnt 0x0
	v_pk_mul_f32 v[40:41], v[36:37], v[38:39] op_sel:[1,1] op_sel_hi:[1,0]
	s_delay_alu instid0(VALU_DEP_1) | instskip(SKIP_1) | instid1(VALU_DEP_2)
	v_pk_fma_f32 v[94:95], v[36:37], v[38:39], v[40:41] op_sel_hi:[0,1,1]
	v_pk_fma_f32 v[36:37], v[36:37], v[38:39], v[40:41] neg_lo:[0,0,1] neg_hi:[0,0,1]
	v_mov_b32_e32 v37, v95
	s_delay_alu instid0(VALU_DEP_1)
	v_pk_add_f32 v[38:39], v[36:37], 0 neg_lo:[1,1] neg_hi:[1,1]
	ds_store_b64 v3, v[38:39]
.LBB66_951:                             ;   in Loop: Header=BB66_3 Depth=1
	s_or_b32 exec_lo, exec_lo, s65
	s_wait_loadcnt_dscnt 0x0
	s_barrier_signal -1
	s_barrier_wait -1
	s_and_saveexec_b32 s65, s95
	s_cbranch_execz .LBB66_953
; %bb.952:                              ;   in Loop: Header=BB66_3 Depth=1
	ds_load_b64 v[38:39], v5 offset:2592
	ds_load_b64 v[40:41], v3
	s_wait_dscnt 0x0
	v_pk_mul_f32 v[94:95], v[40:41], v[38:39] op_sel:[1,1] op_sel_hi:[0,1]
	s_delay_alu instid0(VALU_DEP_1) | instskip(SKIP_1) | instid1(VALU_DEP_2)
	v_pk_fma_f32 v[96:97], v[40:41], v[38:39], v[94:95] op_sel_hi:[1,0,1]
	v_pk_fma_f32 v[38:39], v[40:41], v[38:39], v[94:95] neg_lo:[0,0,1] neg_hi:[0,0,1]
	v_mov_b32_e32 v39, v97
	s_delay_alu instid0(VALU_DEP_1)
	v_pk_add_f32 v[36:37], v[36:37], v[38:39] neg_lo:[0,1] neg_hi:[0,1]
.LBB66_953:                             ;   in Loop: Header=BB66_3 Depth=1
	s_or_b32 exec_lo, exec_lo, s65
	s_barrier_signal -1
	s_barrier_wait -1
	s_and_saveexec_b32 s65, s95
	s_cbranch_execz .LBB66_955
; %bb.954:                              ;   in Loop: Header=BB66_3 Depth=1
	ds_load_b64 v[38:39], v5 offset:2080
	s_wait_dscnt 0x0
	v_pk_mul_f32 v[40:41], v[36:37], v[38:39] op_sel:[1,1] op_sel_hi:[1,0]
	s_delay_alu instid0(VALU_DEP_1) | instskip(SKIP_1) | instid1(VALU_DEP_2)
	v_pk_fma_f32 v[94:95], v[36:37], v[38:39], v[40:41] op_sel_hi:[0,1,1]
	v_pk_fma_f32 v[36:37], v[36:37], v[38:39], v[40:41] neg_lo:[0,0,1] neg_hi:[0,0,1]
	v_mov_b32_e32 v37, v95
	s_delay_alu instid0(VALU_DEP_1)
	v_pk_add_f32 v[38:39], v[36:37], 0 neg_lo:[1,1] neg_hi:[1,1]
	ds_store_b64 v3, v[38:39]
.LBB66_955:                             ;   in Loop: Header=BB66_3 Depth=1
	s_or_b32 exec_lo, exec_lo, s65
	s_wait_dscnt 0x0
	s_barrier_signal -1
	s_barrier_wait -1
	s_barrier_signal -1
	s_barrier_wait -1
	s_and_saveexec_b32 s65, s0
; %bb.956:                              ;   in Loop: Header=BB66_3 Depth=1
	ds_store_b64 v48, v[36:37] offset:3616
; %bb.957:                              ;   in Loop: Header=BB66_3 Depth=1
	s_or_b32 exec_lo, exec_lo, s65
	s_wait_dscnt 0x0
	s_barrier_signal -1
	s_barrier_wait -1
	s_barrier_signal -1
	s_barrier_wait -1
	s_and_saveexec_b32 s65, s96
	s_cbranch_execz .LBB66_959
; %bb.958:                              ;   in Loop: Header=BB66_3 Depth=1
	ds_load_b64 v[36:37], v75 offset:3104
	s_wait_dscnt 0x0
	ds_store_b64 v74, v[36:37] offset:2096
	ds_load_b64 v[36:37], v75 offset:3112
	s_wait_dscnt 0x0
	ds_store_b64 v74, v[36:37] offset:2608
.LBB66_959:                             ;   in Loop: Header=BB66_3 Depth=1
	s_or_b32 exec_lo, exec_lo, s65
	s_wait_dscnt 0x0
	s_barrier_signal -1
	s_barrier_wait -1
	s_and_saveexec_b32 s65, s14
	s_cbranch_execz .LBB66_961
; %bb.960:                              ;   in Loop: Header=BB66_3 Depth=1
	v_add_nc_u32_e64 v4, 32, 0
	ds_load_b64 v[40:41], v5 offset:2600
	ds_load_2addr_stride64_b64 v[36:39], v4 offset0:4 offset1:5
	s_wait_dscnt 0x0
	v_dual_mul_f32 v42, v41, v37 :: v_dual_mul_f32 v4, v40, v37
	s_delay_alu instid0(VALU_DEP_1) | instskip(NEXT) | instid1(VALU_DEP_1)
	v_xor_b32_e32 v42, 0x80000000, v42
	v_dual_fmac_f32 v4, v41, v36 :: v_dual_fmac_f32 v42, v40, v36
	s_delay_alu instid0(VALU_DEP_1) | instskip(SKIP_1) | instid1(VALU_DEP_2)
	v_pk_mul_f32 v[36:37], v[4:5], v[38:39] op_sel:[0,1] op_sel_hi:[0,0]
	v_add_nc_u32_e64 v4, 0x800, 0
	v_pk_fma_f32 v[40:41], v[42:43], v[38:39], v[36:37] op_sel_hi:[0,1,1]
	v_pk_fma_f32 v[36:37], v[42:43], v[38:39], v[36:37] neg_lo:[0,0,1] neg_hi:[0,0,1]
	s_delay_alu instid0(VALU_DEP_2)
	v_mov_b32_e32 v37, v41
	ds_store_2addr_b64 v4, v[36:37], v[36:37] offset0:5 offset1:68
.LBB66_961:                             ;   in Loop: Header=BB66_3 Depth=1
	s_or_b32 exec_lo, exec_lo, s65
	v_mov_b64_e32 v[36:37], 0
	s_wait_dscnt 0x0
	s_barrier_signal -1
	s_barrier_wait -1
	global_wb scope:SCOPE_DEV
	s_wait_storecnt 0x0
	global_inv scope:SCOPE_DEV
	s_and_saveexec_b32 s65, s2
	s_cbranch_execz .LBB66_967
; %bb.962:                              ;   in Loop: Header=BB66_3 Depth=1
	ds_load_b64 v[36:37], v51 offset:2048
	ds_load_b64 v[38:39], v52 offset:3616
	s_wait_dscnt 0x0
	v_dual_mul_f32 v4, v39, v37 :: v_dual_mul_f32 v37, v38, v37
	s_delay_alu instid0(VALU_DEP_1) | instskip(NEXT) | instid1(VALU_DEP_1)
	v_dual_fma_f32 v4, v38, v36, -v4 :: v_dual_fmac_f32 v37, v39, v36
	v_dual_add_f32 v36, 0, v4 :: v_dual_add_f32 v37, 0, v37
	s_and_saveexec_b32 s68, s16
	s_cbranch_execnz .LBB66_1172
; %bb.963:                              ;   in Loop: Header=BB66_3 Depth=1
	s_or_b32 exec_lo, exec_lo, s68
	s_and_saveexec_b32 s68, s17
	s_cbranch_execnz .LBB66_1173
.LBB66_964:                             ;   in Loop: Header=BB66_3 Depth=1
	s_or_b32 exec_lo, exec_lo, s68
	s_and_saveexec_b32 s68, s0
	s_cbranch_execz .LBB66_966
.LBB66_965:                             ;   in Loop: Header=BB66_3 Depth=1
	ds_load_b64 v[38:39], v76 offset:3584
	ds_load_b64 v[40:41], v5 offset:3640
	s_wait_dscnt 0x0
	v_dual_mul_f32 v4, v41, v39 :: v_dual_mul_f32 v39, v40, v39
	s_delay_alu instid0(VALU_DEP_1) | instskip(NEXT) | instid1(VALU_DEP_1)
	v_dual_fma_f32 v4, v40, v38, -v4 :: v_dual_fmac_f32 v39, v41, v38
	v_dual_add_f32 v36, v36, v4 :: v_dual_add_f32 v37, v37, v39
.LBB66_966:                             ;   in Loop: Header=BB66_3 Depth=1
	s_or_b32 exec_lo, exec_lo, s68
.LBB66_967:                             ;   in Loop: Header=BB66_3 Depth=1
	s_delay_alu instid0(SALU_CYCLE_1)
	s_or_b32 exec_lo, exec_lo, s65
	s_and_saveexec_b32 s65, s97
	s_cbranch_execz .LBB66_969
; %bb.968:                              ;   in Loop: Header=BB66_3 Depth=1
	ds_load_b64 v[38:39], v5 offset:1560
	s_wait_dscnt 0x0
	v_dual_mul_f32 v4, v37, v38 :: v_dual_mul_f32 v40, v37, v39
	s_delay_alu instid0(VALU_DEP_1) | instskip(NEXT) | instid1(VALU_DEP_2)
	v_pk_fma_f32 v[94:95], v[36:37], v[38:39], v[4:5] op_sel:[1,0,0] op_sel_hi:[0,1,0]
	v_pk_fma_f32 v[36:37], v[36:37], v[38:39], v[40:41] op_sel_hi:[1,1,0] neg_lo:[0,0,1] neg_hi:[0,0,1]
	s_delay_alu instid0(VALU_DEP_2) | instskip(NEXT) | instid1(VALU_DEP_1)
	v_mov_b32_e32 v37, v95
	v_pk_add_f32 v[38:39], v[36:37], 0 neg_lo:[1,1] neg_hi:[1,1]
	ds_store_b64 v50, v[38:39]
.LBB66_969:                             ;   in Loop: Header=BB66_3 Depth=1
	s_or_b32 exec_lo, exec_lo, s65
	s_wait_loadcnt_dscnt 0x0
	s_barrier_signal -1
	s_barrier_wait -1
	s_and_saveexec_b32 s65, s98
	s_cbranch_execz .LBB66_971
; %bb.970:                              ;   in Loop: Header=BB66_3 Depth=1
	ds_load_b64 v[38:39], v51 offset:1536
	ds_load_b64 v[40:41], v50
	s_wait_dscnt 0x0
	v_pk_mul_f32 v[94:95], v[40:41], v[38:39] op_sel:[1,1] op_sel_hi:[0,1]
	s_delay_alu instid0(VALU_DEP_1) | instskip(SKIP_1) | instid1(VALU_DEP_2)
	v_pk_fma_f32 v[96:97], v[40:41], v[38:39], v[94:95] op_sel_hi:[1,0,1]
	v_pk_fma_f32 v[38:39], v[40:41], v[38:39], v[94:95] neg_lo:[0,0,1] neg_hi:[0,0,1]
	v_mov_b32_e32 v39, v97
	s_delay_alu instid0(VALU_DEP_1)
	v_pk_add_f32 v[36:37], v[36:37], v[38:39] neg_lo:[0,1] neg_hi:[0,1]
.LBB66_971:                             ;   in Loop: Header=BB66_3 Depth=1
	s_or_b32 exec_lo, exec_lo, s65
	s_barrier_signal -1
	s_barrier_wait -1
	s_and_saveexec_b32 s65, s99
	s_cbranch_execz .LBB66_973
; %bb.972:                              ;   in Loop: Header=BB66_3 Depth=1
	ds_load_b64 v[38:39], v5 offset:1040
	s_wait_dscnt 0x0
	v_pk_mul_f32 v[40:41], v[36:37], v[38:39] op_sel:[1,1] op_sel_hi:[1,0]
	s_delay_alu instid0(VALU_DEP_1) | instskip(SKIP_1) | instid1(VALU_DEP_2)
	v_pk_fma_f32 v[94:95], v[36:37], v[38:39], v[40:41] op_sel_hi:[0,1,1]
	v_pk_fma_f32 v[36:37], v[36:37], v[38:39], v[40:41] neg_lo:[0,0,1] neg_hi:[0,0,1]
	v_mov_b32_e32 v37, v95
	s_delay_alu instid0(VALU_DEP_1)
	v_pk_add_f32 v[38:39], v[36:37], 0 neg_lo:[1,1] neg_hi:[1,1]
	ds_store_b64 v50, v[38:39]
.LBB66_973:                             ;   in Loop: Header=BB66_3 Depth=1
	s_or_b32 exec_lo, exec_lo, s65
	s_wait_dscnt 0x0
	s_barrier_signal -1
	s_barrier_wait -1
	s_and_saveexec_b32 s65, s100
	s_cbranch_execz .LBB66_975
; %bb.974:                              ;   in Loop: Header=BB66_3 Depth=1
	ds_load_b64 v[38:39], v51 offset:1024
	ds_load_b64 v[40:41], v50
	s_wait_dscnt 0x0
	v_pk_mul_f32 v[94:95], v[40:41], v[38:39] op_sel:[1,1] op_sel_hi:[0,1]
	s_delay_alu instid0(VALU_DEP_1) | instskip(SKIP_1) | instid1(VALU_DEP_2)
	v_pk_fma_f32 v[96:97], v[40:41], v[38:39], v[94:95] op_sel_hi:[1,0,1]
	v_pk_fma_f32 v[38:39], v[40:41], v[38:39], v[94:95] neg_lo:[0,0,1] neg_hi:[0,0,1]
	v_mov_b32_e32 v39, v97
	s_delay_alu instid0(VALU_DEP_1)
	v_pk_add_f32 v[36:37], v[36:37], v[38:39] neg_lo:[0,1] neg_hi:[0,1]
.LBB66_975:                             ;   in Loop: Header=BB66_3 Depth=1
	s_or_b32 exec_lo, exec_lo, s65
	s_barrier_signal -1
	s_barrier_wait -1
	s_and_saveexec_b32 s65, s101
	s_cbranch_execz .LBB66_977
; %bb.976:                              ;   in Loop: Header=BB66_3 Depth=1
	ds_load_b64 v[38:39], v5 offset:520
	s_wait_dscnt 0x0
	v_pk_mul_f32 v[40:41], v[36:37], v[38:39] op_sel:[1,1] op_sel_hi:[1,0]
	s_delay_alu instid0(VALU_DEP_1) | instskip(SKIP_1) | instid1(VALU_DEP_2)
	v_pk_fma_f32 v[94:95], v[36:37], v[38:39], v[40:41] op_sel_hi:[0,1,1]
	v_pk_fma_f32 v[36:37], v[36:37], v[38:39], v[40:41] neg_lo:[0,0,1] neg_hi:[0,0,1]
	v_mov_b32_e32 v37, v95
	s_delay_alu instid0(VALU_DEP_1)
	v_pk_add_f32 v[38:39], v[36:37], 0 neg_lo:[1,1] neg_hi:[1,1]
	ds_store_b64 v50, v[38:39]
.LBB66_977:                             ;   in Loop: Header=BB66_3 Depth=1
	s_or_b32 exec_lo, exec_lo, s65
	s_wait_dscnt 0x0
	s_barrier_signal -1
	s_barrier_wait -1
	s_and_saveexec_b32 s65, s102
	s_cbranch_execz .LBB66_979
; %bb.978:                              ;   in Loop: Header=BB66_3 Depth=1
	ds_load_b64 v[38:39], v5 offset:512
	ds_load_b64 v[40:41], v50
	s_wait_dscnt 0x0
	v_pk_mul_f32 v[94:95], v[40:41], v[38:39] op_sel:[1,1] op_sel_hi:[0,1]
	s_delay_alu instid0(VALU_DEP_1) | instskip(SKIP_1) | instid1(VALU_DEP_2)
	v_pk_fma_f32 v[96:97], v[40:41], v[38:39], v[94:95] op_sel_hi:[1,0,1]
	v_pk_fma_f32 v[38:39], v[40:41], v[38:39], v[94:95] neg_lo:[0,0,1] neg_hi:[0,0,1]
	v_mov_b32_e32 v39, v97
	s_delay_alu instid0(VALU_DEP_1)
	v_pk_add_f32 v[36:37], v[36:37], v[38:39] neg_lo:[0,1] neg_hi:[0,1]
.LBB66_979:                             ;   in Loop: Header=BB66_3 Depth=1
	s_or_b32 exec_lo, exec_lo, s65
	s_barrier_signal -1
	s_barrier_wait -1
	s_and_saveexec_b32 s65, s102
	s_cbranch_execz .LBB66_981
; %bb.980:                              ;   in Loop: Header=BB66_3 Depth=1
	ds_load_b64 v[38:39], v5
	s_wait_dscnt 0x0
	v_pk_mul_f32 v[40:41], v[36:37], v[38:39] op_sel:[1,1] op_sel_hi:[1,0]
	s_delay_alu instid0(VALU_DEP_1) | instskip(SKIP_1) | instid1(VALU_DEP_2)
	v_pk_fma_f32 v[94:95], v[36:37], v[38:39], v[40:41] op_sel_hi:[0,1,1]
	v_pk_fma_f32 v[36:37], v[36:37], v[38:39], v[40:41] neg_lo:[0,0,1] neg_hi:[0,0,1]
	v_mov_b32_e32 v37, v95
	s_delay_alu instid0(VALU_DEP_1)
	v_pk_add_f32 v[38:39], v[36:37], 0 neg_lo:[1,1] neg_hi:[1,1]
	ds_store_b64 v50, v[38:39]
.LBB66_981:                             ;   in Loop: Header=BB66_3 Depth=1
	s_or_b32 exec_lo, exec_lo, s65
	s_wait_dscnt 0x0
	s_barrier_signal -1
	s_barrier_wait -1
	s_barrier_signal -1
	s_barrier_wait -1
	s_and_saveexec_b32 s65, s2
; %bb.982:                              ;   in Loop: Header=BB66_3 Depth=1
	ds_store_b64 v55, v[36:37] offset:3584
; %bb.983:                              ;   in Loop: Header=BB66_3 Depth=1
	s_or_b32 exec_lo, exec_lo, s65
	s_wait_dscnt 0x0
	s_barrier_signal -1
	s_barrier_wait -1
	s_barrier_signal -1
	s_barrier_wait -1
	s_and_saveexec_b32 s65, s103
	s_cbranch_execz .LBB66_985
; %bb.984:                              ;   in Loop: Header=BB66_3 Depth=1
	ds_load_b64 v[36:37], v79 offset:2048
	s_wait_dscnt 0x0
	ds_store_b64 v82, v[36:37] offset:32
	ds_load_b64 v[36:37], v79 offset:2056
	s_wait_dscnt 0x0
	ds_store_b64 v82, v[36:37] offset:544
	;; [unrolled: 3-line block ×4, first 2 shown]
.LBB66_985:                             ;   in Loop: Header=BB66_3 Depth=1
	s_or_b32 exec_lo, exec_lo, s65
	s_wait_dscnt 0x0
	s_barrier_signal -1
	s_barrier_wait -1
	s_and_saveexec_b32 s65, s14
	s_cbranch_execz .LBB66_987
; %bb.986:                              ;   in Loop: Header=BB66_3 Depth=1
	ds_load_2addr_b64 v[36:39], v5 offset0:130 offset1:194
	ds_load_b64 v[40:41], v5 offset:1560
	s_wait_dscnt 0x0
	v_dual_mul_f32 v42, v41, v37 :: v_dual_mul_f32 v4, v40, v37
	s_delay_alu instid0(VALU_DEP_1) | instskip(NEXT) | instid1(VALU_DEP_1)
	v_xor_b32_e32 v42, 0x80000000, v42
	v_dual_fmac_f32 v4, v41, v36 :: v_dual_fmac_f32 v42, v40, v36
	s_delay_alu instid0(VALU_DEP_1) | instskip(NEXT) | instid1(VALU_DEP_1)
	v_pk_mul_f32 v[36:37], v[4:5], v[38:39] op_sel:[0,1] op_sel_hi:[0,0]
	v_pk_fma_f32 v[40:41], v[42:43], v[38:39], v[36:37] op_sel_hi:[0,1,1]
	v_pk_fma_f32 v[36:37], v[42:43], v[38:39], v[36:37] neg_lo:[0,0,1] neg_hi:[0,0,1]
	s_delay_alu instid0(VALU_DEP_2)
	v_mov_b32_e32 v37, v41
	ds_store_2addr_b64 v5, v[36:37], v[36:37] offset0:131 offset1:194
.LBB66_987:                             ;   in Loop: Header=BB66_3 Depth=1
	s_or_b32 exec_lo, exec_lo, s65
	v_dual_mov_b32 v36, 0 :: v_dual_mov_b32 v37, 0
	s_wait_dscnt 0x0
	s_barrier_signal -1
	s_barrier_wait -1
	global_wb scope:SCOPE_DEV
	s_wait_storecnt 0x0
	global_inv scope:SCOPE_DEV
	s_and_saveexec_b32 s65, s0
	s_cbranch_execz .LBB66_991
; %bb.988:                              ;   in Loop: Header=BB66_3 Depth=1
	ds_load_b64 v[36:37], v45 offset:1024
	ds_load_b64 v[38:39], v46 offset:1552
	s_wait_dscnt 0x0
	v_pk_mul_f32 v[40:41], v[38:39], v[36:37] op_sel:[1,1] op_sel_hi:[0,1]
	s_delay_alu instid0(VALU_DEP_1) | instskip(SKIP_1) | instid1(VALU_DEP_2)
	v_pk_fma_f32 v[94:95], v[38:39], v[36:37], v[40:41] op_sel_hi:[1,0,1]
	v_pk_fma_f32 v[36:37], v[38:39], v[36:37], v[40:41] neg_lo:[0,0,1] neg_hi:[0,0,1]
	v_mov_b32_e32 v37, v95
	s_delay_alu instid0(VALU_DEP_1)
	v_pk_add_f32 v[36:37], v[36:37], 0 op_sel_hi:[1,0]
	s_and_saveexec_b32 s68, s15
	s_cbranch_execz .LBB66_990
; %bb.989:                              ;   in Loop: Header=BB66_3 Depth=1
	ds_load_b64 v[38:39], v82 offset:1536
	ds_load_b64 v[40:41], v5 offset:1560
	s_wait_dscnt 0x0
	v_pk_mul_f32 v[94:95], v[40:41], v[38:39] op_sel:[1,1] op_sel_hi:[0,1]
	s_delay_alu instid0(VALU_DEP_1) | instskip(SKIP_1) | instid1(VALU_DEP_2)
	v_pk_fma_f32 v[96:97], v[40:41], v[38:39], v[94:95] op_sel_hi:[1,0,1]
	v_pk_fma_f32 v[38:39], v[40:41], v[38:39], v[94:95] neg_lo:[0,0,1] neg_hi:[0,0,1]
	v_mov_b32_e32 v39, v97
	s_delay_alu instid0(VALU_DEP_1)
	v_pk_add_f32 v[36:37], v[36:37], v[38:39]
.LBB66_990:                             ;   in Loop: Header=BB66_3 Depth=1
	s_or_b32 exec_lo, exec_lo, s68
.LBB66_991:                             ;   in Loop: Header=BB66_3 Depth=1
	s_delay_alu instid0(SALU_CYCLE_1)
	s_or_b32 exec_lo, exec_lo, s65
	s_and_saveexec_b32 s65, s94
	s_cbranch_execz .LBB66_993
; %bb.992:                              ;   in Loop: Header=BB66_3 Depth=1
	ds_load_b64 v[38:39], v5 offset:520
	s_wait_dscnt 0x0
	v_pk_mul_f32 v[40:41], v[36:37], v[38:39] op_sel:[1,1] op_sel_hi:[1,0]
	s_delay_alu instid0(VALU_DEP_1) | instskip(SKIP_1) | instid1(VALU_DEP_2)
	v_pk_fma_f32 v[94:95], v[36:37], v[38:39], v[40:41] op_sel_hi:[0,1,1]
	v_pk_fma_f32 v[36:37], v[36:37], v[38:39], v[40:41] neg_lo:[0,0,1] neg_hi:[0,0,1]
	v_mov_b32_e32 v37, v95
	s_delay_alu instid0(VALU_DEP_1)
	v_pk_add_f32 v[38:39], v[36:37], 0 neg_lo:[1,1] neg_hi:[1,1]
	ds_store_b64 v3, v[38:39]
.LBB66_993:                             ;   in Loop: Header=BB66_3 Depth=1
	s_or_b32 exec_lo, exec_lo, s65
	s_wait_loadcnt_dscnt 0x0
	s_barrier_signal -1
	s_barrier_wait -1
	s_and_saveexec_b32 s65, s95
	s_cbranch_execz .LBB66_995
; %bb.994:                              ;   in Loop: Header=BB66_3 Depth=1
	ds_load_b64 v[38:39], v5 offset:512
	ds_load_b64 v[40:41], v3
	s_wait_dscnt 0x0
	v_pk_mul_f32 v[94:95], v[40:41], v[38:39] op_sel:[1,1] op_sel_hi:[0,1]
	s_delay_alu instid0(VALU_DEP_1) | instskip(SKIP_1) | instid1(VALU_DEP_2)
	v_pk_fma_f32 v[96:97], v[40:41], v[38:39], v[94:95] op_sel_hi:[1,0,1]
	v_pk_fma_f32 v[38:39], v[40:41], v[38:39], v[94:95] neg_lo:[0,0,1] neg_hi:[0,0,1]
	v_mov_b32_e32 v39, v97
	s_delay_alu instid0(VALU_DEP_1)
	v_pk_add_f32 v[36:37], v[36:37], v[38:39] neg_lo:[0,1] neg_hi:[0,1]
.LBB66_995:                             ;   in Loop: Header=BB66_3 Depth=1
	s_or_b32 exec_lo, exec_lo, s65
	s_barrier_signal -1
	s_barrier_wait -1
	s_and_saveexec_b32 s65, s95
	s_cbranch_execz .LBB66_997
; %bb.996:                              ;   in Loop: Header=BB66_3 Depth=1
	ds_load_b64 v[38:39], v5
	s_wait_dscnt 0x0
	v_pk_mul_f32 v[40:41], v[36:37], v[38:39] op_sel:[1,1] op_sel_hi:[1,0]
	s_delay_alu instid0(VALU_DEP_1) | instskip(SKIP_1) | instid1(VALU_DEP_2)
	v_pk_fma_f32 v[94:95], v[36:37], v[38:39], v[40:41] op_sel_hi:[0,1,1]
	v_pk_fma_f32 v[36:37], v[36:37], v[38:39], v[40:41] neg_lo:[0,0,1] neg_hi:[0,0,1]
	v_mov_b32_e32 v37, v95
	s_delay_alu instid0(VALU_DEP_1)
	v_pk_add_f32 v[38:39], v[36:37], 0 neg_lo:[1,1] neg_hi:[1,1]
	ds_store_b64 v3, v[38:39]
.LBB66_997:                             ;   in Loop: Header=BB66_3 Depth=1
	s_or_b32 exec_lo, exec_lo, s65
	s_wait_dscnt 0x0
	s_barrier_signal -1
	s_barrier_wait -1
	s_barrier_signal -1
	s_barrier_wait -1
	s_and_saveexec_b32 s65, s0
; %bb.998:                              ;   in Loop: Header=BB66_3 Depth=1
	ds_store_b64 v48, v[36:37] offset:1536
; %bb.999:                              ;   in Loop: Header=BB66_3 Depth=1
	s_or_b32 exec_lo, exec_lo, s65
	s_wait_dscnt 0x0
	s_barrier_signal -1
	s_barrier_wait -1
	s_barrier_signal -1
	s_barrier_wait -1
	s_and_saveexec_b32 s65, s96
	s_cbranch_execz .LBB66_1001
; %bb.1000:                             ;   in Loop: Header=BB66_3 Depth=1
	ds_load_b64 v[36:37], v83 offset:1024
	s_wait_dscnt 0x0
	ds_store_b64 v82, v[36:37] offset:16
	ds_load_b64 v[36:37], v83 offset:1032
	s_wait_dscnt 0x0
	ds_store_b64 v82, v[36:37] offset:528
.LBB66_1001:                            ;   in Loop: Header=BB66_3 Depth=1
	s_or_b32 exec_lo, exec_lo, s65
	s_wait_dscnt 0x0
	s_barrier_signal -1
	s_barrier_wait -1
	s_and_saveexec_b32 s65, s14
	s_cbranch_execz .LBB66_1003
; %bb.1002:                             ;   in Loop: Header=BB66_3 Depth=1
	ds_load_2addr_stride64_b64 v[36:39], v5 offset1:1
	ds_load_b64 v[40:41], v5 offset:520
	s_wait_dscnt 0x0
	v_dual_mul_f32 v42, v41, v37 :: v_dual_mul_f32 v4, v40, v37
	s_delay_alu instid0(VALU_DEP_1) | instskip(NEXT) | instid1(VALU_DEP_1)
	v_xor_b32_e32 v42, 0x80000000, v42
	v_dual_fmac_f32 v4, v41, v36 :: v_dual_fmac_f32 v42, v40, v36
	s_delay_alu instid0(VALU_DEP_1) | instskip(NEXT) | instid1(VALU_DEP_1)
	v_pk_mul_f32 v[36:37], v[4:5], v[38:39] op_sel:[0,1] op_sel_hi:[0,0]
	v_pk_fma_f32 v[40:41], v[42:43], v[38:39], v[36:37] op_sel_hi:[0,1,1]
	v_pk_fma_f32 v[36:37], v[42:43], v[38:39], v[36:37] neg_lo:[0,0,1] neg_hi:[0,0,1]
	s_delay_alu instid0(VALU_DEP_2)
	v_mov_b32_e32 v37, v41
	ds_store_2addr_b64 v5, v[36:37], v[36:37] offset0:1 offset1:64
.LBB66_1003:                            ;   in Loop: Header=BB66_3 Depth=1
	s_or_b32 exec_lo, exec_lo, s65
.LBB66_1004:                            ;   in Loop: Header=BB66_3 Depth=1
	v_readlane_b32 s84, v104, 2
	v_mov_b64_e32 v[36:37], 0
	v_readlane_b32 s85, v104, 3
	s_mul_u64 s[68:69], s[74:75], s[76:77]
	s_wait_dscnt 0x0
	s_lshl_b64 s[68:69], s[68:69], 3
	s_barrier_signal -1
	s_add_nc_u64 s[84:85], s[84:85], s[68:69]
	s_barrier_wait -1
	s_and_saveexec_b32 s65, s70
	s_cbranch_execz .LBB66_1006
; %bb.1005:                             ;   in Loop: Header=BB66_3 Depth=1
	v_lshl_add_u64 v[36:37], v[0:1], 3, s[84:85]
	v_readlane_b32 s68, v104, 24
	v_readlane_b32 s69, v104, 25
	global_load_b64 v[36:37], v[36:37], off
	v_mov_b64_e32 v[38:39], s[68:69]
	v_readlane_b32 s68, v104, 26
	v_readlane_b32 s69, v104, 27
	s_delay_alu instid0(VALU_DEP_1) | instskip(SKIP_1) | instid1(VALU_DEP_4)
	v_mov_b64_e32 v[40:41], s[68:69]
	s_wait_loadcnt 0x0
	v_pk_mul_f32 v[38:39], v[38:39], v[36:37]
	s_delay_alu instid0(VALU_DEP_1)
	v_pk_fma_f32 v[36:37], v[40:41], v[36:37], v[38:39] op_sel:[0,0,1] op_sel_hi:[1,1,0] neg_lo:[1,0,0] neg_hi:[1,0,0]
.LBB66_1006:                            ;   in Loop: Header=BB66_3 Depth=1
	s_or_b32 exec_lo, exec_lo, s65
	s_delay_alu instid0(SALU_CYCLE_1)
	s_and_not1_b32 vcc_lo, exec_lo, s71
	s_cbranch_vccnz .LBB66_1041
; %bb.1007:                             ;   in Loop: Header=BB66_3 Depth=1
	v_mov_b32_e32 v94, -1
	s_lshl_b64 s[68:69], s[76:77], 2
	s_delay_alu instid0(SALU_CYCLE_1)
	s_add_nc_u64 s[86:87], s[78:79], s[68:69]
	s_mov_b32 s68, 0
	s_branch .LBB66_1010
.LBB66_1008:                            ;   in Loop: Header=BB66_1010 Depth=2
	s_wait_xcnt 0x0
	ds_load_b64 v[38:39], v84 offset:384
	s_wait_loadcnt_dscnt 0x0
	v_pk_mul_f32 v[40:41], v[40:41], v[38:39] op_sel:[0,1] op_sel_hi:[0,0]
	s_delay_alu instid0(VALU_DEP_1) | instskip(SKIP_1) | instid1(VALU_DEP_2)
	v_pk_fma_f32 v[96:97], v[4:5], v[38:39], v[40:41] op_sel_hi:[0,1,1] neg_lo:[0,0,1] neg_hi:[0,0,1]
	v_pk_fma_f32 v[38:39], v[4:5], v[38:39], v[40:41]
	v_mov_b32_e32 v39, v97
	s_delay_alu instid0(VALU_DEP_1)
	v_pk_add_f32 v[36:37], v[36:37], v[38:39]
.LBB66_1009:                            ;   in Loop: Header=BB66_1010 Depth=2
	s_or_b32 exec_lo, exec_lo, s65
	s_add_co_i32 s68, s68, 1
	s_delay_alu instid0(SALU_CYCLE_1)
	s_cmp_eq_u32 s68, s90
	s_cbranch_scc1 .LBB66_1041
.LBB66_1010:                            ;   Parent Loop BB66_3 Depth=1
                                        ; =>  This Loop Header: Depth=2
                                        ;       Child Loop BB66_1012 Depth 3
	v_cmp_gt_i32_e32 vcc_lo, s68, v94
	s_and_b32 s69, s36, vcc_lo
	s_delay_alu instid0(SALU_CYCLE_1)
	s_and_saveexec_b32 s65, s69
	s_cbranch_execz .LBB66_1013
; %bb.1011:                             ;   in Loop: Header=BB66_1010 Depth=2
	global_load_b32 v94, v5, s[86:87]
	s_wait_loadcnt 0x0
	v_cmp_le_i32_e32 vcc_lo, s68, v94
	s_cbranch_vccnz .LBB66_1013
.LBB66_1012:                            ;   Parent Loop BB66_3 Depth=1
                                        ;     Parent Loop BB66_1010 Depth=2
                                        ; =>    This Inner Loop Header: Depth=3
	global_wb scope:SCOPE_DEV
	s_wait_storecnt 0x0
	global_inv scope:SCOPE_DEV
	global_load_b32 v94, v5, s[86:87]
	s_wait_loadcnt 0x0
	v_cmp_gt_i32_e32 vcc_lo, s68, v94
	s_cbranch_vccnz .LBB66_1012
.LBB66_1013:                            ;   in Loop: Header=BB66_1010 Depth=2
	s_or_b32 exec_lo, exec_lo, s65
	s_lshl_b32 s65, s68, 6
	global_wb scope:SCOPE_DEV
	s_wait_storecnt 0x0
	global_inv scope:SCOPE_DEV
	s_wait_loadcnt 0x0
	s_barrier_signal -1
	s_barrier_wait -1
	s_and_saveexec_b32 s69, s37
	s_cbranch_execz .LBB66_1018
; %bb.1014:                             ;   in Loop: Header=BB66_1010 Depth=2
	v_or_b32_e32 v4, s65, v6
	s_delay_alu instid0(VALU_DEP_1) | instskip(SKIP_1) | instid1(SALU_CYCLE_1)
	v_cmp_le_i32_e32 vcc_lo, s89, v4
	s_and_saveexec_b32 s91, vcc_lo
	s_xor_b32 vcc_lo, exec_lo, s91
; %bb.1015:                             ;   in Loop: Header=BB66_1010 Depth=2
	ds_store_b64 v86, v[24:25]
; %bb.1016:                             ;   in Loop: Header=BB66_1010 Depth=2
	s_and_not1_saveexec_b32 s51, vcc_lo
	s_cbranch_execz .LBB66_1018
; %bb.1017:                             ;   in Loop: Header=BB66_1010 Depth=2
	v_mul_u64_e32 v[38:39], s[72:73], v[4:5]
	s_delay_alu instid0(VALU_DEP_1)
	v_lshl_add_u64 v[38:39], v[38:39], 3, s[84:85]
	global_load_b64 v[38:39], v[38:39], off
	s_wait_loadcnt 0x0
	ds_store_b64 v86, v[38:39]
.LBB66_1018:                            ;   in Loop: Header=BB66_1010 Depth=2
	s_or_b32 exec_lo, exec_lo, s69
	v_add_nc_u32_e32 v4, s65, v43
	v_cmp_ne_u32_e32 vcc_lo, s68, v44
	s_wait_dscnt 0x0
	s_barrier_signal -1
	s_barrier_wait -1
	v_cmp_gt_i32_e64 s65, s89, v4
	v_lshl_add_u64 v[38:39], v[4:5], 3, v[34:35]
	v_cndmask_b32_e64 v95, 0, 1, vcc_lo
	s_and_b32 s51, s65, s5
	s_delay_alu instid0(SALU_CYCLE_1)
	s_and_saveexec_b32 s65, s51
	s_cbranch_execz .LBB66_1024
; %bb.1019:                             ;   in Loop: Header=BB66_1010 Depth=2
	v_mov_b32_e32 v40, v26
	s_and_not1_b32 vcc_lo, exec_lo, vcc_lo
	s_cbranch_vccnz .LBB66_1021
; %bb.1020:                             ;   in Loop: Header=BB66_1010 Depth=2
	global_load_b32 v40, v[38:39], off
.LBB66_1021:                            ;   in Loop: Header=BB66_1010 Depth=2
	v_cmp_ne_u32_e32 vcc_lo, 1, v95
	v_mov_b32_e32 v42, v27
	s_cbranch_vccnz .LBB66_1023
; %bb.1022:                             ;   in Loop: Header=BB66_1010 Depth=2
	global_load_b32 v42, v[38:39], off offset:4
.LBB66_1023:                            ;   in Loop: Header=BB66_1010 Depth=2
	ds_load_b64 v[96:97], v84
	s_wait_loadcnt_dscnt 0x0
	v_pk_mul_f32 v[98:99], v[42:43], v[96:97] op_sel:[0,1] op_sel_hi:[0,0]
	s_delay_alu instid0(VALU_DEP_1) | instskip(SKIP_1) | instid1(VALU_DEP_2)
	v_pk_fma_f32 v[100:101], v[40:41], v[96:97], v[98:99] op_sel_hi:[0,1,1] neg_lo:[0,0,1] neg_hi:[0,0,1]
	v_pk_fma_f32 v[40:41], v[40:41], v[96:97], v[98:99]
	v_mov_b32_e32 v41, v101
	s_delay_alu instid0(VALU_DEP_1)
	v_pk_add_f32 v[36:37], v[36:37], v[40:41]
.LBB66_1024:                            ;   in Loop: Header=BB66_1010 Depth=2
	s_or_b32 exec_lo, exec_lo, s65
	v_add_nc_u32_e32 v40, 16, v4
	s_delay_alu instid0(VALU_DEP_1) | instskip(SKIP_1) | instid1(SALU_CYCLE_1)
	v_cmp_gt_i32_e32 vcc_lo, s89, v40
	s_and_b32 s51, vcc_lo, s5
	s_and_saveexec_b32 s65, s51
	s_cbranch_execz .LBB66_1030
; %bb.1025:                             ;   in Loop: Header=BB66_1010 Depth=2
	v_cmp_ne_u32_e32 vcc_lo, 1, v95
	v_mov_b32_e32 v40, v28
	s_cbranch_vccnz .LBB66_1027
; %bb.1026:                             ;   in Loop: Header=BB66_1010 Depth=2
	global_load_b32 v40, v[38:39], off offset:128
.LBB66_1027:                            ;   in Loop: Header=BB66_1010 Depth=2
	v_cmp_ne_u32_e32 vcc_lo, 1, v95
	v_mov_b32_e32 v41, v29
	s_cbranch_vccnz .LBB66_1029
; %bb.1028:                             ;   in Loop: Header=BB66_1010 Depth=2
	global_load_b32 v41, v[38:39], off offset:132
.LBB66_1029:                            ;   in Loop: Header=BB66_1010 Depth=2
	ds_load_b64 v[96:97], v84 offset:128
	s_wait_loadcnt 0x0
	v_dual_mov_b32 v98, v41 :: v_dual_mov_b32 v99, v40
	s_wait_dscnt 0x0
	v_dual_mul_f32 v42, v41, v96 :: v_dual_mul_f32 v100, v41, v97
	s_delay_alu instid0(VALU_DEP_1) | instskip(NEXT) | instid1(VALU_DEP_2)
	v_pk_fma_f32 v[98:99], v[98:99], v[96:97], v[42:43] op_sel_hi:[1,1,0] neg_lo:[0,0,1] neg_hi:[0,0,1]
	v_pk_fma_f32 v[40:41], v[40:41], v[96:97], v[100:101] op_sel_hi:[1,1,0]
	s_delay_alu instid0(VALU_DEP_2) | instskip(NEXT) | instid1(VALU_DEP_1)
	v_mov_b32_e32 v41, v99
	v_pk_add_f32 v[36:37], v[36:37], v[40:41]
.LBB66_1030:                            ;   in Loop: Header=BB66_1010 Depth=2
	s_or_b32 exec_lo, exec_lo, s65
	v_add_nc_u32_e32 v40, 32, v4
	s_delay_alu instid0(VALU_DEP_1) | instskip(SKIP_1) | instid1(SALU_CYCLE_1)
	v_cmp_gt_i32_e32 vcc_lo, s89, v40
	s_and_b32 s51, vcc_lo, s5
	s_and_saveexec_b32 s65, s51
	s_cbranch_execz .LBB66_1036
; %bb.1031:                             ;   in Loop: Header=BB66_1010 Depth=2
	v_cmp_ne_u32_e32 vcc_lo, 1, v95
	v_mov_b32_e32 v40, v30
	s_cbranch_vccnz .LBB66_1033
; %bb.1032:                             ;   in Loop: Header=BB66_1010 Depth=2
	global_load_b32 v40, v[38:39], off offset:256
.LBB66_1033:                            ;   in Loop: Header=BB66_1010 Depth=2
	v_cmp_ne_u32_e32 vcc_lo, 1, v95
	v_mov_b32_e32 v42, v31
	s_cbranch_vccnz .LBB66_1035
; %bb.1034:                             ;   in Loop: Header=BB66_1010 Depth=2
	global_load_b32 v42, v[38:39], off offset:260
.LBB66_1035:                            ;   in Loop: Header=BB66_1010 Depth=2
	ds_load_b64 v[96:97], v84 offset:256
	s_wait_loadcnt_dscnt 0x0
	v_pk_mul_f32 v[98:99], v[42:43], v[96:97] op_sel:[0,1] op_sel_hi:[0,0]
	s_delay_alu instid0(VALU_DEP_1) | instskip(SKIP_1) | instid1(VALU_DEP_2)
	v_pk_fma_f32 v[100:101], v[40:41], v[96:97], v[98:99] op_sel_hi:[0,1,1] neg_lo:[0,0,1] neg_hi:[0,0,1]
	v_pk_fma_f32 v[40:41], v[40:41], v[96:97], v[98:99]
	v_mov_b32_e32 v41, v101
	s_delay_alu instid0(VALU_DEP_1)
	v_pk_add_f32 v[36:37], v[36:37], v[40:41]
.LBB66_1036:                            ;   in Loop: Header=BB66_1010 Depth=2
	s_or_b32 exec_lo, exec_lo, s65
	v_add_nc_u32_e32 v4, 48, v4
	s_delay_alu instid0(VALU_DEP_1) | instskip(SKIP_1) | instid1(SALU_CYCLE_1)
	v_cmp_gt_i32_e32 vcc_lo, s89, v4
	s_and_b32 s51, vcc_lo, s5
	s_and_saveexec_b32 s65, s51
	s_cbranch_execz .LBB66_1009
; %bb.1037:                             ;   in Loop: Header=BB66_1010 Depth=2
	v_cmp_ne_u32_e32 vcc_lo, 1, v95
	v_mov_b32_e32 v4, v32
	s_cbranch_vccnz .LBB66_1039
; %bb.1038:                             ;   in Loop: Header=BB66_1010 Depth=2
	global_load_b32 v4, v[38:39], off offset:384
.LBB66_1039:                            ;   in Loop: Header=BB66_1010 Depth=2
	v_cmp_ne_u32_e32 vcc_lo, 1, v95
	v_mov_b32_e32 v40, v33
	s_cbranch_vccnz .LBB66_1008
; %bb.1040:                             ;   in Loop: Header=BB66_1010 Depth=2
	global_load_b32 v40, v[38:39], off offset:388
	s_branch .LBB66_1008
.LBB66_1041:                            ;   in Loop: Header=BB66_3 Depth=1
	ds_store_b64 v87, v[36:37]
	s_wait_dscnt 0x0
	s_barrier_signal -1
	s_barrier_wait -1
	s_and_saveexec_b32 s65, s1
	s_cbranch_execz .LBB66_1043
; %bb.1042:                             ;   in Loop: Header=BB66_3 Depth=1
	ds_load_2addr_stride64_b64 v[38:41], v88 offset0:1 offset1:2
	ds_load_2addr_stride64_b64 v[94:97], v88 offset0:3 offset1:4
	;; [unrolled: 1-line block ×3, first 2 shown]
	s_wait_dscnt 0x2
	v_pk_add_f32 v[34:35], v[36:37], v[38:39]
	s_delay_alu instid0(VALU_DEP_1) | instskip(SKIP_3) | instid1(VALU_DEP_1)
	v_pk_add_f32 v[38:39], v[34:35], v[40:41]
	ds_load_2addr_stride64_b64 v[34:37], v88 offset0:7 offset1:8
	s_wait_dscnt 0x2
	v_pk_add_f32 v[38:39], v[38:39], v[94:95]
	v_pk_add_f32 v[94:95], v[38:39], v[96:97]
	ds_load_2addr_stride64_b64 v[38:41], v88 offset0:9 offset1:10
	s_wait_dscnt 0x2
	v_pk_add_f32 v[94:95], v[94:95], v[98:99]
	s_delay_alu instid0(VALU_DEP_1) | instskip(SKIP_3) | instid1(VALU_DEP_1)
	v_pk_add_f32 v[98:99], v[94:95], v[100:101]
	ds_load_2addr_stride64_b64 v[94:97], v88 offset0:11 offset1:12
	s_wait_dscnt 0x2
	v_pk_add_f32 v[34:35], v[98:99], v[34:35]
	v_pk_add_f32 v[98:99], v[34:35], v[36:37]
	ds_load_2addr_stride64_b64 v[34:37], v88 offset0:13 offset1:14
	s_wait_dscnt 0x2
	v_pk_add_f32 v[38:39], v[98:99], v[38:39]
	s_delay_alu instid0(VALU_DEP_1) | instskip(SKIP_3) | instid1(VALU_DEP_1)
	v_pk_add_f32 v[38:39], v[38:39], v[40:41]
	ds_load_b64 v[40:41], v88 offset:7680
	s_wait_dscnt 0x2
	v_pk_add_f32 v[38:39], v[38:39], v[94:95]
	v_pk_add_f32 v[38:39], v[38:39], v[96:97]
	s_wait_dscnt 0x1
	s_delay_alu instid0(VALU_DEP_1) | instskip(NEXT) | instid1(VALU_DEP_1)
	v_pk_add_f32 v[34:35], v[38:39], v[34:35]
	v_pk_add_f32 v[34:35], v[34:35], v[36:37]
	s_wait_dscnt 0x0
	s_delay_alu instid0(VALU_DEP_1) | instskip(NEXT) | instid1(VALU_DEP_1)
	v_pk_add_f32 v[34:35], v[34:35], v[40:41]
	v_cndmask_b32_e64 v37, -v35, 0, s33
	s_delay_alu instid0(VALU_DEP_2)
	v_cndmask_b32_e64 v36, -v34, 0, s33
.LBB66_1043:                            ;   in Loop: Header=BB66_3 Depth=1
	s_or_b32 exec_lo, exec_lo, s65
	s_delay_alu instid0(SALU_CYCLE_1)
	s_and_not1_b32 vcc_lo, exec_lo, s93
	s_cbranch_vccnz .LBB66_1053
; %bb.1044:                             ;   in Loop: Header=BB66_3 Depth=1
	s_and_saveexec_b32 s65, s1
; %bb.1045:                             ;   in Loop: Header=BB66_3 Depth=1
	ds_store_b64 v91, v[36:37]
; %bb.1046:                             ;   in Loop: Header=BB66_3 Depth=1
	s_or_b32 exec_lo, exec_lo, s65
	v_mov_b64_e32 v[34:35], 0
	s_wait_dscnt 0x0
	s_barrier_signal -1
	s_barrier_wait -1
	s_and_saveexec_b32 s65, s6
	s_cbranch_execnz .LBB66_1116
; %bb.1047:                             ;   in Loop: Header=BB66_3 Depth=1
	s_or_b32 exec_lo, exec_lo, s65
	s_and_saveexec_b32 s65, s7
	s_cbranch_execnz .LBB66_1117
.LBB66_1048:                            ;   in Loop: Header=BB66_3 Depth=1
	s_or_b32 exec_lo, exec_lo, s65
	s_and_saveexec_b32 s65, s8
	s_cbranch_execnz .LBB66_1118
.LBB66_1049:                            ;   in Loop: Header=BB66_3 Depth=1
	s_or_b32 exec_lo, exec_lo, s65
	s_and_saveexec_b32 s65, s9
	s_cbranch_execz .LBB66_1051
.LBB66_1050:                            ;   in Loop: Header=BB66_3 Depth=1
	ds_load_b64 v[38:39], v89 offset:24576
	ds_load_b64 v[40:41], v84 offset:384
	s_wait_dscnt 0x0
	v_pk_mul_f32 v[94:95], v[40:41], v[38:39] op_sel:[1,1] op_sel_hi:[0,1]
	s_delay_alu instid0(VALU_DEP_1) | instskip(SKIP_1) | instid1(VALU_DEP_2)
	v_pk_fma_f32 v[96:97], v[40:41], v[38:39], v[94:95] op_sel_hi:[1,0,1]
	v_pk_fma_f32 v[38:39], v[40:41], v[38:39], v[94:95] neg_lo:[0,0,1] neg_hi:[0,0,1]
	v_mov_b32_e32 v39, v97
	s_delay_alu instid0(VALU_DEP_1)
	v_pk_add_f32 v[34:35], v[34:35], v[38:39]
.LBB66_1051:                            ;   in Loop: Header=BB66_3 Depth=1
	s_or_b32 exec_lo, exec_lo, s65
	s_mov_b32 s68, 0
	s_mov_b32 s65, 0
	ds_store_b64 v87, v[34:35]
	s_wait_dscnt 0x0
	s_barrier_signal -1
	s_barrier_wait -1
                                        ; implicit-def: $vgpr38_vgpr39
	s_and_saveexec_b32 s69, s1
	s_cbranch_execz .LBB66_1119
; %bb.1052:                             ;   in Loop: Header=BB66_3 Depth=1
	ds_load_2addr_stride64_b64 v[38:41], v88 offset0:1 offset1:2
	ds_load_2addr_stride64_b64 v[94:97], v88 offset0:3 offset1:4
	;; [unrolled: 1-line block ×3, first 2 shown]
	s_mov_b32 s65, exec_lo
	s_wait_dscnt 0x2
	v_pk_add_f32 v[34:35], v[34:35], v[38:39]
	s_delay_alu instid0(VALU_DEP_1) | instskip(SKIP_3) | instid1(VALU_DEP_1)
	v_pk_add_f32 v[34:35], v[34:35], v[40:41]
	ds_load_2addr_stride64_b64 v[38:41], v88 offset0:7 offset1:8
	s_wait_dscnt 0x2
	v_pk_add_f32 v[34:35], v[34:35], v[94:95]
	v_pk_add_f32 v[34:35], v[34:35], v[96:97]
	ds_load_2addr_stride64_b64 v[94:97], v88 offset0:9 offset1:10
	s_wait_dscnt 0x2
	v_pk_add_f32 v[34:35], v[34:35], v[98:99]
	s_delay_alu instid0(VALU_DEP_1) | instskip(SKIP_3) | instid1(VALU_DEP_1)
	v_pk_add_f32 v[34:35], v[34:35], v[100:101]
	ds_load_2addr_stride64_b64 v[98:101], v88 offset0:11 offset1:12
	s_wait_dscnt 0x2
	v_pk_add_f32 v[34:35], v[34:35], v[38:39]
	v_pk_add_f32 v[34:35], v[34:35], v[40:41]
	ds_load_2addr_stride64_b64 v[38:41], v88 offset0:13 offset1:14
	s_wait_dscnt 0x2
	v_pk_add_f32 v[34:35], v[34:35], v[94:95]
	ds_load_b64 v[94:95], v88 offset:7680
	v_pk_add_f32 v[34:35], v[34:35], v[96:97]
	s_wait_dscnt 0x2
	s_delay_alu instid0(VALU_DEP_1) | instskip(NEXT) | instid1(VALU_DEP_1)
	v_pk_add_f32 v[34:35], v[34:35], v[98:99]
	v_pk_add_f32 v[34:35], v[34:35], v[100:101]
	s_wait_dscnt 0x1
	s_delay_alu instid0(VALU_DEP_1) | instskip(NEXT) | instid1(VALU_DEP_1)
	v_pk_add_f32 v[34:35], v[34:35], v[38:39]
	v_pk_add_f32 v[34:35], v[34:35], v[40:41]
	s_wait_dscnt 0x0
	s_delay_alu instid0(VALU_DEP_1) | instskip(SKIP_1) | instid1(SALU_CYCLE_1)
	v_pk_add_f32 v[38:39], v[34:35], v[94:95]
	s_or_b32 exec_lo, exec_lo, s69
	s_and_b32 vcc_lo, exec_lo, s68
	s_cbranch_vccnz .LBB66_1054
	s_branch .LBB66_1120
.LBB66_1053:                            ;   in Loop: Header=BB66_3 Depth=1
	s_mov_b32 s65, 0
                                        ; implicit-def: $vgpr38_vgpr39
	s_cbranch_execz .LBB66_1120
.LBB66_1054:                            ;   in Loop: Header=BB66_3 Depth=1
	v_dual_mov_b32 v4, v2 :: v_dual_mov_b32 v34, v72
	s_mov_b32 s68, 0
	s_branch .LBB66_1056
.LBB66_1055:                            ;   in Loop: Header=BB66_1056 Depth=2
	s_or_b32 exec_lo, exec_lo, s69
	v_add_nc_u32_e32 v34, 0x400, v34
	v_add_nc_u32_e32 v4, -2, v4
	s_add_co_i32 s68, s68, 2
	s_delay_alu instid0(SALU_CYCLE_1)
	s_cmp_lg_u32 s68, 64
	s_barrier_signal -1
	s_barrier_wait -1
	s_cbranch_scc0 .LBB66_1064
.LBB66_1056:                            ;   Parent Loop BB66_3 Depth=1
                                        ; =>  This Inner Loop Header: Depth=2
	s_delay_alu instid0(VALU_DEP_1) | instskip(SKIP_2) | instid1(SALU_CYCLE_1)
	v_cmp_eq_u32_e32 vcc_lo, 0, v4
	v_add_nc_u32_e32 v35, v83, v47
	s_and_b32 s51, s1, vcc_lo
	s_and_saveexec_b32 s69, s51
	s_cbranch_execz .LBB66_1058
; %bb.1057:                             ;   in Loop: Header=BB66_1056 Depth=2
	ds_load_b64 v[38:39], v35
	s_wait_dscnt 0x0
	v_pk_mul_f32 v[40:41], v[36:37], v[38:39] op_sel:[1,1] op_sel_hi:[1,0]
	s_delay_alu instid0(VALU_DEP_1) | instskip(SKIP_1) | instid1(VALU_DEP_2)
	v_pk_fma_f32 v[94:95], v[36:37], v[38:39], v[40:41] op_sel_hi:[0,1,1]
	v_pk_fma_f32 v[38:39], v[36:37], v[38:39], v[40:41] neg_lo:[0,0,1] neg_hi:[0,0,1]
	v_mov_b32_e32 v39, v95
	s_delay_alu instid0(VALU_DEP_1)
	v_mov_b64_e32 v[36:37], v[38:39]
	ds_store_b64 v5, v[38:39] offset:41472
.LBB66_1058:                            ;   in Loop: Header=BB66_1056 Depth=2
	s_or_b32 exec_lo, exec_lo, s69
	v_cmp_lt_u32_e32 vcc_lo, s68, v2
	s_wait_dscnt 0x0
	s_barrier_signal -1
	s_barrier_wait -1
	s_and_b32 s51, s1, vcc_lo
	s_delay_alu instid0(SALU_CYCLE_1)
	s_and_saveexec_b32 s69, s51
	s_cbranch_execz .LBB66_1060
; %bb.1059:                             ;   in Loop: Header=BB66_1056 Depth=2
	ds_load_b64 v[38:39], v34
	ds_load_b64 v[40:41], v5 offset:41472
	s_wait_dscnt 0x0
	v_pk_mul_f32 v[94:95], v[40:41], v[38:39] op_sel:[1,1] op_sel_hi:[0,1]
	s_delay_alu instid0(VALU_DEP_1) | instskip(SKIP_1) | instid1(VALU_DEP_2)
	v_pk_fma_f32 v[96:97], v[40:41], v[38:39], v[94:95] op_sel_hi:[1,0,1]
	v_pk_fma_f32 v[38:39], v[40:41], v[38:39], v[94:95] neg_lo:[0,0,1] neg_hi:[0,0,1]
	v_mov_b32_e32 v39, v97
	s_delay_alu instid0(VALU_DEP_1)
	v_pk_add_f32 v[36:37], v[36:37], v[38:39]
.LBB66_1060:                            ;   in Loop: Header=BB66_1056 Depth=2
	s_or_b32 exec_lo, exec_lo, s69
	s_or_b32 s69, s68, 1
	s_delay_alu instid0(SALU_CYCLE_1) | instskip(SKIP_3) | instid1(SALU_CYCLE_1)
	v_cmp_eq_u32_e32 vcc_lo, s69, v2
	s_barrier_signal -1
	s_barrier_wait -1
	s_and_b32 s51, s1, vcc_lo
	s_and_saveexec_b32 s86, s51
	s_cbranch_execz .LBB66_1062
; %bb.1061:                             ;   in Loop: Header=BB66_1056 Depth=2
	ds_load_b64 v[38:39], v35
	s_wait_dscnt 0x0
	v_pk_mul_f32 v[40:41], v[36:37], v[38:39] op_sel:[1,1] op_sel_hi:[1,0]
	s_delay_alu instid0(VALU_DEP_1) | instskip(SKIP_1) | instid1(VALU_DEP_2)
	v_pk_fma_f32 v[94:95], v[36:37], v[38:39], v[40:41] op_sel_hi:[0,1,1]
	v_pk_fma_f32 v[38:39], v[36:37], v[38:39], v[40:41] neg_lo:[0,0,1] neg_hi:[0,0,1]
	v_mov_b32_e32 v39, v95
	s_delay_alu instid0(VALU_DEP_1)
	v_mov_b64_e32 v[36:37], v[38:39]
	ds_store_b64 v5, v[38:39] offset:41472
.LBB66_1062:                            ;   in Loop: Header=BB66_1056 Depth=2
	s_or_b32 exec_lo, exec_lo, s86
	v_cmp_lt_u32_e32 vcc_lo, s69, v2
	s_wait_dscnt 0x0
	s_barrier_signal -1
	s_barrier_wait -1
	s_and_b32 s51, s1, vcc_lo
	s_delay_alu instid0(SALU_CYCLE_1)
	s_and_saveexec_b32 s69, s51
	s_cbranch_execz .LBB66_1055
; %bb.1063:                             ;   in Loop: Header=BB66_1056 Depth=2
	ds_load_b64 v[38:39], v34 offset:512
	ds_load_b64 v[40:41], v5 offset:41472
	s_wait_dscnt 0x0
	v_pk_mul_f32 v[94:95], v[40:41], v[38:39] op_sel:[1,1] op_sel_hi:[0,1]
	s_delay_alu instid0(VALU_DEP_1) | instskip(SKIP_1) | instid1(VALU_DEP_2)
	v_pk_fma_f32 v[96:97], v[40:41], v[38:39], v[94:95] op_sel_hi:[1,0,1]
	v_pk_fma_f32 v[38:39], v[40:41], v[38:39], v[94:95] neg_lo:[0,0,1] neg_hi:[0,0,1]
	v_mov_b32_e32 v39, v97
	s_delay_alu instid0(VALU_DEP_1)
	v_pk_add_f32 v[36:37], v[36:37], v[38:39]
	s_branch .LBB66_1055
.LBB66_1064:                            ;   in Loop: Header=BB66_3 Depth=1
	s_and_b32 vcc_lo, exec_lo, s92
	s_mov_b32 s68, -1
	s_cbranch_vccz .LBB66_1066
; %bb.1065:                             ;   in Loop: Header=BB66_3 Depth=1
	s_and_not1_b32 s51, s65, exec_lo
	s_and_b32 s65, s1, exec_lo
	s_mov_b32 s68, 0
	s_or_b32 s65, s51, s65
.LBB66_1066:                            ;   in Loop: Header=BB66_3 Depth=1
	s_and_not1_b32 vcc_lo, exec_lo, s68
	s_cbranch_vccnz .LBB66_1068
; %bb.1067:                             ;   in Loop: Header=BB66_3 Depth=1
	s_and_not1_b32 s51, s65, exec_lo
	v_readlane_b32 s65, v104, 7
	s_and_b32 s65, s65, exec_lo
	s_delay_alu instid0(SALU_CYCLE_1)
	s_or_b32 s65, s51, s65
.LBB66_1068:                            ;   in Loop: Header=BB66_3 Depth=1
	v_mov_b64_e32 v[34:35], v[12:13]
	s_and_saveexec_b32 s68, s65
	s_cbranch_execnz .LBB66_1121
	s_branch .LBB66_1122
.LBB66_1069:                            ;   in Loop: Header=BB66_3 Depth=1
	v_readlane_b32 s51, v104, 16
	s_and_saveexec_b32 s68, s51
	s_delay_alu instid0(SALU_CYCLE_1)
	s_xor_b32 s68, exec_lo, s68
	s_cbranch_execz .LBB66_1073
; %bb.1070:                             ;   in Loop: Header=BB66_3 Depth=1
	v_readlane_b32 s51, v103, 7
	s_and_saveexec_b32 s69, s51
; %bb.1071:                             ;   in Loop: Header=BB66_3 Depth=1
	ds_store_b64 v77, v[24:25]
; %bb.1072:                             ;   in Loop: Header=BB66_3 Depth=1
	s_or_b32 exec_lo, exec_lo, s69
.LBB66_1073:                            ;   in Loop: Header=BB66_3 Depth=1
	s_and_not1_saveexec_b32 s68, s68
	s_cbranch_execz .LBB66_1079
; %bb.1074:                             ;   in Loop: Header=BB66_3 Depth=1
	v_lshl_add_u64 v[36:37], v[14:15], 3, s[84:85]
                                        ; implicit-def: $vgpr38_vgpr39
	global_load_b64 v[36:37], v[36:37], off
	s_wait_loadcnt 0x0
	v_cmp_ngt_f32_e64 s69, |v36|, |v37|
	s_and_saveexec_b32 s86, s69
	s_delay_alu instid0(SALU_CYCLE_1)
	s_xor_b32 s69, exec_lo, s86
	s_cbranch_execz .LBB66_1076
; %bb.1075:                             ;   in Loop: Header=BB66_3 Depth=1
	v_div_scale_f32 v4, null, -v37, -v37, v36
	v_div_scale_f32 v40, vcc_lo, v36, -v37, v36
	s_delay_alu instid0(VALU_DEP_2) | instskip(SKIP_1) | instid1(TRANS32_DEP_1)
	v_rcp_f32_e32 v38, v4
	v_nop
	v_fma_f32 v39, -v4, v38, 1.0
	s_delay_alu instid0(VALU_DEP_1) | instskip(NEXT) | instid1(VALU_DEP_1)
	v_fmac_f32_e32 v38, v39, v38
	v_mul_f32_e32 v39, v40, v38
	s_delay_alu instid0(VALU_DEP_1) | instskip(NEXT) | instid1(VALU_DEP_1)
	v_fma_f32 v41, -v4, v39, v40
	v_fmac_f32_e32 v39, v41, v38
	s_delay_alu instid0(VALU_DEP_1) | instskip(NEXT) | instid1(VALU_DEP_1)
	v_fma_f32 v4, -v4, v39, v40
	v_div_fmas_f32 v4, v4, v38, v39
	s_delay_alu instid0(VALU_DEP_1) | instskip(NEXT) | instid1(VALU_DEP_1)
	v_div_fixup_f32 v4, v4, -v37, v36
	v_fma_f32 v36, v36, v4, -v37
	s_delay_alu instid0(VALU_DEP_1) | instskip(SKIP_1) | instid1(VALU_DEP_2)
	v_div_scale_f32 v37, null, v36, v36, 1.0
	v_div_scale_f32 v40, vcc_lo, 1.0, v36, 1.0
	v_rcp_f32_e32 v38, v37
	v_nop
	s_delay_alu instid0(TRANS32_DEP_1) | instskip(NEXT) | instid1(VALU_DEP_1)
	v_fma_f32 v39, -v37, v38, 1.0
	v_fmac_f32_e32 v38, v39, v38
	s_delay_alu instid0(VALU_DEP_1) | instskip(NEXT) | instid1(VALU_DEP_1)
	v_mul_f32_e32 v39, v40, v38
	v_fma_f32 v41, -v37, v39, v40
	s_delay_alu instid0(VALU_DEP_1) | instskip(NEXT) | instid1(VALU_DEP_1)
	v_fmac_f32_e32 v39, v41, v38
	v_fma_f32 v37, -v37, v39, v40
	s_delay_alu instid0(VALU_DEP_1) | instskip(NEXT) | instid1(VALU_DEP_1)
	v_div_fmas_f32 v37, v37, v38, v39
	v_div_fixup_f32 v36, v37, v36, 1.0
	s_delay_alu instid0(VALU_DEP_1)
	v_mul_f32_e32 v38, v4, v36
	v_xor_b32_e32 v39, 0x80000000, v36
                                        ; implicit-def: $vgpr36_vgpr37
.LBB66_1076:                            ;   in Loop: Header=BB66_3 Depth=1
	s_and_not1_saveexec_b32 s69, s69
	s_cbranch_execz .LBB66_1078
; %bb.1077:                             ;   in Loop: Header=BB66_3 Depth=1
	v_div_scale_f32 v4, null, v36, v36, -v37
	v_div_scale_f32 v40, vcc_lo, -v37, v36, -v37
	s_delay_alu instid0(VALU_DEP_2) | instskip(SKIP_1) | instid1(TRANS32_DEP_1)
	v_rcp_f32_e32 v38, v4
	v_nop
	v_fma_f32 v39, -v4, v38, 1.0
	s_delay_alu instid0(VALU_DEP_1) | instskip(NEXT) | instid1(VALU_DEP_1)
	v_fmac_f32_e32 v38, v39, v38
	v_mul_f32_e32 v39, v40, v38
	s_delay_alu instid0(VALU_DEP_1) | instskip(NEXT) | instid1(VALU_DEP_1)
	v_fma_f32 v41, -v4, v39, v40
	v_fmac_f32_e32 v39, v41, v38
	s_delay_alu instid0(VALU_DEP_1) | instskip(NEXT) | instid1(VALU_DEP_1)
	v_fma_f32 v4, -v4, v39, v40
	v_div_fmas_f32 v4, v4, v38, v39
	s_delay_alu instid0(VALU_DEP_1) | instskip(NEXT) | instid1(VALU_DEP_1)
	v_div_fixup_f32 v4, v4, v36, -v37
	v_fma_f32 v36, -v37, v4, v36
	s_delay_alu instid0(VALU_DEP_1) | instskip(NEXT) | instid1(VALU_DEP_1)
	v_div_scale_f32 v37, null, v36, v36, 1.0
	v_rcp_f32_e32 v38, v37
	v_nop
	s_delay_alu instid0(TRANS32_DEP_1) | instskip(NEXT) | instid1(VALU_DEP_1)
	v_fma_f32 v39, -v37, v38, 1.0
	v_fmac_f32_e32 v38, v39, v38
	v_div_scale_f32 v39, vcc_lo, 1.0, v36, 1.0
	s_delay_alu instid0(VALU_DEP_1) | instskip(NEXT) | instid1(VALU_DEP_1)
	v_mul_f32_e32 v40, v39, v38
	v_fma_f32 v41, -v37, v40, v39
	s_delay_alu instid0(VALU_DEP_1) | instskip(NEXT) | instid1(VALU_DEP_1)
	v_fmac_f32_e32 v40, v41, v38
	v_fma_f32 v37, -v37, v40, v39
	s_delay_alu instid0(VALU_DEP_1) | instskip(NEXT) | instid1(VALU_DEP_1)
	v_div_fmas_f32 v37, v37, v38, v40
	v_div_fixup_f32 v38, v37, v36, 1.0
	s_delay_alu instid0(VALU_DEP_1)
	v_mul_f32_e64 v39, v4, -v38
.LBB66_1078:                            ;   in Loop: Header=BB66_3 Depth=1
	s_or_b32 exec_lo, exec_lo, s69
	ds_store_b64 v77, v[38:39]
.LBB66_1079:                            ;   in Loop: Header=BB66_3 Depth=1
	s_or_b32 exec_lo, exec_lo, s68
	s_and_not1_saveexec_b32 s65, s65
	s_cbranch_execz .LBB66_17
.LBB66_1080:                            ;   in Loop: Header=BB66_3 Depth=1
	v_lshl_add_u64 v[36:37], v[14:15], 3, s[84:85]
	global_load_b64 v[36:37], v[36:37], off
	s_wait_loadcnt 0x0
	v_xor_b32_e32 v36, 0x80000000, v36
	ds_store_b64 v77, v[36:37]
	s_or_b32 exec_lo, exec_lo, s65
	s_and_saveexec_b32 s65, s7
	s_delay_alu instid0(SALU_CYCLE_1)
	s_xor_b32 s65, exec_lo, s65
	s_cbranch_execz .LBB66_18
.LBB66_1081:                            ;   in Loop: Header=BB66_3 Depth=1
	v_readlane_b32 s51, v104, 18
	s_and_saveexec_b32 s68, s51
	s_delay_alu instid0(SALU_CYCLE_1)
	s_xor_b32 s68, exec_lo, s68
	s_cbranch_execz .LBB66_1085
; %bb.1082:                             ;   in Loop: Header=BB66_3 Depth=1
	v_readlane_b32 s51, v103, 8
	s_and_saveexec_b32 s69, s51
; %bb.1083:                             ;   in Loop: Header=BB66_3 Depth=1
	ds_store_b64 v78, v[24:25]
; %bb.1084:                             ;   in Loop: Header=BB66_3 Depth=1
	s_or_b32 exec_lo, exec_lo, s69
.LBB66_1085:                            ;   in Loop: Header=BB66_3 Depth=1
	s_and_not1_saveexec_b32 s68, s68
	s_cbranch_execz .LBB66_1091
; %bb.1086:                             ;   in Loop: Header=BB66_3 Depth=1
	v_lshl_add_u64 v[36:37], v[16:17], 3, s[84:85]
                                        ; implicit-def: $vgpr38_vgpr39
	global_load_b64 v[36:37], v[36:37], off
	s_wait_loadcnt 0x0
	v_cmp_ngt_f32_e64 s69, |v36|, |v37|
	s_and_saveexec_b32 s86, s69
	s_delay_alu instid0(SALU_CYCLE_1)
	s_xor_b32 s69, exec_lo, s86
	s_cbranch_execz .LBB66_1088
; %bb.1087:                             ;   in Loop: Header=BB66_3 Depth=1
	v_div_scale_f32 v4, null, -v37, -v37, v36
	v_div_scale_f32 v40, vcc_lo, v36, -v37, v36
	s_delay_alu instid0(VALU_DEP_2) | instskip(SKIP_1) | instid1(TRANS32_DEP_1)
	v_rcp_f32_e32 v38, v4
	v_nop
	v_fma_f32 v39, -v4, v38, 1.0
	s_delay_alu instid0(VALU_DEP_1) | instskip(NEXT) | instid1(VALU_DEP_1)
	v_fmac_f32_e32 v38, v39, v38
	v_mul_f32_e32 v39, v40, v38
	s_delay_alu instid0(VALU_DEP_1) | instskip(NEXT) | instid1(VALU_DEP_1)
	v_fma_f32 v41, -v4, v39, v40
	v_fmac_f32_e32 v39, v41, v38
	s_delay_alu instid0(VALU_DEP_1) | instskip(NEXT) | instid1(VALU_DEP_1)
	v_fma_f32 v4, -v4, v39, v40
	v_div_fmas_f32 v4, v4, v38, v39
	s_delay_alu instid0(VALU_DEP_1) | instskip(NEXT) | instid1(VALU_DEP_1)
	v_div_fixup_f32 v4, v4, -v37, v36
	v_fma_f32 v36, v36, v4, -v37
	s_delay_alu instid0(VALU_DEP_1) | instskip(SKIP_1) | instid1(VALU_DEP_2)
	v_div_scale_f32 v37, null, v36, v36, 1.0
	v_div_scale_f32 v40, vcc_lo, 1.0, v36, 1.0
	v_rcp_f32_e32 v38, v37
	v_nop
	s_delay_alu instid0(TRANS32_DEP_1) | instskip(NEXT) | instid1(VALU_DEP_1)
	v_fma_f32 v39, -v37, v38, 1.0
	v_fmac_f32_e32 v38, v39, v38
	s_delay_alu instid0(VALU_DEP_1) | instskip(NEXT) | instid1(VALU_DEP_1)
	v_mul_f32_e32 v39, v40, v38
	v_fma_f32 v41, -v37, v39, v40
	s_delay_alu instid0(VALU_DEP_1) | instskip(NEXT) | instid1(VALU_DEP_1)
	v_fmac_f32_e32 v39, v41, v38
	v_fma_f32 v37, -v37, v39, v40
	s_delay_alu instid0(VALU_DEP_1) | instskip(NEXT) | instid1(VALU_DEP_1)
	v_div_fmas_f32 v37, v37, v38, v39
	v_div_fixup_f32 v36, v37, v36, 1.0
	s_delay_alu instid0(VALU_DEP_1)
	v_mul_f32_e32 v38, v4, v36
	v_xor_b32_e32 v39, 0x80000000, v36
                                        ; implicit-def: $vgpr36_vgpr37
.LBB66_1088:                            ;   in Loop: Header=BB66_3 Depth=1
	s_and_not1_saveexec_b32 s69, s69
	s_cbranch_execz .LBB66_1090
; %bb.1089:                             ;   in Loop: Header=BB66_3 Depth=1
	v_div_scale_f32 v4, null, v36, v36, -v37
	v_div_scale_f32 v40, vcc_lo, -v37, v36, -v37
	s_delay_alu instid0(VALU_DEP_2) | instskip(SKIP_1) | instid1(TRANS32_DEP_1)
	v_rcp_f32_e32 v38, v4
	v_nop
	v_fma_f32 v39, -v4, v38, 1.0
	s_delay_alu instid0(VALU_DEP_1) | instskip(NEXT) | instid1(VALU_DEP_1)
	v_fmac_f32_e32 v38, v39, v38
	v_mul_f32_e32 v39, v40, v38
	s_delay_alu instid0(VALU_DEP_1) | instskip(NEXT) | instid1(VALU_DEP_1)
	v_fma_f32 v41, -v4, v39, v40
	v_fmac_f32_e32 v39, v41, v38
	s_delay_alu instid0(VALU_DEP_1) | instskip(NEXT) | instid1(VALU_DEP_1)
	v_fma_f32 v4, -v4, v39, v40
	v_div_fmas_f32 v4, v4, v38, v39
	s_delay_alu instid0(VALU_DEP_1) | instskip(NEXT) | instid1(VALU_DEP_1)
	v_div_fixup_f32 v4, v4, v36, -v37
	v_fma_f32 v36, -v37, v4, v36
	s_delay_alu instid0(VALU_DEP_1) | instskip(NEXT) | instid1(VALU_DEP_1)
	v_div_scale_f32 v37, null, v36, v36, 1.0
	v_rcp_f32_e32 v38, v37
	v_nop
	s_delay_alu instid0(TRANS32_DEP_1) | instskip(NEXT) | instid1(VALU_DEP_1)
	v_fma_f32 v39, -v37, v38, 1.0
	v_fmac_f32_e32 v38, v39, v38
	v_div_scale_f32 v39, vcc_lo, 1.0, v36, 1.0
	s_delay_alu instid0(VALU_DEP_1) | instskip(NEXT) | instid1(VALU_DEP_1)
	v_mul_f32_e32 v40, v39, v38
	v_fma_f32 v41, -v37, v40, v39
	s_delay_alu instid0(VALU_DEP_1) | instskip(NEXT) | instid1(VALU_DEP_1)
	v_fmac_f32_e32 v40, v41, v38
	v_fma_f32 v37, -v37, v40, v39
	s_delay_alu instid0(VALU_DEP_1) | instskip(NEXT) | instid1(VALU_DEP_1)
	v_div_fmas_f32 v37, v37, v38, v40
	v_div_fixup_f32 v38, v37, v36, 1.0
	s_delay_alu instid0(VALU_DEP_1)
	v_mul_f32_e64 v39, v4, -v38
.LBB66_1090:                            ;   in Loop: Header=BB66_3 Depth=1
	s_or_b32 exec_lo, exec_lo, s69
	ds_store_b64 v78, v[38:39]
.LBB66_1091:                            ;   in Loop: Header=BB66_3 Depth=1
	s_or_b32 exec_lo, exec_lo, s68
	s_and_not1_saveexec_b32 s65, s65
	s_cbranch_execz .LBB66_19
.LBB66_1092:                            ;   in Loop: Header=BB66_3 Depth=1
	v_lshl_add_u64 v[36:37], v[16:17], 3, s[84:85]
	global_load_b64 v[36:37], v[36:37], off
	s_wait_loadcnt 0x0
	v_xor_b32_e32 v36, 0x80000000, v36
	ds_store_b64 v78, v[36:37]
	s_or_b32 exec_lo, exec_lo, s65
	s_and_saveexec_b32 s65, s8
	s_delay_alu instid0(SALU_CYCLE_1)
	s_xor_b32 s65, exec_lo, s65
	s_cbranch_execz .LBB66_20
.LBB66_1093:                            ;   in Loop: Header=BB66_3 Depth=1
	v_readlane_b32 s51, v104, 20
	s_and_saveexec_b32 s68, s51
	s_delay_alu instid0(SALU_CYCLE_1)
	s_xor_b32 s68, exec_lo, s68
	s_cbranch_execz .LBB66_1097
; %bb.1094:                             ;   in Loop: Header=BB66_3 Depth=1
	v_readlane_b32 s51, v103, 9
	s_and_saveexec_b32 s69, s51
; %bb.1095:                             ;   in Loop: Header=BB66_3 Depth=1
	ds_store_b64 v80, v[24:25]
; %bb.1096:                             ;   in Loop: Header=BB66_3 Depth=1
	s_or_b32 exec_lo, exec_lo, s69
.LBB66_1097:                            ;   in Loop: Header=BB66_3 Depth=1
	s_and_not1_saveexec_b32 s68, s68
	s_cbranch_execz .LBB66_1103
; %bb.1098:                             ;   in Loop: Header=BB66_3 Depth=1
	v_lshl_add_u64 v[36:37], v[18:19], 3, s[84:85]
                                        ; implicit-def: $vgpr38_vgpr39
	global_load_b64 v[36:37], v[36:37], off
	s_wait_loadcnt 0x0
	v_cmp_ngt_f32_e64 s69, |v36|, |v37|
	s_and_saveexec_b32 s86, s69
	s_delay_alu instid0(SALU_CYCLE_1)
	s_xor_b32 s69, exec_lo, s86
	s_cbranch_execz .LBB66_1100
; %bb.1099:                             ;   in Loop: Header=BB66_3 Depth=1
	v_div_scale_f32 v4, null, -v37, -v37, v36
	v_div_scale_f32 v40, vcc_lo, v36, -v37, v36
	s_delay_alu instid0(VALU_DEP_2) | instskip(SKIP_1) | instid1(TRANS32_DEP_1)
	v_rcp_f32_e32 v38, v4
	v_nop
	v_fma_f32 v39, -v4, v38, 1.0
	s_delay_alu instid0(VALU_DEP_1) | instskip(NEXT) | instid1(VALU_DEP_1)
	v_fmac_f32_e32 v38, v39, v38
	v_mul_f32_e32 v39, v40, v38
	s_delay_alu instid0(VALU_DEP_1) | instskip(NEXT) | instid1(VALU_DEP_1)
	v_fma_f32 v41, -v4, v39, v40
	v_fmac_f32_e32 v39, v41, v38
	s_delay_alu instid0(VALU_DEP_1) | instskip(NEXT) | instid1(VALU_DEP_1)
	v_fma_f32 v4, -v4, v39, v40
	v_div_fmas_f32 v4, v4, v38, v39
	s_delay_alu instid0(VALU_DEP_1) | instskip(NEXT) | instid1(VALU_DEP_1)
	v_div_fixup_f32 v4, v4, -v37, v36
	v_fma_f32 v36, v36, v4, -v37
	s_delay_alu instid0(VALU_DEP_1) | instskip(SKIP_1) | instid1(VALU_DEP_2)
	v_div_scale_f32 v37, null, v36, v36, 1.0
	v_div_scale_f32 v40, vcc_lo, 1.0, v36, 1.0
	v_rcp_f32_e32 v38, v37
	v_nop
	s_delay_alu instid0(TRANS32_DEP_1) | instskip(NEXT) | instid1(VALU_DEP_1)
	v_fma_f32 v39, -v37, v38, 1.0
	v_fmac_f32_e32 v38, v39, v38
	s_delay_alu instid0(VALU_DEP_1) | instskip(NEXT) | instid1(VALU_DEP_1)
	v_mul_f32_e32 v39, v40, v38
	v_fma_f32 v41, -v37, v39, v40
	s_delay_alu instid0(VALU_DEP_1) | instskip(NEXT) | instid1(VALU_DEP_1)
	v_fmac_f32_e32 v39, v41, v38
	v_fma_f32 v37, -v37, v39, v40
	s_delay_alu instid0(VALU_DEP_1) | instskip(NEXT) | instid1(VALU_DEP_1)
	v_div_fmas_f32 v37, v37, v38, v39
	v_div_fixup_f32 v36, v37, v36, 1.0
	s_delay_alu instid0(VALU_DEP_1)
	v_mul_f32_e32 v38, v4, v36
	v_xor_b32_e32 v39, 0x80000000, v36
                                        ; implicit-def: $vgpr36_vgpr37
.LBB66_1100:                            ;   in Loop: Header=BB66_3 Depth=1
	s_and_not1_saveexec_b32 s69, s69
	s_cbranch_execz .LBB66_1102
; %bb.1101:                             ;   in Loop: Header=BB66_3 Depth=1
	v_div_scale_f32 v4, null, v36, v36, -v37
	v_div_scale_f32 v40, vcc_lo, -v37, v36, -v37
	s_delay_alu instid0(VALU_DEP_2) | instskip(SKIP_1) | instid1(TRANS32_DEP_1)
	v_rcp_f32_e32 v38, v4
	v_nop
	v_fma_f32 v39, -v4, v38, 1.0
	s_delay_alu instid0(VALU_DEP_1) | instskip(NEXT) | instid1(VALU_DEP_1)
	v_fmac_f32_e32 v38, v39, v38
	v_mul_f32_e32 v39, v40, v38
	s_delay_alu instid0(VALU_DEP_1) | instskip(NEXT) | instid1(VALU_DEP_1)
	v_fma_f32 v41, -v4, v39, v40
	v_fmac_f32_e32 v39, v41, v38
	s_delay_alu instid0(VALU_DEP_1) | instskip(NEXT) | instid1(VALU_DEP_1)
	v_fma_f32 v4, -v4, v39, v40
	v_div_fmas_f32 v4, v4, v38, v39
	s_delay_alu instid0(VALU_DEP_1) | instskip(NEXT) | instid1(VALU_DEP_1)
	v_div_fixup_f32 v4, v4, v36, -v37
	v_fma_f32 v36, -v37, v4, v36
	s_delay_alu instid0(VALU_DEP_1) | instskip(NEXT) | instid1(VALU_DEP_1)
	v_div_scale_f32 v37, null, v36, v36, 1.0
	v_rcp_f32_e32 v38, v37
	v_nop
	s_delay_alu instid0(TRANS32_DEP_1) | instskip(NEXT) | instid1(VALU_DEP_1)
	v_fma_f32 v39, -v37, v38, 1.0
	v_fmac_f32_e32 v38, v39, v38
	v_div_scale_f32 v39, vcc_lo, 1.0, v36, 1.0
	s_delay_alu instid0(VALU_DEP_1) | instskip(NEXT) | instid1(VALU_DEP_1)
	v_mul_f32_e32 v40, v39, v38
	v_fma_f32 v41, -v37, v40, v39
	s_delay_alu instid0(VALU_DEP_1) | instskip(NEXT) | instid1(VALU_DEP_1)
	v_fmac_f32_e32 v40, v41, v38
	v_fma_f32 v37, -v37, v40, v39
	s_delay_alu instid0(VALU_DEP_1) | instskip(NEXT) | instid1(VALU_DEP_1)
	v_div_fmas_f32 v37, v37, v38, v40
	v_div_fixup_f32 v38, v37, v36, 1.0
	s_delay_alu instid0(VALU_DEP_1)
	v_mul_f32_e64 v39, v4, -v38
.LBB66_1102:                            ;   in Loop: Header=BB66_3 Depth=1
	s_or_b32 exec_lo, exec_lo, s69
	ds_store_b64 v80, v[38:39]
.LBB66_1103:                            ;   in Loop: Header=BB66_3 Depth=1
	s_or_b32 exec_lo, exec_lo, s68
	s_and_not1_saveexec_b32 s65, s65
	s_cbranch_execz .LBB66_21
.LBB66_1104:                            ;   in Loop: Header=BB66_3 Depth=1
	v_lshl_add_u64 v[36:37], v[18:19], 3, s[84:85]
	global_load_b64 v[36:37], v[36:37], off
	s_wait_loadcnt 0x0
	v_xor_b32_e32 v36, 0x80000000, v36
	ds_store_b64 v80, v[36:37]
	s_or_b32 exec_lo, exec_lo, s65
	s_and_saveexec_b32 s65, s9
	s_delay_alu instid0(SALU_CYCLE_1)
	s_xor_b32 s65, exec_lo, s65
	s_cbranch_execz .LBB66_22
.LBB66_1105:                            ;   in Loop: Header=BB66_3 Depth=1
	v_readlane_b32 s51, v104, 22
	s_and_saveexec_b32 s68, s51
	s_delay_alu instid0(SALU_CYCLE_1)
	s_xor_b32 s68, exec_lo, s68
	s_cbranch_execz .LBB66_1109
; %bb.1106:                             ;   in Loop: Header=BB66_3 Depth=1
	v_readlane_b32 s51, v103, 10
	s_and_saveexec_b32 s69, s51
; %bb.1107:                             ;   in Loop: Header=BB66_3 Depth=1
	ds_store_b64 v81, v[24:25]
; %bb.1108:                             ;   in Loop: Header=BB66_3 Depth=1
	s_or_b32 exec_lo, exec_lo, s69
.LBB66_1109:                            ;   in Loop: Header=BB66_3 Depth=1
	s_and_not1_saveexec_b32 s68, s68
	s_cbranch_execz .LBB66_1115
; %bb.1110:                             ;   in Loop: Header=BB66_3 Depth=1
	v_lshl_add_u64 v[36:37], v[20:21], 3, s[84:85]
                                        ; implicit-def: $vgpr38_vgpr39
	global_load_b64 v[36:37], v[36:37], off
	s_wait_loadcnt 0x0
	v_cmp_ngt_f32_e64 s69, |v36|, |v37|
	s_and_saveexec_b32 s86, s69
	s_delay_alu instid0(SALU_CYCLE_1)
	s_xor_b32 s69, exec_lo, s86
	s_cbranch_execz .LBB66_1112
; %bb.1111:                             ;   in Loop: Header=BB66_3 Depth=1
	v_div_scale_f32 v4, null, -v37, -v37, v36
	v_div_scale_f32 v40, vcc_lo, v36, -v37, v36
	s_delay_alu instid0(VALU_DEP_2) | instskip(SKIP_1) | instid1(TRANS32_DEP_1)
	v_rcp_f32_e32 v38, v4
	v_nop
	v_fma_f32 v39, -v4, v38, 1.0
	s_delay_alu instid0(VALU_DEP_1) | instskip(NEXT) | instid1(VALU_DEP_1)
	v_fmac_f32_e32 v38, v39, v38
	v_mul_f32_e32 v39, v40, v38
	s_delay_alu instid0(VALU_DEP_1) | instskip(NEXT) | instid1(VALU_DEP_1)
	v_fma_f32 v41, -v4, v39, v40
	v_fmac_f32_e32 v39, v41, v38
	s_delay_alu instid0(VALU_DEP_1) | instskip(NEXT) | instid1(VALU_DEP_1)
	v_fma_f32 v4, -v4, v39, v40
	v_div_fmas_f32 v4, v4, v38, v39
	s_delay_alu instid0(VALU_DEP_1) | instskip(NEXT) | instid1(VALU_DEP_1)
	v_div_fixup_f32 v4, v4, -v37, v36
	v_fma_f32 v36, v36, v4, -v37
	s_delay_alu instid0(VALU_DEP_1) | instskip(SKIP_1) | instid1(VALU_DEP_2)
	v_div_scale_f32 v37, null, v36, v36, 1.0
	v_div_scale_f32 v40, vcc_lo, 1.0, v36, 1.0
	v_rcp_f32_e32 v38, v37
	v_nop
	s_delay_alu instid0(TRANS32_DEP_1) | instskip(NEXT) | instid1(VALU_DEP_1)
	v_fma_f32 v39, -v37, v38, 1.0
	v_fmac_f32_e32 v38, v39, v38
	s_delay_alu instid0(VALU_DEP_1) | instskip(NEXT) | instid1(VALU_DEP_1)
	v_mul_f32_e32 v39, v40, v38
	v_fma_f32 v41, -v37, v39, v40
	s_delay_alu instid0(VALU_DEP_1) | instskip(NEXT) | instid1(VALU_DEP_1)
	v_fmac_f32_e32 v39, v41, v38
	v_fma_f32 v37, -v37, v39, v40
	s_delay_alu instid0(VALU_DEP_1) | instskip(NEXT) | instid1(VALU_DEP_1)
	v_div_fmas_f32 v37, v37, v38, v39
	v_div_fixup_f32 v36, v37, v36, 1.0
	s_delay_alu instid0(VALU_DEP_1)
	v_mul_f32_e32 v38, v4, v36
	v_xor_b32_e32 v39, 0x80000000, v36
                                        ; implicit-def: $vgpr36_vgpr37
.LBB66_1112:                            ;   in Loop: Header=BB66_3 Depth=1
	s_and_not1_saveexec_b32 s69, s69
	s_cbranch_execz .LBB66_1114
; %bb.1113:                             ;   in Loop: Header=BB66_3 Depth=1
	v_div_scale_f32 v4, null, v36, v36, -v37
	v_div_scale_f32 v40, vcc_lo, -v37, v36, -v37
	s_delay_alu instid0(VALU_DEP_2) | instskip(SKIP_1) | instid1(TRANS32_DEP_1)
	v_rcp_f32_e32 v38, v4
	v_nop
	v_fma_f32 v39, -v4, v38, 1.0
	s_delay_alu instid0(VALU_DEP_1) | instskip(NEXT) | instid1(VALU_DEP_1)
	v_fmac_f32_e32 v38, v39, v38
	v_mul_f32_e32 v39, v40, v38
	s_delay_alu instid0(VALU_DEP_1) | instskip(NEXT) | instid1(VALU_DEP_1)
	v_fma_f32 v41, -v4, v39, v40
	v_fmac_f32_e32 v39, v41, v38
	s_delay_alu instid0(VALU_DEP_1) | instskip(NEXT) | instid1(VALU_DEP_1)
	v_fma_f32 v4, -v4, v39, v40
	v_div_fmas_f32 v4, v4, v38, v39
	s_delay_alu instid0(VALU_DEP_1) | instskip(NEXT) | instid1(VALU_DEP_1)
	v_div_fixup_f32 v4, v4, v36, -v37
	v_fma_f32 v36, -v37, v4, v36
	s_delay_alu instid0(VALU_DEP_1) | instskip(NEXT) | instid1(VALU_DEP_1)
	v_div_scale_f32 v37, null, v36, v36, 1.0
	v_rcp_f32_e32 v38, v37
	v_nop
	s_delay_alu instid0(TRANS32_DEP_1) | instskip(NEXT) | instid1(VALU_DEP_1)
	v_fma_f32 v39, -v37, v38, 1.0
	v_fmac_f32_e32 v38, v39, v38
	v_div_scale_f32 v39, vcc_lo, 1.0, v36, 1.0
	s_delay_alu instid0(VALU_DEP_1) | instskip(NEXT) | instid1(VALU_DEP_1)
	v_mul_f32_e32 v40, v39, v38
	v_fma_f32 v41, -v37, v40, v39
	s_delay_alu instid0(VALU_DEP_1) | instskip(NEXT) | instid1(VALU_DEP_1)
	v_fmac_f32_e32 v40, v41, v38
	v_fma_f32 v37, -v37, v40, v39
	s_delay_alu instid0(VALU_DEP_1) | instskip(NEXT) | instid1(VALU_DEP_1)
	v_div_fmas_f32 v37, v37, v38, v40
	v_div_fixup_f32 v38, v37, v36, 1.0
	s_delay_alu instid0(VALU_DEP_1)
	v_mul_f32_e64 v39, v4, -v38
.LBB66_1114:                            ;   in Loop: Header=BB66_3 Depth=1
	s_or_b32 exec_lo, exec_lo, s69
	ds_store_b64 v81, v[38:39]
.LBB66_1115:                            ;   in Loop: Header=BB66_3 Depth=1
	s_or_b32 exec_lo, exec_lo, s68
	s_and_not1_saveexec_b32 s65, s65
	s_cbranch_execnz .LBB66_23
	s_branch .LBB66_24
.LBB66_1116:                            ;   in Loop: Header=BB66_3 Depth=1
	ds_load_b64 v[34:35], v89
	ds_load_b64 v[38:39], v84
	s_wait_dscnt 0x0
	v_dual_mul_f32 v4, v39, v35 :: v_dual_mul_f32 v35, v38, v35
	s_delay_alu instid0(VALU_DEP_1) | instskip(NEXT) | instid1(VALU_DEP_1)
	v_dual_fma_f32 v4, v38, v34, -v4 :: v_dual_fmac_f32 v35, v39, v34
	v_dual_add_f32 v34, 0, v4 :: v_dual_add_f32 v35, 0, v35
	s_or_b32 exec_lo, exec_lo, s65
	s_and_saveexec_b32 s65, s7
	s_cbranch_execz .LBB66_1048
.LBB66_1117:                            ;   in Loop: Header=BB66_3 Depth=1
	ds_load_b64 v[38:39], v89 offset:8192
	ds_load_b64 v[40:41], v84 offset:128
	s_wait_dscnt 0x0
	v_dual_mul_f32 v4, v41, v39 :: v_dual_mul_f32 v95, v40, v39
	s_delay_alu instid0(VALU_DEP_1) | instskip(NEXT) | instid1(VALU_DEP_1)
	v_dual_fma_f32 v94, v40, v38, -v4 :: v_dual_fmac_f32 v95, v41, v38
	v_pk_add_f32 v[34:35], v[34:35], v[94:95]
	s_or_b32 exec_lo, exec_lo, s65
	s_and_saveexec_b32 s65, s8
	s_cbranch_execz .LBB66_1049
.LBB66_1118:                            ;   in Loop: Header=BB66_3 Depth=1
	ds_load_b64 v[38:39], v89 offset:16384
	ds_load_b64 v[40:41], v84 offset:256
	s_wait_dscnt 0x0
	v_pk_mul_f32 v[94:95], v[40:41], v[38:39] op_sel:[1,1] op_sel_hi:[0,1]
	s_delay_alu instid0(VALU_DEP_1) | instskip(SKIP_1) | instid1(VALU_DEP_2)
	v_pk_fma_f32 v[96:97], v[40:41], v[38:39], v[94:95] op_sel_hi:[1,0,1]
	v_pk_fma_f32 v[38:39], v[40:41], v[38:39], v[94:95] neg_lo:[0,0,1] neg_hi:[0,0,1]
	v_mov_b32_e32 v39, v97
	s_delay_alu instid0(VALU_DEP_1)
	v_pk_add_f32 v[34:35], v[34:35], v[38:39]
	s_or_b32 exec_lo, exec_lo, s65
	s_and_saveexec_b32 s65, s9
	s_cbranch_execnz .LBB66_1050
	s_branch .LBB66_1051
.LBB66_1119:                            ;   in Loop: Header=BB66_3 Depth=1
	s_or_b32 exec_lo, exec_lo, s69
	s_delay_alu instid0(SALU_CYCLE_1)
	s_and_b32 vcc_lo, exec_lo, s68
	s_cbranch_vccnz .LBB66_1054
.LBB66_1120:                            ;   in Loop: Header=BB66_3 Depth=1
	v_mov_b64_e32 v[36:37], v[38:39]
	v_mov_b64_e32 v[34:35], v[22:23]
	s_and_saveexec_b32 s68, s65
	s_cbranch_execz .LBB66_1122
.LBB66_1121:                            ;   in Loop: Header=BB66_3 Depth=1
	s_delay_alu instid0(VALU_DEP_1)
	v_lshl_add_u64 v[34:35], v[34:35], 3, s[84:85]
	global_store_b64 v[34:35], v[36:37], off
.LBB66_1122:                            ;   in Loop: Header=BB66_3 Depth=1
	s_wait_xcnt 0x0
	s_or_b32 exec_lo, exec_lo, s68
	global_wb scope:SCOPE_DEV
	s_wait_storecnt 0x0
	global_inv scope:SCOPE_DEV
	s_wait_loadcnt 0x0
	s_barrier_signal -1
	s_barrier_wait -1
	s_and_saveexec_b32 s65, s36
	s_cbranch_execz .LBB66_2
; %bb.1123:                             ;   in Loop: Header=BB66_3 Depth=1
	s_lshl_b64 s[68:69], s[76:77], 2
	s_delay_alu instid0(SALU_CYCLE_1)
	s_add_nc_u64 s[68:69], s[78:79], s[68:69]
	global_load_b32 v4, v5, s[68:69]
	s_wait_loadcnt 0x0
	v_add_nc_u32_e32 v4, 1, v4
	global_store_b32 v5, v4, s[68:69]
	s_branch .LBB66_2
.LBB66_1124:                            ;   in Loop: Header=BB66_3 Depth=1
	ds_load_b64 v[38:39], v51 offset:31680
	ds_load_b64 v[40:41], v52 offset:32744
	s_wait_dscnt 0x0
	v_dual_mul_f32 v4, v41, v39 :: v_dual_mul_f32 v39, v40, v39
	s_delay_alu instid0(VALU_DEP_1) | instskip(NEXT) | instid1(VALU_DEP_1)
	v_dual_fma_f32 v4, v40, v38, -v4 :: v_dual_fmac_f32 v39, v41, v38
	v_dual_add_f32 v36, v36, v4 :: v_dual_add_f32 v37, v37, v39
	s_or_b32 exec_lo, exec_lo, s68
	s_and_saveexec_b32 s68, s17
	s_cbranch_execz .LBB66_104
.LBB66_1125:                            ;   in Loop: Header=BB66_3 Depth=1
	ds_load_b64 v[38:39], v51 offset:32192
	ds_load_b64 v[40:41], v52 offset:32752
	s_wait_dscnt 0x0
	v_dual_mul_f32 v4, v41, v39 :: v_dual_mul_f32 v39, v40, v39
	s_delay_alu instid0(VALU_DEP_1) | instskip(NEXT) | instid1(VALU_DEP_1)
	v_dual_fma_f32 v4, v40, v38, -v4 :: v_dual_fmac_f32 v39, v41, v38
	v_dual_add_f32 v36, v36, v4 :: v_dual_add_f32 v37, v37, v39
	s_or_b32 exec_lo, exec_lo, s68
	s_and_saveexec_b32 s68, s0
	s_cbranch_execnz .LBB66_105
	s_branch .LBB66_106
.LBB66_1126:                            ;   in Loop: Header=BB66_3 Depth=1
	ds_load_b64 v[38:39], v58 offset:29568
	ds_load_b64 v[40:41], v59 offset:32712
	s_wait_dscnt 0x0
	v_dual_mul_f32 v4, v41, v39 :: v_dual_mul_f32 v39, v40, v39
	s_delay_alu instid0(VALU_DEP_1) | instskip(NEXT) | instid1(VALU_DEP_1)
	v_dual_fma_f32 v4, v40, v38, -v4 :: v_dual_fmac_f32 v39, v41, v38
	v_dual_add_f32 v36, v36, v4 :: v_dual_add_f32 v37, v37, v39
	s_or_b32 exec_lo, exec_lo, s68
	s_and_saveexec_b32 s68, s19
	s_cbranch_execz .LBB66_146
.LBB66_1127:                            ;   in Loop: Header=BB66_3 Depth=1
	ds_load_b64 v[38:39], v58 offset:30080
	ds_load_b64 v[40:41], v59 offset:32720
	s_wait_dscnt 0x0
	v_dual_mul_f32 v4, v41, v39 :: v_dual_mul_f32 v39, v40, v39
	s_delay_alu instid0(VALU_DEP_1) | instskip(NEXT) | instid1(VALU_DEP_1)
	v_dual_fma_f32 v4, v40, v38, -v4 :: v_dual_fmac_f32 v39, v41, v38
	v_dual_add_f32 v36, v36, v4 :: v_dual_add_f32 v37, v37, v39
	s_or_b32 exec_lo, exec_lo, s68
	s_and_saveexec_b32 s68, s20
	s_cbranch_execz .LBB66_147
.LBB66_1128:                            ;   in Loop: Header=BB66_3 Depth=1
	ds_load_b64 v[38:39], v58 offset:30592
	ds_load_b64 v[40:41], v59 offset:32728
	s_wait_dscnt 0x0
	v_dual_mul_f32 v4, v41, v39 :: v_dual_mul_f32 v39, v40, v39
	s_delay_alu instid0(VALU_DEP_1) | instskip(NEXT) | instid1(VALU_DEP_1)
	v_dual_fma_f32 v4, v40, v38, -v4 :: v_dual_fmac_f32 v39, v41, v38
	v_dual_add_f32 v36, v36, v4 :: v_dual_add_f32 v37, v37, v39
	s_or_b32 exec_lo, exec_lo, s68
	s_and_saveexec_b32 s68, s21
	s_cbranch_execz .LBB66_148
.LBB66_1129:                            ;   in Loop: Header=BB66_3 Depth=1
	ds_load_b64 v[38:39], v58 offset:31104
	ds_load_b64 v[40:41], v59 offset:32736
	s_wait_dscnt 0x0
	v_dual_mul_f32 v4, v41, v39 :: v_dual_mul_f32 v39, v40, v39
	s_delay_alu instid0(VALU_DEP_1) | instskip(NEXT) | instid1(VALU_DEP_1)
	v_dual_fma_f32 v4, v40, v38, -v4 :: v_dual_fmac_f32 v39, v41, v38
	v_dual_add_f32 v36, v36, v4 :: v_dual_add_f32 v37, v37, v39
	s_or_b32 exec_lo, exec_lo, s68
	s_and_saveexec_b32 s68, s22
	s_cbranch_execz .LBB66_149
.LBB66_1130:                            ;   in Loop: Header=BB66_3 Depth=1
	ds_load_b64 v[38:39], v58 offset:31616
	ds_load_b64 v[40:41], v59 offset:32744
	s_wait_dscnt 0x0
	v_dual_mul_f32 v4, v41, v39 :: v_dual_mul_f32 v39, v40, v39
	s_delay_alu instid0(VALU_DEP_1) | instskip(NEXT) | instid1(VALU_DEP_1)
	v_dual_fma_f32 v4, v40, v38, -v4 :: v_dual_fmac_f32 v39, v41, v38
	v_dual_add_f32 v36, v36, v4 :: v_dual_add_f32 v37, v37, v39
	s_or_b32 exec_lo, exec_lo, s68
	s_and_saveexec_b32 s68, s2
	s_cbranch_execz .LBB66_150
.LBB66_1131:                            ;   in Loop: Header=BB66_3 Depth=1
	ds_load_b64 v[38:39], v58 offset:32128
	ds_load_b64 v[40:41], v59 offset:32752
	s_wait_dscnt 0x0
	v_dual_mul_f32 v4, v41, v39 :: v_dual_mul_f32 v39, v40, v39
	s_delay_alu instid0(VALU_DEP_1) | instskip(NEXT) | instid1(VALU_DEP_1)
	v_dual_fma_f32 v4, v40, v38, -v4 :: v_dual_fmac_f32 v39, v41, v38
	v_dual_add_f32 v36, v36, v4 :: v_dual_add_f32 v37, v37, v39
	s_or_b32 exec_lo, exec_lo, s68
	s_and_saveexec_b32 s68, s17
	s_cbranch_execnz .LBB66_151
	s_branch .LBB66_152
.LBB66_1132:                            ;   in Loop: Header=BB66_3 Depth=1
	ds_load_b64 v[38:39], v51 offset:27520
	ds_load_b64 v[40:41], v52 offset:28584
	s_wait_dscnt 0x0
	v_dual_mul_f32 v4, v41, v39 :: v_dual_mul_f32 v39, v40, v39
	s_delay_alu instid0(VALU_DEP_1) | instskip(NEXT) | instid1(VALU_DEP_1)
	v_dual_fma_f32 v4, v40, v38, -v4 :: v_dual_fmac_f32 v39, v41, v38
	v_dual_add_f32 v36, v36, v4 :: v_dual_add_f32 v37, v37, v39
	s_or_b32 exec_lo, exec_lo, s68
	s_and_saveexec_b32 s68, s17
	s_cbranch_execz .LBB66_208
.LBB66_1133:                            ;   in Loop: Header=BB66_3 Depth=1
	ds_load_b64 v[38:39], v51 offset:28032
	ds_load_b64 v[40:41], v52 offset:28592
	s_wait_dscnt 0x0
	v_dual_mul_f32 v4, v41, v39 :: v_dual_mul_f32 v39, v40, v39
	s_delay_alu instid0(VALU_DEP_1) | instskip(NEXT) | instid1(VALU_DEP_1)
	v_dual_fma_f32 v4, v40, v38, -v4 :: v_dual_fmac_f32 v39, v41, v38
	v_dual_add_f32 v36, v36, v4 :: v_dual_add_f32 v37, v37, v39
	s_or_b32 exec_lo, exec_lo, s68
	s_and_saveexec_b32 s68, s0
	s_cbranch_execnz .LBB66_209
	s_branch .LBB66_210
.LBB66_1134:                            ;   in Loop: Header=BB66_3 Depth=1
	ds_load_b64 v[38:39], v62 offset:30464
	ds_load_b64 v[40:41], v63 offset:32728
	s_wait_dscnt 0x0
	v_dual_mul_f32 v4, v41, v39 :: v_dual_mul_f32 v39, v40, v39
	s_delay_alu instid0(VALU_DEP_1) | instskip(NEXT) | instid1(VALU_DEP_1)
	v_dual_fma_f32 v4, v40, v38, -v4 :: v_dual_fmac_f32 v39, v41, v38
	v_dual_add_f32 v36, v36, v4 :: v_dual_add_f32 v37, v37, v39
	s_or_b32 exec_lo, exec_lo, s68
	s_and_saveexec_b32 s68, s3
	s_cbranch_execz .LBB66_270
.LBB66_1135:                            ;   in Loop: Header=BB66_3 Depth=1
	ds_load_b64 v[38:39], v62 offset:30976
	ds_load_b64 v[40:41], v63 offset:32736
	s_wait_dscnt 0x0
	v_dual_mul_f32 v4, v41, v39 :: v_dual_mul_f32 v39, v40, v39
	s_delay_alu instid0(VALU_DEP_1) | instskip(NEXT) | instid1(VALU_DEP_1)
	v_dual_fma_f32 v4, v40, v38, -v4 :: v_dual_fmac_f32 v39, v41, v38
	v_dual_add_f32 v36, v36, v4 :: v_dual_add_f32 v37, v37, v39
	s_or_b32 exec_lo, exec_lo, s68
	s_and_saveexec_b32 s68, s19
	s_cbranch_execz .LBB66_271
.LBB66_1136:                            ;   in Loop: Header=BB66_3 Depth=1
	ds_load_b64 v[38:39], v62 offset:31488
	ds_load_b64 v[40:41], v63 offset:32744
	s_wait_dscnt 0x0
	v_dual_mul_f32 v4, v41, v39 :: v_dual_mul_f32 v39, v40, v39
	s_delay_alu instid0(VALU_DEP_1) | instskip(NEXT) | instid1(VALU_DEP_1)
	v_dual_fma_f32 v4, v40, v38, -v4 :: v_dual_fmac_f32 v39, v41, v38
	v_dual_add_f32 v36, v36, v4 :: v_dual_add_f32 v37, v37, v39
	s_or_b32 exec_lo, exec_lo, s68
	s_and_saveexec_b32 s68, s21
	s_cbranch_execz .LBB66_272
.LBB66_1137:                            ;   in Loop: Header=BB66_3 Depth=1
	ds_load_b64 v[38:39], v62 offset:32000
	ds_load_b64 v[40:41], v63 offset:32752
	s_wait_dscnt 0x0
	v_dual_mul_f32 v4, v41, v39 :: v_dual_mul_f32 v39, v40, v39
	s_delay_alu instid0(VALU_DEP_1) | instskip(NEXT) | instid1(VALU_DEP_1)
	v_dual_fma_f32 v4, v40, v38, -v4 :: v_dual_fmac_f32 v39, v41, v38
	v_dual_add_f32 v36, v36, v4 :: v_dual_add_f32 v37, v37, v39
	s_or_b32 exec_lo, exec_lo, s68
	s_and_saveexec_b32 s68, s2
	s_cbranch_execnz .LBB66_273
	s_branch .LBB66_274
.LBB66_1138:                            ;   in Loop: Header=BB66_3 Depth=1
	ds_load_b64 v[38:39], v51 offset:23360
	ds_load_b64 v[40:41], v52 offset:24424
	s_wait_dscnt 0x0
	v_dual_mul_f32 v4, v41, v39 :: v_dual_mul_f32 v39, v40, v39
	s_delay_alu instid0(VALU_DEP_1) | instskip(NEXT) | instid1(VALU_DEP_1)
	v_dual_fma_f32 v4, v40, v38, -v4 :: v_dual_fmac_f32 v39, v41, v38
	v_dual_add_f32 v36, v36, v4 :: v_dual_add_f32 v37, v37, v39
	s_or_b32 exec_lo, exec_lo, s68
	s_and_saveexec_b32 s68, s17
	s_cbranch_execz .LBB66_362
.LBB66_1139:                            ;   in Loop: Header=BB66_3 Depth=1
	ds_load_b64 v[38:39], v51 offset:23872
	ds_load_b64 v[40:41], v52 offset:24432
	s_wait_dscnt 0x0
	v_dual_mul_f32 v4, v41, v39 :: v_dual_mul_f32 v39, v40, v39
	s_delay_alu instid0(VALU_DEP_1) | instskip(NEXT) | instid1(VALU_DEP_1)
	v_dual_fma_f32 v4, v40, v38, -v4 :: v_dual_fmac_f32 v39, v41, v38
	v_dual_add_f32 v36, v36, v4 :: v_dual_add_f32 v37, v37, v39
	s_or_b32 exec_lo, exec_lo, s68
	s_and_saveexec_b32 s68, s0
	s_cbranch_execnz .LBB66_363
	s_branch .LBB66_364
.LBB66_1140:                            ;   in Loop: Header=BB66_3 Depth=1
	ds_load_b64 v[38:39], v58 offset:21248
	ds_load_b64 v[40:41], v59 offset:24392
	s_wait_dscnt 0x0
	v_dual_mul_f32 v4, v41, v39 :: v_dual_mul_f32 v39, v40, v39
	s_delay_alu instid0(VALU_DEP_1) | instskip(NEXT) | instid1(VALU_DEP_1)
	v_dual_fma_f32 v4, v40, v38, -v4 :: v_dual_fmac_f32 v39, v41, v38
	v_dual_add_f32 v36, v36, v4 :: v_dual_add_f32 v37, v37, v39
	s_or_b32 exec_lo, exec_lo, s68
	s_and_saveexec_b32 s68, s19
	s_cbranch_execz .LBB66_404
.LBB66_1141:                            ;   in Loop: Header=BB66_3 Depth=1
	ds_load_b64 v[38:39], v58 offset:21760
	ds_load_b64 v[40:41], v59 offset:24400
	s_wait_dscnt 0x0
	v_dual_mul_f32 v4, v41, v39 :: v_dual_mul_f32 v39, v40, v39
	s_delay_alu instid0(VALU_DEP_1) | instskip(NEXT) | instid1(VALU_DEP_1)
	v_dual_fma_f32 v4, v40, v38, -v4 :: v_dual_fmac_f32 v39, v41, v38
	v_dual_add_f32 v36, v36, v4 :: v_dual_add_f32 v37, v37, v39
	s_or_b32 exec_lo, exec_lo, s68
	s_and_saveexec_b32 s68, s20
	s_cbranch_execz .LBB66_405
.LBB66_1142:                            ;   in Loop: Header=BB66_3 Depth=1
	ds_load_b64 v[38:39], v58 offset:22272
	ds_load_b64 v[40:41], v59 offset:24408
	s_wait_dscnt 0x0
	v_dual_mul_f32 v4, v41, v39 :: v_dual_mul_f32 v39, v40, v39
	s_delay_alu instid0(VALU_DEP_1) | instskip(NEXT) | instid1(VALU_DEP_1)
	v_dual_fma_f32 v4, v40, v38, -v4 :: v_dual_fmac_f32 v39, v41, v38
	v_dual_add_f32 v36, v36, v4 :: v_dual_add_f32 v37, v37, v39
	s_or_b32 exec_lo, exec_lo, s68
	s_and_saveexec_b32 s68, s21
	s_cbranch_execz .LBB66_406
.LBB66_1143:                            ;   in Loop: Header=BB66_3 Depth=1
	ds_load_b64 v[38:39], v58 offset:22784
	ds_load_b64 v[40:41], v59 offset:24416
	s_wait_dscnt 0x0
	v_dual_mul_f32 v4, v41, v39 :: v_dual_mul_f32 v39, v40, v39
	s_delay_alu instid0(VALU_DEP_1) | instskip(NEXT) | instid1(VALU_DEP_1)
	v_dual_fma_f32 v4, v40, v38, -v4 :: v_dual_fmac_f32 v39, v41, v38
	v_dual_add_f32 v36, v36, v4 :: v_dual_add_f32 v37, v37, v39
	s_or_b32 exec_lo, exec_lo, s68
	s_and_saveexec_b32 s68, s22
	s_cbranch_execz .LBB66_407
.LBB66_1144:                            ;   in Loop: Header=BB66_3 Depth=1
	ds_load_b64 v[38:39], v58 offset:23296
	ds_load_b64 v[40:41], v59 offset:24424
	s_wait_dscnt 0x0
	v_dual_mul_f32 v4, v41, v39 :: v_dual_mul_f32 v39, v40, v39
	s_delay_alu instid0(VALU_DEP_1) | instskip(NEXT) | instid1(VALU_DEP_1)
	v_dual_fma_f32 v4, v40, v38, -v4 :: v_dual_fmac_f32 v39, v41, v38
	v_dual_add_f32 v36, v36, v4 :: v_dual_add_f32 v37, v37, v39
	s_or_b32 exec_lo, exec_lo, s68
	s_and_saveexec_b32 s68, s2
	s_cbranch_execz .LBB66_408
.LBB66_1145:                            ;   in Loop: Header=BB66_3 Depth=1
	ds_load_b64 v[38:39], v58 offset:23808
	ds_load_b64 v[40:41], v59 offset:24432
	s_wait_dscnt 0x0
	v_dual_mul_f32 v4, v41, v39 :: v_dual_mul_f32 v39, v40, v39
	s_delay_alu instid0(VALU_DEP_1) | instskip(NEXT) | instid1(VALU_DEP_1)
	v_dual_fma_f32 v4, v40, v38, -v4 :: v_dual_fmac_f32 v39, v41, v38
	v_dual_add_f32 v36, v36, v4 :: v_dual_add_f32 v37, v37, v39
	s_or_b32 exec_lo, exec_lo, s68
	s_and_saveexec_b32 s68, s17
	s_cbranch_execnz .LBB66_409
	s_branch .LBB66_410
.LBB66_1146:                            ;   in Loop: Header=BB66_3 Depth=1
	ds_load_b64 v[38:39], v51 offset:19200
	ds_load_b64 v[40:41], v52 offset:20264
	s_wait_dscnt 0x0
	v_dual_mul_f32 v4, v41, v39 :: v_dual_mul_f32 v39, v40, v39
	s_delay_alu instid0(VALU_DEP_1) | instskip(NEXT) | instid1(VALU_DEP_1)
	v_dual_fma_f32 v4, v40, v38, -v4 :: v_dual_fmac_f32 v39, v41, v38
	v_dual_add_f32 v36, v36, v4 :: v_dual_add_f32 v37, v37, v39
	s_or_b32 exec_lo, exec_lo, s68
	s_and_saveexec_b32 s68, s17
	s_cbranch_execz .LBB66_466
.LBB66_1147:                            ;   in Loop: Header=BB66_3 Depth=1
	ds_load_b64 v[38:39], v51 offset:19712
	ds_load_b64 v[40:41], v52 offset:20272
	s_wait_dscnt 0x0
	v_dual_mul_f32 v4, v41, v39 :: v_dual_mul_f32 v39, v40, v39
	s_delay_alu instid0(VALU_DEP_1) | instskip(NEXT) | instid1(VALU_DEP_1)
	v_dual_fma_f32 v4, v40, v38, -v4 :: v_dual_fmac_f32 v39, v41, v38
	v_dual_add_f32 v36, v36, v4 :: v_dual_add_f32 v37, v37, v39
	s_or_b32 exec_lo, exec_lo, s68
	s_and_saveexec_b32 s68, s0
	s_cbranch_execnz .LBB66_467
	s_branch .LBB66_468
.LBB66_1148:                            ;   in Loop: Header=BB66_3 Depth=1
	ds_load_b64 v[38:39], v65 offset:31232
	ds_load_b64 v[40:41], v67 offset:32744
	s_wait_dscnt 0x0
	v_pk_mul_f32 v[94:95], v[40:41], v[38:39] op_sel:[1,1] op_sel_hi:[0,1]
	s_delay_alu instid0(VALU_DEP_1) | instskip(SKIP_1) | instid1(VALU_DEP_2)
	v_pk_fma_f32 v[96:97], v[40:41], v[38:39], v[94:95] op_sel_hi:[1,0,1]
	v_pk_fma_f32 v[38:39], v[40:41], v[38:39], v[94:95] neg_lo:[0,0,1] neg_hi:[0,0,1]
	v_mov_b32_e32 v39, v97
	s_delay_alu instid0(VALU_DEP_1)
	v_pk_add_f32 v[36:37], v[36:37], v[38:39]
	s_or_b32 exec_lo, exec_lo, s68
	s_and_saveexec_b32 s68, s3
	s_cbranch_execz .LBB66_564
.LBB66_1149:                            ;   in Loop: Header=BB66_3 Depth=1
	ds_load_b64 v[38:39], v65 offset:31744
	ds_load_b64 v[40:41], v67 offset:32752
	s_wait_dscnt 0x0
	v_pk_mul_f32 v[94:95], v[40:41], v[38:39] op_sel:[1,1] op_sel_hi:[0,1]
	s_delay_alu instid0(VALU_DEP_1) | instskip(SKIP_1) | instid1(VALU_DEP_2)
	v_pk_fma_f32 v[96:97], v[40:41], v[38:39], v[94:95] op_sel_hi:[1,0,1]
	v_pk_fma_f32 v[38:39], v[40:41], v[38:39], v[94:95] neg_lo:[0,0,1] neg_hi:[0,0,1]
	v_mov_b32_e32 v39, v97
	s_delay_alu instid0(VALU_DEP_1) | instskip(SKIP_2) | instid1(SALU_CYCLE_1)
	v_pk_add_f32 v[36:37], v[36:37], v[38:39]
	s_or_b32 exec_lo, exec_lo, s68
	s_and_saveexec_b32 s68, s21
	s_xor_b32 s68, exec_lo, s68
	s_cbranch_execnz .LBB66_565
	s_branch .LBB66_566
.LBB66_1150:                            ;   in Loop: Header=BB66_3 Depth=1
	ds_load_b64 v[38:39], v51 offset:15040
	ds_load_b64 v[40:41], v52 offset:16104
	s_wait_dscnt 0x0
	v_dual_mul_f32 v4, v41, v39 :: v_dual_mul_f32 v39, v40, v39
	s_delay_alu instid0(VALU_DEP_1) | instskip(NEXT) | instid1(VALU_DEP_1)
	v_dual_fma_f32 v4, v40, v38, -v4 :: v_dual_fmac_f32 v39, v41, v38
	v_dual_add_f32 v36, v36, v4 :: v_dual_add_f32 v37, v37, v39
	s_or_b32 exec_lo, exec_lo, s68
	s_and_saveexec_b32 s68, s17
	s_cbranch_execz .LBB66_602
.LBB66_1151:                            ;   in Loop: Header=BB66_3 Depth=1
	ds_load_b64 v[38:39], v51 offset:15552
	ds_load_b64 v[40:41], v52 offset:16112
	s_wait_dscnt 0x0
	v_dual_mul_f32 v4, v41, v39 :: v_dual_mul_f32 v39, v40, v39
	s_delay_alu instid0(VALU_DEP_1) | instskip(NEXT) | instid1(VALU_DEP_1)
	v_dual_fma_f32 v4, v40, v38, -v4 :: v_dual_fmac_f32 v39, v41, v38
	v_dual_add_f32 v36, v36, v4 :: v_dual_add_f32 v37, v37, v39
	s_or_b32 exec_lo, exec_lo, s68
	s_and_saveexec_b32 s68, s0
	s_cbranch_execnz .LBB66_603
	s_branch .LBB66_604
.LBB66_1152:                            ;   in Loop: Header=BB66_3 Depth=1
	ds_load_b64 v[38:39], v58 offset:12928
	ds_load_b64 v[40:41], v59 offset:16072
	s_wait_dscnt 0x0
	v_dual_mul_f32 v4, v41, v39 :: v_dual_mul_f32 v39, v40, v39
	s_delay_alu instid0(VALU_DEP_1) | instskip(NEXT) | instid1(VALU_DEP_1)
	v_dual_fma_f32 v4, v40, v38, -v4 :: v_dual_fmac_f32 v39, v41, v38
	v_dual_add_f32 v36, v36, v4 :: v_dual_add_f32 v37, v37, v39
	s_or_b32 exec_lo, exec_lo, s68
	s_and_saveexec_b32 s68, s19
	s_cbranch_execz .LBB66_644
.LBB66_1153:                            ;   in Loop: Header=BB66_3 Depth=1
	ds_load_b64 v[38:39], v58 offset:13440
	ds_load_b64 v[40:41], v59 offset:16080
	s_wait_dscnt 0x0
	v_dual_mul_f32 v4, v41, v39 :: v_dual_mul_f32 v39, v40, v39
	s_delay_alu instid0(VALU_DEP_1) | instskip(NEXT) | instid1(VALU_DEP_1)
	v_dual_fma_f32 v4, v40, v38, -v4 :: v_dual_fmac_f32 v39, v41, v38
	v_dual_add_f32 v36, v36, v4 :: v_dual_add_f32 v37, v37, v39
	s_or_b32 exec_lo, exec_lo, s68
	s_and_saveexec_b32 s68, s20
	s_cbranch_execz .LBB66_645
.LBB66_1154:                            ;   in Loop: Header=BB66_3 Depth=1
	ds_load_b64 v[38:39], v58 offset:13952
	ds_load_b64 v[40:41], v59 offset:16088
	s_wait_dscnt 0x0
	v_dual_mul_f32 v4, v41, v39 :: v_dual_mul_f32 v39, v40, v39
	s_delay_alu instid0(VALU_DEP_1) | instskip(NEXT) | instid1(VALU_DEP_1)
	v_dual_fma_f32 v4, v40, v38, -v4 :: v_dual_fmac_f32 v39, v41, v38
	v_dual_add_f32 v36, v36, v4 :: v_dual_add_f32 v37, v37, v39
	s_or_b32 exec_lo, exec_lo, s68
	s_and_saveexec_b32 s68, s21
	s_cbranch_execz .LBB66_646
.LBB66_1155:                            ;   in Loop: Header=BB66_3 Depth=1
	ds_load_b64 v[38:39], v58 offset:14464
	ds_load_b64 v[40:41], v59 offset:16096
	s_wait_dscnt 0x0
	v_dual_mul_f32 v4, v41, v39 :: v_dual_mul_f32 v39, v40, v39
	s_delay_alu instid0(VALU_DEP_1) | instskip(NEXT) | instid1(VALU_DEP_1)
	v_dual_fma_f32 v4, v40, v38, -v4 :: v_dual_fmac_f32 v39, v41, v38
	v_dual_add_f32 v36, v36, v4 :: v_dual_add_f32 v37, v37, v39
	s_or_b32 exec_lo, exec_lo, s68
	s_and_saveexec_b32 s68, s22
	s_cbranch_execz .LBB66_647
.LBB66_1156:                            ;   in Loop: Header=BB66_3 Depth=1
	ds_load_b64 v[38:39], v58 offset:14976
	ds_load_b64 v[40:41], v59 offset:16104
	s_wait_dscnt 0x0
	v_dual_mul_f32 v4, v41, v39 :: v_dual_mul_f32 v39, v40, v39
	s_delay_alu instid0(VALU_DEP_1) | instskip(NEXT) | instid1(VALU_DEP_1)
	v_dual_fma_f32 v4, v40, v38, -v4 :: v_dual_fmac_f32 v39, v41, v38
	v_dual_add_f32 v36, v36, v4 :: v_dual_add_f32 v37, v37, v39
	s_or_b32 exec_lo, exec_lo, s68
	s_and_saveexec_b32 s68, s2
	s_cbranch_execz .LBB66_648
.LBB66_1157:                            ;   in Loop: Header=BB66_3 Depth=1
	ds_load_b64 v[38:39], v58 offset:15488
	ds_load_b64 v[40:41], v59 offset:16112
	s_wait_dscnt 0x0
	v_dual_mul_f32 v4, v41, v39 :: v_dual_mul_f32 v39, v40, v39
	s_delay_alu instid0(VALU_DEP_1) | instskip(NEXT) | instid1(VALU_DEP_1)
	v_dual_fma_f32 v4, v40, v38, -v4 :: v_dual_fmac_f32 v39, v41, v38
	v_dual_add_f32 v36, v36, v4 :: v_dual_add_f32 v37, v37, v39
	s_or_b32 exec_lo, exec_lo, s68
	s_and_saveexec_b32 s68, s17
	s_cbranch_execnz .LBB66_649
	s_branch .LBB66_650
.LBB66_1158:                            ;   in Loop: Header=BB66_3 Depth=1
	ds_load_b64 v[38:39], v51 offset:10880
	ds_load_b64 v[40:41], v52 offset:11944
	s_wait_dscnt 0x0
	v_dual_mul_f32 v4, v41, v39 :: v_dual_mul_f32 v39, v40, v39
	s_delay_alu instid0(VALU_DEP_1) | instskip(NEXT) | instid1(VALU_DEP_1)
	v_dual_fma_f32 v4, v40, v38, -v4 :: v_dual_fmac_f32 v39, v41, v38
	v_dual_add_f32 v36, v36, v4 :: v_dual_add_f32 v37, v37, v39
	s_or_b32 exec_lo, exec_lo, s68
	s_and_saveexec_b32 s68, s17
	s_cbranch_execz .LBB66_706
.LBB66_1159:                            ;   in Loop: Header=BB66_3 Depth=1
	ds_load_b64 v[38:39], v51 offset:11392
	ds_load_b64 v[40:41], v52 offset:11952
	s_wait_dscnt 0x0
	v_dual_mul_f32 v4, v41, v39 :: v_dual_mul_f32 v39, v40, v39
	s_delay_alu instid0(VALU_DEP_1) | instskip(NEXT) | instid1(VALU_DEP_1)
	v_dual_fma_f32 v4, v40, v38, -v4 :: v_dual_fmac_f32 v39, v41, v38
	v_dual_add_f32 v36, v36, v4 :: v_dual_add_f32 v37, v37, v39
	s_or_b32 exec_lo, exec_lo, s68
	s_and_saveexec_b32 s68, s0
	s_cbranch_execnz .LBB66_707
	s_branch .LBB66_708
.LBB66_1160:                            ;   in Loop: Header=BB66_3 Depth=1
	ds_load_b64 v[38:39], v62 offset:13824
	ds_load_b64 v[40:41], v63 offset:16088
	s_wait_dscnt 0x0
	v_dual_mul_f32 v4, v41, v39 :: v_dual_mul_f32 v39, v40, v39
	s_delay_alu instid0(VALU_DEP_1) | instskip(NEXT) | instid1(VALU_DEP_1)
	v_dual_fma_f32 v4, v40, v38, -v4 :: v_dual_fmac_f32 v39, v41, v38
	v_dual_add_f32 v36, v36, v4 :: v_dual_add_f32 v37, v37, v39
	s_or_b32 exec_lo, exec_lo, s68
	s_and_saveexec_b32 s68, s3
	s_cbranch_execz .LBB66_768
.LBB66_1161:                            ;   in Loop: Header=BB66_3 Depth=1
	ds_load_b64 v[38:39], v62 offset:14336
	ds_load_b64 v[40:41], v63 offset:16096
	s_wait_dscnt 0x0
	v_dual_mul_f32 v4, v41, v39 :: v_dual_mul_f32 v39, v40, v39
	s_delay_alu instid0(VALU_DEP_1) | instskip(NEXT) | instid1(VALU_DEP_1)
	v_dual_fma_f32 v4, v40, v38, -v4 :: v_dual_fmac_f32 v39, v41, v38
	v_dual_add_f32 v36, v36, v4 :: v_dual_add_f32 v37, v37, v39
	s_or_b32 exec_lo, exec_lo, s68
	s_and_saveexec_b32 s68, s19
	s_cbranch_execz .LBB66_769
.LBB66_1162:                            ;   in Loop: Header=BB66_3 Depth=1
	ds_load_b64 v[38:39], v62 offset:14848
	ds_load_b64 v[40:41], v63 offset:16104
	s_wait_dscnt 0x0
	v_dual_mul_f32 v4, v41, v39 :: v_dual_mul_f32 v39, v40, v39
	s_delay_alu instid0(VALU_DEP_1) | instskip(NEXT) | instid1(VALU_DEP_1)
	v_dual_fma_f32 v4, v40, v38, -v4 :: v_dual_fmac_f32 v39, v41, v38
	v_dual_add_f32 v36, v36, v4 :: v_dual_add_f32 v37, v37, v39
	s_or_b32 exec_lo, exec_lo, s68
	s_and_saveexec_b32 s68, s21
	s_cbranch_execz .LBB66_770
.LBB66_1163:                            ;   in Loop: Header=BB66_3 Depth=1
	ds_load_b64 v[38:39], v62 offset:15360
	ds_load_b64 v[40:41], v63 offset:16112
	s_wait_dscnt 0x0
	v_dual_mul_f32 v4, v41, v39 :: v_dual_mul_f32 v39, v40, v39
	s_delay_alu instid0(VALU_DEP_1) | instskip(NEXT) | instid1(VALU_DEP_1)
	v_dual_fma_f32 v4, v40, v38, -v4 :: v_dual_fmac_f32 v39, v41, v38
	v_dual_add_f32 v36, v36, v4 :: v_dual_add_f32 v37, v37, v39
	s_or_b32 exec_lo, exec_lo, s68
	s_and_saveexec_b32 s68, s2
	s_cbranch_execnz .LBB66_771
	s_branch .LBB66_772
.LBB66_1164:                            ;   in Loop: Header=BB66_3 Depth=1
	ds_load_b64 v[38:39], v51 offset:6720
	ds_load_b64 v[40:41], v52 offset:7784
	s_wait_dscnt 0x0
	v_dual_mul_f32 v4, v41, v39 :: v_dual_mul_f32 v39, v40, v39
	s_delay_alu instid0(VALU_DEP_1) | instskip(NEXT) | instid1(VALU_DEP_1)
	v_dual_fma_f32 v4, v40, v38, -v4 :: v_dual_fmac_f32 v39, v41, v38
	v_dual_add_f32 v36, v36, v4 :: v_dual_add_f32 v37, v37, v39
	s_or_b32 exec_lo, exec_lo, s68
	s_and_saveexec_b32 s68, s17
	s_cbranch_execz .LBB66_860
.LBB66_1165:                            ;   in Loop: Header=BB66_3 Depth=1
	ds_load_b64 v[38:39], v51 offset:7232
	ds_load_b64 v[40:41], v52 offset:7792
	s_wait_dscnt 0x0
	v_dual_mul_f32 v4, v41, v39 :: v_dual_mul_f32 v39, v40, v39
	s_delay_alu instid0(VALU_DEP_1) | instskip(NEXT) | instid1(VALU_DEP_1)
	v_dual_fma_f32 v4, v40, v38, -v4 :: v_dual_fmac_f32 v39, v41, v38
	v_dual_add_f32 v36, v36, v4 :: v_dual_add_f32 v37, v37, v39
	s_or_b32 exec_lo, exec_lo, s68
	s_and_saveexec_b32 s68, s0
	s_cbranch_execnz .LBB66_861
	s_branch .LBB66_862
.LBB66_1166:                            ;   in Loop: Header=BB66_3 Depth=1
	ds_load_b64 v[38:39], v58 offset:4608
	ds_load_b64 v[40:41], v59 offset:7752
	s_wait_dscnt 0x0
	v_dual_mul_f32 v4, v41, v39 :: v_dual_mul_f32 v39, v40, v39
	s_delay_alu instid0(VALU_DEP_1) | instskip(NEXT) | instid1(VALU_DEP_1)
	v_dual_fma_f32 v4, v40, v38, -v4 :: v_dual_fmac_f32 v39, v41, v38
	v_dual_add_f32 v36, v36, v4 :: v_dual_add_f32 v37, v37, v39
	s_or_b32 exec_lo, exec_lo, s68
	s_and_saveexec_b32 s68, s19
	s_cbranch_execz .LBB66_902
.LBB66_1167:                            ;   in Loop: Header=BB66_3 Depth=1
	ds_load_b64 v[38:39], v58 offset:5120
	ds_load_b64 v[40:41], v59 offset:7760
	s_wait_dscnt 0x0
	v_dual_mul_f32 v4, v41, v39 :: v_dual_mul_f32 v39, v40, v39
	s_delay_alu instid0(VALU_DEP_1) | instskip(NEXT) | instid1(VALU_DEP_1)
	v_dual_fma_f32 v4, v40, v38, -v4 :: v_dual_fmac_f32 v39, v41, v38
	v_dual_add_f32 v36, v36, v4 :: v_dual_add_f32 v37, v37, v39
	s_or_b32 exec_lo, exec_lo, s68
	s_and_saveexec_b32 s68, s20
	s_cbranch_execz .LBB66_903
.LBB66_1168:                            ;   in Loop: Header=BB66_3 Depth=1
	ds_load_b64 v[38:39], v58 offset:5632
	ds_load_b64 v[40:41], v59 offset:7768
	s_wait_dscnt 0x0
	v_dual_mul_f32 v4, v41, v39 :: v_dual_mul_f32 v39, v40, v39
	s_delay_alu instid0(VALU_DEP_1) | instskip(NEXT) | instid1(VALU_DEP_1)
	v_dual_fma_f32 v4, v40, v38, -v4 :: v_dual_fmac_f32 v39, v41, v38
	v_dual_add_f32 v36, v36, v4 :: v_dual_add_f32 v37, v37, v39
	s_or_b32 exec_lo, exec_lo, s68
	s_and_saveexec_b32 s68, s21
	s_cbranch_execz .LBB66_904
.LBB66_1169:                            ;   in Loop: Header=BB66_3 Depth=1
	ds_load_b64 v[38:39], v58 offset:6144
	ds_load_b64 v[40:41], v59 offset:7776
	s_wait_dscnt 0x0
	v_dual_mul_f32 v4, v41, v39 :: v_dual_mul_f32 v39, v40, v39
	s_delay_alu instid0(VALU_DEP_1) | instskip(NEXT) | instid1(VALU_DEP_1)
	v_dual_fma_f32 v4, v40, v38, -v4 :: v_dual_fmac_f32 v39, v41, v38
	v_dual_add_f32 v36, v36, v4 :: v_dual_add_f32 v37, v37, v39
	s_or_b32 exec_lo, exec_lo, s68
	s_and_saveexec_b32 s68, s22
	s_cbranch_execz .LBB66_905
.LBB66_1170:                            ;   in Loop: Header=BB66_3 Depth=1
	ds_load_b64 v[38:39], v58 offset:6656
	ds_load_b64 v[40:41], v59 offset:7784
	s_wait_dscnt 0x0
	v_dual_mul_f32 v4, v41, v39 :: v_dual_mul_f32 v39, v40, v39
	s_delay_alu instid0(VALU_DEP_1) | instskip(NEXT) | instid1(VALU_DEP_1)
	v_dual_fma_f32 v4, v40, v38, -v4 :: v_dual_fmac_f32 v39, v41, v38
	v_dual_add_f32 v36, v36, v4 :: v_dual_add_f32 v37, v37, v39
	s_or_b32 exec_lo, exec_lo, s68
	s_and_saveexec_b32 s68, s2
	s_cbranch_execz .LBB66_906
.LBB66_1171:                            ;   in Loop: Header=BB66_3 Depth=1
	ds_load_b64 v[38:39], v58 offset:7168
	ds_load_b64 v[40:41], v59 offset:7792
	s_wait_dscnt 0x0
	v_dual_mul_f32 v4, v41, v39 :: v_dual_mul_f32 v39, v40, v39
	s_delay_alu instid0(VALU_DEP_1) | instskip(NEXT) | instid1(VALU_DEP_1)
	v_dual_fma_f32 v4, v40, v38, -v4 :: v_dual_fmac_f32 v39, v41, v38
	v_dual_add_f32 v36, v36, v4 :: v_dual_add_f32 v37, v37, v39
	s_or_b32 exec_lo, exec_lo, s68
	s_and_saveexec_b32 s68, s17
	s_cbranch_execnz .LBB66_907
	s_branch .LBB66_908
.LBB66_1172:                            ;   in Loop: Header=BB66_3 Depth=1
	ds_load_b64 v[38:39], v51 offset:2560
	ds_load_b64 v[40:41], v52 offset:3624
	s_wait_dscnt 0x0
	v_dual_mul_f32 v4, v41, v39 :: v_dual_mul_f32 v39, v40, v39
	s_delay_alu instid0(VALU_DEP_1) | instskip(NEXT) | instid1(VALU_DEP_1)
	v_dual_fma_f32 v4, v40, v38, -v4 :: v_dual_fmac_f32 v39, v41, v38
	v_dual_add_f32 v36, v36, v4 :: v_dual_add_f32 v37, v37, v39
	s_or_b32 exec_lo, exec_lo, s68
	s_and_saveexec_b32 s68, s17
	s_cbranch_execz .LBB66_964
.LBB66_1173:                            ;   in Loop: Header=BB66_3 Depth=1
	ds_load_b64 v[38:39], v51 offset:3072
	ds_load_b64 v[40:41], v52 offset:3632
	s_wait_dscnt 0x0
	v_dual_mul_f32 v4, v41, v39 :: v_dual_mul_f32 v39, v40, v39
	s_delay_alu instid0(VALU_DEP_1) | instskip(NEXT) | instid1(VALU_DEP_1)
	v_dual_fma_f32 v4, v40, v38, -v4 :: v_dual_fmac_f32 v39, v41, v38
	v_dual_add_f32 v36, v36, v4 :: v_dual_add_f32 v37, v37, v39
	s_or_b32 exec_lo, exec_lo, s68
	s_and_saveexec_b32 s68, s0
	s_cbranch_execnz .LBB66_965
	s_branch .LBB66_966
.LBB66_1174:
	s_endpgm
	.section	.rodata,"a",@progbits
	.p2align	6, 0x0
	.amdhsa_kernel _ZL19rocblas_trsv_deviceILi64ELi16ELb0ELb1ELb1ELb0E19rocblas_complex_numIfES1_PKS1_PS1_EviT7_lllT6_T8_lllPii
		.amdhsa_group_segment_fixed_size 41480
		.amdhsa_private_segment_fixed_size 0
		.amdhsa_kernarg_size 352
		.amdhsa_user_sgpr_count 2
		.amdhsa_user_sgpr_dispatch_ptr 0
		.amdhsa_user_sgpr_queue_ptr 0
		.amdhsa_user_sgpr_kernarg_segment_ptr 1
		.amdhsa_user_sgpr_dispatch_id 0
		.amdhsa_user_sgpr_kernarg_preload_length 0
		.amdhsa_user_sgpr_kernarg_preload_offset 0
		.amdhsa_user_sgpr_private_segment_size 0
		.amdhsa_wavefront_size32 1
		.amdhsa_uses_dynamic_stack 0
		.amdhsa_enable_private_segment 0
		.amdhsa_system_sgpr_workgroup_id_x 1
		.amdhsa_system_sgpr_workgroup_id_y 0
		.amdhsa_system_sgpr_workgroup_id_z 1
		.amdhsa_system_sgpr_workgroup_info 0
		.amdhsa_system_vgpr_workitem_id 1
		.amdhsa_next_free_vgpr 105
		.amdhsa_next_free_sgpr 105
		.amdhsa_named_barrier_count 0
		.amdhsa_reserve_vcc 1
		.amdhsa_float_round_mode_32 0
		.amdhsa_float_round_mode_16_64 0
		.amdhsa_float_denorm_mode_32 3
		.amdhsa_float_denorm_mode_16_64 3
		.amdhsa_fp16_overflow 0
		.amdhsa_memory_ordered 1
		.amdhsa_forward_progress 1
		.amdhsa_inst_pref_size 255
		.amdhsa_round_robin_scheduling 0
		.amdhsa_exception_fp_ieee_invalid_op 0
		.amdhsa_exception_fp_denorm_src 0
		.amdhsa_exception_fp_ieee_div_zero 0
		.amdhsa_exception_fp_ieee_overflow 0
		.amdhsa_exception_fp_ieee_underflow 0
		.amdhsa_exception_fp_ieee_inexact 0
		.amdhsa_exception_int_div_zero 0
	.end_amdhsa_kernel
	.section	.text._ZL19rocblas_trsv_deviceILi64ELi16ELb0ELb1ELb1ELb0E19rocblas_complex_numIfES1_PKS1_PS1_EviT7_lllT6_T8_lllPii,"axG",@progbits,_ZL19rocblas_trsv_deviceILi64ELi16ELb0ELb1ELb1ELb0E19rocblas_complex_numIfES1_PKS1_PS1_EviT7_lllT6_T8_lllPii,comdat
.Lfunc_end66:
	.size	_ZL19rocblas_trsv_deviceILi64ELi16ELb0ELb1ELb1ELb0E19rocblas_complex_numIfES1_PKS1_PS1_EviT7_lllT6_T8_lllPii, .Lfunc_end66-_ZL19rocblas_trsv_deviceILi64ELi16ELb0ELb1ELb1ELb0E19rocblas_complex_numIfES1_PKS1_PS1_EviT7_lllT6_T8_lllPii
                                        ; -- End function
	.set _ZL19rocblas_trsv_deviceILi64ELi16ELb0ELb1ELb1ELb0E19rocblas_complex_numIfES1_PKS1_PS1_EviT7_lllT6_T8_lllPii.num_vgpr, 105
	.set _ZL19rocblas_trsv_deviceILi64ELi16ELb0ELb1ELb1ELb0E19rocblas_complex_numIfES1_PKS1_PS1_EviT7_lllT6_T8_lllPii.num_agpr, 0
	.set _ZL19rocblas_trsv_deviceILi64ELi16ELb0ELb1ELb1ELb0E19rocblas_complex_numIfES1_PKS1_PS1_EviT7_lllT6_T8_lllPii.numbered_sgpr, 105
	.set _ZL19rocblas_trsv_deviceILi64ELi16ELb0ELb1ELb1ELb0E19rocblas_complex_numIfES1_PKS1_PS1_EviT7_lllT6_T8_lllPii.num_named_barrier, 0
	.set _ZL19rocblas_trsv_deviceILi64ELi16ELb0ELb1ELb1ELb0E19rocblas_complex_numIfES1_PKS1_PS1_EviT7_lllT6_T8_lllPii.private_seg_size, 0
	.set _ZL19rocblas_trsv_deviceILi64ELi16ELb0ELb1ELb1ELb0E19rocblas_complex_numIfES1_PKS1_PS1_EviT7_lllT6_T8_lllPii.uses_vcc, 1
	.set _ZL19rocblas_trsv_deviceILi64ELi16ELb0ELb1ELb1ELb0E19rocblas_complex_numIfES1_PKS1_PS1_EviT7_lllT6_T8_lllPii.uses_flat_scratch, 0
	.set _ZL19rocblas_trsv_deviceILi64ELi16ELb0ELb1ELb1ELb0E19rocblas_complex_numIfES1_PKS1_PS1_EviT7_lllT6_T8_lllPii.has_dyn_sized_stack, 0
	.set _ZL19rocblas_trsv_deviceILi64ELi16ELb0ELb1ELb1ELb0E19rocblas_complex_numIfES1_PKS1_PS1_EviT7_lllT6_T8_lllPii.has_recursion, 0
	.set _ZL19rocblas_trsv_deviceILi64ELi16ELb0ELb1ELb1ELb0E19rocblas_complex_numIfES1_PKS1_PS1_EviT7_lllT6_T8_lllPii.has_indirect_call, 0
	.section	.AMDGPU.csdata,"",@progbits
; Kernel info:
; codeLenInByte = 54536
; TotalNumSgprs: 107
; NumVgprs: 105
; ScratchSize: 0
; MemoryBound: 0
; FloatMode: 240
; IeeeMode: 1
; LDSByteSize: 41480 bytes/workgroup (compile time only)
; SGPRBlocks: 0
; VGPRBlocks: 6
; NumSGPRsForWavesPerEU: 107
; NumVGPRsForWavesPerEU: 105
; NamedBarCnt: 0
; Occupancy: 9
; WaveLimiterHint : 0
; COMPUTE_PGM_RSRC2:SCRATCH_EN: 0
; COMPUTE_PGM_RSRC2:USER_SGPR: 2
; COMPUTE_PGM_RSRC2:TRAP_HANDLER: 0
; COMPUTE_PGM_RSRC2:TGID_X_EN: 1
; COMPUTE_PGM_RSRC2:TGID_Y_EN: 0
; COMPUTE_PGM_RSRC2:TGID_Z_EN: 1
; COMPUTE_PGM_RSRC2:TIDIG_COMP_CNT: 1
	.section	.text._ZL19rocblas_trsv_deviceILi64ELi16ELb1ELb0ELb0ELb1E19rocblas_complex_numIfES1_PKS1_PS1_EviT7_lllT6_T8_lllPii,"axG",@progbits,_ZL19rocblas_trsv_deviceILi64ELi16ELb1ELb0ELb0ELb1E19rocblas_complex_numIfES1_PKS1_PS1_EviT7_lllT6_T8_lllPii,comdat
	.globl	_ZL19rocblas_trsv_deviceILi64ELi16ELb1ELb0ELb0ELb1E19rocblas_complex_numIfES1_PKS1_PS1_EviT7_lllT6_T8_lllPii ; -- Begin function _ZL19rocblas_trsv_deviceILi64ELi16ELb1ELb0ELb0ELb1E19rocblas_complex_numIfES1_PKS1_PS1_EviT7_lllT6_T8_lllPii
	.p2align	8
	.type	_ZL19rocblas_trsv_deviceILi64ELi16ELb1ELb0ELb0ELb1E19rocblas_complex_numIfES1_PKS1_PS1_EviT7_lllT6_T8_lllPii,@function
_ZL19rocblas_trsv_deviceILi64ELi16ELb1ELb0ELb0ELb1E19rocblas_complex_numIfES1_PKS1_PS1_EviT7_lllT6_T8_lllPii: ; @_ZL19rocblas_trsv_deviceILi64ELi16ELb1ELb0ELb0ELb1E19rocblas_complex_numIfES1_PKS1_PS1_EviT7_lllT6_T8_lllPii
; %bb.0:
	s_load_b32 s100, s[0:1], 0x58
	s_bfe_u32 s2, ttmp6, 0x40014
	s_lshr_b32 s3, ttmp7, 16
	s_add_co_i32 s2, s2, 1
	s_bfe_u32 s5, ttmp6, 0x40008
	s_mul_i32 s2, s3, s2
	s_getreg_b32 s4, hwreg(HW_REG_IB_STS2, 6, 4)
	s_add_co_i32 s5, s5, s2
	s_cmp_eq_u32 s4, 0
	s_mov_b32 s81, 0
	s_cselect_b32 s80, s3, s5
	s_wait_kmcnt 0x0
	s_cmp_ge_u32 s80, s100
	s_cbranch_scc1 .LBB67_1050
; %bb.1:
	s_clause 0x5
	s_load_b256 s[64:71], s[0:1], 0x8
	s_load_b256 s[72:79], s[0:1], 0x30
	s_load_b32 s5, s[0:1], 0x6c
	s_load_b32 s101, s[0:1], 0x0
	s_load_b64 s[82:83], s[0:1], 0x50
	s_load_b64 s[16:17], s[0:1], 0x28
	s_wait_xcnt 0x0
	s_bfe_u32 s1, ttmp6, 0x4000c
	s_and_b32 s0, ttmp6, 15
	s_add_co_i32 s1, s1, 1
	v_bfe_u32 v2, v0, 10, 10
	s_mul_i32 s1, ttmp9, s1
	v_and_b32_e32 v4, 0x3ff, v0
	s_add_co_i32 s6, s0, s1
	s_delay_alu instid0(VALU_DEP_2) | instskip(SKIP_2) | instid1(VALU_DEP_3)
	v_dual_mov_b32 v1, 0 :: v_dual_lshlrev_b32 v12, 6, v2
                                        ; implicit-def: $vgpr94 : SGPR spill to VGPR lane
	v_lshl_add_u32 v72, v2, 3, 0xa000
	v_dual_add_nc_u32 v42, 32, v2 :: v_dual_add_nc_u32 v40, 48, v2
	v_dual_mov_b32 v7, v1 :: v_dual_bitop2_b32 v3, v12, v4 bitop3:0x14
	s_wait_kmcnt 0x0
	s_lshl_b64 s[0:1], s[66:67], 3
	s_lshl_b64 s[2:3], s[74:75], 3
	s_cmp_eq_u32 s4, 0
	s_add_nc_u64 s[0:1], s[64:65], s[0:1]
	s_cselect_b32 s102, ttmp9, s6
	s_add_co_i32 s4, s101, -1
	s_and_b32 s6, s5, 0xffff
	s_ashr_i32 s5, s101, 31
	s_ashr_i32 s7, s4, 31
	s_lshr_b32 s5, s5, 26
	s_lshr_b32 s7, s7, 26
	s_add_co_i32 s5, s101, s5
	s_add_co_i32 s4, s4, s7
	s_and_not1_b32 s5, s5, 63
	s_ashr_i32 s4, s4, 6
	s_sub_co_i32 s12, s101, s5
	s_cmp_eq_u32 s4, s102
	v_writelane_b32 v94, s0, 0
	s_cselect_b32 s7, -1, 0
	s_cmp_lg_u32 s12, 0
	v_lshrrev_b16 v3, 1, v3
	s_cselect_b32 s9, -1, 0
	s_lshl_b32 s8, s102, 6
	s_delay_alu instid0(SALU_CYCLE_1) | instskip(SKIP_3) | instid1(VALU_DEP_3)
	v_dual_add_nc_u32 v20, s8, v2 :: v_dual_bitop2_b32 v13, v12, v4 bitop3:0x40
	v_writelane_b32 v94, s1, 1
	s_add_nc_u64 s[0:1], s[72:73], s[2:3]
	v_dual_add_nc_u32 v8, s8, v4 :: v_dual_add_nc_u32 v79, v12, v4
	v_subrev_nc_u32_e32 v16, 64, v20
	v_add_nc_u16 v14, v13, v3
	v_dual_lshrrev_b32 v13, 10, v0 :: v_dual_bitop2_b32 v3, 1, v0 bitop3:0x40
	v_writelane_b32 v94, s0, 2
	s_delay_alu instid0(VALU_DEP_4) | instskip(NEXT) | instid1(VALU_DEP_4)
	v_ashrrev_i32_e32 v17, 31, v16
	v_and_b32_e32 v12, 0xffff, v14
	s_and_b32 s13, s9, s7
	v_lshlrev_b32_e32 v14, 3, v3
	v_writelane_b32 v94, s1, 3
	v_sub_co_u32 v5, s0, s102, 1
	s_xor_b32 s0, s0, -1
	s_ashr_i32 s9, s8, 31
	s_xor_b32 s104, s13, -1
	v_ashrrev_i32_e32 v9, 31, v8
	v_lshl_add_u32 v46, v12, 3, 0x8000
	v_cmp_eq_u32_e64 s2, 1, v3
	v_lshl_or_b32 v47, v12, 9, v14
	v_mul_u32_u24_e32 v48, 0x208, v12
	v_dual_lshrrev_b32 v3, 2, v79 :: v_dual_bitop2_b32 v12, 3, v0 bitop3:0x40
	s_cmp_gt_i32 s102, 4
	v_bitop3_b32 v80, v0, v13, 0x3ff bitop3:0xa8
	s_cselect_b32 s1, -1, 0
	s_delay_alu instid0(VALU_DEP_2)
	v_lshlrev_b32_e32 v13, 3, v3
	s_and_b32 vcc_hi, s1, s104
	v_cmp_gt_u32_e64 s1, 4, v79
	v_lshlrev_b32_e32 v50, 3, v12
	v_mul_u32_u24_e32 v51, 0x208, v3
	s_add_nc_u64 s[4:5], s[68:69], 1
	s_xor_b32 s3, s2, -1
	s_mul_u64 s[10:11], s[4:5], s[8:9]
	v_lshlrev_b32_e32 v49, 3, v4
	s_and_b32 s43, s3, s1
	s_and_b32 s44, s2, s1
	v_cmp_gt_u32_e64 s2, 16, v79
	v_lshl_or_b32 v53, v3, 9, v50
	v_sub_nc_u32_e32 v3, v51, v13
	v_cmp_eq_u32_e64 s3, 0, v12
	v_cmp_ne_u32_e64 s4, 0, v12
	v_mad_u32_u24 v6, v2, s6, v4
	v_cmp_eq_u32_e64 s5, 1, v12
	v_cmp_lt_u32_e64 s6, 1, v12
	v_add_nc_u32_e32 v54, v3, v50
	s_and_b32 s45, s3, s2
	s_and_b32 s46, s4, s2
	v_cmp_eq_u32_e64 s3, 2, v12
	v_cmp_eq_u32_e64 s4, 3, v12
	v_and_b32_e32 v12, 7, v0
	s_and_b32 s47, s5, s2
	v_lshrrev_b32_e32 v3, 3, v79
	s_and_b32 s49, s3, s2
	s_and_b32 s50, s4, s2
	v_cmp_gt_u32_e64 s3, 64, v79
	v_cmp_eq_u32_e64 s4, 0, v12
	v_cmp_ne_u32_e64 s5, 0, v12
	v_add_nc_u32_e32 v52, 0x8000, v13
	v_and_b32_e32 v13, 0x1fff8, v79
	v_mul_u32_u24_e32 v55, 0x208, v3
	s_and_b32 s51, s4, s3
	v_cmp_eq_u32_e64 s4, 1, v12
	s_and_b32 s52, s5, s3
	v_cmp_lt_u32_e64 s5, 1, v12
	s_and_b32 s48, s6, s2
	v_dual_lshlrev_b32 v56, 3, v12 :: v_dual_sub_nc_u32 v14, v55, v13
	s_and_b32 s53, s4, s3
	v_cmp_eq_u32_e64 s4, 3, v12
	s_and_b32 s54, s5, s3
	v_cmp_lt_u32_e64 s5, 3, v12
	v_cmp_eq_u32_e64 s6, 2, v12
	v_cmp_lt_u32_e64 s7, 2, v12
	s_and_b32 s57, s4, s3
	v_cmp_eq_u32_e64 s4, 4, v12
	s_and_b32 s58, s5, s3
	v_cmp_lt_u32_e64 s5, 5, v12
	v_lshl_or_b32 v58, v3, 9, v56
	v_dual_add_nc_u32 v59, v14, v56 :: v_dual_lshrrev_b32 v3, 4, v79
	s_and_b32 s55, s6, s3
	s_and_b32 s56, s7, s3
	v_cmp_lt_u32_e64 s6, 4, v12
	v_cmp_eq_u32_e64 s7, 5, v12
	s_and_b32 s59, s4, s3
	s_and_b32 s62, s5, s3
	v_cmp_eq_u32_e64 s4, 6, v12
	v_cmp_eq_u32_e64 s5, 7, v12
	v_and_b32_e32 v12, 15, v0
	v_dual_mov_b32 v32, 0 :: v_dual_add_nc_u32 v57, 0x8000, v13
	v_lshlrev_b32_e32 v13, 3, v3
	s_and_b32 s63, s4, s3
	s_and_b32 s64, s5, s3
	v_cmp_gt_u32_e64 s4, 0x100, v79
	v_cmp_eq_u32_e64 s5, 0, v12
	v_writelane_b32 v94, s0, 4
	s_and_b32 s60, s6, s3
	v_cmp_ne_u32_e64 s6, 0, v12
	s_and_b32 s61, s7, s3
	s_and_b32 s5, s5, s4
	v_cmp_eq_u32_e64 s7, 1, v12
	v_writelane_b32 v94, s5, 5
	s_and_b32 s6, s6, s4
	v_cmp_lt_u32_e64 s5, 1, v12
	v_mul_u32_u24_e32 v60, 0x208, v3
	s_and_b32 s7, s7, s4
	v_writelane_b32 v94, s6, 6
	v_cmp_eq_u32_e64 s6, 2, v12
	s_and_b32 s23, s5, s4
	v_cmp_eq_u32_e64 s5, 3, v12
	v_dual_lshlrev_b32 v61, 3, v12 :: v_dual_sub_nc_u32 v14, v60, v13
	s_and_b32 s25, s6, s4
	v_cmp_lt_u32_e64 s6, 3, v12
	v_writelane_b32 v94, s7, 7
	v_cmp_lt_u32_e64 s7, 2, v12
	s_and_b32 s29, s5, s4
	v_cmp_lt_u32_e64 s5, 4, v12
	s_and_b32 s34, s6, s4
	v_cmp_eq_u32_e64 s6, 5, v12
	s_and_b32 s27, s7, s4
	v_cmp_eq_u32_e64 s7, 4, v12
	s_and_b32 s36, s5, s4
	v_cmp_eq_u32_e64 s5, 6, v12
	s_and_b32 s37, s6, s4
	v_cmp_lt_u32_e64 s6, 6, v12
	s_and_b32 s35, s7, s4
	v_cmp_lt_u32_e64 s7, 5, v12
	s_and_b32 s39, s5, s4
	v_cmp_lt_u32_e64 s5, 7, v12
	s_and_b32 s40, s6, s4
	v_cmp_eq_u32_e64 s6, 8, v12
	s_and_b32 s38, s7, s4
	v_cmp_eq_u32_e64 s7, 7, v12
	s_and_b32 s42, s5, s4
	v_cmp_eq_u32_e64 s5, 9, v12
	s_and_b32 s86, s6, s4
	v_cmp_lt_u32_e64 s6, 9, v12
	s_and_b32 s41, s7, s4
	;; [unrolled: 12-line block ×3, first 2 shown]
	v_cmp_lt_u32_e64 s7, 11, v12
	s_and_b32 s28, s5, s4
	v_cmp_lt_u32_e64 s5, 13, v12
	s_and_b32 s74, s6, s4
	v_cmp_eq_u32_e64 s6, 14, v12
	s_and_b32 s26, s7, s4
	v_cmp_eq_u32_e64 s7, 13, v12
	;; [unrolled: 2-line block ×3, first 2 shown]
	s_and_b32 s73, s6, s4
	v_cmp_le_i32_e64 s6, s12, v4
	s_and_b32 s75, s7, s4
	v_cmp_eq_u32_e64 s7, 15, v12
	v_cmp_gt_i32_e32 vcc_lo, s12, v4
	v_lshl_or_b32 v63, v3, 9, v61
	s_and_b32 s65, s6, s13
	v_dual_add_nc_u32 v64, v14, v61 :: v_dual_lshrrev_b32 v3, 5, v79
	v_and_b32_e32 v65, 31, v0
	s_and_b32 s103, s7, s4
	s_xor_b32 s7, s65, -1
	s_xor_b32 s30, s17, 0x80000000
	s_and_b32 s19, s5, s7
	s_cmp_gt_i32 s102, 0
	v_dual_lshlrev_b32 v66, 3, v3 :: v_dual_lshlrev_b32 v67, 9, v3
	v_lshlrev_b32_e32 v68, 3, v65
	s_cselect_b32 s21, -1, 0
	v_dual_add_nc_u32 v76, v72, v49 :: v_dual_add_nc_u32 v44, 16, v2
	s_and_b32 s7, s5, vcc_lo
	v_cmp_le_i32_e32 vcc_lo, s12, v2
	v_cmp_gt_i32_e64 s0, s101, v8
	v_dual_add_nc_u32 v0, s8, v6 :: v_dual_bitop2_b32 v70, v67, v68 bitop3:0x54
	v_writelane_b32 v94, s7, 8
	v_add_nc_u64_e32 v[18:19], s[8:9], v[6:7]
	v_subrev_nc_u32_e32 v3, 48, v20
	v_cmp_le_i32_e64 s7, s12, v44
	v_cmp_le_i32_e64 s8, s12, v42
	;; [unrolled: 1-line block ×3, first 2 shown]
	s_or_b32 s14, vcc_lo, s6
	v_cmp_gt_i32_e32 vcc_lo, s101, v16
	v_mul_u64_e32 v[14:15], s[76:77], v[0:1]
	v_subrev_nc_u32_e32 v0, 32, v20
	s_or_b32 s13, s7, s6
	s_or_b32 s12, s8, s6
	;; [unrolled: 1-line block ×3, first 2 shown]
	v_cmp_gt_i32_e64 s6, s101, v3
	s_and_b32 s9, s0, vcc_lo
	v_cmp_gt_i32_e64 s7, s101, v0
	v_writelane_b32 v94, s9, 9
	s_mov_b32 s31, s17
	s_and_b32 s6, s0, s6
	s_mov_b32 s17, s16
                                        ; implicit-def: $vgpr93 : SGPR spill to VGPR lane
	v_add_max_i32_e64 v0, v20, -16, v8
	v_writelane_b32 v94, s6, 10
	s_and_b32 s6, s0, s7
	v_dual_mov_b32 v45, v1 :: v_dual_add_nc_u32 v62, 0x8000, v13
	v_dual_mov_b32 v41, v1 :: v_dual_bitop2_b32 v81, v44, v4 bitop3:0x54
	v_writelane_b32 v94, s6, 11
	v_cmp_le_u32_e64 s6, v4, v2
	v_mbcnt_lo_u32_b32 v26, -1, 0
	v_dual_mov_b32 v43, v1 :: v_dual_add_nc_u32 v74, 0x8000, v49
	v_mul_u64_e32 v[20:21], s[68:69], v[44:45]
	s_delay_alu instid0(VALU_DEP_4)
	v_writelane_b32 v94, s6, 12
	s_or_b32 s6, s14, s6
	v_dual_lshlrev_b32 v33, 20, v26 :: v_dual_bitop2_b32 v45, v42, v4 bitop3:0x54
	v_add_nc_u32_e32 v69, 0x8000, v66
	v_writelane_b32 v94, s6, 13
	v_cmp_le_u32_e64 s6, v4, v44
	v_mul_u64_e32 v[22:23], s[68:69], v[42:43]
	v_or_b32_e32 v43, v40, v4
	v_add_nc_u64_e32 v[26:27], src_flat_scratch_base_lo, v[32:33]
	v_mov_b32_e32 v32, 8
	v_writelane_b32 v94, s6, 14
	s_or_b32 s6, s13, s6
	v_mov_b32_e32 v3, v1
	v_mul_u64_e32 v[10:11], s[68:69], v[16:17]
	v_add_nc_u64_e32 v[28:29], src_flat_scratch_base_lo, v[32:33]
	v_writelane_b32 v94, s6, 15
	v_cmp_le_u32_e64 s6, v4, v42
	v_mov_b32_e32 v32, 16
	v_mul_u64_e32 v[12:13], s[76:77], v[8:9]
	v_mul_u64_e32 v[16:17], s[76:77], v[18:19]
	;; [unrolled: 1-line block ×3, first 2 shown]
	v_writelane_b32 v94, s6, 16
	s_or_b32 s6, s12, s6
	v_mul_u64_e32 v[24:25], s[68:69], v[40:41]
	v_add_nc_u64_e32 v[30:31], src_flat_scratch_base_lo, v[32:33]
	v_dual_mov_b32 v32, 24 :: v_dual_lshlrev_b32 v34, 3, v4
	v_writelane_b32 v94, s6, 17
	v_cmp_le_u32_e64 s6, v4, v40
                                        ; implicit-def: $vgpr92 : SGPR spill to VGPR lane
	v_mov_b64_e32 v[36:37], 0
	s_delay_alu instid0(VALU_DEP_4)
	v_add_nc_u64_e32 v[32:33], src_flat_scratch_base_lo, v[32:33]
	v_mov_b64_e32 v[38:39], 0x3f800000
	v_cmp_lt_u32_e32 vcc_lo, 0x3ff, v79
	v_writelane_b32 v94, s6, 18
	s_or_b32 s6, s8, s6
	v_lshl_add_u32 v71, v6, 3, 0xa000
	v_lshl_add_u32 v73, v79, 3, 0x8000
	;; [unrolled: 1-line block ×3, first 2 shown]
	v_writelane_b32 v94, s6, 19
	v_cmp_gt_u32_e64 s6, 0xf0, v79
	v_lshl_add_u32 v3, v44, 9, v49
	v_lshl_add_u32 v7, v42, 9, v49
	;; [unrolled: 1-line block ×3, first 2 shown]
	v_writelane_b32 v94, s30, 20
	v_or_b32_e32 v78, 0x4100, v68
	s_lshl_b64 s[88:89], s[10:11], 3
	v_mov_b32_e32 v35, v1
	v_cmp_eq_u32_e64 s10, 0, v80
	v_writelane_b32 v94, s31, 21
	v_cmp_gt_u32_e64 s11, 2, v79
	v_cmp_gt_u32_e64 s12, 12, v79
	;; [unrolled: 1-line block ×4, first 2 shown]
	v_writelane_b32 v94, s16, 22
	v_cmp_gt_u32_e64 s15, 48, v79
	v_cmp_gt_u32_e64 s18, 24, v79
	;; [unrolled: 1-line block ×3, first 2 shown]
	v_cmp_eq_u32_e64 s31, 0, v6
	v_writelane_b32 v94, s17, 23
	v_cmp_gt_u32_e64 s16, 40, v79
	v_cmp_gt_u32_e64 s17, 32, v79
	;; [unrolled: 1-line block ×3, first 2 shown]
	s_xor_b32 s7, vcc_lo, -1
	v_writelane_b32 v94, s6, 24
	v_cmp_gt_u32_e64 s6, 0xe0, v79
	s_lshl_b64 s[90:91], s[68:69], 7
	s_lshl_b64 s[92:93], s[68:69], 8
	s_mul_u64 s[94:95], s[68:69], 0x180
	v_writelane_b32 v94, s6, 25
	v_cmp_gt_u32_e64 s6, 0xd0, v79
	s_delay_alu instid0(VALU_DEP_1) | instskip(SKIP_1) | instid1(VALU_DEP_1)
	v_writelane_b32 v94, s6, 26
	v_cmp_gt_u32_e64 s6, 0xc0, v79
	v_writelane_b32 v94, s6, 27
	v_cmp_gt_u32_e64 s6, 0xb0, v79
	s_delay_alu instid0(VALU_DEP_1) | instskip(SKIP_1) | instid1(VALU_DEP_1)
	v_writelane_b32 v94, s6, 28
	v_cmp_gt_u32_e64 s6, 0xa0, v79
	;; [unrolled: 5-line block ×4, first 2 shown]
	v_writelane_b32 v93, s6, 1
	v_cmp_gt_u32_e64 s6, 0x50, v79
	s_delay_alu instid0(VALU_DEP_1) | instskip(SKIP_1) | instid1(VALU_DEP_1)
	v_writelane_b32 v93, s6, 2
	v_cmp_ge_u32_e64 s6, v4, v2
	v_writelane_b32 v93, s6, 3
	v_cmp_ge_u32_e64 s6, v4, v44
	s_delay_alu instid0(VALU_DEP_1) | instskip(SKIP_1) | instid1(VALU_DEP_1)
	v_writelane_b32 v93, s6, 4
	v_cmp_ge_u32_e64 s6, v4, v42
	v_writelane_b32 v93, s6, 5
	v_cmp_ge_u32_e64 s6, v4, v40
	s_delay_alu instid0(VALU_DEP_1) | instskip(SKIP_1) | instid1(VALU_DEP_1)
	v_writelane_b32 v93, s6, 6
	v_cmp_le_i32_e64 s6, s101, v0
	v_writelane_b32 v93, s6, 7
	v_cmp_gt_u32_e64 s6, 64, v80
	s_delay_alu instid0(VALU_DEP_1) | instskip(SKIP_1) | instid1(VALU_DEP_1)
	v_writelane_b32 v93, s6, 8
	v_cmp_gt_u32_e64 s6, 64, v81
	v_writelane_b32 v93, s6, 9
	v_cmp_gt_u32_e64 s6, 64, v45
	s_delay_alu instid0(VALU_DEP_1) | instskip(SKIP_1) | instid1(VALU_DEP_1)
	v_writelane_b32 v93, s6, 10
	v_cmp_gt_u32_e64 s6, 64, v43
	;; [unrolled: 5-line block ×13, first 2 shown]
	v_writelane_b32 v92, s6, 1
	v_cmp_gt_u32_e64 s6, 0x120, v79
	s_delay_alu instid0(VALU_DEP_1)
	v_writelane_b32 v92, s6, 2
	s_branch .LBB67_3
.LBB67_2:                               ;   in Loop: Header=BB67_3 Depth=1
	s_wait_xcnt 0x0
	s_or_b32 exec_lo, exec_lo, s8
	s_add_co_i32 s80, s80, 0x10000
	global_wb scope:SCOPE_DEV
	s_wait_storecnt 0x0
	global_inv scope:SCOPE_DEV
	s_cmp_lt_u32 s80, s100
	s_cbranch_scc0 .LBB67_1050
.LBB67_3:                               ; =>This Loop Header: Depth=1
                                        ;     Child Loop BB67_524 Depth 2
                                        ;     Child Loop BB67_940 Depth 2
                                        ;       Child Loop BB67_942 Depth 3
                                        ;     Child Loop BB67_974 Depth 2
	v_readlane_b32 s8, v94, 0
	v_readlane_b32 s6, v94, 4
	;; [unrolled: 1-line block ×3, first 2 shown]
	s_mul_u64 s[66:67], s[70:71], s[80:81]
	s_delay_alu instid0(SALU_CYCLE_1)
	s_lshl_b64 s[66:67], s[66:67], 3
	s_and_not1_b32 vcc_lo, exec_lo, s6
	s_add_nc_u64 s[66:67], s[8:9], s[66:67]
	s_cbranch_vccnz .LBB67_15
; %bb.4:                                ;   in Loop: Header=BB67_3 Depth=1
	v_lshl_add_u64 v[40:41], v[10:11], 3, s[66:67]
	v_dual_mov_b32 v42, 0 :: v_dual_mov_b32 v44, 0
	v_mov_b32_e32 v45, 0
	v_readlane_b32 s6, v94, 9
	s_delay_alu instid0(VALU_DEP_4)
	v_lshl_add_u64 v[40:41], v[8:9], 3, v[40:41]
	s_barrier_signal -1
	s_barrier_wait -1
	s_and_saveexec_b32 s8, s6
	s_cbranch_execz .LBB67_6
; %bb.5:                                ;   in Loop: Header=BB67_3 Depth=1
	global_load_b64 v[44:45], v[40:41], off
.LBB67_6:                               ;   in Loop: Header=BB67_3 Depth=1
	s_wait_xcnt 0x0
	s_or_b32 exec_lo, exec_lo, s8
	v_mov_b32_e32 v43, 0
	v_readlane_b32 s6, v94, 10
	s_wait_loadcnt 0x0
	scratch_store_b64 off, v[44:45], off
	s_wait_storecnt 0x0
	s_barrier_signal -1
	s_barrier_wait -1
	s_wait_xcnt 0x0
	s_and_saveexec_b32 s8, s6
	s_cbranch_execz .LBB67_8
; %bb.7:                                ;   in Loop: Header=BB67_3 Depth=1
	v_add_nc_u64_e32 v[42:43], s[90:91], v[40:41]
	global_load_b64 v[42:43], v[42:43], off
.LBB67_8:                               ;   in Loop: Header=BB67_3 Depth=1
	s_wait_xcnt 0x0
	s_or_b32 exec_lo, exec_lo, s8
	s_wait_loadcnt 0x0
	scratch_store_b64 off, v[42:43], off offset:8
	s_wait_xcnt 0x0
	v_dual_mov_b32 v42, 0 :: v_dual_mov_b32 v43, 0
	v_readlane_b32 s6, v94, 11
	s_wait_storecnt 0x0
	s_barrier_signal -1
	s_barrier_wait -1
	s_and_saveexec_b32 s8, s6
	s_cbranch_execz .LBB67_10
; %bb.9:                                ;   in Loop: Header=BB67_3 Depth=1
	v_add_nc_u64_e32 v[42:43], s[92:93], v[40:41]
	global_load_b64 v[42:43], v[42:43], off
.LBB67_10:                              ;   in Loop: Header=BB67_3 Depth=1
	s_wait_xcnt 0x0
	s_or_b32 exec_lo, exec_lo, s8
	v_readlane_b32 s6, v93, 7
	s_wait_loadcnt 0x0
	scratch_store_b64 off, v[42:43], off offset:16
	s_wait_storecnt 0x0
	s_barrier_signal -1
	s_barrier_wait -1
	s_wait_xcnt 0x0
	s_and_saveexec_b32 s8, s6
	s_delay_alu instid0(SALU_CYCLE_1)
	s_xor_b32 s8, exec_lo, s8
	s_cbranch_execz .LBB67_12
; %bb.11:                               ;   in Loop: Header=BB67_3 Depth=1
	scratch_store_b64 off, v[36:37], off offset:24
                                        ; implicit-def: $vgpr40_vgpr41
.LBB67_12:                              ;   in Loop: Header=BB67_3 Depth=1
	s_wait_xcnt 0x0
	s_and_not1_saveexec_b32 s8, s8
	s_cbranch_execz .LBB67_14
; %bb.13:                               ;   in Loop: Header=BB67_3 Depth=1
	v_add_nc_u64_e32 v[40:41], s[94:95], v[40:41]
	global_load_b64 v[40:41], v[40:41], off
	s_wait_loadcnt 0x0
	scratch_store_b64 off, v[40:41], off offset:24
.LBB67_14:                              ;   in Loop: Header=BB67_3 Depth=1
	s_wait_xcnt 0x0
	s_or_b32 exec_lo, exec_lo, s8
.LBB67_15:                              ;   in Loop: Header=BB67_3 Depth=1
	s_add_nc_u64 s[96:97], s[66:67], s[88:89]
	s_and_not1_b32 vcc_lo, exec_lo, s104
	v_add_nc_u64_e32 v[40:41], s[96:97], v[34:35]
	s_mov_b32 s8, -1
	s_cbranch_vccnz .LBB67_41
; %bb.16:                               ;   in Loop: Header=BB67_3 Depth=1
	v_readlane_b32 s6, v94, 12
	s_and_saveexec_b32 s8, s6
	s_delay_alu instid0(SALU_CYCLE_1)
	s_xor_b32 s8, exec_lo, s8
	s_cbranch_execz .LBB67_20
; %bb.17:                               ;   in Loop: Header=BB67_3 Depth=1
	v_readlane_b32 s6, v93, 8
	s_and_saveexec_b32 s96, s6
; %bb.18:                               ;   in Loop: Header=BB67_3 Depth=1
	ds_store_b64 v75, v[36:37]
; %bb.19:                               ;   in Loop: Header=BB67_3 Depth=1
	s_or_b32 exec_lo, exec_lo, s96
.LBB67_20:                              ;   in Loop: Header=BB67_3 Depth=1
	s_and_not1_saveexec_b32 s8, s8
	s_cbranch_execz .LBB67_22
; %bb.21:                               ;   in Loop: Header=BB67_3 Depth=1
	v_lshl_add_u64 v[42:43], v[18:19], 3, v[40:41]
	global_load_b64 v[42:43], v[42:43], off
	s_wait_loadcnt 0x0
	s_wait_xcnt 0x0
	v_pk_add_f32 v[42:43], v[42:43], 0 neg_lo:[1,1] neg_hi:[1,1]
	ds_store_b64 v75, v[42:43]
.LBB67_22:                              ;   in Loop: Header=BB67_3 Depth=1
	s_or_b32 exec_lo, exec_lo, s8
	v_readlane_b32 s6, v94, 14
	s_and_saveexec_b32 s8, s6
	s_delay_alu instid0(SALU_CYCLE_1)
	s_xor_b32 s8, exec_lo, s8
	s_cbranch_execz .LBB67_26
; %bb.23:                               ;   in Loop: Header=BB67_3 Depth=1
	v_readlane_b32 s6, v93, 9
	s_and_saveexec_b32 s96, s6
; %bb.24:                               ;   in Loop: Header=BB67_3 Depth=1
	ds_store_b64 v3, v[36:37]
; %bb.25:                               ;   in Loop: Header=BB67_3 Depth=1
	s_or_b32 exec_lo, exec_lo, s96
.LBB67_26:                              ;   in Loop: Header=BB67_3 Depth=1
	s_and_not1_saveexec_b32 s8, s8
	s_cbranch_execz .LBB67_28
; %bb.27:                               ;   in Loop: Header=BB67_3 Depth=1
	v_lshl_add_u64 v[42:43], v[20:21], 3, v[40:41]
	global_load_b64 v[42:43], v[42:43], off
	s_wait_loadcnt 0x0
	s_wait_xcnt 0x0
	v_pk_add_f32 v[42:43], v[42:43], 0 neg_lo:[1,1] neg_hi:[1,1]
	ds_store_b64 v3, v[42:43]
.LBB67_28:                              ;   in Loop: Header=BB67_3 Depth=1
	s_or_b32 exec_lo, exec_lo, s8
	;; [unrolled: 24-line block ×4, first 2 shown]
	s_mov_b32 s8, 0
.LBB67_41:                              ;   in Loop: Header=BB67_3 Depth=1
	s_delay_alu instid0(SALU_CYCLE_1)
	s_and_b32 vcc_lo, exec_lo, s8
	s_cbranch_vccz .LBB67_67
; %bb.42:                               ;   in Loop: Header=BB67_3 Depth=1
	v_readlane_b32 s6, v94, 13
	s_and_saveexec_b32 s8, s6
	s_delay_alu instid0(SALU_CYCLE_1)
	s_xor_b32 s8, exec_lo, s8
	s_cbranch_execz .LBB67_46
; %bb.43:                               ;   in Loop: Header=BB67_3 Depth=1
	v_readlane_b32 s6, v93, 8
	s_and_saveexec_b32 s96, s6
; %bb.44:                               ;   in Loop: Header=BB67_3 Depth=1
	ds_store_b64 v75, v[36:37]
; %bb.45:                               ;   in Loop: Header=BB67_3 Depth=1
	s_or_b32 exec_lo, exec_lo, s96
.LBB67_46:                              ;   in Loop: Header=BB67_3 Depth=1
	s_and_not1_saveexec_b32 s8, s8
	s_cbranch_execz .LBB67_48
; %bb.47:                               ;   in Loop: Header=BB67_3 Depth=1
	v_lshl_add_u64 v[42:43], v[18:19], 3, v[40:41]
	global_load_b64 v[42:43], v[42:43], off
	s_wait_loadcnt 0x0
	s_wait_xcnt 0x0
	v_pk_add_f32 v[42:43], v[42:43], 0 neg_lo:[1,1] neg_hi:[1,1]
	ds_store_b64 v75, v[42:43]
.LBB67_48:                              ;   in Loop: Header=BB67_3 Depth=1
	s_or_b32 exec_lo, exec_lo, s8
	v_readlane_b32 s6, v94, 15
	s_and_saveexec_b32 s8, s6
	s_delay_alu instid0(SALU_CYCLE_1)
	s_xor_b32 s8, exec_lo, s8
	s_cbranch_execz .LBB67_52
; %bb.49:                               ;   in Loop: Header=BB67_3 Depth=1
	v_readlane_b32 s6, v93, 9
	s_and_saveexec_b32 s96, s6
; %bb.50:                               ;   in Loop: Header=BB67_3 Depth=1
	ds_store_b64 v3, v[36:37]
; %bb.51:                               ;   in Loop: Header=BB67_3 Depth=1
	s_or_b32 exec_lo, exec_lo, s96
.LBB67_52:                              ;   in Loop: Header=BB67_3 Depth=1
	s_and_not1_saveexec_b32 s8, s8
	s_cbranch_execz .LBB67_54
; %bb.53:                               ;   in Loop: Header=BB67_3 Depth=1
	v_lshl_add_u64 v[42:43], v[20:21], 3, v[40:41]
	global_load_b64 v[42:43], v[42:43], off
	s_wait_loadcnt 0x0
	s_wait_xcnt 0x0
	v_pk_add_f32 v[42:43], v[42:43], 0 neg_lo:[1,1] neg_hi:[1,1]
	ds_store_b64 v3, v[42:43]
.LBB67_54:                              ;   in Loop: Header=BB67_3 Depth=1
	s_or_b32 exec_lo, exec_lo, s8
	;; [unrolled: 24-line block ×3, first 2 shown]
	v_readlane_b32 s6, v94, 19
	s_and_saveexec_b32 s8, s6
	s_delay_alu instid0(SALU_CYCLE_1)
	s_xor_b32 s8, exec_lo, s8
	s_cbranch_execz .LBB67_64
; %bb.61:                               ;   in Loop: Header=BB67_3 Depth=1
	v_readlane_b32 s6, v93, 11
	s_and_saveexec_b32 s96, s6
; %bb.62:                               ;   in Loop: Header=BB67_3 Depth=1
	ds_store_b64 v77, v[36:37]
; %bb.63:                               ;   in Loop: Header=BB67_3 Depth=1
	s_or_b32 exec_lo, exec_lo, s96
                                        ; implicit-def: $vgpr40_vgpr41
.LBB67_64:                              ;   in Loop: Header=BB67_3 Depth=1
	s_and_not1_saveexec_b32 s8, s8
	s_cbranch_execz .LBB67_66
; %bb.65:                               ;   in Loop: Header=BB67_3 Depth=1
	v_lshl_add_u64 v[40:41], v[24:25], 3, v[40:41]
	global_load_b64 v[40:41], v[40:41], off
	s_wait_loadcnt 0x0
	s_wait_xcnt 0x0
	v_pk_add_f32 v[40:41], v[40:41], 0 neg_lo:[1,1] neg_hi:[1,1]
	ds_store_b64 v77, v[40:41]
.LBB67_66:                              ;   in Loop: Header=BB67_3 Depth=1
	s_or_b32 exec_lo, exec_lo, s8
.LBB67_67:                              ;   in Loop: Header=BB67_3 Depth=1
	s_delay_alu instid0(SALU_CYCLE_1)
	s_and_not1_b32 vcc_lo, exec_lo, vcc_hi
	s_wait_storecnt_dscnt 0x0
	s_barrier_signal -1
	s_barrier_wait -1
	s_cbranch_vccnz .LBB67_935
; %bb.68:                               ;   in Loop: Header=BB67_3 Depth=1
	s_and_saveexec_b32 s8, s10
; %bb.69:                               ;   in Loop: Header=BB67_3 Depth=1
	ds_store_2addr_b64 v1, v[38:39], v[38:39] offset1:65
; %bb.70:                               ;   in Loop: Header=BB67_3 Depth=1
	s_or_b32 exec_lo, exec_lo, s8
	v_mov_b64_e32 v[40:41], 0
	s_wait_dscnt 0x0
	s_barrier_signal -1
	s_barrier_wait -1
	s_and_saveexec_b32 s96, s1
	s_cbranch_execz .LBB67_74
; %bb.71:                               ;   in Loop: Header=BB67_3 Depth=1
	ds_load_b64 v[40:41], v47 offset:16
	ds_load_b64 v[42:43], v48
	s_wait_dscnt 0x0
	v_pk_mul_f32 v[44:45], v[42:43], v[40:41] op_sel:[1,1] op_sel_hi:[0,1]
	s_delay_alu instid0(VALU_DEP_1) | instskip(SKIP_1) | instid1(VALU_DEP_2)
	v_pk_fma_f32 v[80:81], v[42:43], v[40:41], v[44:45] op_sel_hi:[1,0,1]
	v_pk_fma_f32 v[40:41], v[42:43], v[40:41], v[44:45] neg_lo:[0,0,1] neg_hi:[0,0,1]
	v_mov_b32_e32 v41, v81
	s_delay_alu instid0(VALU_DEP_1)
	v_pk_add_f32 v[40:41], v[40:41], 0 op_sel_hi:[1,0]
	s_and_saveexec_b32 s8, s11
	s_cbranch_execz .LBB67_73
; %bb.72:                               ;   in Loop: Header=BB67_3 Depth=1
	ds_load_b64 v[42:43], v49 offset:528
	ds_load_b64 v[44:45], v1 offset:8
	s_wait_dscnt 0x0
	v_pk_mul_f32 v[80:81], v[44:45], v[42:43] op_sel:[1,1] op_sel_hi:[0,1]
	s_delay_alu instid0(VALU_DEP_1) | instskip(SKIP_1) | instid1(VALU_DEP_2)
	v_pk_fma_f32 v[82:83], v[44:45], v[42:43], v[80:81] op_sel_hi:[1,0,1]
	v_pk_fma_f32 v[42:43], v[44:45], v[42:43], v[80:81] neg_lo:[0,0,1] neg_hi:[0,0,1]
	v_mov_b32_e32 v43, v83
	s_delay_alu instid0(VALU_DEP_1)
	v_pk_add_f32 v[40:41], v[40:41], v[42:43]
.LBB67_73:                              ;   in Loop: Header=BB67_3 Depth=1
	s_or_b32 exec_lo, exec_lo, s8
	s_delay_alu instid0(VALU_DEP_1)
	v_pk_add_f32 v[40:41], v[40:41], 0 neg_lo:[1,1] neg_hi:[1,1]
.LBB67_74:                              ;   in Loop: Header=BB67_3 Depth=1
	s_or_b32 exec_lo, exec_lo, s96
	s_and_saveexec_b32 s8, s43
; %bb.75:                               ;   in Loop: Header=BB67_3 Depth=1
	ds_store_b64 v46, v[40:41]
; %bb.76:                               ;   in Loop: Header=BB67_3 Depth=1
	s_or_b32 exec_lo, exec_lo, s8
	s_wait_dscnt 0x0
	s_barrier_signal -1
	s_barrier_wait -1
	s_and_saveexec_b32 s8, s44
	s_cbranch_execz .LBB67_78
; %bb.77:                               ;   in Loop: Header=BB67_3 Depth=1
	ds_load_b64 v[42:43], v1 offset:1048
	ds_load_b64 v[44:45], v46
	s_wait_dscnt 0x0
	v_pk_mul_f32 v[80:81], v[44:45], v[42:43] op_sel:[1,1] op_sel_hi:[0,1]
	s_delay_alu instid0(VALU_DEP_1) | instskip(SKIP_1) | instid1(VALU_DEP_2)
	v_pk_fma_f32 v[82:83], v[44:45], v[42:43], v[80:81] op_sel_hi:[1,0,1]
	v_pk_fma_f32 v[42:43], v[44:45], v[42:43], v[80:81] neg_lo:[0,0,1] neg_hi:[0,0,1]
	v_mov_b32_e32 v43, v83
	s_delay_alu instid0(VALU_DEP_1)
	v_pk_add_f32 v[40:41], v[40:41], v[42:43]
.LBB67_78:                              ;   in Loop: Header=BB67_3 Depth=1
	s_or_b32 exec_lo, exec_lo, s8
	s_barrier_signal -1
	s_barrier_wait -1
	s_and_saveexec_b32 s8, s44
; %bb.79:                               ;   in Loop: Header=BB67_3 Depth=1
	ds_store_b64 v46, v[40:41]
; %bb.80:                               ;   in Loop: Header=BB67_3 Depth=1
	s_or_b32 exec_lo, exec_lo, s8
	s_wait_dscnt 0x0
	s_barrier_signal -1
	s_barrier_wait -1
	s_barrier_signal -1
	s_barrier_wait -1
	s_and_saveexec_b32 s8, s1
; %bb.81:                               ;   in Loop: Header=BB67_3 Depth=1
	v_pk_add_f32 v[40:41], v[40:41], 0 neg_lo:[1,1] neg_hi:[1,1]
	ds_store_b64 v47, v[40:41] offset:16
; %bb.82:                               ;   in Loop: Header=BB67_3 Depth=1
	s_or_b32 exec_lo, exec_lo, s8
	s_wait_dscnt 0x0
	s_barrier_signal -1
	s_barrier_wait -1
	s_barrier_signal -1
	s_barrier_wait -1
	s_and_saveexec_b32 s8, s10
; %bb.83:                               ;   in Loop: Header=BB67_3 Depth=1
	ds_store_2addr_b64 v1, v[38:39], v[38:39] offset0:130 offset1:195
; %bb.84:                               ;   in Loop: Header=BB67_3 Depth=1
	s_or_b32 exec_lo, exec_lo, s8
	v_mov_b64_e32 v[40:41], 0
	s_wait_dscnt 0x0
	s_barrier_signal -1
	s_barrier_wait -1
	s_and_saveexec_b32 s96, s2
	s_cbranch_execz .LBB67_90
; %bb.85:                               ;   in Loop: Header=BB67_3 Depth=1
	ds_load_b64 v[40:41], v53 offset:32
	ds_load_b64 v[42:43], v51
	s_wait_dscnt 0x0
	v_dual_mul_f32 v0, v43, v41 :: v_dual_mul_f32 v41, v42, v41
	s_delay_alu instid0(VALU_DEP_1) | instskip(NEXT) | instid1(VALU_DEP_1)
	v_dual_fma_f32 v0, v42, v40, -v0 :: v_dual_fmac_f32 v41, v43, v40
	v_dual_add_f32 v40, 0, v0 :: v_dual_add_f32 v41, 0, v41
	s_and_saveexec_b32 s8, s12
	s_cbranch_execnz .LBB67_1000
; %bb.86:                               ;   in Loop: Header=BB67_3 Depth=1
	s_or_b32 exec_lo, exec_lo, s8
	s_and_saveexec_b32 s8, s13
	s_cbranch_execnz .LBB67_1001
.LBB67_87:                              ;   in Loop: Header=BB67_3 Depth=1
	s_or_b32 exec_lo, exec_lo, s8
	s_and_saveexec_b32 s8, s1
	s_cbranch_execz .LBB67_89
.LBB67_88:                              ;   in Loop: Header=BB67_3 Depth=1
	ds_load_b64 v[42:43], v49 offset:1568
	ds_load_b64 v[44:45], v1 offset:24
	s_wait_dscnt 0x0
	v_dual_mul_f32 v0, v45, v43 :: v_dual_mul_f32 v81, v44, v43
	s_delay_alu instid0(VALU_DEP_1) | instskip(NEXT) | instid1(VALU_DEP_1)
	v_dual_fma_f32 v80, v44, v42, -v0 :: v_dual_fmac_f32 v81, v45, v42
	v_pk_add_f32 v[40:41], v[40:41], v[80:81]
.LBB67_89:                              ;   in Loop: Header=BB67_3 Depth=1
	s_or_b32 exec_lo, exec_lo, s8
	s_delay_alu instid0(VALU_DEP_1)
	v_pk_add_f32 v[40:41], v[40:41], 0 neg_lo:[1,1] neg_hi:[1,1]
.LBB67_90:                              ;   in Loop: Header=BB67_3 Depth=1
	s_or_b32 exec_lo, exec_lo, s96
	s_and_saveexec_b32 s8, s45
; %bb.91:                               ;   in Loop: Header=BB67_3 Depth=1
	ds_store_b64 v52, v[40:41]
; %bb.92:                               ;   in Loop: Header=BB67_3 Depth=1
	s_or_b32 exec_lo, exec_lo, s8
	s_wait_dscnt 0x0
	s_barrier_signal -1
	s_barrier_wait -1
	s_and_saveexec_b32 s8, s46
	s_cbranch_execz .LBB67_94
; %bb.93:                               ;   in Loop: Header=BB67_3 Depth=1
	ds_load_b64 v[42:43], v50 offset:2080
	ds_load_b64 v[44:45], v52
	s_wait_dscnt 0x0
	v_pk_mul_f32 v[80:81], v[44:45], v[42:43] op_sel:[1,1] op_sel_hi:[0,1]
	s_delay_alu instid0(VALU_DEP_1) | instskip(SKIP_1) | instid1(VALU_DEP_2)
	v_pk_fma_f32 v[82:83], v[44:45], v[42:43], v[80:81] op_sel_hi:[1,0,1]
	v_pk_fma_f32 v[42:43], v[44:45], v[42:43], v[80:81] neg_lo:[0,0,1] neg_hi:[0,0,1]
	v_mov_b32_e32 v43, v83
	s_delay_alu instid0(VALU_DEP_1)
	v_pk_add_f32 v[40:41], v[40:41], v[42:43]
.LBB67_94:                              ;   in Loop: Header=BB67_3 Depth=1
	s_or_b32 exec_lo, exec_lo, s8
	s_barrier_signal -1
	s_barrier_wait -1
	s_and_saveexec_b32 s8, s47
; %bb.95:                               ;   in Loop: Header=BB67_3 Depth=1
	ds_store_b64 v52, v[40:41]
; %bb.96:                               ;   in Loop: Header=BB67_3 Depth=1
	s_or_b32 exec_lo, exec_lo, s8
	s_wait_dscnt 0x0
	s_barrier_signal -1
	s_barrier_wait -1
	s_and_saveexec_b32 s8, s48
	s_cbranch_execz .LBB67_98
; %bb.97:                               ;   in Loop: Header=BB67_3 Depth=1
	ds_load_b64 v[42:43], v50 offset:2592
	ds_load_b64 v[44:45], v52
	s_wait_dscnt 0x0
	v_pk_mul_f32 v[80:81], v[44:45], v[42:43] op_sel:[1,1] op_sel_hi:[0,1]
	s_delay_alu instid0(VALU_DEP_1) | instskip(SKIP_1) | instid1(VALU_DEP_2)
	v_pk_fma_f32 v[82:83], v[44:45], v[42:43], v[80:81] op_sel_hi:[1,0,1]
	v_pk_fma_f32 v[42:43], v[44:45], v[42:43], v[80:81] neg_lo:[0,0,1] neg_hi:[0,0,1]
	v_mov_b32_e32 v43, v83
	s_delay_alu instid0(VALU_DEP_1)
	v_pk_add_f32 v[40:41], v[40:41], v[42:43]
.LBB67_98:                              ;   in Loop: Header=BB67_3 Depth=1
	s_or_b32 exec_lo, exec_lo, s8
	s_barrier_signal -1
	s_barrier_wait -1
	s_and_saveexec_b32 s8, s49
; %bb.99:                               ;   in Loop: Header=BB67_3 Depth=1
	ds_store_b64 v52, v[40:41]
; %bb.100:                              ;   in Loop: Header=BB67_3 Depth=1
	s_or_b32 exec_lo, exec_lo, s8
	s_wait_dscnt 0x0
	s_barrier_signal -1
	s_barrier_wait -1
	s_and_saveexec_b32 s8, s50
	s_cbranch_execz .LBB67_102
; %bb.101:                              ;   in Loop: Header=BB67_3 Depth=1
	ds_load_b64 v[42:43], v1 offset:3128
	ds_load_b64 v[44:45], v52
	s_wait_dscnt 0x0
	v_pk_mul_f32 v[80:81], v[44:45], v[42:43] op_sel:[1,1] op_sel_hi:[0,1]
	s_delay_alu instid0(VALU_DEP_1) | instskip(SKIP_1) | instid1(VALU_DEP_2)
	v_pk_fma_f32 v[82:83], v[44:45], v[42:43], v[80:81] op_sel_hi:[1,0,1]
	v_pk_fma_f32 v[42:43], v[44:45], v[42:43], v[80:81] neg_lo:[0,0,1] neg_hi:[0,0,1]
	v_mov_b32_e32 v43, v83
	s_delay_alu instid0(VALU_DEP_1)
	v_pk_add_f32 v[40:41], v[40:41], v[42:43]
.LBB67_102:                             ;   in Loop: Header=BB67_3 Depth=1
	s_or_b32 exec_lo, exec_lo, s8
	s_barrier_signal -1
	s_barrier_wait -1
	s_and_saveexec_b32 s8, s50
; %bb.103:                              ;   in Loop: Header=BB67_3 Depth=1
	ds_store_b64 v52, v[40:41]
; %bb.104:                              ;   in Loop: Header=BB67_3 Depth=1
	s_or_b32 exec_lo, exec_lo, s8
	s_wait_dscnt 0x0
	s_barrier_signal -1
	s_barrier_wait -1
	s_barrier_signal -1
	s_barrier_wait -1
	s_and_saveexec_b32 s8, s2
; %bb.105:                              ;   in Loop: Header=BB67_3 Depth=1
	v_pk_add_f32 v[40:41], v[40:41], 0 neg_lo:[1,1] neg_hi:[1,1]
	ds_store_b64 v53, v[40:41] offset:32
; %bb.106:                              ;   in Loop: Header=BB67_3 Depth=1
	s_or_b32 exec_lo, exec_lo, s8
	s_wait_dscnt 0x0
	s_barrier_signal -1
	s_barrier_wait -1
	s_barrier_signal -1
	s_barrier_wait -1
	s_and_saveexec_b32 s8, s10
; %bb.107:                              ;   in Loop: Header=BB67_3 Depth=1
	v_add_nc_u32_e64 v0, 0x800, 0
	ds_store_2addr_b64 v0, v[38:39], v[38:39] offset0:4 offset1:69
; %bb.108:                              ;   in Loop: Header=BB67_3 Depth=1
	s_or_b32 exec_lo, exec_lo, s8
	v_mov_b64_e32 v[40:41], 0
	s_wait_dscnt 0x0
	s_barrier_signal -1
	s_barrier_wait -1
	s_and_saveexec_b32 s96, s1
	s_cbranch_execz .LBB67_112
; %bb.109:                              ;   in Loop: Header=BB67_3 Depth=1
	ds_load_b64 v[40:41], v47 offset:2096
	ds_load_b64 v[42:43], v48 offset:2080
	s_wait_dscnt 0x0
	v_pk_mul_f32 v[44:45], v[42:43], v[40:41] op_sel:[1,1] op_sel_hi:[0,1]
	s_delay_alu instid0(VALU_DEP_1) | instskip(SKIP_1) | instid1(VALU_DEP_2)
	v_pk_fma_f32 v[80:81], v[42:43], v[40:41], v[44:45] op_sel_hi:[1,0,1]
	v_pk_fma_f32 v[40:41], v[42:43], v[40:41], v[44:45] neg_lo:[0,0,1] neg_hi:[0,0,1]
	v_mov_b32_e32 v41, v81
	s_delay_alu instid0(VALU_DEP_1)
	v_pk_add_f32 v[40:41], v[40:41], 0 op_sel_hi:[1,0]
	s_and_saveexec_b32 s8, s11
	s_cbranch_execz .LBB67_111
; %bb.110:                              ;   in Loop: Header=BB67_3 Depth=1
	ds_load_b64 v[42:43], v49 offset:2608
	ds_load_b64 v[44:45], v1 offset:2088
	s_wait_dscnt 0x0
	v_pk_mul_f32 v[80:81], v[44:45], v[42:43] op_sel:[1,1] op_sel_hi:[0,1]
	s_delay_alu instid0(VALU_DEP_1) | instskip(SKIP_1) | instid1(VALU_DEP_2)
	v_pk_fma_f32 v[82:83], v[44:45], v[42:43], v[80:81] op_sel_hi:[1,0,1]
	v_pk_fma_f32 v[42:43], v[44:45], v[42:43], v[80:81] neg_lo:[0,0,1] neg_hi:[0,0,1]
	v_mov_b32_e32 v43, v83
	s_delay_alu instid0(VALU_DEP_1)
	v_pk_add_f32 v[40:41], v[40:41], v[42:43]
.LBB67_111:                             ;   in Loop: Header=BB67_3 Depth=1
	s_or_b32 exec_lo, exec_lo, s8
	s_delay_alu instid0(VALU_DEP_1)
	v_pk_add_f32 v[40:41], v[40:41], 0 neg_lo:[1,1] neg_hi:[1,1]
.LBB67_112:                             ;   in Loop: Header=BB67_3 Depth=1
	s_or_b32 exec_lo, exec_lo, s96
	s_and_saveexec_b32 s8, s43
; %bb.113:                              ;   in Loop: Header=BB67_3 Depth=1
	ds_store_b64 v46, v[40:41]
; %bb.114:                              ;   in Loop: Header=BB67_3 Depth=1
	s_or_b32 exec_lo, exec_lo, s8
	s_wait_dscnt 0x0
	s_barrier_signal -1
	s_barrier_wait -1
	s_and_saveexec_b32 s8, s44
	s_cbranch_execz .LBB67_116
; %bb.115:                              ;   in Loop: Header=BB67_3 Depth=1
	ds_load_b64 v[42:43], v1 offset:3128
	ds_load_b64 v[44:45], v46
	s_wait_dscnt 0x0
	v_pk_mul_f32 v[80:81], v[44:45], v[42:43] op_sel:[1,1] op_sel_hi:[0,1]
	s_delay_alu instid0(VALU_DEP_1) | instskip(SKIP_1) | instid1(VALU_DEP_2)
	v_pk_fma_f32 v[82:83], v[44:45], v[42:43], v[80:81] op_sel_hi:[1,0,1]
	v_pk_fma_f32 v[42:43], v[44:45], v[42:43], v[80:81] neg_lo:[0,0,1] neg_hi:[0,0,1]
	v_mov_b32_e32 v43, v83
	s_delay_alu instid0(VALU_DEP_1)
	v_pk_add_f32 v[40:41], v[40:41], v[42:43]
.LBB67_116:                             ;   in Loop: Header=BB67_3 Depth=1
	s_or_b32 exec_lo, exec_lo, s8
	s_barrier_signal -1
	s_barrier_wait -1
	s_and_saveexec_b32 s8, s44
; %bb.117:                              ;   in Loop: Header=BB67_3 Depth=1
	ds_store_b64 v46, v[40:41]
; %bb.118:                              ;   in Loop: Header=BB67_3 Depth=1
	s_or_b32 exec_lo, exec_lo, s8
	s_wait_dscnt 0x0
	s_barrier_signal -1
	s_barrier_wait -1
	s_barrier_signal -1
	s_barrier_wait -1
	s_and_saveexec_b32 s8, s1
; %bb.119:                              ;   in Loop: Header=BB67_3 Depth=1
	v_pk_add_f32 v[40:41], v[40:41], 0 neg_lo:[1,1] neg_hi:[1,1]
	ds_store_b64 v47, v[40:41] offset:2096
; %bb.120:                              ;   in Loop: Header=BB67_3 Depth=1
	s_or_b32 exec_lo, exec_lo, s8
	s_wait_dscnt 0x0
	s_barrier_signal -1
	s_barrier_wait -1
	s_barrier_signal -1
	s_barrier_wait -1
	s_and_saveexec_b32 s8, s10
; %bb.121:                              ;   in Loop: Header=BB67_3 Depth=1
	v_add_nc_u32_e64 v0, 0x800, 0
	ds_store_2addr_b64 v0, v[38:39], v[38:39] offset0:134 offset1:199
; %bb.122:                              ;   in Loop: Header=BB67_3 Depth=1
	s_or_b32 exec_lo, exec_lo, s8
	v_mov_b64_e32 v[40:41], 0
	s_wait_dscnt 0x0
	s_barrier_signal -1
	s_barrier_wait -1
	s_and_saveexec_b32 s96, s3
	s_cbranch_execz .LBB67_132
; %bb.123:                              ;   in Loop: Header=BB67_3 Depth=1
	ds_load_b64 v[40:41], v58 offset:64
	ds_load_b64 v[42:43], v55
	s_wait_dscnt 0x0
	v_dual_mul_f32 v0, v43, v41 :: v_dual_mul_f32 v41, v42, v41
	s_delay_alu instid0(VALU_DEP_1) | instskip(NEXT) | instid1(VALU_DEP_1)
	v_dual_fma_f32 v0, v42, v40, -v0 :: v_dual_fmac_f32 v41, v43, v40
	v_dual_add_f32 v40, 0, v0 :: v_dual_add_f32 v41, 0, v41
	s_and_saveexec_b32 s8, s14
	s_cbranch_execnz .LBB67_1002
; %bb.124:                              ;   in Loop: Header=BB67_3 Depth=1
	s_or_b32 exec_lo, exec_lo, s8
	s_and_saveexec_b32 s8, s15
	s_cbranch_execnz .LBB67_1003
.LBB67_125:                             ;   in Loop: Header=BB67_3 Depth=1
	s_or_b32 exec_lo, exec_lo, s8
	s_and_saveexec_b32 s8, s16
	s_cbranch_execnz .LBB67_1004
.LBB67_126:                             ;   in Loop: Header=BB67_3 Depth=1
	s_or_b32 exec_lo, exec_lo, s8
	s_and_saveexec_b32 s8, s17
	s_cbranch_execnz .LBB67_1005
.LBB67_127:                             ;   in Loop: Header=BB67_3 Depth=1
	s_or_b32 exec_lo, exec_lo, s8
	s_and_saveexec_b32 s8, s18
	s_cbranch_execnz .LBB67_1006
.LBB67_128:                             ;   in Loop: Header=BB67_3 Depth=1
	s_or_b32 exec_lo, exec_lo, s8
	s_and_saveexec_b32 s8, s2
	s_cbranch_execnz .LBB67_1007
.LBB67_129:                             ;   in Loop: Header=BB67_3 Depth=1
	s_or_b32 exec_lo, exec_lo, s8
	s_and_saveexec_b32 s8, s13
	s_cbranch_execz .LBB67_131
.LBB67_130:                             ;   in Loop: Header=BB67_3 Depth=1
	ds_load_b64 v[42:43], v49 offset:3648
	ds_load_b64 v[44:45], v1 offset:56
	s_wait_dscnt 0x0
	v_pk_mul_f32 v[80:81], v[44:45], v[42:43] op_sel:[1,1] op_sel_hi:[0,1]
	s_delay_alu instid0(VALU_DEP_1) | instskip(SKIP_1) | instid1(VALU_DEP_2)
	v_pk_fma_f32 v[82:83], v[44:45], v[42:43], v[80:81] op_sel_hi:[1,0,1]
	v_pk_fma_f32 v[42:43], v[44:45], v[42:43], v[80:81] neg_lo:[0,0,1] neg_hi:[0,0,1]
	v_mov_b32_e32 v43, v83
	s_delay_alu instid0(VALU_DEP_1)
	v_pk_add_f32 v[40:41], v[40:41], v[42:43]
.LBB67_131:                             ;   in Loop: Header=BB67_3 Depth=1
	s_or_b32 exec_lo, exec_lo, s8
	s_delay_alu instid0(VALU_DEP_1)
	v_pk_add_f32 v[40:41], v[40:41], 0 neg_lo:[1,1] neg_hi:[1,1]
.LBB67_132:                             ;   in Loop: Header=BB67_3 Depth=1
	s_or_b32 exec_lo, exec_lo, s96
	s_and_saveexec_b32 s8, s51
; %bb.133:                              ;   in Loop: Header=BB67_3 Depth=1
	ds_store_b64 v57, v[40:41]
; %bb.134:                              ;   in Loop: Header=BB67_3 Depth=1
	s_or_b32 exec_lo, exec_lo, s8
	s_wait_dscnt 0x0
	s_barrier_signal -1
	s_barrier_wait -1
	s_and_saveexec_b32 s8, s52
	s_cbranch_execz .LBB67_136
; %bb.135:                              ;   in Loop: Header=BB67_3 Depth=1
	ds_load_b64 v[42:43], v56 offset:4160
	ds_load_b64 v[44:45], v57
	s_wait_dscnt 0x0
	v_pk_mul_f32 v[80:81], v[44:45], v[42:43] op_sel:[1,1] op_sel_hi:[0,1]
	s_delay_alu instid0(VALU_DEP_1) | instskip(SKIP_1) | instid1(VALU_DEP_2)
	v_pk_fma_f32 v[82:83], v[44:45], v[42:43], v[80:81] op_sel_hi:[1,0,1]
	v_pk_fma_f32 v[42:43], v[44:45], v[42:43], v[80:81] neg_lo:[0,0,1] neg_hi:[0,0,1]
	v_mov_b32_e32 v43, v83
	s_delay_alu instid0(VALU_DEP_1)
	v_pk_add_f32 v[40:41], v[40:41], v[42:43]
.LBB67_136:                             ;   in Loop: Header=BB67_3 Depth=1
	s_or_b32 exec_lo, exec_lo, s8
	s_barrier_signal -1
	s_barrier_wait -1
	s_and_saveexec_b32 s8, s53
; %bb.137:                              ;   in Loop: Header=BB67_3 Depth=1
	ds_store_b64 v57, v[40:41]
; %bb.138:                              ;   in Loop: Header=BB67_3 Depth=1
	s_or_b32 exec_lo, exec_lo, s8
	s_wait_dscnt 0x0
	s_barrier_signal -1
	s_barrier_wait -1
	s_and_saveexec_b32 s8, s54
	s_cbranch_execz .LBB67_140
; %bb.139:                              ;   in Loop: Header=BB67_3 Depth=1
	ds_load_b64 v[42:43], v56 offset:4672
	ds_load_b64 v[44:45], v57
	s_wait_dscnt 0x0
	v_dual_mul_f32 v0, v45, v43 :: v_dual_mul_f32 v43, v44, v43
	s_delay_alu instid0(VALU_DEP_1) | instskip(NEXT) | instid1(VALU_DEP_1)
	v_dual_fma_f32 v0, v44, v42, -v0 :: v_dual_fmac_f32 v43, v45, v42
	v_dual_add_f32 v40, v40, v0 :: v_dual_add_f32 v41, v41, v43
.LBB67_140:                             ;   in Loop: Header=BB67_3 Depth=1
	s_or_b32 exec_lo, exec_lo, s8
	s_barrier_signal -1
	s_barrier_wait -1
	s_and_saveexec_b32 s8, s55
; %bb.141:                              ;   in Loop: Header=BB67_3 Depth=1
	ds_store_b64 v57, v[40:41]
; %bb.142:                              ;   in Loop: Header=BB67_3 Depth=1
	s_or_b32 exec_lo, exec_lo, s8
	s_wait_dscnt 0x0
	s_barrier_signal -1
	s_barrier_wait -1
	s_and_saveexec_b32 s8, s56
	s_cbranch_execz .LBB67_144
; %bb.143:                              ;   in Loop: Header=BB67_3 Depth=1
	ds_load_b64 v[42:43], v56 offset:5184
	ds_load_b64 v[44:45], v57
	s_wait_dscnt 0x0
	v_dual_mul_f32 v0, v45, v43 :: v_dual_mul_f32 v81, v44, v43
	s_delay_alu instid0(VALU_DEP_1) | instskip(NEXT) | instid1(VALU_DEP_1)
	v_dual_fma_f32 v80, v44, v42, -v0 :: v_dual_fmac_f32 v81, v45, v42
	v_pk_add_f32 v[40:41], v[40:41], v[80:81]
.LBB67_144:                             ;   in Loop: Header=BB67_3 Depth=1
	s_or_b32 exec_lo, exec_lo, s8
	s_barrier_signal -1
	s_barrier_wait -1
	s_and_saveexec_b32 s8, s57
; %bb.145:                              ;   in Loop: Header=BB67_3 Depth=1
	ds_store_b64 v57, v[40:41]
; %bb.146:                              ;   in Loop: Header=BB67_3 Depth=1
	s_or_b32 exec_lo, exec_lo, s8
	s_wait_dscnt 0x0
	s_barrier_signal -1
	s_barrier_wait -1
	s_and_saveexec_b32 s8, s58
	s_cbranch_execz .LBB67_148
; %bb.147:                              ;   in Loop: Header=BB67_3 Depth=1
	ds_load_b64 v[42:43], v56 offset:5696
	ds_load_b64 v[44:45], v57
	s_wait_dscnt 0x0
	v_pk_mul_f32 v[80:81], v[44:45], v[42:43] op_sel:[1,1] op_sel_hi:[0,1]
	s_delay_alu instid0(VALU_DEP_1) | instskip(SKIP_1) | instid1(VALU_DEP_2)
	v_pk_fma_f32 v[82:83], v[44:45], v[42:43], v[80:81] op_sel_hi:[1,0,1]
	v_pk_fma_f32 v[42:43], v[44:45], v[42:43], v[80:81] neg_lo:[0,0,1] neg_hi:[0,0,1]
	v_mov_b32_e32 v43, v83
	s_delay_alu instid0(VALU_DEP_1)
	v_pk_add_f32 v[40:41], v[40:41], v[42:43]
.LBB67_148:                             ;   in Loop: Header=BB67_3 Depth=1
	s_or_b32 exec_lo, exec_lo, s8
	s_barrier_signal -1
	s_barrier_wait -1
	s_and_saveexec_b32 s8, s59
; %bb.149:                              ;   in Loop: Header=BB67_3 Depth=1
	ds_store_b64 v57, v[40:41]
; %bb.150:                              ;   in Loop: Header=BB67_3 Depth=1
	s_or_b32 exec_lo, exec_lo, s8
	s_wait_dscnt 0x0
	s_barrier_signal -1
	s_barrier_wait -1
	s_and_saveexec_b32 s8, s60
	s_cbranch_execz .LBB67_152
; %bb.151:                              ;   in Loop: Header=BB67_3 Depth=1
	ds_load_b64 v[42:43], v56 offset:6208
	ds_load_b64 v[44:45], v57
	s_wait_dscnt 0x0
	v_pk_mul_f32 v[80:81], v[44:45], v[42:43] op_sel:[1,1] op_sel_hi:[0,1]
	s_delay_alu instid0(VALU_DEP_1) | instskip(SKIP_1) | instid1(VALU_DEP_2)
	v_pk_fma_f32 v[82:83], v[44:45], v[42:43], v[80:81] op_sel_hi:[1,0,1]
	v_pk_fma_f32 v[42:43], v[44:45], v[42:43], v[80:81] neg_lo:[0,0,1] neg_hi:[0,0,1]
	v_mov_b32_e32 v43, v83
	s_delay_alu instid0(VALU_DEP_1)
	v_pk_add_f32 v[40:41], v[40:41], v[42:43]
.LBB67_152:                             ;   in Loop: Header=BB67_3 Depth=1
	;; [unrolled: 25-line block ×4, first 2 shown]
	s_or_b32 exec_lo, exec_lo, s8
	s_barrier_signal -1
	s_barrier_wait -1
	s_and_saveexec_b32 s8, s64
; %bb.161:                              ;   in Loop: Header=BB67_3 Depth=1
	ds_store_b64 v57, v[40:41]
; %bb.162:                              ;   in Loop: Header=BB67_3 Depth=1
	s_or_b32 exec_lo, exec_lo, s8
	s_wait_dscnt 0x0
	s_barrier_signal -1
	s_barrier_wait -1
	s_barrier_signal -1
	s_barrier_wait -1
	s_and_saveexec_b32 s8, s3
; %bb.163:                              ;   in Loop: Header=BB67_3 Depth=1
	v_pk_add_f32 v[40:41], v[40:41], 0 neg_lo:[1,1] neg_hi:[1,1]
	ds_store_b64 v58, v[40:41] offset:64
; %bb.164:                              ;   in Loop: Header=BB67_3 Depth=1
	s_or_b32 exec_lo, exec_lo, s8
	s_wait_dscnt 0x0
	s_barrier_signal -1
	s_barrier_wait -1
	s_barrier_signal -1
	s_barrier_wait -1
	s_and_saveexec_b32 s8, s10
; %bb.165:                              ;   in Loop: Header=BB67_3 Depth=1
	v_add_nc_u32_e64 v0, 0x1000, 0
	ds_store_2addr_b64 v0, v[38:39], v[38:39] offset0:8 offset1:73
; %bb.166:                              ;   in Loop: Header=BB67_3 Depth=1
	s_or_b32 exec_lo, exec_lo, s8
	v_mov_b64_e32 v[40:41], 0
	s_wait_dscnt 0x0
	s_barrier_signal -1
	s_barrier_wait -1
	s_and_saveexec_b32 s96, s1
	s_cbranch_execz .LBB67_170
; %bb.167:                              ;   in Loop: Header=BB67_3 Depth=1
	ds_load_b64 v[40:41], v47 offset:4176
	ds_load_b64 v[42:43], v48 offset:4160
	s_wait_dscnt 0x0
	v_pk_mul_f32 v[44:45], v[42:43], v[40:41] op_sel:[1,1] op_sel_hi:[0,1]
	s_delay_alu instid0(VALU_DEP_1) | instskip(SKIP_1) | instid1(VALU_DEP_2)
	v_pk_fma_f32 v[80:81], v[42:43], v[40:41], v[44:45] op_sel_hi:[1,0,1]
	v_pk_fma_f32 v[40:41], v[42:43], v[40:41], v[44:45] neg_lo:[0,0,1] neg_hi:[0,0,1]
	v_mov_b32_e32 v41, v81
	s_delay_alu instid0(VALU_DEP_1)
	v_pk_add_f32 v[40:41], v[40:41], 0 op_sel_hi:[1,0]
	s_and_saveexec_b32 s8, s11
	s_cbranch_execz .LBB67_169
; %bb.168:                              ;   in Loop: Header=BB67_3 Depth=1
	ds_load_b64 v[42:43], v49 offset:4688
	ds_load_b64 v[44:45], v1 offset:4168
	s_wait_dscnt 0x0
	v_pk_mul_f32 v[80:81], v[44:45], v[42:43] op_sel:[1,1] op_sel_hi:[0,1]
	s_delay_alu instid0(VALU_DEP_1) | instskip(SKIP_1) | instid1(VALU_DEP_2)
	v_pk_fma_f32 v[82:83], v[44:45], v[42:43], v[80:81] op_sel_hi:[1,0,1]
	v_pk_fma_f32 v[42:43], v[44:45], v[42:43], v[80:81] neg_lo:[0,0,1] neg_hi:[0,0,1]
	v_mov_b32_e32 v43, v83
	s_delay_alu instid0(VALU_DEP_1)
	v_pk_add_f32 v[40:41], v[40:41], v[42:43]
.LBB67_169:                             ;   in Loop: Header=BB67_3 Depth=1
	s_or_b32 exec_lo, exec_lo, s8
	s_delay_alu instid0(VALU_DEP_1)
	v_pk_add_f32 v[40:41], v[40:41], 0 neg_lo:[1,1] neg_hi:[1,1]
.LBB67_170:                             ;   in Loop: Header=BB67_3 Depth=1
	s_or_b32 exec_lo, exec_lo, s96
	s_and_saveexec_b32 s8, s43
; %bb.171:                              ;   in Loop: Header=BB67_3 Depth=1
	ds_store_b64 v46, v[40:41]
; %bb.172:                              ;   in Loop: Header=BB67_3 Depth=1
	s_or_b32 exec_lo, exec_lo, s8
	s_wait_dscnt 0x0
	s_barrier_signal -1
	s_barrier_wait -1
	s_and_saveexec_b32 s8, s44
	s_cbranch_execz .LBB67_174
; %bb.173:                              ;   in Loop: Header=BB67_3 Depth=1
	ds_load_b64 v[42:43], v1 offset:5208
	ds_load_b64 v[44:45], v46
	s_wait_dscnt 0x0
	v_pk_mul_f32 v[80:81], v[44:45], v[42:43] op_sel:[1,1] op_sel_hi:[0,1]
	s_delay_alu instid0(VALU_DEP_1) | instskip(SKIP_1) | instid1(VALU_DEP_2)
	v_pk_fma_f32 v[82:83], v[44:45], v[42:43], v[80:81] op_sel_hi:[1,0,1]
	v_pk_fma_f32 v[42:43], v[44:45], v[42:43], v[80:81] neg_lo:[0,0,1] neg_hi:[0,0,1]
	v_mov_b32_e32 v43, v83
	s_delay_alu instid0(VALU_DEP_1)
	v_pk_add_f32 v[40:41], v[40:41], v[42:43]
.LBB67_174:                             ;   in Loop: Header=BB67_3 Depth=1
	s_or_b32 exec_lo, exec_lo, s8
	s_barrier_signal -1
	s_barrier_wait -1
	s_and_saveexec_b32 s8, s44
; %bb.175:                              ;   in Loop: Header=BB67_3 Depth=1
	ds_store_b64 v46, v[40:41]
; %bb.176:                              ;   in Loop: Header=BB67_3 Depth=1
	s_or_b32 exec_lo, exec_lo, s8
	s_wait_dscnt 0x0
	s_barrier_signal -1
	s_barrier_wait -1
	s_barrier_signal -1
	s_barrier_wait -1
	s_and_saveexec_b32 s8, s1
; %bb.177:                              ;   in Loop: Header=BB67_3 Depth=1
	v_pk_add_f32 v[40:41], v[40:41], 0 neg_lo:[1,1] neg_hi:[1,1]
	ds_store_b64 v47, v[40:41] offset:4176
; %bb.178:                              ;   in Loop: Header=BB67_3 Depth=1
	s_or_b32 exec_lo, exec_lo, s8
	s_wait_dscnt 0x0
	s_barrier_signal -1
	s_barrier_wait -1
	s_barrier_signal -1
	s_barrier_wait -1
	s_and_saveexec_b32 s8, s10
; %bb.179:                              ;   in Loop: Header=BB67_3 Depth=1
	v_add_nc_u32_e64 v0, 0x1000, 0
	ds_store_2addr_b64 v0, v[38:39], v[38:39] offset0:138 offset1:203
; %bb.180:                              ;   in Loop: Header=BB67_3 Depth=1
	s_or_b32 exec_lo, exec_lo, s8
	v_mov_b64_e32 v[40:41], 0
	s_wait_dscnt 0x0
	s_barrier_signal -1
	s_barrier_wait -1
	s_and_saveexec_b32 s96, s2
	s_cbranch_execz .LBB67_186
; %bb.181:                              ;   in Loop: Header=BB67_3 Depth=1
	ds_load_b64 v[40:41], v53 offset:4192
	ds_load_b64 v[42:43], v51 offset:4160
	s_wait_dscnt 0x0
	v_dual_mul_f32 v0, v43, v41 :: v_dual_mul_f32 v41, v42, v41
	s_delay_alu instid0(VALU_DEP_1) | instskip(NEXT) | instid1(VALU_DEP_1)
	v_dual_fma_f32 v0, v42, v40, -v0 :: v_dual_fmac_f32 v41, v43, v40
	v_dual_add_f32 v40, 0, v0 :: v_dual_add_f32 v41, 0, v41
	s_and_saveexec_b32 s8, s12
	s_cbranch_execnz .LBB67_1008
; %bb.182:                              ;   in Loop: Header=BB67_3 Depth=1
	s_or_b32 exec_lo, exec_lo, s8
	s_and_saveexec_b32 s8, s13
	s_cbranch_execnz .LBB67_1009
.LBB67_183:                             ;   in Loop: Header=BB67_3 Depth=1
	s_or_b32 exec_lo, exec_lo, s8
	s_and_saveexec_b32 s8, s1
	s_cbranch_execz .LBB67_185
.LBB67_184:                             ;   in Loop: Header=BB67_3 Depth=1
	ds_load_b64 v[42:43], v49 offset:5728
	ds_load_b64 v[44:45], v1 offset:4184
	s_wait_dscnt 0x0
	v_dual_mul_f32 v0, v45, v43 :: v_dual_mul_f32 v81, v44, v43
	s_delay_alu instid0(VALU_DEP_1) | instskip(NEXT) | instid1(VALU_DEP_1)
	v_dual_fma_f32 v80, v44, v42, -v0 :: v_dual_fmac_f32 v81, v45, v42
	v_pk_add_f32 v[40:41], v[40:41], v[80:81]
.LBB67_185:                             ;   in Loop: Header=BB67_3 Depth=1
	s_or_b32 exec_lo, exec_lo, s8
	s_delay_alu instid0(VALU_DEP_1)
	v_pk_add_f32 v[40:41], v[40:41], 0 neg_lo:[1,1] neg_hi:[1,1]
.LBB67_186:                             ;   in Loop: Header=BB67_3 Depth=1
	s_or_b32 exec_lo, exec_lo, s96
	s_and_saveexec_b32 s8, s45
; %bb.187:                              ;   in Loop: Header=BB67_3 Depth=1
	ds_store_b64 v52, v[40:41]
; %bb.188:                              ;   in Loop: Header=BB67_3 Depth=1
	s_or_b32 exec_lo, exec_lo, s8
	s_wait_dscnt 0x0
	s_barrier_signal -1
	s_barrier_wait -1
	s_and_saveexec_b32 s8, s46
	s_cbranch_execz .LBB67_190
; %bb.189:                              ;   in Loop: Header=BB67_3 Depth=1
	ds_load_b64 v[42:43], v50 offset:6240
	ds_load_b64 v[44:45], v52
	s_wait_dscnt 0x0
	v_pk_mul_f32 v[80:81], v[44:45], v[42:43] op_sel:[1,1] op_sel_hi:[0,1]
	s_delay_alu instid0(VALU_DEP_1) | instskip(SKIP_1) | instid1(VALU_DEP_2)
	v_pk_fma_f32 v[82:83], v[44:45], v[42:43], v[80:81] op_sel_hi:[1,0,1]
	v_pk_fma_f32 v[42:43], v[44:45], v[42:43], v[80:81] neg_lo:[0,0,1] neg_hi:[0,0,1]
	v_mov_b32_e32 v43, v83
	s_delay_alu instid0(VALU_DEP_1)
	v_pk_add_f32 v[40:41], v[40:41], v[42:43]
.LBB67_190:                             ;   in Loop: Header=BB67_3 Depth=1
	s_or_b32 exec_lo, exec_lo, s8
	s_barrier_signal -1
	s_barrier_wait -1
	s_and_saveexec_b32 s8, s47
; %bb.191:                              ;   in Loop: Header=BB67_3 Depth=1
	ds_store_b64 v52, v[40:41]
; %bb.192:                              ;   in Loop: Header=BB67_3 Depth=1
	s_or_b32 exec_lo, exec_lo, s8
	s_wait_dscnt 0x0
	s_barrier_signal -1
	s_barrier_wait -1
	s_and_saveexec_b32 s8, s48
	s_cbranch_execz .LBB67_194
; %bb.193:                              ;   in Loop: Header=BB67_3 Depth=1
	ds_load_b64 v[42:43], v50 offset:6752
	ds_load_b64 v[44:45], v52
	s_wait_dscnt 0x0
	v_pk_mul_f32 v[80:81], v[44:45], v[42:43] op_sel:[1,1] op_sel_hi:[0,1]
	s_delay_alu instid0(VALU_DEP_1) | instskip(SKIP_1) | instid1(VALU_DEP_2)
	v_pk_fma_f32 v[82:83], v[44:45], v[42:43], v[80:81] op_sel_hi:[1,0,1]
	v_pk_fma_f32 v[42:43], v[44:45], v[42:43], v[80:81] neg_lo:[0,0,1] neg_hi:[0,0,1]
	v_mov_b32_e32 v43, v83
	s_delay_alu instid0(VALU_DEP_1)
	v_pk_add_f32 v[40:41], v[40:41], v[42:43]
.LBB67_194:                             ;   in Loop: Header=BB67_3 Depth=1
	s_or_b32 exec_lo, exec_lo, s8
	s_barrier_signal -1
	s_barrier_wait -1
	s_and_saveexec_b32 s8, s49
; %bb.195:                              ;   in Loop: Header=BB67_3 Depth=1
	ds_store_b64 v52, v[40:41]
; %bb.196:                              ;   in Loop: Header=BB67_3 Depth=1
	s_or_b32 exec_lo, exec_lo, s8
	s_wait_dscnt 0x0
	s_barrier_signal -1
	s_barrier_wait -1
	s_and_saveexec_b32 s8, s50
	s_cbranch_execz .LBB67_198
; %bb.197:                              ;   in Loop: Header=BB67_3 Depth=1
	ds_load_b64 v[42:43], v1 offset:7288
	ds_load_b64 v[44:45], v52
	s_wait_dscnt 0x0
	v_pk_mul_f32 v[80:81], v[44:45], v[42:43] op_sel:[1,1] op_sel_hi:[0,1]
	s_delay_alu instid0(VALU_DEP_1) | instskip(SKIP_1) | instid1(VALU_DEP_2)
	v_pk_fma_f32 v[82:83], v[44:45], v[42:43], v[80:81] op_sel_hi:[1,0,1]
	v_pk_fma_f32 v[42:43], v[44:45], v[42:43], v[80:81] neg_lo:[0,0,1] neg_hi:[0,0,1]
	v_mov_b32_e32 v43, v83
	s_delay_alu instid0(VALU_DEP_1)
	v_pk_add_f32 v[40:41], v[40:41], v[42:43]
.LBB67_198:                             ;   in Loop: Header=BB67_3 Depth=1
	s_or_b32 exec_lo, exec_lo, s8
	s_barrier_signal -1
	s_barrier_wait -1
	s_and_saveexec_b32 s8, s50
; %bb.199:                              ;   in Loop: Header=BB67_3 Depth=1
	ds_store_b64 v52, v[40:41]
; %bb.200:                              ;   in Loop: Header=BB67_3 Depth=1
	s_or_b32 exec_lo, exec_lo, s8
	s_wait_dscnt 0x0
	s_barrier_signal -1
	s_barrier_wait -1
	s_barrier_signal -1
	s_barrier_wait -1
	s_and_saveexec_b32 s8, s2
; %bb.201:                              ;   in Loop: Header=BB67_3 Depth=1
	v_pk_add_f32 v[40:41], v[40:41], 0 neg_lo:[1,1] neg_hi:[1,1]
	ds_store_b64 v53, v[40:41] offset:4192
; %bb.202:                              ;   in Loop: Header=BB67_3 Depth=1
	s_or_b32 exec_lo, exec_lo, s8
	s_wait_dscnt 0x0
	s_barrier_signal -1
	s_barrier_wait -1
	s_barrier_signal -1
	s_barrier_wait -1
	s_and_saveexec_b32 s8, s10
; %bb.203:                              ;   in Loop: Header=BB67_3 Depth=1
	v_add_nc_u32_e64 v0, 0x1800, 0
	ds_store_2addr_b64 v0, v[38:39], v[38:39] offset0:12 offset1:77
; %bb.204:                              ;   in Loop: Header=BB67_3 Depth=1
	s_or_b32 exec_lo, exec_lo, s8
	v_mov_b64_e32 v[40:41], 0
	s_wait_dscnt 0x0
	s_barrier_signal -1
	s_barrier_wait -1
	s_and_saveexec_b32 s96, s1
	s_cbranch_execz .LBB67_208
; %bb.205:                              ;   in Loop: Header=BB67_3 Depth=1
	ds_load_b64 v[40:41], v47 offset:6256
	ds_load_b64 v[42:43], v48 offset:6240
	s_wait_dscnt 0x0
	v_pk_mul_f32 v[44:45], v[42:43], v[40:41] op_sel:[1,1] op_sel_hi:[0,1]
	s_delay_alu instid0(VALU_DEP_1) | instskip(SKIP_1) | instid1(VALU_DEP_2)
	v_pk_fma_f32 v[80:81], v[42:43], v[40:41], v[44:45] op_sel_hi:[1,0,1]
	v_pk_fma_f32 v[40:41], v[42:43], v[40:41], v[44:45] neg_lo:[0,0,1] neg_hi:[0,0,1]
	v_mov_b32_e32 v41, v81
	s_delay_alu instid0(VALU_DEP_1)
	v_pk_add_f32 v[40:41], v[40:41], 0 op_sel_hi:[1,0]
	s_and_saveexec_b32 s8, s11
	s_cbranch_execz .LBB67_207
; %bb.206:                              ;   in Loop: Header=BB67_3 Depth=1
	ds_load_b64 v[42:43], v49 offset:6768
	ds_load_b64 v[44:45], v1 offset:6248
	s_wait_dscnt 0x0
	v_pk_mul_f32 v[80:81], v[44:45], v[42:43] op_sel:[1,1] op_sel_hi:[0,1]
	s_delay_alu instid0(VALU_DEP_1) | instskip(SKIP_1) | instid1(VALU_DEP_2)
	v_pk_fma_f32 v[82:83], v[44:45], v[42:43], v[80:81] op_sel_hi:[1,0,1]
	v_pk_fma_f32 v[42:43], v[44:45], v[42:43], v[80:81] neg_lo:[0,0,1] neg_hi:[0,0,1]
	v_mov_b32_e32 v43, v83
	s_delay_alu instid0(VALU_DEP_1)
	v_pk_add_f32 v[40:41], v[40:41], v[42:43]
.LBB67_207:                             ;   in Loop: Header=BB67_3 Depth=1
	s_or_b32 exec_lo, exec_lo, s8
	s_delay_alu instid0(VALU_DEP_1)
	v_pk_add_f32 v[40:41], v[40:41], 0 neg_lo:[1,1] neg_hi:[1,1]
.LBB67_208:                             ;   in Loop: Header=BB67_3 Depth=1
	s_or_b32 exec_lo, exec_lo, s96
	s_and_saveexec_b32 s8, s43
; %bb.209:                              ;   in Loop: Header=BB67_3 Depth=1
	ds_store_b64 v46, v[40:41]
; %bb.210:                              ;   in Loop: Header=BB67_3 Depth=1
	s_or_b32 exec_lo, exec_lo, s8
	s_wait_dscnt 0x0
	s_barrier_signal -1
	s_barrier_wait -1
	s_and_saveexec_b32 s8, s44
	s_cbranch_execz .LBB67_212
; %bb.211:                              ;   in Loop: Header=BB67_3 Depth=1
	ds_load_b64 v[42:43], v1 offset:7288
	ds_load_b64 v[44:45], v46
	s_wait_dscnt 0x0
	v_pk_mul_f32 v[80:81], v[44:45], v[42:43] op_sel:[1,1] op_sel_hi:[0,1]
	s_delay_alu instid0(VALU_DEP_1) | instskip(SKIP_1) | instid1(VALU_DEP_2)
	v_pk_fma_f32 v[82:83], v[44:45], v[42:43], v[80:81] op_sel_hi:[1,0,1]
	v_pk_fma_f32 v[42:43], v[44:45], v[42:43], v[80:81] neg_lo:[0,0,1] neg_hi:[0,0,1]
	v_mov_b32_e32 v43, v83
	s_delay_alu instid0(VALU_DEP_1)
	v_pk_add_f32 v[40:41], v[40:41], v[42:43]
.LBB67_212:                             ;   in Loop: Header=BB67_3 Depth=1
	s_or_b32 exec_lo, exec_lo, s8
	s_barrier_signal -1
	s_barrier_wait -1
	s_and_saveexec_b32 s8, s44
; %bb.213:                              ;   in Loop: Header=BB67_3 Depth=1
	ds_store_b64 v46, v[40:41]
; %bb.214:                              ;   in Loop: Header=BB67_3 Depth=1
	s_or_b32 exec_lo, exec_lo, s8
	s_wait_dscnt 0x0
	s_barrier_signal -1
	s_barrier_wait -1
	s_barrier_signal -1
	s_barrier_wait -1
	s_and_saveexec_b32 s8, s1
; %bb.215:                              ;   in Loop: Header=BB67_3 Depth=1
	v_pk_add_f32 v[40:41], v[40:41], 0 neg_lo:[1,1] neg_hi:[1,1]
	ds_store_b64 v47, v[40:41] offset:6256
; %bb.216:                              ;   in Loop: Header=BB67_3 Depth=1
	s_or_b32 exec_lo, exec_lo, s8
	s_wait_dscnt 0x0
	s_barrier_signal -1
	s_barrier_wait -1
	s_barrier_signal -1
	s_barrier_wait -1
	s_and_saveexec_b32 s8, s10
; %bb.217:                              ;   in Loop: Header=BB67_3 Depth=1
	v_add_nc_u32_e64 v0, 0x1800, 0
	ds_store_2addr_b64 v0, v[38:39], v[38:39] offset0:142 offset1:207
; %bb.218:                              ;   in Loop: Header=BB67_3 Depth=1
	s_or_b32 exec_lo, exec_lo, s8
	v_mov_b64_e32 v[40:41], 0
	s_wait_dscnt 0x0
	s_barrier_signal -1
	s_barrier_wait -1
	s_and_saveexec_b32 s96, s4
	s_cbranch_execz .LBB67_246
; %bb.219:                              ;   in Loop: Header=BB67_3 Depth=1
	ds_load_b64 v[40:41], v63 offset:128
	ds_load_b64 v[42:43], v60
	v_readlane_b32 s6, v94, 24
	s_wait_dscnt 0x0
	v_dual_mul_f32 v0, v43, v41 :: v_dual_mul_f32 v41, v42, v41
	s_delay_alu instid0(VALU_DEP_1) | instskip(NEXT) | instid1(VALU_DEP_1)
	v_dual_fma_f32 v0, v42, v40, -v0 :: v_dual_fmac_f32 v41, v43, v40
	v_dual_add_f32 v40, 0, v0 :: v_dual_add_f32 v41, 0, v41
	s_and_saveexec_b32 s8, s6
	s_cbranch_execz .LBB67_221
; %bb.220:                              ;   in Loop: Header=BB67_3 Depth=1
	ds_load_b64 v[42:43], v64 offset:640
	ds_load_b64 v[44:45], v60 offset:8
	s_wait_dscnt 0x0
	v_dual_mul_f32 v0, v45, v43 :: v_dual_mul_f32 v43, v44, v43
	s_delay_alu instid0(VALU_DEP_1) | instskip(NEXT) | instid1(VALU_DEP_1)
	v_dual_fma_f32 v0, v44, v42, -v0 :: v_dual_fmac_f32 v43, v45, v42
	v_dual_add_f32 v40, v40, v0 :: v_dual_add_f32 v41, v41, v43
.LBB67_221:                             ;   in Loop: Header=BB67_3 Depth=1
	s_or_b32 exec_lo, exec_lo, s8
	v_readlane_b32 s6, v94, 25
	s_and_saveexec_b32 s8, s6
	s_cbranch_execz .LBB67_223
; %bb.222:                              ;   in Loop: Header=BB67_3 Depth=1
	ds_load_b64 v[42:43], v64 offset:1152
	ds_load_b64 v[44:45], v60 offset:16
	s_wait_dscnt 0x0
	v_dual_mul_f32 v0, v45, v43 :: v_dual_mul_f32 v43, v44, v43
	s_delay_alu instid0(VALU_DEP_1) | instskip(NEXT) | instid1(VALU_DEP_1)
	v_dual_fma_f32 v0, v44, v42, -v0 :: v_dual_fmac_f32 v43, v45, v42
	v_dual_add_f32 v40, v40, v0 :: v_dual_add_f32 v41, v41, v43
.LBB67_223:                             ;   in Loop: Header=BB67_3 Depth=1
	s_or_b32 exec_lo, exec_lo, s8
	v_readlane_b32 s6, v94, 26
	s_and_saveexec_b32 s8, s6
	s_cbranch_execz .LBB67_225
; %bb.224:                              ;   in Loop: Header=BB67_3 Depth=1
	ds_load_b64 v[42:43], v64 offset:1664
	ds_load_b64 v[44:45], v60 offset:24
	s_wait_dscnt 0x0
	v_dual_mul_f32 v0, v45, v43 :: v_dual_mul_f32 v43, v44, v43
	s_delay_alu instid0(VALU_DEP_1) | instskip(NEXT) | instid1(VALU_DEP_1)
	v_dual_fma_f32 v0, v44, v42, -v0 :: v_dual_fmac_f32 v43, v45, v42
	v_dual_add_f32 v40, v40, v0 :: v_dual_add_f32 v41, v41, v43
.LBB67_225:                             ;   in Loop: Header=BB67_3 Depth=1
	s_or_b32 exec_lo, exec_lo, s8
	v_readlane_b32 s6, v94, 27
	s_and_saveexec_b32 s8, s6
	s_cbranch_execz .LBB67_227
; %bb.226:                              ;   in Loop: Header=BB67_3 Depth=1
	ds_load_b64 v[42:43], v64 offset:2176
	ds_load_b64 v[44:45], v60 offset:32
	s_wait_dscnt 0x0
	v_dual_mul_f32 v0, v45, v43 :: v_dual_mul_f32 v43, v44, v43
	s_delay_alu instid0(VALU_DEP_1) | instskip(NEXT) | instid1(VALU_DEP_1)
	v_dual_fma_f32 v0, v44, v42, -v0 :: v_dual_fmac_f32 v43, v45, v42
	v_dual_add_f32 v40, v40, v0 :: v_dual_add_f32 v41, v41, v43
.LBB67_227:                             ;   in Loop: Header=BB67_3 Depth=1
	s_or_b32 exec_lo, exec_lo, s8
	v_readlane_b32 s6, v94, 28
	s_and_saveexec_b32 s8, s6
	s_cbranch_execz .LBB67_229
; %bb.228:                              ;   in Loop: Header=BB67_3 Depth=1
	ds_load_b64 v[42:43], v64 offset:2688
	ds_load_b64 v[44:45], v60 offset:40
	s_wait_dscnt 0x0
	v_dual_mul_f32 v0, v45, v43 :: v_dual_mul_f32 v43, v44, v43
	s_delay_alu instid0(VALU_DEP_1) | instskip(NEXT) | instid1(VALU_DEP_1)
	v_dual_fma_f32 v0, v44, v42, -v0 :: v_dual_fmac_f32 v43, v45, v42
	v_dual_add_f32 v40, v40, v0 :: v_dual_add_f32 v41, v41, v43
.LBB67_229:                             ;   in Loop: Header=BB67_3 Depth=1
	s_or_b32 exec_lo, exec_lo, s8
	v_readlane_b32 s6, v94, 29
	s_and_saveexec_b32 s8, s6
	s_cbranch_execz .LBB67_231
; %bb.230:                              ;   in Loop: Header=BB67_3 Depth=1
	ds_load_b64 v[42:43], v64 offset:3200
	ds_load_b64 v[44:45], v60 offset:48
	s_wait_dscnt 0x0
	v_dual_mul_f32 v0, v45, v43 :: v_dual_mul_f32 v43, v44, v43
	s_delay_alu instid0(VALU_DEP_1) | instskip(NEXT) | instid1(VALU_DEP_1)
	v_dual_fma_f32 v0, v44, v42, -v0 :: v_dual_fmac_f32 v43, v45, v42
	v_dual_add_f32 v40, v40, v0 :: v_dual_add_f32 v41, v41, v43
.LBB67_231:                             ;   in Loop: Header=BB67_3 Depth=1
	s_or_b32 exec_lo, exec_lo, s8
	v_readlane_b32 s6, v94, 30
	s_and_saveexec_b32 s8, s6
	s_cbranch_execz .LBB67_233
; %bb.232:                              ;   in Loop: Header=BB67_3 Depth=1
	ds_load_b64 v[42:43], v64 offset:3712
	ds_load_b64 v[44:45], v60 offset:56
	s_wait_dscnt 0x0
	v_dual_mul_f32 v0, v45, v43 :: v_dual_mul_f32 v43, v44, v43
	s_delay_alu instid0(VALU_DEP_1) | instskip(NEXT) | instid1(VALU_DEP_1)
	v_dual_fma_f32 v0, v44, v42, -v0 :: v_dual_fmac_f32 v43, v45, v42
	v_dual_add_f32 v40, v40, v0 :: v_dual_add_f32 v41, v41, v43
.LBB67_233:                             ;   in Loop: Header=BB67_3 Depth=1
	s_or_b32 exec_lo, exec_lo, s8
	v_readlane_b32 s6, v94, 31
	s_and_saveexec_b32 s8, s6
	s_cbranch_execz .LBB67_235
; %bb.234:                              ;   in Loop: Header=BB67_3 Depth=1
	ds_load_b64 v[42:43], v63 offset:4224
	ds_load_b64 v[44:45], v60 offset:64
	s_wait_dscnt 0x0
	v_dual_mul_f32 v0, v45, v43 :: v_dual_mul_f32 v43, v44, v43
	s_delay_alu instid0(VALU_DEP_1) | instskip(NEXT) | instid1(VALU_DEP_1)
	v_dual_fma_f32 v0, v44, v42, -v0 :: v_dual_fmac_f32 v43, v45, v42
	v_dual_add_f32 v40, v40, v0 :: v_dual_add_f32 v41, v41, v43
.LBB67_235:                             ;   in Loop: Header=BB67_3 Depth=1
	s_or_b32 exec_lo, exec_lo, s8
	v_readlane_b32 s6, v93, 0
	s_and_saveexec_b32 s8, s6
	s_cbranch_execz .LBB67_237
; %bb.236:                              ;   in Loop: Header=BB67_3 Depth=1
	ds_load_b64 v[42:43], v64 offset:4736
	ds_load_b64 v[44:45], v60 offset:72
	s_wait_dscnt 0x0
	v_dual_mul_f32 v0, v45, v43 :: v_dual_mul_f32 v43, v44, v43
	s_delay_alu instid0(VALU_DEP_1) | instskip(NEXT) | instid1(VALU_DEP_1)
	v_dual_fma_f32 v0, v44, v42, -v0 :: v_dual_fmac_f32 v43, v45, v42
	v_dual_add_f32 v40, v40, v0 :: v_dual_add_f32 v41, v41, v43
.LBB67_237:                             ;   in Loop: Header=BB67_3 Depth=1
	s_or_b32 exec_lo, exec_lo, s8
	v_readlane_b32 s6, v93, 1
	s_and_saveexec_b32 s8, s6
	s_cbranch_execz .LBB67_239
; %bb.238:                              ;   in Loop: Header=BB67_3 Depth=1
	ds_load_b64 v[42:43], v64 offset:5248
	ds_load_b64 v[44:45], v60 offset:80
	s_wait_dscnt 0x0
	v_dual_mul_f32 v0, v45, v43 :: v_dual_mul_f32 v43, v44, v43
	s_delay_alu instid0(VALU_DEP_1) | instskip(NEXT) | instid1(VALU_DEP_1)
	v_dual_fma_f32 v0, v44, v42, -v0 :: v_dual_fmac_f32 v43, v45, v42
	v_dual_add_f32 v40, v40, v0 :: v_dual_add_f32 v41, v41, v43
.LBB67_239:                             ;   in Loop: Header=BB67_3 Depth=1
	s_or_b32 exec_lo, exec_lo, s8
	v_readlane_b32 s6, v93, 2
	s_and_saveexec_b32 s8, s6
	s_cbranch_execnz .LBB67_1010
; %bb.240:                              ;   in Loop: Header=BB67_3 Depth=1
	s_or_b32 exec_lo, exec_lo, s8
	s_and_saveexec_b32 s8, s3
	s_cbranch_execnz .LBB67_1011
.LBB67_241:                             ;   in Loop: Header=BB67_3 Depth=1
	s_or_b32 exec_lo, exec_lo, s8
	s_and_saveexec_b32 s8, s15
	s_cbranch_execnz .LBB67_1012
.LBB67_242:                             ;   in Loop: Header=BB67_3 Depth=1
	s_or_b32 exec_lo, exec_lo, s8
	s_and_saveexec_b32 s8, s17
	s_cbranch_execnz .LBB67_1013
.LBB67_243:                             ;   in Loop: Header=BB67_3 Depth=1
	s_or_b32 exec_lo, exec_lo, s8
	s_and_saveexec_b32 s8, s2
	s_cbranch_execz .LBB67_245
.LBB67_244:                             ;   in Loop: Header=BB67_3 Depth=1
	ds_load_b64 v[42:43], v49 offset:7808
	ds_load_b64 v[44:45], v1 offset:120
	s_wait_dscnt 0x0
	v_dual_mul_f32 v0, v45, v43 :: v_dual_mul_f32 v81, v44, v43
	s_delay_alu instid0(VALU_DEP_1) | instskip(NEXT) | instid1(VALU_DEP_1)
	v_dual_fma_f32 v80, v44, v42, -v0 :: v_dual_fmac_f32 v81, v45, v42
	v_pk_add_f32 v[40:41], v[40:41], v[80:81]
.LBB67_245:                             ;   in Loop: Header=BB67_3 Depth=1
	s_or_b32 exec_lo, exec_lo, s8
	s_delay_alu instid0(VALU_DEP_1)
	v_pk_add_f32 v[40:41], v[40:41], 0 neg_lo:[1,1] neg_hi:[1,1]
.LBB67_246:                             ;   in Loop: Header=BB67_3 Depth=1
	s_or_b32 exec_lo, exec_lo, s96
	v_readlane_b32 s6, v94, 5
	s_and_saveexec_b32 s8, s6
; %bb.247:                              ;   in Loop: Header=BB67_3 Depth=1
	ds_store_b64 v62, v[40:41]
; %bb.248:                              ;   in Loop: Header=BB67_3 Depth=1
	s_or_b32 exec_lo, exec_lo, s8
	v_readlane_b32 s6, v94, 6
	s_wait_dscnt 0x0
	s_barrier_signal -1
	s_barrier_wait -1
	s_and_saveexec_b32 s8, s6
	s_cbranch_execz .LBB67_250
; %bb.249:                              ;   in Loop: Header=BB67_3 Depth=1
	ds_load_b64 v[42:43], v61 offset:8320
	ds_load_b64 v[44:45], v62
	s_wait_dscnt 0x0
	v_pk_mul_f32 v[80:81], v[44:45], v[42:43] op_sel:[1,1] op_sel_hi:[0,1]
	s_delay_alu instid0(VALU_DEP_1) | instskip(SKIP_1) | instid1(VALU_DEP_2)
	v_pk_fma_f32 v[82:83], v[44:45], v[42:43], v[80:81] op_sel_hi:[1,0,1]
	v_pk_fma_f32 v[42:43], v[44:45], v[42:43], v[80:81] neg_lo:[0,0,1] neg_hi:[0,0,1]
	v_mov_b32_e32 v43, v83
	s_delay_alu instid0(VALU_DEP_1)
	v_pk_add_f32 v[40:41], v[40:41], v[42:43]
.LBB67_250:                             ;   in Loop: Header=BB67_3 Depth=1
	s_or_b32 exec_lo, exec_lo, s8
	v_readlane_b32 s6, v94, 7
	s_barrier_signal -1
	s_barrier_wait -1
	s_and_saveexec_b32 s8, s6
; %bb.251:                              ;   in Loop: Header=BB67_3 Depth=1
	ds_store_b64 v62, v[40:41]
; %bb.252:                              ;   in Loop: Header=BB67_3 Depth=1
	s_or_b32 exec_lo, exec_lo, s8
	s_wait_dscnt 0x0
	s_barrier_signal -1
	s_barrier_wait -1
	s_and_saveexec_b32 s8, s23
	s_cbranch_execz .LBB67_254
; %bb.253:                              ;   in Loop: Header=BB67_3 Depth=1
	ds_load_b64 v[42:43], v61 offset:8832
	ds_load_b64 v[44:45], v62
	s_wait_dscnt 0x0
	v_pk_mul_f32 v[80:81], v[44:45], v[42:43] op_sel:[1,1] op_sel_hi:[0,1]
	s_delay_alu instid0(VALU_DEP_1) | instskip(SKIP_1) | instid1(VALU_DEP_2)
	v_pk_fma_f32 v[82:83], v[44:45], v[42:43], v[80:81] op_sel_hi:[1,0,1]
	v_pk_fma_f32 v[42:43], v[44:45], v[42:43], v[80:81] neg_lo:[0,0,1] neg_hi:[0,0,1]
	v_mov_b32_e32 v43, v83
	s_delay_alu instid0(VALU_DEP_1)
	v_pk_add_f32 v[40:41], v[40:41], v[42:43]
.LBB67_254:                             ;   in Loop: Header=BB67_3 Depth=1
	s_or_b32 exec_lo, exec_lo, s8
	s_barrier_signal -1
	s_barrier_wait -1
	s_and_saveexec_b32 s8, s25
; %bb.255:                              ;   in Loop: Header=BB67_3 Depth=1
	ds_store_b64 v62, v[40:41]
; %bb.256:                              ;   in Loop: Header=BB67_3 Depth=1
	s_or_b32 exec_lo, exec_lo, s8
	s_wait_dscnt 0x0
	s_barrier_signal -1
	s_barrier_wait -1
	s_and_saveexec_b32 s8, s27
	s_cbranch_execz .LBB67_258
; %bb.257:                              ;   in Loop: Header=BB67_3 Depth=1
	ds_load_b64 v[42:43], v61 offset:9344
	ds_load_b64 v[44:45], v62
	s_wait_dscnt 0x0
	v_pk_mul_f32 v[80:81], v[44:45], v[42:43] op_sel:[1,1] op_sel_hi:[0,1]
	s_delay_alu instid0(VALU_DEP_1) | instskip(SKIP_1) | instid1(VALU_DEP_2)
	v_pk_fma_f32 v[82:83], v[44:45], v[42:43], v[80:81] op_sel_hi:[1,0,1]
	v_pk_fma_f32 v[42:43], v[44:45], v[42:43], v[80:81] neg_lo:[0,0,1] neg_hi:[0,0,1]
	v_mov_b32_e32 v43, v83
	s_delay_alu instid0(VALU_DEP_1)
	v_pk_add_f32 v[40:41], v[40:41], v[42:43]
.LBB67_258:                             ;   in Loop: Header=BB67_3 Depth=1
	s_or_b32 exec_lo, exec_lo, s8
	s_barrier_signal -1
	s_barrier_wait -1
	s_and_saveexec_b32 s8, s29
; %bb.259:                              ;   in Loop: Header=BB67_3 Depth=1
	ds_store_b64 v62, v[40:41]
; %bb.260:                              ;   in Loop: Header=BB67_3 Depth=1
	s_or_b32 exec_lo, exec_lo, s8
	s_wait_dscnt 0x0
	s_barrier_signal -1
	s_barrier_wait -1
	s_and_saveexec_b32 s8, s34
	s_cbranch_execz .LBB67_262
; %bb.261:                              ;   in Loop: Header=BB67_3 Depth=1
	ds_load_b64 v[42:43], v61 offset:9856
	ds_load_b64 v[44:45], v62
	s_wait_dscnt 0x0
	v_dual_mul_f32 v0, v45, v43 :: v_dual_mul_f32 v43, v44, v43
	s_delay_alu instid0(VALU_DEP_1) | instskip(NEXT) | instid1(VALU_DEP_1)
	v_dual_fma_f32 v0, v44, v42, -v0 :: v_dual_fmac_f32 v43, v45, v42
	v_dual_add_f32 v40, v40, v0 :: v_dual_add_f32 v41, v41, v43
.LBB67_262:                             ;   in Loop: Header=BB67_3 Depth=1
	s_or_b32 exec_lo, exec_lo, s8
	s_barrier_signal -1
	s_barrier_wait -1
	s_and_saveexec_b32 s8, s35
; %bb.263:                              ;   in Loop: Header=BB67_3 Depth=1
	ds_store_b64 v62, v[40:41]
; %bb.264:                              ;   in Loop: Header=BB67_3 Depth=1
	s_or_b32 exec_lo, exec_lo, s8
	s_wait_dscnt 0x0
	s_barrier_signal -1
	s_barrier_wait -1
	s_and_saveexec_b32 s8, s36
	s_cbranch_execz .LBB67_266
; %bb.265:                              ;   in Loop: Header=BB67_3 Depth=1
	ds_load_b64 v[42:43], v61 offset:10368
	ds_load_b64 v[44:45], v62
	s_wait_dscnt 0x0
	v_dual_mul_f32 v0, v45, v43 :: v_dual_mul_f32 v81, v44, v43
	s_delay_alu instid0(VALU_DEP_1) | instskip(NEXT) | instid1(VALU_DEP_1)
	v_dual_fma_f32 v80, v44, v42, -v0 :: v_dual_fmac_f32 v81, v45, v42
	v_pk_add_f32 v[40:41], v[40:41], v[80:81]
.LBB67_266:                             ;   in Loop: Header=BB67_3 Depth=1
	s_or_b32 exec_lo, exec_lo, s8
	s_barrier_signal -1
	s_barrier_wait -1
	s_and_saveexec_b32 s8, s37
; %bb.267:                              ;   in Loop: Header=BB67_3 Depth=1
	ds_store_b64 v62, v[40:41]
; %bb.268:                              ;   in Loop: Header=BB67_3 Depth=1
	s_or_b32 exec_lo, exec_lo, s8
	s_wait_dscnt 0x0
	s_barrier_signal -1
	s_barrier_wait -1
	s_and_saveexec_b32 s8, s38
	s_cbranch_execz .LBB67_270
; %bb.269:                              ;   in Loop: Header=BB67_3 Depth=1
	ds_load_b64 v[42:43], v61 offset:10880
	ds_load_b64 v[44:45], v62
	s_wait_dscnt 0x0
	v_pk_mul_f32 v[80:81], v[44:45], v[42:43] op_sel:[1,1] op_sel_hi:[0,1]
	s_delay_alu instid0(VALU_DEP_1) | instskip(SKIP_1) | instid1(VALU_DEP_2)
	v_pk_fma_f32 v[82:83], v[44:45], v[42:43], v[80:81] op_sel_hi:[1,0,1]
	v_pk_fma_f32 v[42:43], v[44:45], v[42:43], v[80:81] neg_lo:[0,0,1] neg_hi:[0,0,1]
	v_mov_b32_e32 v43, v83
	s_delay_alu instid0(VALU_DEP_1)
	v_pk_add_f32 v[40:41], v[40:41], v[42:43]
.LBB67_270:                             ;   in Loop: Header=BB67_3 Depth=1
	s_or_b32 exec_lo, exec_lo, s8
	s_barrier_signal -1
	s_barrier_wait -1
	s_and_saveexec_b32 s8, s39
; %bb.271:                              ;   in Loop: Header=BB67_3 Depth=1
	ds_store_b64 v62, v[40:41]
; %bb.272:                              ;   in Loop: Header=BB67_3 Depth=1
	s_or_b32 exec_lo, exec_lo, s8
	s_wait_dscnt 0x0
	s_barrier_signal -1
	s_barrier_wait -1
	s_and_saveexec_b32 s8, s40
	s_cbranch_execz .LBB67_274
; %bb.273:                              ;   in Loop: Header=BB67_3 Depth=1
	ds_load_b64 v[42:43], v61 offset:11392
	ds_load_b64 v[44:45], v62
	s_wait_dscnt 0x0
	v_pk_mul_f32 v[80:81], v[44:45], v[42:43] op_sel:[1,1] op_sel_hi:[0,1]
	s_delay_alu instid0(VALU_DEP_1) | instskip(SKIP_1) | instid1(VALU_DEP_2)
	v_pk_fma_f32 v[82:83], v[44:45], v[42:43], v[80:81] op_sel_hi:[1,0,1]
	v_pk_fma_f32 v[42:43], v[44:45], v[42:43], v[80:81] neg_lo:[0,0,1] neg_hi:[0,0,1]
	v_mov_b32_e32 v43, v83
	s_delay_alu instid0(VALU_DEP_1)
	v_pk_add_f32 v[40:41], v[40:41], v[42:43]
.LBB67_274:                             ;   in Loop: Header=BB67_3 Depth=1
	;; [unrolled: 25-line block ×4, first 2 shown]
	s_or_b32 exec_lo, exec_lo, s8
	s_barrier_signal -1
	s_barrier_wait -1
	s_and_saveexec_b32 s8, s84
; %bb.283:                              ;   in Loop: Header=BB67_3 Depth=1
	ds_store_b64 v62, v[40:41]
; %bb.284:                              ;   in Loop: Header=BB67_3 Depth=1
	s_or_b32 exec_lo, exec_lo, s8
	s_wait_dscnt 0x0
	s_barrier_signal -1
	s_barrier_wait -1
	s_and_saveexec_b32 s8, s85
	s_cbranch_execz .LBB67_286
; %bb.285:                              ;   in Loop: Header=BB67_3 Depth=1
	ds_load_b64 v[42:43], v61 offset:12928
	ds_load_b64 v[44:45], v62
	s_wait_dscnt 0x0
	v_dual_mul_f32 v0, v45, v43 :: v_dual_mul_f32 v43, v44, v43
	s_delay_alu instid0(VALU_DEP_1) | instskip(NEXT) | instid1(VALU_DEP_1)
	v_dual_fma_f32 v0, v44, v42, -v0 :: v_dual_fmac_f32 v43, v45, v42
	v_dual_add_f32 v40, v40, v0 :: v_dual_add_f32 v41, v41, v43
.LBB67_286:                             ;   in Loop: Header=BB67_3 Depth=1
	s_or_b32 exec_lo, exec_lo, s8
	s_barrier_signal -1
	s_barrier_wait -1
	s_and_saveexec_b32 s8, s20
; %bb.287:                              ;   in Loop: Header=BB67_3 Depth=1
	ds_store_b64 v62, v[40:41]
; %bb.288:                              ;   in Loop: Header=BB67_3 Depth=1
	s_or_b32 exec_lo, exec_lo, s8
	s_wait_dscnt 0x0
	s_barrier_signal -1
	s_barrier_wait -1
	s_and_saveexec_b32 s8, s22
	s_cbranch_execz .LBB67_290
; %bb.289:                              ;   in Loop: Header=BB67_3 Depth=1
	ds_load_b64 v[42:43], v61 offset:13440
	ds_load_b64 v[44:45], v62
	s_wait_dscnt 0x0
	v_dual_mul_f32 v0, v45, v43 :: v_dual_mul_f32 v81, v44, v43
	s_delay_alu instid0(VALU_DEP_1) | instskip(NEXT) | instid1(VALU_DEP_1)
	v_dual_fma_f32 v80, v44, v42, -v0 :: v_dual_fmac_f32 v81, v45, v42
	v_pk_add_f32 v[40:41], v[40:41], v[80:81]
.LBB67_290:                             ;   in Loop: Header=BB67_3 Depth=1
	s_or_b32 exec_lo, exec_lo, s8
	s_barrier_signal -1
	s_barrier_wait -1
	s_and_saveexec_b32 s8, s24
; %bb.291:                              ;   in Loop: Header=BB67_3 Depth=1
	ds_store_b64 v62, v[40:41]
; %bb.292:                              ;   in Loop: Header=BB67_3 Depth=1
	s_or_b32 exec_lo, exec_lo, s8
	s_wait_dscnt 0x0
	s_barrier_signal -1
	s_barrier_wait -1
	s_and_saveexec_b32 s8, s26
	s_cbranch_execz .LBB67_294
; %bb.293:                              ;   in Loop: Header=BB67_3 Depth=1
	ds_load_b64 v[42:43], v61 offset:13952
	ds_load_b64 v[44:45], v62
	s_wait_dscnt 0x0
	v_pk_mul_f32 v[80:81], v[44:45], v[42:43] op_sel:[1,1] op_sel_hi:[0,1]
	s_delay_alu instid0(VALU_DEP_1) | instskip(SKIP_1) | instid1(VALU_DEP_2)
	v_pk_fma_f32 v[82:83], v[44:45], v[42:43], v[80:81] op_sel_hi:[1,0,1]
	v_pk_fma_f32 v[42:43], v[44:45], v[42:43], v[80:81] neg_lo:[0,0,1] neg_hi:[0,0,1]
	v_mov_b32_e32 v43, v83
	s_delay_alu instid0(VALU_DEP_1)
	v_pk_add_f32 v[40:41], v[40:41], v[42:43]
.LBB67_294:                             ;   in Loop: Header=BB67_3 Depth=1
	s_or_b32 exec_lo, exec_lo, s8
	s_barrier_signal -1
	s_barrier_wait -1
	s_and_saveexec_b32 s8, s28
; %bb.295:                              ;   in Loop: Header=BB67_3 Depth=1
	ds_store_b64 v62, v[40:41]
; %bb.296:                              ;   in Loop: Header=BB67_3 Depth=1
	s_or_b32 exec_lo, exec_lo, s8
	s_wait_dscnt 0x0
	s_barrier_signal -1
	s_barrier_wait -1
	s_and_saveexec_b32 s8, s74
	s_cbranch_execz .LBB67_298
; %bb.297:                              ;   in Loop: Header=BB67_3 Depth=1
	ds_load_b64 v[42:43], v61 offset:14464
	ds_load_b64 v[44:45], v62
	s_wait_dscnt 0x0
	v_pk_mul_f32 v[80:81], v[44:45], v[42:43] op_sel:[1,1] op_sel_hi:[0,1]
	s_delay_alu instid0(VALU_DEP_1) | instskip(SKIP_1) | instid1(VALU_DEP_2)
	v_pk_fma_f32 v[82:83], v[44:45], v[42:43], v[80:81] op_sel_hi:[1,0,1]
	v_pk_fma_f32 v[42:43], v[44:45], v[42:43], v[80:81] neg_lo:[0,0,1] neg_hi:[0,0,1]
	v_mov_b32_e32 v43, v83
	s_delay_alu instid0(VALU_DEP_1)
	v_pk_add_f32 v[40:41], v[40:41], v[42:43]
.LBB67_298:                             ;   in Loop: Header=BB67_3 Depth=1
	;; [unrolled: 25-line block ×4, first 2 shown]
	s_or_b32 exec_lo, exec_lo, s8
	s_barrier_signal -1
	s_barrier_wait -1
	s_and_saveexec_b32 s8, s103
; %bb.307:                              ;   in Loop: Header=BB67_3 Depth=1
	ds_store_b64 v62, v[40:41]
; %bb.308:                              ;   in Loop: Header=BB67_3 Depth=1
	s_or_b32 exec_lo, exec_lo, s8
	s_wait_dscnt 0x0
	s_barrier_signal -1
	s_barrier_wait -1
	s_barrier_signal -1
	s_barrier_wait -1
	s_and_saveexec_b32 s8, s4
; %bb.309:                              ;   in Loop: Header=BB67_3 Depth=1
	v_pk_add_f32 v[40:41], v[40:41], 0 neg_lo:[1,1] neg_hi:[1,1]
	ds_store_b64 v63, v[40:41] offset:128
; %bb.310:                              ;   in Loop: Header=BB67_3 Depth=1
	s_or_b32 exec_lo, exec_lo, s8
	s_wait_dscnt 0x0
	s_barrier_signal -1
	s_barrier_wait -1
	s_barrier_signal -1
	s_barrier_wait -1
	s_and_saveexec_b32 s8, s10
; %bb.311:                              ;   in Loop: Header=BB67_3 Depth=1
	v_add_nc_u32_e64 v0, 0x2000, 0
	ds_store_2addr_b64 v0, v[38:39], v[38:39] offset0:16 offset1:81
; %bb.312:                              ;   in Loop: Header=BB67_3 Depth=1
	s_or_b32 exec_lo, exec_lo, s8
	v_mov_b64_e32 v[40:41], 0
	s_wait_dscnt 0x0
	s_barrier_signal -1
	s_barrier_wait -1
	s_and_saveexec_b32 s96, s1
	s_cbranch_execz .LBB67_316
; %bb.313:                              ;   in Loop: Header=BB67_3 Depth=1
	ds_load_b64 v[40:41], v47 offset:8336
	ds_load_b64 v[42:43], v48 offset:8320
	s_wait_dscnt 0x0
	v_pk_mul_f32 v[44:45], v[42:43], v[40:41] op_sel:[1,1] op_sel_hi:[0,1]
	s_delay_alu instid0(VALU_DEP_1) | instskip(SKIP_1) | instid1(VALU_DEP_2)
	v_pk_fma_f32 v[80:81], v[42:43], v[40:41], v[44:45] op_sel_hi:[1,0,1]
	v_pk_fma_f32 v[40:41], v[42:43], v[40:41], v[44:45] neg_lo:[0,0,1] neg_hi:[0,0,1]
	v_mov_b32_e32 v41, v81
	s_delay_alu instid0(VALU_DEP_1)
	v_pk_add_f32 v[40:41], v[40:41], 0 op_sel_hi:[1,0]
	s_and_saveexec_b32 s8, s11
	s_cbranch_execz .LBB67_315
; %bb.314:                              ;   in Loop: Header=BB67_3 Depth=1
	ds_load_b64 v[42:43], v49 offset:8848
	ds_load_b64 v[44:45], v1 offset:8328
	s_wait_dscnt 0x0
	v_pk_mul_f32 v[80:81], v[44:45], v[42:43] op_sel:[1,1] op_sel_hi:[0,1]
	s_delay_alu instid0(VALU_DEP_1) | instskip(SKIP_1) | instid1(VALU_DEP_2)
	v_pk_fma_f32 v[82:83], v[44:45], v[42:43], v[80:81] op_sel_hi:[1,0,1]
	v_pk_fma_f32 v[42:43], v[44:45], v[42:43], v[80:81] neg_lo:[0,0,1] neg_hi:[0,0,1]
	v_mov_b32_e32 v43, v83
	s_delay_alu instid0(VALU_DEP_1)
	v_pk_add_f32 v[40:41], v[40:41], v[42:43]
.LBB67_315:                             ;   in Loop: Header=BB67_3 Depth=1
	s_or_b32 exec_lo, exec_lo, s8
	s_delay_alu instid0(VALU_DEP_1)
	v_pk_add_f32 v[40:41], v[40:41], 0 neg_lo:[1,1] neg_hi:[1,1]
.LBB67_316:                             ;   in Loop: Header=BB67_3 Depth=1
	s_or_b32 exec_lo, exec_lo, s96
	s_and_saveexec_b32 s8, s43
; %bb.317:                              ;   in Loop: Header=BB67_3 Depth=1
	ds_store_b64 v46, v[40:41]
; %bb.318:                              ;   in Loop: Header=BB67_3 Depth=1
	s_or_b32 exec_lo, exec_lo, s8
	s_wait_dscnt 0x0
	s_barrier_signal -1
	s_barrier_wait -1
	s_and_saveexec_b32 s8, s44
	s_cbranch_execz .LBB67_320
; %bb.319:                              ;   in Loop: Header=BB67_3 Depth=1
	ds_load_b64 v[42:43], v1 offset:9368
	ds_load_b64 v[44:45], v46
	s_wait_dscnt 0x0
	v_pk_mul_f32 v[80:81], v[44:45], v[42:43] op_sel:[1,1] op_sel_hi:[0,1]
	s_delay_alu instid0(VALU_DEP_1) | instskip(SKIP_1) | instid1(VALU_DEP_2)
	v_pk_fma_f32 v[82:83], v[44:45], v[42:43], v[80:81] op_sel_hi:[1,0,1]
	v_pk_fma_f32 v[42:43], v[44:45], v[42:43], v[80:81] neg_lo:[0,0,1] neg_hi:[0,0,1]
	v_mov_b32_e32 v43, v83
	s_delay_alu instid0(VALU_DEP_1)
	v_pk_add_f32 v[40:41], v[40:41], v[42:43]
.LBB67_320:                             ;   in Loop: Header=BB67_3 Depth=1
	s_or_b32 exec_lo, exec_lo, s8
	s_barrier_signal -1
	s_barrier_wait -1
	s_and_saveexec_b32 s8, s44
; %bb.321:                              ;   in Loop: Header=BB67_3 Depth=1
	ds_store_b64 v46, v[40:41]
; %bb.322:                              ;   in Loop: Header=BB67_3 Depth=1
	s_or_b32 exec_lo, exec_lo, s8
	s_wait_dscnt 0x0
	s_barrier_signal -1
	s_barrier_wait -1
	s_barrier_signal -1
	s_barrier_wait -1
	s_and_saveexec_b32 s8, s1
; %bb.323:                              ;   in Loop: Header=BB67_3 Depth=1
	v_pk_add_f32 v[40:41], v[40:41], 0 neg_lo:[1,1] neg_hi:[1,1]
	ds_store_b64 v47, v[40:41] offset:8336
; %bb.324:                              ;   in Loop: Header=BB67_3 Depth=1
	s_or_b32 exec_lo, exec_lo, s8
	s_wait_dscnt 0x0
	s_barrier_signal -1
	s_barrier_wait -1
	s_barrier_signal -1
	s_barrier_wait -1
	s_and_saveexec_b32 s8, s10
; %bb.325:                              ;   in Loop: Header=BB67_3 Depth=1
	v_add_nc_u32_e64 v0, 0x2000, 0
	ds_store_2addr_b64 v0, v[38:39], v[38:39] offset0:146 offset1:211
; %bb.326:                              ;   in Loop: Header=BB67_3 Depth=1
	s_or_b32 exec_lo, exec_lo, s8
	v_mov_b64_e32 v[40:41], 0
	s_wait_dscnt 0x0
	s_barrier_signal -1
	s_barrier_wait -1
	s_and_saveexec_b32 s96, s2
	s_cbranch_execz .LBB67_332
; %bb.327:                              ;   in Loop: Header=BB67_3 Depth=1
	ds_load_b64 v[40:41], v53 offset:8352
	ds_load_b64 v[42:43], v51 offset:8320
	s_wait_dscnt 0x0
	v_dual_mul_f32 v0, v43, v41 :: v_dual_mul_f32 v41, v42, v41
	s_delay_alu instid0(VALU_DEP_1) | instskip(NEXT) | instid1(VALU_DEP_1)
	v_dual_fma_f32 v0, v42, v40, -v0 :: v_dual_fmac_f32 v41, v43, v40
	v_dual_add_f32 v40, 0, v0 :: v_dual_add_f32 v41, 0, v41
	s_and_saveexec_b32 s8, s12
	s_cbranch_execnz .LBB67_1014
; %bb.328:                              ;   in Loop: Header=BB67_3 Depth=1
	s_or_b32 exec_lo, exec_lo, s8
	s_and_saveexec_b32 s8, s13
	s_cbranch_execnz .LBB67_1015
.LBB67_329:                             ;   in Loop: Header=BB67_3 Depth=1
	s_or_b32 exec_lo, exec_lo, s8
	s_and_saveexec_b32 s8, s1
	s_cbranch_execz .LBB67_331
.LBB67_330:                             ;   in Loop: Header=BB67_3 Depth=1
	ds_load_b64 v[42:43], v49 offset:9888
	ds_load_b64 v[44:45], v1 offset:8344
	s_wait_dscnt 0x0
	v_dual_mul_f32 v0, v45, v43 :: v_dual_mul_f32 v81, v44, v43
	s_delay_alu instid0(VALU_DEP_1) | instskip(NEXT) | instid1(VALU_DEP_1)
	v_dual_fma_f32 v80, v44, v42, -v0 :: v_dual_fmac_f32 v81, v45, v42
	v_pk_add_f32 v[40:41], v[40:41], v[80:81]
.LBB67_331:                             ;   in Loop: Header=BB67_3 Depth=1
	s_or_b32 exec_lo, exec_lo, s8
	s_delay_alu instid0(VALU_DEP_1)
	v_pk_add_f32 v[40:41], v[40:41], 0 neg_lo:[1,1] neg_hi:[1,1]
.LBB67_332:                             ;   in Loop: Header=BB67_3 Depth=1
	s_or_b32 exec_lo, exec_lo, s96
	s_and_saveexec_b32 s8, s45
; %bb.333:                              ;   in Loop: Header=BB67_3 Depth=1
	ds_store_b64 v52, v[40:41]
; %bb.334:                              ;   in Loop: Header=BB67_3 Depth=1
	s_or_b32 exec_lo, exec_lo, s8
	s_wait_dscnt 0x0
	s_barrier_signal -1
	s_barrier_wait -1
	s_and_saveexec_b32 s8, s46
	s_cbranch_execz .LBB67_336
; %bb.335:                              ;   in Loop: Header=BB67_3 Depth=1
	ds_load_b64 v[42:43], v50 offset:10400
	ds_load_b64 v[44:45], v52
	s_wait_dscnt 0x0
	v_pk_mul_f32 v[80:81], v[44:45], v[42:43] op_sel:[1,1] op_sel_hi:[0,1]
	s_delay_alu instid0(VALU_DEP_1) | instskip(SKIP_1) | instid1(VALU_DEP_2)
	v_pk_fma_f32 v[82:83], v[44:45], v[42:43], v[80:81] op_sel_hi:[1,0,1]
	v_pk_fma_f32 v[42:43], v[44:45], v[42:43], v[80:81] neg_lo:[0,0,1] neg_hi:[0,0,1]
	v_mov_b32_e32 v43, v83
	s_delay_alu instid0(VALU_DEP_1)
	v_pk_add_f32 v[40:41], v[40:41], v[42:43]
.LBB67_336:                             ;   in Loop: Header=BB67_3 Depth=1
	s_or_b32 exec_lo, exec_lo, s8
	s_barrier_signal -1
	s_barrier_wait -1
	s_and_saveexec_b32 s8, s47
; %bb.337:                              ;   in Loop: Header=BB67_3 Depth=1
	ds_store_b64 v52, v[40:41]
; %bb.338:                              ;   in Loop: Header=BB67_3 Depth=1
	s_or_b32 exec_lo, exec_lo, s8
	s_wait_dscnt 0x0
	s_barrier_signal -1
	s_barrier_wait -1
	s_and_saveexec_b32 s8, s48
	s_cbranch_execz .LBB67_340
; %bb.339:                              ;   in Loop: Header=BB67_3 Depth=1
	ds_load_b64 v[42:43], v50 offset:10912
	ds_load_b64 v[44:45], v52
	s_wait_dscnt 0x0
	v_pk_mul_f32 v[80:81], v[44:45], v[42:43] op_sel:[1,1] op_sel_hi:[0,1]
	s_delay_alu instid0(VALU_DEP_1) | instskip(SKIP_1) | instid1(VALU_DEP_2)
	v_pk_fma_f32 v[82:83], v[44:45], v[42:43], v[80:81] op_sel_hi:[1,0,1]
	v_pk_fma_f32 v[42:43], v[44:45], v[42:43], v[80:81] neg_lo:[0,0,1] neg_hi:[0,0,1]
	v_mov_b32_e32 v43, v83
	s_delay_alu instid0(VALU_DEP_1)
	v_pk_add_f32 v[40:41], v[40:41], v[42:43]
.LBB67_340:                             ;   in Loop: Header=BB67_3 Depth=1
	s_or_b32 exec_lo, exec_lo, s8
	s_barrier_signal -1
	s_barrier_wait -1
	;; [unrolled: 25-line block ×3, first 2 shown]
	s_and_saveexec_b32 s8, s50
; %bb.345:                              ;   in Loop: Header=BB67_3 Depth=1
	ds_store_b64 v52, v[40:41]
; %bb.346:                              ;   in Loop: Header=BB67_3 Depth=1
	s_or_b32 exec_lo, exec_lo, s8
	s_wait_dscnt 0x0
	s_barrier_signal -1
	s_barrier_wait -1
	s_barrier_signal -1
	s_barrier_wait -1
	s_and_saveexec_b32 s8, s2
; %bb.347:                              ;   in Loop: Header=BB67_3 Depth=1
	v_pk_add_f32 v[40:41], v[40:41], 0 neg_lo:[1,1] neg_hi:[1,1]
	ds_store_b64 v53, v[40:41] offset:8352
; %bb.348:                              ;   in Loop: Header=BB67_3 Depth=1
	s_or_b32 exec_lo, exec_lo, s8
	s_wait_dscnt 0x0
	s_barrier_signal -1
	s_barrier_wait -1
	s_barrier_signal -1
	s_barrier_wait -1
	s_and_saveexec_b32 s8, s10
; %bb.349:                              ;   in Loop: Header=BB67_3 Depth=1
	v_add_nc_u32_e64 v0, 0x2800, 0
	ds_store_2addr_b64 v0, v[38:39], v[38:39] offset0:20 offset1:85
; %bb.350:                              ;   in Loop: Header=BB67_3 Depth=1
	s_or_b32 exec_lo, exec_lo, s8
	v_mov_b64_e32 v[40:41], 0
	s_wait_dscnt 0x0
	s_barrier_signal -1
	s_barrier_wait -1
	s_and_saveexec_b32 s96, s1
	s_cbranch_execz .LBB67_354
; %bb.351:                              ;   in Loop: Header=BB67_3 Depth=1
	ds_load_b64 v[40:41], v47 offset:10416
	ds_load_b64 v[42:43], v48 offset:10400
	s_wait_dscnt 0x0
	v_pk_mul_f32 v[44:45], v[42:43], v[40:41] op_sel:[1,1] op_sel_hi:[0,1]
	s_delay_alu instid0(VALU_DEP_1) | instskip(SKIP_1) | instid1(VALU_DEP_2)
	v_pk_fma_f32 v[80:81], v[42:43], v[40:41], v[44:45] op_sel_hi:[1,0,1]
	v_pk_fma_f32 v[40:41], v[42:43], v[40:41], v[44:45] neg_lo:[0,0,1] neg_hi:[0,0,1]
	v_mov_b32_e32 v41, v81
	s_delay_alu instid0(VALU_DEP_1)
	v_pk_add_f32 v[40:41], v[40:41], 0 op_sel_hi:[1,0]
	s_and_saveexec_b32 s8, s11
	s_cbranch_execz .LBB67_353
; %bb.352:                              ;   in Loop: Header=BB67_3 Depth=1
	ds_load_b64 v[42:43], v49 offset:10928
	ds_load_b64 v[44:45], v1 offset:10408
	s_wait_dscnt 0x0
	v_pk_mul_f32 v[80:81], v[44:45], v[42:43] op_sel:[1,1] op_sel_hi:[0,1]
	s_delay_alu instid0(VALU_DEP_1) | instskip(SKIP_1) | instid1(VALU_DEP_2)
	v_pk_fma_f32 v[82:83], v[44:45], v[42:43], v[80:81] op_sel_hi:[1,0,1]
	v_pk_fma_f32 v[42:43], v[44:45], v[42:43], v[80:81] neg_lo:[0,0,1] neg_hi:[0,0,1]
	v_mov_b32_e32 v43, v83
	s_delay_alu instid0(VALU_DEP_1)
	v_pk_add_f32 v[40:41], v[40:41], v[42:43]
.LBB67_353:                             ;   in Loop: Header=BB67_3 Depth=1
	s_or_b32 exec_lo, exec_lo, s8
	s_delay_alu instid0(VALU_DEP_1)
	v_pk_add_f32 v[40:41], v[40:41], 0 neg_lo:[1,1] neg_hi:[1,1]
.LBB67_354:                             ;   in Loop: Header=BB67_3 Depth=1
	s_or_b32 exec_lo, exec_lo, s96
	s_and_saveexec_b32 s8, s43
; %bb.355:                              ;   in Loop: Header=BB67_3 Depth=1
	ds_store_b64 v46, v[40:41]
; %bb.356:                              ;   in Loop: Header=BB67_3 Depth=1
	s_or_b32 exec_lo, exec_lo, s8
	s_wait_dscnt 0x0
	s_barrier_signal -1
	s_barrier_wait -1
	s_and_saveexec_b32 s8, s44
	s_cbranch_execz .LBB67_358
; %bb.357:                              ;   in Loop: Header=BB67_3 Depth=1
	ds_load_b64 v[42:43], v1 offset:11448
	ds_load_b64 v[44:45], v46
	s_wait_dscnt 0x0
	v_pk_mul_f32 v[80:81], v[44:45], v[42:43] op_sel:[1,1] op_sel_hi:[0,1]
	s_delay_alu instid0(VALU_DEP_1) | instskip(SKIP_1) | instid1(VALU_DEP_2)
	v_pk_fma_f32 v[82:83], v[44:45], v[42:43], v[80:81] op_sel_hi:[1,0,1]
	v_pk_fma_f32 v[42:43], v[44:45], v[42:43], v[80:81] neg_lo:[0,0,1] neg_hi:[0,0,1]
	v_mov_b32_e32 v43, v83
	s_delay_alu instid0(VALU_DEP_1)
	v_pk_add_f32 v[40:41], v[40:41], v[42:43]
.LBB67_358:                             ;   in Loop: Header=BB67_3 Depth=1
	s_or_b32 exec_lo, exec_lo, s8
	s_barrier_signal -1
	s_barrier_wait -1
	s_and_saveexec_b32 s8, s44
; %bb.359:                              ;   in Loop: Header=BB67_3 Depth=1
	ds_store_b64 v46, v[40:41]
; %bb.360:                              ;   in Loop: Header=BB67_3 Depth=1
	s_or_b32 exec_lo, exec_lo, s8
	s_wait_dscnt 0x0
	s_barrier_signal -1
	s_barrier_wait -1
	s_barrier_signal -1
	s_barrier_wait -1
	s_and_saveexec_b32 s8, s1
; %bb.361:                              ;   in Loop: Header=BB67_3 Depth=1
	v_pk_add_f32 v[40:41], v[40:41], 0 neg_lo:[1,1] neg_hi:[1,1]
	ds_store_b64 v47, v[40:41] offset:10416
; %bb.362:                              ;   in Loop: Header=BB67_3 Depth=1
	s_or_b32 exec_lo, exec_lo, s8
	s_wait_dscnt 0x0
	s_barrier_signal -1
	s_barrier_wait -1
	s_barrier_signal -1
	s_barrier_wait -1
	s_and_saveexec_b32 s8, s10
; %bb.363:                              ;   in Loop: Header=BB67_3 Depth=1
	v_add_nc_u32_e64 v0, 0x2800, 0
	ds_store_2addr_b64 v0, v[38:39], v[38:39] offset0:150 offset1:215
; %bb.364:                              ;   in Loop: Header=BB67_3 Depth=1
	s_or_b32 exec_lo, exec_lo, s8
	v_mov_b64_e32 v[40:41], 0
	s_wait_dscnt 0x0
	s_barrier_signal -1
	s_barrier_wait -1
	s_and_saveexec_b32 s96, s3
	s_cbranch_execz .LBB67_374
; %bb.365:                              ;   in Loop: Header=BB67_3 Depth=1
	ds_load_b64 v[40:41], v58 offset:8384
	ds_load_b64 v[42:43], v55 offset:8320
	s_wait_dscnt 0x0
	v_dual_mul_f32 v0, v43, v41 :: v_dual_mul_f32 v41, v42, v41
	s_delay_alu instid0(VALU_DEP_1) | instskip(NEXT) | instid1(VALU_DEP_1)
	v_dual_fma_f32 v0, v42, v40, -v0 :: v_dual_fmac_f32 v41, v43, v40
	v_dual_add_f32 v40, 0, v0 :: v_dual_add_f32 v41, 0, v41
	s_and_saveexec_b32 s8, s14
	s_cbranch_execnz .LBB67_1016
; %bb.366:                              ;   in Loop: Header=BB67_3 Depth=1
	s_or_b32 exec_lo, exec_lo, s8
	s_and_saveexec_b32 s8, s15
	s_cbranch_execnz .LBB67_1017
.LBB67_367:                             ;   in Loop: Header=BB67_3 Depth=1
	s_or_b32 exec_lo, exec_lo, s8
	s_and_saveexec_b32 s8, s16
	s_cbranch_execnz .LBB67_1018
.LBB67_368:                             ;   in Loop: Header=BB67_3 Depth=1
	s_or_b32 exec_lo, exec_lo, s8
	s_and_saveexec_b32 s8, s17
	s_cbranch_execnz .LBB67_1019
.LBB67_369:                             ;   in Loop: Header=BB67_3 Depth=1
	s_or_b32 exec_lo, exec_lo, s8
	s_and_saveexec_b32 s8, s18
	s_cbranch_execnz .LBB67_1020
.LBB67_370:                             ;   in Loop: Header=BB67_3 Depth=1
	s_or_b32 exec_lo, exec_lo, s8
	s_and_saveexec_b32 s8, s2
	s_cbranch_execnz .LBB67_1021
.LBB67_371:                             ;   in Loop: Header=BB67_3 Depth=1
	s_or_b32 exec_lo, exec_lo, s8
	s_and_saveexec_b32 s8, s13
	s_cbranch_execz .LBB67_373
.LBB67_372:                             ;   in Loop: Header=BB67_3 Depth=1
	ds_load_b64 v[42:43], v49 offset:11968
	ds_load_b64 v[44:45], v1 offset:8376
	s_wait_dscnt 0x0
	v_pk_mul_f32 v[80:81], v[44:45], v[42:43] op_sel:[1,1] op_sel_hi:[0,1]
	s_delay_alu instid0(VALU_DEP_1) | instskip(SKIP_1) | instid1(VALU_DEP_2)
	v_pk_fma_f32 v[82:83], v[44:45], v[42:43], v[80:81] op_sel_hi:[1,0,1]
	v_pk_fma_f32 v[42:43], v[44:45], v[42:43], v[80:81] neg_lo:[0,0,1] neg_hi:[0,0,1]
	v_mov_b32_e32 v43, v83
	s_delay_alu instid0(VALU_DEP_1)
	v_pk_add_f32 v[40:41], v[40:41], v[42:43]
.LBB67_373:                             ;   in Loop: Header=BB67_3 Depth=1
	s_or_b32 exec_lo, exec_lo, s8
	s_delay_alu instid0(VALU_DEP_1)
	v_pk_add_f32 v[40:41], v[40:41], 0 neg_lo:[1,1] neg_hi:[1,1]
.LBB67_374:                             ;   in Loop: Header=BB67_3 Depth=1
	s_or_b32 exec_lo, exec_lo, s96
	s_and_saveexec_b32 s8, s51
; %bb.375:                              ;   in Loop: Header=BB67_3 Depth=1
	ds_store_b64 v57, v[40:41]
; %bb.376:                              ;   in Loop: Header=BB67_3 Depth=1
	s_or_b32 exec_lo, exec_lo, s8
	s_wait_dscnt 0x0
	s_barrier_signal -1
	s_barrier_wait -1
	s_and_saveexec_b32 s8, s52
	s_cbranch_execz .LBB67_378
; %bb.377:                              ;   in Loop: Header=BB67_3 Depth=1
	ds_load_b64 v[42:43], v56 offset:12480
	ds_load_b64 v[44:45], v57
	s_wait_dscnt 0x0
	v_pk_mul_f32 v[80:81], v[44:45], v[42:43] op_sel:[1,1] op_sel_hi:[0,1]
	s_delay_alu instid0(VALU_DEP_1) | instskip(SKIP_1) | instid1(VALU_DEP_2)
	v_pk_fma_f32 v[82:83], v[44:45], v[42:43], v[80:81] op_sel_hi:[1,0,1]
	v_pk_fma_f32 v[42:43], v[44:45], v[42:43], v[80:81] neg_lo:[0,0,1] neg_hi:[0,0,1]
	v_mov_b32_e32 v43, v83
	s_delay_alu instid0(VALU_DEP_1)
	v_pk_add_f32 v[40:41], v[40:41], v[42:43]
.LBB67_378:                             ;   in Loop: Header=BB67_3 Depth=1
	s_or_b32 exec_lo, exec_lo, s8
	s_barrier_signal -1
	s_barrier_wait -1
	s_and_saveexec_b32 s8, s53
; %bb.379:                              ;   in Loop: Header=BB67_3 Depth=1
	ds_store_b64 v57, v[40:41]
; %bb.380:                              ;   in Loop: Header=BB67_3 Depth=1
	s_or_b32 exec_lo, exec_lo, s8
	s_wait_dscnt 0x0
	s_barrier_signal -1
	s_barrier_wait -1
	s_and_saveexec_b32 s8, s54
	s_cbranch_execz .LBB67_382
; %bb.381:                              ;   in Loop: Header=BB67_3 Depth=1
	ds_load_b64 v[42:43], v56 offset:12992
	ds_load_b64 v[44:45], v57
	s_wait_dscnt 0x0
	v_dual_mul_f32 v0, v45, v43 :: v_dual_mul_f32 v43, v44, v43
	s_delay_alu instid0(VALU_DEP_1) | instskip(NEXT) | instid1(VALU_DEP_1)
	v_dual_fma_f32 v0, v44, v42, -v0 :: v_dual_fmac_f32 v43, v45, v42
	v_dual_add_f32 v40, v40, v0 :: v_dual_add_f32 v41, v41, v43
.LBB67_382:                             ;   in Loop: Header=BB67_3 Depth=1
	s_or_b32 exec_lo, exec_lo, s8
	s_barrier_signal -1
	s_barrier_wait -1
	s_and_saveexec_b32 s8, s55
; %bb.383:                              ;   in Loop: Header=BB67_3 Depth=1
	ds_store_b64 v57, v[40:41]
; %bb.384:                              ;   in Loop: Header=BB67_3 Depth=1
	s_or_b32 exec_lo, exec_lo, s8
	s_wait_dscnt 0x0
	s_barrier_signal -1
	s_barrier_wait -1
	s_and_saveexec_b32 s8, s56
	s_cbranch_execz .LBB67_386
; %bb.385:                              ;   in Loop: Header=BB67_3 Depth=1
	ds_load_b64 v[42:43], v56 offset:13504
	ds_load_b64 v[44:45], v57
	s_wait_dscnt 0x0
	v_dual_mul_f32 v0, v45, v43 :: v_dual_mul_f32 v81, v44, v43
	s_delay_alu instid0(VALU_DEP_1) | instskip(NEXT) | instid1(VALU_DEP_1)
	v_dual_fma_f32 v80, v44, v42, -v0 :: v_dual_fmac_f32 v81, v45, v42
	v_pk_add_f32 v[40:41], v[40:41], v[80:81]
.LBB67_386:                             ;   in Loop: Header=BB67_3 Depth=1
	s_or_b32 exec_lo, exec_lo, s8
	s_barrier_signal -1
	s_barrier_wait -1
	s_and_saveexec_b32 s8, s57
; %bb.387:                              ;   in Loop: Header=BB67_3 Depth=1
	ds_store_b64 v57, v[40:41]
; %bb.388:                              ;   in Loop: Header=BB67_3 Depth=1
	s_or_b32 exec_lo, exec_lo, s8
	s_wait_dscnt 0x0
	s_barrier_signal -1
	s_barrier_wait -1
	s_and_saveexec_b32 s8, s58
	s_cbranch_execz .LBB67_390
; %bb.389:                              ;   in Loop: Header=BB67_3 Depth=1
	ds_load_b64 v[42:43], v56 offset:14016
	ds_load_b64 v[44:45], v57
	s_wait_dscnt 0x0
	v_pk_mul_f32 v[80:81], v[44:45], v[42:43] op_sel:[1,1] op_sel_hi:[0,1]
	s_delay_alu instid0(VALU_DEP_1) | instskip(SKIP_1) | instid1(VALU_DEP_2)
	v_pk_fma_f32 v[82:83], v[44:45], v[42:43], v[80:81] op_sel_hi:[1,0,1]
	v_pk_fma_f32 v[42:43], v[44:45], v[42:43], v[80:81] neg_lo:[0,0,1] neg_hi:[0,0,1]
	v_mov_b32_e32 v43, v83
	s_delay_alu instid0(VALU_DEP_1)
	v_pk_add_f32 v[40:41], v[40:41], v[42:43]
.LBB67_390:                             ;   in Loop: Header=BB67_3 Depth=1
	s_or_b32 exec_lo, exec_lo, s8
	s_barrier_signal -1
	s_barrier_wait -1
	s_and_saveexec_b32 s8, s59
; %bb.391:                              ;   in Loop: Header=BB67_3 Depth=1
	ds_store_b64 v57, v[40:41]
; %bb.392:                              ;   in Loop: Header=BB67_3 Depth=1
	s_or_b32 exec_lo, exec_lo, s8
	s_wait_dscnt 0x0
	s_barrier_signal -1
	s_barrier_wait -1
	s_and_saveexec_b32 s8, s60
	s_cbranch_execz .LBB67_394
; %bb.393:                              ;   in Loop: Header=BB67_3 Depth=1
	ds_load_b64 v[42:43], v56 offset:14528
	ds_load_b64 v[44:45], v57
	s_wait_dscnt 0x0
	v_pk_mul_f32 v[80:81], v[44:45], v[42:43] op_sel:[1,1] op_sel_hi:[0,1]
	s_delay_alu instid0(VALU_DEP_1) | instskip(SKIP_1) | instid1(VALU_DEP_2)
	v_pk_fma_f32 v[82:83], v[44:45], v[42:43], v[80:81] op_sel_hi:[1,0,1]
	v_pk_fma_f32 v[42:43], v[44:45], v[42:43], v[80:81] neg_lo:[0,0,1] neg_hi:[0,0,1]
	v_mov_b32_e32 v43, v83
	s_delay_alu instid0(VALU_DEP_1)
	v_pk_add_f32 v[40:41], v[40:41], v[42:43]
.LBB67_394:                             ;   in Loop: Header=BB67_3 Depth=1
	;; [unrolled: 25-line block ×4, first 2 shown]
	s_or_b32 exec_lo, exec_lo, s8
	s_barrier_signal -1
	s_barrier_wait -1
	s_and_saveexec_b32 s8, s64
; %bb.403:                              ;   in Loop: Header=BB67_3 Depth=1
	ds_store_b64 v57, v[40:41]
; %bb.404:                              ;   in Loop: Header=BB67_3 Depth=1
	s_or_b32 exec_lo, exec_lo, s8
	s_wait_dscnt 0x0
	s_barrier_signal -1
	s_barrier_wait -1
	s_barrier_signal -1
	s_barrier_wait -1
	s_and_saveexec_b32 s8, s3
; %bb.405:                              ;   in Loop: Header=BB67_3 Depth=1
	v_pk_add_f32 v[40:41], v[40:41], 0 neg_lo:[1,1] neg_hi:[1,1]
	ds_store_b64 v58, v[40:41] offset:8384
; %bb.406:                              ;   in Loop: Header=BB67_3 Depth=1
	s_or_b32 exec_lo, exec_lo, s8
	s_wait_dscnt 0x0
	s_barrier_signal -1
	s_barrier_wait -1
	s_barrier_signal -1
	s_barrier_wait -1
	s_and_saveexec_b32 s8, s10
; %bb.407:                              ;   in Loop: Header=BB67_3 Depth=1
	v_add_nc_u32_e64 v0, 0x3000, 0
	ds_store_2addr_b64 v0, v[38:39], v[38:39] offset0:24 offset1:89
; %bb.408:                              ;   in Loop: Header=BB67_3 Depth=1
	s_or_b32 exec_lo, exec_lo, s8
	v_mov_b64_e32 v[40:41], 0
	s_wait_dscnt 0x0
	s_barrier_signal -1
	s_barrier_wait -1
	s_and_saveexec_b32 s96, s1
	s_cbranch_execz .LBB67_412
; %bb.409:                              ;   in Loop: Header=BB67_3 Depth=1
	ds_load_b64 v[40:41], v47 offset:12496
	ds_load_b64 v[42:43], v48 offset:12480
	s_wait_dscnt 0x0
	v_pk_mul_f32 v[44:45], v[42:43], v[40:41] op_sel:[1,1] op_sel_hi:[0,1]
	s_delay_alu instid0(VALU_DEP_1) | instskip(SKIP_1) | instid1(VALU_DEP_2)
	v_pk_fma_f32 v[80:81], v[42:43], v[40:41], v[44:45] op_sel_hi:[1,0,1]
	v_pk_fma_f32 v[40:41], v[42:43], v[40:41], v[44:45] neg_lo:[0,0,1] neg_hi:[0,0,1]
	v_mov_b32_e32 v41, v81
	s_delay_alu instid0(VALU_DEP_1)
	v_pk_add_f32 v[40:41], v[40:41], 0 op_sel_hi:[1,0]
	s_and_saveexec_b32 s8, s11
	s_cbranch_execz .LBB67_411
; %bb.410:                              ;   in Loop: Header=BB67_3 Depth=1
	ds_load_b64 v[42:43], v49 offset:13008
	ds_load_b64 v[44:45], v1 offset:12488
	s_wait_dscnt 0x0
	v_pk_mul_f32 v[80:81], v[44:45], v[42:43] op_sel:[1,1] op_sel_hi:[0,1]
	s_delay_alu instid0(VALU_DEP_1) | instskip(SKIP_1) | instid1(VALU_DEP_2)
	v_pk_fma_f32 v[82:83], v[44:45], v[42:43], v[80:81] op_sel_hi:[1,0,1]
	v_pk_fma_f32 v[42:43], v[44:45], v[42:43], v[80:81] neg_lo:[0,0,1] neg_hi:[0,0,1]
	v_mov_b32_e32 v43, v83
	s_delay_alu instid0(VALU_DEP_1)
	v_pk_add_f32 v[40:41], v[40:41], v[42:43]
.LBB67_411:                             ;   in Loop: Header=BB67_3 Depth=1
	s_or_b32 exec_lo, exec_lo, s8
	s_delay_alu instid0(VALU_DEP_1)
	v_pk_add_f32 v[40:41], v[40:41], 0 neg_lo:[1,1] neg_hi:[1,1]
.LBB67_412:                             ;   in Loop: Header=BB67_3 Depth=1
	s_or_b32 exec_lo, exec_lo, s96
	s_and_saveexec_b32 s8, s43
; %bb.413:                              ;   in Loop: Header=BB67_3 Depth=1
	ds_store_b64 v46, v[40:41]
; %bb.414:                              ;   in Loop: Header=BB67_3 Depth=1
	s_or_b32 exec_lo, exec_lo, s8
	s_wait_dscnt 0x0
	s_barrier_signal -1
	s_barrier_wait -1
	s_and_saveexec_b32 s8, s44
	s_cbranch_execz .LBB67_416
; %bb.415:                              ;   in Loop: Header=BB67_3 Depth=1
	ds_load_b64 v[42:43], v1 offset:13528
	ds_load_b64 v[44:45], v46
	s_wait_dscnt 0x0
	v_pk_mul_f32 v[80:81], v[44:45], v[42:43] op_sel:[1,1] op_sel_hi:[0,1]
	s_delay_alu instid0(VALU_DEP_1) | instskip(SKIP_1) | instid1(VALU_DEP_2)
	v_pk_fma_f32 v[82:83], v[44:45], v[42:43], v[80:81] op_sel_hi:[1,0,1]
	v_pk_fma_f32 v[42:43], v[44:45], v[42:43], v[80:81] neg_lo:[0,0,1] neg_hi:[0,0,1]
	v_mov_b32_e32 v43, v83
	s_delay_alu instid0(VALU_DEP_1)
	v_pk_add_f32 v[40:41], v[40:41], v[42:43]
.LBB67_416:                             ;   in Loop: Header=BB67_3 Depth=1
	s_or_b32 exec_lo, exec_lo, s8
	s_barrier_signal -1
	s_barrier_wait -1
	s_and_saveexec_b32 s8, s44
; %bb.417:                              ;   in Loop: Header=BB67_3 Depth=1
	ds_store_b64 v46, v[40:41]
; %bb.418:                              ;   in Loop: Header=BB67_3 Depth=1
	s_or_b32 exec_lo, exec_lo, s8
	s_wait_dscnt 0x0
	s_barrier_signal -1
	s_barrier_wait -1
	s_barrier_signal -1
	s_barrier_wait -1
	s_and_saveexec_b32 s8, s1
; %bb.419:                              ;   in Loop: Header=BB67_3 Depth=1
	v_pk_add_f32 v[40:41], v[40:41], 0 neg_lo:[1,1] neg_hi:[1,1]
	ds_store_b64 v47, v[40:41] offset:12496
; %bb.420:                              ;   in Loop: Header=BB67_3 Depth=1
	s_or_b32 exec_lo, exec_lo, s8
	s_wait_dscnt 0x0
	s_barrier_signal -1
	s_barrier_wait -1
	s_barrier_signal -1
	s_barrier_wait -1
	s_and_saveexec_b32 s8, s10
; %bb.421:                              ;   in Loop: Header=BB67_3 Depth=1
	v_add_nc_u32_e64 v0, 0x3000, 0
	ds_store_2addr_b64 v0, v[38:39], v[38:39] offset0:154 offset1:219
; %bb.422:                              ;   in Loop: Header=BB67_3 Depth=1
	s_or_b32 exec_lo, exec_lo, s8
	v_mov_b64_e32 v[40:41], 0
	s_wait_dscnt 0x0
	s_barrier_signal -1
	s_barrier_wait -1
	s_and_saveexec_b32 s96, s2
	s_cbranch_execz .LBB67_428
; %bb.423:                              ;   in Loop: Header=BB67_3 Depth=1
	ds_load_b64 v[40:41], v53 offset:12512
	ds_load_b64 v[42:43], v51 offset:12480
	s_wait_dscnt 0x0
	v_dual_mul_f32 v0, v43, v41 :: v_dual_mul_f32 v41, v42, v41
	s_delay_alu instid0(VALU_DEP_1) | instskip(NEXT) | instid1(VALU_DEP_1)
	v_dual_fma_f32 v0, v42, v40, -v0 :: v_dual_fmac_f32 v41, v43, v40
	v_dual_add_f32 v40, 0, v0 :: v_dual_add_f32 v41, 0, v41
	s_and_saveexec_b32 s8, s12
	s_cbranch_execnz .LBB67_1022
; %bb.424:                              ;   in Loop: Header=BB67_3 Depth=1
	s_or_b32 exec_lo, exec_lo, s8
	s_and_saveexec_b32 s8, s13
	s_cbranch_execnz .LBB67_1023
.LBB67_425:                             ;   in Loop: Header=BB67_3 Depth=1
	s_or_b32 exec_lo, exec_lo, s8
	s_and_saveexec_b32 s8, s1
	s_cbranch_execz .LBB67_427
.LBB67_426:                             ;   in Loop: Header=BB67_3 Depth=1
	ds_load_b64 v[42:43], v49 offset:14048
	ds_load_b64 v[44:45], v1 offset:12504
	s_wait_dscnt 0x0
	v_dual_mul_f32 v0, v45, v43 :: v_dual_mul_f32 v81, v44, v43
	s_delay_alu instid0(VALU_DEP_1) | instskip(NEXT) | instid1(VALU_DEP_1)
	v_dual_fma_f32 v80, v44, v42, -v0 :: v_dual_fmac_f32 v81, v45, v42
	v_pk_add_f32 v[40:41], v[40:41], v[80:81]
.LBB67_427:                             ;   in Loop: Header=BB67_3 Depth=1
	s_or_b32 exec_lo, exec_lo, s8
	s_delay_alu instid0(VALU_DEP_1)
	v_pk_add_f32 v[40:41], v[40:41], 0 neg_lo:[1,1] neg_hi:[1,1]
.LBB67_428:                             ;   in Loop: Header=BB67_3 Depth=1
	s_or_b32 exec_lo, exec_lo, s96
	s_and_saveexec_b32 s8, s45
; %bb.429:                              ;   in Loop: Header=BB67_3 Depth=1
	ds_store_b64 v52, v[40:41]
; %bb.430:                              ;   in Loop: Header=BB67_3 Depth=1
	s_or_b32 exec_lo, exec_lo, s8
	s_wait_dscnt 0x0
	s_barrier_signal -1
	s_barrier_wait -1
	s_and_saveexec_b32 s8, s46
	s_cbranch_execz .LBB67_432
; %bb.431:                              ;   in Loop: Header=BB67_3 Depth=1
	ds_load_b64 v[42:43], v50 offset:14560
	ds_load_b64 v[44:45], v52
	s_wait_dscnt 0x0
	v_pk_mul_f32 v[80:81], v[44:45], v[42:43] op_sel:[1,1] op_sel_hi:[0,1]
	s_delay_alu instid0(VALU_DEP_1) | instskip(SKIP_1) | instid1(VALU_DEP_2)
	v_pk_fma_f32 v[82:83], v[44:45], v[42:43], v[80:81] op_sel_hi:[1,0,1]
	v_pk_fma_f32 v[42:43], v[44:45], v[42:43], v[80:81] neg_lo:[0,0,1] neg_hi:[0,0,1]
	v_mov_b32_e32 v43, v83
	s_delay_alu instid0(VALU_DEP_1)
	v_pk_add_f32 v[40:41], v[40:41], v[42:43]
.LBB67_432:                             ;   in Loop: Header=BB67_3 Depth=1
	s_or_b32 exec_lo, exec_lo, s8
	s_barrier_signal -1
	s_barrier_wait -1
	s_and_saveexec_b32 s8, s47
; %bb.433:                              ;   in Loop: Header=BB67_3 Depth=1
	ds_store_b64 v52, v[40:41]
; %bb.434:                              ;   in Loop: Header=BB67_3 Depth=1
	s_or_b32 exec_lo, exec_lo, s8
	s_wait_dscnt 0x0
	s_barrier_signal -1
	s_barrier_wait -1
	s_and_saveexec_b32 s8, s48
	s_cbranch_execz .LBB67_436
; %bb.435:                              ;   in Loop: Header=BB67_3 Depth=1
	ds_load_b64 v[42:43], v50 offset:15072
	ds_load_b64 v[44:45], v52
	s_wait_dscnt 0x0
	v_pk_mul_f32 v[80:81], v[44:45], v[42:43] op_sel:[1,1] op_sel_hi:[0,1]
	s_delay_alu instid0(VALU_DEP_1) | instskip(SKIP_1) | instid1(VALU_DEP_2)
	v_pk_fma_f32 v[82:83], v[44:45], v[42:43], v[80:81] op_sel_hi:[1,0,1]
	v_pk_fma_f32 v[42:43], v[44:45], v[42:43], v[80:81] neg_lo:[0,0,1] neg_hi:[0,0,1]
	v_mov_b32_e32 v43, v83
	s_delay_alu instid0(VALU_DEP_1)
	v_pk_add_f32 v[40:41], v[40:41], v[42:43]
.LBB67_436:                             ;   in Loop: Header=BB67_3 Depth=1
	s_or_b32 exec_lo, exec_lo, s8
	s_barrier_signal -1
	s_barrier_wait -1
	;; [unrolled: 25-line block ×3, first 2 shown]
	s_and_saveexec_b32 s8, s50
; %bb.441:                              ;   in Loop: Header=BB67_3 Depth=1
	ds_store_b64 v52, v[40:41]
; %bb.442:                              ;   in Loop: Header=BB67_3 Depth=1
	s_or_b32 exec_lo, exec_lo, s8
	s_wait_dscnt 0x0
	s_barrier_signal -1
	s_barrier_wait -1
	s_barrier_signal -1
	s_barrier_wait -1
	s_and_saveexec_b32 s8, s2
; %bb.443:                              ;   in Loop: Header=BB67_3 Depth=1
	v_pk_add_f32 v[40:41], v[40:41], 0 neg_lo:[1,1] neg_hi:[1,1]
	ds_store_b64 v53, v[40:41] offset:12512
; %bb.444:                              ;   in Loop: Header=BB67_3 Depth=1
	s_or_b32 exec_lo, exec_lo, s8
	s_wait_dscnt 0x0
	s_barrier_signal -1
	s_barrier_wait -1
	s_barrier_signal -1
	s_barrier_wait -1
	s_and_saveexec_b32 s8, s10
; %bb.445:                              ;   in Loop: Header=BB67_3 Depth=1
	v_add_nc_u32_e64 v0, 0x3800, 0
	ds_store_2addr_b64 v0, v[38:39], v[38:39] offset0:28 offset1:93
; %bb.446:                              ;   in Loop: Header=BB67_3 Depth=1
	s_or_b32 exec_lo, exec_lo, s8
	v_mov_b64_e32 v[40:41], 0
	s_wait_dscnt 0x0
	s_barrier_signal -1
	s_barrier_wait -1
	s_and_saveexec_b32 s96, s1
	s_cbranch_execz .LBB67_450
; %bb.447:                              ;   in Loop: Header=BB67_3 Depth=1
	ds_load_b64 v[40:41], v47 offset:14576
	ds_load_b64 v[42:43], v48 offset:14560
	s_wait_dscnt 0x0
	v_pk_mul_f32 v[44:45], v[42:43], v[40:41] op_sel:[1,1] op_sel_hi:[0,1]
	s_delay_alu instid0(VALU_DEP_1) | instskip(SKIP_1) | instid1(VALU_DEP_2)
	v_pk_fma_f32 v[80:81], v[42:43], v[40:41], v[44:45] op_sel_hi:[1,0,1]
	v_pk_fma_f32 v[40:41], v[42:43], v[40:41], v[44:45] neg_lo:[0,0,1] neg_hi:[0,0,1]
	v_mov_b32_e32 v41, v81
	s_delay_alu instid0(VALU_DEP_1)
	v_pk_add_f32 v[40:41], v[40:41], 0 op_sel_hi:[1,0]
	s_and_saveexec_b32 s8, s11
	s_cbranch_execz .LBB67_449
; %bb.448:                              ;   in Loop: Header=BB67_3 Depth=1
	ds_load_b64 v[42:43], v49 offset:15088
	ds_load_b64 v[44:45], v1 offset:14568
	s_wait_dscnt 0x0
	v_pk_mul_f32 v[80:81], v[44:45], v[42:43] op_sel:[1,1] op_sel_hi:[0,1]
	s_delay_alu instid0(VALU_DEP_1) | instskip(SKIP_1) | instid1(VALU_DEP_2)
	v_pk_fma_f32 v[82:83], v[44:45], v[42:43], v[80:81] op_sel_hi:[1,0,1]
	v_pk_fma_f32 v[42:43], v[44:45], v[42:43], v[80:81] neg_lo:[0,0,1] neg_hi:[0,0,1]
	v_mov_b32_e32 v43, v83
	s_delay_alu instid0(VALU_DEP_1)
	v_pk_add_f32 v[40:41], v[40:41], v[42:43]
.LBB67_449:                             ;   in Loop: Header=BB67_3 Depth=1
	s_or_b32 exec_lo, exec_lo, s8
	s_delay_alu instid0(VALU_DEP_1)
	v_pk_add_f32 v[40:41], v[40:41], 0 neg_lo:[1,1] neg_hi:[1,1]
.LBB67_450:                             ;   in Loop: Header=BB67_3 Depth=1
	s_or_b32 exec_lo, exec_lo, s96
	s_and_saveexec_b32 s8, s43
; %bb.451:                              ;   in Loop: Header=BB67_3 Depth=1
	ds_store_b64 v46, v[40:41]
; %bb.452:                              ;   in Loop: Header=BB67_3 Depth=1
	s_or_b32 exec_lo, exec_lo, s8
	s_wait_dscnt 0x0
	s_barrier_signal -1
	s_barrier_wait -1
	s_and_saveexec_b32 s8, s44
	s_cbranch_execz .LBB67_454
; %bb.453:                              ;   in Loop: Header=BB67_3 Depth=1
	ds_load_b64 v[42:43], v1 offset:15608
	ds_load_b64 v[44:45], v46
	s_wait_dscnt 0x0
	v_pk_mul_f32 v[80:81], v[44:45], v[42:43] op_sel:[1,1] op_sel_hi:[0,1]
	s_delay_alu instid0(VALU_DEP_1) | instskip(SKIP_1) | instid1(VALU_DEP_2)
	v_pk_fma_f32 v[82:83], v[44:45], v[42:43], v[80:81] op_sel_hi:[1,0,1]
	v_pk_fma_f32 v[42:43], v[44:45], v[42:43], v[80:81] neg_lo:[0,0,1] neg_hi:[0,0,1]
	v_mov_b32_e32 v43, v83
	s_delay_alu instid0(VALU_DEP_1)
	v_pk_add_f32 v[40:41], v[40:41], v[42:43]
.LBB67_454:                             ;   in Loop: Header=BB67_3 Depth=1
	s_or_b32 exec_lo, exec_lo, s8
	s_barrier_signal -1
	s_barrier_wait -1
	s_and_saveexec_b32 s8, s44
; %bb.455:                              ;   in Loop: Header=BB67_3 Depth=1
	ds_store_b64 v46, v[40:41]
; %bb.456:                              ;   in Loop: Header=BB67_3 Depth=1
	s_or_b32 exec_lo, exec_lo, s8
	s_wait_dscnt 0x0
	s_barrier_signal -1
	s_barrier_wait -1
	s_barrier_signal -1
	s_barrier_wait -1
	s_and_saveexec_b32 s8, s1
; %bb.457:                              ;   in Loop: Header=BB67_3 Depth=1
	v_pk_add_f32 v[40:41], v[40:41], 0 neg_lo:[1,1] neg_hi:[1,1]
	ds_store_b64 v47, v[40:41] offset:14576
; %bb.458:                              ;   in Loop: Header=BB67_3 Depth=1
	s_or_b32 exec_lo, exec_lo, s8
	s_wait_dscnt 0x0
	s_barrier_signal -1
	s_barrier_wait -1
	s_barrier_signal -1
	s_barrier_wait -1
	s_and_saveexec_b32 s8, s10
; %bb.459:                              ;   in Loop: Header=BB67_3 Depth=1
	v_add_nc_u32_e64 v0, 0x3800, 0
	ds_store_2addr_b64 v0, v[38:39], v[38:39] offset0:158 offset1:223
; %bb.460:                              ;   in Loop: Header=BB67_3 Depth=1
	s_or_b32 exec_lo, exec_lo, s8
	v_mov_b64_e32 v[40:41], 0
	s_wait_dscnt 0x0
	s_barrier_signal -1
	s_barrier_wait -1
	s_and_saveexec_b32 s96, s30
	s_cbranch_execz .LBB67_522
; %bb.461:                              ;   in Loop: Header=BB67_3 Depth=1
	v_dual_add_nc_u32 v42, v68, v67 :: v_dual_add_nc_u32 v0, v67, v66
	v_readlane_b32 s6, v93, 12
	ds_load_b64 v[40:41], v42 offset:256
	ds_load_b64 v[44:45], v0
	s_wait_dscnt 0x0
	v_pk_mul_f32 v[80:81], v[44:45], v[40:41] op_sel:[1,1] op_sel_hi:[0,1]
	s_delay_alu instid0(VALU_DEP_1) | instskip(SKIP_1) | instid1(VALU_DEP_2)
	v_pk_fma_f32 v[82:83], v[44:45], v[40:41], v[80:81] op_sel_hi:[1,0,1]
	v_pk_fma_f32 v[40:41], v[44:45], v[40:41], v[80:81] neg_lo:[0,0,1] neg_hi:[0,0,1]
	v_mov_b32_e32 v41, v83
	s_delay_alu instid0(VALU_DEP_1)
	v_pk_add_f32 v[40:41], v[40:41], 0 op_sel_hi:[1,0]
	s_and_saveexec_b32 s8, s6
	s_cbranch_execz .LBB67_463
; %bb.462:                              ;   in Loop: Header=BB67_3 Depth=1
	ds_load_b64 v[44:45], v42 offset:768
	ds_load_b64 v[80:81], v0 offset:8
	s_wait_dscnt 0x0
	v_pk_mul_f32 v[82:83], v[80:81], v[44:45] op_sel:[1,1] op_sel_hi:[0,1]
	s_delay_alu instid0(VALU_DEP_1) | instskip(SKIP_1) | instid1(VALU_DEP_2)
	v_pk_fma_f32 v[84:85], v[80:81], v[44:45], v[82:83] op_sel_hi:[1,0,1]
	v_pk_fma_f32 v[44:45], v[80:81], v[44:45], v[82:83] neg_lo:[0,0,1] neg_hi:[0,0,1]
	v_mov_b32_e32 v45, v85
	s_delay_alu instid0(VALU_DEP_1)
	v_pk_add_f32 v[40:41], v[40:41], v[44:45]
.LBB67_463:                             ;   in Loop: Header=BB67_3 Depth=1
	s_or_b32 exec_lo, exec_lo, s8
	v_readlane_b32 s6, v93, 13
	s_and_saveexec_b32 s8, s6
	s_cbranch_execz .LBB67_465
; %bb.464:                              ;   in Loop: Header=BB67_3 Depth=1
	ds_load_b64 v[44:45], v42 offset:1280
	ds_load_b64 v[80:81], v0 offset:16
	s_wait_dscnt 0x0
	v_pk_mul_f32 v[82:83], v[80:81], v[44:45] op_sel:[1,1] op_sel_hi:[0,1]
	s_delay_alu instid0(VALU_DEP_1) | instskip(SKIP_1) | instid1(VALU_DEP_2)
	v_pk_fma_f32 v[84:85], v[80:81], v[44:45], v[82:83] op_sel_hi:[1,0,1]
	v_pk_fma_f32 v[44:45], v[80:81], v[44:45], v[82:83] neg_lo:[0,0,1] neg_hi:[0,0,1]
	v_mov_b32_e32 v45, v85
	s_delay_alu instid0(VALU_DEP_1)
	v_pk_add_f32 v[40:41], v[40:41], v[44:45]
.LBB67_465:                             ;   in Loop: Header=BB67_3 Depth=1
	s_or_b32 exec_lo, exec_lo, s8
	v_readlane_b32 s6, v93, 14
	;; [unrolled: 16-line block ×22, first 2 shown]
	s_and_saveexec_b32 s8, s6
	s_cbranch_execz .LBB67_507
; %bb.506:                              ;   in Loop: Header=BB67_3 Depth=1
	ds_load_b64 v[44:45], v42 offset:12032
	ds_load_b64 v[80:81], v0 offset:184
	s_wait_dscnt 0x0
	v_pk_mul_f32 v[82:83], v[80:81], v[44:45] op_sel:[1,1] op_sel_hi:[0,1]
	s_delay_alu instid0(VALU_DEP_1) | instskip(SKIP_1) | instid1(VALU_DEP_2)
	v_pk_fma_f32 v[84:85], v[80:81], v[44:45], v[82:83] op_sel_hi:[1,0,1]
	v_pk_fma_f32 v[44:45], v[80:81], v[44:45], v[82:83] neg_lo:[0,0,1] neg_hi:[0,0,1]
	v_mov_b32_e32 v45, v85
	s_delay_alu instid0(VALU_DEP_1)
	v_pk_add_f32 v[40:41], v[40:41], v[44:45]
.LBB67_507:                             ;   in Loop: Header=BB67_3 Depth=1
	s_or_b32 exec_lo, exec_lo, s8
	s_and_saveexec_b32 s8, s4
	s_cbranch_execz .LBB67_509
; %bb.508:                              ;   in Loop: Header=BB67_3 Depth=1
	ds_load_b64 v[44:45], v42 offset:12544
	ds_load_b64 v[80:81], v0 offset:192
	s_wait_dscnt 0x0
	v_pk_mul_f32 v[82:83], v[80:81], v[44:45] op_sel:[1,1] op_sel_hi:[0,1]
	s_delay_alu instid0(VALU_DEP_1) | instskip(SKIP_1) | instid1(VALU_DEP_2)
	v_pk_fma_f32 v[84:85], v[80:81], v[44:45], v[82:83] op_sel_hi:[1,0,1]
	v_pk_fma_f32 v[44:45], v[80:81], v[44:45], v[82:83] neg_lo:[0,0,1] neg_hi:[0,0,1]
	v_mov_b32_e32 v45, v85
	s_delay_alu instid0(VALU_DEP_1)
	v_pk_add_f32 v[40:41], v[40:41], v[44:45]
.LBB67_509:                             ;   in Loop: Header=BB67_3 Depth=1
	s_or_b32 exec_lo, exec_lo, s8
	v_readlane_b32 s6, v94, 25
	s_and_saveexec_b32 s8, s6
	s_cbranch_execz .LBB67_511
; %bb.510:                              ;   in Loop: Header=BB67_3 Depth=1
	ds_load_b64 v[44:45], v42 offset:13056
	ds_load_b64 v[80:81], v0 offset:200
	s_wait_dscnt 0x0
	v_pk_mul_f32 v[82:83], v[80:81], v[44:45] op_sel:[1,1] op_sel_hi:[0,1]
	s_delay_alu instid0(VALU_DEP_1) | instskip(SKIP_1) | instid1(VALU_DEP_2)
	v_pk_fma_f32 v[84:85], v[80:81], v[44:45], v[82:83] op_sel_hi:[1,0,1]
	v_pk_fma_f32 v[44:45], v[80:81], v[44:45], v[82:83] neg_lo:[0,0,1] neg_hi:[0,0,1]
	v_mov_b32_e32 v45, v85
	s_delay_alu instid0(VALU_DEP_1)
	v_pk_add_f32 v[40:41], v[40:41], v[44:45]
.LBB67_511:                             ;   in Loop: Header=BB67_3 Depth=1
	s_or_b32 exec_lo, exec_lo, s8
	v_readlane_b32 s6, v94, 27
	;; [unrolled: 16-line block ×5, first 2 shown]
	s_and_saveexec_b32 s8, s6
	s_cbranch_execnz .LBB67_1024
; %bb.518:                              ;   in Loop: Header=BB67_3 Depth=1
	s_or_b32 exec_lo, exec_lo, s8
	s_and_saveexec_b32 s8, s3
	s_cbranch_execnz .LBB67_1025
.LBB67_519:                             ;   in Loop: Header=BB67_3 Depth=1
	s_or_b32 exec_lo, exec_lo, s8
	s_and_saveexec_b32 s8, s17
	s_cbranch_execz .LBB67_521
.LBB67_520:                             ;   in Loop: Header=BB67_3 Depth=1
	ds_load_b64 v[42:43], v68 offset:16128
	ds_load_b64 v[44:45], v0 offset:248
	s_wait_dscnt 0x0
	v_pk_mul_f32 v[80:81], v[44:45], v[42:43] op_sel:[1,1] op_sel_hi:[0,1]
	s_delay_alu instid0(VALU_DEP_1) | instskip(SKIP_1) | instid1(VALU_DEP_2)
	v_pk_fma_f32 v[82:83], v[44:45], v[42:43], v[80:81] op_sel_hi:[1,0,1]
	v_pk_fma_f32 v[42:43], v[44:45], v[42:43], v[80:81] neg_lo:[0,0,1] neg_hi:[0,0,1]
	v_mov_b32_e32 v43, v83
	s_delay_alu instid0(VALU_DEP_1)
	v_pk_add_f32 v[40:41], v[40:41], v[42:43]
.LBB67_521:                             ;   in Loop: Header=BB67_3 Depth=1
	s_or_b32 exec_lo, exec_lo, s8
	s_delay_alu instid0(VALU_DEP_1)
	v_pk_add_f32 v[40:41], v[40:41], 0 neg_lo:[1,1] neg_hi:[1,1]
.LBB67_522:                             ;   in Loop: Header=BB67_3 Depth=1
	s_or_b32 exec_lo, exec_lo, s96
	v_dual_mov_b32 v0, v65 :: v_dual_mov_b32 v42, v78
	s_mov_b32 s96, 0
	s_branch .LBB67_524
.LBB67_523:                             ;   in Loop: Header=BB67_524 Depth=2
	s_or_b32 exec_lo, exec_lo, s8
	v_add_nc_u32_e32 v42, 0x800, v42
	v_add_nc_u32_e32 v0, -4, v0
	s_add_co_i32 s96, s96, 4
	s_delay_alu instid0(SALU_CYCLE_1)
	s_cmp_eq_u32 s96, 32
	s_barrier_signal -1
	s_barrier_wait -1
	s_cbranch_scc1 .LBB67_540
.LBB67_524:                             ;   Parent Loop BB67_3 Depth=1
                                        ; =>  This Inner Loop Header: Depth=2
	s_delay_alu instid0(VALU_DEP_1) | instskip(SKIP_1) | instid1(SALU_CYCLE_1)
	v_cmp_eq_u32_e32 vcc_lo, 0, v0
	s_and_b32 s97, s7, vcc_lo
	s_and_saveexec_b32 s8, s97
; %bb.525:                              ;   in Loop: Header=BB67_524 Depth=2
	ds_store_b64 v69, v[40:41]
; %bb.526:                              ;   in Loop: Header=BB67_524 Depth=2
	s_or_b32 exec_lo, exec_lo, s8
	v_cmp_lt_u32_e32 vcc_lo, s96, v65
	s_wait_dscnt 0x0
	s_barrier_signal -1
	s_barrier_wait -1
	s_and_b32 s97, s7, vcc_lo
	s_delay_alu instid0(SALU_CYCLE_1)
	s_and_saveexec_b32 s8, s97
	s_cbranch_execz .LBB67_528
; %bb.527:                              ;   in Loop: Header=BB67_524 Depth=2
	ds_load_b64 v[44:45], v42
	ds_load_b64 v[80:81], v69
	s_wait_dscnt 0x0
	v_pk_mul_f32 v[82:83], v[80:81], v[44:45] op_sel:[1,1] op_sel_hi:[0,1]
	s_delay_alu instid0(VALU_DEP_1) | instskip(SKIP_1) | instid1(VALU_DEP_2)
	v_pk_fma_f32 v[84:85], v[80:81], v[44:45], v[82:83] op_sel_hi:[1,0,1]
	v_pk_fma_f32 v[44:45], v[80:81], v[44:45], v[82:83] neg_lo:[0,0,1] neg_hi:[0,0,1]
	v_mov_b32_e32 v45, v85
	s_delay_alu instid0(VALU_DEP_1)
	v_pk_add_f32 v[40:41], v[40:41], v[44:45]
.LBB67_528:                             ;   in Loop: Header=BB67_524 Depth=2
	s_or_b32 exec_lo, exec_lo, s8
	s_or_b32 s8, s96, 1
	s_delay_alu instid0(SALU_CYCLE_1) | instskip(SKIP_3) | instid1(SALU_CYCLE_1)
	v_cmp_eq_u32_e32 vcc_lo, s8, v65
	s_barrier_signal -1
	s_barrier_wait -1
	s_and_b32 s98, s7, vcc_lo
	s_and_saveexec_b32 s97, s98
; %bb.529:                              ;   in Loop: Header=BB67_524 Depth=2
	ds_store_b64 v69, v[40:41]
; %bb.530:                              ;   in Loop: Header=BB67_524 Depth=2
	s_or_b32 exec_lo, exec_lo, s97
	v_cmp_lt_u32_e32 vcc_lo, s8, v65
	s_wait_dscnt 0x0
	s_barrier_signal -1
	s_barrier_wait -1
	s_and_b32 s97, s7, vcc_lo
	s_delay_alu instid0(SALU_CYCLE_1)
	s_and_saveexec_b32 s8, s97
	s_cbranch_execz .LBB67_532
; %bb.531:                              ;   in Loop: Header=BB67_524 Depth=2
	ds_load_b64 v[44:45], v42 offset:512
	ds_load_b64 v[80:81], v69
	s_wait_dscnt 0x0
	v_pk_mul_f32 v[82:83], v[80:81], v[44:45] op_sel:[1,1] op_sel_hi:[0,1]
	s_delay_alu instid0(VALU_DEP_1) | instskip(SKIP_1) | instid1(VALU_DEP_2)
	v_pk_fma_f32 v[84:85], v[80:81], v[44:45], v[82:83] op_sel_hi:[1,0,1]
	v_pk_fma_f32 v[44:45], v[80:81], v[44:45], v[82:83] neg_lo:[0,0,1] neg_hi:[0,0,1]
	v_mov_b32_e32 v45, v85
	s_delay_alu instid0(VALU_DEP_1)
	v_pk_add_f32 v[40:41], v[40:41], v[44:45]
.LBB67_532:                             ;   in Loop: Header=BB67_524 Depth=2
	s_or_b32 exec_lo, exec_lo, s8
	s_or_b32 s8, s96, 2
	s_delay_alu instid0(SALU_CYCLE_1) | instskip(SKIP_3) | instid1(SALU_CYCLE_1)
	v_cmp_eq_u32_e32 vcc_lo, s8, v65
	s_barrier_signal -1
	s_barrier_wait -1
	s_and_b32 s98, s7, vcc_lo
	s_and_saveexec_b32 s97, s98
; %bb.533:                              ;   in Loop: Header=BB67_524 Depth=2
	ds_store_b64 v69, v[40:41]
; %bb.534:                              ;   in Loop: Header=BB67_524 Depth=2
	s_or_b32 exec_lo, exec_lo, s97
	v_cmp_lt_u32_e32 vcc_lo, s8, v65
	s_wait_dscnt 0x0
	s_barrier_signal -1
	s_barrier_wait -1
	s_and_b32 s97, s7, vcc_lo
	s_delay_alu instid0(SALU_CYCLE_1)
	s_and_saveexec_b32 s8, s97
	s_cbranch_execz .LBB67_536
; %bb.535:                              ;   in Loop: Header=BB67_524 Depth=2
	ds_load_b64 v[44:45], v42 offset:1024
	ds_load_b64 v[80:81], v69
	s_wait_dscnt 0x0
	v_pk_mul_f32 v[82:83], v[80:81], v[44:45] op_sel:[1,1] op_sel_hi:[0,1]
	s_delay_alu instid0(VALU_DEP_1) | instskip(SKIP_1) | instid1(VALU_DEP_2)
	v_pk_fma_f32 v[84:85], v[80:81], v[44:45], v[82:83] op_sel_hi:[1,0,1]
	v_pk_fma_f32 v[44:45], v[80:81], v[44:45], v[82:83] neg_lo:[0,0,1] neg_hi:[0,0,1]
	v_mov_b32_e32 v45, v85
	s_delay_alu instid0(VALU_DEP_1)
	v_pk_add_f32 v[40:41], v[40:41], v[44:45]
.LBB67_536:                             ;   in Loop: Header=BB67_524 Depth=2
	s_or_b32 exec_lo, exec_lo, s8
	s_or_b32 s8, s96, 3
	s_delay_alu instid0(SALU_CYCLE_1) | instskip(SKIP_3) | instid1(SALU_CYCLE_1)
	v_cmp_eq_u32_e32 vcc_lo, s8, v65
	s_barrier_signal -1
	s_barrier_wait -1
	s_and_b32 s98, s7, vcc_lo
	s_and_saveexec_b32 s97, s98
; %bb.537:                              ;   in Loop: Header=BB67_524 Depth=2
	ds_store_b64 v69, v[40:41]
; %bb.538:                              ;   in Loop: Header=BB67_524 Depth=2
	s_or_b32 exec_lo, exec_lo, s97
	v_cmp_lt_u32_e32 vcc_lo, s8, v65
	s_wait_dscnt 0x0
	s_barrier_signal -1
	s_barrier_wait -1
	s_and_b32 s97, s7, vcc_lo
	s_delay_alu instid0(SALU_CYCLE_1)
	s_and_saveexec_b32 s8, s97
	s_cbranch_execz .LBB67_523
; %bb.539:                              ;   in Loop: Header=BB67_524 Depth=2
	ds_load_b64 v[44:45], v42 offset:1536
	ds_load_b64 v[80:81], v69
	s_wait_dscnt 0x0
	v_pk_mul_f32 v[82:83], v[80:81], v[44:45] op_sel:[1,1] op_sel_hi:[0,1]
	s_delay_alu instid0(VALU_DEP_1) | instskip(SKIP_1) | instid1(VALU_DEP_2)
	v_pk_fma_f32 v[84:85], v[80:81], v[44:45], v[82:83] op_sel_hi:[1,0,1]
	v_pk_fma_f32 v[44:45], v[80:81], v[44:45], v[82:83] neg_lo:[0,0,1] neg_hi:[0,0,1]
	v_mov_b32_e32 v45, v85
	s_delay_alu instid0(VALU_DEP_1)
	v_pk_add_f32 v[40:41], v[40:41], v[44:45]
	s_branch .LBB67_523
.LBB67_540:                             ;   in Loop: Header=BB67_3 Depth=1
	s_and_saveexec_b32 s8, s30
; %bb.541:                              ;   in Loop: Header=BB67_3 Depth=1
	v_pk_add_f32 v[40:41], v[40:41], 0 neg_lo:[1,1] neg_hi:[1,1]
	ds_store_b64 v70, v[40:41] offset:256
; %bb.542:                              ;   in Loop: Header=BB67_3 Depth=1
	s_or_b32 exec_lo, exec_lo, s8
	s_wait_dscnt 0x0
	s_barrier_signal -1
	s_barrier_wait -1
	s_barrier_signal -1
	s_barrier_wait -1
	s_and_saveexec_b32 s8, s10
; %bb.543:                              ;   in Loop: Header=BB67_3 Depth=1
	v_add_nc_u32_e64 v0, 0x4000, 0
	ds_store_2addr_b64 v0, v[38:39], v[38:39] offset0:32 offset1:97
; %bb.544:                              ;   in Loop: Header=BB67_3 Depth=1
	s_or_b32 exec_lo, exec_lo, s8
	v_mov_b64_e32 v[40:41], 0
	s_wait_dscnt 0x0
	s_barrier_signal -1
	s_barrier_wait -1
	s_and_saveexec_b32 s96, s1
	s_cbranch_execz .LBB67_548
; %bb.545:                              ;   in Loop: Header=BB67_3 Depth=1
	ds_load_b64 v[40:41], v47 offset:16656
	ds_load_b64 v[42:43], v48 offset:16640
	s_wait_dscnt 0x0
	v_pk_mul_f32 v[44:45], v[42:43], v[40:41] op_sel:[1,1] op_sel_hi:[0,1]
	s_delay_alu instid0(VALU_DEP_1) | instskip(SKIP_1) | instid1(VALU_DEP_2)
	v_pk_fma_f32 v[80:81], v[42:43], v[40:41], v[44:45] op_sel_hi:[1,0,1]
	v_pk_fma_f32 v[40:41], v[42:43], v[40:41], v[44:45] neg_lo:[0,0,1] neg_hi:[0,0,1]
	v_mov_b32_e32 v41, v81
	s_delay_alu instid0(VALU_DEP_1)
	v_pk_add_f32 v[40:41], v[40:41], 0 op_sel_hi:[1,0]
	s_and_saveexec_b32 s8, s11
	s_cbranch_execz .LBB67_547
; %bb.546:                              ;   in Loop: Header=BB67_3 Depth=1
	ds_load_b64 v[42:43], v49 offset:17168
	ds_load_b64 v[44:45], v1 offset:16648
	s_wait_dscnt 0x0
	v_pk_mul_f32 v[80:81], v[44:45], v[42:43] op_sel:[1,1] op_sel_hi:[0,1]
	s_delay_alu instid0(VALU_DEP_1) | instskip(SKIP_1) | instid1(VALU_DEP_2)
	v_pk_fma_f32 v[82:83], v[44:45], v[42:43], v[80:81] op_sel_hi:[1,0,1]
	v_pk_fma_f32 v[42:43], v[44:45], v[42:43], v[80:81] neg_lo:[0,0,1] neg_hi:[0,0,1]
	v_mov_b32_e32 v43, v83
	s_delay_alu instid0(VALU_DEP_1)
	v_pk_add_f32 v[40:41], v[40:41], v[42:43]
.LBB67_547:                             ;   in Loop: Header=BB67_3 Depth=1
	s_or_b32 exec_lo, exec_lo, s8
	s_delay_alu instid0(VALU_DEP_1)
	v_pk_add_f32 v[40:41], v[40:41], 0 neg_lo:[1,1] neg_hi:[1,1]
.LBB67_548:                             ;   in Loop: Header=BB67_3 Depth=1
	s_or_b32 exec_lo, exec_lo, s96
	s_and_saveexec_b32 s8, s43
; %bb.549:                              ;   in Loop: Header=BB67_3 Depth=1
	ds_store_b64 v46, v[40:41]
; %bb.550:                              ;   in Loop: Header=BB67_3 Depth=1
	s_or_b32 exec_lo, exec_lo, s8
	s_wait_dscnt 0x0
	s_barrier_signal -1
	s_barrier_wait -1
	s_and_saveexec_b32 s8, s44
	s_cbranch_execz .LBB67_552
; %bb.551:                              ;   in Loop: Header=BB67_3 Depth=1
	ds_load_b64 v[42:43], v1 offset:17688
	ds_load_b64 v[44:45], v46
	s_wait_dscnt 0x0
	v_pk_mul_f32 v[80:81], v[44:45], v[42:43] op_sel:[1,1] op_sel_hi:[0,1]
	s_delay_alu instid0(VALU_DEP_1) | instskip(SKIP_1) | instid1(VALU_DEP_2)
	v_pk_fma_f32 v[82:83], v[44:45], v[42:43], v[80:81] op_sel_hi:[1,0,1]
	v_pk_fma_f32 v[42:43], v[44:45], v[42:43], v[80:81] neg_lo:[0,0,1] neg_hi:[0,0,1]
	v_mov_b32_e32 v43, v83
	s_delay_alu instid0(VALU_DEP_1)
	v_pk_add_f32 v[40:41], v[40:41], v[42:43]
.LBB67_552:                             ;   in Loop: Header=BB67_3 Depth=1
	s_or_b32 exec_lo, exec_lo, s8
	s_barrier_signal -1
	s_barrier_wait -1
	s_and_saveexec_b32 s8, s44
; %bb.553:                              ;   in Loop: Header=BB67_3 Depth=1
	ds_store_b64 v46, v[40:41]
; %bb.554:                              ;   in Loop: Header=BB67_3 Depth=1
	s_or_b32 exec_lo, exec_lo, s8
	s_wait_dscnt 0x0
	s_barrier_signal -1
	s_barrier_wait -1
	s_barrier_signal -1
	s_barrier_wait -1
	s_and_saveexec_b32 s8, s1
; %bb.555:                              ;   in Loop: Header=BB67_3 Depth=1
	v_pk_add_f32 v[40:41], v[40:41], 0 neg_lo:[1,1] neg_hi:[1,1]
	ds_store_b64 v47, v[40:41] offset:16656
; %bb.556:                              ;   in Loop: Header=BB67_3 Depth=1
	s_or_b32 exec_lo, exec_lo, s8
	s_wait_dscnt 0x0
	s_barrier_signal -1
	s_barrier_wait -1
	s_barrier_signal -1
	s_barrier_wait -1
	s_and_saveexec_b32 s8, s10
; %bb.557:                              ;   in Loop: Header=BB67_3 Depth=1
	v_add_nc_u32_e64 v0, 0x4000, 0
	ds_store_2addr_b64 v0, v[38:39], v[38:39] offset0:162 offset1:227
; %bb.558:                              ;   in Loop: Header=BB67_3 Depth=1
	s_or_b32 exec_lo, exec_lo, s8
	v_mov_b64_e32 v[40:41], 0
	s_wait_dscnt 0x0
	s_barrier_signal -1
	s_barrier_wait -1
	s_and_saveexec_b32 s96, s2
	s_cbranch_execz .LBB67_564
; %bb.559:                              ;   in Loop: Header=BB67_3 Depth=1
	ds_load_b64 v[40:41], v53 offset:16672
	ds_load_b64 v[42:43], v51 offset:16640
	s_wait_dscnt 0x0
	v_dual_mul_f32 v0, v43, v41 :: v_dual_mul_f32 v41, v42, v41
	s_delay_alu instid0(VALU_DEP_1) | instskip(NEXT) | instid1(VALU_DEP_1)
	v_dual_fma_f32 v0, v42, v40, -v0 :: v_dual_fmac_f32 v41, v43, v40
	v_dual_add_f32 v40, 0, v0 :: v_dual_add_f32 v41, 0, v41
	s_and_saveexec_b32 s8, s12
	s_cbranch_execnz .LBB67_1026
; %bb.560:                              ;   in Loop: Header=BB67_3 Depth=1
	s_or_b32 exec_lo, exec_lo, s8
	s_and_saveexec_b32 s8, s13
	s_cbranch_execnz .LBB67_1027
.LBB67_561:                             ;   in Loop: Header=BB67_3 Depth=1
	s_or_b32 exec_lo, exec_lo, s8
	s_and_saveexec_b32 s8, s1
	s_cbranch_execz .LBB67_563
.LBB67_562:                             ;   in Loop: Header=BB67_3 Depth=1
	ds_load_b64 v[42:43], v49 offset:18208
	ds_load_b64 v[44:45], v1 offset:16664
	s_wait_dscnt 0x0
	v_dual_mul_f32 v0, v45, v43 :: v_dual_mul_f32 v81, v44, v43
	s_delay_alu instid0(VALU_DEP_1) | instskip(NEXT) | instid1(VALU_DEP_1)
	v_dual_fma_f32 v80, v44, v42, -v0 :: v_dual_fmac_f32 v81, v45, v42
	v_pk_add_f32 v[40:41], v[40:41], v[80:81]
.LBB67_563:                             ;   in Loop: Header=BB67_3 Depth=1
	s_or_b32 exec_lo, exec_lo, s8
	s_delay_alu instid0(VALU_DEP_1)
	v_pk_add_f32 v[40:41], v[40:41], 0 neg_lo:[1,1] neg_hi:[1,1]
.LBB67_564:                             ;   in Loop: Header=BB67_3 Depth=1
	s_or_b32 exec_lo, exec_lo, s96
	s_and_saveexec_b32 s8, s45
; %bb.565:                              ;   in Loop: Header=BB67_3 Depth=1
	ds_store_b64 v52, v[40:41]
; %bb.566:                              ;   in Loop: Header=BB67_3 Depth=1
	s_or_b32 exec_lo, exec_lo, s8
	s_wait_dscnt 0x0
	s_barrier_signal -1
	s_barrier_wait -1
	s_and_saveexec_b32 s8, s46
	s_cbranch_execz .LBB67_568
; %bb.567:                              ;   in Loop: Header=BB67_3 Depth=1
	ds_load_b64 v[42:43], v50 offset:18720
	ds_load_b64 v[44:45], v52
	s_wait_dscnt 0x0
	v_pk_mul_f32 v[80:81], v[44:45], v[42:43] op_sel:[1,1] op_sel_hi:[0,1]
	s_delay_alu instid0(VALU_DEP_1) | instskip(SKIP_1) | instid1(VALU_DEP_2)
	v_pk_fma_f32 v[82:83], v[44:45], v[42:43], v[80:81] op_sel_hi:[1,0,1]
	v_pk_fma_f32 v[42:43], v[44:45], v[42:43], v[80:81] neg_lo:[0,0,1] neg_hi:[0,0,1]
	v_mov_b32_e32 v43, v83
	s_delay_alu instid0(VALU_DEP_1)
	v_pk_add_f32 v[40:41], v[40:41], v[42:43]
.LBB67_568:                             ;   in Loop: Header=BB67_3 Depth=1
	s_or_b32 exec_lo, exec_lo, s8
	s_barrier_signal -1
	s_barrier_wait -1
	s_and_saveexec_b32 s8, s47
; %bb.569:                              ;   in Loop: Header=BB67_3 Depth=1
	ds_store_b64 v52, v[40:41]
; %bb.570:                              ;   in Loop: Header=BB67_3 Depth=1
	s_or_b32 exec_lo, exec_lo, s8
	s_wait_dscnt 0x0
	s_barrier_signal -1
	s_barrier_wait -1
	s_and_saveexec_b32 s8, s48
	s_cbranch_execz .LBB67_572
; %bb.571:                              ;   in Loop: Header=BB67_3 Depth=1
	ds_load_b64 v[42:43], v50 offset:19232
	ds_load_b64 v[44:45], v52
	s_wait_dscnt 0x0
	v_pk_mul_f32 v[80:81], v[44:45], v[42:43] op_sel:[1,1] op_sel_hi:[0,1]
	s_delay_alu instid0(VALU_DEP_1) | instskip(SKIP_1) | instid1(VALU_DEP_2)
	v_pk_fma_f32 v[82:83], v[44:45], v[42:43], v[80:81] op_sel_hi:[1,0,1]
	v_pk_fma_f32 v[42:43], v[44:45], v[42:43], v[80:81] neg_lo:[0,0,1] neg_hi:[0,0,1]
	v_mov_b32_e32 v43, v83
	s_delay_alu instid0(VALU_DEP_1)
	v_pk_add_f32 v[40:41], v[40:41], v[42:43]
.LBB67_572:                             ;   in Loop: Header=BB67_3 Depth=1
	s_or_b32 exec_lo, exec_lo, s8
	s_barrier_signal -1
	s_barrier_wait -1
	;; [unrolled: 25-line block ×3, first 2 shown]
	s_and_saveexec_b32 s8, s50
; %bb.577:                              ;   in Loop: Header=BB67_3 Depth=1
	ds_store_b64 v52, v[40:41]
; %bb.578:                              ;   in Loop: Header=BB67_3 Depth=1
	s_or_b32 exec_lo, exec_lo, s8
	s_wait_dscnt 0x0
	s_barrier_signal -1
	s_barrier_wait -1
	s_barrier_signal -1
	s_barrier_wait -1
	s_and_saveexec_b32 s8, s2
; %bb.579:                              ;   in Loop: Header=BB67_3 Depth=1
	v_pk_add_f32 v[40:41], v[40:41], 0 neg_lo:[1,1] neg_hi:[1,1]
	ds_store_b64 v53, v[40:41] offset:16672
; %bb.580:                              ;   in Loop: Header=BB67_3 Depth=1
	s_or_b32 exec_lo, exec_lo, s8
	s_wait_dscnt 0x0
	s_barrier_signal -1
	s_barrier_wait -1
	s_barrier_signal -1
	s_barrier_wait -1
	s_and_saveexec_b32 s8, s10
; %bb.581:                              ;   in Loop: Header=BB67_3 Depth=1
	v_add_nc_u32_e64 v0, 0x4800, 0
	ds_store_2addr_b64 v0, v[38:39], v[38:39] offset0:36 offset1:101
; %bb.582:                              ;   in Loop: Header=BB67_3 Depth=1
	s_or_b32 exec_lo, exec_lo, s8
	v_mov_b64_e32 v[40:41], 0
	s_wait_dscnt 0x0
	s_barrier_signal -1
	s_barrier_wait -1
	s_and_saveexec_b32 s96, s1
	s_cbranch_execz .LBB67_586
; %bb.583:                              ;   in Loop: Header=BB67_3 Depth=1
	ds_load_b64 v[40:41], v47 offset:18736
	ds_load_b64 v[42:43], v48 offset:18720
	s_wait_dscnt 0x0
	v_pk_mul_f32 v[44:45], v[42:43], v[40:41] op_sel:[1,1] op_sel_hi:[0,1]
	s_delay_alu instid0(VALU_DEP_1) | instskip(SKIP_1) | instid1(VALU_DEP_2)
	v_pk_fma_f32 v[80:81], v[42:43], v[40:41], v[44:45] op_sel_hi:[1,0,1]
	v_pk_fma_f32 v[40:41], v[42:43], v[40:41], v[44:45] neg_lo:[0,0,1] neg_hi:[0,0,1]
	v_mov_b32_e32 v41, v81
	s_delay_alu instid0(VALU_DEP_1)
	v_pk_add_f32 v[40:41], v[40:41], 0 op_sel_hi:[1,0]
	s_and_saveexec_b32 s8, s11
	s_cbranch_execz .LBB67_585
; %bb.584:                              ;   in Loop: Header=BB67_3 Depth=1
	ds_load_b64 v[42:43], v49 offset:19248
	ds_load_b64 v[44:45], v1 offset:18728
	s_wait_dscnt 0x0
	v_pk_mul_f32 v[80:81], v[44:45], v[42:43] op_sel:[1,1] op_sel_hi:[0,1]
	s_delay_alu instid0(VALU_DEP_1) | instskip(SKIP_1) | instid1(VALU_DEP_2)
	v_pk_fma_f32 v[82:83], v[44:45], v[42:43], v[80:81] op_sel_hi:[1,0,1]
	v_pk_fma_f32 v[42:43], v[44:45], v[42:43], v[80:81] neg_lo:[0,0,1] neg_hi:[0,0,1]
	v_mov_b32_e32 v43, v83
	s_delay_alu instid0(VALU_DEP_1)
	v_pk_add_f32 v[40:41], v[40:41], v[42:43]
.LBB67_585:                             ;   in Loop: Header=BB67_3 Depth=1
	s_or_b32 exec_lo, exec_lo, s8
	s_delay_alu instid0(VALU_DEP_1)
	v_pk_add_f32 v[40:41], v[40:41], 0 neg_lo:[1,1] neg_hi:[1,1]
.LBB67_586:                             ;   in Loop: Header=BB67_3 Depth=1
	s_or_b32 exec_lo, exec_lo, s96
	s_and_saveexec_b32 s8, s43
; %bb.587:                              ;   in Loop: Header=BB67_3 Depth=1
	ds_store_b64 v46, v[40:41]
; %bb.588:                              ;   in Loop: Header=BB67_3 Depth=1
	s_or_b32 exec_lo, exec_lo, s8
	s_wait_dscnt 0x0
	s_barrier_signal -1
	s_barrier_wait -1
	s_and_saveexec_b32 s8, s44
	s_cbranch_execz .LBB67_590
; %bb.589:                              ;   in Loop: Header=BB67_3 Depth=1
	ds_load_b64 v[42:43], v1 offset:19768
	ds_load_b64 v[44:45], v46
	s_wait_dscnt 0x0
	v_pk_mul_f32 v[80:81], v[44:45], v[42:43] op_sel:[1,1] op_sel_hi:[0,1]
	s_delay_alu instid0(VALU_DEP_1) | instskip(SKIP_1) | instid1(VALU_DEP_2)
	v_pk_fma_f32 v[82:83], v[44:45], v[42:43], v[80:81] op_sel_hi:[1,0,1]
	v_pk_fma_f32 v[42:43], v[44:45], v[42:43], v[80:81] neg_lo:[0,0,1] neg_hi:[0,0,1]
	v_mov_b32_e32 v43, v83
	s_delay_alu instid0(VALU_DEP_1)
	v_pk_add_f32 v[40:41], v[40:41], v[42:43]
.LBB67_590:                             ;   in Loop: Header=BB67_3 Depth=1
	s_or_b32 exec_lo, exec_lo, s8
	s_barrier_signal -1
	s_barrier_wait -1
	s_and_saveexec_b32 s8, s44
; %bb.591:                              ;   in Loop: Header=BB67_3 Depth=1
	ds_store_b64 v46, v[40:41]
; %bb.592:                              ;   in Loop: Header=BB67_3 Depth=1
	s_or_b32 exec_lo, exec_lo, s8
	s_wait_dscnt 0x0
	s_barrier_signal -1
	s_barrier_wait -1
	s_barrier_signal -1
	s_barrier_wait -1
	s_and_saveexec_b32 s8, s1
; %bb.593:                              ;   in Loop: Header=BB67_3 Depth=1
	v_pk_add_f32 v[40:41], v[40:41], 0 neg_lo:[1,1] neg_hi:[1,1]
	ds_store_b64 v47, v[40:41] offset:18736
; %bb.594:                              ;   in Loop: Header=BB67_3 Depth=1
	s_or_b32 exec_lo, exec_lo, s8
	s_wait_dscnt 0x0
	s_barrier_signal -1
	s_barrier_wait -1
	s_barrier_signal -1
	s_barrier_wait -1
	s_and_saveexec_b32 s8, s10
; %bb.595:                              ;   in Loop: Header=BB67_3 Depth=1
	v_add_nc_u32_e64 v0, 0x4800, 0
	ds_store_2addr_b64 v0, v[38:39], v[38:39] offset0:166 offset1:231
; %bb.596:                              ;   in Loop: Header=BB67_3 Depth=1
	s_or_b32 exec_lo, exec_lo, s8
	v_mov_b64_e32 v[40:41], 0
	s_wait_dscnt 0x0
	s_barrier_signal -1
	s_barrier_wait -1
	s_and_saveexec_b32 s96, s3
	s_cbranch_execz .LBB67_606
; %bb.597:                              ;   in Loop: Header=BB67_3 Depth=1
	ds_load_b64 v[40:41], v58 offset:16704
	ds_load_b64 v[42:43], v55 offset:16640
	s_wait_dscnt 0x0
	v_dual_mul_f32 v0, v43, v41 :: v_dual_mul_f32 v41, v42, v41
	s_delay_alu instid0(VALU_DEP_1) | instskip(NEXT) | instid1(VALU_DEP_1)
	v_dual_fma_f32 v0, v42, v40, -v0 :: v_dual_fmac_f32 v41, v43, v40
	v_dual_add_f32 v40, 0, v0 :: v_dual_add_f32 v41, 0, v41
	s_and_saveexec_b32 s8, s14
	s_cbranch_execnz .LBB67_1028
; %bb.598:                              ;   in Loop: Header=BB67_3 Depth=1
	s_or_b32 exec_lo, exec_lo, s8
	s_and_saveexec_b32 s8, s15
	s_cbranch_execnz .LBB67_1029
.LBB67_599:                             ;   in Loop: Header=BB67_3 Depth=1
	s_or_b32 exec_lo, exec_lo, s8
	s_and_saveexec_b32 s8, s16
	s_cbranch_execnz .LBB67_1030
.LBB67_600:                             ;   in Loop: Header=BB67_3 Depth=1
	s_or_b32 exec_lo, exec_lo, s8
	s_and_saveexec_b32 s8, s17
	s_cbranch_execnz .LBB67_1031
.LBB67_601:                             ;   in Loop: Header=BB67_3 Depth=1
	s_or_b32 exec_lo, exec_lo, s8
	s_and_saveexec_b32 s8, s18
	s_cbranch_execnz .LBB67_1032
.LBB67_602:                             ;   in Loop: Header=BB67_3 Depth=1
	s_or_b32 exec_lo, exec_lo, s8
	s_and_saveexec_b32 s8, s2
	s_cbranch_execnz .LBB67_1033
.LBB67_603:                             ;   in Loop: Header=BB67_3 Depth=1
	s_or_b32 exec_lo, exec_lo, s8
	s_and_saveexec_b32 s8, s13
	s_cbranch_execz .LBB67_605
.LBB67_604:                             ;   in Loop: Header=BB67_3 Depth=1
	ds_load_b64 v[42:43], v49 offset:20288
	ds_load_b64 v[44:45], v1 offset:16696
	s_wait_dscnt 0x0
	v_pk_mul_f32 v[80:81], v[44:45], v[42:43] op_sel:[1,1] op_sel_hi:[0,1]
	s_delay_alu instid0(VALU_DEP_1) | instskip(SKIP_1) | instid1(VALU_DEP_2)
	v_pk_fma_f32 v[82:83], v[44:45], v[42:43], v[80:81] op_sel_hi:[1,0,1]
	v_pk_fma_f32 v[42:43], v[44:45], v[42:43], v[80:81] neg_lo:[0,0,1] neg_hi:[0,0,1]
	v_mov_b32_e32 v43, v83
	s_delay_alu instid0(VALU_DEP_1)
	v_pk_add_f32 v[40:41], v[40:41], v[42:43]
.LBB67_605:                             ;   in Loop: Header=BB67_3 Depth=1
	s_or_b32 exec_lo, exec_lo, s8
	s_delay_alu instid0(VALU_DEP_1)
	v_pk_add_f32 v[40:41], v[40:41], 0 neg_lo:[1,1] neg_hi:[1,1]
.LBB67_606:                             ;   in Loop: Header=BB67_3 Depth=1
	s_or_b32 exec_lo, exec_lo, s96
	s_and_saveexec_b32 s8, s51
; %bb.607:                              ;   in Loop: Header=BB67_3 Depth=1
	ds_store_b64 v57, v[40:41]
; %bb.608:                              ;   in Loop: Header=BB67_3 Depth=1
	s_or_b32 exec_lo, exec_lo, s8
	s_wait_dscnt 0x0
	s_barrier_signal -1
	s_barrier_wait -1
	s_and_saveexec_b32 s8, s52
	s_cbranch_execz .LBB67_610
; %bb.609:                              ;   in Loop: Header=BB67_3 Depth=1
	ds_load_b64 v[42:43], v56 offset:20800
	ds_load_b64 v[44:45], v57
	s_wait_dscnt 0x0
	v_pk_mul_f32 v[80:81], v[44:45], v[42:43] op_sel:[1,1] op_sel_hi:[0,1]
	s_delay_alu instid0(VALU_DEP_1) | instskip(SKIP_1) | instid1(VALU_DEP_2)
	v_pk_fma_f32 v[82:83], v[44:45], v[42:43], v[80:81] op_sel_hi:[1,0,1]
	v_pk_fma_f32 v[42:43], v[44:45], v[42:43], v[80:81] neg_lo:[0,0,1] neg_hi:[0,0,1]
	v_mov_b32_e32 v43, v83
	s_delay_alu instid0(VALU_DEP_1)
	v_pk_add_f32 v[40:41], v[40:41], v[42:43]
.LBB67_610:                             ;   in Loop: Header=BB67_3 Depth=1
	s_or_b32 exec_lo, exec_lo, s8
	s_barrier_signal -1
	s_barrier_wait -1
	s_and_saveexec_b32 s8, s53
; %bb.611:                              ;   in Loop: Header=BB67_3 Depth=1
	ds_store_b64 v57, v[40:41]
; %bb.612:                              ;   in Loop: Header=BB67_3 Depth=1
	s_or_b32 exec_lo, exec_lo, s8
	s_wait_dscnt 0x0
	s_barrier_signal -1
	s_barrier_wait -1
	s_and_saveexec_b32 s8, s54
	s_cbranch_execz .LBB67_614
; %bb.613:                              ;   in Loop: Header=BB67_3 Depth=1
	ds_load_b64 v[42:43], v56 offset:21312
	ds_load_b64 v[44:45], v57
	s_wait_dscnt 0x0
	v_dual_mul_f32 v0, v45, v43 :: v_dual_mul_f32 v43, v44, v43
	s_delay_alu instid0(VALU_DEP_1) | instskip(NEXT) | instid1(VALU_DEP_1)
	v_dual_fma_f32 v0, v44, v42, -v0 :: v_dual_fmac_f32 v43, v45, v42
	v_dual_add_f32 v40, v40, v0 :: v_dual_add_f32 v41, v41, v43
.LBB67_614:                             ;   in Loop: Header=BB67_3 Depth=1
	s_or_b32 exec_lo, exec_lo, s8
	s_barrier_signal -1
	s_barrier_wait -1
	s_and_saveexec_b32 s8, s55
; %bb.615:                              ;   in Loop: Header=BB67_3 Depth=1
	ds_store_b64 v57, v[40:41]
; %bb.616:                              ;   in Loop: Header=BB67_3 Depth=1
	s_or_b32 exec_lo, exec_lo, s8
	s_wait_dscnt 0x0
	s_barrier_signal -1
	s_barrier_wait -1
	s_and_saveexec_b32 s8, s56
	s_cbranch_execz .LBB67_618
; %bb.617:                              ;   in Loop: Header=BB67_3 Depth=1
	ds_load_b64 v[42:43], v56 offset:21824
	ds_load_b64 v[44:45], v57
	s_wait_dscnt 0x0
	v_dual_mul_f32 v0, v45, v43 :: v_dual_mul_f32 v81, v44, v43
	s_delay_alu instid0(VALU_DEP_1) | instskip(NEXT) | instid1(VALU_DEP_1)
	v_dual_fma_f32 v80, v44, v42, -v0 :: v_dual_fmac_f32 v81, v45, v42
	v_pk_add_f32 v[40:41], v[40:41], v[80:81]
.LBB67_618:                             ;   in Loop: Header=BB67_3 Depth=1
	s_or_b32 exec_lo, exec_lo, s8
	s_barrier_signal -1
	s_barrier_wait -1
	s_and_saveexec_b32 s8, s57
; %bb.619:                              ;   in Loop: Header=BB67_3 Depth=1
	ds_store_b64 v57, v[40:41]
; %bb.620:                              ;   in Loop: Header=BB67_3 Depth=1
	s_or_b32 exec_lo, exec_lo, s8
	s_wait_dscnt 0x0
	s_barrier_signal -1
	s_barrier_wait -1
	s_and_saveexec_b32 s8, s58
	s_cbranch_execz .LBB67_622
; %bb.621:                              ;   in Loop: Header=BB67_3 Depth=1
	ds_load_b64 v[42:43], v56 offset:22336
	ds_load_b64 v[44:45], v57
	s_wait_dscnt 0x0
	v_pk_mul_f32 v[80:81], v[44:45], v[42:43] op_sel:[1,1] op_sel_hi:[0,1]
	s_delay_alu instid0(VALU_DEP_1) | instskip(SKIP_1) | instid1(VALU_DEP_2)
	v_pk_fma_f32 v[82:83], v[44:45], v[42:43], v[80:81] op_sel_hi:[1,0,1]
	v_pk_fma_f32 v[42:43], v[44:45], v[42:43], v[80:81] neg_lo:[0,0,1] neg_hi:[0,0,1]
	v_mov_b32_e32 v43, v83
	s_delay_alu instid0(VALU_DEP_1)
	v_pk_add_f32 v[40:41], v[40:41], v[42:43]
.LBB67_622:                             ;   in Loop: Header=BB67_3 Depth=1
	s_or_b32 exec_lo, exec_lo, s8
	s_barrier_signal -1
	s_barrier_wait -1
	s_and_saveexec_b32 s8, s59
; %bb.623:                              ;   in Loop: Header=BB67_3 Depth=1
	ds_store_b64 v57, v[40:41]
; %bb.624:                              ;   in Loop: Header=BB67_3 Depth=1
	s_or_b32 exec_lo, exec_lo, s8
	s_wait_dscnt 0x0
	s_barrier_signal -1
	s_barrier_wait -1
	s_and_saveexec_b32 s8, s60
	s_cbranch_execz .LBB67_626
; %bb.625:                              ;   in Loop: Header=BB67_3 Depth=1
	ds_load_b64 v[42:43], v56 offset:22848
	ds_load_b64 v[44:45], v57
	s_wait_dscnt 0x0
	v_pk_mul_f32 v[80:81], v[44:45], v[42:43] op_sel:[1,1] op_sel_hi:[0,1]
	s_delay_alu instid0(VALU_DEP_1) | instskip(SKIP_1) | instid1(VALU_DEP_2)
	v_pk_fma_f32 v[82:83], v[44:45], v[42:43], v[80:81] op_sel_hi:[1,0,1]
	v_pk_fma_f32 v[42:43], v[44:45], v[42:43], v[80:81] neg_lo:[0,0,1] neg_hi:[0,0,1]
	v_mov_b32_e32 v43, v83
	s_delay_alu instid0(VALU_DEP_1)
	v_pk_add_f32 v[40:41], v[40:41], v[42:43]
.LBB67_626:                             ;   in Loop: Header=BB67_3 Depth=1
	;; [unrolled: 25-line block ×4, first 2 shown]
	s_or_b32 exec_lo, exec_lo, s8
	s_barrier_signal -1
	s_barrier_wait -1
	s_and_saveexec_b32 s8, s64
; %bb.635:                              ;   in Loop: Header=BB67_3 Depth=1
	ds_store_b64 v57, v[40:41]
; %bb.636:                              ;   in Loop: Header=BB67_3 Depth=1
	s_or_b32 exec_lo, exec_lo, s8
	s_wait_dscnt 0x0
	s_barrier_signal -1
	s_barrier_wait -1
	s_barrier_signal -1
	s_barrier_wait -1
	s_and_saveexec_b32 s8, s3
; %bb.637:                              ;   in Loop: Header=BB67_3 Depth=1
	v_pk_add_f32 v[40:41], v[40:41], 0 neg_lo:[1,1] neg_hi:[1,1]
	ds_store_b64 v58, v[40:41] offset:16704
; %bb.638:                              ;   in Loop: Header=BB67_3 Depth=1
	s_or_b32 exec_lo, exec_lo, s8
	s_wait_dscnt 0x0
	s_barrier_signal -1
	s_barrier_wait -1
	s_barrier_signal -1
	s_barrier_wait -1
	s_and_saveexec_b32 s8, s10
; %bb.639:                              ;   in Loop: Header=BB67_3 Depth=1
	v_add_nc_u32_e64 v0, 0x5000, 0
	ds_store_2addr_b64 v0, v[38:39], v[38:39] offset0:40 offset1:105
; %bb.640:                              ;   in Loop: Header=BB67_3 Depth=1
	s_or_b32 exec_lo, exec_lo, s8
	v_mov_b64_e32 v[40:41], 0
	s_wait_dscnt 0x0
	s_barrier_signal -1
	s_barrier_wait -1
	s_and_saveexec_b32 s96, s1
	s_cbranch_execz .LBB67_644
; %bb.641:                              ;   in Loop: Header=BB67_3 Depth=1
	ds_load_b64 v[40:41], v47 offset:20816
	ds_load_b64 v[42:43], v48 offset:20800
	s_wait_dscnt 0x0
	v_pk_mul_f32 v[44:45], v[42:43], v[40:41] op_sel:[1,1] op_sel_hi:[0,1]
	s_delay_alu instid0(VALU_DEP_1) | instskip(SKIP_1) | instid1(VALU_DEP_2)
	v_pk_fma_f32 v[80:81], v[42:43], v[40:41], v[44:45] op_sel_hi:[1,0,1]
	v_pk_fma_f32 v[40:41], v[42:43], v[40:41], v[44:45] neg_lo:[0,0,1] neg_hi:[0,0,1]
	v_mov_b32_e32 v41, v81
	s_delay_alu instid0(VALU_DEP_1)
	v_pk_add_f32 v[40:41], v[40:41], 0 op_sel_hi:[1,0]
	s_and_saveexec_b32 s8, s11
	s_cbranch_execz .LBB67_643
; %bb.642:                              ;   in Loop: Header=BB67_3 Depth=1
	ds_load_b64 v[42:43], v49 offset:21328
	ds_load_b64 v[44:45], v1 offset:20808
	s_wait_dscnt 0x0
	v_pk_mul_f32 v[80:81], v[44:45], v[42:43] op_sel:[1,1] op_sel_hi:[0,1]
	s_delay_alu instid0(VALU_DEP_1) | instskip(SKIP_1) | instid1(VALU_DEP_2)
	v_pk_fma_f32 v[82:83], v[44:45], v[42:43], v[80:81] op_sel_hi:[1,0,1]
	v_pk_fma_f32 v[42:43], v[44:45], v[42:43], v[80:81] neg_lo:[0,0,1] neg_hi:[0,0,1]
	v_mov_b32_e32 v43, v83
	s_delay_alu instid0(VALU_DEP_1)
	v_pk_add_f32 v[40:41], v[40:41], v[42:43]
.LBB67_643:                             ;   in Loop: Header=BB67_3 Depth=1
	s_or_b32 exec_lo, exec_lo, s8
	s_delay_alu instid0(VALU_DEP_1)
	v_pk_add_f32 v[40:41], v[40:41], 0 neg_lo:[1,1] neg_hi:[1,1]
.LBB67_644:                             ;   in Loop: Header=BB67_3 Depth=1
	s_or_b32 exec_lo, exec_lo, s96
	s_and_saveexec_b32 s8, s43
; %bb.645:                              ;   in Loop: Header=BB67_3 Depth=1
	ds_store_b64 v46, v[40:41]
; %bb.646:                              ;   in Loop: Header=BB67_3 Depth=1
	s_or_b32 exec_lo, exec_lo, s8
	s_wait_dscnt 0x0
	s_barrier_signal -1
	s_barrier_wait -1
	s_and_saveexec_b32 s8, s44
	s_cbranch_execz .LBB67_648
; %bb.647:                              ;   in Loop: Header=BB67_3 Depth=1
	ds_load_b64 v[42:43], v1 offset:21848
	ds_load_b64 v[44:45], v46
	s_wait_dscnt 0x0
	v_pk_mul_f32 v[80:81], v[44:45], v[42:43] op_sel:[1,1] op_sel_hi:[0,1]
	s_delay_alu instid0(VALU_DEP_1) | instskip(SKIP_1) | instid1(VALU_DEP_2)
	v_pk_fma_f32 v[82:83], v[44:45], v[42:43], v[80:81] op_sel_hi:[1,0,1]
	v_pk_fma_f32 v[42:43], v[44:45], v[42:43], v[80:81] neg_lo:[0,0,1] neg_hi:[0,0,1]
	v_mov_b32_e32 v43, v83
	s_delay_alu instid0(VALU_DEP_1)
	v_pk_add_f32 v[40:41], v[40:41], v[42:43]
.LBB67_648:                             ;   in Loop: Header=BB67_3 Depth=1
	s_or_b32 exec_lo, exec_lo, s8
	s_barrier_signal -1
	s_barrier_wait -1
	s_and_saveexec_b32 s8, s44
; %bb.649:                              ;   in Loop: Header=BB67_3 Depth=1
	ds_store_b64 v46, v[40:41]
; %bb.650:                              ;   in Loop: Header=BB67_3 Depth=1
	s_or_b32 exec_lo, exec_lo, s8
	s_wait_dscnt 0x0
	s_barrier_signal -1
	s_barrier_wait -1
	s_barrier_signal -1
	s_barrier_wait -1
	s_and_saveexec_b32 s8, s1
; %bb.651:                              ;   in Loop: Header=BB67_3 Depth=1
	v_pk_add_f32 v[40:41], v[40:41], 0 neg_lo:[1,1] neg_hi:[1,1]
	ds_store_b64 v47, v[40:41] offset:20816
; %bb.652:                              ;   in Loop: Header=BB67_3 Depth=1
	s_or_b32 exec_lo, exec_lo, s8
	s_wait_dscnt 0x0
	s_barrier_signal -1
	s_barrier_wait -1
	s_barrier_signal -1
	s_barrier_wait -1
	s_and_saveexec_b32 s8, s10
; %bb.653:                              ;   in Loop: Header=BB67_3 Depth=1
	v_add_nc_u32_e64 v0, 0x5000, 0
	ds_store_2addr_b64 v0, v[38:39], v[38:39] offset0:170 offset1:235
; %bb.654:                              ;   in Loop: Header=BB67_3 Depth=1
	s_or_b32 exec_lo, exec_lo, s8
	v_mov_b64_e32 v[40:41], 0
	s_wait_dscnt 0x0
	s_barrier_signal -1
	s_barrier_wait -1
	s_and_saveexec_b32 s96, s2
	s_cbranch_execz .LBB67_660
; %bb.655:                              ;   in Loop: Header=BB67_3 Depth=1
	ds_load_b64 v[40:41], v53 offset:20832
	ds_load_b64 v[42:43], v51 offset:20800
	s_wait_dscnt 0x0
	v_dual_mul_f32 v0, v43, v41 :: v_dual_mul_f32 v41, v42, v41
	s_delay_alu instid0(VALU_DEP_1) | instskip(NEXT) | instid1(VALU_DEP_1)
	v_dual_fma_f32 v0, v42, v40, -v0 :: v_dual_fmac_f32 v41, v43, v40
	v_dual_add_f32 v40, 0, v0 :: v_dual_add_f32 v41, 0, v41
	s_and_saveexec_b32 s8, s12
	s_cbranch_execnz .LBB67_1034
; %bb.656:                              ;   in Loop: Header=BB67_3 Depth=1
	s_or_b32 exec_lo, exec_lo, s8
	s_and_saveexec_b32 s8, s13
	s_cbranch_execnz .LBB67_1035
.LBB67_657:                             ;   in Loop: Header=BB67_3 Depth=1
	s_or_b32 exec_lo, exec_lo, s8
	s_and_saveexec_b32 s8, s1
	s_cbranch_execz .LBB67_659
.LBB67_658:                             ;   in Loop: Header=BB67_3 Depth=1
	ds_load_b64 v[42:43], v49 offset:22368
	ds_load_b64 v[44:45], v1 offset:20824
	s_wait_dscnt 0x0
	v_dual_mul_f32 v0, v45, v43 :: v_dual_mul_f32 v81, v44, v43
	s_delay_alu instid0(VALU_DEP_1) | instskip(NEXT) | instid1(VALU_DEP_1)
	v_dual_fma_f32 v80, v44, v42, -v0 :: v_dual_fmac_f32 v81, v45, v42
	v_pk_add_f32 v[40:41], v[40:41], v[80:81]
.LBB67_659:                             ;   in Loop: Header=BB67_3 Depth=1
	s_or_b32 exec_lo, exec_lo, s8
	s_delay_alu instid0(VALU_DEP_1)
	v_pk_add_f32 v[40:41], v[40:41], 0 neg_lo:[1,1] neg_hi:[1,1]
.LBB67_660:                             ;   in Loop: Header=BB67_3 Depth=1
	s_or_b32 exec_lo, exec_lo, s96
	s_and_saveexec_b32 s8, s45
; %bb.661:                              ;   in Loop: Header=BB67_3 Depth=1
	ds_store_b64 v52, v[40:41]
; %bb.662:                              ;   in Loop: Header=BB67_3 Depth=1
	s_or_b32 exec_lo, exec_lo, s8
	s_wait_dscnt 0x0
	s_barrier_signal -1
	s_barrier_wait -1
	s_and_saveexec_b32 s8, s46
	s_cbranch_execz .LBB67_664
; %bb.663:                              ;   in Loop: Header=BB67_3 Depth=1
	ds_load_b64 v[42:43], v50 offset:22880
	ds_load_b64 v[44:45], v52
	s_wait_dscnt 0x0
	v_pk_mul_f32 v[80:81], v[44:45], v[42:43] op_sel:[1,1] op_sel_hi:[0,1]
	s_delay_alu instid0(VALU_DEP_1) | instskip(SKIP_1) | instid1(VALU_DEP_2)
	v_pk_fma_f32 v[82:83], v[44:45], v[42:43], v[80:81] op_sel_hi:[1,0,1]
	v_pk_fma_f32 v[42:43], v[44:45], v[42:43], v[80:81] neg_lo:[0,0,1] neg_hi:[0,0,1]
	v_mov_b32_e32 v43, v83
	s_delay_alu instid0(VALU_DEP_1)
	v_pk_add_f32 v[40:41], v[40:41], v[42:43]
.LBB67_664:                             ;   in Loop: Header=BB67_3 Depth=1
	s_or_b32 exec_lo, exec_lo, s8
	s_barrier_signal -1
	s_barrier_wait -1
	s_and_saveexec_b32 s8, s47
; %bb.665:                              ;   in Loop: Header=BB67_3 Depth=1
	ds_store_b64 v52, v[40:41]
; %bb.666:                              ;   in Loop: Header=BB67_3 Depth=1
	s_or_b32 exec_lo, exec_lo, s8
	s_wait_dscnt 0x0
	s_barrier_signal -1
	s_barrier_wait -1
	s_and_saveexec_b32 s8, s48
	s_cbranch_execz .LBB67_668
; %bb.667:                              ;   in Loop: Header=BB67_3 Depth=1
	ds_load_b64 v[42:43], v50 offset:23392
	ds_load_b64 v[44:45], v52
	s_wait_dscnt 0x0
	v_pk_mul_f32 v[80:81], v[44:45], v[42:43] op_sel:[1,1] op_sel_hi:[0,1]
	s_delay_alu instid0(VALU_DEP_1) | instskip(SKIP_1) | instid1(VALU_DEP_2)
	v_pk_fma_f32 v[82:83], v[44:45], v[42:43], v[80:81] op_sel_hi:[1,0,1]
	v_pk_fma_f32 v[42:43], v[44:45], v[42:43], v[80:81] neg_lo:[0,0,1] neg_hi:[0,0,1]
	v_mov_b32_e32 v43, v83
	s_delay_alu instid0(VALU_DEP_1)
	v_pk_add_f32 v[40:41], v[40:41], v[42:43]
.LBB67_668:                             ;   in Loop: Header=BB67_3 Depth=1
	s_or_b32 exec_lo, exec_lo, s8
	s_barrier_signal -1
	s_barrier_wait -1
	;; [unrolled: 25-line block ×3, first 2 shown]
	s_and_saveexec_b32 s8, s50
; %bb.673:                              ;   in Loop: Header=BB67_3 Depth=1
	ds_store_b64 v52, v[40:41]
; %bb.674:                              ;   in Loop: Header=BB67_3 Depth=1
	s_or_b32 exec_lo, exec_lo, s8
	s_wait_dscnt 0x0
	s_barrier_signal -1
	s_barrier_wait -1
	s_barrier_signal -1
	s_barrier_wait -1
	s_and_saveexec_b32 s8, s2
; %bb.675:                              ;   in Loop: Header=BB67_3 Depth=1
	v_pk_add_f32 v[40:41], v[40:41], 0 neg_lo:[1,1] neg_hi:[1,1]
	ds_store_b64 v53, v[40:41] offset:20832
; %bb.676:                              ;   in Loop: Header=BB67_3 Depth=1
	s_or_b32 exec_lo, exec_lo, s8
	s_wait_dscnt 0x0
	s_barrier_signal -1
	s_barrier_wait -1
	s_barrier_signal -1
	s_barrier_wait -1
	s_and_saveexec_b32 s8, s10
; %bb.677:                              ;   in Loop: Header=BB67_3 Depth=1
	v_add_nc_u32_e64 v0, 0x5800, 0
	ds_store_2addr_b64 v0, v[38:39], v[38:39] offset0:44 offset1:109
; %bb.678:                              ;   in Loop: Header=BB67_3 Depth=1
	s_or_b32 exec_lo, exec_lo, s8
	v_mov_b64_e32 v[40:41], 0
	s_wait_dscnt 0x0
	s_barrier_signal -1
	s_barrier_wait -1
	s_and_saveexec_b32 s96, s1
	s_cbranch_execz .LBB67_682
; %bb.679:                              ;   in Loop: Header=BB67_3 Depth=1
	ds_load_b64 v[40:41], v47 offset:22896
	ds_load_b64 v[42:43], v48 offset:22880
	s_wait_dscnt 0x0
	v_pk_mul_f32 v[44:45], v[42:43], v[40:41] op_sel:[1,1] op_sel_hi:[0,1]
	s_delay_alu instid0(VALU_DEP_1) | instskip(SKIP_1) | instid1(VALU_DEP_2)
	v_pk_fma_f32 v[80:81], v[42:43], v[40:41], v[44:45] op_sel_hi:[1,0,1]
	v_pk_fma_f32 v[40:41], v[42:43], v[40:41], v[44:45] neg_lo:[0,0,1] neg_hi:[0,0,1]
	v_mov_b32_e32 v41, v81
	s_delay_alu instid0(VALU_DEP_1)
	v_pk_add_f32 v[40:41], v[40:41], 0 op_sel_hi:[1,0]
	s_and_saveexec_b32 s8, s11
	s_cbranch_execz .LBB67_681
; %bb.680:                              ;   in Loop: Header=BB67_3 Depth=1
	ds_load_b64 v[42:43], v49 offset:23408
	ds_load_b64 v[44:45], v1 offset:22888
	s_wait_dscnt 0x0
	v_pk_mul_f32 v[80:81], v[44:45], v[42:43] op_sel:[1,1] op_sel_hi:[0,1]
	s_delay_alu instid0(VALU_DEP_1) | instskip(SKIP_1) | instid1(VALU_DEP_2)
	v_pk_fma_f32 v[82:83], v[44:45], v[42:43], v[80:81] op_sel_hi:[1,0,1]
	v_pk_fma_f32 v[42:43], v[44:45], v[42:43], v[80:81] neg_lo:[0,0,1] neg_hi:[0,0,1]
	v_mov_b32_e32 v43, v83
	s_delay_alu instid0(VALU_DEP_1)
	v_pk_add_f32 v[40:41], v[40:41], v[42:43]
.LBB67_681:                             ;   in Loop: Header=BB67_3 Depth=1
	s_or_b32 exec_lo, exec_lo, s8
	s_delay_alu instid0(VALU_DEP_1)
	v_pk_add_f32 v[40:41], v[40:41], 0 neg_lo:[1,1] neg_hi:[1,1]
.LBB67_682:                             ;   in Loop: Header=BB67_3 Depth=1
	s_or_b32 exec_lo, exec_lo, s96
	s_and_saveexec_b32 s8, s43
; %bb.683:                              ;   in Loop: Header=BB67_3 Depth=1
	ds_store_b64 v46, v[40:41]
; %bb.684:                              ;   in Loop: Header=BB67_3 Depth=1
	s_or_b32 exec_lo, exec_lo, s8
	s_wait_dscnt 0x0
	s_barrier_signal -1
	s_barrier_wait -1
	s_and_saveexec_b32 s8, s44
	s_cbranch_execz .LBB67_686
; %bb.685:                              ;   in Loop: Header=BB67_3 Depth=1
	ds_load_b64 v[42:43], v1 offset:23928
	ds_load_b64 v[44:45], v46
	s_wait_dscnt 0x0
	v_pk_mul_f32 v[80:81], v[44:45], v[42:43] op_sel:[1,1] op_sel_hi:[0,1]
	s_delay_alu instid0(VALU_DEP_1) | instskip(SKIP_1) | instid1(VALU_DEP_2)
	v_pk_fma_f32 v[82:83], v[44:45], v[42:43], v[80:81] op_sel_hi:[1,0,1]
	v_pk_fma_f32 v[42:43], v[44:45], v[42:43], v[80:81] neg_lo:[0,0,1] neg_hi:[0,0,1]
	v_mov_b32_e32 v43, v83
	s_delay_alu instid0(VALU_DEP_1)
	v_pk_add_f32 v[40:41], v[40:41], v[42:43]
.LBB67_686:                             ;   in Loop: Header=BB67_3 Depth=1
	s_or_b32 exec_lo, exec_lo, s8
	s_barrier_signal -1
	s_barrier_wait -1
	s_and_saveexec_b32 s8, s44
; %bb.687:                              ;   in Loop: Header=BB67_3 Depth=1
	ds_store_b64 v46, v[40:41]
; %bb.688:                              ;   in Loop: Header=BB67_3 Depth=1
	s_or_b32 exec_lo, exec_lo, s8
	s_wait_dscnt 0x0
	s_barrier_signal -1
	s_barrier_wait -1
	s_barrier_signal -1
	s_barrier_wait -1
	s_and_saveexec_b32 s8, s1
; %bb.689:                              ;   in Loop: Header=BB67_3 Depth=1
	v_pk_add_f32 v[40:41], v[40:41], 0 neg_lo:[1,1] neg_hi:[1,1]
	ds_store_b64 v47, v[40:41] offset:22896
; %bb.690:                              ;   in Loop: Header=BB67_3 Depth=1
	s_or_b32 exec_lo, exec_lo, s8
	s_wait_dscnt 0x0
	s_barrier_signal -1
	s_barrier_wait -1
	s_barrier_signal -1
	s_barrier_wait -1
	s_and_saveexec_b32 s8, s10
; %bb.691:                              ;   in Loop: Header=BB67_3 Depth=1
	v_add_nc_u32_e64 v0, 0x5800, 0
	ds_store_2addr_b64 v0, v[38:39], v[38:39] offset0:174 offset1:239
; %bb.692:                              ;   in Loop: Header=BB67_3 Depth=1
	s_or_b32 exec_lo, exec_lo, s8
	v_mov_b64_e32 v[40:41], 0
	s_wait_dscnt 0x0
	s_barrier_signal -1
	s_barrier_wait -1
	s_and_saveexec_b32 s96, s4
	s_cbranch_execz .LBB67_720
; %bb.693:                              ;   in Loop: Header=BB67_3 Depth=1
	ds_load_b64 v[40:41], v63 offset:16768
	ds_load_b64 v[42:43], v60 offset:16640
	v_readlane_b32 s6, v94, 24
	s_wait_dscnt 0x0
	v_dual_mul_f32 v0, v43, v41 :: v_dual_mul_f32 v41, v42, v41
	s_delay_alu instid0(VALU_DEP_1) | instskip(NEXT) | instid1(VALU_DEP_1)
	v_dual_fma_f32 v0, v42, v40, -v0 :: v_dual_fmac_f32 v41, v43, v40
	v_dual_add_f32 v40, 0, v0 :: v_dual_add_f32 v41, 0, v41
	s_and_saveexec_b32 s8, s6
	s_cbranch_execz .LBB67_695
; %bb.694:                              ;   in Loop: Header=BB67_3 Depth=1
	ds_load_b64 v[42:43], v64 offset:17280
	ds_load_b64 v[44:45], v60 offset:16648
	s_wait_dscnt 0x0
	v_dual_mul_f32 v0, v45, v43 :: v_dual_mul_f32 v43, v44, v43
	s_delay_alu instid0(VALU_DEP_1) | instskip(NEXT) | instid1(VALU_DEP_1)
	v_dual_fma_f32 v0, v44, v42, -v0 :: v_dual_fmac_f32 v43, v45, v42
	v_dual_add_f32 v40, v40, v0 :: v_dual_add_f32 v41, v41, v43
.LBB67_695:                             ;   in Loop: Header=BB67_3 Depth=1
	s_or_b32 exec_lo, exec_lo, s8
	v_readlane_b32 s6, v94, 25
	s_and_saveexec_b32 s8, s6
	s_cbranch_execz .LBB67_697
; %bb.696:                              ;   in Loop: Header=BB67_3 Depth=1
	ds_load_b64 v[42:43], v64 offset:17792
	ds_load_b64 v[44:45], v60 offset:16656
	s_wait_dscnt 0x0
	v_dual_mul_f32 v0, v45, v43 :: v_dual_mul_f32 v43, v44, v43
	s_delay_alu instid0(VALU_DEP_1) | instskip(NEXT) | instid1(VALU_DEP_1)
	v_dual_fma_f32 v0, v44, v42, -v0 :: v_dual_fmac_f32 v43, v45, v42
	v_dual_add_f32 v40, v40, v0 :: v_dual_add_f32 v41, v41, v43
.LBB67_697:                             ;   in Loop: Header=BB67_3 Depth=1
	s_or_b32 exec_lo, exec_lo, s8
	v_readlane_b32 s6, v94, 26
	s_and_saveexec_b32 s8, s6
	s_cbranch_execz .LBB67_699
; %bb.698:                              ;   in Loop: Header=BB67_3 Depth=1
	ds_load_b64 v[42:43], v64 offset:18304
	ds_load_b64 v[44:45], v60 offset:16664
	s_wait_dscnt 0x0
	v_dual_mul_f32 v0, v45, v43 :: v_dual_mul_f32 v43, v44, v43
	s_delay_alu instid0(VALU_DEP_1) | instskip(NEXT) | instid1(VALU_DEP_1)
	v_dual_fma_f32 v0, v44, v42, -v0 :: v_dual_fmac_f32 v43, v45, v42
	v_dual_add_f32 v40, v40, v0 :: v_dual_add_f32 v41, v41, v43
.LBB67_699:                             ;   in Loop: Header=BB67_3 Depth=1
	s_or_b32 exec_lo, exec_lo, s8
	v_readlane_b32 s6, v94, 27
	s_and_saveexec_b32 s8, s6
	s_cbranch_execz .LBB67_701
; %bb.700:                              ;   in Loop: Header=BB67_3 Depth=1
	ds_load_b64 v[42:43], v64 offset:18816
	ds_load_b64 v[44:45], v60 offset:16672
	s_wait_dscnt 0x0
	v_dual_mul_f32 v0, v45, v43 :: v_dual_mul_f32 v43, v44, v43
	s_delay_alu instid0(VALU_DEP_1) | instskip(NEXT) | instid1(VALU_DEP_1)
	v_dual_fma_f32 v0, v44, v42, -v0 :: v_dual_fmac_f32 v43, v45, v42
	v_dual_add_f32 v40, v40, v0 :: v_dual_add_f32 v41, v41, v43
.LBB67_701:                             ;   in Loop: Header=BB67_3 Depth=1
	s_or_b32 exec_lo, exec_lo, s8
	v_readlane_b32 s6, v94, 28
	s_and_saveexec_b32 s8, s6
	s_cbranch_execz .LBB67_703
; %bb.702:                              ;   in Loop: Header=BB67_3 Depth=1
	ds_load_b64 v[42:43], v64 offset:19328
	ds_load_b64 v[44:45], v60 offset:16680
	s_wait_dscnt 0x0
	v_dual_mul_f32 v0, v45, v43 :: v_dual_mul_f32 v43, v44, v43
	s_delay_alu instid0(VALU_DEP_1) | instskip(NEXT) | instid1(VALU_DEP_1)
	v_dual_fma_f32 v0, v44, v42, -v0 :: v_dual_fmac_f32 v43, v45, v42
	v_dual_add_f32 v40, v40, v0 :: v_dual_add_f32 v41, v41, v43
.LBB67_703:                             ;   in Loop: Header=BB67_3 Depth=1
	s_or_b32 exec_lo, exec_lo, s8
	v_readlane_b32 s6, v94, 29
	s_and_saveexec_b32 s8, s6
	s_cbranch_execz .LBB67_705
; %bb.704:                              ;   in Loop: Header=BB67_3 Depth=1
	ds_load_b64 v[42:43], v64 offset:19840
	ds_load_b64 v[44:45], v60 offset:16688
	s_wait_dscnt 0x0
	v_dual_mul_f32 v0, v45, v43 :: v_dual_mul_f32 v43, v44, v43
	s_delay_alu instid0(VALU_DEP_1) | instskip(NEXT) | instid1(VALU_DEP_1)
	v_dual_fma_f32 v0, v44, v42, -v0 :: v_dual_fmac_f32 v43, v45, v42
	v_dual_add_f32 v40, v40, v0 :: v_dual_add_f32 v41, v41, v43
.LBB67_705:                             ;   in Loop: Header=BB67_3 Depth=1
	s_or_b32 exec_lo, exec_lo, s8
	v_readlane_b32 s6, v94, 30
	s_and_saveexec_b32 s8, s6
	s_cbranch_execz .LBB67_707
; %bb.706:                              ;   in Loop: Header=BB67_3 Depth=1
	ds_load_b64 v[42:43], v64 offset:20352
	ds_load_b64 v[44:45], v60 offset:16696
	s_wait_dscnt 0x0
	v_dual_mul_f32 v0, v45, v43 :: v_dual_mul_f32 v43, v44, v43
	s_delay_alu instid0(VALU_DEP_1) | instskip(NEXT) | instid1(VALU_DEP_1)
	v_dual_fma_f32 v0, v44, v42, -v0 :: v_dual_fmac_f32 v43, v45, v42
	v_dual_add_f32 v40, v40, v0 :: v_dual_add_f32 v41, v41, v43
.LBB67_707:                             ;   in Loop: Header=BB67_3 Depth=1
	s_or_b32 exec_lo, exec_lo, s8
	v_readlane_b32 s6, v94, 31
	s_and_saveexec_b32 s8, s6
	s_cbranch_execz .LBB67_709
; %bb.708:                              ;   in Loop: Header=BB67_3 Depth=1
	ds_load_b64 v[42:43], v63 offset:20864
	ds_load_b64 v[44:45], v60 offset:16704
	s_wait_dscnt 0x0
	v_dual_mul_f32 v0, v45, v43 :: v_dual_mul_f32 v43, v44, v43
	s_delay_alu instid0(VALU_DEP_1) | instskip(NEXT) | instid1(VALU_DEP_1)
	v_dual_fma_f32 v0, v44, v42, -v0 :: v_dual_fmac_f32 v43, v45, v42
	v_dual_add_f32 v40, v40, v0 :: v_dual_add_f32 v41, v41, v43
.LBB67_709:                             ;   in Loop: Header=BB67_3 Depth=1
	s_or_b32 exec_lo, exec_lo, s8
	v_readlane_b32 s6, v93, 0
	s_and_saveexec_b32 s8, s6
	s_cbranch_execz .LBB67_711
; %bb.710:                              ;   in Loop: Header=BB67_3 Depth=1
	ds_load_b64 v[42:43], v64 offset:21376
	ds_load_b64 v[44:45], v60 offset:16712
	s_wait_dscnt 0x0
	v_dual_mul_f32 v0, v45, v43 :: v_dual_mul_f32 v43, v44, v43
	s_delay_alu instid0(VALU_DEP_1) | instskip(NEXT) | instid1(VALU_DEP_1)
	v_dual_fma_f32 v0, v44, v42, -v0 :: v_dual_fmac_f32 v43, v45, v42
	v_dual_add_f32 v40, v40, v0 :: v_dual_add_f32 v41, v41, v43
.LBB67_711:                             ;   in Loop: Header=BB67_3 Depth=1
	s_or_b32 exec_lo, exec_lo, s8
	v_readlane_b32 s6, v93, 1
	s_and_saveexec_b32 s8, s6
	s_cbranch_execz .LBB67_713
; %bb.712:                              ;   in Loop: Header=BB67_3 Depth=1
	ds_load_b64 v[42:43], v64 offset:21888
	ds_load_b64 v[44:45], v60 offset:16720
	s_wait_dscnt 0x0
	v_dual_mul_f32 v0, v45, v43 :: v_dual_mul_f32 v43, v44, v43
	s_delay_alu instid0(VALU_DEP_1) | instskip(NEXT) | instid1(VALU_DEP_1)
	v_dual_fma_f32 v0, v44, v42, -v0 :: v_dual_fmac_f32 v43, v45, v42
	v_dual_add_f32 v40, v40, v0 :: v_dual_add_f32 v41, v41, v43
.LBB67_713:                             ;   in Loop: Header=BB67_3 Depth=1
	s_or_b32 exec_lo, exec_lo, s8
	v_readlane_b32 s6, v93, 2
	s_and_saveexec_b32 s8, s6
	s_cbranch_execnz .LBB67_1036
; %bb.714:                              ;   in Loop: Header=BB67_3 Depth=1
	s_or_b32 exec_lo, exec_lo, s8
	s_and_saveexec_b32 s8, s3
	s_cbranch_execnz .LBB67_1037
.LBB67_715:                             ;   in Loop: Header=BB67_3 Depth=1
	s_or_b32 exec_lo, exec_lo, s8
	s_and_saveexec_b32 s8, s15
	s_cbranch_execnz .LBB67_1038
.LBB67_716:                             ;   in Loop: Header=BB67_3 Depth=1
	s_or_b32 exec_lo, exec_lo, s8
	s_and_saveexec_b32 s8, s17
	s_cbranch_execnz .LBB67_1039
.LBB67_717:                             ;   in Loop: Header=BB67_3 Depth=1
	s_or_b32 exec_lo, exec_lo, s8
	s_and_saveexec_b32 s8, s2
	s_cbranch_execz .LBB67_719
.LBB67_718:                             ;   in Loop: Header=BB67_3 Depth=1
	ds_load_b64 v[42:43], v49 offset:24448
	ds_load_b64 v[44:45], v1 offset:16760
	s_wait_dscnt 0x0
	v_dual_mul_f32 v0, v45, v43 :: v_dual_mul_f32 v81, v44, v43
	s_delay_alu instid0(VALU_DEP_1) | instskip(NEXT) | instid1(VALU_DEP_1)
	v_dual_fma_f32 v80, v44, v42, -v0 :: v_dual_fmac_f32 v81, v45, v42
	v_pk_add_f32 v[40:41], v[40:41], v[80:81]
.LBB67_719:                             ;   in Loop: Header=BB67_3 Depth=1
	s_or_b32 exec_lo, exec_lo, s8
	s_delay_alu instid0(VALU_DEP_1)
	v_pk_add_f32 v[40:41], v[40:41], 0 neg_lo:[1,1] neg_hi:[1,1]
.LBB67_720:                             ;   in Loop: Header=BB67_3 Depth=1
	s_or_b32 exec_lo, exec_lo, s96
	v_readlane_b32 s6, v94, 5
	s_and_saveexec_b32 s8, s6
; %bb.721:                              ;   in Loop: Header=BB67_3 Depth=1
	ds_store_b64 v62, v[40:41]
; %bb.722:                              ;   in Loop: Header=BB67_3 Depth=1
	s_or_b32 exec_lo, exec_lo, s8
	v_readlane_b32 s6, v94, 6
	s_wait_dscnt 0x0
	s_barrier_signal -1
	s_barrier_wait -1
	s_and_saveexec_b32 s8, s6
	s_cbranch_execz .LBB67_724
; %bb.723:                              ;   in Loop: Header=BB67_3 Depth=1
	ds_load_b64 v[42:43], v61 offset:24960
	ds_load_b64 v[44:45], v62
	s_wait_dscnt 0x0
	v_pk_mul_f32 v[80:81], v[44:45], v[42:43] op_sel:[1,1] op_sel_hi:[0,1]
	s_delay_alu instid0(VALU_DEP_1) | instskip(SKIP_1) | instid1(VALU_DEP_2)
	v_pk_fma_f32 v[82:83], v[44:45], v[42:43], v[80:81] op_sel_hi:[1,0,1]
	v_pk_fma_f32 v[42:43], v[44:45], v[42:43], v[80:81] neg_lo:[0,0,1] neg_hi:[0,0,1]
	v_mov_b32_e32 v43, v83
	s_delay_alu instid0(VALU_DEP_1)
	v_pk_add_f32 v[40:41], v[40:41], v[42:43]
.LBB67_724:                             ;   in Loop: Header=BB67_3 Depth=1
	s_or_b32 exec_lo, exec_lo, s8
	v_readlane_b32 s6, v94, 7
	s_barrier_signal -1
	s_barrier_wait -1
	s_and_saveexec_b32 s8, s6
; %bb.725:                              ;   in Loop: Header=BB67_3 Depth=1
	ds_store_b64 v62, v[40:41]
; %bb.726:                              ;   in Loop: Header=BB67_3 Depth=1
	s_or_b32 exec_lo, exec_lo, s8
	s_wait_dscnt 0x0
	s_barrier_signal -1
	s_barrier_wait -1
	s_and_saveexec_b32 s8, s23
	s_cbranch_execz .LBB67_728
; %bb.727:                              ;   in Loop: Header=BB67_3 Depth=1
	ds_load_b64 v[42:43], v61 offset:25472
	ds_load_b64 v[44:45], v62
	s_wait_dscnt 0x0
	v_pk_mul_f32 v[80:81], v[44:45], v[42:43] op_sel:[1,1] op_sel_hi:[0,1]
	s_delay_alu instid0(VALU_DEP_1) | instskip(SKIP_1) | instid1(VALU_DEP_2)
	v_pk_fma_f32 v[82:83], v[44:45], v[42:43], v[80:81] op_sel_hi:[1,0,1]
	v_pk_fma_f32 v[42:43], v[44:45], v[42:43], v[80:81] neg_lo:[0,0,1] neg_hi:[0,0,1]
	v_mov_b32_e32 v43, v83
	s_delay_alu instid0(VALU_DEP_1)
	v_pk_add_f32 v[40:41], v[40:41], v[42:43]
.LBB67_728:                             ;   in Loop: Header=BB67_3 Depth=1
	s_or_b32 exec_lo, exec_lo, s8
	s_barrier_signal -1
	s_barrier_wait -1
	s_and_saveexec_b32 s8, s25
; %bb.729:                              ;   in Loop: Header=BB67_3 Depth=1
	ds_store_b64 v62, v[40:41]
; %bb.730:                              ;   in Loop: Header=BB67_3 Depth=1
	s_or_b32 exec_lo, exec_lo, s8
	s_wait_dscnt 0x0
	s_barrier_signal -1
	s_barrier_wait -1
	s_and_saveexec_b32 s8, s27
	s_cbranch_execz .LBB67_732
; %bb.731:                              ;   in Loop: Header=BB67_3 Depth=1
	ds_load_b64 v[42:43], v61 offset:25984
	ds_load_b64 v[44:45], v62
	s_wait_dscnt 0x0
	v_pk_mul_f32 v[80:81], v[44:45], v[42:43] op_sel:[1,1] op_sel_hi:[0,1]
	s_delay_alu instid0(VALU_DEP_1) | instskip(SKIP_1) | instid1(VALU_DEP_2)
	v_pk_fma_f32 v[82:83], v[44:45], v[42:43], v[80:81] op_sel_hi:[1,0,1]
	v_pk_fma_f32 v[42:43], v[44:45], v[42:43], v[80:81] neg_lo:[0,0,1] neg_hi:[0,0,1]
	v_mov_b32_e32 v43, v83
	s_delay_alu instid0(VALU_DEP_1)
	v_pk_add_f32 v[40:41], v[40:41], v[42:43]
.LBB67_732:                             ;   in Loop: Header=BB67_3 Depth=1
	s_or_b32 exec_lo, exec_lo, s8
	s_barrier_signal -1
	s_barrier_wait -1
	s_and_saveexec_b32 s8, s29
; %bb.733:                              ;   in Loop: Header=BB67_3 Depth=1
	ds_store_b64 v62, v[40:41]
; %bb.734:                              ;   in Loop: Header=BB67_3 Depth=1
	s_or_b32 exec_lo, exec_lo, s8
	s_wait_dscnt 0x0
	s_barrier_signal -1
	s_barrier_wait -1
	s_and_saveexec_b32 s8, s34
	s_cbranch_execz .LBB67_736
; %bb.735:                              ;   in Loop: Header=BB67_3 Depth=1
	ds_load_b64 v[42:43], v61 offset:26496
	ds_load_b64 v[44:45], v62
	s_wait_dscnt 0x0
	v_dual_mul_f32 v0, v45, v43 :: v_dual_mul_f32 v43, v44, v43
	s_delay_alu instid0(VALU_DEP_1) | instskip(NEXT) | instid1(VALU_DEP_1)
	v_dual_fma_f32 v0, v44, v42, -v0 :: v_dual_fmac_f32 v43, v45, v42
	v_dual_add_f32 v40, v40, v0 :: v_dual_add_f32 v41, v41, v43
.LBB67_736:                             ;   in Loop: Header=BB67_3 Depth=1
	s_or_b32 exec_lo, exec_lo, s8
	s_barrier_signal -1
	s_barrier_wait -1
	s_and_saveexec_b32 s8, s35
; %bb.737:                              ;   in Loop: Header=BB67_3 Depth=1
	ds_store_b64 v62, v[40:41]
; %bb.738:                              ;   in Loop: Header=BB67_3 Depth=1
	s_or_b32 exec_lo, exec_lo, s8
	s_wait_dscnt 0x0
	s_barrier_signal -1
	s_barrier_wait -1
	s_and_saveexec_b32 s8, s36
	s_cbranch_execz .LBB67_740
; %bb.739:                              ;   in Loop: Header=BB67_3 Depth=1
	ds_load_b64 v[42:43], v61 offset:27008
	ds_load_b64 v[44:45], v62
	s_wait_dscnt 0x0
	v_dual_mul_f32 v0, v45, v43 :: v_dual_mul_f32 v81, v44, v43
	s_delay_alu instid0(VALU_DEP_1) | instskip(NEXT) | instid1(VALU_DEP_1)
	v_dual_fma_f32 v80, v44, v42, -v0 :: v_dual_fmac_f32 v81, v45, v42
	v_pk_add_f32 v[40:41], v[40:41], v[80:81]
.LBB67_740:                             ;   in Loop: Header=BB67_3 Depth=1
	s_or_b32 exec_lo, exec_lo, s8
	s_barrier_signal -1
	s_barrier_wait -1
	s_and_saveexec_b32 s8, s37
; %bb.741:                              ;   in Loop: Header=BB67_3 Depth=1
	ds_store_b64 v62, v[40:41]
; %bb.742:                              ;   in Loop: Header=BB67_3 Depth=1
	s_or_b32 exec_lo, exec_lo, s8
	s_wait_dscnt 0x0
	s_barrier_signal -1
	s_barrier_wait -1
	s_and_saveexec_b32 s8, s38
	s_cbranch_execz .LBB67_744
; %bb.743:                              ;   in Loop: Header=BB67_3 Depth=1
	ds_load_b64 v[42:43], v61 offset:27520
	ds_load_b64 v[44:45], v62
	s_wait_dscnt 0x0
	v_pk_mul_f32 v[80:81], v[44:45], v[42:43] op_sel:[1,1] op_sel_hi:[0,1]
	s_delay_alu instid0(VALU_DEP_1) | instskip(SKIP_1) | instid1(VALU_DEP_2)
	v_pk_fma_f32 v[82:83], v[44:45], v[42:43], v[80:81] op_sel_hi:[1,0,1]
	v_pk_fma_f32 v[42:43], v[44:45], v[42:43], v[80:81] neg_lo:[0,0,1] neg_hi:[0,0,1]
	v_mov_b32_e32 v43, v83
	s_delay_alu instid0(VALU_DEP_1)
	v_pk_add_f32 v[40:41], v[40:41], v[42:43]
.LBB67_744:                             ;   in Loop: Header=BB67_3 Depth=1
	s_or_b32 exec_lo, exec_lo, s8
	s_barrier_signal -1
	s_barrier_wait -1
	s_and_saveexec_b32 s8, s39
; %bb.745:                              ;   in Loop: Header=BB67_3 Depth=1
	ds_store_b64 v62, v[40:41]
; %bb.746:                              ;   in Loop: Header=BB67_3 Depth=1
	s_or_b32 exec_lo, exec_lo, s8
	s_wait_dscnt 0x0
	s_barrier_signal -1
	s_barrier_wait -1
	s_and_saveexec_b32 s8, s40
	s_cbranch_execz .LBB67_748
; %bb.747:                              ;   in Loop: Header=BB67_3 Depth=1
	ds_load_b64 v[42:43], v61 offset:28032
	ds_load_b64 v[44:45], v62
	s_wait_dscnt 0x0
	v_pk_mul_f32 v[80:81], v[44:45], v[42:43] op_sel:[1,1] op_sel_hi:[0,1]
	s_delay_alu instid0(VALU_DEP_1) | instskip(SKIP_1) | instid1(VALU_DEP_2)
	v_pk_fma_f32 v[82:83], v[44:45], v[42:43], v[80:81] op_sel_hi:[1,0,1]
	v_pk_fma_f32 v[42:43], v[44:45], v[42:43], v[80:81] neg_lo:[0,0,1] neg_hi:[0,0,1]
	v_mov_b32_e32 v43, v83
	s_delay_alu instid0(VALU_DEP_1)
	v_pk_add_f32 v[40:41], v[40:41], v[42:43]
.LBB67_748:                             ;   in Loop: Header=BB67_3 Depth=1
	;; [unrolled: 25-line block ×4, first 2 shown]
	s_or_b32 exec_lo, exec_lo, s8
	s_barrier_signal -1
	s_barrier_wait -1
	s_and_saveexec_b32 s8, s84
; %bb.757:                              ;   in Loop: Header=BB67_3 Depth=1
	ds_store_b64 v62, v[40:41]
; %bb.758:                              ;   in Loop: Header=BB67_3 Depth=1
	s_or_b32 exec_lo, exec_lo, s8
	s_wait_dscnt 0x0
	s_barrier_signal -1
	s_barrier_wait -1
	s_and_saveexec_b32 s8, s85
	s_cbranch_execz .LBB67_760
; %bb.759:                              ;   in Loop: Header=BB67_3 Depth=1
	ds_load_b64 v[42:43], v61 offset:29568
	ds_load_b64 v[44:45], v62
	s_wait_dscnt 0x0
	v_dual_mul_f32 v0, v45, v43 :: v_dual_mul_f32 v43, v44, v43
	s_delay_alu instid0(VALU_DEP_1) | instskip(NEXT) | instid1(VALU_DEP_1)
	v_dual_fma_f32 v0, v44, v42, -v0 :: v_dual_fmac_f32 v43, v45, v42
	v_dual_add_f32 v40, v40, v0 :: v_dual_add_f32 v41, v41, v43
.LBB67_760:                             ;   in Loop: Header=BB67_3 Depth=1
	s_or_b32 exec_lo, exec_lo, s8
	s_barrier_signal -1
	s_barrier_wait -1
	s_and_saveexec_b32 s8, s20
; %bb.761:                              ;   in Loop: Header=BB67_3 Depth=1
	ds_store_b64 v62, v[40:41]
; %bb.762:                              ;   in Loop: Header=BB67_3 Depth=1
	s_or_b32 exec_lo, exec_lo, s8
	s_wait_dscnt 0x0
	s_barrier_signal -1
	s_barrier_wait -1
	s_and_saveexec_b32 s8, s22
	s_cbranch_execz .LBB67_764
; %bb.763:                              ;   in Loop: Header=BB67_3 Depth=1
	ds_load_b64 v[42:43], v61 offset:30080
	ds_load_b64 v[44:45], v62
	s_wait_dscnt 0x0
	v_dual_mul_f32 v0, v45, v43 :: v_dual_mul_f32 v81, v44, v43
	s_delay_alu instid0(VALU_DEP_1) | instskip(NEXT) | instid1(VALU_DEP_1)
	v_dual_fma_f32 v80, v44, v42, -v0 :: v_dual_fmac_f32 v81, v45, v42
	v_pk_add_f32 v[40:41], v[40:41], v[80:81]
.LBB67_764:                             ;   in Loop: Header=BB67_3 Depth=1
	s_or_b32 exec_lo, exec_lo, s8
	s_barrier_signal -1
	s_barrier_wait -1
	s_and_saveexec_b32 s8, s24
; %bb.765:                              ;   in Loop: Header=BB67_3 Depth=1
	ds_store_b64 v62, v[40:41]
; %bb.766:                              ;   in Loop: Header=BB67_3 Depth=1
	s_or_b32 exec_lo, exec_lo, s8
	s_wait_dscnt 0x0
	s_barrier_signal -1
	s_barrier_wait -1
	s_and_saveexec_b32 s8, s26
	s_cbranch_execz .LBB67_768
; %bb.767:                              ;   in Loop: Header=BB67_3 Depth=1
	ds_load_b64 v[42:43], v61 offset:30592
	ds_load_b64 v[44:45], v62
	s_wait_dscnt 0x0
	v_pk_mul_f32 v[80:81], v[44:45], v[42:43] op_sel:[1,1] op_sel_hi:[0,1]
	s_delay_alu instid0(VALU_DEP_1) | instskip(SKIP_1) | instid1(VALU_DEP_2)
	v_pk_fma_f32 v[82:83], v[44:45], v[42:43], v[80:81] op_sel_hi:[1,0,1]
	v_pk_fma_f32 v[42:43], v[44:45], v[42:43], v[80:81] neg_lo:[0,0,1] neg_hi:[0,0,1]
	v_mov_b32_e32 v43, v83
	s_delay_alu instid0(VALU_DEP_1)
	v_pk_add_f32 v[40:41], v[40:41], v[42:43]
.LBB67_768:                             ;   in Loop: Header=BB67_3 Depth=1
	s_or_b32 exec_lo, exec_lo, s8
	s_barrier_signal -1
	s_barrier_wait -1
	s_and_saveexec_b32 s8, s28
; %bb.769:                              ;   in Loop: Header=BB67_3 Depth=1
	ds_store_b64 v62, v[40:41]
; %bb.770:                              ;   in Loop: Header=BB67_3 Depth=1
	s_or_b32 exec_lo, exec_lo, s8
	s_wait_dscnt 0x0
	s_barrier_signal -1
	s_barrier_wait -1
	s_and_saveexec_b32 s8, s74
	s_cbranch_execz .LBB67_772
; %bb.771:                              ;   in Loop: Header=BB67_3 Depth=1
	ds_load_b64 v[42:43], v61 offset:31104
	ds_load_b64 v[44:45], v62
	s_wait_dscnt 0x0
	v_pk_mul_f32 v[80:81], v[44:45], v[42:43] op_sel:[1,1] op_sel_hi:[0,1]
	s_delay_alu instid0(VALU_DEP_1) | instskip(SKIP_1) | instid1(VALU_DEP_2)
	v_pk_fma_f32 v[82:83], v[44:45], v[42:43], v[80:81] op_sel_hi:[1,0,1]
	v_pk_fma_f32 v[42:43], v[44:45], v[42:43], v[80:81] neg_lo:[0,0,1] neg_hi:[0,0,1]
	v_mov_b32_e32 v43, v83
	s_delay_alu instid0(VALU_DEP_1)
	v_pk_add_f32 v[40:41], v[40:41], v[42:43]
.LBB67_772:                             ;   in Loop: Header=BB67_3 Depth=1
	;; [unrolled: 25-line block ×4, first 2 shown]
	s_or_b32 exec_lo, exec_lo, s8
	s_barrier_signal -1
	s_barrier_wait -1
	s_and_saveexec_b32 s8, s103
; %bb.781:                              ;   in Loop: Header=BB67_3 Depth=1
	ds_store_b64 v62, v[40:41]
; %bb.782:                              ;   in Loop: Header=BB67_3 Depth=1
	s_or_b32 exec_lo, exec_lo, s8
	s_wait_dscnt 0x0
	s_barrier_signal -1
	s_barrier_wait -1
	s_barrier_signal -1
	s_barrier_wait -1
	s_and_saveexec_b32 s8, s4
; %bb.783:                              ;   in Loop: Header=BB67_3 Depth=1
	v_pk_add_f32 v[40:41], v[40:41], 0 neg_lo:[1,1] neg_hi:[1,1]
	ds_store_b64 v63, v[40:41] offset:16768
; %bb.784:                              ;   in Loop: Header=BB67_3 Depth=1
	s_or_b32 exec_lo, exec_lo, s8
	s_wait_dscnt 0x0
	s_barrier_signal -1
	s_barrier_wait -1
	s_barrier_signal -1
	s_barrier_wait -1
	s_and_saveexec_b32 s8, s10
; %bb.785:                              ;   in Loop: Header=BB67_3 Depth=1
	v_add_nc_u32_e64 v0, 0x6000, 0
	ds_store_2addr_b64 v0, v[38:39], v[38:39] offset0:48 offset1:113
; %bb.786:                              ;   in Loop: Header=BB67_3 Depth=1
	s_or_b32 exec_lo, exec_lo, s8
	v_mov_b64_e32 v[40:41], 0
	s_wait_dscnt 0x0
	s_barrier_signal -1
	s_barrier_wait -1
	s_and_saveexec_b32 s96, s1
	s_cbranch_execz .LBB67_790
; %bb.787:                              ;   in Loop: Header=BB67_3 Depth=1
	ds_load_b64 v[40:41], v47 offset:24976
	ds_load_b64 v[42:43], v48 offset:24960
	s_wait_dscnt 0x0
	v_pk_mul_f32 v[44:45], v[42:43], v[40:41] op_sel:[1,1] op_sel_hi:[0,1]
	s_delay_alu instid0(VALU_DEP_1) | instskip(SKIP_1) | instid1(VALU_DEP_2)
	v_pk_fma_f32 v[80:81], v[42:43], v[40:41], v[44:45] op_sel_hi:[1,0,1]
	v_pk_fma_f32 v[40:41], v[42:43], v[40:41], v[44:45] neg_lo:[0,0,1] neg_hi:[0,0,1]
	v_mov_b32_e32 v41, v81
	s_delay_alu instid0(VALU_DEP_1)
	v_pk_add_f32 v[40:41], v[40:41], 0 op_sel_hi:[1,0]
	s_and_saveexec_b32 s8, s11
	s_cbranch_execz .LBB67_789
; %bb.788:                              ;   in Loop: Header=BB67_3 Depth=1
	ds_load_b64 v[42:43], v49 offset:25488
	ds_load_b64 v[44:45], v1 offset:24968
	s_wait_dscnt 0x0
	v_pk_mul_f32 v[80:81], v[44:45], v[42:43] op_sel:[1,1] op_sel_hi:[0,1]
	s_delay_alu instid0(VALU_DEP_1) | instskip(SKIP_1) | instid1(VALU_DEP_2)
	v_pk_fma_f32 v[82:83], v[44:45], v[42:43], v[80:81] op_sel_hi:[1,0,1]
	v_pk_fma_f32 v[42:43], v[44:45], v[42:43], v[80:81] neg_lo:[0,0,1] neg_hi:[0,0,1]
	v_mov_b32_e32 v43, v83
	s_delay_alu instid0(VALU_DEP_1)
	v_pk_add_f32 v[40:41], v[40:41], v[42:43]
.LBB67_789:                             ;   in Loop: Header=BB67_3 Depth=1
	s_or_b32 exec_lo, exec_lo, s8
	s_delay_alu instid0(VALU_DEP_1)
	v_pk_add_f32 v[40:41], v[40:41], 0 neg_lo:[1,1] neg_hi:[1,1]
.LBB67_790:                             ;   in Loop: Header=BB67_3 Depth=1
	s_or_b32 exec_lo, exec_lo, s96
	s_and_saveexec_b32 s8, s43
; %bb.791:                              ;   in Loop: Header=BB67_3 Depth=1
	ds_store_b64 v46, v[40:41]
; %bb.792:                              ;   in Loop: Header=BB67_3 Depth=1
	s_or_b32 exec_lo, exec_lo, s8
	s_wait_dscnt 0x0
	s_barrier_signal -1
	s_barrier_wait -1
	s_and_saveexec_b32 s8, s44
	s_cbranch_execz .LBB67_794
; %bb.793:                              ;   in Loop: Header=BB67_3 Depth=1
	ds_load_b64 v[42:43], v1 offset:26008
	ds_load_b64 v[44:45], v46
	s_wait_dscnt 0x0
	v_pk_mul_f32 v[80:81], v[44:45], v[42:43] op_sel:[1,1] op_sel_hi:[0,1]
	s_delay_alu instid0(VALU_DEP_1) | instskip(SKIP_1) | instid1(VALU_DEP_2)
	v_pk_fma_f32 v[82:83], v[44:45], v[42:43], v[80:81] op_sel_hi:[1,0,1]
	v_pk_fma_f32 v[42:43], v[44:45], v[42:43], v[80:81] neg_lo:[0,0,1] neg_hi:[0,0,1]
	v_mov_b32_e32 v43, v83
	s_delay_alu instid0(VALU_DEP_1)
	v_pk_add_f32 v[40:41], v[40:41], v[42:43]
.LBB67_794:                             ;   in Loop: Header=BB67_3 Depth=1
	s_or_b32 exec_lo, exec_lo, s8
	s_barrier_signal -1
	s_barrier_wait -1
	s_and_saveexec_b32 s8, s44
; %bb.795:                              ;   in Loop: Header=BB67_3 Depth=1
	ds_store_b64 v46, v[40:41]
; %bb.796:                              ;   in Loop: Header=BB67_3 Depth=1
	s_or_b32 exec_lo, exec_lo, s8
	s_wait_dscnt 0x0
	s_barrier_signal -1
	s_barrier_wait -1
	s_barrier_signal -1
	s_barrier_wait -1
	s_and_saveexec_b32 s8, s1
; %bb.797:                              ;   in Loop: Header=BB67_3 Depth=1
	v_pk_add_f32 v[40:41], v[40:41], 0 neg_lo:[1,1] neg_hi:[1,1]
	ds_store_b64 v47, v[40:41] offset:24976
; %bb.798:                              ;   in Loop: Header=BB67_3 Depth=1
	s_or_b32 exec_lo, exec_lo, s8
	s_wait_dscnt 0x0
	s_barrier_signal -1
	s_barrier_wait -1
	s_barrier_signal -1
	s_barrier_wait -1
	s_and_saveexec_b32 s8, s10
; %bb.799:                              ;   in Loop: Header=BB67_3 Depth=1
	v_add_nc_u32_e64 v0, 0x6000, 0
	ds_store_2addr_b64 v0, v[38:39], v[38:39] offset0:178 offset1:243
; %bb.800:                              ;   in Loop: Header=BB67_3 Depth=1
	s_or_b32 exec_lo, exec_lo, s8
	v_mov_b64_e32 v[40:41], 0
	s_wait_dscnt 0x0
	s_barrier_signal -1
	s_barrier_wait -1
	s_and_saveexec_b32 s96, s2
	s_cbranch_execz .LBB67_806
; %bb.801:                              ;   in Loop: Header=BB67_3 Depth=1
	ds_load_b64 v[40:41], v53 offset:24992
	ds_load_b64 v[42:43], v51 offset:24960
	s_wait_dscnt 0x0
	v_dual_mul_f32 v0, v43, v41 :: v_dual_mul_f32 v41, v42, v41
	s_delay_alu instid0(VALU_DEP_1) | instskip(NEXT) | instid1(VALU_DEP_1)
	v_dual_fma_f32 v0, v42, v40, -v0 :: v_dual_fmac_f32 v41, v43, v40
	v_dual_add_f32 v40, 0, v0 :: v_dual_add_f32 v41, 0, v41
	s_and_saveexec_b32 s8, s12
	s_cbranch_execnz .LBB67_1040
; %bb.802:                              ;   in Loop: Header=BB67_3 Depth=1
	s_or_b32 exec_lo, exec_lo, s8
	s_and_saveexec_b32 s8, s13
	s_cbranch_execnz .LBB67_1041
.LBB67_803:                             ;   in Loop: Header=BB67_3 Depth=1
	s_or_b32 exec_lo, exec_lo, s8
	s_and_saveexec_b32 s8, s1
	s_cbranch_execz .LBB67_805
.LBB67_804:                             ;   in Loop: Header=BB67_3 Depth=1
	ds_load_b64 v[42:43], v49 offset:26528
	ds_load_b64 v[44:45], v1 offset:24984
	s_wait_dscnt 0x0
	v_dual_mul_f32 v0, v45, v43 :: v_dual_mul_f32 v81, v44, v43
	s_delay_alu instid0(VALU_DEP_1) | instskip(NEXT) | instid1(VALU_DEP_1)
	v_dual_fma_f32 v80, v44, v42, -v0 :: v_dual_fmac_f32 v81, v45, v42
	v_pk_add_f32 v[40:41], v[40:41], v[80:81]
.LBB67_805:                             ;   in Loop: Header=BB67_3 Depth=1
	s_or_b32 exec_lo, exec_lo, s8
	s_delay_alu instid0(VALU_DEP_1)
	v_pk_add_f32 v[40:41], v[40:41], 0 neg_lo:[1,1] neg_hi:[1,1]
.LBB67_806:                             ;   in Loop: Header=BB67_3 Depth=1
	s_or_b32 exec_lo, exec_lo, s96
	s_and_saveexec_b32 s8, s45
; %bb.807:                              ;   in Loop: Header=BB67_3 Depth=1
	ds_store_b64 v52, v[40:41]
; %bb.808:                              ;   in Loop: Header=BB67_3 Depth=1
	s_or_b32 exec_lo, exec_lo, s8
	s_wait_dscnt 0x0
	s_barrier_signal -1
	s_barrier_wait -1
	s_and_saveexec_b32 s8, s46
	s_cbranch_execz .LBB67_810
; %bb.809:                              ;   in Loop: Header=BB67_3 Depth=1
	ds_load_b64 v[42:43], v50 offset:27040
	ds_load_b64 v[44:45], v52
	s_wait_dscnt 0x0
	v_pk_mul_f32 v[80:81], v[44:45], v[42:43] op_sel:[1,1] op_sel_hi:[0,1]
	s_delay_alu instid0(VALU_DEP_1) | instskip(SKIP_1) | instid1(VALU_DEP_2)
	v_pk_fma_f32 v[82:83], v[44:45], v[42:43], v[80:81] op_sel_hi:[1,0,1]
	v_pk_fma_f32 v[42:43], v[44:45], v[42:43], v[80:81] neg_lo:[0,0,1] neg_hi:[0,0,1]
	v_mov_b32_e32 v43, v83
	s_delay_alu instid0(VALU_DEP_1)
	v_pk_add_f32 v[40:41], v[40:41], v[42:43]
.LBB67_810:                             ;   in Loop: Header=BB67_3 Depth=1
	s_or_b32 exec_lo, exec_lo, s8
	s_barrier_signal -1
	s_barrier_wait -1
	s_and_saveexec_b32 s8, s47
; %bb.811:                              ;   in Loop: Header=BB67_3 Depth=1
	ds_store_b64 v52, v[40:41]
; %bb.812:                              ;   in Loop: Header=BB67_3 Depth=1
	s_or_b32 exec_lo, exec_lo, s8
	s_wait_dscnt 0x0
	s_barrier_signal -1
	s_barrier_wait -1
	s_and_saveexec_b32 s8, s48
	s_cbranch_execz .LBB67_814
; %bb.813:                              ;   in Loop: Header=BB67_3 Depth=1
	ds_load_b64 v[42:43], v50 offset:27552
	ds_load_b64 v[44:45], v52
	s_wait_dscnt 0x0
	v_pk_mul_f32 v[80:81], v[44:45], v[42:43] op_sel:[1,1] op_sel_hi:[0,1]
	s_delay_alu instid0(VALU_DEP_1) | instskip(SKIP_1) | instid1(VALU_DEP_2)
	v_pk_fma_f32 v[82:83], v[44:45], v[42:43], v[80:81] op_sel_hi:[1,0,1]
	v_pk_fma_f32 v[42:43], v[44:45], v[42:43], v[80:81] neg_lo:[0,0,1] neg_hi:[0,0,1]
	v_mov_b32_e32 v43, v83
	s_delay_alu instid0(VALU_DEP_1)
	v_pk_add_f32 v[40:41], v[40:41], v[42:43]
.LBB67_814:                             ;   in Loop: Header=BB67_3 Depth=1
	s_or_b32 exec_lo, exec_lo, s8
	s_barrier_signal -1
	s_barrier_wait -1
	;; [unrolled: 25-line block ×3, first 2 shown]
	s_and_saveexec_b32 s8, s50
; %bb.819:                              ;   in Loop: Header=BB67_3 Depth=1
	ds_store_b64 v52, v[40:41]
; %bb.820:                              ;   in Loop: Header=BB67_3 Depth=1
	s_or_b32 exec_lo, exec_lo, s8
	s_wait_dscnt 0x0
	s_barrier_signal -1
	s_barrier_wait -1
	s_barrier_signal -1
	s_barrier_wait -1
	s_and_saveexec_b32 s8, s2
; %bb.821:                              ;   in Loop: Header=BB67_3 Depth=1
	v_pk_add_f32 v[40:41], v[40:41], 0 neg_lo:[1,1] neg_hi:[1,1]
	ds_store_b64 v53, v[40:41] offset:24992
; %bb.822:                              ;   in Loop: Header=BB67_3 Depth=1
	s_or_b32 exec_lo, exec_lo, s8
	s_wait_dscnt 0x0
	s_barrier_signal -1
	s_barrier_wait -1
	s_barrier_signal -1
	s_barrier_wait -1
	s_and_saveexec_b32 s8, s10
; %bb.823:                              ;   in Loop: Header=BB67_3 Depth=1
	v_add_nc_u32_e64 v0, 0x6800, 0
	ds_store_2addr_b64 v0, v[38:39], v[38:39] offset0:52 offset1:117
; %bb.824:                              ;   in Loop: Header=BB67_3 Depth=1
	s_or_b32 exec_lo, exec_lo, s8
	v_mov_b64_e32 v[40:41], 0
	s_wait_dscnt 0x0
	s_barrier_signal -1
	s_barrier_wait -1
	s_and_saveexec_b32 s96, s1
	s_cbranch_execz .LBB67_828
; %bb.825:                              ;   in Loop: Header=BB67_3 Depth=1
	ds_load_b64 v[40:41], v47 offset:27056
	ds_load_b64 v[42:43], v48 offset:27040
	s_wait_dscnt 0x0
	v_pk_mul_f32 v[44:45], v[42:43], v[40:41] op_sel:[1,1] op_sel_hi:[0,1]
	s_delay_alu instid0(VALU_DEP_1) | instskip(SKIP_1) | instid1(VALU_DEP_2)
	v_pk_fma_f32 v[80:81], v[42:43], v[40:41], v[44:45] op_sel_hi:[1,0,1]
	v_pk_fma_f32 v[40:41], v[42:43], v[40:41], v[44:45] neg_lo:[0,0,1] neg_hi:[0,0,1]
	v_mov_b32_e32 v41, v81
	s_delay_alu instid0(VALU_DEP_1)
	v_pk_add_f32 v[40:41], v[40:41], 0 op_sel_hi:[1,0]
	s_and_saveexec_b32 s8, s11
	s_cbranch_execz .LBB67_827
; %bb.826:                              ;   in Loop: Header=BB67_3 Depth=1
	ds_load_b64 v[42:43], v49 offset:27568
	ds_load_b64 v[44:45], v1 offset:27048
	s_wait_dscnt 0x0
	v_pk_mul_f32 v[80:81], v[44:45], v[42:43] op_sel:[1,1] op_sel_hi:[0,1]
	s_delay_alu instid0(VALU_DEP_1) | instskip(SKIP_1) | instid1(VALU_DEP_2)
	v_pk_fma_f32 v[82:83], v[44:45], v[42:43], v[80:81] op_sel_hi:[1,0,1]
	v_pk_fma_f32 v[42:43], v[44:45], v[42:43], v[80:81] neg_lo:[0,0,1] neg_hi:[0,0,1]
	v_mov_b32_e32 v43, v83
	s_delay_alu instid0(VALU_DEP_1)
	v_pk_add_f32 v[40:41], v[40:41], v[42:43]
.LBB67_827:                             ;   in Loop: Header=BB67_3 Depth=1
	s_or_b32 exec_lo, exec_lo, s8
	s_delay_alu instid0(VALU_DEP_1)
	v_pk_add_f32 v[40:41], v[40:41], 0 neg_lo:[1,1] neg_hi:[1,1]
.LBB67_828:                             ;   in Loop: Header=BB67_3 Depth=1
	s_or_b32 exec_lo, exec_lo, s96
	s_and_saveexec_b32 s8, s43
; %bb.829:                              ;   in Loop: Header=BB67_3 Depth=1
	ds_store_b64 v46, v[40:41]
; %bb.830:                              ;   in Loop: Header=BB67_3 Depth=1
	s_or_b32 exec_lo, exec_lo, s8
	s_wait_dscnt 0x0
	s_barrier_signal -1
	s_barrier_wait -1
	s_and_saveexec_b32 s8, s44
	s_cbranch_execz .LBB67_832
; %bb.831:                              ;   in Loop: Header=BB67_3 Depth=1
	ds_load_b64 v[42:43], v1 offset:28088
	ds_load_b64 v[44:45], v46
	s_wait_dscnt 0x0
	v_pk_mul_f32 v[80:81], v[44:45], v[42:43] op_sel:[1,1] op_sel_hi:[0,1]
	s_delay_alu instid0(VALU_DEP_1) | instskip(SKIP_1) | instid1(VALU_DEP_2)
	v_pk_fma_f32 v[82:83], v[44:45], v[42:43], v[80:81] op_sel_hi:[1,0,1]
	v_pk_fma_f32 v[42:43], v[44:45], v[42:43], v[80:81] neg_lo:[0,0,1] neg_hi:[0,0,1]
	v_mov_b32_e32 v43, v83
	s_delay_alu instid0(VALU_DEP_1)
	v_pk_add_f32 v[40:41], v[40:41], v[42:43]
.LBB67_832:                             ;   in Loop: Header=BB67_3 Depth=1
	s_or_b32 exec_lo, exec_lo, s8
	s_barrier_signal -1
	s_barrier_wait -1
	s_and_saveexec_b32 s8, s44
; %bb.833:                              ;   in Loop: Header=BB67_3 Depth=1
	ds_store_b64 v46, v[40:41]
; %bb.834:                              ;   in Loop: Header=BB67_3 Depth=1
	s_or_b32 exec_lo, exec_lo, s8
	s_wait_dscnt 0x0
	s_barrier_signal -1
	s_barrier_wait -1
	s_barrier_signal -1
	s_barrier_wait -1
	s_and_saveexec_b32 s8, s1
; %bb.835:                              ;   in Loop: Header=BB67_3 Depth=1
	v_pk_add_f32 v[40:41], v[40:41], 0 neg_lo:[1,1] neg_hi:[1,1]
	ds_store_b64 v47, v[40:41] offset:27056
; %bb.836:                              ;   in Loop: Header=BB67_3 Depth=1
	s_or_b32 exec_lo, exec_lo, s8
	s_wait_dscnt 0x0
	s_barrier_signal -1
	s_barrier_wait -1
	s_barrier_signal -1
	s_barrier_wait -1
	s_and_saveexec_b32 s8, s10
; %bb.837:                              ;   in Loop: Header=BB67_3 Depth=1
	v_add_nc_u32_e64 v0, 0x6800, 0
	ds_store_2addr_b64 v0, v[38:39], v[38:39] offset0:182 offset1:247
; %bb.838:                              ;   in Loop: Header=BB67_3 Depth=1
	s_or_b32 exec_lo, exec_lo, s8
	v_mov_b64_e32 v[40:41], 0
	s_wait_dscnt 0x0
	s_barrier_signal -1
	s_barrier_wait -1
	s_and_saveexec_b32 s96, s3
	s_cbranch_execz .LBB67_848
; %bb.839:                              ;   in Loop: Header=BB67_3 Depth=1
	ds_load_b64 v[40:41], v58 offset:25024
	ds_load_b64 v[42:43], v55 offset:24960
	s_wait_dscnt 0x0
	v_dual_mul_f32 v0, v43, v41 :: v_dual_mul_f32 v41, v42, v41
	s_delay_alu instid0(VALU_DEP_1) | instskip(NEXT) | instid1(VALU_DEP_1)
	v_dual_fma_f32 v0, v42, v40, -v0 :: v_dual_fmac_f32 v41, v43, v40
	v_dual_add_f32 v40, 0, v0 :: v_dual_add_f32 v41, 0, v41
	s_and_saveexec_b32 s8, s14
	s_cbranch_execnz .LBB67_1042
; %bb.840:                              ;   in Loop: Header=BB67_3 Depth=1
	s_or_b32 exec_lo, exec_lo, s8
	s_and_saveexec_b32 s8, s15
	s_cbranch_execnz .LBB67_1043
.LBB67_841:                             ;   in Loop: Header=BB67_3 Depth=1
	s_or_b32 exec_lo, exec_lo, s8
	s_and_saveexec_b32 s8, s16
	s_cbranch_execnz .LBB67_1044
.LBB67_842:                             ;   in Loop: Header=BB67_3 Depth=1
	s_or_b32 exec_lo, exec_lo, s8
	s_and_saveexec_b32 s8, s17
	s_cbranch_execnz .LBB67_1045
.LBB67_843:                             ;   in Loop: Header=BB67_3 Depth=1
	s_or_b32 exec_lo, exec_lo, s8
	s_and_saveexec_b32 s8, s18
	s_cbranch_execnz .LBB67_1046
.LBB67_844:                             ;   in Loop: Header=BB67_3 Depth=1
	s_or_b32 exec_lo, exec_lo, s8
	s_and_saveexec_b32 s8, s2
	s_cbranch_execnz .LBB67_1047
.LBB67_845:                             ;   in Loop: Header=BB67_3 Depth=1
	s_or_b32 exec_lo, exec_lo, s8
	s_and_saveexec_b32 s8, s13
	s_cbranch_execz .LBB67_847
.LBB67_846:                             ;   in Loop: Header=BB67_3 Depth=1
	ds_load_b64 v[42:43], v49 offset:28608
	ds_load_b64 v[44:45], v1 offset:25016
	s_wait_dscnt 0x0
	v_pk_mul_f32 v[80:81], v[44:45], v[42:43] op_sel:[1,1] op_sel_hi:[0,1]
	s_delay_alu instid0(VALU_DEP_1) | instskip(SKIP_1) | instid1(VALU_DEP_2)
	v_pk_fma_f32 v[82:83], v[44:45], v[42:43], v[80:81] op_sel_hi:[1,0,1]
	v_pk_fma_f32 v[42:43], v[44:45], v[42:43], v[80:81] neg_lo:[0,0,1] neg_hi:[0,0,1]
	v_mov_b32_e32 v43, v83
	s_delay_alu instid0(VALU_DEP_1)
	v_pk_add_f32 v[40:41], v[40:41], v[42:43]
.LBB67_847:                             ;   in Loop: Header=BB67_3 Depth=1
	s_or_b32 exec_lo, exec_lo, s8
	s_delay_alu instid0(VALU_DEP_1)
	v_pk_add_f32 v[40:41], v[40:41], 0 neg_lo:[1,1] neg_hi:[1,1]
.LBB67_848:                             ;   in Loop: Header=BB67_3 Depth=1
	s_or_b32 exec_lo, exec_lo, s96
	s_and_saveexec_b32 s8, s51
; %bb.849:                              ;   in Loop: Header=BB67_3 Depth=1
	ds_store_b64 v57, v[40:41]
; %bb.850:                              ;   in Loop: Header=BB67_3 Depth=1
	s_or_b32 exec_lo, exec_lo, s8
	s_wait_dscnt 0x0
	s_barrier_signal -1
	s_barrier_wait -1
	s_and_saveexec_b32 s8, s52
	s_cbranch_execz .LBB67_852
; %bb.851:                              ;   in Loop: Header=BB67_3 Depth=1
	ds_load_b64 v[42:43], v56 offset:29120
	ds_load_b64 v[44:45], v57
	s_wait_dscnt 0x0
	v_pk_mul_f32 v[80:81], v[44:45], v[42:43] op_sel:[1,1] op_sel_hi:[0,1]
	s_delay_alu instid0(VALU_DEP_1) | instskip(SKIP_1) | instid1(VALU_DEP_2)
	v_pk_fma_f32 v[82:83], v[44:45], v[42:43], v[80:81] op_sel_hi:[1,0,1]
	v_pk_fma_f32 v[42:43], v[44:45], v[42:43], v[80:81] neg_lo:[0,0,1] neg_hi:[0,0,1]
	v_mov_b32_e32 v43, v83
	s_delay_alu instid0(VALU_DEP_1)
	v_pk_add_f32 v[40:41], v[40:41], v[42:43]
.LBB67_852:                             ;   in Loop: Header=BB67_3 Depth=1
	s_or_b32 exec_lo, exec_lo, s8
	s_barrier_signal -1
	s_barrier_wait -1
	s_and_saveexec_b32 s8, s53
; %bb.853:                              ;   in Loop: Header=BB67_3 Depth=1
	ds_store_b64 v57, v[40:41]
; %bb.854:                              ;   in Loop: Header=BB67_3 Depth=1
	s_or_b32 exec_lo, exec_lo, s8
	s_wait_dscnt 0x0
	s_barrier_signal -1
	s_barrier_wait -1
	s_and_saveexec_b32 s8, s54
	s_cbranch_execz .LBB67_856
; %bb.855:                              ;   in Loop: Header=BB67_3 Depth=1
	ds_load_b64 v[42:43], v56 offset:29632
	ds_load_b64 v[44:45], v57
	s_wait_dscnt 0x0
	v_dual_mul_f32 v0, v45, v43 :: v_dual_mul_f32 v43, v44, v43
	s_delay_alu instid0(VALU_DEP_1) | instskip(NEXT) | instid1(VALU_DEP_1)
	v_dual_fma_f32 v0, v44, v42, -v0 :: v_dual_fmac_f32 v43, v45, v42
	v_dual_add_f32 v40, v40, v0 :: v_dual_add_f32 v41, v41, v43
.LBB67_856:                             ;   in Loop: Header=BB67_3 Depth=1
	s_or_b32 exec_lo, exec_lo, s8
	s_barrier_signal -1
	s_barrier_wait -1
	s_and_saveexec_b32 s8, s55
; %bb.857:                              ;   in Loop: Header=BB67_3 Depth=1
	ds_store_b64 v57, v[40:41]
; %bb.858:                              ;   in Loop: Header=BB67_3 Depth=1
	s_or_b32 exec_lo, exec_lo, s8
	s_wait_dscnt 0x0
	s_barrier_signal -1
	s_barrier_wait -1
	s_and_saveexec_b32 s8, s56
	s_cbranch_execz .LBB67_860
; %bb.859:                              ;   in Loop: Header=BB67_3 Depth=1
	ds_load_b64 v[42:43], v56 offset:30144
	ds_load_b64 v[44:45], v57
	s_wait_dscnt 0x0
	v_dual_mul_f32 v0, v45, v43 :: v_dual_mul_f32 v81, v44, v43
	s_delay_alu instid0(VALU_DEP_1) | instskip(NEXT) | instid1(VALU_DEP_1)
	v_dual_fma_f32 v80, v44, v42, -v0 :: v_dual_fmac_f32 v81, v45, v42
	v_pk_add_f32 v[40:41], v[40:41], v[80:81]
.LBB67_860:                             ;   in Loop: Header=BB67_3 Depth=1
	s_or_b32 exec_lo, exec_lo, s8
	s_barrier_signal -1
	s_barrier_wait -1
	s_and_saveexec_b32 s8, s57
; %bb.861:                              ;   in Loop: Header=BB67_3 Depth=1
	ds_store_b64 v57, v[40:41]
; %bb.862:                              ;   in Loop: Header=BB67_3 Depth=1
	s_or_b32 exec_lo, exec_lo, s8
	s_wait_dscnt 0x0
	s_barrier_signal -1
	s_barrier_wait -1
	s_and_saveexec_b32 s8, s58
	s_cbranch_execz .LBB67_864
; %bb.863:                              ;   in Loop: Header=BB67_3 Depth=1
	ds_load_b64 v[42:43], v56 offset:30656
	ds_load_b64 v[44:45], v57
	s_wait_dscnt 0x0
	v_pk_mul_f32 v[80:81], v[44:45], v[42:43] op_sel:[1,1] op_sel_hi:[0,1]
	s_delay_alu instid0(VALU_DEP_1) | instskip(SKIP_1) | instid1(VALU_DEP_2)
	v_pk_fma_f32 v[82:83], v[44:45], v[42:43], v[80:81] op_sel_hi:[1,0,1]
	v_pk_fma_f32 v[42:43], v[44:45], v[42:43], v[80:81] neg_lo:[0,0,1] neg_hi:[0,0,1]
	v_mov_b32_e32 v43, v83
	s_delay_alu instid0(VALU_DEP_1)
	v_pk_add_f32 v[40:41], v[40:41], v[42:43]
.LBB67_864:                             ;   in Loop: Header=BB67_3 Depth=1
	s_or_b32 exec_lo, exec_lo, s8
	s_barrier_signal -1
	s_barrier_wait -1
	s_and_saveexec_b32 s8, s59
; %bb.865:                              ;   in Loop: Header=BB67_3 Depth=1
	ds_store_b64 v57, v[40:41]
; %bb.866:                              ;   in Loop: Header=BB67_3 Depth=1
	s_or_b32 exec_lo, exec_lo, s8
	s_wait_dscnt 0x0
	s_barrier_signal -1
	s_barrier_wait -1
	s_and_saveexec_b32 s8, s60
	s_cbranch_execz .LBB67_868
; %bb.867:                              ;   in Loop: Header=BB67_3 Depth=1
	ds_load_b64 v[42:43], v56 offset:31168
	ds_load_b64 v[44:45], v57
	s_wait_dscnt 0x0
	v_pk_mul_f32 v[80:81], v[44:45], v[42:43] op_sel:[1,1] op_sel_hi:[0,1]
	s_delay_alu instid0(VALU_DEP_1) | instskip(SKIP_1) | instid1(VALU_DEP_2)
	v_pk_fma_f32 v[82:83], v[44:45], v[42:43], v[80:81] op_sel_hi:[1,0,1]
	v_pk_fma_f32 v[42:43], v[44:45], v[42:43], v[80:81] neg_lo:[0,0,1] neg_hi:[0,0,1]
	v_mov_b32_e32 v43, v83
	s_delay_alu instid0(VALU_DEP_1)
	v_pk_add_f32 v[40:41], v[40:41], v[42:43]
.LBB67_868:                             ;   in Loop: Header=BB67_3 Depth=1
	;; [unrolled: 25-line block ×4, first 2 shown]
	s_or_b32 exec_lo, exec_lo, s8
	s_barrier_signal -1
	s_barrier_wait -1
	s_and_saveexec_b32 s8, s64
; %bb.877:                              ;   in Loop: Header=BB67_3 Depth=1
	ds_store_b64 v57, v[40:41]
; %bb.878:                              ;   in Loop: Header=BB67_3 Depth=1
	s_or_b32 exec_lo, exec_lo, s8
	s_wait_dscnt 0x0
	s_barrier_signal -1
	s_barrier_wait -1
	s_barrier_signal -1
	s_barrier_wait -1
	s_and_saveexec_b32 s8, s3
; %bb.879:                              ;   in Loop: Header=BB67_3 Depth=1
	v_pk_add_f32 v[40:41], v[40:41], 0 neg_lo:[1,1] neg_hi:[1,1]
	ds_store_b64 v58, v[40:41] offset:25024
; %bb.880:                              ;   in Loop: Header=BB67_3 Depth=1
	s_or_b32 exec_lo, exec_lo, s8
	s_wait_dscnt 0x0
	s_barrier_signal -1
	s_barrier_wait -1
	s_barrier_signal -1
	s_barrier_wait -1
	s_and_saveexec_b32 s8, s10
; %bb.881:                              ;   in Loop: Header=BB67_3 Depth=1
	v_add_nc_u32_e64 v0, 0x7000, 0
	ds_store_2addr_b64 v0, v[38:39], v[38:39] offset0:56 offset1:121
; %bb.882:                              ;   in Loop: Header=BB67_3 Depth=1
	s_or_b32 exec_lo, exec_lo, s8
	v_mov_b64_e32 v[40:41], 0
	s_wait_dscnt 0x0
	s_barrier_signal -1
	s_barrier_wait -1
	s_and_saveexec_b32 s96, s1
	s_cbranch_execz .LBB67_886
; %bb.883:                              ;   in Loop: Header=BB67_3 Depth=1
	ds_load_b64 v[40:41], v47 offset:29136
	ds_load_b64 v[42:43], v48 offset:29120
	s_wait_dscnt 0x0
	v_pk_mul_f32 v[44:45], v[42:43], v[40:41] op_sel:[1,1] op_sel_hi:[0,1]
	s_delay_alu instid0(VALU_DEP_1) | instskip(SKIP_1) | instid1(VALU_DEP_2)
	v_pk_fma_f32 v[80:81], v[42:43], v[40:41], v[44:45] op_sel_hi:[1,0,1]
	v_pk_fma_f32 v[40:41], v[42:43], v[40:41], v[44:45] neg_lo:[0,0,1] neg_hi:[0,0,1]
	v_mov_b32_e32 v41, v81
	s_delay_alu instid0(VALU_DEP_1)
	v_pk_add_f32 v[40:41], v[40:41], 0 op_sel_hi:[1,0]
	s_and_saveexec_b32 s8, s11
	s_cbranch_execz .LBB67_885
; %bb.884:                              ;   in Loop: Header=BB67_3 Depth=1
	ds_load_b64 v[42:43], v49 offset:29648
	ds_load_b64 v[44:45], v1 offset:29128
	s_wait_dscnt 0x0
	v_pk_mul_f32 v[80:81], v[44:45], v[42:43] op_sel:[1,1] op_sel_hi:[0,1]
	s_delay_alu instid0(VALU_DEP_1) | instskip(SKIP_1) | instid1(VALU_DEP_2)
	v_pk_fma_f32 v[82:83], v[44:45], v[42:43], v[80:81] op_sel_hi:[1,0,1]
	v_pk_fma_f32 v[42:43], v[44:45], v[42:43], v[80:81] neg_lo:[0,0,1] neg_hi:[0,0,1]
	v_mov_b32_e32 v43, v83
	s_delay_alu instid0(VALU_DEP_1)
	v_pk_add_f32 v[40:41], v[40:41], v[42:43]
.LBB67_885:                             ;   in Loop: Header=BB67_3 Depth=1
	s_or_b32 exec_lo, exec_lo, s8
	s_delay_alu instid0(VALU_DEP_1)
	v_pk_add_f32 v[40:41], v[40:41], 0 neg_lo:[1,1] neg_hi:[1,1]
.LBB67_886:                             ;   in Loop: Header=BB67_3 Depth=1
	s_or_b32 exec_lo, exec_lo, s96
	s_and_saveexec_b32 s8, s43
; %bb.887:                              ;   in Loop: Header=BB67_3 Depth=1
	ds_store_b64 v46, v[40:41]
; %bb.888:                              ;   in Loop: Header=BB67_3 Depth=1
	s_or_b32 exec_lo, exec_lo, s8
	s_wait_dscnt 0x0
	s_barrier_signal -1
	s_barrier_wait -1
	s_and_saveexec_b32 s8, s44
	s_cbranch_execz .LBB67_890
; %bb.889:                              ;   in Loop: Header=BB67_3 Depth=1
	ds_load_b64 v[42:43], v1 offset:30168
	ds_load_b64 v[44:45], v46
	s_wait_dscnt 0x0
	v_pk_mul_f32 v[80:81], v[44:45], v[42:43] op_sel:[1,1] op_sel_hi:[0,1]
	s_delay_alu instid0(VALU_DEP_1) | instskip(SKIP_1) | instid1(VALU_DEP_2)
	v_pk_fma_f32 v[82:83], v[44:45], v[42:43], v[80:81] op_sel_hi:[1,0,1]
	v_pk_fma_f32 v[42:43], v[44:45], v[42:43], v[80:81] neg_lo:[0,0,1] neg_hi:[0,0,1]
	v_mov_b32_e32 v43, v83
	s_delay_alu instid0(VALU_DEP_1)
	v_pk_add_f32 v[40:41], v[40:41], v[42:43]
.LBB67_890:                             ;   in Loop: Header=BB67_3 Depth=1
	s_or_b32 exec_lo, exec_lo, s8
	s_barrier_signal -1
	s_barrier_wait -1
	s_and_saveexec_b32 s8, s44
; %bb.891:                              ;   in Loop: Header=BB67_3 Depth=1
	ds_store_b64 v46, v[40:41]
; %bb.892:                              ;   in Loop: Header=BB67_3 Depth=1
	s_or_b32 exec_lo, exec_lo, s8
	s_wait_dscnt 0x0
	s_barrier_signal -1
	s_barrier_wait -1
	s_barrier_signal -1
	s_barrier_wait -1
	s_and_saveexec_b32 s8, s1
; %bb.893:                              ;   in Loop: Header=BB67_3 Depth=1
	v_pk_add_f32 v[40:41], v[40:41], 0 neg_lo:[1,1] neg_hi:[1,1]
	ds_store_b64 v47, v[40:41] offset:29136
; %bb.894:                              ;   in Loop: Header=BB67_3 Depth=1
	s_or_b32 exec_lo, exec_lo, s8
	s_wait_dscnt 0x0
	s_barrier_signal -1
	s_barrier_wait -1
	s_barrier_signal -1
	s_barrier_wait -1
	s_and_saveexec_b32 s8, s10
; %bb.895:                              ;   in Loop: Header=BB67_3 Depth=1
	v_add_nc_u32_e64 v0, 0x7000, 0
	ds_store_2addr_b64 v0, v[38:39], v[38:39] offset0:186 offset1:251
; %bb.896:                              ;   in Loop: Header=BB67_3 Depth=1
	s_or_b32 exec_lo, exec_lo, s8
	v_mov_b64_e32 v[40:41], 0
	s_wait_dscnt 0x0
	s_barrier_signal -1
	s_barrier_wait -1
	s_and_saveexec_b32 s96, s2
	s_cbranch_execz .LBB67_902
; %bb.897:                              ;   in Loop: Header=BB67_3 Depth=1
	ds_load_b64 v[40:41], v53 offset:29152
	ds_load_b64 v[42:43], v51 offset:29120
	s_wait_dscnt 0x0
	v_dual_mul_f32 v0, v43, v41 :: v_dual_mul_f32 v41, v42, v41
	s_delay_alu instid0(VALU_DEP_1) | instskip(NEXT) | instid1(VALU_DEP_1)
	v_dual_fma_f32 v0, v42, v40, -v0 :: v_dual_fmac_f32 v41, v43, v40
	v_dual_add_f32 v40, 0, v0 :: v_dual_add_f32 v41, 0, v41
	s_and_saveexec_b32 s8, s12
	s_cbranch_execnz .LBB67_1048
; %bb.898:                              ;   in Loop: Header=BB67_3 Depth=1
	s_or_b32 exec_lo, exec_lo, s8
	s_and_saveexec_b32 s8, s13
	s_cbranch_execnz .LBB67_1049
.LBB67_899:                             ;   in Loop: Header=BB67_3 Depth=1
	s_or_b32 exec_lo, exec_lo, s8
	s_and_saveexec_b32 s8, s1
	s_cbranch_execz .LBB67_901
.LBB67_900:                             ;   in Loop: Header=BB67_3 Depth=1
	ds_load_b64 v[42:43], v49 offset:30688
	ds_load_b64 v[44:45], v1 offset:29144
	s_wait_dscnt 0x0
	v_dual_mul_f32 v0, v45, v43 :: v_dual_mul_f32 v81, v44, v43
	s_delay_alu instid0(VALU_DEP_1) | instskip(NEXT) | instid1(VALU_DEP_1)
	v_dual_fma_f32 v80, v44, v42, -v0 :: v_dual_fmac_f32 v81, v45, v42
	v_pk_add_f32 v[40:41], v[40:41], v[80:81]
.LBB67_901:                             ;   in Loop: Header=BB67_3 Depth=1
	s_or_b32 exec_lo, exec_lo, s8
	s_delay_alu instid0(VALU_DEP_1)
	v_pk_add_f32 v[40:41], v[40:41], 0 neg_lo:[1,1] neg_hi:[1,1]
.LBB67_902:                             ;   in Loop: Header=BB67_3 Depth=1
	s_or_b32 exec_lo, exec_lo, s96
	s_and_saveexec_b32 s8, s45
; %bb.903:                              ;   in Loop: Header=BB67_3 Depth=1
	ds_store_b64 v52, v[40:41]
; %bb.904:                              ;   in Loop: Header=BB67_3 Depth=1
	s_or_b32 exec_lo, exec_lo, s8
	s_wait_dscnt 0x0
	s_barrier_signal -1
	s_barrier_wait -1
	s_and_saveexec_b32 s8, s46
	s_cbranch_execz .LBB67_906
; %bb.905:                              ;   in Loop: Header=BB67_3 Depth=1
	ds_load_b64 v[42:43], v50 offset:31200
	ds_load_b64 v[44:45], v52
	s_wait_dscnt 0x0
	v_pk_mul_f32 v[80:81], v[44:45], v[42:43] op_sel:[1,1] op_sel_hi:[0,1]
	s_delay_alu instid0(VALU_DEP_1) | instskip(SKIP_1) | instid1(VALU_DEP_2)
	v_pk_fma_f32 v[82:83], v[44:45], v[42:43], v[80:81] op_sel_hi:[1,0,1]
	v_pk_fma_f32 v[42:43], v[44:45], v[42:43], v[80:81] neg_lo:[0,0,1] neg_hi:[0,0,1]
	v_mov_b32_e32 v43, v83
	s_delay_alu instid0(VALU_DEP_1)
	v_pk_add_f32 v[40:41], v[40:41], v[42:43]
.LBB67_906:                             ;   in Loop: Header=BB67_3 Depth=1
	s_or_b32 exec_lo, exec_lo, s8
	s_barrier_signal -1
	s_barrier_wait -1
	s_and_saveexec_b32 s8, s47
; %bb.907:                              ;   in Loop: Header=BB67_3 Depth=1
	ds_store_b64 v52, v[40:41]
; %bb.908:                              ;   in Loop: Header=BB67_3 Depth=1
	s_or_b32 exec_lo, exec_lo, s8
	s_wait_dscnt 0x0
	s_barrier_signal -1
	s_barrier_wait -1
	s_and_saveexec_b32 s8, s48
	s_cbranch_execz .LBB67_910
; %bb.909:                              ;   in Loop: Header=BB67_3 Depth=1
	ds_load_b64 v[42:43], v50 offset:31712
	ds_load_b64 v[44:45], v52
	s_wait_dscnt 0x0
	v_pk_mul_f32 v[80:81], v[44:45], v[42:43] op_sel:[1,1] op_sel_hi:[0,1]
	s_delay_alu instid0(VALU_DEP_1) | instskip(SKIP_1) | instid1(VALU_DEP_2)
	v_pk_fma_f32 v[82:83], v[44:45], v[42:43], v[80:81] op_sel_hi:[1,0,1]
	v_pk_fma_f32 v[42:43], v[44:45], v[42:43], v[80:81] neg_lo:[0,0,1] neg_hi:[0,0,1]
	v_mov_b32_e32 v43, v83
	s_delay_alu instid0(VALU_DEP_1)
	v_pk_add_f32 v[40:41], v[40:41], v[42:43]
.LBB67_910:                             ;   in Loop: Header=BB67_3 Depth=1
	s_or_b32 exec_lo, exec_lo, s8
	s_barrier_signal -1
	s_barrier_wait -1
	;; [unrolled: 25-line block ×3, first 2 shown]
	s_and_saveexec_b32 s8, s50
; %bb.915:                              ;   in Loop: Header=BB67_3 Depth=1
	ds_store_b64 v52, v[40:41]
; %bb.916:                              ;   in Loop: Header=BB67_3 Depth=1
	s_or_b32 exec_lo, exec_lo, s8
	s_wait_dscnt 0x0
	s_barrier_signal -1
	s_barrier_wait -1
	s_barrier_signal -1
	s_barrier_wait -1
	s_and_saveexec_b32 s8, s2
; %bb.917:                              ;   in Loop: Header=BB67_3 Depth=1
	v_pk_add_f32 v[40:41], v[40:41], 0 neg_lo:[1,1] neg_hi:[1,1]
	ds_store_b64 v53, v[40:41] offset:29152
; %bb.918:                              ;   in Loop: Header=BB67_3 Depth=1
	s_or_b32 exec_lo, exec_lo, s8
	s_wait_dscnt 0x0
	s_barrier_signal -1
	s_barrier_wait -1
	s_barrier_signal -1
	s_barrier_wait -1
	s_and_saveexec_b32 s8, s10
; %bb.919:                              ;   in Loop: Header=BB67_3 Depth=1
	v_add_nc_u32_e64 v0, 0x7800, 0
	ds_store_2addr_b64 v0, v[38:39], v[38:39] offset0:60 offset1:125
; %bb.920:                              ;   in Loop: Header=BB67_3 Depth=1
	s_or_b32 exec_lo, exec_lo, s8
	v_mov_b64_e32 v[40:41], 0
	s_wait_dscnt 0x0
	s_barrier_signal -1
	s_barrier_wait -1
	s_and_saveexec_b32 s96, s1
	s_cbranch_execz .LBB67_924
; %bb.921:                              ;   in Loop: Header=BB67_3 Depth=1
	ds_load_b64 v[40:41], v47 offset:31216
	ds_load_b64 v[42:43], v48 offset:31200
	s_wait_dscnt 0x0
	v_pk_mul_f32 v[44:45], v[42:43], v[40:41] op_sel:[1,1] op_sel_hi:[0,1]
	s_delay_alu instid0(VALU_DEP_1) | instskip(SKIP_1) | instid1(VALU_DEP_2)
	v_pk_fma_f32 v[80:81], v[42:43], v[40:41], v[44:45] op_sel_hi:[1,0,1]
	v_pk_fma_f32 v[40:41], v[42:43], v[40:41], v[44:45] neg_lo:[0,0,1] neg_hi:[0,0,1]
	v_mov_b32_e32 v41, v81
	s_delay_alu instid0(VALU_DEP_1)
	v_pk_add_f32 v[40:41], v[40:41], 0 op_sel_hi:[1,0]
	s_and_saveexec_b32 s8, s11
	s_cbranch_execz .LBB67_923
; %bb.922:                              ;   in Loop: Header=BB67_3 Depth=1
	ds_load_b64 v[42:43], v49 offset:31728
	ds_load_b64 v[44:45], v1 offset:31208
	s_wait_dscnt 0x0
	v_pk_mul_f32 v[80:81], v[44:45], v[42:43] op_sel:[1,1] op_sel_hi:[0,1]
	s_delay_alu instid0(VALU_DEP_1) | instskip(SKIP_1) | instid1(VALU_DEP_2)
	v_pk_fma_f32 v[82:83], v[44:45], v[42:43], v[80:81] op_sel_hi:[1,0,1]
	v_pk_fma_f32 v[42:43], v[44:45], v[42:43], v[80:81] neg_lo:[0,0,1] neg_hi:[0,0,1]
	v_mov_b32_e32 v43, v83
	s_delay_alu instid0(VALU_DEP_1)
	v_pk_add_f32 v[40:41], v[40:41], v[42:43]
.LBB67_923:                             ;   in Loop: Header=BB67_3 Depth=1
	s_or_b32 exec_lo, exec_lo, s8
	s_delay_alu instid0(VALU_DEP_1)
	v_pk_add_f32 v[40:41], v[40:41], 0 neg_lo:[1,1] neg_hi:[1,1]
.LBB67_924:                             ;   in Loop: Header=BB67_3 Depth=1
	s_or_b32 exec_lo, exec_lo, s96
	s_and_saveexec_b32 s8, s43
; %bb.925:                              ;   in Loop: Header=BB67_3 Depth=1
	ds_store_b64 v46, v[40:41]
; %bb.926:                              ;   in Loop: Header=BB67_3 Depth=1
	s_or_b32 exec_lo, exec_lo, s8
	s_wait_dscnt 0x0
	s_barrier_signal -1
	s_barrier_wait -1
	s_and_saveexec_b32 s8, s44
	s_cbranch_execz .LBB67_928
; %bb.927:                              ;   in Loop: Header=BB67_3 Depth=1
	ds_load_b64 v[42:43], v1 offset:32248
	ds_load_b64 v[44:45], v46
	s_wait_dscnt 0x0
	v_pk_mul_f32 v[80:81], v[44:45], v[42:43] op_sel:[1,1] op_sel_hi:[0,1]
	s_delay_alu instid0(VALU_DEP_1) | instskip(SKIP_1) | instid1(VALU_DEP_2)
	v_pk_fma_f32 v[82:83], v[44:45], v[42:43], v[80:81] op_sel_hi:[1,0,1]
	v_pk_fma_f32 v[42:43], v[44:45], v[42:43], v[80:81] neg_lo:[0,0,1] neg_hi:[0,0,1]
	v_mov_b32_e32 v43, v83
	s_delay_alu instid0(VALU_DEP_1)
	v_pk_add_f32 v[40:41], v[40:41], v[42:43]
.LBB67_928:                             ;   in Loop: Header=BB67_3 Depth=1
	s_or_b32 exec_lo, exec_lo, s8
	s_barrier_signal -1
	s_barrier_wait -1
	s_and_saveexec_b32 s8, s44
; %bb.929:                              ;   in Loop: Header=BB67_3 Depth=1
	ds_store_b64 v46, v[40:41]
; %bb.930:                              ;   in Loop: Header=BB67_3 Depth=1
	s_or_b32 exec_lo, exec_lo, s8
	s_wait_dscnt 0x0
	s_barrier_signal -1
	s_barrier_wait -1
	s_barrier_signal -1
	s_barrier_wait -1
	s_and_saveexec_b32 s8, s1
; %bb.931:                              ;   in Loop: Header=BB67_3 Depth=1
	v_pk_add_f32 v[40:41], v[40:41], 0 neg_lo:[1,1] neg_hi:[1,1]
	ds_store_b64 v47, v[40:41] offset:31216
; %bb.932:                              ;   in Loop: Header=BB67_3 Depth=1
	s_or_b32 exec_lo, exec_lo, s8
	s_wait_dscnt 0x0
	s_barrier_signal -1
	s_barrier_wait -1
	s_barrier_signal -1
	s_barrier_wait -1
	s_and_saveexec_b32 s8, s10
; %bb.933:                              ;   in Loop: Header=BB67_3 Depth=1
	v_add_nc_u32_e64 v0, 0x7800, 0
	ds_store_2addr_b64 v0, v[38:39], v[38:39] offset0:190 offset1:255
; %bb.934:                              ;   in Loop: Header=BB67_3 Depth=1
	s_or_b32 exec_lo, exec_lo, s8
.LBB67_935:                             ;   in Loop: Header=BB67_3 Depth=1
	v_readlane_b32 s8, v94, 2
	v_mov_b64_e32 v[40:41], 0
	v_readlane_b32 s9, v94, 3
	s_mul_u64 s[96:97], s[78:79], s[80:81]
	s_wait_dscnt 0x0
	s_lshl_b64 s[96:97], s[96:97], 3
	s_barrier_signal -1
	s_add_nc_u64 s[96:97], s[8:9], s[96:97]
	s_barrier_wait -1
	s_and_saveexec_b32 s8, s19
	s_cbranch_execz .LBB67_937
; %bb.936:                              ;   in Loop: Header=BB67_3 Depth=1
	v_lshl_add_u64 v[40:41], v[12:13], 3, s[96:97]
	v_readlane_b32 s98, v94, 20
	v_readlane_b32 s99, v94, 21
	global_load_b64 v[40:41], v[40:41], off
	v_mov_b64_e32 v[42:43], s[98:99]
	v_readlane_b32 s98, v94, 22
	v_readlane_b32 s99, v94, 23
	s_delay_alu instid0(VALU_DEP_1) | instskip(SKIP_1) | instid1(VALU_DEP_4)
	v_mov_b64_e32 v[44:45], s[98:99]
	s_wait_loadcnt 0x0
	v_pk_mul_f32 v[42:43], v[42:43], v[40:41]
	s_wait_xcnt 0x0
	s_delay_alu instid0(VALU_DEP_1)
	v_pk_fma_f32 v[40:41], v[44:45], v[40:41], v[42:43] op_sel:[0,0,1] op_sel_hi:[1,1,0] neg_lo:[1,0,0] neg_hi:[1,0,0]
.LBB67_937:                             ;   in Loop: Header=BB67_3 Depth=1
	s_or_b32 exec_lo, exec_lo, s8
	s_delay_alu instid0(SALU_CYCLE_1)
	s_and_not1_b32 vcc_lo, exec_lo, s21
	s_cbranch_vccnz .LBB67_956
; %bb.938:                              ;   in Loop: Header=BB67_3 Depth=1
	v_lshl_add_u64 v[42:43], v[8:9], 3, s[66:67]
	v_mov_b32_e32 v79, -1
	s_lshl_b64 s[98:99], s[80:81], 2
	s_mov_b32 s67, 0
	s_add_nc_u64 s[98:99], s[82:83], s[98:99]
	s_branch .LBB67_940
.LBB67_939:                             ;   in Loop: Header=BB67_940 Depth=2
	s_or_b32 exec_lo, exec_lo, s8
	s_add_co_i32 s67, s67, 1
	s_delay_alu instid0(SALU_CYCLE_1)
	s_cmp_eq_u32 s67, s102
	s_cbranch_scc1 .LBB67_956
.LBB67_940:                             ;   Parent Loop BB67_3 Depth=1
                                        ; =>  This Loop Header: Depth=2
                                        ;       Child Loop BB67_942 Depth 3
	v_cmp_gt_i32_e32 vcc_lo, s67, v79
	s_and_b32 s66, s31, vcc_lo
	s_delay_alu instid0(SALU_CYCLE_1)
	s_and_saveexec_b32 s8, s66
	s_cbranch_execz .LBB67_943
; %bb.941:                              ;   in Loop: Header=BB67_940 Depth=2
	global_load_b32 v79, v1, s[98:99]
	s_wait_loadcnt 0x0
	v_cmp_le_i32_e32 vcc_lo, s67, v79
	s_cbranch_vccnz .LBB67_943
.LBB67_942:                             ;   Parent Loop BB67_3 Depth=1
                                        ;     Parent Loop BB67_940 Depth=2
                                        ; =>    This Inner Loop Header: Depth=3
	global_wb scope:SCOPE_DEV
	s_wait_storecnt 0x0
	global_inv scope:SCOPE_DEV
	global_load_b32 v79, v1, s[98:99]
	s_wait_loadcnt 0x0
	v_cmp_gt_i32_e32 vcc_lo, s67, v79
	s_cbranch_vccnz .LBB67_942
.LBB67_943:                             ;   in Loop: Header=BB67_940 Depth=2
	s_wait_xcnt 0x0
	s_or_b32 exec_lo, exec_lo, s8
	s_lshl_b32 s66, s67, 6
	global_wb scope:SCOPE_DEV
	s_wait_storecnt 0x0
	global_inv scope:SCOPE_DEV
	s_wait_loadcnt 0x0
	s_barrier_signal -1
	s_barrier_wait -1
	s_and_saveexec_b32 s8, s33
	s_cbranch_execz .LBB67_948
; %bb.944:                              ;   in Loop: Header=BB67_940 Depth=2
	v_or_b32_e32 v0, s66, v6
	s_delay_alu instid0(VALU_DEP_1) | instskip(SKIP_1) | instid1(SALU_CYCLE_1)
	v_cmp_le_i32_e32 vcc_lo, s101, v0
	s_and_saveexec_b32 s9, vcc_lo
	s_xor_b32 vcc_lo, exec_lo, s9
; %bb.945:                              ;   in Loop: Header=BB67_940 Depth=2
	ds_store_b64 v71, v[36:37]
; %bb.946:                              ;   in Loop: Header=BB67_940 Depth=2
	s_and_not1_saveexec_b32 s6, vcc_lo
	s_cbranch_execz .LBB67_948
; %bb.947:                              ;   in Loop: Header=BB67_940 Depth=2
	v_mul_u64_e32 v[44:45], s[76:77], v[0:1]
	s_delay_alu instid0(VALU_DEP_1)
	v_lshl_add_u64 v[44:45], v[44:45], 3, s[96:97]
	global_load_b64 v[44:45], v[44:45], off
	s_wait_loadcnt 0x0
	ds_store_b64 v71, v[44:45]
.LBB67_948:                             ;   in Loop: Header=BB67_940 Depth=2
	s_or_b32 exec_lo, exec_lo, s8
	v_add_nc_u32_e32 v0, s66, v2
	s_wait_dscnt 0x0
	v_cmp_eq_u32_e32 vcc_lo, s67, v5
	s_barrier_signal -1
	s_barrier_wait -1
	v_mul_u64_e32 v[44:45], s[68:69], v[0:1]
	v_cmp_gt_i32_e64 s66, s101, v0
	s_and_b32 s6, s0, s66
	v_lshl_add_u64 v[44:45], v[44:45], 3, v[42:43]
	s_and_saveexec_b32 s8, s6
	s_cbranch_execz .LBB67_950
; %bb.949:                              ;   in Loop: Header=BB67_940 Depth=2
	s_delay_alu instid0(VALU_DEP_1) | instskip(SKIP_4) | instid1(VALU_DEP_1)
	v_dual_cndmask_b32 v81, v45, v27 :: v_dual_cndmask_b32 v80, v44, v26
	ds_load_b64 v[82:83], v72
	flat_load_b64 v[80:81], v[80:81]
	s_wait_loadcnt_dscnt 0x0
	v_dual_mul_f32 v84, v83, v81 :: v_dual_mul_f32 v81, v82, v81
	v_dual_fma_f32 v82, v82, v80, -v84 :: v_dual_fmac_f32 v81, v83, v80
	s_delay_alu instid0(VALU_DEP_1)
	v_dual_add_f32 v40, v40, v82 :: v_dual_add_f32 v41, v41, v81
.LBB67_950:                             ;   in Loop: Header=BB67_940 Depth=2
	s_or_b32 exec_lo, exec_lo, s8
	v_add_nc_u32_e32 v80, 16, v0
	s_delay_alu instid0(VALU_DEP_1) | instskip(SKIP_1) | instid1(SALU_CYCLE_1)
	v_cmp_gt_i32_e64 s66, s101, v80
	s_and_b32 s6, s0, s66
	s_and_saveexec_b32 s8, s6
	s_cbranch_execz .LBB67_952
; %bb.951:                              ;   in Loop: Header=BB67_940 Depth=2
	v_add_nc_u64_e32 v[80:81], s[90:91], v[44:45]
	ds_load_b64 v[82:83], v72 offset:128
	v_dual_cndmask_b32 v81, v81, v29 :: v_dual_cndmask_b32 v80, v80, v28
	flat_load_b64 v[80:81], v[80:81]
	s_wait_loadcnt_dscnt 0x0
	v_dual_mul_f32 v84, v83, v81 :: v_dual_mul_f32 v81, v82, v81
	s_delay_alu instid0(VALU_DEP_1) | instskip(NEXT) | instid1(VALU_DEP_1)
	v_dual_fma_f32 v82, v82, v80, -v84 :: v_dual_fmac_f32 v81, v83, v80
	v_dual_add_f32 v40, v40, v82 :: v_dual_add_f32 v41, v41, v81
.LBB67_952:                             ;   in Loop: Header=BB67_940 Depth=2
	s_or_b32 exec_lo, exec_lo, s8
	v_add_nc_u32_e32 v80, 32, v0
	s_delay_alu instid0(VALU_DEP_1) | instskip(SKIP_1) | instid1(SALU_CYCLE_1)
	v_cmp_gt_i32_e64 s66, s101, v80
	s_and_b32 s6, s0, s66
	s_and_saveexec_b32 s8, s6
	s_cbranch_execz .LBB67_954
; %bb.953:                              ;   in Loop: Header=BB67_940 Depth=2
	v_add_nc_u64_e32 v[80:81], s[92:93], v[44:45]
	ds_load_b64 v[82:83], v72 offset:256
	v_dual_cndmask_b32 v81, v81, v31 :: v_dual_cndmask_b32 v80, v80, v30
	flat_load_b64 v[80:81], v[80:81]
	s_wait_loadcnt_dscnt 0x0
	v_dual_mul_f32 v84, v83, v81 :: v_dual_mul_f32 v85, v82, v81
	s_delay_alu instid0(VALU_DEP_1) | instskip(NEXT) | instid1(VALU_DEP_1)
	v_dual_fma_f32 v84, v82, v80, -v84 :: v_dual_fmac_f32 v85, v83, v80
	v_pk_add_f32 v[40:41], v[40:41], v[84:85]
.LBB67_954:                             ;   in Loop: Header=BB67_940 Depth=2
	s_or_b32 exec_lo, exec_lo, s8
	v_add_nc_u32_e32 v0, 48, v0
	s_delay_alu instid0(VALU_DEP_1) | instskip(SKIP_1) | instid1(SALU_CYCLE_1)
	v_cmp_gt_i32_e64 s66, s101, v0
	s_and_b32 s6, s0, s66
	s_and_saveexec_b32 s8, s6
	s_cbranch_execz .LBB67_939
; %bb.955:                              ;   in Loop: Header=BB67_940 Depth=2
	v_add_nc_u64_e32 v[44:45], s[94:95], v[44:45]
	ds_load_b64 v[80:81], v72 offset:384
	v_dual_cndmask_b32 v45, v45, v33 :: v_dual_cndmask_b32 v44, v44, v32
	flat_load_b64 v[44:45], v[44:45]
	s_wait_loadcnt_dscnt 0x0
	v_pk_mul_f32 v[82:83], v[80:81], v[44:45] op_sel:[1,1] op_sel_hi:[0,1]
	s_delay_alu instid0(VALU_DEP_1) | instskip(SKIP_1) | instid1(VALU_DEP_2)
	v_pk_fma_f32 v[84:85], v[80:81], v[44:45], v[82:83] op_sel_hi:[1,0,1]
	v_pk_fma_f32 v[44:45], v[80:81], v[44:45], v[82:83] neg_lo:[0,0,1] neg_hi:[0,0,1]
	v_mov_b32_e32 v45, v85
	s_delay_alu instid0(VALU_DEP_1)
	v_pk_add_f32 v[40:41], v[40:41], v[44:45]
	s_branch .LBB67_939
.LBB67_956:                             ;   in Loop: Header=BB67_3 Depth=1
	ds_store_b64 v73, v[40:41]
	s_wait_dscnt 0x0
	s_barrier_signal -1
	s_barrier_wait -1
	s_and_saveexec_b32 s66, s5
	s_cbranch_execz .LBB67_958
; %bb.957:                              ;   in Loop: Header=BB67_3 Depth=1
	ds_load_2addr_stride64_b64 v[42:45], v74 offset0:1 offset1:2
	ds_load_2addr_stride64_b64 v[80:83], v74 offset0:3 offset1:4
	;; [unrolled: 1-line block ×3, first 2 shown]
	s_wait_dscnt 0x2
	v_pk_add_f32 v[40:41], v[40:41], v[42:43]
	s_delay_alu instid0(VALU_DEP_1) | instskip(SKIP_3) | instid1(VALU_DEP_1)
	v_pk_add_f32 v[44:45], v[40:41], v[44:45]
	ds_load_2addr_stride64_b64 v[40:43], v74 offset0:7 offset1:8
	s_wait_dscnt 0x2
	v_pk_add_f32 v[44:45], v[44:45], v[80:81]
	v_pk_add_f32 v[44:45], v[44:45], v[82:83]
	ds_load_2addr_stride64_b64 v[80:83], v74 offset0:9 offset1:10
	s_wait_dscnt 0x2
	v_pk_add_f32 v[44:45], v[44:45], v[84:85]
	s_delay_alu instid0(VALU_DEP_1) | instskip(SKIP_3) | instid1(VALU_DEP_1)
	v_pk_add_f32 v[44:45], v[44:45], v[86:87]
	ds_load_2addr_stride64_b64 v[84:87], v74 offset0:11 offset1:12
	s_wait_dscnt 0x2
	v_pk_add_f32 v[40:41], v[44:45], v[40:41]
	v_pk_add_f32 v[44:45], v[40:41], v[42:43]
	ds_load_2addr_stride64_b64 v[40:43], v74 offset0:13 offset1:14
	s_wait_dscnt 0x2
	v_pk_add_f32 v[44:45], v[44:45], v[80:81]
	ds_load_b64 v[80:81], v74 offset:7680
	v_pk_add_f32 v[44:45], v[44:45], v[82:83]
	s_wait_dscnt 0x2
	s_delay_alu instid0(VALU_DEP_1) | instskip(NEXT) | instid1(VALU_DEP_1)
	v_pk_add_f32 v[44:45], v[44:45], v[84:85]
	v_pk_add_f32 v[44:45], v[44:45], v[86:87]
	s_wait_dscnt 0x1
	s_delay_alu instid0(VALU_DEP_1) | instskip(NEXT) | instid1(VALU_DEP_1)
	v_pk_add_f32 v[40:41], v[44:45], v[40:41]
	;; [unrolled: 4-line block ×3, first 2 shown]
	v_cndmask_b32_e64 v41, -v41, 0, s65
	s_delay_alu instid0(VALU_DEP_2)
	v_cndmask_b32_e64 v40, -v40, 0, s65
.LBB67_958:                             ;   in Loop: Header=BB67_3 Depth=1
	s_or_b32 exec_lo, exec_lo, s66
	s_delay_alu instid0(SALU_CYCLE_1)
	s_and_not1_b32 vcc_lo, exec_lo, vcc_hi
	s_cbranch_vccnz .LBB67_971
; %bb.959:                              ;   in Loop: Header=BB67_3 Depth=1
	s_and_saveexec_b32 s8, s5
; %bb.960:                              ;   in Loop: Header=BB67_3 Depth=1
	ds_store_b64 v76, v[40:41]
; %bb.961:                              ;   in Loop: Header=BB67_3 Depth=1
	s_or_b32 exec_lo, exec_lo, s8
	v_mov_b64_e32 v[42:43], 0
	s_wait_dscnt 0x0
	s_barrier_signal -1
	s_barrier_wait -1
	s_mov_b32 s8, exec_lo
	v_readlane_b32 s6, v93, 3
	s_and_b32 s6, s8, s6
	s_delay_alu instid0(SALU_CYCLE_1)
	s_mov_b32 exec_lo, s6
	s_cbranch_execz .LBB67_963
; %bb.962:                              ;   in Loop: Header=BB67_3 Depth=1
	ds_load_b64 v[42:43], v75
	ds_load_b64 v[44:45], v72
	s_wait_dscnt 0x0
	v_dual_mul_f32 v0, v45, v43 :: v_dual_mul_f32 v43, v44, v43
	s_delay_alu instid0(VALU_DEP_1) | instskip(NEXT) | instid1(VALU_DEP_1)
	v_dual_fma_f32 v0, v44, v42, -v0 :: v_dual_fmac_f32 v43, v45, v42
	v_dual_add_f32 v42, 0, v0 :: v_dual_add_f32 v43, 0, v43
.LBB67_963:                             ;   in Loop: Header=BB67_3 Depth=1
	s_or_b32 exec_lo, exec_lo, s8
	s_delay_alu instid0(SALU_CYCLE_1) | instskip(SKIP_2) | instid1(SALU_CYCLE_1)
	s_mov_b32 s8, exec_lo
	v_readlane_b32 s6, v93, 4
	s_and_b32 s6, s8, s6
	s_mov_b32 exec_lo, s6
	s_cbranch_execz .LBB67_965
; %bb.964:                              ;   in Loop: Header=BB67_3 Depth=1
	ds_load_b64 v[44:45], v75 offset:8192
	ds_load_b64 v[80:81], v72 offset:128
	s_wait_dscnt 0x0
	v_dual_mul_f32 v0, v81, v45 :: v_dual_mul_f32 v83, v80, v45
	s_delay_alu instid0(VALU_DEP_1) | instskip(NEXT) | instid1(VALU_DEP_1)
	v_dual_fma_f32 v82, v80, v44, -v0 :: v_dual_fmac_f32 v83, v81, v44
	v_pk_add_f32 v[42:43], v[42:43], v[82:83]
.LBB67_965:                             ;   in Loop: Header=BB67_3 Depth=1
	s_or_b32 exec_lo, exec_lo, s8
	s_delay_alu instid0(SALU_CYCLE_1) | instskip(SKIP_2) | instid1(SALU_CYCLE_1)
	s_mov_b32 s8, exec_lo
	v_readlane_b32 s6, v93, 5
	s_and_b32 s6, s8, s6
	s_mov_b32 exec_lo, s6
	s_cbranch_execz .LBB67_967
; %bb.966:                              ;   in Loop: Header=BB67_3 Depth=1
	ds_load_b64 v[44:45], v75 offset:16384
	ds_load_b64 v[80:81], v72 offset:256
	s_wait_dscnt 0x0
	v_pk_mul_f32 v[82:83], v[80:81], v[44:45] op_sel:[1,1] op_sel_hi:[0,1]
	s_delay_alu instid0(VALU_DEP_1) | instskip(SKIP_1) | instid1(VALU_DEP_2)
	v_pk_fma_f32 v[84:85], v[80:81], v[44:45], v[82:83] op_sel_hi:[1,0,1]
	v_pk_fma_f32 v[44:45], v[80:81], v[44:45], v[82:83] neg_lo:[0,0,1] neg_hi:[0,0,1]
	v_mov_b32_e32 v45, v85
	s_delay_alu instid0(VALU_DEP_1)
	v_pk_add_f32 v[42:43], v[42:43], v[44:45]
.LBB67_967:                             ;   in Loop: Header=BB67_3 Depth=1
	s_or_b32 exec_lo, exec_lo, s8
	s_delay_alu instid0(SALU_CYCLE_1) | instskip(SKIP_2) | instid1(SALU_CYCLE_1)
	s_mov_b32 s8, exec_lo
	v_readlane_b32 s6, v93, 6
	s_and_b32 s6, s8, s6
	s_mov_b32 exec_lo, s6
	s_cbranch_execz .LBB67_969
; %bb.968:                              ;   in Loop: Header=BB67_3 Depth=1
	ds_load_b64 v[44:45], v75 offset:24576
	ds_load_b64 v[80:81], v72 offset:384
	s_wait_dscnt 0x0
	v_pk_mul_f32 v[82:83], v[80:81], v[44:45] op_sel:[1,1] op_sel_hi:[0,1]
	s_delay_alu instid0(VALU_DEP_1) | instskip(SKIP_1) | instid1(VALU_DEP_2)
	v_pk_fma_f32 v[84:85], v[80:81], v[44:45], v[82:83] op_sel_hi:[1,0,1]
	v_pk_fma_f32 v[44:45], v[80:81], v[44:45], v[82:83] neg_lo:[0,0,1] neg_hi:[0,0,1]
	v_mov_b32_e32 v45, v85
	s_delay_alu instid0(VALU_DEP_1)
	v_pk_add_f32 v[42:43], v[42:43], v[44:45]
.LBB67_969:                             ;   in Loop: Header=BB67_3 Depth=1
	s_or_b32 exec_lo, exec_lo, s8
	s_mov_b32 s67, 0
	s_mov_b32 s66, 0
	ds_store_b64 v73, v[42:43]
	s_wait_dscnt 0x0
	s_barrier_signal -1
	s_barrier_wait -1
                                        ; implicit-def: $vgpr44_vgpr45
	s_and_saveexec_b32 s98, s5
	s_cbranch_execz .LBB67_995
; %bb.970:                              ;   in Loop: Header=BB67_3 Depth=1
	ds_load_2addr_stride64_b64 v[80:83], v74 offset0:1 offset1:2
	ds_load_2addr_stride64_b64 v[84:87], v74 offset0:3 offset1:4
	;; [unrolled: 1-line block ×3, first 2 shown]
	s_mov_b32 s66, exec_lo
	s_wait_dscnt 0x2
	v_pk_add_f32 v[42:43], v[42:43], v[80:81]
	s_delay_alu instid0(VALU_DEP_1) | instskip(SKIP_3) | instid1(VALU_DEP_1)
	v_pk_add_f32 v[80:81], v[42:43], v[82:83]
	ds_load_2addr_stride64_b64 v[42:45], v74 offset0:7 offset1:8
	s_wait_dscnt 0x2
	v_pk_add_f32 v[80:81], v[80:81], v[84:85]
	v_pk_add_f32 v[84:85], v[80:81], v[86:87]
	ds_load_2addr_stride64_b64 v[80:83], v74 offset0:9 offset1:10
	s_wait_dscnt 0x2
	v_pk_add_f32 v[84:85], v[84:85], v[88:89]
	s_delay_alu instid0(VALU_DEP_1) | instskip(SKIP_3) | instid1(VALU_DEP_1)
	v_pk_add_f32 v[88:89], v[84:85], v[90:91]
	ds_load_2addr_stride64_b64 v[84:87], v74 offset0:11 offset1:12
	s_wait_dscnt 0x2
	v_pk_add_f32 v[42:43], v[88:89], v[42:43]
	v_pk_add_f32 v[42:43], v[42:43], v[44:45]
	s_wait_dscnt 0x1
	s_delay_alu instid0(VALU_DEP_1)
	v_pk_add_f32 v[80:81], v[42:43], v[80:81]
	ds_load_2addr_stride64_b64 v[42:45], v74 offset0:13 offset1:14
	v_pk_add_f32 v[80:81], v[80:81], v[82:83]
	ds_load_b64 v[82:83], v74 offset:7680
	s_wait_dscnt 0x2
	v_pk_add_f32 v[80:81], v[80:81], v[84:85]
	s_delay_alu instid0(VALU_DEP_1) | instskip(SKIP_1) | instid1(VALU_DEP_1)
	v_pk_add_f32 v[80:81], v[80:81], v[86:87]
	s_wait_dscnt 0x1
	v_pk_add_f32 v[42:43], v[80:81], v[42:43]
	s_delay_alu instid0(VALU_DEP_1) | instskip(SKIP_1) | instid1(VALU_DEP_1)
	v_pk_add_f32 v[42:43], v[42:43], v[44:45]
	s_wait_dscnt 0x0
	v_pk_add_f32 v[44:45], v[42:43], v[82:83]
	s_or_b32 exec_lo, exec_lo, s98
	s_delay_alu instid0(SALU_CYCLE_1)
	s_and_b32 vcc_lo, exec_lo, s67
	s_cbranch_vccnz .LBB67_972
	s_branch .LBB67_996
.LBB67_971:                             ;   in Loop: Header=BB67_3 Depth=1
	s_mov_b32 s66, 0
                                        ; implicit-def: $vgpr44_vgpr45
	s_cbranch_execz .LBB67_996
.LBB67_972:                             ;   in Loop: Header=BB67_3 Depth=1
	v_dual_mov_b32 v0, v4 :: v_dual_mov_b32 v42, v49
	s_mov_b32 s67, 0
	s_branch .LBB67_974
.LBB67_973:                             ;   in Loop: Header=BB67_974 Depth=2
	s_or_b32 exec_lo, exec_lo, s8
	v_add_nc_u32_e32 v42, 0x800, v42
	v_add_nc_u32_e32 v0, -4, v0
	s_add_co_i32 s67, s67, 4
	s_delay_alu instid0(SALU_CYCLE_1)
	s_cmp_lg_u32 s67, 64
	s_barrier_signal -1
	s_barrier_wait -1
	s_cbranch_scc0 .LBB67_990
.LBB67_974:                             ;   Parent Loop BB67_3 Depth=1
                                        ; =>  This Inner Loop Header: Depth=2
	s_delay_alu instid0(VALU_DEP_1) | instskip(SKIP_1) | instid1(SALU_CYCLE_1)
	v_cmp_eq_u32_e32 vcc_lo, 0, v0
	s_and_b32 s6, s5, vcc_lo
	s_and_saveexec_b32 s8, s6
; %bb.975:                              ;   in Loop: Header=BB67_974 Depth=2
	ds_store_b64 v1, v[40:41] offset:41472
; %bb.976:                              ;   in Loop: Header=BB67_974 Depth=2
	s_or_b32 exec_lo, exec_lo, s8
	v_cmp_lt_u32_e32 vcc_lo, s67, v4
	s_wait_dscnt 0x0
	s_barrier_signal -1
	s_barrier_wait -1
	s_and_b32 s6, s5, vcc_lo
	s_delay_alu instid0(SALU_CYCLE_1)
	s_and_saveexec_b32 s8, s6
	s_cbranch_execz .LBB67_978
; %bb.977:                              ;   in Loop: Header=BB67_974 Depth=2
	ds_load_b64 v[44:45], v42
	ds_load_b64 v[80:81], v1 offset:41472
	s_wait_dscnt 0x0
	v_pk_mul_f32 v[82:83], v[80:81], v[44:45] op_sel:[1,1] op_sel_hi:[0,1]
	s_delay_alu instid0(VALU_DEP_1) | instskip(SKIP_1) | instid1(VALU_DEP_2)
	v_pk_fma_f32 v[84:85], v[80:81], v[44:45], v[82:83] op_sel_hi:[1,0,1]
	v_pk_fma_f32 v[44:45], v[80:81], v[44:45], v[82:83] neg_lo:[0,0,1] neg_hi:[0,0,1]
	v_mov_b32_e32 v45, v85
	s_delay_alu instid0(VALU_DEP_1)
	v_pk_add_f32 v[40:41], v[40:41], v[44:45]
.LBB67_978:                             ;   in Loop: Header=BB67_974 Depth=2
	s_or_b32 exec_lo, exec_lo, s8
	s_or_b32 s8, s67, 1
	s_delay_alu instid0(SALU_CYCLE_1) | instskip(SKIP_3) | instid1(SALU_CYCLE_1)
	v_cmp_eq_u32_e32 vcc_lo, s8, v4
	s_barrier_signal -1
	s_barrier_wait -1
	s_and_b32 s6, s5, vcc_lo
	s_and_saveexec_b32 s98, s6
; %bb.979:                              ;   in Loop: Header=BB67_974 Depth=2
	ds_store_b64 v1, v[40:41] offset:41472
; %bb.980:                              ;   in Loop: Header=BB67_974 Depth=2
	s_or_b32 exec_lo, exec_lo, s98
	v_cmp_lt_u32_e32 vcc_lo, s8, v4
	s_wait_dscnt 0x0
	s_barrier_signal -1
	s_barrier_wait -1
	s_and_b32 s6, s5, vcc_lo
	s_delay_alu instid0(SALU_CYCLE_1)
	s_and_saveexec_b32 s8, s6
	s_cbranch_execz .LBB67_982
; %bb.981:                              ;   in Loop: Header=BB67_974 Depth=2
	ds_load_b64 v[44:45], v42 offset:512
	ds_load_b64 v[80:81], v1 offset:41472
	s_wait_dscnt 0x0
	v_pk_mul_f32 v[82:83], v[80:81], v[44:45] op_sel:[1,1] op_sel_hi:[0,1]
	s_delay_alu instid0(VALU_DEP_1) | instskip(SKIP_1) | instid1(VALU_DEP_2)
	v_pk_fma_f32 v[84:85], v[80:81], v[44:45], v[82:83] op_sel_hi:[1,0,1]
	v_pk_fma_f32 v[44:45], v[80:81], v[44:45], v[82:83] neg_lo:[0,0,1] neg_hi:[0,0,1]
	v_mov_b32_e32 v45, v85
	s_delay_alu instid0(VALU_DEP_1)
	v_pk_add_f32 v[40:41], v[40:41], v[44:45]
.LBB67_982:                             ;   in Loop: Header=BB67_974 Depth=2
	s_or_b32 exec_lo, exec_lo, s8
	s_or_b32 s8, s67, 2
	s_delay_alu instid0(SALU_CYCLE_1) | instskip(SKIP_3) | instid1(SALU_CYCLE_1)
	v_cmp_eq_u32_e32 vcc_lo, s8, v4
	s_barrier_signal -1
	s_barrier_wait -1
	s_and_b32 s6, s5, vcc_lo
	s_and_saveexec_b32 s98, s6
; %bb.983:                              ;   in Loop: Header=BB67_974 Depth=2
	ds_store_b64 v1, v[40:41] offset:41472
; %bb.984:                              ;   in Loop: Header=BB67_974 Depth=2
	s_or_b32 exec_lo, exec_lo, s98
	v_cmp_lt_u32_e32 vcc_lo, s8, v4
	s_wait_dscnt 0x0
	s_barrier_signal -1
	s_barrier_wait -1
	s_and_b32 s6, s5, vcc_lo
	s_delay_alu instid0(SALU_CYCLE_1)
	s_and_saveexec_b32 s8, s6
	s_cbranch_execz .LBB67_986
; %bb.985:                              ;   in Loop: Header=BB67_974 Depth=2
	ds_load_b64 v[44:45], v42 offset:1024
	ds_load_b64 v[80:81], v1 offset:41472
	s_wait_dscnt 0x0
	v_pk_mul_f32 v[82:83], v[80:81], v[44:45] op_sel:[1,1] op_sel_hi:[0,1]
	s_delay_alu instid0(VALU_DEP_1) | instskip(SKIP_1) | instid1(VALU_DEP_2)
	v_pk_fma_f32 v[84:85], v[80:81], v[44:45], v[82:83] op_sel_hi:[1,0,1]
	v_pk_fma_f32 v[44:45], v[80:81], v[44:45], v[82:83] neg_lo:[0,0,1] neg_hi:[0,0,1]
	v_mov_b32_e32 v45, v85
	s_delay_alu instid0(VALU_DEP_1)
	v_pk_add_f32 v[40:41], v[40:41], v[44:45]
.LBB67_986:                             ;   in Loop: Header=BB67_974 Depth=2
	s_or_b32 exec_lo, exec_lo, s8
	s_or_b32 s8, s67, 3
	s_delay_alu instid0(SALU_CYCLE_1) | instskip(SKIP_3) | instid1(SALU_CYCLE_1)
	v_cmp_eq_u32_e32 vcc_lo, s8, v4
	s_barrier_signal -1
	s_barrier_wait -1
	s_and_b32 s6, s5, vcc_lo
	s_and_saveexec_b32 s98, s6
; %bb.987:                              ;   in Loop: Header=BB67_974 Depth=2
	ds_store_b64 v1, v[40:41] offset:41472
; %bb.988:                              ;   in Loop: Header=BB67_974 Depth=2
	s_or_b32 exec_lo, exec_lo, s98
	v_cmp_lt_u32_e32 vcc_lo, s8, v4
	s_wait_dscnt 0x0
	s_barrier_signal -1
	s_barrier_wait -1
	s_and_b32 s6, s5, vcc_lo
	s_delay_alu instid0(SALU_CYCLE_1)
	s_and_saveexec_b32 s8, s6
	s_cbranch_execz .LBB67_973
; %bb.989:                              ;   in Loop: Header=BB67_974 Depth=2
	ds_load_b64 v[44:45], v42 offset:1536
	ds_load_b64 v[80:81], v1 offset:41472
	s_wait_dscnt 0x0
	v_pk_mul_f32 v[82:83], v[80:81], v[44:45] op_sel:[1,1] op_sel_hi:[0,1]
	s_delay_alu instid0(VALU_DEP_1) | instskip(SKIP_1) | instid1(VALU_DEP_2)
	v_pk_fma_f32 v[84:85], v[80:81], v[44:45], v[82:83] op_sel_hi:[1,0,1]
	v_pk_fma_f32 v[44:45], v[80:81], v[44:45], v[82:83] neg_lo:[0,0,1] neg_hi:[0,0,1]
	v_mov_b32_e32 v45, v85
	s_delay_alu instid0(VALU_DEP_1)
	v_pk_add_f32 v[40:41], v[40:41], v[44:45]
	s_branch .LBB67_973
.LBB67_990:                             ;   in Loop: Header=BB67_3 Depth=1
	s_and_b32 vcc_lo, exec_lo, s104
	s_mov_b32 s8, -1
	s_cbranch_vccz .LBB67_992
; %bb.991:                              ;   in Loop: Header=BB67_3 Depth=1
	s_and_not1_b32 s6, s66, exec_lo
	s_and_b32 s9, s5, exec_lo
	s_mov_b32 s8, 0
	s_or_b32 s66, s6, s9
.LBB67_992:                             ;   in Loop: Header=BB67_3 Depth=1
	s_and_not1_b32 vcc_lo, exec_lo, s8
	s_cbranch_vccnz .LBB67_994
; %bb.993:                              ;   in Loop: Header=BB67_3 Depth=1
	v_readlane_b32 s8, v94, 8
	s_and_not1_b32 s6, s66, exec_lo
	s_and_b32 s8, s8, exec_lo
	s_delay_alu instid0(SALU_CYCLE_1)
	s_or_b32 s66, s6, s8
.LBB67_994:                             ;   in Loop: Header=BB67_3 Depth=1
	v_mov_b64_e32 v[42:43], v[16:17]
	s_and_saveexec_b32 s8, s66
	s_cbranch_execnz .LBB67_997
	s_branch .LBB67_998
.LBB67_995:                             ;   in Loop: Header=BB67_3 Depth=1
	s_or_b32 exec_lo, exec_lo, s98
	s_delay_alu instid0(SALU_CYCLE_1)
	s_and_b32 vcc_lo, exec_lo, s67
	s_cbranch_vccnz .LBB67_972
.LBB67_996:                             ;   in Loop: Header=BB67_3 Depth=1
	v_mov_b64_e32 v[40:41], v[44:45]
	v_mov_b64_e32 v[42:43], v[14:15]
	s_and_saveexec_b32 s8, s66
	s_cbranch_execz .LBB67_998
.LBB67_997:                             ;   in Loop: Header=BB67_3 Depth=1
	s_delay_alu instid0(VALU_DEP_1)
	v_lshl_add_u64 v[42:43], v[42:43], 3, s[96:97]
	global_store_b64 v[42:43], v[40:41], off
.LBB67_998:                             ;   in Loop: Header=BB67_3 Depth=1
	s_wait_xcnt 0x0
	s_or_b32 exec_lo, exec_lo, s8
	global_wb scope:SCOPE_DEV
	s_wait_storecnt 0x0
	global_inv scope:SCOPE_DEV
	s_wait_loadcnt 0x0
	s_barrier_signal -1
	s_barrier_wait -1
	s_and_saveexec_b32 s8, s31
	s_cbranch_execz .LBB67_2
; %bb.999:                              ;   in Loop: Header=BB67_3 Depth=1
	s_lshl_b64 s[66:67], s[80:81], 2
	s_delay_alu instid0(SALU_CYCLE_1)
	s_add_nc_u64 s[66:67], s[82:83], s[66:67]
	global_load_b32 v0, v1, s[66:67]
	s_wait_loadcnt 0x0
	v_add_nc_u32_e32 v0, 1, v0
	global_store_b32 v1, v0, s[66:67]
	s_branch .LBB67_2
.LBB67_1000:                            ;   in Loop: Header=BB67_3 Depth=1
	ds_load_b64 v[42:43], v54 offset:544
	ds_load_b64 v[44:45], v51 offset:8
	s_wait_dscnt 0x0
	v_dual_mul_f32 v0, v45, v43 :: v_dual_mul_f32 v43, v44, v43
	s_delay_alu instid0(VALU_DEP_1) | instskip(NEXT) | instid1(VALU_DEP_1)
	v_dual_fma_f32 v0, v44, v42, -v0 :: v_dual_fmac_f32 v43, v45, v42
	v_dual_add_f32 v40, v40, v0 :: v_dual_add_f32 v41, v41, v43
	s_or_b32 exec_lo, exec_lo, s8
	s_and_saveexec_b32 s8, s13
	s_cbranch_execz .LBB67_87
.LBB67_1001:                            ;   in Loop: Header=BB67_3 Depth=1
	ds_load_b64 v[42:43], v53 offset:1056
	ds_load_b64 v[44:45], v51 offset:16
	s_wait_dscnt 0x0
	v_dual_mul_f32 v0, v45, v43 :: v_dual_mul_f32 v43, v44, v43
	s_delay_alu instid0(VALU_DEP_1) | instskip(NEXT) | instid1(VALU_DEP_1)
	v_dual_fma_f32 v0, v44, v42, -v0 :: v_dual_fmac_f32 v43, v45, v42
	v_dual_add_f32 v40, v40, v0 :: v_dual_add_f32 v41, v41, v43
	s_or_b32 exec_lo, exec_lo, s8
	s_and_saveexec_b32 s8, s1
	s_cbranch_execnz .LBB67_88
	s_branch .LBB67_89
.LBB67_1002:                            ;   in Loop: Header=BB67_3 Depth=1
	ds_load_b64 v[42:43], v59 offset:576
	ds_load_b64 v[44:45], v55 offset:8
	s_wait_dscnt 0x0
	v_dual_mul_f32 v0, v45, v43 :: v_dual_mul_f32 v43, v44, v43
	s_delay_alu instid0(VALU_DEP_1) | instskip(NEXT) | instid1(VALU_DEP_1)
	v_dual_fma_f32 v0, v44, v42, -v0 :: v_dual_fmac_f32 v43, v45, v42
	v_dual_add_f32 v40, v40, v0 :: v_dual_add_f32 v41, v41, v43
	s_or_b32 exec_lo, exec_lo, s8
	s_and_saveexec_b32 s8, s15
	s_cbranch_execz .LBB67_125
.LBB67_1003:                            ;   in Loop: Header=BB67_3 Depth=1
	ds_load_b64 v[42:43], v59 offset:1088
	ds_load_b64 v[44:45], v55 offset:16
	s_wait_dscnt 0x0
	v_dual_mul_f32 v0, v45, v43 :: v_dual_mul_f32 v43, v44, v43
	s_delay_alu instid0(VALU_DEP_1) | instskip(NEXT) | instid1(VALU_DEP_1)
	v_dual_fma_f32 v0, v44, v42, -v0 :: v_dual_fmac_f32 v43, v45, v42
	v_dual_add_f32 v40, v40, v0 :: v_dual_add_f32 v41, v41, v43
	s_or_b32 exec_lo, exec_lo, s8
	s_and_saveexec_b32 s8, s16
	s_cbranch_execz .LBB67_126
.LBB67_1004:                            ;   in Loop: Header=BB67_3 Depth=1
	ds_load_b64 v[42:43], v59 offset:1600
	ds_load_b64 v[44:45], v55 offset:24
	s_wait_dscnt 0x0
	v_dual_mul_f32 v0, v45, v43 :: v_dual_mul_f32 v43, v44, v43
	s_delay_alu instid0(VALU_DEP_1) | instskip(NEXT) | instid1(VALU_DEP_1)
	v_dual_fma_f32 v0, v44, v42, -v0 :: v_dual_fmac_f32 v43, v45, v42
	v_dual_add_f32 v40, v40, v0 :: v_dual_add_f32 v41, v41, v43
	s_or_b32 exec_lo, exec_lo, s8
	s_and_saveexec_b32 s8, s17
	s_cbranch_execz .LBB67_127
.LBB67_1005:                            ;   in Loop: Header=BB67_3 Depth=1
	ds_load_b64 v[42:43], v58 offset:2112
	ds_load_b64 v[44:45], v55 offset:32
	s_wait_dscnt 0x0
	v_dual_mul_f32 v0, v45, v43 :: v_dual_mul_f32 v43, v44, v43
	s_delay_alu instid0(VALU_DEP_1) | instskip(NEXT) | instid1(VALU_DEP_1)
	v_dual_fma_f32 v0, v44, v42, -v0 :: v_dual_fmac_f32 v43, v45, v42
	v_dual_add_f32 v40, v40, v0 :: v_dual_add_f32 v41, v41, v43
	s_or_b32 exec_lo, exec_lo, s8
	s_and_saveexec_b32 s8, s18
	s_cbranch_execz .LBB67_128
.LBB67_1006:                            ;   in Loop: Header=BB67_3 Depth=1
	ds_load_b64 v[42:43], v59 offset:2624
	ds_load_b64 v[44:45], v55 offset:40
	s_wait_dscnt 0x0
	v_dual_mul_f32 v0, v45, v43 :: v_dual_mul_f32 v81, v44, v43
	s_delay_alu instid0(VALU_DEP_1) | instskip(NEXT) | instid1(VALU_DEP_1)
	v_dual_fma_f32 v80, v44, v42, -v0 :: v_dual_fmac_f32 v81, v45, v42
	v_pk_add_f32 v[40:41], v[40:41], v[80:81]
	s_or_b32 exec_lo, exec_lo, s8
	s_and_saveexec_b32 s8, s2
	s_cbranch_execz .LBB67_129
.LBB67_1007:                            ;   in Loop: Header=BB67_3 Depth=1
	ds_load_b64 v[42:43], v58 offset:3136
	ds_load_b64 v[44:45], v55 offset:48
	s_wait_dscnt 0x0
	v_pk_mul_f32 v[80:81], v[44:45], v[42:43] op_sel:[1,1] op_sel_hi:[0,1]
	s_delay_alu instid0(VALU_DEP_1) | instskip(SKIP_1) | instid1(VALU_DEP_2)
	v_pk_fma_f32 v[82:83], v[44:45], v[42:43], v[80:81] op_sel_hi:[1,0,1]
	v_pk_fma_f32 v[42:43], v[44:45], v[42:43], v[80:81] neg_lo:[0,0,1] neg_hi:[0,0,1]
	v_mov_b32_e32 v43, v83
	s_delay_alu instid0(VALU_DEP_1)
	v_pk_add_f32 v[40:41], v[40:41], v[42:43]
	s_or_b32 exec_lo, exec_lo, s8
	s_and_saveexec_b32 s8, s13
	s_cbranch_execnz .LBB67_130
	s_branch .LBB67_131
.LBB67_1008:                            ;   in Loop: Header=BB67_3 Depth=1
	ds_load_b64 v[42:43], v54 offset:4704
	ds_load_b64 v[44:45], v51 offset:4168
	s_wait_dscnt 0x0
	v_dual_mul_f32 v0, v45, v43 :: v_dual_mul_f32 v43, v44, v43
	s_delay_alu instid0(VALU_DEP_1) | instskip(NEXT) | instid1(VALU_DEP_1)
	v_dual_fma_f32 v0, v44, v42, -v0 :: v_dual_fmac_f32 v43, v45, v42
	v_dual_add_f32 v40, v40, v0 :: v_dual_add_f32 v41, v41, v43
	s_or_b32 exec_lo, exec_lo, s8
	s_and_saveexec_b32 s8, s13
	s_cbranch_execz .LBB67_183
.LBB67_1009:                            ;   in Loop: Header=BB67_3 Depth=1
	ds_load_b64 v[42:43], v53 offset:5216
	ds_load_b64 v[44:45], v51 offset:4176
	s_wait_dscnt 0x0
	v_dual_mul_f32 v0, v45, v43 :: v_dual_mul_f32 v43, v44, v43
	s_delay_alu instid0(VALU_DEP_1) | instskip(NEXT) | instid1(VALU_DEP_1)
	v_dual_fma_f32 v0, v44, v42, -v0 :: v_dual_fmac_f32 v43, v45, v42
	v_dual_add_f32 v40, v40, v0 :: v_dual_add_f32 v41, v41, v43
	s_or_b32 exec_lo, exec_lo, s8
	s_and_saveexec_b32 s8, s1
	s_cbranch_execnz .LBB67_184
	s_branch .LBB67_185
.LBB67_1010:                            ;   in Loop: Header=BB67_3 Depth=1
	ds_load_b64 v[42:43], v64 offset:5760
	ds_load_b64 v[44:45], v60 offset:88
	s_wait_dscnt 0x0
	v_dual_mul_f32 v0, v45, v43 :: v_dual_mul_f32 v43, v44, v43
	s_delay_alu instid0(VALU_DEP_1) | instskip(NEXT) | instid1(VALU_DEP_1)
	v_dual_fma_f32 v0, v44, v42, -v0 :: v_dual_fmac_f32 v43, v45, v42
	v_dual_add_f32 v40, v40, v0 :: v_dual_add_f32 v41, v41, v43
	s_or_b32 exec_lo, exec_lo, s8
	s_and_saveexec_b32 s8, s3
	s_cbranch_execz .LBB67_241
.LBB67_1011:                            ;   in Loop: Header=BB67_3 Depth=1
	ds_load_b64 v[42:43], v63 offset:6272
	ds_load_b64 v[44:45], v60 offset:96
	s_wait_dscnt 0x0
	v_dual_mul_f32 v0, v45, v43 :: v_dual_mul_f32 v43, v44, v43
	s_delay_alu instid0(VALU_DEP_1) | instskip(NEXT) | instid1(VALU_DEP_1)
	v_dual_fma_f32 v0, v44, v42, -v0 :: v_dual_fmac_f32 v43, v45, v42
	v_dual_add_f32 v40, v40, v0 :: v_dual_add_f32 v41, v41, v43
	s_or_b32 exec_lo, exec_lo, s8
	s_and_saveexec_b32 s8, s15
	s_cbranch_execz .LBB67_242
.LBB67_1012:                            ;   in Loop: Header=BB67_3 Depth=1
	ds_load_b64 v[42:43], v64 offset:6784
	ds_load_b64 v[44:45], v60 offset:104
	s_wait_dscnt 0x0
	v_dual_mul_f32 v0, v45, v43 :: v_dual_mul_f32 v43, v44, v43
	s_delay_alu instid0(VALU_DEP_1) | instskip(NEXT) | instid1(VALU_DEP_1)
	v_dual_fma_f32 v0, v44, v42, -v0 :: v_dual_fmac_f32 v43, v45, v42
	v_dual_add_f32 v40, v40, v0 :: v_dual_add_f32 v41, v41, v43
	s_or_b32 exec_lo, exec_lo, s8
	s_and_saveexec_b32 s8, s17
	s_cbranch_execz .LBB67_243
.LBB67_1013:                            ;   in Loop: Header=BB67_3 Depth=1
	ds_load_b64 v[42:43], v63 offset:7296
	ds_load_b64 v[44:45], v60 offset:112
	s_wait_dscnt 0x0
	v_dual_mul_f32 v0, v45, v43 :: v_dual_mul_f32 v43, v44, v43
	s_delay_alu instid0(VALU_DEP_1) | instskip(NEXT) | instid1(VALU_DEP_1)
	v_dual_fma_f32 v0, v44, v42, -v0 :: v_dual_fmac_f32 v43, v45, v42
	v_dual_add_f32 v40, v40, v0 :: v_dual_add_f32 v41, v41, v43
	s_or_b32 exec_lo, exec_lo, s8
	s_and_saveexec_b32 s8, s2
	s_cbranch_execnz .LBB67_244
	s_branch .LBB67_245
.LBB67_1014:                            ;   in Loop: Header=BB67_3 Depth=1
	ds_load_b64 v[42:43], v54 offset:8864
	ds_load_b64 v[44:45], v51 offset:8328
	s_wait_dscnt 0x0
	v_dual_mul_f32 v0, v45, v43 :: v_dual_mul_f32 v43, v44, v43
	s_delay_alu instid0(VALU_DEP_1) | instskip(NEXT) | instid1(VALU_DEP_1)
	v_dual_fma_f32 v0, v44, v42, -v0 :: v_dual_fmac_f32 v43, v45, v42
	v_dual_add_f32 v40, v40, v0 :: v_dual_add_f32 v41, v41, v43
	s_or_b32 exec_lo, exec_lo, s8
	s_and_saveexec_b32 s8, s13
	s_cbranch_execz .LBB67_329
.LBB67_1015:                            ;   in Loop: Header=BB67_3 Depth=1
	ds_load_b64 v[42:43], v53 offset:9376
	ds_load_b64 v[44:45], v51 offset:8336
	s_wait_dscnt 0x0
	v_dual_mul_f32 v0, v45, v43 :: v_dual_mul_f32 v43, v44, v43
	s_delay_alu instid0(VALU_DEP_1) | instskip(NEXT) | instid1(VALU_DEP_1)
	v_dual_fma_f32 v0, v44, v42, -v0 :: v_dual_fmac_f32 v43, v45, v42
	v_dual_add_f32 v40, v40, v0 :: v_dual_add_f32 v41, v41, v43
	s_or_b32 exec_lo, exec_lo, s8
	s_and_saveexec_b32 s8, s1
	s_cbranch_execnz .LBB67_330
	s_branch .LBB67_331
.LBB67_1016:                            ;   in Loop: Header=BB67_3 Depth=1
	ds_load_b64 v[42:43], v59 offset:8896
	ds_load_b64 v[44:45], v55 offset:8328
	s_wait_dscnt 0x0
	v_dual_mul_f32 v0, v45, v43 :: v_dual_mul_f32 v43, v44, v43
	s_delay_alu instid0(VALU_DEP_1) | instskip(NEXT) | instid1(VALU_DEP_1)
	v_dual_fma_f32 v0, v44, v42, -v0 :: v_dual_fmac_f32 v43, v45, v42
	v_dual_add_f32 v40, v40, v0 :: v_dual_add_f32 v41, v41, v43
	s_or_b32 exec_lo, exec_lo, s8
	s_and_saveexec_b32 s8, s15
	s_cbranch_execz .LBB67_367
.LBB67_1017:                            ;   in Loop: Header=BB67_3 Depth=1
	ds_load_b64 v[42:43], v59 offset:9408
	ds_load_b64 v[44:45], v55 offset:8336
	s_wait_dscnt 0x0
	v_dual_mul_f32 v0, v45, v43 :: v_dual_mul_f32 v43, v44, v43
	s_delay_alu instid0(VALU_DEP_1) | instskip(NEXT) | instid1(VALU_DEP_1)
	v_dual_fma_f32 v0, v44, v42, -v0 :: v_dual_fmac_f32 v43, v45, v42
	v_dual_add_f32 v40, v40, v0 :: v_dual_add_f32 v41, v41, v43
	s_or_b32 exec_lo, exec_lo, s8
	s_and_saveexec_b32 s8, s16
	s_cbranch_execz .LBB67_368
.LBB67_1018:                            ;   in Loop: Header=BB67_3 Depth=1
	ds_load_b64 v[42:43], v59 offset:9920
	ds_load_b64 v[44:45], v55 offset:8344
	s_wait_dscnt 0x0
	v_dual_mul_f32 v0, v45, v43 :: v_dual_mul_f32 v43, v44, v43
	s_delay_alu instid0(VALU_DEP_1) | instskip(NEXT) | instid1(VALU_DEP_1)
	v_dual_fma_f32 v0, v44, v42, -v0 :: v_dual_fmac_f32 v43, v45, v42
	v_dual_add_f32 v40, v40, v0 :: v_dual_add_f32 v41, v41, v43
	s_or_b32 exec_lo, exec_lo, s8
	s_and_saveexec_b32 s8, s17
	s_cbranch_execz .LBB67_369
.LBB67_1019:                            ;   in Loop: Header=BB67_3 Depth=1
	ds_load_b64 v[42:43], v58 offset:10432
	ds_load_b64 v[44:45], v55 offset:8352
	s_wait_dscnt 0x0
	v_dual_mul_f32 v0, v45, v43 :: v_dual_mul_f32 v43, v44, v43
	s_delay_alu instid0(VALU_DEP_1) | instskip(NEXT) | instid1(VALU_DEP_1)
	v_dual_fma_f32 v0, v44, v42, -v0 :: v_dual_fmac_f32 v43, v45, v42
	v_dual_add_f32 v40, v40, v0 :: v_dual_add_f32 v41, v41, v43
	s_or_b32 exec_lo, exec_lo, s8
	s_and_saveexec_b32 s8, s18
	s_cbranch_execz .LBB67_370
.LBB67_1020:                            ;   in Loop: Header=BB67_3 Depth=1
	ds_load_b64 v[42:43], v59 offset:10944
	ds_load_b64 v[44:45], v55 offset:8360
	s_wait_dscnt 0x0
	v_dual_mul_f32 v0, v45, v43 :: v_dual_mul_f32 v81, v44, v43
	s_delay_alu instid0(VALU_DEP_1) | instskip(NEXT) | instid1(VALU_DEP_1)
	v_dual_fma_f32 v80, v44, v42, -v0 :: v_dual_fmac_f32 v81, v45, v42
	v_pk_add_f32 v[40:41], v[40:41], v[80:81]
	s_or_b32 exec_lo, exec_lo, s8
	s_and_saveexec_b32 s8, s2
	s_cbranch_execz .LBB67_371
.LBB67_1021:                            ;   in Loop: Header=BB67_3 Depth=1
	ds_load_b64 v[42:43], v58 offset:11456
	ds_load_b64 v[44:45], v55 offset:8368
	s_wait_dscnt 0x0
	v_pk_mul_f32 v[80:81], v[44:45], v[42:43] op_sel:[1,1] op_sel_hi:[0,1]
	s_delay_alu instid0(VALU_DEP_1) | instskip(SKIP_1) | instid1(VALU_DEP_2)
	v_pk_fma_f32 v[82:83], v[44:45], v[42:43], v[80:81] op_sel_hi:[1,0,1]
	v_pk_fma_f32 v[42:43], v[44:45], v[42:43], v[80:81] neg_lo:[0,0,1] neg_hi:[0,0,1]
	v_mov_b32_e32 v43, v83
	s_delay_alu instid0(VALU_DEP_1)
	v_pk_add_f32 v[40:41], v[40:41], v[42:43]
	s_or_b32 exec_lo, exec_lo, s8
	s_and_saveexec_b32 s8, s13
	s_cbranch_execnz .LBB67_372
	s_branch .LBB67_373
.LBB67_1022:                            ;   in Loop: Header=BB67_3 Depth=1
	ds_load_b64 v[42:43], v54 offset:13024
	ds_load_b64 v[44:45], v51 offset:12488
	s_wait_dscnt 0x0
	v_dual_mul_f32 v0, v45, v43 :: v_dual_mul_f32 v43, v44, v43
	s_delay_alu instid0(VALU_DEP_1) | instskip(NEXT) | instid1(VALU_DEP_1)
	v_dual_fma_f32 v0, v44, v42, -v0 :: v_dual_fmac_f32 v43, v45, v42
	v_dual_add_f32 v40, v40, v0 :: v_dual_add_f32 v41, v41, v43
	s_or_b32 exec_lo, exec_lo, s8
	s_and_saveexec_b32 s8, s13
	s_cbranch_execz .LBB67_425
.LBB67_1023:                            ;   in Loop: Header=BB67_3 Depth=1
	ds_load_b64 v[42:43], v53 offset:13536
	ds_load_b64 v[44:45], v51 offset:12496
	s_wait_dscnt 0x0
	v_dual_mul_f32 v0, v45, v43 :: v_dual_mul_f32 v43, v44, v43
	s_delay_alu instid0(VALU_DEP_1) | instskip(NEXT) | instid1(VALU_DEP_1)
	v_dual_fma_f32 v0, v44, v42, -v0 :: v_dual_fmac_f32 v43, v45, v42
	v_dual_add_f32 v40, v40, v0 :: v_dual_add_f32 v41, v41, v43
	s_or_b32 exec_lo, exec_lo, s8
	s_and_saveexec_b32 s8, s1
	s_cbranch_execnz .LBB67_426
	s_branch .LBB67_427
.LBB67_1024:                            ;   in Loop: Header=BB67_3 Depth=1
	ds_load_b64 v[44:45], v42 offset:15104
	ds_load_b64 v[80:81], v0 offset:232
	s_wait_dscnt 0x0
	v_pk_mul_f32 v[82:83], v[80:81], v[44:45] op_sel:[1,1] op_sel_hi:[0,1]
	s_delay_alu instid0(VALU_DEP_1) | instskip(SKIP_1) | instid1(VALU_DEP_2)
	v_pk_fma_f32 v[84:85], v[80:81], v[44:45], v[82:83] op_sel_hi:[1,0,1]
	v_pk_fma_f32 v[44:45], v[80:81], v[44:45], v[82:83] neg_lo:[0,0,1] neg_hi:[0,0,1]
	v_mov_b32_e32 v45, v85
	s_delay_alu instid0(VALU_DEP_1)
	v_pk_add_f32 v[40:41], v[40:41], v[44:45]
	s_or_b32 exec_lo, exec_lo, s8
	s_and_saveexec_b32 s8, s3
	s_cbranch_execz .LBB67_519
.LBB67_1025:                            ;   in Loop: Header=BB67_3 Depth=1
	ds_load_b64 v[42:43], v42 offset:15616
	ds_load_b64 v[44:45], v0 offset:240
	s_wait_dscnt 0x0
	v_pk_mul_f32 v[80:81], v[44:45], v[42:43] op_sel:[1,1] op_sel_hi:[0,1]
	s_delay_alu instid0(VALU_DEP_1) | instskip(SKIP_1) | instid1(VALU_DEP_2)
	v_pk_fma_f32 v[82:83], v[44:45], v[42:43], v[80:81] op_sel_hi:[1,0,1]
	v_pk_fma_f32 v[42:43], v[44:45], v[42:43], v[80:81] neg_lo:[0,0,1] neg_hi:[0,0,1]
	v_mov_b32_e32 v43, v83
	s_delay_alu instid0(VALU_DEP_1)
	v_pk_add_f32 v[40:41], v[40:41], v[42:43]
	s_or_b32 exec_lo, exec_lo, s8
	s_and_saveexec_b32 s8, s17
	s_cbranch_execnz .LBB67_520
	s_branch .LBB67_521
.LBB67_1026:                            ;   in Loop: Header=BB67_3 Depth=1
	ds_load_b64 v[42:43], v54 offset:17184
	ds_load_b64 v[44:45], v51 offset:16648
	s_wait_dscnt 0x0
	v_dual_mul_f32 v0, v45, v43 :: v_dual_mul_f32 v43, v44, v43
	s_delay_alu instid0(VALU_DEP_1) | instskip(NEXT) | instid1(VALU_DEP_1)
	v_dual_fma_f32 v0, v44, v42, -v0 :: v_dual_fmac_f32 v43, v45, v42
	v_dual_add_f32 v40, v40, v0 :: v_dual_add_f32 v41, v41, v43
	s_or_b32 exec_lo, exec_lo, s8
	s_and_saveexec_b32 s8, s13
	s_cbranch_execz .LBB67_561
.LBB67_1027:                            ;   in Loop: Header=BB67_3 Depth=1
	ds_load_b64 v[42:43], v53 offset:17696
	ds_load_b64 v[44:45], v51 offset:16656
	s_wait_dscnt 0x0
	v_dual_mul_f32 v0, v45, v43 :: v_dual_mul_f32 v43, v44, v43
	s_delay_alu instid0(VALU_DEP_1) | instskip(NEXT) | instid1(VALU_DEP_1)
	v_dual_fma_f32 v0, v44, v42, -v0 :: v_dual_fmac_f32 v43, v45, v42
	v_dual_add_f32 v40, v40, v0 :: v_dual_add_f32 v41, v41, v43
	s_or_b32 exec_lo, exec_lo, s8
	s_and_saveexec_b32 s8, s1
	s_cbranch_execnz .LBB67_562
	s_branch .LBB67_563
.LBB67_1028:                            ;   in Loop: Header=BB67_3 Depth=1
	ds_load_b64 v[42:43], v59 offset:17216
	ds_load_b64 v[44:45], v55 offset:16648
	s_wait_dscnt 0x0
	v_dual_mul_f32 v0, v45, v43 :: v_dual_mul_f32 v43, v44, v43
	s_delay_alu instid0(VALU_DEP_1) | instskip(NEXT) | instid1(VALU_DEP_1)
	v_dual_fma_f32 v0, v44, v42, -v0 :: v_dual_fmac_f32 v43, v45, v42
	v_dual_add_f32 v40, v40, v0 :: v_dual_add_f32 v41, v41, v43
	s_or_b32 exec_lo, exec_lo, s8
	s_and_saveexec_b32 s8, s15
	s_cbranch_execz .LBB67_599
.LBB67_1029:                            ;   in Loop: Header=BB67_3 Depth=1
	ds_load_b64 v[42:43], v59 offset:17728
	ds_load_b64 v[44:45], v55 offset:16656
	s_wait_dscnt 0x0
	v_dual_mul_f32 v0, v45, v43 :: v_dual_mul_f32 v43, v44, v43
	s_delay_alu instid0(VALU_DEP_1) | instskip(NEXT) | instid1(VALU_DEP_1)
	v_dual_fma_f32 v0, v44, v42, -v0 :: v_dual_fmac_f32 v43, v45, v42
	v_dual_add_f32 v40, v40, v0 :: v_dual_add_f32 v41, v41, v43
	s_or_b32 exec_lo, exec_lo, s8
	s_and_saveexec_b32 s8, s16
	s_cbranch_execz .LBB67_600
.LBB67_1030:                            ;   in Loop: Header=BB67_3 Depth=1
	ds_load_b64 v[42:43], v59 offset:18240
	ds_load_b64 v[44:45], v55 offset:16664
	s_wait_dscnt 0x0
	v_dual_mul_f32 v0, v45, v43 :: v_dual_mul_f32 v43, v44, v43
	s_delay_alu instid0(VALU_DEP_1) | instskip(NEXT) | instid1(VALU_DEP_1)
	v_dual_fma_f32 v0, v44, v42, -v0 :: v_dual_fmac_f32 v43, v45, v42
	v_dual_add_f32 v40, v40, v0 :: v_dual_add_f32 v41, v41, v43
	s_or_b32 exec_lo, exec_lo, s8
	s_and_saveexec_b32 s8, s17
	s_cbranch_execz .LBB67_601
.LBB67_1031:                            ;   in Loop: Header=BB67_3 Depth=1
	ds_load_b64 v[42:43], v58 offset:18752
	ds_load_b64 v[44:45], v55 offset:16672
	s_wait_dscnt 0x0
	v_dual_mul_f32 v0, v45, v43 :: v_dual_mul_f32 v43, v44, v43
	s_delay_alu instid0(VALU_DEP_1) | instskip(NEXT) | instid1(VALU_DEP_1)
	v_dual_fma_f32 v0, v44, v42, -v0 :: v_dual_fmac_f32 v43, v45, v42
	v_dual_add_f32 v40, v40, v0 :: v_dual_add_f32 v41, v41, v43
	s_or_b32 exec_lo, exec_lo, s8
	s_and_saveexec_b32 s8, s18
	s_cbranch_execz .LBB67_602
.LBB67_1032:                            ;   in Loop: Header=BB67_3 Depth=1
	ds_load_b64 v[42:43], v59 offset:19264
	ds_load_b64 v[44:45], v55 offset:16680
	s_wait_dscnt 0x0
	v_dual_mul_f32 v0, v45, v43 :: v_dual_mul_f32 v81, v44, v43
	s_delay_alu instid0(VALU_DEP_1) | instskip(NEXT) | instid1(VALU_DEP_1)
	v_dual_fma_f32 v80, v44, v42, -v0 :: v_dual_fmac_f32 v81, v45, v42
	v_pk_add_f32 v[40:41], v[40:41], v[80:81]
	s_or_b32 exec_lo, exec_lo, s8
	s_and_saveexec_b32 s8, s2
	s_cbranch_execz .LBB67_603
.LBB67_1033:                            ;   in Loop: Header=BB67_3 Depth=1
	ds_load_b64 v[42:43], v58 offset:19776
	ds_load_b64 v[44:45], v55 offset:16688
	s_wait_dscnt 0x0
	v_pk_mul_f32 v[80:81], v[44:45], v[42:43] op_sel:[1,1] op_sel_hi:[0,1]
	s_delay_alu instid0(VALU_DEP_1) | instskip(SKIP_1) | instid1(VALU_DEP_2)
	v_pk_fma_f32 v[82:83], v[44:45], v[42:43], v[80:81] op_sel_hi:[1,0,1]
	v_pk_fma_f32 v[42:43], v[44:45], v[42:43], v[80:81] neg_lo:[0,0,1] neg_hi:[0,0,1]
	v_mov_b32_e32 v43, v83
	s_delay_alu instid0(VALU_DEP_1)
	v_pk_add_f32 v[40:41], v[40:41], v[42:43]
	s_or_b32 exec_lo, exec_lo, s8
	s_and_saveexec_b32 s8, s13
	s_cbranch_execnz .LBB67_604
	s_branch .LBB67_605
.LBB67_1034:                            ;   in Loop: Header=BB67_3 Depth=1
	ds_load_b64 v[42:43], v54 offset:21344
	ds_load_b64 v[44:45], v51 offset:20808
	s_wait_dscnt 0x0
	v_dual_mul_f32 v0, v45, v43 :: v_dual_mul_f32 v43, v44, v43
	s_delay_alu instid0(VALU_DEP_1) | instskip(NEXT) | instid1(VALU_DEP_1)
	v_dual_fma_f32 v0, v44, v42, -v0 :: v_dual_fmac_f32 v43, v45, v42
	v_dual_add_f32 v40, v40, v0 :: v_dual_add_f32 v41, v41, v43
	s_or_b32 exec_lo, exec_lo, s8
	s_and_saveexec_b32 s8, s13
	s_cbranch_execz .LBB67_657
.LBB67_1035:                            ;   in Loop: Header=BB67_3 Depth=1
	ds_load_b64 v[42:43], v53 offset:21856
	ds_load_b64 v[44:45], v51 offset:20816
	s_wait_dscnt 0x0
	v_dual_mul_f32 v0, v45, v43 :: v_dual_mul_f32 v43, v44, v43
	s_delay_alu instid0(VALU_DEP_1) | instskip(NEXT) | instid1(VALU_DEP_1)
	v_dual_fma_f32 v0, v44, v42, -v0 :: v_dual_fmac_f32 v43, v45, v42
	v_dual_add_f32 v40, v40, v0 :: v_dual_add_f32 v41, v41, v43
	s_or_b32 exec_lo, exec_lo, s8
	s_and_saveexec_b32 s8, s1
	s_cbranch_execnz .LBB67_658
	s_branch .LBB67_659
.LBB67_1036:                            ;   in Loop: Header=BB67_3 Depth=1
	ds_load_b64 v[42:43], v64 offset:22400
	ds_load_b64 v[44:45], v60 offset:16728
	s_wait_dscnt 0x0
	v_dual_mul_f32 v0, v45, v43 :: v_dual_mul_f32 v43, v44, v43
	s_delay_alu instid0(VALU_DEP_1) | instskip(NEXT) | instid1(VALU_DEP_1)
	v_dual_fma_f32 v0, v44, v42, -v0 :: v_dual_fmac_f32 v43, v45, v42
	v_dual_add_f32 v40, v40, v0 :: v_dual_add_f32 v41, v41, v43
	s_or_b32 exec_lo, exec_lo, s8
	s_and_saveexec_b32 s8, s3
	s_cbranch_execz .LBB67_715
.LBB67_1037:                            ;   in Loop: Header=BB67_3 Depth=1
	ds_load_b64 v[42:43], v63 offset:22912
	ds_load_b64 v[44:45], v60 offset:16736
	s_wait_dscnt 0x0
	v_dual_mul_f32 v0, v45, v43 :: v_dual_mul_f32 v43, v44, v43
	s_delay_alu instid0(VALU_DEP_1) | instskip(NEXT) | instid1(VALU_DEP_1)
	v_dual_fma_f32 v0, v44, v42, -v0 :: v_dual_fmac_f32 v43, v45, v42
	v_dual_add_f32 v40, v40, v0 :: v_dual_add_f32 v41, v41, v43
	s_or_b32 exec_lo, exec_lo, s8
	s_and_saveexec_b32 s8, s15
	s_cbranch_execz .LBB67_716
.LBB67_1038:                            ;   in Loop: Header=BB67_3 Depth=1
	ds_load_b64 v[42:43], v64 offset:23424
	ds_load_b64 v[44:45], v60 offset:16744
	s_wait_dscnt 0x0
	v_dual_mul_f32 v0, v45, v43 :: v_dual_mul_f32 v43, v44, v43
	s_delay_alu instid0(VALU_DEP_1) | instskip(NEXT) | instid1(VALU_DEP_1)
	v_dual_fma_f32 v0, v44, v42, -v0 :: v_dual_fmac_f32 v43, v45, v42
	v_dual_add_f32 v40, v40, v0 :: v_dual_add_f32 v41, v41, v43
	s_or_b32 exec_lo, exec_lo, s8
	s_and_saveexec_b32 s8, s17
	s_cbranch_execz .LBB67_717
.LBB67_1039:                            ;   in Loop: Header=BB67_3 Depth=1
	ds_load_b64 v[42:43], v63 offset:23936
	ds_load_b64 v[44:45], v60 offset:16752
	s_wait_dscnt 0x0
	v_dual_mul_f32 v0, v45, v43 :: v_dual_mul_f32 v43, v44, v43
	s_delay_alu instid0(VALU_DEP_1) | instskip(NEXT) | instid1(VALU_DEP_1)
	v_dual_fma_f32 v0, v44, v42, -v0 :: v_dual_fmac_f32 v43, v45, v42
	v_dual_add_f32 v40, v40, v0 :: v_dual_add_f32 v41, v41, v43
	s_or_b32 exec_lo, exec_lo, s8
	s_and_saveexec_b32 s8, s2
	s_cbranch_execnz .LBB67_718
	s_branch .LBB67_719
.LBB67_1040:                            ;   in Loop: Header=BB67_3 Depth=1
	ds_load_b64 v[42:43], v54 offset:25504
	ds_load_b64 v[44:45], v51 offset:24968
	s_wait_dscnt 0x0
	v_dual_mul_f32 v0, v45, v43 :: v_dual_mul_f32 v43, v44, v43
	s_delay_alu instid0(VALU_DEP_1) | instskip(NEXT) | instid1(VALU_DEP_1)
	v_dual_fma_f32 v0, v44, v42, -v0 :: v_dual_fmac_f32 v43, v45, v42
	v_dual_add_f32 v40, v40, v0 :: v_dual_add_f32 v41, v41, v43
	s_or_b32 exec_lo, exec_lo, s8
	s_and_saveexec_b32 s8, s13
	s_cbranch_execz .LBB67_803
.LBB67_1041:                            ;   in Loop: Header=BB67_3 Depth=1
	ds_load_b64 v[42:43], v53 offset:26016
	ds_load_b64 v[44:45], v51 offset:24976
	s_wait_dscnt 0x0
	v_dual_mul_f32 v0, v45, v43 :: v_dual_mul_f32 v43, v44, v43
	s_delay_alu instid0(VALU_DEP_1) | instskip(NEXT) | instid1(VALU_DEP_1)
	v_dual_fma_f32 v0, v44, v42, -v0 :: v_dual_fmac_f32 v43, v45, v42
	v_dual_add_f32 v40, v40, v0 :: v_dual_add_f32 v41, v41, v43
	s_or_b32 exec_lo, exec_lo, s8
	s_and_saveexec_b32 s8, s1
	s_cbranch_execnz .LBB67_804
	s_branch .LBB67_805
.LBB67_1042:                            ;   in Loop: Header=BB67_3 Depth=1
	ds_load_b64 v[42:43], v59 offset:25536
	ds_load_b64 v[44:45], v55 offset:24968
	s_wait_dscnt 0x0
	v_dual_mul_f32 v0, v45, v43 :: v_dual_mul_f32 v43, v44, v43
	s_delay_alu instid0(VALU_DEP_1) | instskip(NEXT) | instid1(VALU_DEP_1)
	v_dual_fma_f32 v0, v44, v42, -v0 :: v_dual_fmac_f32 v43, v45, v42
	v_dual_add_f32 v40, v40, v0 :: v_dual_add_f32 v41, v41, v43
	s_or_b32 exec_lo, exec_lo, s8
	s_and_saveexec_b32 s8, s15
	s_cbranch_execz .LBB67_841
.LBB67_1043:                            ;   in Loop: Header=BB67_3 Depth=1
	ds_load_b64 v[42:43], v59 offset:26048
	ds_load_b64 v[44:45], v55 offset:24976
	s_wait_dscnt 0x0
	v_dual_mul_f32 v0, v45, v43 :: v_dual_mul_f32 v43, v44, v43
	s_delay_alu instid0(VALU_DEP_1) | instskip(NEXT) | instid1(VALU_DEP_1)
	v_dual_fma_f32 v0, v44, v42, -v0 :: v_dual_fmac_f32 v43, v45, v42
	v_dual_add_f32 v40, v40, v0 :: v_dual_add_f32 v41, v41, v43
	s_or_b32 exec_lo, exec_lo, s8
	s_and_saveexec_b32 s8, s16
	s_cbranch_execz .LBB67_842
.LBB67_1044:                            ;   in Loop: Header=BB67_3 Depth=1
	ds_load_b64 v[42:43], v59 offset:26560
	ds_load_b64 v[44:45], v55 offset:24984
	s_wait_dscnt 0x0
	v_dual_mul_f32 v0, v45, v43 :: v_dual_mul_f32 v43, v44, v43
	s_delay_alu instid0(VALU_DEP_1) | instskip(NEXT) | instid1(VALU_DEP_1)
	v_dual_fma_f32 v0, v44, v42, -v0 :: v_dual_fmac_f32 v43, v45, v42
	v_dual_add_f32 v40, v40, v0 :: v_dual_add_f32 v41, v41, v43
	s_or_b32 exec_lo, exec_lo, s8
	s_and_saveexec_b32 s8, s17
	s_cbranch_execz .LBB67_843
.LBB67_1045:                            ;   in Loop: Header=BB67_3 Depth=1
	ds_load_b64 v[42:43], v58 offset:27072
	ds_load_b64 v[44:45], v55 offset:24992
	s_wait_dscnt 0x0
	v_dual_mul_f32 v0, v45, v43 :: v_dual_mul_f32 v43, v44, v43
	s_delay_alu instid0(VALU_DEP_1) | instskip(NEXT) | instid1(VALU_DEP_1)
	v_dual_fma_f32 v0, v44, v42, -v0 :: v_dual_fmac_f32 v43, v45, v42
	v_dual_add_f32 v40, v40, v0 :: v_dual_add_f32 v41, v41, v43
	s_or_b32 exec_lo, exec_lo, s8
	s_and_saveexec_b32 s8, s18
	s_cbranch_execz .LBB67_844
.LBB67_1046:                            ;   in Loop: Header=BB67_3 Depth=1
	ds_load_b64 v[42:43], v59 offset:27584
	ds_load_b64 v[44:45], v55 offset:25000
	s_wait_dscnt 0x0
	v_dual_mul_f32 v0, v45, v43 :: v_dual_mul_f32 v81, v44, v43
	s_delay_alu instid0(VALU_DEP_1) | instskip(NEXT) | instid1(VALU_DEP_1)
	v_dual_fma_f32 v80, v44, v42, -v0 :: v_dual_fmac_f32 v81, v45, v42
	v_pk_add_f32 v[40:41], v[40:41], v[80:81]
	s_or_b32 exec_lo, exec_lo, s8
	s_and_saveexec_b32 s8, s2
	s_cbranch_execz .LBB67_845
.LBB67_1047:                            ;   in Loop: Header=BB67_3 Depth=1
	ds_load_b64 v[42:43], v58 offset:28096
	ds_load_b64 v[44:45], v55 offset:25008
	s_wait_dscnt 0x0
	v_pk_mul_f32 v[80:81], v[44:45], v[42:43] op_sel:[1,1] op_sel_hi:[0,1]
	s_delay_alu instid0(VALU_DEP_1) | instskip(SKIP_1) | instid1(VALU_DEP_2)
	v_pk_fma_f32 v[82:83], v[44:45], v[42:43], v[80:81] op_sel_hi:[1,0,1]
	v_pk_fma_f32 v[42:43], v[44:45], v[42:43], v[80:81] neg_lo:[0,0,1] neg_hi:[0,0,1]
	v_mov_b32_e32 v43, v83
	s_delay_alu instid0(VALU_DEP_1)
	v_pk_add_f32 v[40:41], v[40:41], v[42:43]
	s_or_b32 exec_lo, exec_lo, s8
	s_and_saveexec_b32 s8, s13
	s_cbranch_execnz .LBB67_846
	s_branch .LBB67_847
.LBB67_1048:                            ;   in Loop: Header=BB67_3 Depth=1
	ds_load_b64 v[42:43], v54 offset:29664
	ds_load_b64 v[44:45], v51 offset:29128
	s_wait_dscnt 0x0
	v_dual_mul_f32 v0, v45, v43 :: v_dual_mul_f32 v43, v44, v43
	s_delay_alu instid0(VALU_DEP_1) | instskip(NEXT) | instid1(VALU_DEP_1)
	v_dual_fma_f32 v0, v44, v42, -v0 :: v_dual_fmac_f32 v43, v45, v42
	v_dual_add_f32 v40, v40, v0 :: v_dual_add_f32 v41, v41, v43
	s_or_b32 exec_lo, exec_lo, s8
	s_and_saveexec_b32 s8, s13
	s_cbranch_execz .LBB67_899
.LBB67_1049:                            ;   in Loop: Header=BB67_3 Depth=1
	ds_load_b64 v[42:43], v53 offset:30176
	ds_load_b64 v[44:45], v51 offset:29136
	s_wait_dscnt 0x0
	v_dual_mul_f32 v0, v45, v43 :: v_dual_mul_f32 v43, v44, v43
	s_delay_alu instid0(VALU_DEP_1) | instskip(NEXT) | instid1(VALU_DEP_1)
	v_dual_fma_f32 v0, v44, v42, -v0 :: v_dual_fmac_f32 v43, v45, v42
	v_dual_add_f32 v40, v40, v0 :: v_dual_add_f32 v41, v41, v43
	s_or_b32 exec_lo, exec_lo, s8
	s_and_saveexec_b32 s8, s1
	s_cbranch_execnz .LBB67_900
	s_branch .LBB67_901
.LBB67_1050:
	s_endpgm
	.section	.rodata,"a",@progbits
	.p2align	6, 0x0
	.amdhsa_kernel _ZL19rocblas_trsv_deviceILi64ELi16ELb1ELb0ELb0ELb1E19rocblas_complex_numIfES1_PKS1_PS1_EviT7_lllT6_T8_lllPii
		.amdhsa_group_segment_fixed_size 41480
		.amdhsa_private_segment_fixed_size 48
		.amdhsa_kernarg_size 352
		.amdhsa_user_sgpr_count 2
		.amdhsa_user_sgpr_dispatch_ptr 0
		.amdhsa_user_sgpr_queue_ptr 0
		.amdhsa_user_sgpr_kernarg_segment_ptr 1
		.amdhsa_user_sgpr_dispatch_id 0
		.amdhsa_user_sgpr_kernarg_preload_length 0
		.amdhsa_user_sgpr_kernarg_preload_offset 0
		.amdhsa_user_sgpr_private_segment_size 0
		.amdhsa_wavefront_size32 1
		.amdhsa_uses_dynamic_stack 0
		.amdhsa_enable_private_segment 1
		.amdhsa_system_sgpr_workgroup_id_x 1
		.amdhsa_system_sgpr_workgroup_id_y 0
		.amdhsa_system_sgpr_workgroup_id_z 1
		.amdhsa_system_sgpr_workgroup_info 0
		.amdhsa_system_vgpr_workitem_id 1
		.amdhsa_next_free_vgpr 95
		.amdhsa_next_free_sgpr 105
		.amdhsa_named_barrier_count 0
		.amdhsa_reserve_vcc 1
		.amdhsa_float_round_mode_32 0
		.amdhsa_float_round_mode_16_64 0
		.amdhsa_float_denorm_mode_32 3
		.amdhsa_float_denorm_mode_16_64 3
		.amdhsa_fp16_overflow 0
		.amdhsa_memory_ordered 1
		.amdhsa_forward_progress 1
		.amdhsa_inst_pref_size 255
		.amdhsa_round_robin_scheduling 0
		.amdhsa_exception_fp_ieee_invalid_op 0
		.amdhsa_exception_fp_denorm_src 0
		.amdhsa_exception_fp_ieee_div_zero 0
		.amdhsa_exception_fp_ieee_overflow 0
		.amdhsa_exception_fp_ieee_underflow 0
		.amdhsa_exception_fp_ieee_inexact 0
		.amdhsa_exception_int_div_zero 0
	.end_amdhsa_kernel
	.section	.text._ZL19rocblas_trsv_deviceILi64ELi16ELb1ELb0ELb0ELb1E19rocblas_complex_numIfES1_PKS1_PS1_EviT7_lllT6_T8_lllPii,"axG",@progbits,_ZL19rocblas_trsv_deviceILi64ELi16ELb1ELb0ELb0ELb1E19rocblas_complex_numIfES1_PKS1_PS1_EviT7_lllT6_T8_lllPii,comdat
.Lfunc_end67:
	.size	_ZL19rocblas_trsv_deviceILi64ELi16ELb1ELb0ELb0ELb1E19rocblas_complex_numIfES1_PKS1_PS1_EviT7_lllT6_T8_lllPii, .Lfunc_end67-_ZL19rocblas_trsv_deviceILi64ELi16ELb1ELb0ELb0ELb1E19rocblas_complex_numIfES1_PKS1_PS1_EviT7_lllT6_T8_lllPii
                                        ; -- End function
	.set _ZL19rocblas_trsv_deviceILi64ELi16ELb1ELb0ELb0ELb1E19rocblas_complex_numIfES1_PKS1_PS1_EviT7_lllT6_T8_lllPii.num_vgpr, 95
	.set _ZL19rocblas_trsv_deviceILi64ELi16ELb1ELb0ELb0ELb1E19rocblas_complex_numIfES1_PKS1_PS1_EviT7_lllT6_T8_lllPii.num_agpr, 0
	.set _ZL19rocblas_trsv_deviceILi64ELi16ELb1ELb0ELb0ELb1E19rocblas_complex_numIfES1_PKS1_PS1_EviT7_lllT6_T8_lllPii.numbered_sgpr, 105
	.set _ZL19rocblas_trsv_deviceILi64ELi16ELb1ELb0ELb0ELb1E19rocblas_complex_numIfES1_PKS1_PS1_EviT7_lllT6_T8_lllPii.num_named_barrier, 0
	.set _ZL19rocblas_trsv_deviceILi64ELi16ELb1ELb0ELb0ELb1E19rocblas_complex_numIfES1_PKS1_PS1_EviT7_lllT6_T8_lllPii.private_seg_size, 48
	.set _ZL19rocblas_trsv_deviceILi64ELi16ELb1ELb0ELb0ELb1E19rocblas_complex_numIfES1_PKS1_PS1_EviT7_lllT6_T8_lllPii.uses_vcc, 1
	.set _ZL19rocblas_trsv_deviceILi64ELi16ELb1ELb0ELb0ELb1E19rocblas_complex_numIfES1_PKS1_PS1_EviT7_lllT6_T8_lllPii.uses_flat_scratch, 0
	.set _ZL19rocblas_trsv_deviceILi64ELi16ELb1ELb0ELb0ELb1E19rocblas_complex_numIfES1_PKS1_PS1_EviT7_lllT6_T8_lllPii.has_dyn_sized_stack, 0
	.set _ZL19rocblas_trsv_deviceILi64ELi16ELb1ELb0ELb0ELb1E19rocblas_complex_numIfES1_PKS1_PS1_EviT7_lllT6_T8_lllPii.has_recursion, 0
	.set _ZL19rocblas_trsv_deviceILi64ELi16ELb1ELb0ELb0ELb1E19rocblas_complex_numIfES1_PKS1_PS1_EviT7_lllT6_T8_lllPii.has_indirect_call, 0
	.section	.AMDGPU.csdata,"",@progbits
; Kernel info:
; codeLenInByte = 34908
; TotalNumSgprs: 107
; NumVgprs: 95
; ScratchSize: 48
; MemoryBound: 0
; FloatMode: 240
; IeeeMode: 1
; LDSByteSize: 41480 bytes/workgroup (compile time only)
; SGPRBlocks: 0
; VGPRBlocks: 5
; NumSGPRsForWavesPerEU: 107
; NumVGPRsForWavesPerEU: 95
; NamedBarCnt: 0
; Occupancy: 10
; WaveLimiterHint : 0
; COMPUTE_PGM_RSRC2:SCRATCH_EN: 1
; COMPUTE_PGM_RSRC2:USER_SGPR: 2
; COMPUTE_PGM_RSRC2:TRAP_HANDLER: 0
; COMPUTE_PGM_RSRC2:TGID_X_EN: 1
; COMPUTE_PGM_RSRC2:TGID_Y_EN: 0
; COMPUTE_PGM_RSRC2:TGID_Z_EN: 1
; COMPUTE_PGM_RSRC2:TIDIG_COMP_CNT: 1
	.section	.text._ZL19rocblas_trsv_deviceILi64ELi16ELb1ELb1ELb0ELb1E19rocblas_complex_numIfES1_PKS1_PS1_EviT7_lllT6_T8_lllPii,"axG",@progbits,_ZL19rocblas_trsv_deviceILi64ELi16ELb1ELb1ELb0ELb1E19rocblas_complex_numIfES1_PKS1_PS1_EviT7_lllT6_T8_lllPii,comdat
	.globl	_ZL19rocblas_trsv_deviceILi64ELi16ELb1ELb1ELb0ELb1E19rocblas_complex_numIfES1_PKS1_PS1_EviT7_lllT6_T8_lllPii ; -- Begin function _ZL19rocblas_trsv_deviceILi64ELi16ELb1ELb1ELb0ELb1E19rocblas_complex_numIfES1_PKS1_PS1_EviT7_lllT6_T8_lllPii
	.p2align	8
	.type	_ZL19rocblas_trsv_deviceILi64ELi16ELb1ELb1ELb0ELb1E19rocblas_complex_numIfES1_PKS1_PS1_EviT7_lllT6_T8_lllPii,@function
_ZL19rocblas_trsv_deviceILi64ELi16ELb1ELb1ELb0ELb1E19rocblas_complex_numIfES1_PKS1_PS1_EviT7_lllT6_T8_lllPii: ; @_ZL19rocblas_trsv_deviceILi64ELi16ELb1ELb1ELb0ELb1E19rocblas_complex_numIfES1_PKS1_PS1_EviT7_lllT6_T8_lllPii
; %bb.0:
	s_load_b32 s90, s[0:1], 0x58
	s_bfe_u32 s2, ttmp6, 0x40014
	s_lshr_b32 s3, ttmp7, 16
	s_add_co_i32 s2, s2, 1
	s_bfe_u32 s5, ttmp6, 0x40008
	s_mul_i32 s2, s3, s2
	s_getreg_b32 s4, hwreg(HW_REG_IB_STS2, 6, 4)
	s_add_co_i32 s5, s5, s2
	s_cmp_eq_u32 s4, 0
	s_mov_b32 s77, 0
	s_cselect_b32 s76, s3, s5
	s_wait_kmcnt 0x0
	s_cmp_ge_u32 s76, s90
	s_cbranch_scc1 .LBB68_1112
; %bb.1:
	s_clause 0x4
	s_load_b256 s[60:67], s[0:1], 0x8
	s_load_b256 s[68:75], s[0:1], 0x30
	s_load_b32 s2, s[0:1], 0x6c
	s_load_b32 s92, s[0:1], 0x60
	;; [unrolled: 1-line block ×3, first 2 shown]
	s_bfe_u32 s3, ttmp6, 0x4000c
	s_and_b32 s5, ttmp6, 15
	s_add_co_i32 s3, s3, 1
	v_dual_mov_b32 v5, 0 :: v_dual_bitop2_b32 v1, 1, v0 bitop3:0x40
	s_mul_i32 s3, ttmp9, s3
	v_and_b32_e32 v6, 0x3ff, v0
	s_add_co_i32 s3, s5, s3
	v_bfe_u32 v2, v0, 10, 10
	v_mov_b32_e32 v9, v5
                                        ; implicit-def: $vgpr103 : SGPR spill to VGPR lane
	v_cmp_eq_u32_e32 vcc_lo, 1, v1
	v_dual_lshlrev_b32 v3, 6, v6 :: v_dual_bitop2_b32 v15, 7, v0 bitop3:0x40
	s_delay_alu instid0(VALU_DEP_4)
	v_add_nc_u32_e32 v22, 32, v2
	v_lshl_add_u32 v36, v2, 6, v6
	s_wait_kmcnt 0x0
	s_lshl_b64 s[12:13], s[62:63], 3
	s_lshl_b64 s[14:15], s[70:71], 3
	s_cmp_eq_u32 s4, 0
	v_dual_add_nc_u32 v26, 48, v2 :: v_dual_bitop2_b32 v21, 15, v0 bitop3:0x40
	s_cselect_b32 s91, ttmp9, s3
	s_add_co_i32 s3, s78, -1
	s_ashr_i32 s79, s78, 31
	s_ashr_i32 s4, s3, 31
	s_lshr_b32 s5, s79, 26
	s_lshr_b32 s4, s4, 26
	s_add_co_i32 s5, s78, s5
	s_add_co_i32 s92, s92, -1
	s_add_co_i32 s3, s3, s4
	s_and_not1_b32 s5, s5, 63
	s_sub_co_i32 s30, s92, s91
	s_ashr_i32 s3, s3, 6
	s_and_b32 s2, s2, 0xffff
	s_sub_co_i32 s31, s78, s5
	s_cmp_eq_u32 s3, s30
	v_mad_u32_u24 v8, v2, s2, v6
	s_cselect_b32 s3, -1, 0
	s_cmp_lg_u32 s31, 0
	v_cmp_lt_u32_e64 s10, 1, v21
	s_cselect_b32 s4, -1, 0
	v_cmp_eq_u32_e64 s11, 2, v21
	s_and_b32 s21, s4, s3
	v_add_nc_u32_e32 v7, v2, v3
	s_xor_b32 s93, s21, -1
	s_cmp_lg_u32 s91, 0
	v_and_b32_e32 v14, 3, v0
	s_cselect_b32 s2, -1, 0
	s_lshl_b32 s18, s30, 6
	s_delay_alu instid0(SALU_CYCLE_1)
	v_dual_add_nc_u32 v4, 16, v2 :: v_dual_add_nc_u32 v18, s18, v2
	v_add_nc_u32_e32 v16, s18, v6
	s_cmp_lt_i32 s91, 5
	v_writelane_b32 v103, s2, 0
	s_cselect_b32 s2, -1, 0
	v_add_nc_u32_e32 v10, v4, v3
	v_lshl_add_u32 v11, v4, 6, v6
	s_or_b32 s7, s2, s21
	v_cndmask_b32_e64 v19, v36, v7, s2
	v_cmp_gt_u32_e64 s2, 4, v36
	s_add_nc_u64 s[4:5], s[64:65], 1
	s_ashr_i32 s19, s18, 31
	s_xor_b32 s3, vcc_lo, -1
	s_mul_u64 s[16:17], s[4:5], s[18:19]
	s_and_b32 s96, s3, s2
	s_and_b32 s97, vcc_lo, s2
	v_cmp_eq_u32_e64 s3, 0, v2
	v_cmp_gt_u32_e32 vcc_lo, 2, v6
	v_cmp_gt_u32_e64 s4, 16, v36
	v_cmp_ne_u32_e64 s6, 0, v14
	v_cmp_eq_u32_e64 s5, 0, v14
	v_cmp_eq_u32_e64 s8, 1, v14
	s_and_b32 s98, s3, vcc_lo
	v_cmp_eq_u32_e32 vcc_lo, 2, v14
	s_and_b32 s100, s6, s4
	v_cmp_eq_u32_e64 s6, 3, v14
	s_and_b32 s99, s5, s4
	v_cmp_gt_u32_e64 s5, 64, v36
	s_and_b32 s103, vcc_lo, s4
	v_cmp_ne_u32_e32 vcc_lo, 0, v15
	s_and_b32 s104, s6, s4
	v_cmp_eq_u32_e64 s6, 1, v15
	v_cmp_lt_u32_e64 s9, 1, v14
	s_and_b32 s101, s8, s4
	v_cmp_gt_u32_e64 s8, 4, v6
	s_and_b32 s40, vcc_lo, s5
	v_cmp_lt_u32_e32 vcc_lo, 2, v15
	s_and_b32 s41, s6, s5
	v_cmp_eq_u32_e64 s6, 3, v15
	s_and_b32 s102, s9, s4
	v_cmp_eq_u32_e64 s9, 0, v15
	s_and_b32 vcc_hi, s3, s8
	v_cmp_lt_u32_e64 s8, 1, v15
	s_and_b32 s44, vcc_lo, s5
	v_cmp_lt_u32_e32 vcc_lo, 3, v15
	s_and_b32 s45, s6, s5
	v_cmp_eq_u32_e64 s6, 5, v15
	s_and_b32 s39, s9, s5
	v_cmp_eq_u32_e64 s9, 2, v15
	;; [unrolled: 2-line block ×3, first 2 shown]
	s_and_b32 s46, vcc_lo, s5
	v_cmp_lt_u32_e32 vcc_lo, 5, v15
	s_and_b32 s49, s6, s5
	v_cmp_eq_u32_e64 s6, 6, v15
	s_and_b32 s43, s9, s5
	v_cmp_lt_u32_e64 s9, 4, v15
	s_and_b32 s47, s8, s5
	v_cmp_eq_u32_e64 s8, 7, v15
	s_and_b32 s50, vcc_lo, s5
	s_and_b32 s51, s6, s5
	v_cmp_gt_u32_e64 s6, 0x100, v36
	v_cmp_eq_u32_e32 vcc_lo, 0, v21
	s_and_b32 s48, s9, s5
	v_cmp_gt_u32_e64 s9, 8, v6
	s_and_b32 s52, s8, s5
	v_cmp_ne_u32_e64 s8, 0, v21
	s_and_b32 s20, vcc_lo, s6
	v_cmp_lt_u32_e32 vcc_lo, 2, v21
	v_writelane_b32 v103, s20, 1
	s_and_b32 s53, s3, s9
	v_cmp_eq_u32_e64 s9, 1, v21
	s_and_b32 s8, s8, s6
	s_and_b32 s20, vcc_lo, s6
	v_writelane_b32 v103, s8, 2
	v_cmp_eq_u32_e32 vcc_lo, 5, v21
	s_and_b32 s8, s9, s6
	v_cmp_lt_u32_e64 s9, 3, v21
	s_clause 0x1
	s_load_b64 s[70:71], s[0:1], 0x50
	s_load_b64 s[62:63], s[0:1], 0x28
	v_writelane_b32 v103, s8, 3
	s_and_b32 s8, s10, s6
	v_cmp_eq_u32_e64 s10, 4, v21
	s_wait_xcnt 0x0
	v_cmp_lt_u32_e64 s0, 13, v21
	v_cndmask_b32_e64 v20, v11, v10, s7
	v_writelane_b32 v103, s8, 4
	s_and_b32 s8, s11, s6
	v_cmp_lt_u32_e64 s11, 4, v21
	v_lshl_add_u32 v10, v22, 6, v6
	v_lshl_add_u32 v11, v26, 6, v6
	v_writelane_b32 v103, s8, 5
	v_cmp_eq_u32_e64 s8, 3, v21
	v_add_nc_u32_e32 v7, v22, v3
	v_add_nc_u32_e32 v3, v26, v3
	v_cmp_eq_u32_e64 s1, 14, v21
	v_writelane_b32 v103, s20, 6
	s_and_b32 s8, s8, s6
	s_and_b32 s20, vcc_lo, s6
	v_cmp_lt_u32_e32 vcc_lo, 7, v21
	s_and_b32 s54, s0, s6
	v_writelane_b32 v103, s8, 7
	s_and_b32 s8, s9, s6
	v_cmp_eq_u32_e64 s9, 6, v21
	s_and_b32 s82, vcc_lo, s6
	v_cmp_eq_u32_e32 vcc_lo, 10, v21
	v_writelane_b32 v103, s8, 8
	s_and_b32 s8, s10, s6
	v_cmp_lt_u32_e64 s10, 6, v21
	s_and_b32 s36, s9, s6
	v_cmp_lt_u32_e64 s9, 8, v21
	v_writelane_b32 v103, s8, 9
	s_and_b32 s8, s11, s6
	v_cmp_eq_u32_e64 s11, 7, v21
	s_and_b32 s37, s10, s6
	v_cmp_eq_u32_e64 s10, 9, v21
	v_writelane_b32 v103, s8, 10
	v_cmp_lt_u32_e64 s8, 5, v21
	s_and_b32 s38, s11, s6
	v_cmp_lt_u32_e64 s11, 9, v21
	v_cmp_le_i32_e64 s0, s31, v6
	v_writelane_b32 v103, s20, 11
	s_and_b32 s35, s8, s6
	v_cmp_eq_u32_e64 s8, 8, v21
	s_and_b32 s20, vcc_lo, s6
	v_cmp_lt_u32_e32 vcc_lo, 12, v21
	s_xor_b32 s95, s7, -1
	v_cndmask_b32_e64 v24, v11, v3, s7
	s_and_b32 s83, s8, s6
	v_cmp_lt_u32_e64 s8, 10, v21
	v_dual_cndmask_b32 v23, v10, v7, s7 :: v_dual_lshrrev_b32 v3, 2, v36
	s_and_b32 s28, vcc_lo, s6
	v_cmp_eq_u32_e32 vcc_lo, 15, v21
	v_cmp_gt_u32_e64 s7, 16, v6
	s_and_b32 s80, s9, s6
	s_and_b32 s81, s10, s6
	;; [unrolled: 1-line block ×3, first 2 shown]
	v_cmp_eq_u32_e64 s9, 11, v21
	v_cmp_lt_u32_e64 s10, 11, v21
	v_cmp_eq_u32_e64 s11, 12, v21
	s_and_b32 s22, s8, s6
	v_cmp_eq_u32_e64 s8, 13, v21
	s_and_b32 s55, s1, s6
	v_cmp_gt_u32_e64 s1, 32, v6
	s_and_b32 s57, s0, s21
	s_and_b32 s56, vcc_lo, s6
	s_and_b32 s58, s3, s7
	s_xor_b32 s7, s57, -1
	v_cmp_le_i32_e32 vcc_lo, s31, v2
	s_and_b32 s24, s9, s6
	s_and_b32 s26, s10, s6
	v_add_nc_u64_e32 v[12:13], s[18:19], v[8:9]
	s_and_b32 s19, s11, s6
	s_and_b32 s94, s8, s6
	;; [unrolled: 1-line block ×4, first 2 shown]
	s_wait_kmcnt 0x0
	s_xor_b32 s86, s63, 0x80000000
	s_cmp_gt_i32 s91, 0
	v_writelane_b32 v103, s1, 12
	s_cselect_b32 s21, -1, 0
	s_or_b32 s7, vcc_lo, s0
	v_cmp_le_i32_e32 vcc_lo, s31, v4
	v_dual_add_nc_u32 v10, 64, v18 :: v_dual_lshrrev_b32 v25, 1, v36
	v_mul_u32_u24_e32 v11, 0x1f8, v6
	v_mul_i32_i24_e32 v17, 0xfffffe08, v6
	s_or_b32 s8, vcc_lo, s0
	v_cmp_le_i32_e32 vcc_lo, s31, v22
	v_dual_lshlrev_b32 v27, 3, v3 :: v_dual_lshrrev_b32 v28, 10, v0
	v_add_nc_u32_e32 v39, 0x50, v18
	v_add_lshl_u32 v41, v11, v17, 2
	s_or_b32 s9, vcc_lo, s0
	v_cmp_le_i32_e32 vcc_lo, s31, v26
	v_dual_ashrrev_i32 v17, 31, v16 :: v_dual_lshlrev_b32 v60, 3, v14
	v_mul_u32_u24_e32 v51, 0x208, v3
	v_bitop3_b32 v42, v0, v28, 0x3ff bitop3:0xa8
	s_or_b32 s10, vcc_lo, s0
	v_cmp_gt_i32_e32 vcc_lo, s31, v6
	v_lshl_or_b32 v65, v3, 9, v60
	v_dual_mov_b32 v28, 0 :: v_dual_add_nc_u32 v3, 0x60, v18
	s_mov_b32 s87, s63
	s_and_b32 s0, s3, vcc_lo
	v_cmp_gt_i32_e32 vcc_lo, s78, v10
	v_writelane_b32 v103, s0, 13
	v_cmp_gt_i32_e64 s0, s78, v16
	v_lshlrev_b32_e32 v7, 3, v6
	s_mov_b32 s63, s62
	v_cmp_gt_u32_e64 s23, 0xf0, v36
	v_dual_sub_nc_u32 v30, v51, v27 :: v_dual_lshrrev_b32 v31, 3, v36
	s_and_b32 s1, vcc_lo, s0
	v_cmp_gt_i32_e32 vcc_lo, s78, v39
	v_writelane_b32 v103, s1, 14
	v_mad_u32_u24 v9, 0x1f8, v6, v7
                                        ; implicit-def: $vgpr102 : SGPR spill to VGPR lane
	v_dual_lshrrev_b32 v32, 4, v36 :: v_dual_bitop2_b32 v33, -8, v36 bitop3:0x40
	s_and_b32 s1, vcc_lo, s0
	v_cmp_gt_i32_e32 vcc_lo, s78, v3
	v_writelane_b32 v103, s1, 15
	v_mad_i32_i24 v44, 0xfffffe08, v6, v9
	v_mul_u32_u24_e32 v55, 0x208, v31
	v_lshlrev_b32_e32 v34, 3, v32
	s_and_b32 s1, vcc_lo, s0
	v_mul_u32_u24_e32 v57, 0x208, v32
	v_writelane_b32 v103, s1, 16
	v_cmp_le_u32_e64 s1, v6, v2
	v_mad_u32_u24 v45, 0x1f8, v6, v44
	v_dual_sub_nc_u32 v37, v55, v33 :: v_dual_lshrrev_b32 v35, 5, v36
	v_sub_nc_u32_e32 v38, v57, v34
	s_or_b32 s7, s7, s1
	s_delay_alu instid0(VALU_DEP_3)
	v_mad_i32_i24 v46, 0xfffffe08, v6, v45
	v_writelane_b32 v103, s7, 17
	v_cmp_le_u32_e64 s7, v6, v4
	v_mbcnt_lo_u32_b32 v29, -1, 0
	v_lshlrev_b32_e32 v59, 3, v35
	v_mad_u32_u24 v47, 0x1f8, v6, v46
	v_add_max_i32_e64 v40, 0x70, v18, v16
	s_or_b32 s8, s8, s7
	v_lshlrev_b32_e32 v29, 20, v29
	v_writelane_b32 v103, s8, 18
	v_cmp_le_u32_e64 s8, v6, v22
	v_mad_i32_i24 v48, 0xfffffe08, v6, v47
	v_dual_ashrrev_i32 v11, 31, v10 :: v_dual_lshlrev_b32 v1, 3, v1
	v_dual_lshlrev_b32 v64, 3, v15 :: v_dual_add_nc_u32 v66, v30, v60
	s_or_b32 s9, s9, s8
	s_delay_alu instid0(VALU_DEP_3) | instskip(SKIP_3) | instid1(VALU_DEP_4)
	v_mad_u32_u24 v49, 0x1f8, v6, v48
	v_writelane_b32 v103, s9, 19
	v_cmp_le_u32_e64 s9, v6, v26
	v_dual_lshlrev_b32 v67, 3, v21 :: v_dual_add_nc_u32 v70, v37, v64
	v_mad_i32_i24 v50, 0xfffffe08, v6, v49
	v_lshl_or_b32 v61, v25, 9, v1
	s_or_b32 s10, s10, s9
	v_add_nc_u32_e32 v63, 0x8000, v27
	v_writelane_b32 v103, s10, 20
	v_mad_u32_u24 v52, 0x1f8, v6, v50
	v_dual_add_nc_u32 v73, v38, v67 :: v_dual_bitop2_b32 v74, 31, v0 bitop3:0x40
	v_dual_lshlrev_b32 v75, 9, v35 :: v_dual_lshlrev_b32 v18, 3, v2
	v_writelane_b32 v103, s86, 21
	s_delay_alu instid0(VALU_DEP_4)
	v_mad_i32_i24 v54, 0xfffffe08, v6, v52
	v_mul_u64_e32 v[0:1], s[72:73], v[12:13]
	v_mul_u64_e32 v[12:13], s[64:65], v[16:17]
	;; [unrolled: 1-line block ×3, first 2 shown]
	v_writelane_b32 v103, s87, 22
	v_mad_u32_u24 v56, 0x1f8, v6, v54
	v_add_nc_u64_e32 v[16:17], src_flat_scratch_base_lo, v[28:29]
	v_dual_mov_b32 v28, 8 :: v_dual_add_nc_u32 v71, 0x8000, v34
	v_writelane_b32 v103, s62, 23
	s_delay_alu instid0(VALU_DEP_4) | instskip(SKIP_3) | instid1(VALU_DEP_4)
	v_mad_i32_i24 v58, 0xfffffe08, v6, v56
	v_dual_lshlrev_b32 v77, 3, v19 :: v_dual_lshlrev_b32 v78, 3, v20
	v_dual_lshlrev_b32 v79, 3, v23 :: v_dual_mov_b32 v23, v5
	v_writelane_b32 v103, s63, 24
	v_mad_u32_u24 v76, 0x1f8, v6, v58
	v_or_b32_e32 v81, 0xa000, v18
	v_or_b32_e32 v39, v4, v6
	v_lshlrev_b32_e32 v84, 3, v74
	v_writelane_b32 v103, s23, 25
	v_cmp_gt_u32_e64 s23, 0xe0, v36
	v_add_nc_u32_e32 v82, v76, v18
	v_add_nc_u64_e32 v[18:19], src_flat_scratch_base_lo, v[28:29]
	v_dual_mov_b32 v28, 16 :: v_dual_lshlrev_b32 v80, 3, v24
	v_mov_b32_e32 v27, v5
	v_writelane_b32 v103, s23, 26
	v_cmp_gt_u32_e64 s23, 0xd0, v36
	v_or_b32_e32 v37, v22, v6
	v_mul_u64_e32 v[20:21], s[64:65], v[22:23]
	v_add_nc_u64_e32 v[22:23], src_flat_scratch_base_lo, v[28:29]
	v_mov_b32_e32 v28, 24
	v_writelane_b32 v103, s23, 27
	v_cmp_gt_u32_e64 s23, 0xc0, v36
	v_lshl_add_u32 v53, v25, 3, 0x8000
	v_mul_u32_u24_e32 v62, 0x208, v25
	v_dual_add_nc_u32 v91, v81, v7 :: v_dual_bitop2_b32 v38, v26, v6 bitop3:0x54
	s_delay_alu instid0(VALU_DEP_4)
	v_writelane_b32 v103, s23, 28
	v_cmp_gt_u32_e64 s23, 0xb0, v36
	v_mul_u64_e32 v[24:25], s[64:65], v[26:27]
	v_add_nc_u64_e32 v[26:27], src_flat_scratch_base_lo, v[28:29]
	v_mul_u64_e32 v[28:29], s[64:65], v[4:5]
	v_lshlrev_b32_e32 v4, 3, v6
	v_writelane_b32 v103, s23, 29
	v_cmp_gt_u32_e64 s23, 0xa0, v36
	v_dual_mov_b32 v3, v5 :: v_dual_add_nc_u32 v68, 0x8000, v33
	v_lshl_or_b32 v69, v31, 9, v64
	v_lshl_or_b32 v72, v32, 9, v67
	s_delay_alu instid0(VALU_DEP_4)
	v_writelane_b32 v103, s23, 30
	v_cmp_gt_u32_e64 s23, 0x90, v36
	v_mul_u64_e32 v[30:31], s[64:65], v[2:3]
	v_cmp_lt_u32_e32 vcc_lo, 0x3ff, v36
	v_mov_b64_e32 v[32:33], 0
	v_mov_b64_e32 v[34:35], 0x3f800000
	v_writelane_b32 v103, s23, 31
	v_cmp_gt_u32_e64 s23, 0x80, v36
	s_add_nc_u64 s[84:85], s[60:61], s[12:13]
	s_add_nc_u64 s[68:69], s[68:69], s[14:15]
	s_add_co_i32 s61, s30, 1
	v_add3_u32 v83, v7, v41, 0x7800
	v_writelane_b32 v102, s23, 0
	v_cmp_gt_u32_e64 s23, 0x70, v36
	s_lshl_b64 s[86:87], s[16:17], 3
	v_add_nc_u32_e32 v85, 0x8000, v59
	v_or_b32_e32 v86, v75, v84
	v_lshl_add_u32 v87, v8, 3, 0xa000
	v_writelane_b32 v102, s23, 1
	v_cmp_gt_u32_e64 s23, 0x60, v36
	v_lshl_add_u32 v88, v36, 3, 0x8000
	v_add_nc_u32_e32 v89, 0x8000, v7
	v_lshl_add_u32 v90, v2, 9, v54
	v_or_b32_e32 v92, 0x4100, v84
	v_writelane_b32 v102, s23, 2
	v_cmp_gt_u32_e64 s23, 0x50, v36
	v_subrev_nc_u32_e32 v93, 63, v6
	v_cmp_eq_u32_e64 s10, 0, v42
	v_cmp_gt_u32_e64 s11, 2, v36
	v_cmp_gt_u32_e64 s12, 12, v36
	v_writelane_b32 v102, s23, 3
	v_cmp_le_i32_e64 s23, s78, v40
	v_cmp_gt_u32_e64 s13, 8, v36
	v_cmp_gt_u32_e64 s14, 56, v36
	;; [unrolled: 1-line block ×4, first 2 shown]
	v_writelane_b32 v102, s23, 4
	v_cmp_gt_u32_e64 s23, 64, v42
	v_cmp_gt_u32_e64 s17, 32, v36
	;; [unrolled: 1-line block ×4, first 2 shown]
	v_cmp_eq_u32_e64 s31, 0, v8
	v_writelane_b32 v102, s23, 5
	v_cmp_gt_u32_e64 s23, 64, v39
	v_cmp_gt_u32_e64 s33, 64, v8
	s_xor_b32 s60, vcc_lo, -1
	v_writelane_b32 v102, s23, 6
	v_cmp_gt_u32_e64 s23, 64, v37
	s_delay_alu instid0(VALU_DEP_1) | instskip(SKIP_1) | instid1(VALU_DEP_1)
	v_writelane_b32 v102, s23, 7
	v_cmp_gt_u32_e64 s23, 64, v38
	v_writelane_b32 v102, s23, 8
	v_cmp_gt_u32_e64 s23, 0x3e0, v36
	s_delay_alu instid0(VALU_DEP_1) | instskip(SKIP_1) | instid1(VALU_DEP_1)
	v_writelane_b32 v102, s23, 9
	v_cmp_gt_u32_e64 s23, 0x3c0, v36
	;; [unrolled: 5-line block ×12, first 2 shown]
	v_writelane_b32 v102, s23, 30
	v_cmp_gt_u32_e64 s23, 0x120, v36
	s_delay_alu instid0(VALU_DEP_1)
	v_writelane_b32 v102, s23, 31
	s_branch .LBB68_3
.LBB68_2:                               ;   in Loop: Header=BB68_3 Depth=1
	s_wait_xcnt 0x0
	s_or_b32 exec_lo, exec_lo, s23
	s_add_co_i32 s76, s76, 0x10000
	global_wb scope:SCOPE_DEV
	s_wait_storecnt 0x0
	global_inv scope:SCOPE_DEV
	s_cmp_lt_u32 s76, s90
	s_cbranch_scc0 .LBB68_1112
.LBB68_3:                               ; =>This Loop Header: Depth=1
                                        ;     Child Loop BB68_539 Depth 2
                                        ;     Child Loop BB68_987 Depth 2
                                        ;       Child Loop BB68_989 Depth 3
                                        ;     Child Loop BB68_1018 Depth 2
	s_mul_u64 s[62:63], s[66:67], s[76:77]
	v_readlane_b32 s23, v103, 0
	s_lshl_b64 s[62:63], s[62:63], 3
	s_delay_alu instid0(SALU_CYCLE_1)
	s_add_nc_u64 s[62:63], s[84:85], s[62:63]
	s_and_not1_b32 vcc_lo, exec_lo, s23
	v_lshl_add_u64 v[36:37], v[12:13], 3, s[62:63]
	s_cbranch_vccnz .LBB68_15
; %bb.4:                                ;   in Loop: Header=BB68_3 Depth=1
	s_delay_alu instid0(VALU_DEP_1)
	v_lshl_add_u64 v[38:39], v[10:11], 3, v[36:37]
	v_dual_mov_b32 v40, 0 :: v_dual_mov_b32 v42, 0
	v_mov_b32_e32 v43, 0
	s_barrier_signal -1
	s_barrier_wait -1
	s_mov_b32 s23, exec_lo
	v_readlane_b32 s25, v103, 14
	s_and_b32 s25, s23, s25
	s_delay_alu instid0(SALU_CYCLE_1)
	s_mov_b32 exec_lo, s25
	s_cbranch_execz .LBB68_6
; %bb.5:                                ;   in Loop: Header=BB68_3 Depth=1
	global_load_b64 v[42:43], v[38:39], off
.LBB68_6:                               ;   in Loop: Header=BB68_3 Depth=1
	s_wait_xcnt 0x0
	s_or_b32 exec_lo, exec_lo, s23
	v_mov_b32_e32 v41, 0
	s_wait_loadcnt 0x0
	scratch_store_b64 off, v[42:43], off
	s_wait_storecnt 0x0
	s_barrier_signal -1
	s_barrier_wait -1
	s_wait_xcnt 0x0
	s_mov_b32 s23, exec_lo
	v_readlane_b32 s25, v103, 15
	s_and_b32 s25, s23, s25
	s_delay_alu instid0(SALU_CYCLE_1)
	s_mov_b32 exec_lo, s25
	s_cbranch_execz .LBB68_8
; %bb.7:                                ;   in Loop: Header=BB68_3 Depth=1
	global_load_b64 v[40:41], v[38:39], off offset:128
.LBB68_8:                               ;   in Loop: Header=BB68_3 Depth=1
	s_wait_xcnt 0x0
	s_or_b32 exec_lo, exec_lo, s23
	s_wait_loadcnt 0x0
	scratch_store_b64 off, v[40:41], off offset:8
	s_wait_xcnt 0x0
	v_dual_mov_b32 v40, 0 :: v_dual_mov_b32 v41, 0
	s_wait_storecnt 0x0
	s_barrier_signal -1
	s_barrier_wait -1
	s_mov_b32 s23, exec_lo
	v_readlane_b32 s25, v103, 16
	s_and_b32 s25, s23, s25
	s_delay_alu instid0(SALU_CYCLE_1)
	s_mov_b32 exec_lo, s25
	s_cbranch_execz .LBB68_10
; %bb.9:                                ;   in Loop: Header=BB68_3 Depth=1
	global_load_b64 v[40:41], v[38:39], off offset:256
.LBB68_10:                              ;   in Loop: Header=BB68_3 Depth=1
	s_wait_xcnt 0x0
	s_or_b32 exec_lo, exec_lo, s23
	s_wait_loadcnt 0x0
	scratch_store_b64 off, v[40:41], off offset:16
	s_wait_storecnt 0x0
	s_barrier_signal -1
	s_barrier_wait -1
	s_wait_xcnt 0x0
	s_mov_b32 s23, exec_lo
	v_readlane_b32 s25, v102, 4
	s_and_b32 s25, s23, s25
	s_delay_alu instid0(SALU_CYCLE_1)
	s_xor_b32 s23, s25, s23
	s_mov_b32 exec_lo, s25
	s_cbranch_execz .LBB68_12
; %bb.11:                               ;   in Loop: Header=BB68_3 Depth=1
	scratch_store_b64 off, v[32:33], off offset:24
                                        ; implicit-def: $vgpr38_vgpr39
.LBB68_12:                              ;   in Loop: Header=BB68_3 Depth=1
	s_wait_xcnt 0x0
	s_and_not1_saveexec_b32 s23, s23
	s_cbranch_execz .LBB68_14
; %bb.13:                               ;   in Loop: Header=BB68_3 Depth=1
	global_load_b64 v[38:39], v[38:39], off offset:384
	s_wait_loadcnt 0x0
	scratch_store_b64 off, v[38:39], off offset:24
.LBB68_14:                              ;   in Loop: Header=BB68_3 Depth=1
	s_wait_xcnt 0x0
	s_or_b32 exec_lo, exec_lo, s23
.LBB68_15:                              ;   in Loop: Header=BB68_3 Depth=1
	s_add_nc_u64 s[62:63], s[62:63], s[86:87]
	s_and_not1_b32 vcc_lo, exec_lo, s93
	v_add_nc_u64_e32 v[38:39], s[62:63], v[4:5]
	s_mov_b32 s23, -1
	s_cbranch_vccnz .LBB68_26
; %bb.16:                               ;   in Loop: Header=BB68_3 Depth=1
	s_and_saveexec_b32 s23, s1
	s_delay_alu instid0(SALU_CYCLE_1)
	s_xor_b32 s23, exec_lo, s23
	s_cbranch_execnz .LBB68_1040
; %bb.17:                               ;   in Loop: Header=BB68_3 Depth=1
	s_and_not1_saveexec_b32 s23, s23
	s_cbranch_execnz .LBB68_1043
.LBB68_18:                              ;   in Loop: Header=BB68_3 Depth=1
	s_or_b32 exec_lo, exec_lo, s23
	s_and_saveexec_b32 s23, s7
	s_delay_alu instid0(SALU_CYCLE_1)
	s_xor_b32 s23, exec_lo, s23
	s_cbranch_execnz .LBB68_1044
.LBB68_19:                              ;   in Loop: Header=BB68_3 Depth=1
	s_and_not1_saveexec_b32 s23, s23
	s_cbranch_execnz .LBB68_1047
.LBB68_20:                              ;   in Loop: Header=BB68_3 Depth=1
	s_or_b32 exec_lo, exec_lo, s23
	s_and_saveexec_b32 s23, s8
	s_delay_alu instid0(SALU_CYCLE_1)
	s_xor_b32 s23, exec_lo, s23
	s_cbranch_execnz .LBB68_1048
.LBB68_21:                              ;   in Loop: Header=BB68_3 Depth=1
	s_and_not1_saveexec_b32 s23, s23
	s_cbranch_execnz .LBB68_1051
.LBB68_22:                              ;   in Loop: Header=BB68_3 Depth=1
	s_or_b32 exec_lo, exec_lo, s23
	s_and_saveexec_b32 s23, s9
	s_delay_alu instid0(SALU_CYCLE_1)
	s_xor_b32 s23, exec_lo, s23
	s_cbranch_execnz .LBB68_1052
.LBB68_23:                              ;   in Loop: Header=BB68_3 Depth=1
	s_and_not1_saveexec_b32 s23, s23
	s_cbranch_execz .LBB68_25
.LBB68_24:                              ;   in Loop: Header=BB68_3 Depth=1
	v_lshl_add_u64 v[40:41], v[24:25], 3, v[38:39]
	global_load_b64 v[40:41], v[40:41], off
	s_wait_loadcnt 0x0
	s_wait_xcnt 0x0
	v_pk_add_f32 v[40:41], v[40:41], 0 neg_lo:[1,1] neg_hi:[1,1]
	ds_store_b64 v80, v[40:41]
.LBB68_25:                              ;   in Loop: Header=BB68_3 Depth=1
	s_or_b32 exec_lo, exec_lo, s23
	s_mov_b32 s23, 0
.LBB68_26:                              ;   in Loop: Header=BB68_3 Depth=1
	s_delay_alu instid0(SALU_CYCLE_1)
	s_and_b32 vcc_lo, exec_lo, s23
	s_cbranch_vccz .LBB68_52
; %bb.27:                               ;   in Loop: Header=BB68_3 Depth=1
	s_mov_b32 s23, exec_lo
	v_readlane_b32 s25, v103, 17
	s_and_b32 s25, s23, s25
	s_delay_alu instid0(SALU_CYCLE_1)
	s_xor_b32 s23, s25, s23
	s_mov_b32 exec_lo, s25
	s_cbranch_execz .LBB68_31
; %bb.28:                               ;   in Loop: Header=BB68_3 Depth=1
	v_readlane_b32 s27, v102, 5
	s_and_saveexec_b32 s25, s27
; %bb.29:                               ;   in Loop: Header=BB68_3 Depth=1
	ds_store_b64 v82, v[32:33]
; %bb.30:                               ;   in Loop: Header=BB68_3 Depth=1
	s_or_b32 exec_lo, exec_lo, s25
.LBB68_31:                              ;   in Loop: Header=BB68_3 Depth=1
	s_and_not1_saveexec_b32 s23, s23
	s_cbranch_execz .LBB68_33
; %bb.32:                               ;   in Loop: Header=BB68_3 Depth=1
	v_lshl_add_u64 v[40:41], v[30:31], 3, v[38:39]
	global_load_b64 v[40:41], v[40:41], off
	s_wait_loadcnt 0x0
	s_wait_xcnt 0x0
	v_pk_add_f32 v[40:41], v[40:41], 0 neg_lo:[1,1] neg_hi:[1,1]
	ds_store_b64 v82, v[40:41]
.LBB68_33:                              ;   in Loop: Header=BB68_3 Depth=1
	s_or_b32 exec_lo, exec_lo, s23
	s_delay_alu instid0(SALU_CYCLE_1) | instskip(SKIP_2) | instid1(SALU_CYCLE_1)
	s_mov_b32 s23, exec_lo
	v_readlane_b32 s25, v103, 18
	s_and_b32 s25, s23, s25
	s_xor_b32 s23, s25, s23
	s_mov_b32 exec_lo, s25
	s_cbranch_execz .LBB68_37
; %bb.34:                               ;   in Loop: Header=BB68_3 Depth=1
	v_readlane_b32 s27, v102, 6
	s_and_saveexec_b32 s25, s27
; %bb.35:                               ;   in Loop: Header=BB68_3 Depth=1
	ds_store_b64 v78, v[32:33]
; %bb.36:                               ;   in Loop: Header=BB68_3 Depth=1
	s_or_b32 exec_lo, exec_lo, s25
.LBB68_37:                              ;   in Loop: Header=BB68_3 Depth=1
	s_and_not1_saveexec_b32 s23, s23
	s_cbranch_execz .LBB68_39
; %bb.38:                               ;   in Loop: Header=BB68_3 Depth=1
	v_lshl_add_u64 v[40:41], v[28:29], 3, v[38:39]
	global_load_b64 v[40:41], v[40:41], off
	s_wait_loadcnt 0x0
	s_wait_xcnt 0x0
	v_pk_add_f32 v[40:41], v[40:41], 0 neg_lo:[1,1] neg_hi:[1,1]
	ds_store_b64 v78, v[40:41]
.LBB68_39:                              ;   in Loop: Header=BB68_3 Depth=1
	s_or_b32 exec_lo, exec_lo, s23
	s_delay_alu instid0(SALU_CYCLE_1) | instskip(SKIP_2) | instid1(SALU_CYCLE_1)
	s_mov_b32 s23, exec_lo
	v_readlane_b32 s25, v103, 19
	s_and_b32 s25, s23, s25
	;; [unrolled: 26-line block ×3, first 2 shown]
	s_xor_b32 s23, s25, s23
	s_mov_b32 exec_lo, s25
	s_cbranch_execz .LBB68_49
; %bb.46:                               ;   in Loop: Header=BB68_3 Depth=1
	v_readlane_b32 s27, v102, 8
	s_and_saveexec_b32 s25, s27
; %bb.47:                               ;   in Loop: Header=BB68_3 Depth=1
	ds_store_b64 v80, v[32:33]
; %bb.48:                               ;   in Loop: Header=BB68_3 Depth=1
	s_or_b32 exec_lo, exec_lo, s25
                                        ; implicit-def: $vgpr38_vgpr39
.LBB68_49:                              ;   in Loop: Header=BB68_3 Depth=1
	s_and_not1_saveexec_b32 s23, s23
	s_cbranch_execz .LBB68_51
; %bb.50:                               ;   in Loop: Header=BB68_3 Depth=1
	v_lshl_add_u64 v[38:39], v[24:25], 3, v[38:39]
	global_load_b64 v[38:39], v[38:39], off
	s_wait_loadcnt 0x0
	s_wait_xcnt 0x0
	v_pk_add_f32 v[38:39], v[38:39], 0 neg_lo:[1,1] neg_hi:[1,1]
	ds_store_b64 v80, v[38:39]
.LBB68_51:                              ;   in Loop: Header=BB68_3 Depth=1
	s_or_b32 exec_lo, exec_lo, s23
.LBB68_52:                              ;   in Loop: Header=BB68_3 Depth=1
	s_delay_alu instid0(SALU_CYCLE_1)
	s_and_not1_b32 vcc_lo, exec_lo, s95
	s_wait_storecnt_dscnt 0x0
	s_barrier_signal -1
	s_barrier_wait -1
	s_cbranch_vccnz .LBB68_982
; %bb.53:                               ;   in Loop: Header=BB68_3 Depth=1
	s_and_saveexec_b32 s23, s10
	s_cbranch_execz .LBB68_55
; %bb.54:                               ;   in Loop: Header=BB68_3 Depth=1
	ds_load_b64 v[38:39], v5 offset:8
	ds_store_b64 v5, v[34:35] offset:520
	s_wait_dscnt 0x1
	ds_store_2addr_stride64_b64 v5, v[34:35], v[38:39] offset1:1
.LBB68_55:                              ;   in Loop: Header=BB68_3 Depth=1
	s_or_b32 exec_lo, exec_lo, s23
	v_mov_b64_e32 v[38:39], 0
	s_wait_dscnt 0x0
	s_barrier_signal -1
	s_barrier_wait -1
	s_and_saveexec_b32 s23, s2
	s_cbranch_execz .LBB68_59
; %bb.56:                               ;   in Loop: Header=BB68_3 Depth=1
	ds_load_b64 v[38:39], v61 offset:16
	ds_load_b64 v[40:41], v62
	s_wait_dscnt 0x0
	v_pk_mul_f32 v[42:43], v[40:41], v[38:39] op_sel:[1,1] op_sel_hi:[0,1]
	s_delay_alu instid0(VALU_DEP_1) | instskip(SKIP_1) | instid1(VALU_DEP_2)
	v_pk_fma_f32 v[94:95], v[40:41], v[38:39], v[42:43] op_sel_hi:[1,0,1]
	v_pk_fma_f32 v[38:39], v[40:41], v[38:39], v[42:43] neg_lo:[0,0,1] neg_hi:[0,0,1]
	v_mov_b32_e32 v39, v95
	s_delay_alu instid0(VALU_DEP_1)
	v_pk_add_f32 v[38:39], v[38:39], 0 op_sel_hi:[1,0]
	s_and_saveexec_b32 s25, s11
	s_cbranch_execz .LBB68_58
; %bb.57:                               ;   in Loop: Header=BB68_3 Depth=1
	ds_load_b64 v[40:41], v7 offset:528
	ds_load_b64 v[42:43], v5 offset:8
	s_wait_dscnt 0x0
	v_pk_mul_f32 v[94:95], v[42:43], v[40:41] op_sel:[1,1] op_sel_hi:[0,1]
	s_delay_alu instid0(VALU_DEP_1) | instskip(SKIP_1) | instid1(VALU_DEP_2)
	v_pk_fma_f32 v[96:97], v[42:43], v[40:41], v[94:95] op_sel_hi:[1,0,1]
	v_pk_fma_f32 v[40:41], v[42:43], v[40:41], v[94:95] neg_lo:[0,0,1] neg_hi:[0,0,1]
	v_mov_b32_e32 v41, v97
	s_delay_alu instid0(VALU_DEP_1)
	v_pk_add_f32 v[38:39], v[38:39], v[40:41]
.LBB68_58:                              ;   in Loop: Header=BB68_3 Depth=1
	s_or_b32 exec_lo, exec_lo, s25
	s_delay_alu instid0(VALU_DEP_1)
	v_pk_add_f32 v[38:39], v[38:39], 0 neg_lo:[1,1] neg_hi:[1,1]
.LBB68_59:                              ;   in Loop: Header=BB68_3 Depth=1
	s_or_b32 exec_lo, exec_lo, s23
	s_and_saveexec_b32 s23, s96
; %bb.60:                               ;   in Loop: Header=BB68_3 Depth=1
	ds_store_b64 v53, v[38:39]
; %bb.61:                               ;   in Loop: Header=BB68_3 Depth=1
	s_or_b32 exec_lo, exec_lo, s23
	s_wait_dscnt 0x0
	s_barrier_signal -1
	s_barrier_wait -1
	s_and_saveexec_b32 s23, s97
	s_cbranch_execz .LBB68_63
; %bb.62:                               ;   in Loop: Header=BB68_3 Depth=1
	ds_load_b64 v[40:41], v5 offset:1048
	ds_load_b64 v[42:43], v53
	s_wait_dscnt 0x0
	v_pk_mul_f32 v[94:95], v[42:43], v[40:41] op_sel:[1,1] op_sel_hi:[0,1]
	s_delay_alu instid0(VALU_DEP_1) | instskip(SKIP_1) | instid1(VALU_DEP_2)
	v_pk_fma_f32 v[96:97], v[42:43], v[40:41], v[94:95] op_sel_hi:[1,0,1]
	v_pk_fma_f32 v[40:41], v[42:43], v[40:41], v[94:95] neg_lo:[0,0,1] neg_hi:[0,0,1]
	v_mov_b32_e32 v41, v97
	s_delay_alu instid0(VALU_DEP_1)
	v_pk_add_f32 v[38:39], v[38:39], v[40:41]
.LBB68_63:                              ;   in Loop: Header=BB68_3 Depth=1
	s_or_b32 exec_lo, exec_lo, s23
	s_barrier_signal -1
	s_barrier_wait -1
	s_and_saveexec_b32 s23, s97
; %bb.64:                               ;   in Loop: Header=BB68_3 Depth=1
	ds_store_b64 v53, v[38:39]
; %bb.65:                               ;   in Loop: Header=BB68_3 Depth=1
	s_or_b32 exec_lo, exec_lo, s23
	s_wait_dscnt 0x0
	s_barrier_signal -1
	s_barrier_wait -1
	s_barrier_signal -1
	s_barrier_wait -1
	s_and_saveexec_b32 s23, s2
; %bb.66:                               ;   in Loop: Header=BB68_3 Depth=1
	v_pk_add_f32 v[38:39], v[38:39], 0 neg_lo:[1,1] neg_hi:[1,1]
	ds_store_b64 v61, v[38:39] offset:16
; %bb.67:                               ;   in Loop: Header=BB68_3 Depth=1
	s_or_b32 exec_lo, exec_lo, s23
	s_wait_dscnt 0x0
	s_barrier_signal -1
	s_barrier_wait -1
	s_barrier_signal -1
	s_barrier_wait -1
	s_and_saveexec_b32 s23, s98
	s_cbranch_execz .LBB68_69
; %bb.68:                               ;   in Loop: Header=BB68_3 Depth=1
	ds_load_b64 v[38:39], v9 offset:16
	s_wait_dscnt 0x0
	ds_store_b64 v7, v[38:39] offset:1024
	ds_load_b64 v[38:39], v9 offset:24
	s_wait_dscnt 0x0
	ds_store_b64 v7, v[38:39] offset:1536
.LBB68_69:                              ;   in Loop: Header=BB68_3 Depth=1
	s_or_b32 exec_lo, exec_lo, s23
	s_wait_dscnt 0x0
	s_barrier_signal -1
	s_barrier_wait -1
	s_and_saveexec_b32 s23, s10
	s_cbranch_execz .LBB68_71
; %bb.70:                               ;   in Loop: Header=BB68_3 Depth=1
	ds_load_b64 v[38:39], v5 offset:1048
	ds_store_b64 v5, v[34:35] offset:1560
	s_wait_dscnt 0x1
	ds_store_2addr_b64 v5, v[34:35], v[38:39] offset0:130 offset1:194
.LBB68_71:                              ;   in Loop: Header=BB68_3 Depth=1
	s_or_b32 exec_lo, exec_lo, s23
	v_mov_b64_e32 v[38:39], 0
	s_wait_dscnt 0x0
	s_barrier_signal -1
	s_barrier_wait -1
	s_and_saveexec_b32 s62, s4
	s_cbranch_execz .LBB68_77
; %bb.72:                               ;   in Loop: Header=BB68_3 Depth=1
	ds_load_b64 v[38:39], v65 offset:32
	ds_load_b64 v[40:41], v51
	s_wait_dscnt 0x0
	v_dual_mul_f32 v3, v41, v39 :: v_dual_mul_f32 v39, v40, v39
	s_delay_alu instid0(VALU_DEP_1) | instskip(NEXT) | instid1(VALU_DEP_1)
	v_fmac_f32_e32 v39, v41, v38
	v_dual_fma_f32 v3, v40, v38, -v3 :: v_dual_add_f32 v39, 0, v39
	s_delay_alu instid0(VALU_DEP_1)
	v_add_f32_e32 v38, 0, v3
	s_and_saveexec_b32 s23, s12
	s_cbranch_execnz .LBB68_1062
; %bb.73:                               ;   in Loop: Header=BB68_3 Depth=1
	s_or_b32 exec_lo, exec_lo, s23
	s_and_saveexec_b32 s23, s13
	s_cbranch_execnz .LBB68_1063
.LBB68_74:                              ;   in Loop: Header=BB68_3 Depth=1
	s_or_b32 exec_lo, exec_lo, s23
	s_and_saveexec_b32 s23, s2
	s_cbranch_execz .LBB68_76
.LBB68_75:                              ;   in Loop: Header=BB68_3 Depth=1
	ds_load_b64 v[40:41], v44 offset:1568
	ds_load_b64 v[42:43], v5 offset:24
	s_wait_dscnt 0x0
	v_dual_mul_f32 v3, v43, v41 :: v_dual_mul_f32 v95, v42, v41
	s_delay_alu instid0(VALU_DEP_1) | instskip(NEXT) | instid1(VALU_DEP_2)
	v_fma_f32 v94, v42, v40, -v3
	v_fmac_f32_e32 v95, v43, v40
	s_delay_alu instid0(VALU_DEP_1)
	v_pk_add_f32 v[38:39], v[38:39], v[94:95]
.LBB68_76:                              ;   in Loop: Header=BB68_3 Depth=1
	s_or_b32 exec_lo, exec_lo, s23
	s_delay_alu instid0(VALU_DEP_1)
	v_pk_add_f32 v[38:39], v[38:39], 0 neg_lo:[1,1] neg_hi:[1,1]
.LBB68_77:                              ;   in Loop: Header=BB68_3 Depth=1
	s_or_b32 exec_lo, exec_lo, s62
	s_and_saveexec_b32 s23, s99
; %bb.78:                               ;   in Loop: Header=BB68_3 Depth=1
	ds_store_b64 v63, v[38:39]
; %bb.79:                               ;   in Loop: Header=BB68_3 Depth=1
	s_or_b32 exec_lo, exec_lo, s23
	s_wait_dscnt 0x0
	s_barrier_signal -1
	s_barrier_wait -1
	s_and_saveexec_b32 s23, s100
	s_cbranch_execz .LBB68_81
; %bb.80:                               ;   in Loop: Header=BB68_3 Depth=1
	ds_load_b64 v[40:41], v60 offset:2080
	ds_load_b64 v[42:43], v63
	s_wait_dscnt 0x0
	v_pk_mul_f32 v[94:95], v[42:43], v[40:41] op_sel:[1,1] op_sel_hi:[0,1]
	s_delay_alu instid0(VALU_DEP_1) | instskip(SKIP_1) | instid1(VALU_DEP_2)
	v_pk_fma_f32 v[96:97], v[42:43], v[40:41], v[94:95] op_sel_hi:[1,0,1]
	v_pk_fma_f32 v[40:41], v[42:43], v[40:41], v[94:95] neg_lo:[0,0,1] neg_hi:[0,0,1]
	v_mov_b32_e32 v41, v97
	s_delay_alu instid0(VALU_DEP_1)
	v_pk_add_f32 v[38:39], v[38:39], v[40:41]
.LBB68_81:                              ;   in Loop: Header=BB68_3 Depth=1
	s_or_b32 exec_lo, exec_lo, s23
	s_barrier_signal -1
	s_barrier_wait -1
	s_and_saveexec_b32 s23, s101
; %bb.82:                               ;   in Loop: Header=BB68_3 Depth=1
	ds_store_b64 v63, v[38:39]
; %bb.83:                               ;   in Loop: Header=BB68_3 Depth=1
	s_or_b32 exec_lo, exec_lo, s23
	s_wait_dscnt 0x0
	s_barrier_signal -1
	s_barrier_wait -1
	s_and_saveexec_b32 s23, s102
	s_cbranch_execz .LBB68_85
; %bb.84:                               ;   in Loop: Header=BB68_3 Depth=1
	ds_load_b64 v[40:41], v60 offset:2592
	ds_load_b64 v[42:43], v63
	s_wait_dscnt 0x0
	v_pk_mul_f32 v[94:95], v[42:43], v[40:41] op_sel:[1,1] op_sel_hi:[0,1]
	s_delay_alu instid0(VALU_DEP_1) | instskip(SKIP_1) | instid1(VALU_DEP_2)
	v_pk_fma_f32 v[96:97], v[42:43], v[40:41], v[94:95] op_sel_hi:[1,0,1]
	v_pk_fma_f32 v[40:41], v[42:43], v[40:41], v[94:95] neg_lo:[0,0,1] neg_hi:[0,0,1]
	v_mov_b32_e32 v41, v97
	s_delay_alu instid0(VALU_DEP_1)
	v_pk_add_f32 v[38:39], v[38:39], v[40:41]
.LBB68_85:                              ;   in Loop: Header=BB68_3 Depth=1
	s_or_b32 exec_lo, exec_lo, s23
	s_barrier_signal -1
	s_barrier_wait -1
	;; [unrolled: 25-line block ×3, first 2 shown]
	s_and_saveexec_b32 s23, s104
; %bb.90:                               ;   in Loop: Header=BB68_3 Depth=1
	ds_store_b64 v63, v[38:39]
; %bb.91:                               ;   in Loop: Header=BB68_3 Depth=1
	s_or_b32 exec_lo, exec_lo, s23
	s_wait_dscnt 0x0
	s_barrier_signal -1
	s_barrier_wait -1
	s_barrier_signal -1
	s_barrier_wait -1
	s_and_saveexec_b32 s23, s4
; %bb.92:                               ;   in Loop: Header=BB68_3 Depth=1
	v_pk_add_f32 v[38:39], v[38:39], 0 neg_lo:[1,1] neg_hi:[1,1]
	ds_store_b64 v65, v[38:39] offset:32
; %bb.93:                               ;   in Loop: Header=BB68_3 Depth=1
	s_or_b32 exec_lo, exec_lo, s23
	s_wait_dscnt 0x0
	s_barrier_signal -1
	s_barrier_wait -1
	s_barrier_signal -1
	s_barrier_wait -1
	s_and_saveexec_b32 s23, vcc_hi
	s_cbranch_execz .LBB68_95
; %bb.94:                               ;   in Loop: Header=BB68_3 Depth=1
	ds_load_b64 v[38:39], v45 offset:32
	s_wait_dscnt 0x0
	ds_store_b64 v46, v[38:39] offset:2048
	ds_load_b64 v[38:39], v45 offset:40
	s_wait_dscnt 0x0
	ds_store_b64 v46, v[38:39] offset:2560
	;; [unrolled: 3-line block ×4, first 2 shown]
.LBB68_95:                              ;   in Loop: Header=BB68_3 Depth=1
	s_or_b32 exec_lo, exec_lo, s23
	s_wait_dscnt 0x0
	s_barrier_signal -1
	s_barrier_wait -1
	s_and_saveexec_b32 s23, s10
	s_cbranch_execz .LBB68_97
; %bb.96:                               ;   in Loop: Header=BB68_3 Depth=1
	ds_load_b64 v[38:39], v5 offset:2088
	v_add_nc_u32_e64 v3, 32, 0
	ds_store_b64 v5, v[34:35] offset:2600
	s_wait_dscnt 0x1
	ds_store_2addr_stride64_b64 v3, v[34:35], v[38:39] offset0:4 offset1:5
.LBB68_97:                              ;   in Loop: Header=BB68_3 Depth=1
	s_or_b32 exec_lo, exec_lo, s23
	v_mov_b64_e32 v[38:39], 0
	s_wait_dscnt 0x0
	s_barrier_signal -1
	s_barrier_wait -1
	s_and_saveexec_b32 s23, s2
	s_cbranch_execz .LBB68_101
; %bb.98:                               ;   in Loop: Header=BB68_3 Depth=1
	ds_load_b64 v[38:39], v61 offset:2096
	ds_load_b64 v[40:41], v62 offset:2080
	s_wait_dscnt 0x0
	v_pk_mul_f32 v[42:43], v[40:41], v[38:39] op_sel:[1,1] op_sel_hi:[0,1]
	s_delay_alu instid0(VALU_DEP_1) | instskip(SKIP_1) | instid1(VALU_DEP_2)
	v_pk_fma_f32 v[94:95], v[40:41], v[38:39], v[42:43] op_sel_hi:[1,0,1]
	v_pk_fma_f32 v[38:39], v[40:41], v[38:39], v[42:43] neg_lo:[0,0,1] neg_hi:[0,0,1]
	v_mov_b32_e32 v39, v95
	s_delay_alu instid0(VALU_DEP_1)
	v_pk_add_f32 v[38:39], v[38:39], 0 op_sel_hi:[1,0]
	s_and_saveexec_b32 s25, s11
	s_cbranch_execz .LBB68_100
; %bb.99:                               ;   in Loop: Header=BB68_3 Depth=1
	ds_load_b64 v[40:41], v46 offset:2608
	ds_load_b64 v[42:43], v5 offset:2088
	s_wait_dscnt 0x0
	v_pk_mul_f32 v[94:95], v[42:43], v[40:41] op_sel:[1,1] op_sel_hi:[0,1]
	s_delay_alu instid0(VALU_DEP_1) | instskip(SKIP_1) | instid1(VALU_DEP_2)
	v_pk_fma_f32 v[96:97], v[42:43], v[40:41], v[94:95] op_sel_hi:[1,0,1]
	v_pk_fma_f32 v[40:41], v[42:43], v[40:41], v[94:95] neg_lo:[0,0,1] neg_hi:[0,0,1]
	v_mov_b32_e32 v41, v97
	s_delay_alu instid0(VALU_DEP_1)
	v_pk_add_f32 v[38:39], v[38:39], v[40:41]
.LBB68_100:                             ;   in Loop: Header=BB68_3 Depth=1
	s_or_b32 exec_lo, exec_lo, s25
	s_delay_alu instid0(VALU_DEP_1)
	v_pk_add_f32 v[38:39], v[38:39], 0 neg_lo:[1,1] neg_hi:[1,1]
.LBB68_101:                             ;   in Loop: Header=BB68_3 Depth=1
	s_or_b32 exec_lo, exec_lo, s23
	s_and_saveexec_b32 s23, s96
; %bb.102:                              ;   in Loop: Header=BB68_3 Depth=1
	ds_store_b64 v53, v[38:39]
; %bb.103:                              ;   in Loop: Header=BB68_3 Depth=1
	s_or_b32 exec_lo, exec_lo, s23
	s_wait_dscnt 0x0
	s_barrier_signal -1
	s_barrier_wait -1
	s_and_saveexec_b32 s23, s97
	s_cbranch_execz .LBB68_105
; %bb.104:                              ;   in Loop: Header=BB68_3 Depth=1
	ds_load_b64 v[40:41], v5 offset:3128
	ds_load_b64 v[42:43], v53
	s_wait_dscnt 0x0
	v_pk_mul_f32 v[94:95], v[42:43], v[40:41] op_sel:[1,1] op_sel_hi:[0,1]
	s_delay_alu instid0(VALU_DEP_1) | instskip(SKIP_1) | instid1(VALU_DEP_2)
	v_pk_fma_f32 v[96:97], v[42:43], v[40:41], v[94:95] op_sel_hi:[1,0,1]
	v_pk_fma_f32 v[40:41], v[42:43], v[40:41], v[94:95] neg_lo:[0,0,1] neg_hi:[0,0,1]
	v_mov_b32_e32 v41, v97
	s_delay_alu instid0(VALU_DEP_1)
	v_pk_add_f32 v[38:39], v[38:39], v[40:41]
.LBB68_105:                             ;   in Loop: Header=BB68_3 Depth=1
	s_or_b32 exec_lo, exec_lo, s23
	s_barrier_signal -1
	s_barrier_wait -1
	s_and_saveexec_b32 s23, s97
; %bb.106:                              ;   in Loop: Header=BB68_3 Depth=1
	ds_store_b64 v53, v[38:39]
; %bb.107:                              ;   in Loop: Header=BB68_3 Depth=1
	s_or_b32 exec_lo, exec_lo, s23
	s_wait_dscnt 0x0
	s_barrier_signal -1
	s_barrier_wait -1
	s_barrier_signal -1
	s_barrier_wait -1
	s_and_saveexec_b32 s23, s2
; %bb.108:                              ;   in Loop: Header=BB68_3 Depth=1
	v_pk_add_f32 v[38:39], v[38:39], 0 neg_lo:[1,1] neg_hi:[1,1]
	ds_store_b64 v61, v[38:39] offset:2096
; %bb.109:                              ;   in Loop: Header=BB68_3 Depth=1
	s_or_b32 exec_lo, exec_lo, s23
	s_wait_dscnt 0x0
	s_barrier_signal -1
	s_barrier_wait -1
	s_barrier_signal -1
	s_barrier_wait -1
	s_and_saveexec_b32 s23, s98
	s_cbranch_execz .LBB68_111
; %bb.110:                              ;   in Loop: Header=BB68_3 Depth=1
	ds_load_b64 v[38:39], v47 offset:2096
	s_wait_dscnt 0x0
	ds_store_b64 v46, v[38:39] offset:3104
	ds_load_b64 v[38:39], v47 offset:2104
	s_wait_dscnt 0x0
	ds_store_b64 v46, v[38:39] offset:3616
.LBB68_111:                             ;   in Loop: Header=BB68_3 Depth=1
	s_or_b32 exec_lo, exec_lo, s23
	s_wait_dscnt 0x0
	s_barrier_signal -1
	s_barrier_wait -1
	s_and_saveexec_b32 s23, s10
	s_cbranch_execz .LBB68_113
; %bb.112:                              ;   in Loop: Header=BB68_3 Depth=1
	ds_load_b64 v[38:39], v5 offset:3128
	v_add_nc_u32_e64 v3, 48, 0
	ds_store_b64 v5, v[34:35] offset:3640
	s_wait_dscnt 0x1
	ds_store_2addr_stride64_b64 v3, v[34:35], v[38:39] offset0:6 offset1:7
.LBB68_113:                             ;   in Loop: Header=BB68_3 Depth=1
	s_or_b32 exec_lo, exec_lo, s23
	v_mov_b64_e32 v[38:39], 0
	s_wait_dscnt 0x0
	s_barrier_signal -1
	s_barrier_wait -1
	s_and_saveexec_b32 s62, s5
	s_cbranch_execz .LBB68_123
; %bb.114:                              ;   in Loop: Header=BB68_3 Depth=1
	ds_load_b64 v[38:39], v69 offset:64
	ds_load_b64 v[40:41], v55
	s_wait_dscnt 0x0
	v_dual_mul_f32 v3, v41, v39 :: v_dual_mul_f32 v39, v40, v39
	s_delay_alu instid0(VALU_DEP_1) | instskip(NEXT) | instid1(VALU_DEP_1)
	v_fmac_f32_e32 v39, v41, v38
	v_dual_fma_f32 v3, v40, v38, -v3 :: v_dual_add_f32 v39, 0, v39
	s_delay_alu instid0(VALU_DEP_1)
	v_add_f32_e32 v38, 0, v3
	s_and_saveexec_b32 s23, s14
	s_cbranch_execnz .LBB68_1064
; %bb.115:                              ;   in Loop: Header=BB68_3 Depth=1
	s_or_b32 exec_lo, exec_lo, s23
	s_and_saveexec_b32 s23, s15
	s_cbranch_execnz .LBB68_1065
.LBB68_116:                             ;   in Loop: Header=BB68_3 Depth=1
	s_or_b32 exec_lo, exec_lo, s23
	s_and_saveexec_b32 s23, s16
	s_cbranch_execnz .LBB68_1066
.LBB68_117:                             ;   in Loop: Header=BB68_3 Depth=1
	s_or_b32 exec_lo, exec_lo, s23
	s_and_saveexec_b32 s23, s17
	s_cbranch_execnz .LBB68_1067
.LBB68_118:                             ;   in Loop: Header=BB68_3 Depth=1
	s_or_b32 exec_lo, exec_lo, s23
	s_and_saveexec_b32 s23, s18
	s_cbranch_execnz .LBB68_1068
.LBB68_119:                             ;   in Loop: Header=BB68_3 Depth=1
	s_or_b32 exec_lo, exec_lo, s23
	s_and_saveexec_b32 s23, s4
	s_cbranch_execnz .LBB68_1069
.LBB68_120:                             ;   in Loop: Header=BB68_3 Depth=1
	s_or_b32 exec_lo, exec_lo, s23
	s_and_saveexec_b32 s23, s13
	s_cbranch_execz .LBB68_122
.LBB68_121:                             ;   in Loop: Header=BB68_3 Depth=1
	ds_load_b64 v[40:41], v48 offset:3648
	ds_load_b64 v[42:43], v5 offset:56
	s_wait_dscnt 0x0
	v_pk_mul_f32 v[94:95], v[42:43], v[40:41] op_sel:[1,1] op_sel_hi:[0,1]
	s_delay_alu instid0(VALU_DEP_1) | instskip(SKIP_1) | instid1(VALU_DEP_2)
	v_pk_fma_f32 v[96:97], v[42:43], v[40:41], v[94:95] op_sel_hi:[1,0,1]
	v_pk_fma_f32 v[40:41], v[42:43], v[40:41], v[94:95] neg_lo:[0,0,1] neg_hi:[0,0,1]
	v_mov_b32_e32 v41, v97
	s_delay_alu instid0(VALU_DEP_1)
	v_pk_add_f32 v[38:39], v[38:39], v[40:41]
.LBB68_122:                             ;   in Loop: Header=BB68_3 Depth=1
	s_or_b32 exec_lo, exec_lo, s23
	s_delay_alu instid0(VALU_DEP_1)
	v_pk_add_f32 v[38:39], v[38:39], 0 neg_lo:[1,1] neg_hi:[1,1]
.LBB68_123:                             ;   in Loop: Header=BB68_3 Depth=1
	s_or_b32 exec_lo, exec_lo, s62
	s_and_saveexec_b32 s23, s39
; %bb.124:                              ;   in Loop: Header=BB68_3 Depth=1
	ds_store_b64 v68, v[38:39]
; %bb.125:                              ;   in Loop: Header=BB68_3 Depth=1
	s_or_b32 exec_lo, exec_lo, s23
	s_wait_dscnt 0x0
	s_barrier_signal -1
	s_barrier_wait -1
	s_and_saveexec_b32 s23, s40
	s_cbranch_execz .LBB68_127
; %bb.126:                              ;   in Loop: Header=BB68_3 Depth=1
	ds_load_b64 v[40:41], v64 offset:4160
	ds_load_b64 v[42:43], v68
	s_wait_dscnt 0x0
	v_pk_mul_f32 v[94:95], v[42:43], v[40:41] op_sel:[1,1] op_sel_hi:[0,1]
	s_delay_alu instid0(VALU_DEP_1) | instskip(SKIP_1) | instid1(VALU_DEP_2)
	v_pk_fma_f32 v[96:97], v[42:43], v[40:41], v[94:95] op_sel_hi:[1,0,1]
	v_pk_fma_f32 v[40:41], v[42:43], v[40:41], v[94:95] neg_lo:[0,0,1] neg_hi:[0,0,1]
	v_mov_b32_e32 v41, v97
	s_delay_alu instid0(VALU_DEP_1)
	v_pk_add_f32 v[38:39], v[38:39], v[40:41]
.LBB68_127:                             ;   in Loop: Header=BB68_3 Depth=1
	s_or_b32 exec_lo, exec_lo, s23
	s_barrier_signal -1
	s_barrier_wait -1
	s_and_saveexec_b32 s23, s41
; %bb.128:                              ;   in Loop: Header=BB68_3 Depth=1
	ds_store_b64 v68, v[38:39]
; %bb.129:                              ;   in Loop: Header=BB68_3 Depth=1
	s_or_b32 exec_lo, exec_lo, s23
	s_wait_dscnt 0x0
	s_barrier_signal -1
	s_barrier_wait -1
	s_and_saveexec_b32 s23, s42
	s_cbranch_execz .LBB68_131
; %bb.130:                              ;   in Loop: Header=BB68_3 Depth=1
	ds_load_b64 v[40:41], v64 offset:4672
	ds_load_b64 v[42:43], v68
	s_wait_dscnt 0x0
	v_dual_mul_f32 v3, v43, v41 :: v_dual_mul_f32 v41, v42, v41
	s_delay_alu instid0(VALU_DEP_1) | instskip(NEXT) | instid1(VALU_DEP_1)
	v_dual_fma_f32 v3, v42, v40, -v3 :: v_dual_fmac_f32 v41, v43, v40
	v_dual_add_f32 v38, v38, v3 :: v_dual_add_f32 v39, v39, v41
.LBB68_131:                             ;   in Loop: Header=BB68_3 Depth=1
	s_or_b32 exec_lo, exec_lo, s23
	s_barrier_signal -1
	s_barrier_wait -1
	s_and_saveexec_b32 s23, s43
; %bb.132:                              ;   in Loop: Header=BB68_3 Depth=1
	ds_store_b64 v68, v[38:39]
; %bb.133:                              ;   in Loop: Header=BB68_3 Depth=1
	s_or_b32 exec_lo, exec_lo, s23
	s_wait_dscnt 0x0
	s_barrier_signal -1
	s_barrier_wait -1
	s_and_saveexec_b32 s23, s44
	s_cbranch_execz .LBB68_135
; %bb.134:                              ;   in Loop: Header=BB68_3 Depth=1
	ds_load_b64 v[40:41], v64 offset:5184
	ds_load_b64 v[42:43], v68
	s_wait_dscnt 0x0
	v_dual_mul_f32 v3, v43, v41 :: v_dual_mul_f32 v95, v42, v41
	s_delay_alu instid0(VALU_DEP_1) | instskip(NEXT) | instid1(VALU_DEP_2)
	v_fma_f32 v94, v42, v40, -v3
	v_fmac_f32_e32 v95, v43, v40
	s_delay_alu instid0(VALU_DEP_1)
	v_pk_add_f32 v[38:39], v[38:39], v[94:95]
.LBB68_135:                             ;   in Loop: Header=BB68_3 Depth=1
	s_or_b32 exec_lo, exec_lo, s23
	s_barrier_signal -1
	s_barrier_wait -1
	s_and_saveexec_b32 s23, s45
; %bb.136:                              ;   in Loop: Header=BB68_3 Depth=1
	ds_store_b64 v68, v[38:39]
; %bb.137:                              ;   in Loop: Header=BB68_3 Depth=1
	s_or_b32 exec_lo, exec_lo, s23
	s_wait_dscnt 0x0
	s_barrier_signal -1
	s_barrier_wait -1
	s_and_saveexec_b32 s23, s46
	s_cbranch_execz .LBB68_139
; %bb.138:                              ;   in Loop: Header=BB68_3 Depth=1
	ds_load_b64 v[40:41], v64 offset:5696
	ds_load_b64 v[42:43], v68
	s_wait_dscnt 0x0
	v_pk_mul_f32 v[94:95], v[42:43], v[40:41] op_sel:[1,1] op_sel_hi:[0,1]
	s_delay_alu instid0(VALU_DEP_1) | instskip(SKIP_1) | instid1(VALU_DEP_2)
	v_pk_fma_f32 v[96:97], v[42:43], v[40:41], v[94:95] op_sel_hi:[1,0,1]
	v_pk_fma_f32 v[40:41], v[42:43], v[40:41], v[94:95] neg_lo:[0,0,1] neg_hi:[0,0,1]
	v_mov_b32_e32 v41, v97
	s_delay_alu instid0(VALU_DEP_1)
	v_pk_add_f32 v[38:39], v[38:39], v[40:41]
.LBB68_139:                             ;   in Loop: Header=BB68_3 Depth=1
	s_or_b32 exec_lo, exec_lo, s23
	s_barrier_signal -1
	s_barrier_wait -1
	s_and_saveexec_b32 s23, s47
; %bb.140:                              ;   in Loop: Header=BB68_3 Depth=1
	ds_store_b64 v68, v[38:39]
; %bb.141:                              ;   in Loop: Header=BB68_3 Depth=1
	s_or_b32 exec_lo, exec_lo, s23
	s_wait_dscnt 0x0
	s_barrier_signal -1
	s_barrier_wait -1
	s_and_saveexec_b32 s23, s48
	s_cbranch_execz .LBB68_143
; %bb.142:                              ;   in Loop: Header=BB68_3 Depth=1
	ds_load_b64 v[40:41], v64 offset:6208
	ds_load_b64 v[42:43], v68
	s_wait_dscnt 0x0
	v_pk_mul_f32 v[94:95], v[42:43], v[40:41] op_sel:[1,1] op_sel_hi:[0,1]
	s_delay_alu instid0(VALU_DEP_1) | instskip(SKIP_1) | instid1(VALU_DEP_2)
	v_pk_fma_f32 v[96:97], v[42:43], v[40:41], v[94:95] op_sel_hi:[1,0,1]
	v_pk_fma_f32 v[40:41], v[42:43], v[40:41], v[94:95] neg_lo:[0,0,1] neg_hi:[0,0,1]
	v_mov_b32_e32 v41, v97
	s_delay_alu instid0(VALU_DEP_1)
	v_pk_add_f32 v[38:39], v[38:39], v[40:41]
.LBB68_143:                             ;   in Loop: Header=BB68_3 Depth=1
	;; [unrolled: 25-line block ×4, first 2 shown]
	s_or_b32 exec_lo, exec_lo, s23
	s_barrier_signal -1
	s_barrier_wait -1
	s_and_saveexec_b32 s23, s52
; %bb.152:                              ;   in Loop: Header=BB68_3 Depth=1
	ds_store_b64 v68, v[38:39]
; %bb.153:                              ;   in Loop: Header=BB68_3 Depth=1
	s_or_b32 exec_lo, exec_lo, s23
	s_wait_dscnt 0x0
	s_barrier_signal -1
	s_barrier_wait -1
	s_barrier_signal -1
	s_barrier_wait -1
	s_and_saveexec_b32 s23, s5
; %bb.154:                              ;   in Loop: Header=BB68_3 Depth=1
	v_pk_add_f32 v[38:39], v[38:39], 0 neg_lo:[1,1] neg_hi:[1,1]
	ds_store_b64 v69, v[38:39] offset:64
; %bb.155:                              ;   in Loop: Header=BB68_3 Depth=1
	s_or_b32 exec_lo, exec_lo, s23
	s_wait_dscnt 0x0
	s_barrier_signal -1
	s_barrier_wait -1
	s_barrier_signal -1
	s_barrier_wait -1
	s_and_saveexec_b32 s23, s53
	s_cbranch_execz .LBB68_157
; %bb.156:                              ;   in Loop: Header=BB68_3 Depth=1
	ds_load_b64 v[38:39], v49 offset:64
	s_wait_dscnt 0x0
	ds_store_b64 v50, v[38:39] offset:4096
	ds_load_b64 v[38:39], v49 offset:72
	s_wait_dscnt 0x0
	ds_store_b64 v50, v[38:39] offset:4608
	;; [unrolled: 3-line block ×8, first 2 shown]
.LBB68_157:                             ;   in Loop: Header=BB68_3 Depth=1
	s_or_b32 exec_lo, exec_lo, s23
	s_wait_dscnt 0x0
	s_barrier_signal -1
	s_barrier_wait -1
	s_and_saveexec_b32 s23, s10
	s_cbranch_execz .LBB68_159
; %bb.158:                              ;   in Loop: Header=BB68_3 Depth=1
	ds_load_b64 v[38:39], v5 offset:4168
	v_add_nc_u32_e64 v3, 64, 0
	ds_store_b64 v5, v[34:35] offset:4680
	s_wait_dscnt 0x1
	ds_store_2addr_stride64_b64 v3, v[34:35], v[38:39] offset0:8 offset1:9
.LBB68_159:                             ;   in Loop: Header=BB68_3 Depth=1
	s_or_b32 exec_lo, exec_lo, s23
	v_mov_b64_e32 v[38:39], 0
	s_wait_dscnt 0x0
	s_barrier_signal -1
	s_barrier_wait -1
	s_and_saveexec_b32 s23, s2
	s_cbranch_execz .LBB68_163
; %bb.160:                              ;   in Loop: Header=BB68_3 Depth=1
	ds_load_b64 v[38:39], v61 offset:4176
	ds_load_b64 v[40:41], v62 offset:4160
	s_wait_dscnt 0x0
	v_pk_mul_f32 v[42:43], v[40:41], v[38:39] op_sel:[1,1] op_sel_hi:[0,1]
	s_delay_alu instid0(VALU_DEP_1) | instskip(SKIP_1) | instid1(VALU_DEP_2)
	v_pk_fma_f32 v[94:95], v[40:41], v[38:39], v[42:43] op_sel_hi:[1,0,1]
	v_pk_fma_f32 v[38:39], v[40:41], v[38:39], v[42:43] neg_lo:[0,0,1] neg_hi:[0,0,1]
	v_mov_b32_e32 v39, v95
	s_delay_alu instid0(VALU_DEP_1)
	v_pk_add_f32 v[38:39], v[38:39], 0 op_sel_hi:[1,0]
	s_and_saveexec_b32 s25, s11
	s_cbranch_execz .LBB68_162
; %bb.161:                              ;   in Loop: Header=BB68_3 Depth=1
	ds_load_b64 v[40:41], v50 offset:4688
	ds_load_b64 v[42:43], v5 offset:4168
	s_wait_dscnt 0x0
	v_pk_mul_f32 v[94:95], v[42:43], v[40:41] op_sel:[1,1] op_sel_hi:[0,1]
	s_delay_alu instid0(VALU_DEP_1) | instskip(SKIP_1) | instid1(VALU_DEP_2)
	v_pk_fma_f32 v[96:97], v[42:43], v[40:41], v[94:95] op_sel_hi:[1,0,1]
	v_pk_fma_f32 v[40:41], v[42:43], v[40:41], v[94:95] neg_lo:[0,0,1] neg_hi:[0,0,1]
	v_mov_b32_e32 v41, v97
	s_delay_alu instid0(VALU_DEP_1)
	v_pk_add_f32 v[38:39], v[38:39], v[40:41]
.LBB68_162:                             ;   in Loop: Header=BB68_3 Depth=1
	s_or_b32 exec_lo, exec_lo, s25
	s_delay_alu instid0(VALU_DEP_1)
	v_pk_add_f32 v[38:39], v[38:39], 0 neg_lo:[1,1] neg_hi:[1,1]
.LBB68_163:                             ;   in Loop: Header=BB68_3 Depth=1
	s_or_b32 exec_lo, exec_lo, s23
	s_and_saveexec_b32 s23, s96
; %bb.164:                              ;   in Loop: Header=BB68_3 Depth=1
	ds_store_b64 v53, v[38:39]
; %bb.165:                              ;   in Loop: Header=BB68_3 Depth=1
	s_or_b32 exec_lo, exec_lo, s23
	s_wait_dscnt 0x0
	s_barrier_signal -1
	s_barrier_wait -1
	s_and_saveexec_b32 s23, s97
	s_cbranch_execz .LBB68_167
; %bb.166:                              ;   in Loop: Header=BB68_3 Depth=1
	ds_load_b64 v[40:41], v5 offset:5208
	ds_load_b64 v[42:43], v53
	s_wait_dscnt 0x0
	v_pk_mul_f32 v[94:95], v[42:43], v[40:41] op_sel:[1,1] op_sel_hi:[0,1]
	s_delay_alu instid0(VALU_DEP_1) | instskip(SKIP_1) | instid1(VALU_DEP_2)
	v_pk_fma_f32 v[96:97], v[42:43], v[40:41], v[94:95] op_sel_hi:[1,0,1]
	v_pk_fma_f32 v[40:41], v[42:43], v[40:41], v[94:95] neg_lo:[0,0,1] neg_hi:[0,0,1]
	v_mov_b32_e32 v41, v97
	s_delay_alu instid0(VALU_DEP_1)
	v_pk_add_f32 v[38:39], v[38:39], v[40:41]
.LBB68_167:                             ;   in Loop: Header=BB68_3 Depth=1
	s_or_b32 exec_lo, exec_lo, s23
	s_barrier_signal -1
	s_barrier_wait -1
	s_and_saveexec_b32 s23, s97
; %bb.168:                              ;   in Loop: Header=BB68_3 Depth=1
	ds_store_b64 v53, v[38:39]
; %bb.169:                              ;   in Loop: Header=BB68_3 Depth=1
	s_or_b32 exec_lo, exec_lo, s23
	s_wait_dscnt 0x0
	s_barrier_signal -1
	s_barrier_wait -1
	s_barrier_signal -1
	s_barrier_wait -1
	s_and_saveexec_b32 s23, s2
; %bb.170:                              ;   in Loop: Header=BB68_3 Depth=1
	v_pk_add_f32 v[38:39], v[38:39], 0 neg_lo:[1,1] neg_hi:[1,1]
	ds_store_b64 v61, v[38:39] offset:4176
; %bb.171:                              ;   in Loop: Header=BB68_3 Depth=1
	s_or_b32 exec_lo, exec_lo, s23
	s_wait_dscnt 0x0
	s_barrier_signal -1
	s_barrier_wait -1
	s_barrier_signal -1
	s_barrier_wait -1
	s_and_saveexec_b32 s23, s98
	s_cbranch_execz .LBB68_173
; %bb.172:                              ;   in Loop: Header=BB68_3 Depth=1
	ds_load_b64 v[38:39], v52 offset:4176
	s_wait_dscnt 0x0
	ds_store_b64 v50, v[38:39] offset:5184
	ds_load_b64 v[38:39], v52 offset:4184
	s_wait_dscnt 0x0
	ds_store_b64 v50, v[38:39] offset:5696
.LBB68_173:                             ;   in Loop: Header=BB68_3 Depth=1
	s_or_b32 exec_lo, exec_lo, s23
	s_wait_dscnt 0x0
	s_barrier_signal -1
	s_barrier_wait -1
	s_and_saveexec_b32 s23, s10
	s_cbranch_execz .LBB68_175
; %bb.174:                              ;   in Loop: Header=BB68_3 Depth=1
	ds_load_b64 v[38:39], v5 offset:5208
	v_add_nc_u32_e64 v3, 0x50, 0
	ds_store_b64 v5, v[34:35] offset:5720
	s_wait_dscnt 0x1
	ds_store_2addr_stride64_b64 v3, v[34:35], v[38:39] offset0:10 offset1:11
.LBB68_175:                             ;   in Loop: Header=BB68_3 Depth=1
	s_or_b32 exec_lo, exec_lo, s23
	v_mov_b64_e32 v[38:39], 0
	s_wait_dscnt 0x0
	s_barrier_signal -1
	s_barrier_wait -1
	s_and_saveexec_b32 s62, s4
	s_cbranch_execz .LBB68_181
; %bb.176:                              ;   in Loop: Header=BB68_3 Depth=1
	ds_load_b64 v[38:39], v65 offset:4192
	ds_load_b64 v[40:41], v51 offset:4160
	s_wait_dscnt 0x0
	v_dual_mul_f32 v3, v41, v39 :: v_dual_mul_f32 v39, v40, v39
	s_delay_alu instid0(VALU_DEP_1) | instskip(NEXT) | instid1(VALU_DEP_1)
	v_fmac_f32_e32 v39, v41, v38
	v_dual_fma_f32 v3, v40, v38, -v3 :: v_dual_add_f32 v39, 0, v39
	s_delay_alu instid0(VALU_DEP_1)
	v_add_f32_e32 v38, 0, v3
	s_and_saveexec_b32 s23, s12
	s_cbranch_execnz .LBB68_1070
; %bb.177:                              ;   in Loop: Header=BB68_3 Depth=1
	s_or_b32 exec_lo, exec_lo, s23
	s_and_saveexec_b32 s23, s13
	s_cbranch_execnz .LBB68_1071
.LBB68_178:                             ;   in Loop: Header=BB68_3 Depth=1
	s_or_b32 exec_lo, exec_lo, s23
	s_and_saveexec_b32 s23, s2
	s_cbranch_execz .LBB68_180
.LBB68_179:                             ;   in Loop: Header=BB68_3 Depth=1
	ds_load_b64 v[40:41], v54 offset:5728
	ds_load_b64 v[42:43], v5 offset:4184
	s_wait_dscnt 0x0
	v_dual_mul_f32 v3, v43, v41 :: v_dual_mul_f32 v95, v42, v41
	s_delay_alu instid0(VALU_DEP_1) | instskip(NEXT) | instid1(VALU_DEP_2)
	v_fma_f32 v94, v42, v40, -v3
	v_fmac_f32_e32 v95, v43, v40
	s_delay_alu instid0(VALU_DEP_1)
	v_pk_add_f32 v[38:39], v[38:39], v[94:95]
.LBB68_180:                             ;   in Loop: Header=BB68_3 Depth=1
	s_or_b32 exec_lo, exec_lo, s23
	s_delay_alu instid0(VALU_DEP_1)
	v_pk_add_f32 v[38:39], v[38:39], 0 neg_lo:[1,1] neg_hi:[1,1]
.LBB68_181:                             ;   in Loop: Header=BB68_3 Depth=1
	s_or_b32 exec_lo, exec_lo, s62
	s_and_saveexec_b32 s23, s99
; %bb.182:                              ;   in Loop: Header=BB68_3 Depth=1
	ds_store_b64 v63, v[38:39]
; %bb.183:                              ;   in Loop: Header=BB68_3 Depth=1
	s_or_b32 exec_lo, exec_lo, s23
	s_wait_dscnt 0x0
	s_barrier_signal -1
	s_barrier_wait -1
	s_and_saveexec_b32 s23, s100
	s_cbranch_execz .LBB68_185
; %bb.184:                              ;   in Loop: Header=BB68_3 Depth=1
	ds_load_b64 v[40:41], v60 offset:6240
	ds_load_b64 v[42:43], v63
	s_wait_dscnt 0x0
	v_pk_mul_f32 v[94:95], v[42:43], v[40:41] op_sel:[1,1] op_sel_hi:[0,1]
	s_delay_alu instid0(VALU_DEP_1) | instskip(SKIP_1) | instid1(VALU_DEP_2)
	v_pk_fma_f32 v[96:97], v[42:43], v[40:41], v[94:95] op_sel_hi:[1,0,1]
	v_pk_fma_f32 v[40:41], v[42:43], v[40:41], v[94:95] neg_lo:[0,0,1] neg_hi:[0,0,1]
	v_mov_b32_e32 v41, v97
	s_delay_alu instid0(VALU_DEP_1)
	v_pk_add_f32 v[38:39], v[38:39], v[40:41]
.LBB68_185:                             ;   in Loop: Header=BB68_3 Depth=1
	s_or_b32 exec_lo, exec_lo, s23
	s_barrier_signal -1
	s_barrier_wait -1
	s_and_saveexec_b32 s23, s101
; %bb.186:                              ;   in Loop: Header=BB68_3 Depth=1
	ds_store_b64 v63, v[38:39]
; %bb.187:                              ;   in Loop: Header=BB68_3 Depth=1
	s_or_b32 exec_lo, exec_lo, s23
	s_wait_dscnt 0x0
	s_barrier_signal -1
	s_barrier_wait -1
	s_and_saveexec_b32 s23, s102
	s_cbranch_execz .LBB68_189
; %bb.188:                              ;   in Loop: Header=BB68_3 Depth=1
	ds_load_b64 v[40:41], v60 offset:6752
	ds_load_b64 v[42:43], v63
	s_wait_dscnt 0x0
	v_pk_mul_f32 v[94:95], v[42:43], v[40:41] op_sel:[1,1] op_sel_hi:[0,1]
	s_delay_alu instid0(VALU_DEP_1) | instskip(SKIP_1) | instid1(VALU_DEP_2)
	v_pk_fma_f32 v[96:97], v[42:43], v[40:41], v[94:95] op_sel_hi:[1,0,1]
	v_pk_fma_f32 v[40:41], v[42:43], v[40:41], v[94:95] neg_lo:[0,0,1] neg_hi:[0,0,1]
	v_mov_b32_e32 v41, v97
	s_delay_alu instid0(VALU_DEP_1)
	v_pk_add_f32 v[38:39], v[38:39], v[40:41]
.LBB68_189:                             ;   in Loop: Header=BB68_3 Depth=1
	s_or_b32 exec_lo, exec_lo, s23
	s_barrier_signal -1
	s_barrier_wait -1
	;; [unrolled: 25-line block ×3, first 2 shown]
	s_and_saveexec_b32 s23, s104
; %bb.194:                              ;   in Loop: Header=BB68_3 Depth=1
	ds_store_b64 v63, v[38:39]
; %bb.195:                              ;   in Loop: Header=BB68_3 Depth=1
	s_or_b32 exec_lo, exec_lo, s23
	s_wait_dscnt 0x0
	s_barrier_signal -1
	s_barrier_wait -1
	s_barrier_signal -1
	s_barrier_wait -1
	s_and_saveexec_b32 s23, s4
; %bb.196:                              ;   in Loop: Header=BB68_3 Depth=1
	v_pk_add_f32 v[38:39], v[38:39], 0 neg_lo:[1,1] neg_hi:[1,1]
	ds_store_b64 v65, v[38:39] offset:4192
; %bb.197:                              ;   in Loop: Header=BB68_3 Depth=1
	s_or_b32 exec_lo, exec_lo, s23
	s_wait_dscnt 0x0
	s_barrier_signal -1
	s_barrier_wait -1
	s_barrier_signal -1
	s_barrier_wait -1
	s_and_saveexec_b32 s23, vcc_hi
	s_cbranch_execz .LBB68_199
; %bb.198:                              ;   in Loop: Header=BB68_3 Depth=1
	ds_load_b64 v[38:39], v56 offset:4192
	s_wait_dscnt 0x0
	ds_store_b64 v58, v[38:39] offset:6208
	ds_load_b64 v[38:39], v56 offset:4200
	s_wait_dscnt 0x0
	ds_store_b64 v58, v[38:39] offset:6720
	;; [unrolled: 3-line block ×4, first 2 shown]
.LBB68_199:                             ;   in Loop: Header=BB68_3 Depth=1
	s_or_b32 exec_lo, exec_lo, s23
	s_wait_dscnt 0x0
	s_barrier_signal -1
	s_barrier_wait -1
	s_and_saveexec_b32 s23, s10
	s_cbranch_execz .LBB68_201
; %bb.200:                              ;   in Loop: Header=BB68_3 Depth=1
	ds_load_b64 v[38:39], v5 offset:6248
	v_add_nc_u32_e64 v3, 0x60, 0
	ds_store_b64 v5, v[34:35] offset:6760
	s_wait_dscnt 0x1
	ds_store_2addr_stride64_b64 v3, v[34:35], v[38:39] offset0:12 offset1:13
.LBB68_201:                             ;   in Loop: Header=BB68_3 Depth=1
	s_or_b32 exec_lo, exec_lo, s23
	v_mov_b64_e32 v[38:39], 0
	s_wait_dscnt 0x0
	s_barrier_signal -1
	s_barrier_wait -1
	s_and_saveexec_b32 s23, s2
	s_cbranch_execz .LBB68_205
; %bb.202:                              ;   in Loop: Header=BB68_3 Depth=1
	ds_load_b64 v[38:39], v61 offset:6256
	ds_load_b64 v[40:41], v62 offset:6240
	s_wait_dscnt 0x0
	v_pk_mul_f32 v[42:43], v[40:41], v[38:39] op_sel:[1,1] op_sel_hi:[0,1]
	s_delay_alu instid0(VALU_DEP_1) | instskip(SKIP_1) | instid1(VALU_DEP_2)
	v_pk_fma_f32 v[94:95], v[40:41], v[38:39], v[42:43] op_sel_hi:[1,0,1]
	v_pk_fma_f32 v[38:39], v[40:41], v[38:39], v[42:43] neg_lo:[0,0,1] neg_hi:[0,0,1]
	v_mov_b32_e32 v39, v95
	s_delay_alu instid0(VALU_DEP_1)
	v_pk_add_f32 v[38:39], v[38:39], 0 op_sel_hi:[1,0]
	s_and_saveexec_b32 s25, s11
	s_cbranch_execz .LBB68_204
; %bb.203:                              ;   in Loop: Header=BB68_3 Depth=1
	ds_load_b64 v[40:41], v58 offset:6768
	ds_load_b64 v[42:43], v5 offset:6248
	s_wait_dscnt 0x0
	v_pk_mul_f32 v[94:95], v[42:43], v[40:41] op_sel:[1,1] op_sel_hi:[0,1]
	s_delay_alu instid0(VALU_DEP_1) | instskip(SKIP_1) | instid1(VALU_DEP_2)
	v_pk_fma_f32 v[96:97], v[42:43], v[40:41], v[94:95] op_sel_hi:[1,0,1]
	v_pk_fma_f32 v[40:41], v[42:43], v[40:41], v[94:95] neg_lo:[0,0,1] neg_hi:[0,0,1]
	v_mov_b32_e32 v41, v97
	s_delay_alu instid0(VALU_DEP_1)
	v_pk_add_f32 v[38:39], v[38:39], v[40:41]
.LBB68_204:                             ;   in Loop: Header=BB68_3 Depth=1
	s_or_b32 exec_lo, exec_lo, s25
	s_delay_alu instid0(VALU_DEP_1)
	v_pk_add_f32 v[38:39], v[38:39], 0 neg_lo:[1,1] neg_hi:[1,1]
.LBB68_205:                             ;   in Loop: Header=BB68_3 Depth=1
	s_or_b32 exec_lo, exec_lo, s23
	s_and_saveexec_b32 s23, s96
; %bb.206:                              ;   in Loop: Header=BB68_3 Depth=1
	ds_store_b64 v53, v[38:39]
; %bb.207:                              ;   in Loop: Header=BB68_3 Depth=1
	s_or_b32 exec_lo, exec_lo, s23
	s_wait_dscnt 0x0
	s_barrier_signal -1
	s_barrier_wait -1
	s_and_saveexec_b32 s23, s97
	s_cbranch_execz .LBB68_209
; %bb.208:                              ;   in Loop: Header=BB68_3 Depth=1
	ds_load_b64 v[40:41], v5 offset:7288
	ds_load_b64 v[42:43], v53
	s_wait_dscnt 0x0
	v_pk_mul_f32 v[94:95], v[42:43], v[40:41] op_sel:[1,1] op_sel_hi:[0,1]
	s_delay_alu instid0(VALU_DEP_1) | instskip(SKIP_1) | instid1(VALU_DEP_2)
	v_pk_fma_f32 v[96:97], v[42:43], v[40:41], v[94:95] op_sel_hi:[1,0,1]
	v_pk_fma_f32 v[40:41], v[42:43], v[40:41], v[94:95] neg_lo:[0,0,1] neg_hi:[0,0,1]
	v_mov_b32_e32 v41, v97
	s_delay_alu instid0(VALU_DEP_1)
	v_pk_add_f32 v[38:39], v[38:39], v[40:41]
.LBB68_209:                             ;   in Loop: Header=BB68_3 Depth=1
	s_or_b32 exec_lo, exec_lo, s23
	s_barrier_signal -1
	s_barrier_wait -1
	s_and_saveexec_b32 s23, s97
; %bb.210:                              ;   in Loop: Header=BB68_3 Depth=1
	ds_store_b64 v53, v[38:39]
; %bb.211:                              ;   in Loop: Header=BB68_3 Depth=1
	s_or_b32 exec_lo, exec_lo, s23
	s_wait_dscnt 0x0
	s_barrier_signal -1
	s_barrier_wait -1
	s_barrier_signal -1
	s_barrier_wait -1
	s_and_saveexec_b32 s23, s2
; %bb.212:                              ;   in Loop: Header=BB68_3 Depth=1
	v_pk_add_f32 v[38:39], v[38:39], 0 neg_lo:[1,1] neg_hi:[1,1]
	ds_store_b64 v61, v[38:39] offset:6256
; %bb.213:                              ;   in Loop: Header=BB68_3 Depth=1
	s_or_b32 exec_lo, exec_lo, s23
	s_wait_dscnt 0x0
	s_barrier_signal -1
	s_barrier_wait -1
	s_barrier_signal -1
	s_barrier_wait -1
	s_and_saveexec_b32 s23, s98
	s_cbranch_execz .LBB68_215
; %bb.214:                              ;   in Loop: Header=BB68_3 Depth=1
	ds_load_b64 v[38:39], v76 offset:6256
	s_wait_dscnt 0x0
	ds_store_b64 v58, v[38:39] offset:7264
	ds_load_b64 v[38:39], v76 offset:6264
	s_wait_dscnt 0x0
	ds_store_b64 v58, v[38:39] offset:7776
.LBB68_215:                             ;   in Loop: Header=BB68_3 Depth=1
	s_or_b32 exec_lo, exec_lo, s23
	s_wait_dscnt 0x0
	s_barrier_signal -1
	s_barrier_wait -1
	s_and_saveexec_b32 s23, s10
	s_cbranch_execz .LBB68_217
; %bb.216:                              ;   in Loop: Header=BB68_3 Depth=1
	ds_load_b64 v[38:39], v5 offset:7288
	v_add_nc_u32_e64 v3, 0x70, 0
	ds_store_b64 v5, v[34:35] offset:7800
	s_wait_dscnt 0x1
	ds_store_2addr_stride64_b64 v3, v[34:35], v[38:39] offset0:14 offset1:15
.LBB68_217:                             ;   in Loop: Header=BB68_3 Depth=1
	s_or_b32 exec_lo, exec_lo, s23
	v_mov_b64_e32 v[38:39], 0
	s_wait_dscnt 0x0
	s_barrier_signal -1
	s_barrier_wait -1
	s_and_saveexec_b32 s62, s6
	s_cbranch_execz .LBB68_245
; %bb.218:                              ;   in Loop: Header=BB68_3 Depth=1
	ds_load_b64 v[38:39], v72 offset:128
	ds_load_b64 v[40:41], v57
	s_wait_dscnt 0x0
	v_dual_mul_f32 v3, v41, v39 :: v_dual_mul_f32 v39, v40, v39
	s_delay_alu instid0(VALU_DEP_1) | instskip(NEXT) | instid1(VALU_DEP_1)
	v_fmac_f32_e32 v39, v41, v38
	v_dual_fma_f32 v3, v40, v38, -v3 :: v_dual_add_f32 v39, 0, v39
	s_delay_alu instid0(VALU_DEP_1) | instskip(SKIP_3) | instid1(SALU_CYCLE_1)
	v_add_f32_e32 v38, 0, v3
	s_mov_b32 s23, exec_lo
	v_readlane_b32 s25, v103, 25
	s_and_b32 s25, s23, s25
	s_mov_b32 exec_lo, s25
	s_cbranch_execz .LBB68_220
; %bb.219:                              ;   in Loop: Header=BB68_3 Depth=1
	ds_load_b64 v[40:41], v73 offset:640
	ds_load_b64 v[42:43], v57 offset:8
	s_wait_dscnt 0x0
	v_dual_mul_f32 v3, v43, v41 :: v_dual_mul_f32 v41, v42, v41
	s_delay_alu instid0(VALU_DEP_1) | instskip(NEXT) | instid1(VALU_DEP_1)
	v_dual_fma_f32 v3, v42, v40, -v3 :: v_dual_fmac_f32 v41, v43, v40
	v_dual_add_f32 v38, v38, v3 :: v_dual_add_f32 v39, v39, v41
.LBB68_220:                             ;   in Loop: Header=BB68_3 Depth=1
	s_or_b32 exec_lo, exec_lo, s23
	s_delay_alu instid0(SALU_CYCLE_1) | instskip(SKIP_2) | instid1(SALU_CYCLE_1)
	s_mov_b32 s23, exec_lo
	v_readlane_b32 s25, v103, 26
	s_and_b32 s25, s23, s25
	s_mov_b32 exec_lo, s25
	s_cbranch_execz .LBB68_222
; %bb.221:                              ;   in Loop: Header=BB68_3 Depth=1
	ds_load_b64 v[40:41], v73 offset:1152
	ds_load_b64 v[42:43], v57 offset:16
	s_wait_dscnt 0x0
	v_dual_mul_f32 v3, v43, v41 :: v_dual_mul_f32 v41, v42, v41
	s_delay_alu instid0(VALU_DEP_1) | instskip(NEXT) | instid1(VALU_DEP_1)
	v_dual_fma_f32 v3, v42, v40, -v3 :: v_dual_fmac_f32 v41, v43, v40
	v_dual_add_f32 v38, v38, v3 :: v_dual_add_f32 v39, v39, v41
.LBB68_222:                             ;   in Loop: Header=BB68_3 Depth=1
	s_or_b32 exec_lo, exec_lo, s23
	s_delay_alu instid0(SALU_CYCLE_1) | instskip(SKIP_2) | instid1(SALU_CYCLE_1)
	;; [unrolled: 16-line block ×10, first 2 shown]
	s_mov_b32 s23, exec_lo
	v_readlane_b32 s25, v102, 3
	s_and_b32 s25, s23, s25
	s_mov_b32 exec_lo, s25
	s_cbranch_execnz .LBB68_1072
; %bb.239:                              ;   in Loop: Header=BB68_3 Depth=1
	s_or_b32 exec_lo, exec_lo, s23
	s_and_saveexec_b32 s23, s5
	s_cbranch_execnz .LBB68_1073
.LBB68_240:                             ;   in Loop: Header=BB68_3 Depth=1
	s_or_b32 exec_lo, exec_lo, s23
	s_and_saveexec_b32 s23, s15
	s_cbranch_execnz .LBB68_1074
.LBB68_241:                             ;   in Loop: Header=BB68_3 Depth=1
	s_or_b32 exec_lo, exec_lo, s23
	s_and_saveexec_b32 s23, s17
	s_cbranch_execnz .LBB68_1075
.LBB68_242:                             ;   in Loop: Header=BB68_3 Depth=1
	s_or_b32 exec_lo, exec_lo, s23
	s_and_saveexec_b32 s23, s4
	s_cbranch_execz .LBB68_244
.LBB68_243:                             ;   in Loop: Header=BB68_3 Depth=1
	ds_load_b64 v[40:41], v7 offset:7808
	ds_load_b64 v[42:43], v5 offset:120
	s_wait_dscnt 0x0
	v_dual_mul_f32 v3, v43, v41 :: v_dual_mul_f32 v95, v42, v41
	s_delay_alu instid0(VALU_DEP_1) | instskip(NEXT) | instid1(VALU_DEP_2)
	v_fma_f32 v94, v42, v40, -v3
	v_fmac_f32_e32 v95, v43, v40
	s_delay_alu instid0(VALU_DEP_1)
	v_pk_add_f32 v[38:39], v[38:39], v[94:95]
.LBB68_244:                             ;   in Loop: Header=BB68_3 Depth=1
	s_or_b32 exec_lo, exec_lo, s23
	s_delay_alu instid0(VALU_DEP_1)
	v_pk_add_f32 v[38:39], v[38:39], 0 neg_lo:[1,1] neg_hi:[1,1]
.LBB68_245:                             ;   in Loop: Header=BB68_3 Depth=1
	s_or_b32 exec_lo, exec_lo, s62
	s_delay_alu instid0(SALU_CYCLE_1) | instskip(SKIP_2) | instid1(SALU_CYCLE_1)
	s_mov_b32 s23, exec_lo
	v_readlane_b32 s25, v103, 1
	s_and_b32 s25, s23, s25
	s_mov_b32 exec_lo, s25
; %bb.246:                              ;   in Loop: Header=BB68_3 Depth=1
	ds_store_b64 v71, v[38:39]
; %bb.247:                              ;   in Loop: Header=BB68_3 Depth=1
	s_or_b32 exec_lo, exec_lo, s23
	s_wait_dscnt 0x0
	s_barrier_signal -1
	s_barrier_wait -1
	s_mov_b32 s23, exec_lo
	v_readlane_b32 s25, v103, 2
	s_and_b32 s25, s23, s25
	s_delay_alu instid0(SALU_CYCLE_1)
	s_mov_b32 exec_lo, s25
	s_cbranch_execz .LBB68_249
; %bb.248:                              ;   in Loop: Header=BB68_3 Depth=1
	ds_load_b64 v[40:41], v67 offset:8320
	ds_load_b64 v[42:43], v71
	s_wait_dscnt 0x0
	v_pk_mul_f32 v[94:95], v[42:43], v[40:41] op_sel:[1,1] op_sel_hi:[0,1]
	s_delay_alu instid0(VALU_DEP_1) | instskip(SKIP_1) | instid1(VALU_DEP_2)
	v_pk_fma_f32 v[96:97], v[42:43], v[40:41], v[94:95] op_sel_hi:[1,0,1]
	v_pk_fma_f32 v[40:41], v[42:43], v[40:41], v[94:95] neg_lo:[0,0,1] neg_hi:[0,0,1]
	v_mov_b32_e32 v41, v97
	s_delay_alu instid0(VALU_DEP_1)
	v_pk_add_f32 v[38:39], v[38:39], v[40:41]
.LBB68_249:                             ;   in Loop: Header=BB68_3 Depth=1
	s_or_b32 exec_lo, exec_lo, s23
	s_barrier_signal -1
	s_barrier_wait -1
	s_mov_b32 s23, exec_lo
	v_readlane_b32 s25, v103, 3
	s_and_b32 s25, s23, s25
	s_delay_alu instid0(SALU_CYCLE_1)
	s_mov_b32 exec_lo, s25
; %bb.250:                              ;   in Loop: Header=BB68_3 Depth=1
	ds_store_b64 v71, v[38:39]
; %bb.251:                              ;   in Loop: Header=BB68_3 Depth=1
	s_or_b32 exec_lo, exec_lo, s23
	s_wait_dscnt 0x0
	s_barrier_signal -1
	s_barrier_wait -1
	s_mov_b32 s23, exec_lo
	v_readlane_b32 s25, v103, 4
	s_and_b32 s25, s23, s25
	s_delay_alu instid0(SALU_CYCLE_1)
	s_mov_b32 exec_lo, s25
	s_cbranch_execz .LBB68_253
; %bb.252:                              ;   in Loop: Header=BB68_3 Depth=1
	ds_load_b64 v[40:41], v67 offset:8832
	ds_load_b64 v[42:43], v71
	s_wait_dscnt 0x0
	v_pk_mul_f32 v[94:95], v[42:43], v[40:41] op_sel:[1,1] op_sel_hi:[0,1]
	s_delay_alu instid0(VALU_DEP_1) | instskip(SKIP_1) | instid1(VALU_DEP_2)
	v_pk_fma_f32 v[96:97], v[42:43], v[40:41], v[94:95] op_sel_hi:[1,0,1]
	v_pk_fma_f32 v[40:41], v[42:43], v[40:41], v[94:95] neg_lo:[0,0,1] neg_hi:[0,0,1]
	v_mov_b32_e32 v41, v97
	s_delay_alu instid0(VALU_DEP_1)
	v_pk_add_f32 v[38:39], v[38:39], v[40:41]
.LBB68_253:                             ;   in Loop: Header=BB68_3 Depth=1
	s_or_b32 exec_lo, exec_lo, s23
	s_barrier_signal -1
	s_barrier_wait -1
	s_mov_b32 s23, exec_lo
	v_readlane_b32 s25, v103, 5
	s_and_b32 s25, s23, s25
	s_delay_alu instid0(SALU_CYCLE_1)
	;; [unrolled: 33-line block ×3, first 2 shown]
	s_mov_b32 exec_lo, s25
; %bb.258:                              ;   in Loop: Header=BB68_3 Depth=1
	ds_store_b64 v71, v[38:39]
; %bb.259:                              ;   in Loop: Header=BB68_3 Depth=1
	s_or_b32 exec_lo, exec_lo, s23
	s_wait_dscnt 0x0
	s_barrier_signal -1
	s_barrier_wait -1
	s_mov_b32 s23, exec_lo
	v_readlane_b32 s25, v103, 8
	s_and_b32 s25, s23, s25
	s_delay_alu instid0(SALU_CYCLE_1)
	s_mov_b32 exec_lo, s25
	s_cbranch_execz .LBB68_261
; %bb.260:                              ;   in Loop: Header=BB68_3 Depth=1
	ds_load_b64 v[40:41], v67 offset:9856
	ds_load_b64 v[42:43], v71
	s_wait_dscnt 0x0
	v_dual_mul_f32 v3, v43, v41 :: v_dual_mul_f32 v41, v42, v41
	s_delay_alu instid0(VALU_DEP_1) | instskip(NEXT) | instid1(VALU_DEP_1)
	v_dual_fma_f32 v3, v42, v40, -v3 :: v_dual_fmac_f32 v41, v43, v40
	v_dual_add_f32 v38, v38, v3 :: v_dual_add_f32 v39, v39, v41
.LBB68_261:                             ;   in Loop: Header=BB68_3 Depth=1
	s_or_b32 exec_lo, exec_lo, s23
	s_barrier_signal -1
	s_barrier_wait -1
	s_mov_b32 s23, exec_lo
	v_readlane_b32 s25, v103, 9
	s_and_b32 s25, s23, s25
	s_delay_alu instid0(SALU_CYCLE_1)
	s_mov_b32 exec_lo, s25
; %bb.262:                              ;   in Loop: Header=BB68_3 Depth=1
	ds_store_b64 v71, v[38:39]
; %bb.263:                              ;   in Loop: Header=BB68_3 Depth=1
	s_or_b32 exec_lo, exec_lo, s23
	s_wait_dscnt 0x0
	s_barrier_signal -1
	s_barrier_wait -1
	s_mov_b32 s23, exec_lo
	v_readlane_b32 s25, v103, 10
	s_and_b32 s25, s23, s25
	s_delay_alu instid0(SALU_CYCLE_1)
	s_mov_b32 exec_lo, s25
	s_cbranch_execz .LBB68_265
; %bb.264:                              ;   in Loop: Header=BB68_3 Depth=1
	ds_load_b64 v[40:41], v67 offset:10368
	ds_load_b64 v[42:43], v71
	s_wait_dscnt 0x0
	v_dual_mul_f32 v3, v43, v41 :: v_dual_mul_f32 v95, v42, v41
	s_delay_alu instid0(VALU_DEP_1) | instskip(NEXT) | instid1(VALU_DEP_2)
	v_fma_f32 v94, v42, v40, -v3
	v_fmac_f32_e32 v95, v43, v40
	s_delay_alu instid0(VALU_DEP_1)
	v_pk_add_f32 v[38:39], v[38:39], v[94:95]
.LBB68_265:                             ;   in Loop: Header=BB68_3 Depth=1
	s_or_b32 exec_lo, exec_lo, s23
	s_barrier_signal -1
	s_barrier_wait -1
	s_mov_b32 s23, exec_lo
	v_readlane_b32 s25, v103, 11
	s_and_b32 s25, s23, s25
	s_delay_alu instid0(SALU_CYCLE_1)
	s_mov_b32 exec_lo, s25
; %bb.266:                              ;   in Loop: Header=BB68_3 Depth=1
	ds_store_b64 v71, v[38:39]
; %bb.267:                              ;   in Loop: Header=BB68_3 Depth=1
	s_or_b32 exec_lo, exec_lo, s23
	s_wait_dscnt 0x0
	s_barrier_signal -1
	s_barrier_wait -1
	s_and_saveexec_b32 s23, s35
	s_cbranch_execz .LBB68_269
; %bb.268:                              ;   in Loop: Header=BB68_3 Depth=1
	ds_load_b64 v[40:41], v67 offset:10880
	ds_load_b64 v[42:43], v71
	s_wait_dscnt 0x0
	v_pk_mul_f32 v[94:95], v[42:43], v[40:41] op_sel:[1,1] op_sel_hi:[0,1]
	s_delay_alu instid0(VALU_DEP_1) | instskip(SKIP_1) | instid1(VALU_DEP_2)
	v_pk_fma_f32 v[96:97], v[42:43], v[40:41], v[94:95] op_sel_hi:[1,0,1]
	v_pk_fma_f32 v[40:41], v[42:43], v[40:41], v[94:95] neg_lo:[0,0,1] neg_hi:[0,0,1]
	v_mov_b32_e32 v41, v97
	s_delay_alu instid0(VALU_DEP_1)
	v_pk_add_f32 v[38:39], v[38:39], v[40:41]
.LBB68_269:                             ;   in Loop: Header=BB68_3 Depth=1
	s_or_b32 exec_lo, exec_lo, s23
	s_barrier_signal -1
	s_barrier_wait -1
	s_and_saveexec_b32 s23, s36
; %bb.270:                              ;   in Loop: Header=BB68_3 Depth=1
	ds_store_b64 v71, v[38:39]
; %bb.271:                              ;   in Loop: Header=BB68_3 Depth=1
	s_or_b32 exec_lo, exec_lo, s23
	s_wait_dscnt 0x0
	s_barrier_signal -1
	s_barrier_wait -1
	s_and_saveexec_b32 s23, s37
	s_cbranch_execz .LBB68_273
; %bb.272:                              ;   in Loop: Header=BB68_3 Depth=1
	ds_load_b64 v[40:41], v67 offset:11392
	ds_load_b64 v[42:43], v71
	s_wait_dscnt 0x0
	v_pk_mul_f32 v[94:95], v[42:43], v[40:41] op_sel:[1,1] op_sel_hi:[0,1]
	s_delay_alu instid0(VALU_DEP_1) | instskip(SKIP_1) | instid1(VALU_DEP_2)
	v_pk_fma_f32 v[96:97], v[42:43], v[40:41], v[94:95] op_sel_hi:[1,0,1]
	v_pk_fma_f32 v[40:41], v[42:43], v[40:41], v[94:95] neg_lo:[0,0,1] neg_hi:[0,0,1]
	v_mov_b32_e32 v41, v97
	s_delay_alu instid0(VALU_DEP_1)
	v_pk_add_f32 v[38:39], v[38:39], v[40:41]
.LBB68_273:                             ;   in Loop: Header=BB68_3 Depth=1
	s_or_b32 exec_lo, exec_lo, s23
	s_barrier_signal -1
	s_barrier_wait -1
	s_and_saveexec_b32 s23, s38
; %bb.274:                              ;   in Loop: Header=BB68_3 Depth=1
	ds_store_b64 v71, v[38:39]
; %bb.275:                              ;   in Loop: Header=BB68_3 Depth=1
	s_or_b32 exec_lo, exec_lo, s23
	s_wait_dscnt 0x0
	s_barrier_signal -1
	s_barrier_wait -1
	s_and_saveexec_b32 s23, s82
	s_cbranch_execz .LBB68_277
; %bb.276:                              ;   in Loop: Header=BB68_3 Depth=1
	ds_load_b64 v[40:41], v67 offset:11904
	ds_load_b64 v[42:43], v71
	s_wait_dscnt 0x0
	v_pk_mul_f32 v[94:95], v[42:43], v[40:41] op_sel:[1,1] op_sel_hi:[0,1]
	s_delay_alu instid0(VALU_DEP_1) | instskip(SKIP_1) | instid1(VALU_DEP_2)
	v_pk_fma_f32 v[96:97], v[42:43], v[40:41], v[94:95] op_sel_hi:[1,0,1]
	v_pk_fma_f32 v[40:41], v[42:43], v[40:41], v[94:95] neg_lo:[0,0,1] neg_hi:[0,0,1]
	v_mov_b32_e32 v41, v97
	s_delay_alu instid0(VALU_DEP_1)
	v_pk_add_f32 v[38:39], v[38:39], v[40:41]
.LBB68_277:                             ;   in Loop: Header=BB68_3 Depth=1
	s_or_b32 exec_lo, exec_lo, s23
	s_barrier_signal -1
	s_barrier_wait -1
	s_and_saveexec_b32 s23, s83
; %bb.278:                              ;   in Loop: Header=BB68_3 Depth=1
	ds_store_b64 v71, v[38:39]
; %bb.279:                              ;   in Loop: Header=BB68_3 Depth=1
	s_or_b32 exec_lo, exec_lo, s23
	s_wait_dscnt 0x0
	s_barrier_signal -1
	s_barrier_wait -1
	s_and_saveexec_b32 s23, s80
	s_cbranch_execz .LBB68_281
; %bb.280:                              ;   in Loop: Header=BB68_3 Depth=1
	ds_load_b64 v[40:41], v67 offset:12416
	ds_load_b64 v[42:43], v71
	s_wait_dscnt 0x0
	v_pk_mul_f32 v[94:95], v[42:43], v[40:41] op_sel:[1,1] op_sel_hi:[0,1]
	s_delay_alu instid0(VALU_DEP_1) | instskip(SKIP_1) | instid1(VALU_DEP_2)
	v_pk_fma_f32 v[96:97], v[42:43], v[40:41], v[94:95] op_sel_hi:[1,0,1]
	v_pk_fma_f32 v[40:41], v[42:43], v[40:41], v[94:95] neg_lo:[0,0,1] neg_hi:[0,0,1]
	v_mov_b32_e32 v41, v97
	s_delay_alu instid0(VALU_DEP_1)
	v_pk_add_f32 v[38:39], v[38:39], v[40:41]
.LBB68_281:                             ;   in Loop: Header=BB68_3 Depth=1
	s_or_b32 exec_lo, exec_lo, s23
	s_barrier_signal -1
	s_barrier_wait -1
	s_and_saveexec_b32 s23, s81
; %bb.282:                              ;   in Loop: Header=BB68_3 Depth=1
	ds_store_b64 v71, v[38:39]
; %bb.283:                              ;   in Loop: Header=BB68_3 Depth=1
	s_or_b32 exec_lo, exec_lo, s23
	s_wait_dscnt 0x0
	s_barrier_signal -1
	s_barrier_wait -1
	s_and_saveexec_b32 s23, s34
	s_cbranch_execz .LBB68_285
; %bb.284:                              ;   in Loop: Header=BB68_3 Depth=1
	ds_load_b64 v[40:41], v67 offset:12928
	ds_load_b64 v[42:43], v71
	s_wait_dscnt 0x0
	v_dual_mul_f32 v3, v43, v41 :: v_dual_mul_f32 v41, v42, v41
	s_delay_alu instid0(VALU_DEP_1) | instskip(NEXT) | instid1(VALU_DEP_1)
	v_dual_fma_f32 v3, v42, v40, -v3 :: v_dual_fmac_f32 v41, v43, v40
	v_dual_add_f32 v38, v38, v3 :: v_dual_add_f32 v39, v39, v41
.LBB68_285:                             ;   in Loop: Header=BB68_3 Depth=1
	s_or_b32 exec_lo, exec_lo, s23
	s_barrier_signal -1
	s_barrier_wait -1
	s_and_saveexec_b32 s23, s20
; %bb.286:                              ;   in Loop: Header=BB68_3 Depth=1
	ds_store_b64 v71, v[38:39]
; %bb.287:                              ;   in Loop: Header=BB68_3 Depth=1
	s_or_b32 exec_lo, exec_lo, s23
	s_wait_dscnt 0x0
	s_barrier_signal -1
	s_barrier_wait -1
	s_and_saveexec_b32 s23, s22
	s_cbranch_execz .LBB68_289
; %bb.288:                              ;   in Loop: Header=BB68_3 Depth=1
	ds_load_b64 v[40:41], v67 offset:13440
	ds_load_b64 v[42:43], v71
	s_wait_dscnt 0x0
	v_dual_mul_f32 v3, v43, v41 :: v_dual_mul_f32 v95, v42, v41
	s_delay_alu instid0(VALU_DEP_1) | instskip(NEXT) | instid1(VALU_DEP_2)
	v_fma_f32 v94, v42, v40, -v3
	v_fmac_f32_e32 v95, v43, v40
	s_delay_alu instid0(VALU_DEP_1)
	v_pk_add_f32 v[38:39], v[38:39], v[94:95]
.LBB68_289:                             ;   in Loop: Header=BB68_3 Depth=1
	s_or_b32 exec_lo, exec_lo, s23
	s_barrier_signal -1
	s_barrier_wait -1
	s_and_saveexec_b32 s23, s24
; %bb.290:                              ;   in Loop: Header=BB68_3 Depth=1
	ds_store_b64 v71, v[38:39]
; %bb.291:                              ;   in Loop: Header=BB68_3 Depth=1
	s_or_b32 exec_lo, exec_lo, s23
	s_wait_dscnt 0x0
	s_barrier_signal -1
	s_barrier_wait -1
	s_and_saveexec_b32 s23, s26
	s_cbranch_execz .LBB68_293
; %bb.292:                              ;   in Loop: Header=BB68_3 Depth=1
	ds_load_b64 v[40:41], v67 offset:13952
	ds_load_b64 v[42:43], v71
	s_wait_dscnt 0x0
	v_pk_mul_f32 v[94:95], v[42:43], v[40:41] op_sel:[1,1] op_sel_hi:[0,1]
	s_delay_alu instid0(VALU_DEP_1) | instskip(SKIP_1) | instid1(VALU_DEP_2)
	v_pk_fma_f32 v[96:97], v[42:43], v[40:41], v[94:95] op_sel_hi:[1,0,1]
	v_pk_fma_f32 v[40:41], v[42:43], v[40:41], v[94:95] neg_lo:[0,0,1] neg_hi:[0,0,1]
	v_mov_b32_e32 v41, v97
	s_delay_alu instid0(VALU_DEP_1)
	v_pk_add_f32 v[38:39], v[38:39], v[40:41]
.LBB68_293:                             ;   in Loop: Header=BB68_3 Depth=1
	s_or_b32 exec_lo, exec_lo, s23
	s_barrier_signal -1
	s_barrier_wait -1
	s_and_saveexec_b32 s23, s19
; %bb.294:                              ;   in Loop: Header=BB68_3 Depth=1
	ds_store_b64 v71, v[38:39]
; %bb.295:                              ;   in Loop: Header=BB68_3 Depth=1
	s_or_b32 exec_lo, exec_lo, s23
	s_wait_dscnt 0x0
	s_barrier_signal -1
	s_barrier_wait -1
	s_and_saveexec_b32 s23, s28
	s_cbranch_execz .LBB68_297
; %bb.296:                              ;   in Loop: Header=BB68_3 Depth=1
	ds_load_b64 v[40:41], v67 offset:14464
	ds_load_b64 v[42:43], v71
	s_wait_dscnt 0x0
	v_pk_mul_f32 v[94:95], v[42:43], v[40:41] op_sel:[1,1] op_sel_hi:[0,1]
	s_delay_alu instid0(VALU_DEP_1) | instskip(SKIP_1) | instid1(VALU_DEP_2)
	v_pk_fma_f32 v[96:97], v[42:43], v[40:41], v[94:95] op_sel_hi:[1,0,1]
	v_pk_fma_f32 v[40:41], v[42:43], v[40:41], v[94:95] neg_lo:[0,0,1] neg_hi:[0,0,1]
	v_mov_b32_e32 v41, v97
	s_delay_alu instid0(VALU_DEP_1)
	v_pk_add_f32 v[38:39], v[38:39], v[40:41]
.LBB68_297:                             ;   in Loop: Header=BB68_3 Depth=1
	;; [unrolled: 25-line block ×4, first 2 shown]
	s_or_b32 exec_lo, exec_lo, s23
	s_barrier_signal -1
	s_barrier_wait -1
	s_and_saveexec_b32 s23, s56
; %bb.306:                              ;   in Loop: Header=BB68_3 Depth=1
	ds_store_b64 v71, v[38:39]
; %bb.307:                              ;   in Loop: Header=BB68_3 Depth=1
	s_or_b32 exec_lo, exec_lo, s23
	s_wait_dscnt 0x0
	s_barrier_signal -1
	s_barrier_wait -1
	s_barrier_signal -1
	s_barrier_wait -1
	s_and_saveexec_b32 s23, s6
; %bb.308:                              ;   in Loop: Header=BB68_3 Depth=1
	v_pk_add_f32 v[38:39], v[38:39], 0 neg_lo:[1,1] neg_hi:[1,1]
	ds_store_b64 v72, v[38:39] offset:128
; %bb.309:                              ;   in Loop: Header=BB68_3 Depth=1
	s_or_b32 exec_lo, exec_lo, s23
	s_wait_dscnt 0x0
	s_barrier_signal -1
	s_barrier_wait -1
	s_barrier_signal -1
	s_barrier_wait -1
	s_and_saveexec_b32 s23, s58
	s_cbranch_execz .LBB68_311
; %bb.310:                              ;   in Loop: Header=BB68_3 Depth=1
	ds_load_b64 v[38:39], v9 offset:128
	s_wait_dscnt 0x0
	ds_store_b64 v44, v[38:39] offset:8192
	ds_load_b64 v[38:39], v9 offset:136
	s_wait_dscnt 0x0
	ds_store_b64 v44, v[38:39] offset:8704
	;; [unrolled: 3-line block ×16, first 2 shown]
.LBB68_311:                             ;   in Loop: Header=BB68_3 Depth=1
	s_or_b32 exec_lo, exec_lo, s23
	s_wait_dscnt 0x0
	s_barrier_signal -1
	s_barrier_wait -1
	s_and_saveexec_b32 s23, s10
	s_cbranch_execz .LBB68_313
; %bb.312:                              ;   in Loop: Header=BB68_3 Depth=1
	ds_load_b64 v[38:39], v5 offset:8328
	v_add_nc_u32_e64 v3, 0x80, 0
	ds_store_b64 v5, v[34:35] offset:8840
	s_wait_dscnt 0x1
	ds_store_2addr_stride64_b64 v3, v[34:35], v[38:39] offset0:16 offset1:17
.LBB68_313:                             ;   in Loop: Header=BB68_3 Depth=1
	s_or_b32 exec_lo, exec_lo, s23
	v_mov_b64_e32 v[38:39], 0
	s_wait_dscnt 0x0
	s_barrier_signal -1
	s_barrier_wait -1
	s_and_saveexec_b32 s23, s2
	s_cbranch_execz .LBB68_317
; %bb.314:                              ;   in Loop: Header=BB68_3 Depth=1
	ds_load_b64 v[38:39], v61 offset:8336
	ds_load_b64 v[40:41], v62 offset:8320
	s_wait_dscnt 0x0
	v_pk_mul_f32 v[42:43], v[40:41], v[38:39] op_sel:[1,1] op_sel_hi:[0,1]
	s_delay_alu instid0(VALU_DEP_1) | instskip(SKIP_1) | instid1(VALU_DEP_2)
	v_pk_fma_f32 v[94:95], v[40:41], v[38:39], v[42:43] op_sel_hi:[1,0,1]
	v_pk_fma_f32 v[38:39], v[40:41], v[38:39], v[42:43] neg_lo:[0,0,1] neg_hi:[0,0,1]
	v_mov_b32_e32 v39, v95
	s_delay_alu instid0(VALU_DEP_1)
	v_pk_add_f32 v[38:39], v[38:39], 0 op_sel_hi:[1,0]
	s_and_saveexec_b32 s25, s11
	s_cbranch_execz .LBB68_316
; %bb.315:                              ;   in Loop: Header=BB68_3 Depth=1
	ds_load_b64 v[40:41], v7 offset:8848
	ds_load_b64 v[42:43], v5 offset:8328
	s_wait_dscnt 0x0
	v_pk_mul_f32 v[94:95], v[42:43], v[40:41] op_sel:[1,1] op_sel_hi:[0,1]
	s_delay_alu instid0(VALU_DEP_1) | instskip(SKIP_1) | instid1(VALU_DEP_2)
	v_pk_fma_f32 v[96:97], v[42:43], v[40:41], v[94:95] op_sel_hi:[1,0,1]
	v_pk_fma_f32 v[40:41], v[42:43], v[40:41], v[94:95] neg_lo:[0,0,1] neg_hi:[0,0,1]
	v_mov_b32_e32 v41, v97
	s_delay_alu instid0(VALU_DEP_1)
	v_pk_add_f32 v[38:39], v[38:39], v[40:41]
.LBB68_316:                             ;   in Loop: Header=BB68_3 Depth=1
	s_or_b32 exec_lo, exec_lo, s25
	s_delay_alu instid0(VALU_DEP_1)
	v_pk_add_f32 v[38:39], v[38:39], 0 neg_lo:[1,1] neg_hi:[1,1]
.LBB68_317:                             ;   in Loop: Header=BB68_3 Depth=1
	s_or_b32 exec_lo, exec_lo, s23
	s_and_saveexec_b32 s23, s96
; %bb.318:                              ;   in Loop: Header=BB68_3 Depth=1
	ds_store_b64 v53, v[38:39]
; %bb.319:                              ;   in Loop: Header=BB68_3 Depth=1
	s_or_b32 exec_lo, exec_lo, s23
	s_wait_dscnt 0x0
	s_barrier_signal -1
	s_barrier_wait -1
	s_and_saveexec_b32 s23, s97
	s_cbranch_execz .LBB68_321
; %bb.320:                              ;   in Loop: Header=BB68_3 Depth=1
	ds_load_b64 v[40:41], v5 offset:9368
	ds_load_b64 v[42:43], v53
	s_wait_dscnt 0x0
	v_pk_mul_f32 v[94:95], v[42:43], v[40:41] op_sel:[1,1] op_sel_hi:[0,1]
	s_delay_alu instid0(VALU_DEP_1) | instskip(SKIP_1) | instid1(VALU_DEP_2)
	v_pk_fma_f32 v[96:97], v[42:43], v[40:41], v[94:95] op_sel_hi:[1,0,1]
	v_pk_fma_f32 v[40:41], v[42:43], v[40:41], v[94:95] neg_lo:[0,0,1] neg_hi:[0,0,1]
	v_mov_b32_e32 v41, v97
	s_delay_alu instid0(VALU_DEP_1)
	v_pk_add_f32 v[38:39], v[38:39], v[40:41]
.LBB68_321:                             ;   in Loop: Header=BB68_3 Depth=1
	s_or_b32 exec_lo, exec_lo, s23
	s_barrier_signal -1
	s_barrier_wait -1
	s_and_saveexec_b32 s23, s97
; %bb.322:                              ;   in Loop: Header=BB68_3 Depth=1
	ds_store_b64 v53, v[38:39]
; %bb.323:                              ;   in Loop: Header=BB68_3 Depth=1
	s_or_b32 exec_lo, exec_lo, s23
	s_wait_dscnt 0x0
	s_barrier_signal -1
	s_barrier_wait -1
	s_barrier_signal -1
	s_barrier_wait -1
	s_and_saveexec_b32 s23, s2
; %bb.324:                              ;   in Loop: Header=BB68_3 Depth=1
	v_pk_add_f32 v[38:39], v[38:39], 0 neg_lo:[1,1] neg_hi:[1,1]
	ds_store_b64 v61, v[38:39] offset:8336
; %bb.325:                              ;   in Loop: Header=BB68_3 Depth=1
	s_or_b32 exec_lo, exec_lo, s23
	s_wait_dscnt 0x0
	s_barrier_signal -1
	s_barrier_wait -1
	s_barrier_signal -1
	s_barrier_wait -1
	s_and_saveexec_b32 s23, s98
	s_cbranch_execz .LBB68_327
; %bb.326:                              ;   in Loop: Header=BB68_3 Depth=1
	ds_load_b64 v[38:39], v9 offset:8336
	s_wait_dscnt 0x0
	ds_store_b64 v7, v[38:39] offset:9344
	ds_load_b64 v[38:39], v9 offset:8344
	s_wait_dscnt 0x0
	ds_store_b64 v7, v[38:39] offset:9856
.LBB68_327:                             ;   in Loop: Header=BB68_3 Depth=1
	s_or_b32 exec_lo, exec_lo, s23
	s_wait_dscnt 0x0
	s_barrier_signal -1
	s_barrier_wait -1
	s_and_saveexec_b32 s23, s10
	s_cbranch_execz .LBB68_329
; %bb.328:                              ;   in Loop: Header=BB68_3 Depth=1
	ds_load_b64 v[38:39], v5 offset:9368
	v_add_nc_u32_e64 v3, 0x90, 0
	ds_store_b64 v5, v[34:35] offset:9880
	s_wait_dscnt 0x1
	ds_store_2addr_stride64_b64 v3, v[34:35], v[38:39] offset0:18 offset1:19
.LBB68_329:                             ;   in Loop: Header=BB68_3 Depth=1
	s_or_b32 exec_lo, exec_lo, s23
	v_mov_b64_e32 v[38:39], 0
	s_wait_dscnt 0x0
	s_barrier_signal -1
	s_barrier_wait -1
	s_and_saveexec_b32 s62, s4
	s_cbranch_execz .LBB68_335
; %bb.330:                              ;   in Loop: Header=BB68_3 Depth=1
	ds_load_b64 v[38:39], v65 offset:8352
	ds_load_b64 v[40:41], v51 offset:8320
	s_wait_dscnt 0x0
	v_dual_mul_f32 v3, v41, v39 :: v_dual_mul_f32 v39, v40, v39
	s_delay_alu instid0(VALU_DEP_1) | instskip(NEXT) | instid1(VALU_DEP_1)
	v_fmac_f32_e32 v39, v41, v38
	v_dual_fma_f32 v3, v40, v38, -v3 :: v_dual_add_f32 v39, 0, v39
	s_delay_alu instid0(VALU_DEP_1)
	v_add_f32_e32 v38, 0, v3
	s_and_saveexec_b32 s23, s12
	s_cbranch_execnz .LBB68_1076
; %bb.331:                              ;   in Loop: Header=BB68_3 Depth=1
	s_or_b32 exec_lo, exec_lo, s23
	s_and_saveexec_b32 s23, s13
	s_cbranch_execnz .LBB68_1077
.LBB68_332:                             ;   in Loop: Header=BB68_3 Depth=1
	s_or_b32 exec_lo, exec_lo, s23
	s_and_saveexec_b32 s23, s2
	s_cbranch_execz .LBB68_334
.LBB68_333:                             ;   in Loop: Header=BB68_3 Depth=1
	ds_load_b64 v[40:41], v44 offset:9888
	ds_load_b64 v[42:43], v5 offset:8344
	s_wait_dscnt 0x0
	v_dual_mul_f32 v3, v43, v41 :: v_dual_mul_f32 v95, v42, v41
	s_delay_alu instid0(VALU_DEP_1) | instskip(NEXT) | instid1(VALU_DEP_2)
	v_fma_f32 v94, v42, v40, -v3
	v_fmac_f32_e32 v95, v43, v40
	s_delay_alu instid0(VALU_DEP_1)
	v_pk_add_f32 v[38:39], v[38:39], v[94:95]
.LBB68_334:                             ;   in Loop: Header=BB68_3 Depth=1
	s_or_b32 exec_lo, exec_lo, s23
	s_delay_alu instid0(VALU_DEP_1)
	v_pk_add_f32 v[38:39], v[38:39], 0 neg_lo:[1,1] neg_hi:[1,1]
.LBB68_335:                             ;   in Loop: Header=BB68_3 Depth=1
	s_or_b32 exec_lo, exec_lo, s62
	s_and_saveexec_b32 s23, s99
; %bb.336:                              ;   in Loop: Header=BB68_3 Depth=1
	ds_store_b64 v63, v[38:39]
; %bb.337:                              ;   in Loop: Header=BB68_3 Depth=1
	s_or_b32 exec_lo, exec_lo, s23
	s_wait_dscnt 0x0
	s_barrier_signal -1
	s_barrier_wait -1
	s_and_saveexec_b32 s23, s100
	s_cbranch_execz .LBB68_339
; %bb.338:                              ;   in Loop: Header=BB68_3 Depth=1
	ds_load_b64 v[40:41], v60 offset:10400
	ds_load_b64 v[42:43], v63
	s_wait_dscnt 0x0
	v_pk_mul_f32 v[94:95], v[42:43], v[40:41] op_sel:[1,1] op_sel_hi:[0,1]
	s_delay_alu instid0(VALU_DEP_1) | instskip(SKIP_1) | instid1(VALU_DEP_2)
	v_pk_fma_f32 v[96:97], v[42:43], v[40:41], v[94:95] op_sel_hi:[1,0,1]
	v_pk_fma_f32 v[40:41], v[42:43], v[40:41], v[94:95] neg_lo:[0,0,1] neg_hi:[0,0,1]
	v_mov_b32_e32 v41, v97
	s_delay_alu instid0(VALU_DEP_1)
	v_pk_add_f32 v[38:39], v[38:39], v[40:41]
.LBB68_339:                             ;   in Loop: Header=BB68_3 Depth=1
	s_or_b32 exec_lo, exec_lo, s23
	s_barrier_signal -1
	s_barrier_wait -1
	s_and_saveexec_b32 s23, s101
; %bb.340:                              ;   in Loop: Header=BB68_3 Depth=1
	ds_store_b64 v63, v[38:39]
; %bb.341:                              ;   in Loop: Header=BB68_3 Depth=1
	s_or_b32 exec_lo, exec_lo, s23
	s_wait_dscnt 0x0
	s_barrier_signal -1
	s_barrier_wait -1
	s_and_saveexec_b32 s23, s102
	s_cbranch_execz .LBB68_343
; %bb.342:                              ;   in Loop: Header=BB68_3 Depth=1
	ds_load_b64 v[40:41], v60 offset:10912
	ds_load_b64 v[42:43], v63
	s_wait_dscnt 0x0
	v_pk_mul_f32 v[94:95], v[42:43], v[40:41] op_sel:[1,1] op_sel_hi:[0,1]
	s_delay_alu instid0(VALU_DEP_1) | instskip(SKIP_1) | instid1(VALU_DEP_2)
	v_pk_fma_f32 v[96:97], v[42:43], v[40:41], v[94:95] op_sel_hi:[1,0,1]
	v_pk_fma_f32 v[40:41], v[42:43], v[40:41], v[94:95] neg_lo:[0,0,1] neg_hi:[0,0,1]
	v_mov_b32_e32 v41, v97
	s_delay_alu instid0(VALU_DEP_1)
	v_pk_add_f32 v[38:39], v[38:39], v[40:41]
.LBB68_343:                             ;   in Loop: Header=BB68_3 Depth=1
	s_or_b32 exec_lo, exec_lo, s23
	s_barrier_signal -1
	s_barrier_wait -1
	;; [unrolled: 25-line block ×3, first 2 shown]
	s_and_saveexec_b32 s23, s104
; %bb.348:                              ;   in Loop: Header=BB68_3 Depth=1
	ds_store_b64 v63, v[38:39]
; %bb.349:                              ;   in Loop: Header=BB68_3 Depth=1
	s_or_b32 exec_lo, exec_lo, s23
	s_wait_dscnt 0x0
	s_barrier_signal -1
	s_barrier_wait -1
	s_barrier_signal -1
	s_barrier_wait -1
	s_and_saveexec_b32 s23, s4
; %bb.350:                              ;   in Loop: Header=BB68_3 Depth=1
	v_pk_add_f32 v[38:39], v[38:39], 0 neg_lo:[1,1] neg_hi:[1,1]
	ds_store_b64 v65, v[38:39] offset:8352
; %bb.351:                              ;   in Loop: Header=BB68_3 Depth=1
	s_or_b32 exec_lo, exec_lo, s23
	s_wait_dscnt 0x0
	s_barrier_signal -1
	s_barrier_wait -1
	s_barrier_signal -1
	s_barrier_wait -1
	s_and_saveexec_b32 s23, vcc_hi
	s_cbranch_execz .LBB68_353
; %bb.352:                              ;   in Loop: Header=BB68_3 Depth=1
	ds_load_b64 v[38:39], v45 offset:8352
	s_wait_dscnt 0x0
	ds_store_b64 v46, v[38:39] offset:10368
	ds_load_b64 v[38:39], v45 offset:8360
	s_wait_dscnt 0x0
	ds_store_b64 v46, v[38:39] offset:10880
	;; [unrolled: 3-line block ×4, first 2 shown]
.LBB68_353:                             ;   in Loop: Header=BB68_3 Depth=1
	s_or_b32 exec_lo, exec_lo, s23
	s_wait_dscnt 0x0
	s_barrier_signal -1
	s_barrier_wait -1
	s_and_saveexec_b32 s23, s10
	s_cbranch_execz .LBB68_355
; %bb.354:                              ;   in Loop: Header=BB68_3 Depth=1
	ds_load_b64 v[38:39], v5 offset:10408
	v_add_nc_u32_e64 v3, 0xa0, 0
	ds_store_b64 v5, v[34:35] offset:10920
	s_wait_dscnt 0x1
	ds_store_2addr_stride64_b64 v3, v[34:35], v[38:39] offset0:20 offset1:21
.LBB68_355:                             ;   in Loop: Header=BB68_3 Depth=1
	s_or_b32 exec_lo, exec_lo, s23
	v_mov_b64_e32 v[38:39], 0
	s_wait_dscnt 0x0
	s_barrier_signal -1
	s_barrier_wait -1
	s_and_saveexec_b32 s23, s2
	s_cbranch_execz .LBB68_359
; %bb.356:                              ;   in Loop: Header=BB68_3 Depth=1
	ds_load_b64 v[38:39], v61 offset:10416
	ds_load_b64 v[40:41], v62 offset:10400
	s_wait_dscnt 0x0
	v_pk_mul_f32 v[42:43], v[40:41], v[38:39] op_sel:[1,1] op_sel_hi:[0,1]
	s_delay_alu instid0(VALU_DEP_1) | instskip(SKIP_1) | instid1(VALU_DEP_2)
	v_pk_fma_f32 v[94:95], v[40:41], v[38:39], v[42:43] op_sel_hi:[1,0,1]
	v_pk_fma_f32 v[38:39], v[40:41], v[38:39], v[42:43] neg_lo:[0,0,1] neg_hi:[0,0,1]
	v_mov_b32_e32 v39, v95
	s_delay_alu instid0(VALU_DEP_1)
	v_pk_add_f32 v[38:39], v[38:39], 0 op_sel_hi:[1,0]
	s_and_saveexec_b32 s25, s11
	s_cbranch_execz .LBB68_358
; %bb.357:                              ;   in Loop: Header=BB68_3 Depth=1
	ds_load_b64 v[40:41], v46 offset:10928
	ds_load_b64 v[42:43], v5 offset:10408
	s_wait_dscnt 0x0
	v_pk_mul_f32 v[94:95], v[42:43], v[40:41] op_sel:[1,1] op_sel_hi:[0,1]
	s_delay_alu instid0(VALU_DEP_1) | instskip(SKIP_1) | instid1(VALU_DEP_2)
	v_pk_fma_f32 v[96:97], v[42:43], v[40:41], v[94:95] op_sel_hi:[1,0,1]
	v_pk_fma_f32 v[40:41], v[42:43], v[40:41], v[94:95] neg_lo:[0,0,1] neg_hi:[0,0,1]
	v_mov_b32_e32 v41, v97
	s_delay_alu instid0(VALU_DEP_1)
	v_pk_add_f32 v[38:39], v[38:39], v[40:41]
.LBB68_358:                             ;   in Loop: Header=BB68_3 Depth=1
	s_or_b32 exec_lo, exec_lo, s25
	s_delay_alu instid0(VALU_DEP_1)
	v_pk_add_f32 v[38:39], v[38:39], 0 neg_lo:[1,1] neg_hi:[1,1]
.LBB68_359:                             ;   in Loop: Header=BB68_3 Depth=1
	s_or_b32 exec_lo, exec_lo, s23
	s_and_saveexec_b32 s23, s96
; %bb.360:                              ;   in Loop: Header=BB68_3 Depth=1
	ds_store_b64 v53, v[38:39]
; %bb.361:                              ;   in Loop: Header=BB68_3 Depth=1
	s_or_b32 exec_lo, exec_lo, s23
	s_wait_dscnt 0x0
	s_barrier_signal -1
	s_barrier_wait -1
	s_and_saveexec_b32 s23, s97
	s_cbranch_execz .LBB68_363
; %bb.362:                              ;   in Loop: Header=BB68_3 Depth=1
	ds_load_b64 v[40:41], v5 offset:11448
	ds_load_b64 v[42:43], v53
	s_wait_dscnt 0x0
	v_pk_mul_f32 v[94:95], v[42:43], v[40:41] op_sel:[1,1] op_sel_hi:[0,1]
	s_delay_alu instid0(VALU_DEP_1) | instskip(SKIP_1) | instid1(VALU_DEP_2)
	v_pk_fma_f32 v[96:97], v[42:43], v[40:41], v[94:95] op_sel_hi:[1,0,1]
	v_pk_fma_f32 v[40:41], v[42:43], v[40:41], v[94:95] neg_lo:[0,0,1] neg_hi:[0,0,1]
	v_mov_b32_e32 v41, v97
	s_delay_alu instid0(VALU_DEP_1)
	v_pk_add_f32 v[38:39], v[38:39], v[40:41]
.LBB68_363:                             ;   in Loop: Header=BB68_3 Depth=1
	s_or_b32 exec_lo, exec_lo, s23
	s_barrier_signal -1
	s_barrier_wait -1
	s_and_saveexec_b32 s23, s97
; %bb.364:                              ;   in Loop: Header=BB68_3 Depth=1
	ds_store_b64 v53, v[38:39]
; %bb.365:                              ;   in Loop: Header=BB68_3 Depth=1
	s_or_b32 exec_lo, exec_lo, s23
	s_wait_dscnt 0x0
	s_barrier_signal -1
	s_barrier_wait -1
	s_barrier_signal -1
	s_barrier_wait -1
	s_and_saveexec_b32 s23, s2
; %bb.366:                              ;   in Loop: Header=BB68_3 Depth=1
	v_pk_add_f32 v[38:39], v[38:39], 0 neg_lo:[1,1] neg_hi:[1,1]
	ds_store_b64 v61, v[38:39] offset:10416
; %bb.367:                              ;   in Loop: Header=BB68_3 Depth=1
	s_or_b32 exec_lo, exec_lo, s23
	s_wait_dscnt 0x0
	s_barrier_signal -1
	s_barrier_wait -1
	s_barrier_signal -1
	s_barrier_wait -1
	s_and_saveexec_b32 s23, s98
	s_cbranch_execz .LBB68_369
; %bb.368:                              ;   in Loop: Header=BB68_3 Depth=1
	ds_load_b64 v[38:39], v47 offset:10416
	s_wait_dscnt 0x0
	ds_store_b64 v46, v[38:39] offset:11424
	ds_load_b64 v[38:39], v47 offset:10424
	s_wait_dscnt 0x0
	ds_store_b64 v46, v[38:39] offset:11936
.LBB68_369:                             ;   in Loop: Header=BB68_3 Depth=1
	s_or_b32 exec_lo, exec_lo, s23
	s_wait_dscnt 0x0
	s_barrier_signal -1
	s_barrier_wait -1
	s_and_saveexec_b32 s23, s10
	s_cbranch_execz .LBB68_371
; %bb.370:                              ;   in Loop: Header=BB68_3 Depth=1
	ds_load_b64 v[38:39], v5 offset:11448
	v_add_nc_u32_e64 v3, 0xb0, 0
	ds_store_b64 v5, v[34:35] offset:11960
	s_wait_dscnt 0x1
	ds_store_2addr_stride64_b64 v3, v[34:35], v[38:39] offset0:22 offset1:23
.LBB68_371:                             ;   in Loop: Header=BB68_3 Depth=1
	s_or_b32 exec_lo, exec_lo, s23
	v_mov_b64_e32 v[38:39], 0
	s_wait_dscnt 0x0
	s_barrier_signal -1
	s_barrier_wait -1
	s_and_saveexec_b32 s62, s5
	s_cbranch_execz .LBB68_381
; %bb.372:                              ;   in Loop: Header=BB68_3 Depth=1
	ds_load_b64 v[38:39], v69 offset:8384
	ds_load_b64 v[40:41], v55 offset:8320
	s_wait_dscnt 0x0
	v_dual_mul_f32 v3, v41, v39 :: v_dual_mul_f32 v39, v40, v39
	s_delay_alu instid0(VALU_DEP_1) | instskip(NEXT) | instid1(VALU_DEP_1)
	v_fmac_f32_e32 v39, v41, v38
	v_dual_fma_f32 v3, v40, v38, -v3 :: v_dual_add_f32 v39, 0, v39
	s_delay_alu instid0(VALU_DEP_1)
	v_add_f32_e32 v38, 0, v3
	s_and_saveexec_b32 s23, s14
	s_cbranch_execnz .LBB68_1078
; %bb.373:                              ;   in Loop: Header=BB68_3 Depth=1
	s_or_b32 exec_lo, exec_lo, s23
	s_and_saveexec_b32 s23, s15
	s_cbranch_execnz .LBB68_1079
.LBB68_374:                             ;   in Loop: Header=BB68_3 Depth=1
	s_or_b32 exec_lo, exec_lo, s23
	s_and_saveexec_b32 s23, s16
	s_cbranch_execnz .LBB68_1080
.LBB68_375:                             ;   in Loop: Header=BB68_3 Depth=1
	s_or_b32 exec_lo, exec_lo, s23
	s_and_saveexec_b32 s23, s17
	s_cbranch_execnz .LBB68_1081
.LBB68_376:                             ;   in Loop: Header=BB68_3 Depth=1
	s_or_b32 exec_lo, exec_lo, s23
	s_and_saveexec_b32 s23, s18
	s_cbranch_execnz .LBB68_1082
.LBB68_377:                             ;   in Loop: Header=BB68_3 Depth=1
	s_or_b32 exec_lo, exec_lo, s23
	s_and_saveexec_b32 s23, s4
	s_cbranch_execnz .LBB68_1083
.LBB68_378:                             ;   in Loop: Header=BB68_3 Depth=1
	s_or_b32 exec_lo, exec_lo, s23
	s_and_saveexec_b32 s23, s13
	s_cbranch_execz .LBB68_380
.LBB68_379:                             ;   in Loop: Header=BB68_3 Depth=1
	ds_load_b64 v[40:41], v7 offset:11968
	ds_load_b64 v[42:43], v5 offset:8376
	s_wait_dscnt 0x0
	v_pk_mul_f32 v[94:95], v[42:43], v[40:41] op_sel:[1,1] op_sel_hi:[0,1]
	s_delay_alu instid0(VALU_DEP_1) | instskip(SKIP_1) | instid1(VALU_DEP_2)
	v_pk_fma_f32 v[96:97], v[42:43], v[40:41], v[94:95] op_sel_hi:[1,0,1]
	v_pk_fma_f32 v[40:41], v[42:43], v[40:41], v[94:95] neg_lo:[0,0,1] neg_hi:[0,0,1]
	v_mov_b32_e32 v41, v97
	s_delay_alu instid0(VALU_DEP_1)
	v_pk_add_f32 v[38:39], v[38:39], v[40:41]
.LBB68_380:                             ;   in Loop: Header=BB68_3 Depth=1
	s_or_b32 exec_lo, exec_lo, s23
	s_delay_alu instid0(VALU_DEP_1)
	v_pk_add_f32 v[38:39], v[38:39], 0 neg_lo:[1,1] neg_hi:[1,1]
.LBB68_381:                             ;   in Loop: Header=BB68_3 Depth=1
	s_or_b32 exec_lo, exec_lo, s62
	s_and_saveexec_b32 s23, s39
; %bb.382:                              ;   in Loop: Header=BB68_3 Depth=1
	ds_store_b64 v68, v[38:39]
; %bb.383:                              ;   in Loop: Header=BB68_3 Depth=1
	s_or_b32 exec_lo, exec_lo, s23
	s_wait_dscnt 0x0
	s_barrier_signal -1
	s_barrier_wait -1
	s_and_saveexec_b32 s23, s40
	s_cbranch_execz .LBB68_385
; %bb.384:                              ;   in Loop: Header=BB68_3 Depth=1
	ds_load_b64 v[40:41], v64 offset:12480
	ds_load_b64 v[42:43], v68
	s_wait_dscnt 0x0
	v_pk_mul_f32 v[94:95], v[42:43], v[40:41] op_sel:[1,1] op_sel_hi:[0,1]
	s_delay_alu instid0(VALU_DEP_1) | instskip(SKIP_1) | instid1(VALU_DEP_2)
	v_pk_fma_f32 v[96:97], v[42:43], v[40:41], v[94:95] op_sel_hi:[1,0,1]
	v_pk_fma_f32 v[40:41], v[42:43], v[40:41], v[94:95] neg_lo:[0,0,1] neg_hi:[0,0,1]
	v_mov_b32_e32 v41, v97
	s_delay_alu instid0(VALU_DEP_1)
	v_pk_add_f32 v[38:39], v[38:39], v[40:41]
.LBB68_385:                             ;   in Loop: Header=BB68_3 Depth=1
	s_or_b32 exec_lo, exec_lo, s23
	s_barrier_signal -1
	s_barrier_wait -1
	s_and_saveexec_b32 s23, s41
; %bb.386:                              ;   in Loop: Header=BB68_3 Depth=1
	ds_store_b64 v68, v[38:39]
; %bb.387:                              ;   in Loop: Header=BB68_3 Depth=1
	s_or_b32 exec_lo, exec_lo, s23
	s_wait_dscnt 0x0
	s_barrier_signal -1
	s_barrier_wait -1
	s_and_saveexec_b32 s23, s42
	s_cbranch_execz .LBB68_389
; %bb.388:                              ;   in Loop: Header=BB68_3 Depth=1
	ds_load_b64 v[40:41], v64 offset:12992
	ds_load_b64 v[42:43], v68
	s_wait_dscnt 0x0
	v_dual_mul_f32 v3, v43, v41 :: v_dual_mul_f32 v41, v42, v41
	s_delay_alu instid0(VALU_DEP_1) | instskip(NEXT) | instid1(VALU_DEP_1)
	v_dual_fma_f32 v3, v42, v40, -v3 :: v_dual_fmac_f32 v41, v43, v40
	v_dual_add_f32 v38, v38, v3 :: v_dual_add_f32 v39, v39, v41
.LBB68_389:                             ;   in Loop: Header=BB68_3 Depth=1
	s_or_b32 exec_lo, exec_lo, s23
	s_barrier_signal -1
	s_barrier_wait -1
	s_and_saveexec_b32 s23, s43
; %bb.390:                              ;   in Loop: Header=BB68_3 Depth=1
	ds_store_b64 v68, v[38:39]
; %bb.391:                              ;   in Loop: Header=BB68_3 Depth=1
	s_or_b32 exec_lo, exec_lo, s23
	s_wait_dscnt 0x0
	s_barrier_signal -1
	s_barrier_wait -1
	s_and_saveexec_b32 s23, s44
	s_cbranch_execz .LBB68_393
; %bb.392:                              ;   in Loop: Header=BB68_3 Depth=1
	ds_load_b64 v[40:41], v64 offset:13504
	ds_load_b64 v[42:43], v68
	s_wait_dscnt 0x0
	v_dual_mul_f32 v3, v43, v41 :: v_dual_mul_f32 v95, v42, v41
	s_delay_alu instid0(VALU_DEP_1) | instskip(NEXT) | instid1(VALU_DEP_2)
	v_fma_f32 v94, v42, v40, -v3
	v_fmac_f32_e32 v95, v43, v40
	s_delay_alu instid0(VALU_DEP_1)
	v_pk_add_f32 v[38:39], v[38:39], v[94:95]
.LBB68_393:                             ;   in Loop: Header=BB68_3 Depth=1
	s_or_b32 exec_lo, exec_lo, s23
	s_barrier_signal -1
	s_barrier_wait -1
	s_and_saveexec_b32 s23, s45
; %bb.394:                              ;   in Loop: Header=BB68_3 Depth=1
	ds_store_b64 v68, v[38:39]
; %bb.395:                              ;   in Loop: Header=BB68_3 Depth=1
	s_or_b32 exec_lo, exec_lo, s23
	s_wait_dscnt 0x0
	s_barrier_signal -1
	s_barrier_wait -1
	s_and_saveexec_b32 s23, s46
	s_cbranch_execz .LBB68_397
; %bb.396:                              ;   in Loop: Header=BB68_3 Depth=1
	ds_load_b64 v[40:41], v64 offset:14016
	ds_load_b64 v[42:43], v68
	s_wait_dscnt 0x0
	v_pk_mul_f32 v[94:95], v[42:43], v[40:41] op_sel:[1,1] op_sel_hi:[0,1]
	s_delay_alu instid0(VALU_DEP_1) | instskip(SKIP_1) | instid1(VALU_DEP_2)
	v_pk_fma_f32 v[96:97], v[42:43], v[40:41], v[94:95] op_sel_hi:[1,0,1]
	v_pk_fma_f32 v[40:41], v[42:43], v[40:41], v[94:95] neg_lo:[0,0,1] neg_hi:[0,0,1]
	v_mov_b32_e32 v41, v97
	s_delay_alu instid0(VALU_DEP_1)
	v_pk_add_f32 v[38:39], v[38:39], v[40:41]
.LBB68_397:                             ;   in Loop: Header=BB68_3 Depth=1
	s_or_b32 exec_lo, exec_lo, s23
	s_barrier_signal -1
	s_barrier_wait -1
	s_and_saveexec_b32 s23, s47
; %bb.398:                              ;   in Loop: Header=BB68_3 Depth=1
	ds_store_b64 v68, v[38:39]
; %bb.399:                              ;   in Loop: Header=BB68_3 Depth=1
	s_or_b32 exec_lo, exec_lo, s23
	s_wait_dscnt 0x0
	s_barrier_signal -1
	s_barrier_wait -1
	s_and_saveexec_b32 s23, s48
	s_cbranch_execz .LBB68_401
; %bb.400:                              ;   in Loop: Header=BB68_3 Depth=1
	ds_load_b64 v[40:41], v64 offset:14528
	ds_load_b64 v[42:43], v68
	s_wait_dscnt 0x0
	v_pk_mul_f32 v[94:95], v[42:43], v[40:41] op_sel:[1,1] op_sel_hi:[0,1]
	s_delay_alu instid0(VALU_DEP_1) | instskip(SKIP_1) | instid1(VALU_DEP_2)
	v_pk_fma_f32 v[96:97], v[42:43], v[40:41], v[94:95] op_sel_hi:[1,0,1]
	v_pk_fma_f32 v[40:41], v[42:43], v[40:41], v[94:95] neg_lo:[0,0,1] neg_hi:[0,0,1]
	v_mov_b32_e32 v41, v97
	s_delay_alu instid0(VALU_DEP_1)
	v_pk_add_f32 v[38:39], v[38:39], v[40:41]
.LBB68_401:                             ;   in Loop: Header=BB68_3 Depth=1
	;; [unrolled: 25-line block ×4, first 2 shown]
	s_or_b32 exec_lo, exec_lo, s23
	s_barrier_signal -1
	s_barrier_wait -1
	s_and_saveexec_b32 s23, s52
; %bb.410:                              ;   in Loop: Header=BB68_3 Depth=1
	ds_store_b64 v68, v[38:39]
; %bb.411:                              ;   in Loop: Header=BB68_3 Depth=1
	s_or_b32 exec_lo, exec_lo, s23
	s_wait_dscnt 0x0
	s_barrier_signal -1
	s_barrier_wait -1
	s_barrier_signal -1
	s_barrier_wait -1
	s_and_saveexec_b32 s23, s5
; %bb.412:                              ;   in Loop: Header=BB68_3 Depth=1
	v_pk_add_f32 v[38:39], v[38:39], 0 neg_lo:[1,1] neg_hi:[1,1]
	ds_store_b64 v69, v[38:39] offset:8384
; %bb.413:                              ;   in Loop: Header=BB68_3 Depth=1
	s_or_b32 exec_lo, exec_lo, s23
	s_wait_dscnt 0x0
	s_barrier_signal -1
	s_barrier_wait -1
	s_barrier_signal -1
	s_barrier_wait -1
	s_and_saveexec_b32 s23, s53
	s_cbranch_execz .LBB68_415
; %bb.414:                              ;   in Loop: Header=BB68_3 Depth=1
	ds_load_b64 v[38:39], v9 offset:8384
	s_wait_dscnt 0x0
	ds_store_b64 v44, v[38:39] offset:12416
	ds_load_b64 v[38:39], v9 offset:8392
	s_wait_dscnt 0x0
	ds_store_b64 v44, v[38:39] offset:12928
	;; [unrolled: 3-line block ×8, first 2 shown]
.LBB68_415:                             ;   in Loop: Header=BB68_3 Depth=1
	s_or_b32 exec_lo, exec_lo, s23
	s_wait_dscnt 0x0
	s_barrier_signal -1
	s_barrier_wait -1
	s_and_saveexec_b32 s23, s10
	s_cbranch_execz .LBB68_417
; %bb.416:                              ;   in Loop: Header=BB68_3 Depth=1
	ds_load_b64 v[38:39], v5 offset:12488
	v_add_nc_u32_e64 v3, 0xc0, 0
	ds_store_b64 v5, v[34:35] offset:13000
	s_wait_dscnt 0x1
	ds_store_2addr_stride64_b64 v3, v[34:35], v[38:39] offset0:24 offset1:25
.LBB68_417:                             ;   in Loop: Header=BB68_3 Depth=1
	s_or_b32 exec_lo, exec_lo, s23
	v_mov_b64_e32 v[38:39], 0
	s_wait_dscnt 0x0
	s_barrier_signal -1
	s_barrier_wait -1
	s_and_saveexec_b32 s23, s2
	s_cbranch_execz .LBB68_421
; %bb.418:                              ;   in Loop: Header=BB68_3 Depth=1
	ds_load_b64 v[38:39], v61 offset:12496
	ds_load_b64 v[40:41], v62 offset:12480
	s_wait_dscnt 0x0
	v_pk_mul_f32 v[42:43], v[40:41], v[38:39] op_sel:[1,1] op_sel_hi:[0,1]
	s_delay_alu instid0(VALU_DEP_1) | instskip(SKIP_1) | instid1(VALU_DEP_2)
	v_pk_fma_f32 v[94:95], v[40:41], v[38:39], v[42:43] op_sel_hi:[1,0,1]
	v_pk_fma_f32 v[38:39], v[40:41], v[38:39], v[42:43] neg_lo:[0,0,1] neg_hi:[0,0,1]
	v_mov_b32_e32 v39, v95
	s_delay_alu instid0(VALU_DEP_1)
	v_pk_add_f32 v[38:39], v[38:39], 0 op_sel_hi:[1,0]
	s_and_saveexec_b32 s25, s11
	s_cbranch_execz .LBB68_420
; %bb.419:                              ;   in Loop: Header=BB68_3 Depth=1
	ds_load_b64 v[40:41], v44 offset:13008
	ds_load_b64 v[42:43], v5 offset:12488
	s_wait_dscnt 0x0
	v_pk_mul_f32 v[94:95], v[42:43], v[40:41] op_sel:[1,1] op_sel_hi:[0,1]
	s_delay_alu instid0(VALU_DEP_1) | instskip(SKIP_1) | instid1(VALU_DEP_2)
	v_pk_fma_f32 v[96:97], v[42:43], v[40:41], v[94:95] op_sel_hi:[1,0,1]
	v_pk_fma_f32 v[40:41], v[42:43], v[40:41], v[94:95] neg_lo:[0,0,1] neg_hi:[0,0,1]
	v_mov_b32_e32 v41, v97
	s_delay_alu instid0(VALU_DEP_1)
	v_pk_add_f32 v[38:39], v[38:39], v[40:41]
.LBB68_420:                             ;   in Loop: Header=BB68_3 Depth=1
	s_or_b32 exec_lo, exec_lo, s25
	s_delay_alu instid0(VALU_DEP_1)
	v_pk_add_f32 v[38:39], v[38:39], 0 neg_lo:[1,1] neg_hi:[1,1]
.LBB68_421:                             ;   in Loop: Header=BB68_3 Depth=1
	s_or_b32 exec_lo, exec_lo, s23
	s_and_saveexec_b32 s23, s96
; %bb.422:                              ;   in Loop: Header=BB68_3 Depth=1
	ds_store_b64 v53, v[38:39]
; %bb.423:                              ;   in Loop: Header=BB68_3 Depth=1
	s_or_b32 exec_lo, exec_lo, s23
	s_wait_dscnt 0x0
	s_barrier_signal -1
	s_barrier_wait -1
	s_and_saveexec_b32 s23, s97
	s_cbranch_execz .LBB68_425
; %bb.424:                              ;   in Loop: Header=BB68_3 Depth=1
	ds_load_b64 v[40:41], v5 offset:13528
	ds_load_b64 v[42:43], v53
	s_wait_dscnt 0x0
	v_pk_mul_f32 v[94:95], v[42:43], v[40:41] op_sel:[1,1] op_sel_hi:[0,1]
	s_delay_alu instid0(VALU_DEP_1) | instskip(SKIP_1) | instid1(VALU_DEP_2)
	v_pk_fma_f32 v[96:97], v[42:43], v[40:41], v[94:95] op_sel_hi:[1,0,1]
	v_pk_fma_f32 v[40:41], v[42:43], v[40:41], v[94:95] neg_lo:[0,0,1] neg_hi:[0,0,1]
	v_mov_b32_e32 v41, v97
	s_delay_alu instid0(VALU_DEP_1)
	v_pk_add_f32 v[38:39], v[38:39], v[40:41]
.LBB68_425:                             ;   in Loop: Header=BB68_3 Depth=1
	s_or_b32 exec_lo, exec_lo, s23
	s_barrier_signal -1
	s_barrier_wait -1
	s_and_saveexec_b32 s23, s97
; %bb.426:                              ;   in Loop: Header=BB68_3 Depth=1
	ds_store_b64 v53, v[38:39]
; %bb.427:                              ;   in Loop: Header=BB68_3 Depth=1
	s_or_b32 exec_lo, exec_lo, s23
	s_wait_dscnt 0x0
	s_barrier_signal -1
	s_barrier_wait -1
	s_barrier_signal -1
	s_barrier_wait -1
	s_and_saveexec_b32 s23, s2
; %bb.428:                              ;   in Loop: Header=BB68_3 Depth=1
	v_pk_add_f32 v[38:39], v[38:39], 0 neg_lo:[1,1] neg_hi:[1,1]
	ds_store_b64 v61, v[38:39] offset:12496
; %bb.429:                              ;   in Loop: Header=BB68_3 Depth=1
	s_or_b32 exec_lo, exec_lo, s23
	s_wait_dscnt 0x0
	s_barrier_signal -1
	s_barrier_wait -1
	s_barrier_signal -1
	s_barrier_wait -1
	s_and_saveexec_b32 s23, s98
	s_cbranch_execz .LBB68_431
; %bb.430:                              ;   in Loop: Header=BB68_3 Depth=1
	ds_load_b64 v[38:39], v45 offset:12496
	s_wait_dscnt 0x0
	ds_store_b64 v44, v[38:39] offset:13504
	ds_load_b64 v[38:39], v45 offset:12504
	s_wait_dscnt 0x0
	ds_store_b64 v44, v[38:39] offset:14016
.LBB68_431:                             ;   in Loop: Header=BB68_3 Depth=1
	s_or_b32 exec_lo, exec_lo, s23
	s_wait_dscnt 0x0
	s_barrier_signal -1
	s_barrier_wait -1
	s_and_saveexec_b32 s23, s10
	s_cbranch_execz .LBB68_433
; %bb.432:                              ;   in Loop: Header=BB68_3 Depth=1
	ds_load_b64 v[38:39], v5 offset:13528
	v_add_nc_u32_e64 v3, 0xd0, 0
	ds_store_b64 v5, v[34:35] offset:14040
	s_wait_dscnt 0x1
	ds_store_2addr_stride64_b64 v3, v[34:35], v[38:39] offset0:26 offset1:27
.LBB68_433:                             ;   in Loop: Header=BB68_3 Depth=1
	s_or_b32 exec_lo, exec_lo, s23
	v_mov_b64_e32 v[38:39], 0
	s_wait_dscnt 0x0
	s_barrier_signal -1
	s_barrier_wait -1
	s_and_saveexec_b32 s62, s4
	s_cbranch_execz .LBB68_439
; %bb.434:                              ;   in Loop: Header=BB68_3 Depth=1
	ds_load_b64 v[38:39], v65 offset:12512
	ds_load_b64 v[40:41], v51 offset:12480
	s_wait_dscnt 0x0
	v_dual_mul_f32 v3, v41, v39 :: v_dual_mul_f32 v39, v40, v39
	s_delay_alu instid0(VALU_DEP_1) | instskip(NEXT) | instid1(VALU_DEP_1)
	v_fmac_f32_e32 v39, v41, v38
	v_dual_fma_f32 v3, v40, v38, -v3 :: v_dual_add_f32 v39, 0, v39
	s_delay_alu instid0(VALU_DEP_1)
	v_add_f32_e32 v38, 0, v3
	s_and_saveexec_b32 s23, s12
	s_cbranch_execnz .LBB68_1084
; %bb.435:                              ;   in Loop: Header=BB68_3 Depth=1
	s_or_b32 exec_lo, exec_lo, s23
	s_and_saveexec_b32 s23, s13
	s_cbranch_execnz .LBB68_1085
.LBB68_436:                             ;   in Loop: Header=BB68_3 Depth=1
	s_or_b32 exec_lo, exec_lo, s23
	s_and_saveexec_b32 s23, s2
	s_cbranch_execz .LBB68_438
.LBB68_437:                             ;   in Loop: Header=BB68_3 Depth=1
	ds_load_b64 v[40:41], v46 offset:14048
	ds_load_b64 v[42:43], v5 offset:12504
	s_wait_dscnt 0x0
	v_dual_mul_f32 v3, v43, v41 :: v_dual_mul_f32 v95, v42, v41
	s_delay_alu instid0(VALU_DEP_1) | instskip(NEXT) | instid1(VALU_DEP_2)
	v_fma_f32 v94, v42, v40, -v3
	v_fmac_f32_e32 v95, v43, v40
	s_delay_alu instid0(VALU_DEP_1)
	v_pk_add_f32 v[38:39], v[38:39], v[94:95]
.LBB68_438:                             ;   in Loop: Header=BB68_3 Depth=1
	s_or_b32 exec_lo, exec_lo, s23
	s_delay_alu instid0(VALU_DEP_1)
	v_pk_add_f32 v[38:39], v[38:39], 0 neg_lo:[1,1] neg_hi:[1,1]
.LBB68_439:                             ;   in Loop: Header=BB68_3 Depth=1
	s_or_b32 exec_lo, exec_lo, s62
	s_and_saveexec_b32 s23, s99
; %bb.440:                              ;   in Loop: Header=BB68_3 Depth=1
	ds_store_b64 v63, v[38:39]
; %bb.441:                              ;   in Loop: Header=BB68_3 Depth=1
	s_or_b32 exec_lo, exec_lo, s23
	s_wait_dscnt 0x0
	s_barrier_signal -1
	s_barrier_wait -1
	s_and_saveexec_b32 s23, s100
	s_cbranch_execz .LBB68_443
; %bb.442:                              ;   in Loop: Header=BB68_3 Depth=1
	ds_load_b64 v[40:41], v60 offset:14560
	ds_load_b64 v[42:43], v63
	s_wait_dscnt 0x0
	v_pk_mul_f32 v[94:95], v[42:43], v[40:41] op_sel:[1,1] op_sel_hi:[0,1]
	s_delay_alu instid0(VALU_DEP_1) | instskip(SKIP_1) | instid1(VALU_DEP_2)
	v_pk_fma_f32 v[96:97], v[42:43], v[40:41], v[94:95] op_sel_hi:[1,0,1]
	v_pk_fma_f32 v[40:41], v[42:43], v[40:41], v[94:95] neg_lo:[0,0,1] neg_hi:[0,0,1]
	v_mov_b32_e32 v41, v97
	s_delay_alu instid0(VALU_DEP_1)
	v_pk_add_f32 v[38:39], v[38:39], v[40:41]
.LBB68_443:                             ;   in Loop: Header=BB68_3 Depth=1
	s_or_b32 exec_lo, exec_lo, s23
	s_barrier_signal -1
	s_barrier_wait -1
	s_and_saveexec_b32 s23, s101
; %bb.444:                              ;   in Loop: Header=BB68_3 Depth=1
	ds_store_b64 v63, v[38:39]
; %bb.445:                              ;   in Loop: Header=BB68_3 Depth=1
	s_or_b32 exec_lo, exec_lo, s23
	s_wait_dscnt 0x0
	s_barrier_signal -1
	s_barrier_wait -1
	s_and_saveexec_b32 s23, s102
	s_cbranch_execz .LBB68_447
; %bb.446:                              ;   in Loop: Header=BB68_3 Depth=1
	ds_load_b64 v[40:41], v60 offset:15072
	ds_load_b64 v[42:43], v63
	s_wait_dscnt 0x0
	v_pk_mul_f32 v[94:95], v[42:43], v[40:41] op_sel:[1,1] op_sel_hi:[0,1]
	s_delay_alu instid0(VALU_DEP_1) | instskip(SKIP_1) | instid1(VALU_DEP_2)
	v_pk_fma_f32 v[96:97], v[42:43], v[40:41], v[94:95] op_sel_hi:[1,0,1]
	v_pk_fma_f32 v[40:41], v[42:43], v[40:41], v[94:95] neg_lo:[0,0,1] neg_hi:[0,0,1]
	v_mov_b32_e32 v41, v97
	s_delay_alu instid0(VALU_DEP_1)
	v_pk_add_f32 v[38:39], v[38:39], v[40:41]
.LBB68_447:                             ;   in Loop: Header=BB68_3 Depth=1
	s_or_b32 exec_lo, exec_lo, s23
	s_barrier_signal -1
	s_barrier_wait -1
	;; [unrolled: 25-line block ×3, first 2 shown]
	s_and_saveexec_b32 s23, s104
; %bb.452:                              ;   in Loop: Header=BB68_3 Depth=1
	ds_store_b64 v63, v[38:39]
; %bb.453:                              ;   in Loop: Header=BB68_3 Depth=1
	s_or_b32 exec_lo, exec_lo, s23
	s_wait_dscnt 0x0
	s_barrier_signal -1
	s_barrier_wait -1
	s_barrier_signal -1
	s_barrier_wait -1
	s_and_saveexec_b32 s23, s4
; %bb.454:                              ;   in Loop: Header=BB68_3 Depth=1
	v_pk_add_f32 v[38:39], v[38:39], 0 neg_lo:[1,1] neg_hi:[1,1]
	ds_store_b64 v65, v[38:39] offset:12512
; %bb.455:                              ;   in Loop: Header=BB68_3 Depth=1
	s_or_b32 exec_lo, exec_lo, s23
	s_wait_dscnt 0x0
	s_barrier_signal -1
	s_barrier_wait -1
	s_barrier_signal -1
	s_barrier_wait -1
	s_and_saveexec_b32 s23, vcc_hi
	s_cbranch_execz .LBB68_457
; %bb.456:                              ;   in Loop: Header=BB68_3 Depth=1
	ds_load_b64 v[38:39], v47 offset:12512
	s_wait_dscnt 0x0
	ds_store_b64 v48, v[38:39] offset:14528
	ds_load_b64 v[38:39], v47 offset:12520
	s_wait_dscnt 0x0
	ds_store_b64 v48, v[38:39] offset:15040
	;; [unrolled: 3-line block ×4, first 2 shown]
.LBB68_457:                             ;   in Loop: Header=BB68_3 Depth=1
	s_or_b32 exec_lo, exec_lo, s23
	s_wait_dscnt 0x0
	s_barrier_signal -1
	s_barrier_wait -1
	s_and_saveexec_b32 s23, s10
	s_cbranch_execz .LBB68_459
; %bb.458:                              ;   in Loop: Header=BB68_3 Depth=1
	ds_load_b64 v[38:39], v5 offset:14568
	v_add_nc_u32_e64 v3, 0xe0, 0
	ds_store_b64 v5, v[34:35] offset:15080
	s_wait_dscnt 0x1
	ds_store_2addr_stride64_b64 v3, v[34:35], v[38:39] offset0:28 offset1:29
.LBB68_459:                             ;   in Loop: Header=BB68_3 Depth=1
	s_or_b32 exec_lo, exec_lo, s23
	v_mov_b64_e32 v[38:39], 0
	s_wait_dscnt 0x0
	s_barrier_signal -1
	s_barrier_wait -1
	s_and_saveexec_b32 s23, s2
	s_cbranch_execz .LBB68_463
; %bb.460:                              ;   in Loop: Header=BB68_3 Depth=1
	ds_load_b64 v[38:39], v61 offset:14576
	ds_load_b64 v[40:41], v62 offset:14560
	s_wait_dscnt 0x0
	v_pk_mul_f32 v[42:43], v[40:41], v[38:39] op_sel:[1,1] op_sel_hi:[0,1]
	s_delay_alu instid0(VALU_DEP_1) | instskip(SKIP_1) | instid1(VALU_DEP_2)
	v_pk_fma_f32 v[94:95], v[40:41], v[38:39], v[42:43] op_sel_hi:[1,0,1]
	v_pk_fma_f32 v[38:39], v[40:41], v[38:39], v[42:43] neg_lo:[0,0,1] neg_hi:[0,0,1]
	v_mov_b32_e32 v39, v95
	s_delay_alu instid0(VALU_DEP_1)
	v_pk_add_f32 v[38:39], v[38:39], 0 op_sel_hi:[1,0]
	s_and_saveexec_b32 s25, s11
	s_cbranch_execz .LBB68_462
; %bb.461:                              ;   in Loop: Header=BB68_3 Depth=1
	ds_load_b64 v[40:41], v48 offset:15088
	ds_load_b64 v[42:43], v5 offset:14568
	s_wait_dscnt 0x0
	v_pk_mul_f32 v[94:95], v[42:43], v[40:41] op_sel:[1,1] op_sel_hi:[0,1]
	s_delay_alu instid0(VALU_DEP_1) | instskip(SKIP_1) | instid1(VALU_DEP_2)
	v_pk_fma_f32 v[96:97], v[42:43], v[40:41], v[94:95] op_sel_hi:[1,0,1]
	v_pk_fma_f32 v[40:41], v[42:43], v[40:41], v[94:95] neg_lo:[0,0,1] neg_hi:[0,0,1]
	v_mov_b32_e32 v41, v97
	s_delay_alu instid0(VALU_DEP_1)
	v_pk_add_f32 v[38:39], v[38:39], v[40:41]
.LBB68_462:                             ;   in Loop: Header=BB68_3 Depth=1
	s_or_b32 exec_lo, exec_lo, s25
	s_delay_alu instid0(VALU_DEP_1)
	v_pk_add_f32 v[38:39], v[38:39], 0 neg_lo:[1,1] neg_hi:[1,1]
.LBB68_463:                             ;   in Loop: Header=BB68_3 Depth=1
	s_or_b32 exec_lo, exec_lo, s23
	s_and_saveexec_b32 s23, s96
; %bb.464:                              ;   in Loop: Header=BB68_3 Depth=1
	ds_store_b64 v53, v[38:39]
; %bb.465:                              ;   in Loop: Header=BB68_3 Depth=1
	s_or_b32 exec_lo, exec_lo, s23
	s_wait_dscnt 0x0
	s_barrier_signal -1
	s_barrier_wait -1
	s_and_saveexec_b32 s23, s97
	s_cbranch_execz .LBB68_467
; %bb.466:                              ;   in Loop: Header=BB68_3 Depth=1
	ds_load_b64 v[40:41], v5 offset:15608
	ds_load_b64 v[42:43], v53
	s_wait_dscnt 0x0
	v_pk_mul_f32 v[94:95], v[42:43], v[40:41] op_sel:[1,1] op_sel_hi:[0,1]
	s_delay_alu instid0(VALU_DEP_1) | instskip(SKIP_1) | instid1(VALU_DEP_2)
	v_pk_fma_f32 v[96:97], v[42:43], v[40:41], v[94:95] op_sel_hi:[1,0,1]
	v_pk_fma_f32 v[40:41], v[42:43], v[40:41], v[94:95] neg_lo:[0,0,1] neg_hi:[0,0,1]
	v_mov_b32_e32 v41, v97
	s_delay_alu instid0(VALU_DEP_1)
	v_pk_add_f32 v[38:39], v[38:39], v[40:41]
.LBB68_467:                             ;   in Loop: Header=BB68_3 Depth=1
	s_or_b32 exec_lo, exec_lo, s23
	s_barrier_signal -1
	s_barrier_wait -1
	s_and_saveexec_b32 s23, s97
; %bb.468:                              ;   in Loop: Header=BB68_3 Depth=1
	ds_store_b64 v53, v[38:39]
; %bb.469:                              ;   in Loop: Header=BB68_3 Depth=1
	s_or_b32 exec_lo, exec_lo, s23
	s_wait_dscnt 0x0
	s_barrier_signal -1
	s_barrier_wait -1
	s_barrier_signal -1
	s_barrier_wait -1
	s_and_saveexec_b32 s23, s2
; %bb.470:                              ;   in Loop: Header=BB68_3 Depth=1
	v_pk_add_f32 v[38:39], v[38:39], 0 neg_lo:[1,1] neg_hi:[1,1]
	ds_store_b64 v61, v[38:39] offset:14576
; %bb.471:                              ;   in Loop: Header=BB68_3 Depth=1
	s_or_b32 exec_lo, exec_lo, s23
	s_wait_dscnt 0x0
	s_barrier_signal -1
	s_barrier_wait -1
	s_barrier_signal -1
	s_barrier_wait -1
	s_and_saveexec_b32 s23, s98
	s_cbranch_execz .LBB68_473
; %bb.472:                              ;   in Loop: Header=BB68_3 Depth=1
	ds_load_b64 v[38:39], v49 offset:14576
	s_wait_dscnt 0x0
	ds_store_b64 v48, v[38:39] offset:15584
	ds_load_b64 v[38:39], v49 offset:14584
	s_wait_dscnt 0x0
	ds_store_b64 v48, v[38:39] offset:16096
.LBB68_473:                             ;   in Loop: Header=BB68_3 Depth=1
	s_or_b32 exec_lo, exec_lo, s23
	s_wait_dscnt 0x0
	s_barrier_signal -1
	s_barrier_wait -1
	s_and_saveexec_b32 s23, s10
	s_cbranch_execz .LBB68_475
; %bb.474:                              ;   in Loop: Header=BB68_3 Depth=1
	ds_load_b64 v[38:39], v5 offset:15608
	v_add_nc_u32_e64 v3, 0xf0, 0
	ds_store_b64 v5, v[34:35] offset:16120
	s_wait_dscnt 0x1
	ds_store_2addr_stride64_b64 v3, v[34:35], v[38:39] offset0:30 offset1:31
.LBB68_475:                             ;   in Loop: Header=BB68_3 Depth=1
	s_or_b32 exec_lo, exec_lo, s23
	v_mov_b64_e32 v[38:39], 0
	s_wait_dscnt 0x0
	s_barrier_signal -1
	s_barrier_wait -1
	s_and_saveexec_b32 s62, s30
	s_cbranch_execz .LBB68_537
; %bb.476:                              ;   in Loop: Header=BB68_3 Depth=1
	v_add_nc_u32_e32 v40, v84, v75
	v_add_nc_u32_e32 v3, v75, v59
	ds_load_b64 v[38:39], v40 offset:256
	ds_load_b64 v[42:43], v3
	s_wait_dscnt 0x0
	v_pk_mul_f32 v[94:95], v[42:43], v[38:39] op_sel:[1,1] op_sel_hi:[0,1]
	s_delay_alu instid0(VALU_DEP_1) | instskip(SKIP_1) | instid1(VALU_DEP_2)
	v_pk_fma_f32 v[96:97], v[42:43], v[38:39], v[94:95] op_sel_hi:[1,0,1]
	v_pk_fma_f32 v[38:39], v[42:43], v[38:39], v[94:95] neg_lo:[0,0,1] neg_hi:[0,0,1]
	v_mov_b32_e32 v39, v97
	s_delay_alu instid0(VALU_DEP_1) | instskip(SKIP_3) | instid1(SALU_CYCLE_1)
	v_pk_add_f32 v[38:39], v[38:39], 0 op_sel_hi:[1,0]
	s_mov_b32 s23, exec_lo
	v_readlane_b32 s25, v102, 9
	s_and_b32 s25, s23, s25
	s_mov_b32 exec_lo, s25
	s_cbranch_execz .LBB68_478
; %bb.477:                              ;   in Loop: Header=BB68_3 Depth=1
	ds_load_b64 v[42:43], v40 offset:768
	ds_load_b64 v[94:95], v3 offset:8
	s_wait_dscnt 0x0
	v_pk_mul_f32 v[96:97], v[94:95], v[42:43] op_sel:[1,1] op_sel_hi:[0,1]
	s_delay_alu instid0(VALU_DEP_1) | instskip(SKIP_1) | instid1(VALU_DEP_2)
	v_pk_fma_f32 v[98:99], v[94:95], v[42:43], v[96:97] op_sel_hi:[1,0,1]
	v_pk_fma_f32 v[42:43], v[94:95], v[42:43], v[96:97] neg_lo:[0,0,1] neg_hi:[0,0,1]
	v_mov_b32_e32 v43, v99
	s_delay_alu instid0(VALU_DEP_1)
	v_pk_add_f32 v[38:39], v[38:39], v[42:43]
.LBB68_478:                             ;   in Loop: Header=BB68_3 Depth=1
	s_or_b32 exec_lo, exec_lo, s23
	s_delay_alu instid0(SALU_CYCLE_1) | instskip(SKIP_2) | instid1(SALU_CYCLE_1)
	s_mov_b32 s23, exec_lo
	v_readlane_b32 s25, v102, 10
	s_and_b32 s25, s23, s25
	s_mov_b32 exec_lo, s25
	s_cbranch_execz .LBB68_480
; %bb.479:                              ;   in Loop: Header=BB68_3 Depth=1
	ds_load_b64 v[42:43], v40 offset:1280
	ds_load_b64 v[94:95], v3 offset:16
	s_wait_dscnt 0x0
	v_pk_mul_f32 v[96:97], v[94:95], v[42:43] op_sel:[1,1] op_sel_hi:[0,1]
	s_delay_alu instid0(VALU_DEP_1) | instskip(SKIP_1) | instid1(VALU_DEP_2)
	v_pk_fma_f32 v[98:99], v[94:95], v[42:43], v[96:97] op_sel_hi:[1,0,1]
	v_pk_fma_f32 v[42:43], v[94:95], v[42:43], v[96:97] neg_lo:[0,0,1] neg_hi:[0,0,1]
	v_mov_b32_e32 v43, v99
	s_delay_alu instid0(VALU_DEP_1)
	v_pk_add_f32 v[38:39], v[38:39], v[42:43]
.LBB68_480:                             ;   in Loop: Header=BB68_3 Depth=1
	s_or_b32 exec_lo, exec_lo, s23
	s_delay_alu instid0(SALU_CYCLE_1) | instskip(SKIP_2) | instid1(SALU_CYCLE_1)
	;; [unrolled: 19-line block ×22, first 2 shown]
	s_mov_b32 s23, exec_lo
	v_readlane_b32 s25, v102, 31
	s_and_b32 s25, s23, s25
	s_mov_b32 exec_lo, s25
	s_cbranch_execz .LBB68_522
; %bb.521:                              ;   in Loop: Header=BB68_3 Depth=1
	ds_load_b64 v[42:43], v40 offset:12032
	ds_load_b64 v[94:95], v3 offset:184
	s_wait_dscnt 0x0
	v_pk_mul_f32 v[96:97], v[94:95], v[42:43] op_sel:[1,1] op_sel_hi:[0,1]
	s_delay_alu instid0(VALU_DEP_1) | instskip(SKIP_1) | instid1(VALU_DEP_2)
	v_pk_fma_f32 v[98:99], v[94:95], v[42:43], v[96:97] op_sel_hi:[1,0,1]
	v_pk_fma_f32 v[42:43], v[94:95], v[42:43], v[96:97] neg_lo:[0,0,1] neg_hi:[0,0,1]
	v_mov_b32_e32 v43, v99
	s_delay_alu instid0(VALU_DEP_1)
	v_pk_add_f32 v[38:39], v[38:39], v[42:43]
.LBB68_522:                             ;   in Loop: Header=BB68_3 Depth=1
	s_or_b32 exec_lo, exec_lo, s23
	s_and_saveexec_b32 s23, s6
	s_cbranch_execz .LBB68_524
; %bb.523:                              ;   in Loop: Header=BB68_3 Depth=1
	ds_load_b64 v[42:43], v40 offset:12544
	ds_load_b64 v[94:95], v3 offset:192
	s_wait_dscnt 0x0
	v_pk_mul_f32 v[96:97], v[94:95], v[42:43] op_sel:[1,1] op_sel_hi:[0,1]
	s_delay_alu instid0(VALU_DEP_1) | instskip(SKIP_1) | instid1(VALU_DEP_2)
	v_pk_fma_f32 v[98:99], v[94:95], v[42:43], v[96:97] op_sel_hi:[1,0,1]
	v_pk_fma_f32 v[42:43], v[94:95], v[42:43], v[96:97] neg_lo:[0,0,1] neg_hi:[0,0,1]
	v_mov_b32_e32 v43, v99
	s_delay_alu instid0(VALU_DEP_1)
	v_pk_add_f32 v[38:39], v[38:39], v[42:43]
.LBB68_524:                             ;   in Loop: Header=BB68_3 Depth=1
	s_or_b32 exec_lo, exec_lo, s23
	s_delay_alu instid0(SALU_CYCLE_1) | instskip(SKIP_2) | instid1(SALU_CYCLE_1)
	s_mov_b32 s23, exec_lo
	v_readlane_b32 s25, v103, 26
	s_and_b32 s25, s23, s25
	s_mov_b32 exec_lo, s25
	s_cbranch_execz .LBB68_526
; %bb.525:                              ;   in Loop: Header=BB68_3 Depth=1
	ds_load_b64 v[42:43], v40 offset:13056
	ds_load_b64 v[94:95], v3 offset:200
	s_wait_dscnt 0x0
	v_pk_mul_f32 v[96:97], v[94:95], v[42:43] op_sel:[1,1] op_sel_hi:[0,1]
	s_delay_alu instid0(VALU_DEP_1) | instskip(SKIP_1) | instid1(VALU_DEP_2)
	v_pk_fma_f32 v[98:99], v[94:95], v[42:43], v[96:97] op_sel_hi:[1,0,1]
	v_pk_fma_f32 v[42:43], v[94:95], v[42:43], v[96:97] neg_lo:[0,0,1] neg_hi:[0,0,1]
	v_mov_b32_e32 v43, v99
	s_delay_alu instid0(VALU_DEP_1)
	v_pk_add_f32 v[38:39], v[38:39], v[42:43]
.LBB68_526:                             ;   in Loop: Header=BB68_3 Depth=1
	s_or_b32 exec_lo, exec_lo, s23
	s_delay_alu instid0(SALU_CYCLE_1) | instskip(SKIP_2) | instid1(SALU_CYCLE_1)
	s_mov_b32 s23, exec_lo
	v_readlane_b32 s25, v103, 28
	s_and_b32 s25, s23, s25
	s_mov_b32 exec_lo, s25
	;; [unrolled: 19-line block ×5, first 2 shown]
	s_cbranch_execnz .LBB68_1086
; %bb.533:                              ;   in Loop: Header=BB68_3 Depth=1
	s_or_b32 exec_lo, exec_lo, s23
	s_and_saveexec_b32 s23, s5
	s_cbranch_execnz .LBB68_1087
.LBB68_534:                             ;   in Loop: Header=BB68_3 Depth=1
	s_or_b32 exec_lo, exec_lo, s23
	s_and_saveexec_b32 s23, s17
	s_cbranch_execz .LBB68_536
.LBB68_535:                             ;   in Loop: Header=BB68_3 Depth=1
	ds_load_b64 v[40:41], v84 offset:16128
	ds_load_b64 v[42:43], v3 offset:248
	s_wait_dscnt 0x0
	v_pk_mul_f32 v[94:95], v[42:43], v[40:41] op_sel:[1,1] op_sel_hi:[0,1]
	s_delay_alu instid0(VALU_DEP_1) | instskip(SKIP_1) | instid1(VALU_DEP_2)
	v_pk_fma_f32 v[96:97], v[42:43], v[40:41], v[94:95] op_sel_hi:[1,0,1]
	v_pk_fma_f32 v[40:41], v[42:43], v[40:41], v[94:95] neg_lo:[0,0,1] neg_hi:[0,0,1]
	v_mov_b32_e32 v41, v97
	s_delay_alu instid0(VALU_DEP_1)
	v_pk_add_f32 v[38:39], v[38:39], v[40:41]
.LBB68_536:                             ;   in Loop: Header=BB68_3 Depth=1
	s_or_b32 exec_lo, exec_lo, s23
	s_delay_alu instid0(VALU_DEP_1)
	v_pk_add_f32 v[38:39], v[38:39], 0 neg_lo:[1,1] neg_hi:[1,1]
.LBB68_537:                             ;   in Loop: Header=BB68_3 Depth=1
	s_or_b32 exec_lo, exec_lo, s62
	v_dual_mov_b32 v3, v74 :: v_dual_mov_b32 v40, v92
	s_mov_b32 s62, 0
	s_branch .LBB68_539
.LBB68_538:                             ;   in Loop: Header=BB68_539 Depth=2
	s_or_b32 exec_lo, exec_lo, s23
	v_add_nc_u32_e32 v40, 0x800, v40
	v_add_nc_u32_e32 v3, -4, v3
	s_add_co_i32 s62, s62, 4
	s_delay_alu instid0(SALU_CYCLE_1)
	s_cmp_eq_u32 s62, 32
	s_barrier_signal -1
	s_barrier_wait -1
	s_cbranch_scc1 .LBB68_555
.LBB68_539:                             ;   Parent Loop BB68_3 Depth=1
                                        ; =>  This Inner Loop Header: Depth=2
	s_delay_alu instid0(VALU_DEP_1) | instskip(SKIP_1) | instid1(SALU_CYCLE_1)
	v_cmp_eq_u32_e32 vcc_lo, 0, v3
	s_and_b32 s25, s60, vcc_lo
	s_and_saveexec_b32 s23, s25
; %bb.540:                              ;   in Loop: Header=BB68_539 Depth=2
	ds_store_b64 v85, v[38:39]
; %bb.541:                              ;   in Loop: Header=BB68_539 Depth=2
	s_or_b32 exec_lo, exec_lo, s23
	v_cmp_lt_u32_e32 vcc_lo, s62, v74
	s_wait_dscnt 0x0
	s_barrier_signal -1
	s_barrier_wait -1
	s_and_b32 s25, s60, vcc_lo
	s_delay_alu instid0(SALU_CYCLE_1)
	s_and_saveexec_b32 s23, s25
	s_cbranch_execz .LBB68_543
; %bb.542:                              ;   in Loop: Header=BB68_539 Depth=2
	ds_load_b64 v[42:43], v40
	ds_load_b64 v[94:95], v85
	s_wait_dscnt 0x0
	v_pk_mul_f32 v[96:97], v[94:95], v[42:43] op_sel:[1,1] op_sel_hi:[0,1]
	s_delay_alu instid0(VALU_DEP_1) | instskip(SKIP_1) | instid1(VALU_DEP_2)
	v_pk_fma_f32 v[98:99], v[94:95], v[42:43], v[96:97] op_sel_hi:[1,0,1]
	v_pk_fma_f32 v[42:43], v[94:95], v[42:43], v[96:97] neg_lo:[0,0,1] neg_hi:[0,0,1]
	v_mov_b32_e32 v43, v99
	s_delay_alu instid0(VALU_DEP_1)
	v_pk_add_f32 v[38:39], v[38:39], v[42:43]
.LBB68_543:                             ;   in Loop: Header=BB68_539 Depth=2
	s_or_b32 exec_lo, exec_lo, s23
	s_or_b32 s23, s62, 1
	s_delay_alu instid0(SALU_CYCLE_1) | instskip(SKIP_3) | instid1(SALU_CYCLE_1)
	v_cmp_eq_u32_e32 vcc_lo, s23, v74
	s_barrier_signal -1
	s_barrier_wait -1
	s_and_b32 s63, s60, vcc_lo
	s_and_saveexec_b32 s25, s63
; %bb.544:                              ;   in Loop: Header=BB68_539 Depth=2
	ds_store_b64 v85, v[38:39]
; %bb.545:                              ;   in Loop: Header=BB68_539 Depth=2
	s_or_b32 exec_lo, exec_lo, s25
	v_cmp_lt_u32_e32 vcc_lo, s23, v74
	s_wait_dscnt 0x0
	s_barrier_signal -1
	s_barrier_wait -1
	s_and_b32 s25, s60, vcc_lo
	s_delay_alu instid0(SALU_CYCLE_1)
	s_and_saveexec_b32 s23, s25
	s_cbranch_execz .LBB68_547
; %bb.546:                              ;   in Loop: Header=BB68_539 Depth=2
	ds_load_b64 v[42:43], v40 offset:512
	ds_load_b64 v[94:95], v85
	s_wait_dscnt 0x0
	v_pk_mul_f32 v[96:97], v[94:95], v[42:43] op_sel:[1,1] op_sel_hi:[0,1]
	s_delay_alu instid0(VALU_DEP_1) | instskip(SKIP_1) | instid1(VALU_DEP_2)
	v_pk_fma_f32 v[98:99], v[94:95], v[42:43], v[96:97] op_sel_hi:[1,0,1]
	v_pk_fma_f32 v[42:43], v[94:95], v[42:43], v[96:97] neg_lo:[0,0,1] neg_hi:[0,0,1]
	v_mov_b32_e32 v43, v99
	s_delay_alu instid0(VALU_DEP_1)
	v_pk_add_f32 v[38:39], v[38:39], v[42:43]
.LBB68_547:                             ;   in Loop: Header=BB68_539 Depth=2
	s_or_b32 exec_lo, exec_lo, s23
	s_or_b32 s23, s62, 2
	s_delay_alu instid0(SALU_CYCLE_1) | instskip(SKIP_3) | instid1(SALU_CYCLE_1)
	v_cmp_eq_u32_e32 vcc_lo, s23, v74
	s_barrier_signal -1
	s_barrier_wait -1
	s_and_b32 s63, s60, vcc_lo
	s_and_saveexec_b32 s25, s63
; %bb.548:                              ;   in Loop: Header=BB68_539 Depth=2
	ds_store_b64 v85, v[38:39]
; %bb.549:                              ;   in Loop: Header=BB68_539 Depth=2
	s_or_b32 exec_lo, exec_lo, s25
	v_cmp_lt_u32_e32 vcc_lo, s23, v74
	s_wait_dscnt 0x0
	s_barrier_signal -1
	s_barrier_wait -1
	s_and_b32 s25, s60, vcc_lo
	s_delay_alu instid0(SALU_CYCLE_1)
	s_and_saveexec_b32 s23, s25
	s_cbranch_execz .LBB68_551
; %bb.550:                              ;   in Loop: Header=BB68_539 Depth=2
	ds_load_b64 v[42:43], v40 offset:1024
	ds_load_b64 v[94:95], v85
	s_wait_dscnt 0x0
	v_pk_mul_f32 v[96:97], v[94:95], v[42:43] op_sel:[1,1] op_sel_hi:[0,1]
	s_delay_alu instid0(VALU_DEP_1) | instskip(SKIP_1) | instid1(VALU_DEP_2)
	v_pk_fma_f32 v[98:99], v[94:95], v[42:43], v[96:97] op_sel_hi:[1,0,1]
	v_pk_fma_f32 v[42:43], v[94:95], v[42:43], v[96:97] neg_lo:[0,0,1] neg_hi:[0,0,1]
	v_mov_b32_e32 v43, v99
	s_delay_alu instid0(VALU_DEP_1)
	v_pk_add_f32 v[38:39], v[38:39], v[42:43]
.LBB68_551:                             ;   in Loop: Header=BB68_539 Depth=2
	s_or_b32 exec_lo, exec_lo, s23
	s_or_b32 s23, s62, 3
	s_delay_alu instid0(SALU_CYCLE_1) | instskip(SKIP_3) | instid1(SALU_CYCLE_1)
	v_cmp_eq_u32_e32 vcc_lo, s23, v74
	s_barrier_signal -1
	s_barrier_wait -1
	s_and_b32 s63, s60, vcc_lo
	s_and_saveexec_b32 s25, s63
; %bb.552:                              ;   in Loop: Header=BB68_539 Depth=2
	ds_store_b64 v85, v[38:39]
; %bb.553:                              ;   in Loop: Header=BB68_539 Depth=2
	s_or_b32 exec_lo, exec_lo, s25
	v_cmp_lt_u32_e32 vcc_lo, s23, v74
	s_wait_dscnt 0x0
	s_barrier_signal -1
	s_barrier_wait -1
	s_and_b32 s25, s60, vcc_lo
	s_delay_alu instid0(SALU_CYCLE_1)
	s_and_saveexec_b32 s23, s25
	s_cbranch_execz .LBB68_538
; %bb.554:                              ;   in Loop: Header=BB68_539 Depth=2
	ds_load_b64 v[42:43], v40 offset:1536
	ds_load_b64 v[94:95], v85
	s_wait_dscnt 0x0
	v_pk_mul_f32 v[96:97], v[94:95], v[42:43] op_sel:[1,1] op_sel_hi:[0,1]
	s_delay_alu instid0(VALU_DEP_1) | instskip(SKIP_1) | instid1(VALU_DEP_2)
	v_pk_fma_f32 v[98:99], v[94:95], v[42:43], v[96:97] op_sel_hi:[1,0,1]
	v_pk_fma_f32 v[42:43], v[94:95], v[42:43], v[96:97] neg_lo:[0,0,1] neg_hi:[0,0,1]
	v_mov_b32_e32 v43, v99
	s_delay_alu instid0(VALU_DEP_1)
	v_pk_add_f32 v[38:39], v[38:39], v[42:43]
	s_branch .LBB68_538
.LBB68_555:                             ;   in Loop: Header=BB68_3 Depth=1
	s_and_saveexec_b32 s23, s30
; %bb.556:                              ;   in Loop: Header=BB68_3 Depth=1
	v_pk_add_f32 v[38:39], v[38:39], 0 neg_lo:[1,1] neg_hi:[1,1]
	ds_store_b64 v86, v[38:39] offset:256
; %bb.557:                              ;   in Loop: Header=BB68_3 Depth=1
	s_or_b32 exec_lo, exec_lo, s23
	s_wait_dscnt 0x0
	s_barrier_signal -1
	s_barrier_wait -1
	s_barrier_signal -1
	s_barrier_wait -1
	s_mov_b32 s62, exec_lo
	v_readlane_b32 s23, v103, 12
	s_and_b32 s23, s62, s23
	s_delay_alu instid0(SALU_CYCLE_1)
	s_mov_b32 exec_lo, s23
	s_cbranch_execz .LBB68_559
; %bb.558:                              ;   in Loop: Header=BB68_3 Depth=1
	ds_load_b64 v[38:39], v49 offset:256
	s_wait_dscnt 0x0
	ds_store_b64 v50, v[38:39] offset:16384
	ds_load_b64 v[38:39], v49 offset:264
	s_wait_dscnt 0x0
	ds_store_b64 v50, v[38:39] offset:16896
	;; [unrolled: 3-line block ×32, first 2 shown]
.LBB68_559:                             ;   in Loop: Header=BB68_3 Depth=1
	s_or_b32 exec_lo, exec_lo, s62
	s_wait_dscnt 0x0
	s_barrier_signal -1
	s_barrier_wait -1
	s_and_saveexec_b32 s23, s10
	s_cbranch_execz .LBB68_561
; %bb.560:                              ;   in Loop: Header=BB68_3 Depth=1
	ds_load_b64 v[38:39], v5 offset:16648
	v_add_nc_u32_e64 v3, 0x100, 0
	ds_store_b64 v5, v[34:35] offset:17160
	s_wait_dscnt 0x1
	ds_store_2addr_stride64_b64 v3, v[34:35], v[38:39] offset0:32 offset1:33
.LBB68_561:                             ;   in Loop: Header=BB68_3 Depth=1
	s_or_b32 exec_lo, exec_lo, s23
	v_mov_b64_e32 v[38:39], 0
	s_wait_dscnt 0x0
	s_barrier_signal -1
	s_barrier_wait -1
	s_and_saveexec_b32 s23, s2
	s_cbranch_execz .LBB68_565
; %bb.562:                              ;   in Loop: Header=BB68_3 Depth=1
	ds_load_b64 v[38:39], v61 offset:16656
	ds_load_b64 v[40:41], v62 offset:16640
	s_wait_dscnt 0x0
	v_pk_mul_f32 v[42:43], v[40:41], v[38:39] op_sel:[1,1] op_sel_hi:[0,1]
	s_delay_alu instid0(VALU_DEP_1) | instskip(SKIP_1) | instid1(VALU_DEP_2)
	v_pk_fma_f32 v[94:95], v[40:41], v[38:39], v[42:43] op_sel_hi:[1,0,1]
	v_pk_fma_f32 v[38:39], v[40:41], v[38:39], v[42:43] neg_lo:[0,0,1] neg_hi:[0,0,1]
	v_mov_b32_e32 v39, v95
	s_delay_alu instid0(VALU_DEP_1)
	v_pk_add_f32 v[38:39], v[38:39], 0 op_sel_hi:[1,0]
	s_and_saveexec_b32 s25, s11
	s_cbranch_execz .LBB68_564
; %bb.563:                              ;   in Loop: Header=BB68_3 Depth=1
	ds_load_b64 v[40:41], v7 offset:17168
	ds_load_b64 v[42:43], v5 offset:16648
	s_wait_dscnt 0x0
	v_pk_mul_f32 v[94:95], v[42:43], v[40:41] op_sel:[1,1] op_sel_hi:[0,1]
	s_delay_alu instid0(VALU_DEP_1) | instskip(SKIP_1) | instid1(VALU_DEP_2)
	v_pk_fma_f32 v[96:97], v[42:43], v[40:41], v[94:95] op_sel_hi:[1,0,1]
	v_pk_fma_f32 v[40:41], v[42:43], v[40:41], v[94:95] neg_lo:[0,0,1] neg_hi:[0,0,1]
	v_mov_b32_e32 v41, v97
	s_delay_alu instid0(VALU_DEP_1)
	v_pk_add_f32 v[38:39], v[38:39], v[40:41]
.LBB68_564:                             ;   in Loop: Header=BB68_3 Depth=1
	s_or_b32 exec_lo, exec_lo, s25
	s_delay_alu instid0(VALU_DEP_1)
	v_pk_add_f32 v[38:39], v[38:39], 0 neg_lo:[1,1] neg_hi:[1,1]
.LBB68_565:                             ;   in Loop: Header=BB68_3 Depth=1
	s_or_b32 exec_lo, exec_lo, s23
	s_and_saveexec_b32 s23, s96
; %bb.566:                              ;   in Loop: Header=BB68_3 Depth=1
	ds_store_b64 v53, v[38:39]
; %bb.567:                              ;   in Loop: Header=BB68_3 Depth=1
	s_or_b32 exec_lo, exec_lo, s23
	s_wait_dscnt 0x0
	s_barrier_signal -1
	s_barrier_wait -1
	s_and_saveexec_b32 s23, s97
	s_cbranch_execz .LBB68_569
; %bb.568:                              ;   in Loop: Header=BB68_3 Depth=1
	ds_load_b64 v[40:41], v5 offset:17688
	ds_load_b64 v[42:43], v53
	s_wait_dscnt 0x0
	v_pk_mul_f32 v[94:95], v[42:43], v[40:41] op_sel:[1,1] op_sel_hi:[0,1]
	s_delay_alu instid0(VALU_DEP_1) | instskip(SKIP_1) | instid1(VALU_DEP_2)
	v_pk_fma_f32 v[96:97], v[42:43], v[40:41], v[94:95] op_sel_hi:[1,0,1]
	v_pk_fma_f32 v[40:41], v[42:43], v[40:41], v[94:95] neg_lo:[0,0,1] neg_hi:[0,0,1]
	v_mov_b32_e32 v41, v97
	s_delay_alu instid0(VALU_DEP_1)
	v_pk_add_f32 v[38:39], v[38:39], v[40:41]
.LBB68_569:                             ;   in Loop: Header=BB68_3 Depth=1
	s_or_b32 exec_lo, exec_lo, s23
	s_barrier_signal -1
	s_barrier_wait -1
	s_and_saveexec_b32 s23, s97
; %bb.570:                              ;   in Loop: Header=BB68_3 Depth=1
	ds_store_b64 v53, v[38:39]
; %bb.571:                              ;   in Loop: Header=BB68_3 Depth=1
	s_or_b32 exec_lo, exec_lo, s23
	s_wait_dscnt 0x0
	s_barrier_signal -1
	s_barrier_wait -1
	s_barrier_signal -1
	s_barrier_wait -1
	s_and_saveexec_b32 s23, s2
; %bb.572:                              ;   in Loop: Header=BB68_3 Depth=1
	v_pk_add_f32 v[38:39], v[38:39], 0 neg_lo:[1,1] neg_hi:[1,1]
	ds_store_b64 v61, v[38:39] offset:16656
; %bb.573:                              ;   in Loop: Header=BB68_3 Depth=1
	s_or_b32 exec_lo, exec_lo, s23
	s_wait_dscnt 0x0
	s_barrier_signal -1
	s_barrier_wait -1
	s_barrier_signal -1
	s_barrier_wait -1
	s_and_saveexec_b32 s23, s98
	s_cbranch_execz .LBB68_575
; %bb.574:                              ;   in Loop: Header=BB68_3 Depth=1
	ds_load_b64 v[38:39], v9 offset:16656
	s_wait_dscnt 0x0
	ds_store_b64 v7, v[38:39] offset:17664
	ds_load_b64 v[38:39], v9 offset:16664
	s_wait_dscnt 0x0
	ds_store_b64 v7, v[38:39] offset:18176
.LBB68_575:                             ;   in Loop: Header=BB68_3 Depth=1
	s_or_b32 exec_lo, exec_lo, s23
	s_wait_dscnt 0x0
	s_barrier_signal -1
	s_barrier_wait -1
	s_and_saveexec_b32 s23, s10
	s_cbranch_execz .LBB68_577
; %bb.576:                              ;   in Loop: Header=BB68_3 Depth=1
	ds_load_b64 v[38:39], v5 offset:17688
	v_add_nc_u32_e64 v3, 0x110, 0
	ds_store_b64 v5, v[34:35] offset:18200
	s_wait_dscnt 0x1
	ds_store_2addr_stride64_b64 v3, v[34:35], v[38:39] offset0:34 offset1:35
.LBB68_577:                             ;   in Loop: Header=BB68_3 Depth=1
	s_or_b32 exec_lo, exec_lo, s23
	v_mov_b64_e32 v[38:39], 0
	s_wait_dscnt 0x0
	s_barrier_signal -1
	s_barrier_wait -1
	s_and_saveexec_b32 s62, s4
	s_cbranch_execz .LBB68_583
; %bb.578:                              ;   in Loop: Header=BB68_3 Depth=1
	ds_load_b64 v[38:39], v65 offset:16672
	ds_load_b64 v[40:41], v51 offset:16640
	s_wait_dscnt 0x0
	v_dual_mul_f32 v3, v41, v39 :: v_dual_mul_f32 v39, v40, v39
	s_delay_alu instid0(VALU_DEP_1) | instskip(NEXT) | instid1(VALU_DEP_1)
	v_fmac_f32_e32 v39, v41, v38
	v_dual_fma_f32 v3, v40, v38, -v3 :: v_dual_add_f32 v39, 0, v39
	s_delay_alu instid0(VALU_DEP_1)
	v_add_f32_e32 v38, 0, v3
	s_and_saveexec_b32 s23, s12
	s_cbranch_execnz .LBB68_1088
; %bb.579:                              ;   in Loop: Header=BB68_3 Depth=1
	s_or_b32 exec_lo, exec_lo, s23
	s_and_saveexec_b32 s23, s13
	s_cbranch_execnz .LBB68_1089
.LBB68_580:                             ;   in Loop: Header=BB68_3 Depth=1
	s_or_b32 exec_lo, exec_lo, s23
	s_and_saveexec_b32 s23, s2
	s_cbranch_execz .LBB68_582
.LBB68_581:                             ;   in Loop: Header=BB68_3 Depth=1
	ds_load_b64 v[40:41], v44 offset:18208
	ds_load_b64 v[42:43], v5 offset:16664
	s_wait_dscnt 0x0
	v_dual_mul_f32 v3, v43, v41 :: v_dual_mul_f32 v95, v42, v41
	s_delay_alu instid0(VALU_DEP_1) | instskip(NEXT) | instid1(VALU_DEP_2)
	v_fma_f32 v94, v42, v40, -v3
	v_fmac_f32_e32 v95, v43, v40
	s_delay_alu instid0(VALU_DEP_1)
	v_pk_add_f32 v[38:39], v[38:39], v[94:95]
.LBB68_582:                             ;   in Loop: Header=BB68_3 Depth=1
	s_or_b32 exec_lo, exec_lo, s23
	s_delay_alu instid0(VALU_DEP_1)
	v_pk_add_f32 v[38:39], v[38:39], 0 neg_lo:[1,1] neg_hi:[1,1]
.LBB68_583:                             ;   in Loop: Header=BB68_3 Depth=1
	s_or_b32 exec_lo, exec_lo, s62
	s_and_saveexec_b32 s23, s99
; %bb.584:                              ;   in Loop: Header=BB68_3 Depth=1
	ds_store_b64 v63, v[38:39]
; %bb.585:                              ;   in Loop: Header=BB68_3 Depth=1
	s_or_b32 exec_lo, exec_lo, s23
	s_wait_dscnt 0x0
	s_barrier_signal -1
	s_barrier_wait -1
	s_and_saveexec_b32 s23, s100
	s_cbranch_execz .LBB68_587
; %bb.586:                              ;   in Loop: Header=BB68_3 Depth=1
	ds_load_b64 v[40:41], v60 offset:18720
	ds_load_b64 v[42:43], v63
	s_wait_dscnt 0x0
	v_pk_mul_f32 v[94:95], v[42:43], v[40:41] op_sel:[1,1] op_sel_hi:[0,1]
	s_delay_alu instid0(VALU_DEP_1) | instskip(SKIP_1) | instid1(VALU_DEP_2)
	v_pk_fma_f32 v[96:97], v[42:43], v[40:41], v[94:95] op_sel_hi:[1,0,1]
	v_pk_fma_f32 v[40:41], v[42:43], v[40:41], v[94:95] neg_lo:[0,0,1] neg_hi:[0,0,1]
	v_mov_b32_e32 v41, v97
	s_delay_alu instid0(VALU_DEP_1)
	v_pk_add_f32 v[38:39], v[38:39], v[40:41]
.LBB68_587:                             ;   in Loop: Header=BB68_3 Depth=1
	s_or_b32 exec_lo, exec_lo, s23
	s_barrier_signal -1
	s_barrier_wait -1
	s_and_saveexec_b32 s23, s101
; %bb.588:                              ;   in Loop: Header=BB68_3 Depth=1
	ds_store_b64 v63, v[38:39]
; %bb.589:                              ;   in Loop: Header=BB68_3 Depth=1
	s_or_b32 exec_lo, exec_lo, s23
	s_wait_dscnt 0x0
	s_barrier_signal -1
	s_barrier_wait -1
	s_and_saveexec_b32 s23, s102
	s_cbranch_execz .LBB68_591
; %bb.590:                              ;   in Loop: Header=BB68_3 Depth=1
	ds_load_b64 v[40:41], v60 offset:19232
	ds_load_b64 v[42:43], v63
	s_wait_dscnt 0x0
	v_pk_mul_f32 v[94:95], v[42:43], v[40:41] op_sel:[1,1] op_sel_hi:[0,1]
	s_delay_alu instid0(VALU_DEP_1) | instskip(SKIP_1) | instid1(VALU_DEP_2)
	v_pk_fma_f32 v[96:97], v[42:43], v[40:41], v[94:95] op_sel_hi:[1,0,1]
	v_pk_fma_f32 v[40:41], v[42:43], v[40:41], v[94:95] neg_lo:[0,0,1] neg_hi:[0,0,1]
	v_mov_b32_e32 v41, v97
	s_delay_alu instid0(VALU_DEP_1)
	v_pk_add_f32 v[38:39], v[38:39], v[40:41]
.LBB68_591:                             ;   in Loop: Header=BB68_3 Depth=1
	s_or_b32 exec_lo, exec_lo, s23
	s_barrier_signal -1
	s_barrier_wait -1
	s_and_saveexec_b32 s23, s103
; %bb.592:                              ;   in Loop: Header=BB68_3 Depth=1
	ds_store_b64 v63, v[38:39]
; %bb.593:                              ;   in Loop: Header=BB68_3 Depth=1
	s_or_b32 exec_lo, exec_lo, s23
	s_wait_dscnt 0x0
	s_barrier_signal -1
	s_barrier_wait -1
	s_and_saveexec_b32 s23, s104
	s_cbranch_execz .LBB68_595
; %bb.594:                              ;   in Loop: Header=BB68_3 Depth=1
	ds_load_b64 v[40:41], v5 offset:19768
	ds_load_b64 v[42:43], v63
	s_wait_dscnt 0x0
	v_pk_mul_f32 v[94:95], v[42:43], v[40:41] op_sel:[1,1] op_sel_hi:[0,1]
	s_delay_alu instid0(VALU_DEP_1) | instskip(SKIP_1) | instid1(VALU_DEP_2)
	v_pk_fma_f32 v[96:97], v[42:43], v[40:41], v[94:95] op_sel_hi:[1,0,1]
	v_pk_fma_f32 v[40:41], v[42:43], v[40:41], v[94:95] neg_lo:[0,0,1] neg_hi:[0,0,1]
	v_mov_b32_e32 v41, v97
	s_delay_alu instid0(VALU_DEP_1)
	v_pk_add_f32 v[38:39], v[38:39], v[40:41]
.LBB68_595:                             ;   in Loop: Header=BB68_3 Depth=1
	s_or_b32 exec_lo, exec_lo, s23
	s_barrier_signal -1
	s_barrier_wait -1
	s_and_saveexec_b32 s23, s104
; %bb.596:                              ;   in Loop: Header=BB68_3 Depth=1
	ds_store_b64 v63, v[38:39]
; %bb.597:                              ;   in Loop: Header=BB68_3 Depth=1
	s_or_b32 exec_lo, exec_lo, s23
	s_wait_dscnt 0x0
	s_barrier_signal -1
	s_barrier_wait -1
	s_barrier_signal -1
	s_barrier_wait -1
	s_and_saveexec_b32 s23, s4
; %bb.598:                              ;   in Loop: Header=BB68_3 Depth=1
	v_pk_add_f32 v[38:39], v[38:39], 0 neg_lo:[1,1] neg_hi:[1,1]
	ds_store_b64 v65, v[38:39] offset:16672
; %bb.599:                              ;   in Loop: Header=BB68_3 Depth=1
	s_or_b32 exec_lo, exec_lo, s23
	s_wait_dscnt 0x0
	s_barrier_signal -1
	s_barrier_wait -1
	s_barrier_signal -1
	s_barrier_wait -1
	s_and_saveexec_b32 s23, vcc_hi
	s_cbranch_execz .LBB68_601
; %bb.600:                              ;   in Loop: Header=BB68_3 Depth=1
	ds_load_b64 v[38:39], v45 offset:16672
	s_wait_dscnt 0x0
	ds_store_b64 v46, v[38:39] offset:18688
	ds_load_b64 v[38:39], v45 offset:16680
	s_wait_dscnt 0x0
	ds_store_b64 v46, v[38:39] offset:19200
	;; [unrolled: 3-line block ×4, first 2 shown]
.LBB68_601:                             ;   in Loop: Header=BB68_3 Depth=1
	s_or_b32 exec_lo, exec_lo, s23
	s_wait_dscnt 0x0
	s_barrier_signal -1
	s_barrier_wait -1
	s_and_saveexec_b32 s23, s10
	s_cbranch_execz .LBB68_603
; %bb.602:                              ;   in Loop: Header=BB68_3 Depth=1
	ds_load_b64 v[38:39], v5 offset:18728
	v_add_nc_u32_e64 v3, 0x120, 0
	ds_store_b64 v5, v[34:35] offset:19240
	s_wait_dscnt 0x1
	ds_store_2addr_stride64_b64 v3, v[34:35], v[38:39] offset0:36 offset1:37
.LBB68_603:                             ;   in Loop: Header=BB68_3 Depth=1
	s_or_b32 exec_lo, exec_lo, s23
	v_mov_b64_e32 v[38:39], 0
	s_wait_dscnt 0x0
	s_barrier_signal -1
	s_barrier_wait -1
	s_and_saveexec_b32 s23, s2
	s_cbranch_execz .LBB68_607
; %bb.604:                              ;   in Loop: Header=BB68_3 Depth=1
	ds_load_b64 v[38:39], v61 offset:18736
	ds_load_b64 v[40:41], v62 offset:18720
	s_wait_dscnt 0x0
	v_pk_mul_f32 v[42:43], v[40:41], v[38:39] op_sel:[1,1] op_sel_hi:[0,1]
	s_delay_alu instid0(VALU_DEP_1) | instskip(SKIP_1) | instid1(VALU_DEP_2)
	v_pk_fma_f32 v[94:95], v[40:41], v[38:39], v[42:43] op_sel_hi:[1,0,1]
	v_pk_fma_f32 v[38:39], v[40:41], v[38:39], v[42:43] neg_lo:[0,0,1] neg_hi:[0,0,1]
	v_mov_b32_e32 v39, v95
	s_delay_alu instid0(VALU_DEP_1)
	v_pk_add_f32 v[38:39], v[38:39], 0 op_sel_hi:[1,0]
	s_and_saveexec_b32 s25, s11
	s_cbranch_execz .LBB68_606
; %bb.605:                              ;   in Loop: Header=BB68_3 Depth=1
	ds_load_b64 v[40:41], v46 offset:19248
	ds_load_b64 v[42:43], v5 offset:18728
	s_wait_dscnt 0x0
	v_pk_mul_f32 v[94:95], v[42:43], v[40:41] op_sel:[1,1] op_sel_hi:[0,1]
	s_delay_alu instid0(VALU_DEP_1) | instskip(SKIP_1) | instid1(VALU_DEP_2)
	v_pk_fma_f32 v[96:97], v[42:43], v[40:41], v[94:95] op_sel_hi:[1,0,1]
	v_pk_fma_f32 v[40:41], v[42:43], v[40:41], v[94:95] neg_lo:[0,0,1] neg_hi:[0,0,1]
	v_mov_b32_e32 v41, v97
	s_delay_alu instid0(VALU_DEP_1)
	v_pk_add_f32 v[38:39], v[38:39], v[40:41]
.LBB68_606:                             ;   in Loop: Header=BB68_3 Depth=1
	s_or_b32 exec_lo, exec_lo, s25
	s_delay_alu instid0(VALU_DEP_1)
	v_pk_add_f32 v[38:39], v[38:39], 0 neg_lo:[1,1] neg_hi:[1,1]
.LBB68_607:                             ;   in Loop: Header=BB68_3 Depth=1
	s_or_b32 exec_lo, exec_lo, s23
	s_and_saveexec_b32 s23, s96
; %bb.608:                              ;   in Loop: Header=BB68_3 Depth=1
	ds_store_b64 v53, v[38:39]
; %bb.609:                              ;   in Loop: Header=BB68_3 Depth=1
	s_or_b32 exec_lo, exec_lo, s23
	s_wait_dscnt 0x0
	s_barrier_signal -1
	s_barrier_wait -1
	s_and_saveexec_b32 s23, s97
	s_cbranch_execz .LBB68_611
; %bb.610:                              ;   in Loop: Header=BB68_3 Depth=1
	ds_load_b64 v[40:41], v5 offset:19768
	ds_load_b64 v[42:43], v53
	s_wait_dscnt 0x0
	v_pk_mul_f32 v[94:95], v[42:43], v[40:41] op_sel:[1,1] op_sel_hi:[0,1]
	s_delay_alu instid0(VALU_DEP_1) | instskip(SKIP_1) | instid1(VALU_DEP_2)
	v_pk_fma_f32 v[96:97], v[42:43], v[40:41], v[94:95] op_sel_hi:[1,0,1]
	v_pk_fma_f32 v[40:41], v[42:43], v[40:41], v[94:95] neg_lo:[0,0,1] neg_hi:[0,0,1]
	v_mov_b32_e32 v41, v97
	s_delay_alu instid0(VALU_DEP_1)
	v_pk_add_f32 v[38:39], v[38:39], v[40:41]
.LBB68_611:                             ;   in Loop: Header=BB68_3 Depth=1
	s_or_b32 exec_lo, exec_lo, s23
	s_barrier_signal -1
	s_barrier_wait -1
	s_and_saveexec_b32 s23, s97
; %bb.612:                              ;   in Loop: Header=BB68_3 Depth=1
	ds_store_b64 v53, v[38:39]
; %bb.613:                              ;   in Loop: Header=BB68_3 Depth=1
	s_or_b32 exec_lo, exec_lo, s23
	s_wait_dscnt 0x0
	s_barrier_signal -1
	s_barrier_wait -1
	s_barrier_signal -1
	s_barrier_wait -1
	s_and_saveexec_b32 s23, s2
; %bb.614:                              ;   in Loop: Header=BB68_3 Depth=1
	v_pk_add_f32 v[38:39], v[38:39], 0 neg_lo:[1,1] neg_hi:[1,1]
	ds_store_b64 v61, v[38:39] offset:18736
; %bb.615:                              ;   in Loop: Header=BB68_3 Depth=1
	s_or_b32 exec_lo, exec_lo, s23
	s_wait_dscnt 0x0
	s_barrier_signal -1
	s_barrier_wait -1
	s_barrier_signal -1
	s_barrier_wait -1
	s_and_saveexec_b32 s23, s98
	s_cbranch_execz .LBB68_617
; %bb.616:                              ;   in Loop: Header=BB68_3 Depth=1
	ds_load_b64 v[38:39], v47 offset:18736
	s_wait_dscnt 0x0
	ds_store_b64 v46, v[38:39] offset:19744
	ds_load_b64 v[38:39], v47 offset:18744
	s_wait_dscnt 0x0
	ds_store_b64 v46, v[38:39] offset:20256
.LBB68_617:                             ;   in Loop: Header=BB68_3 Depth=1
	s_or_b32 exec_lo, exec_lo, s23
	s_wait_dscnt 0x0
	s_barrier_signal -1
	s_barrier_wait -1
	s_and_saveexec_b32 s23, s10
	s_cbranch_execz .LBB68_619
; %bb.618:                              ;   in Loop: Header=BB68_3 Depth=1
	ds_load_b64 v[38:39], v5 offset:19768
	v_add_nc_u32_e64 v3, 0x130, 0
	ds_store_b64 v5, v[34:35] offset:20280
	s_wait_dscnt 0x1
	ds_store_2addr_stride64_b64 v3, v[34:35], v[38:39] offset0:38 offset1:39
.LBB68_619:                             ;   in Loop: Header=BB68_3 Depth=1
	s_or_b32 exec_lo, exec_lo, s23
	v_mov_b64_e32 v[38:39], 0
	s_wait_dscnt 0x0
	s_barrier_signal -1
	s_barrier_wait -1
	s_and_saveexec_b32 s62, s5
	s_cbranch_execz .LBB68_629
; %bb.620:                              ;   in Loop: Header=BB68_3 Depth=1
	ds_load_b64 v[38:39], v69 offset:16704
	ds_load_b64 v[40:41], v55 offset:16640
	s_wait_dscnt 0x0
	v_dual_mul_f32 v3, v41, v39 :: v_dual_mul_f32 v39, v40, v39
	s_delay_alu instid0(VALU_DEP_1) | instskip(NEXT) | instid1(VALU_DEP_1)
	v_fmac_f32_e32 v39, v41, v38
	v_dual_fma_f32 v3, v40, v38, -v3 :: v_dual_add_f32 v39, 0, v39
	s_delay_alu instid0(VALU_DEP_1)
	v_add_f32_e32 v38, 0, v3
	s_and_saveexec_b32 s23, s14
	s_cbranch_execnz .LBB68_1090
; %bb.621:                              ;   in Loop: Header=BB68_3 Depth=1
	s_or_b32 exec_lo, exec_lo, s23
	s_and_saveexec_b32 s23, s15
	s_cbranch_execnz .LBB68_1091
.LBB68_622:                             ;   in Loop: Header=BB68_3 Depth=1
	s_or_b32 exec_lo, exec_lo, s23
	s_and_saveexec_b32 s23, s16
	s_cbranch_execnz .LBB68_1092
.LBB68_623:                             ;   in Loop: Header=BB68_3 Depth=1
	s_or_b32 exec_lo, exec_lo, s23
	s_and_saveexec_b32 s23, s17
	s_cbranch_execnz .LBB68_1093
.LBB68_624:                             ;   in Loop: Header=BB68_3 Depth=1
	s_or_b32 exec_lo, exec_lo, s23
	s_and_saveexec_b32 s23, s18
	s_cbranch_execnz .LBB68_1094
.LBB68_625:                             ;   in Loop: Header=BB68_3 Depth=1
	s_or_b32 exec_lo, exec_lo, s23
	s_and_saveexec_b32 s23, s4
	s_cbranch_execnz .LBB68_1095
.LBB68_626:                             ;   in Loop: Header=BB68_3 Depth=1
	s_or_b32 exec_lo, exec_lo, s23
	s_and_saveexec_b32 s23, s13
	s_cbranch_execz .LBB68_628
.LBB68_627:                             ;   in Loop: Header=BB68_3 Depth=1
	ds_load_b64 v[40:41], v7 offset:20288
	ds_load_b64 v[42:43], v5 offset:16696
	s_wait_dscnt 0x0
	v_pk_mul_f32 v[94:95], v[42:43], v[40:41] op_sel:[1,1] op_sel_hi:[0,1]
	s_delay_alu instid0(VALU_DEP_1) | instskip(SKIP_1) | instid1(VALU_DEP_2)
	v_pk_fma_f32 v[96:97], v[42:43], v[40:41], v[94:95] op_sel_hi:[1,0,1]
	v_pk_fma_f32 v[40:41], v[42:43], v[40:41], v[94:95] neg_lo:[0,0,1] neg_hi:[0,0,1]
	v_mov_b32_e32 v41, v97
	s_delay_alu instid0(VALU_DEP_1)
	v_pk_add_f32 v[38:39], v[38:39], v[40:41]
.LBB68_628:                             ;   in Loop: Header=BB68_3 Depth=1
	s_or_b32 exec_lo, exec_lo, s23
	s_delay_alu instid0(VALU_DEP_1)
	v_pk_add_f32 v[38:39], v[38:39], 0 neg_lo:[1,1] neg_hi:[1,1]
.LBB68_629:                             ;   in Loop: Header=BB68_3 Depth=1
	s_or_b32 exec_lo, exec_lo, s62
	s_and_saveexec_b32 s23, s39
; %bb.630:                              ;   in Loop: Header=BB68_3 Depth=1
	ds_store_b64 v68, v[38:39]
; %bb.631:                              ;   in Loop: Header=BB68_3 Depth=1
	s_or_b32 exec_lo, exec_lo, s23
	s_wait_dscnt 0x0
	s_barrier_signal -1
	s_barrier_wait -1
	s_and_saveexec_b32 s23, s40
	s_cbranch_execz .LBB68_633
; %bb.632:                              ;   in Loop: Header=BB68_3 Depth=1
	ds_load_b64 v[40:41], v64 offset:20800
	ds_load_b64 v[42:43], v68
	s_wait_dscnt 0x0
	v_pk_mul_f32 v[94:95], v[42:43], v[40:41] op_sel:[1,1] op_sel_hi:[0,1]
	s_delay_alu instid0(VALU_DEP_1) | instskip(SKIP_1) | instid1(VALU_DEP_2)
	v_pk_fma_f32 v[96:97], v[42:43], v[40:41], v[94:95] op_sel_hi:[1,0,1]
	v_pk_fma_f32 v[40:41], v[42:43], v[40:41], v[94:95] neg_lo:[0,0,1] neg_hi:[0,0,1]
	v_mov_b32_e32 v41, v97
	s_delay_alu instid0(VALU_DEP_1)
	v_pk_add_f32 v[38:39], v[38:39], v[40:41]
.LBB68_633:                             ;   in Loop: Header=BB68_3 Depth=1
	s_or_b32 exec_lo, exec_lo, s23
	s_barrier_signal -1
	s_barrier_wait -1
	s_and_saveexec_b32 s23, s41
; %bb.634:                              ;   in Loop: Header=BB68_3 Depth=1
	ds_store_b64 v68, v[38:39]
; %bb.635:                              ;   in Loop: Header=BB68_3 Depth=1
	s_or_b32 exec_lo, exec_lo, s23
	s_wait_dscnt 0x0
	s_barrier_signal -1
	s_barrier_wait -1
	s_and_saveexec_b32 s23, s42
	s_cbranch_execz .LBB68_637
; %bb.636:                              ;   in Loop: Header=BB68_3 Depth=1
	ds_load_b64 v[40:41], v64 offset:21312
	ds_load_b64 v[42:43], v68
	s_wait_dscnt 0x0
	v_dual_mul_f32 v3, v43, v41 :: v_dual_mul_f32 v41, v42, v41
	s_delay_alu instid0(VALU_DEP_1) | instskip(NEXT) | instid1(VALU_DEP_1)
	v_dual_fma_f32 v3, v42, v40, -v3 :: v_dual_fmac_f32 v41, v43, v40
	v_dual_add_f32 v38, v38, v3 :: v_dual_add_f32 v39, v39, v41
.LBB68_637:                             ;   in Loop: Header=BB68_3 Depth=1
	s_or_b32 exec_lo, exec_lo, s23
	s_barrier_signal -1
	s_barrier_wait -1
	s_and_saveexec_b32 s23, s43
; %bb.638:                              ;   in Loop: Header=BB68_3 Depth=1
	ds_store_b64 v68, v[38:39]
; %bb.639:                              ;   in Loop: Header=BB68_3 Depth=1
	s_or_b32 exec_lo, exec_lo, s23
	s_wait_dscnt 0x0
	s_barrier_signal -1
	s_barrier_wait -1
	s_and_saveexec_b32 s23, s44
	s_cbranch_execz .LBB68_641
; %bb.640:                              ;   in Loop: Header=BB68_3 Depth=1
	ds_load_b64 v[40:41], v64 offset:21824
	ds_load_b64 v[42:43], v68
	s_wait_dscnt 0x0
	v_dual_mul_f32 v3, v43, v41 :: v_dual_mul_f32 v95, v42, v41
	s_delay_alu instid0(VALU_DEP_1) | instskip(NEXT) | instid1(VALU_DEP_2)
	v_fma_f32 v94, v42, v40, -v3
	v_fmac_f32_e32 v95, v43, v40
	s_delay_alu instid0(VALU_DEP_1)
	v_pk_add_f32 v[38:39], v[38:39], v[94:95]
.LBB68_641:                             ;   in Loop: Header=BB68_3 Depth=1
	s_or_b32 exec_lo, exec_lo, s23
	s_barrier_signal -1
	s_barrier_wait -1
	s_and_saveexec_b32 s23, s45
; %bb.642:                              ;   in Loop: Header=BB68_3 Depth=1
	ds_store_b64 v68, v[38:39]
; %bb.643:                              ;   in Loop: Header=BB68_3 Depth=1
	s_or_b32 exec_lo, exec_lo, s23
	s_wait_dscnt 0x0
	s_barrier_signal -1
	s_barrier_wait -1
	s_and_saveexec_b32 s23, s46
	s_cbranch_execz .LBB68_645
; %bb.644:                              ;   in Loop: Header=BB68_3 Depth=1
	ds_load_b64 v[40:41], v64 offset:22336
	ds_load_b64 v[42:43], v68
	s_wait_dscnt 0x0
	v_pk_mul_f32 v[94:95], v[42:43], v[40:41] op_sel:[1,1] op_sel_hi:[0,1]
	s_delay_alu instid0(VALU_DEP_1) | instskip(SKIP_1) | instid1(VALU_DEP_2)
	v_pk_fma_f32 v[96:97], v[42:43], v[40:41], v[94:95] op_sel_hi:[1,0,1]
	v_pk_fma_f32 v[40:41], v[42:43], v[40:41], v[94:95] neg_lo:[0,0,1] neg_hi:[0,0,1]
	v_mov_b32_e32 v41, v97
	s_delay_alu instid0(VALU_DEP_1)
	v_pk_add_f32 v[38:39], v[38:39], v[40:41]
.LBB68_645:                             ;   in Loop: Header=BB68_3 Depth=1
	s_or_b32 exec_lo, exec_lo, s23
	s_barrier_signal -1
	s_barrier_wait -1
	s_and_saveexec_b32 s23, s47
; %bb.646:                              ;   in Loop: Header=BB68_3 Depth=1
	ds_store_b64 v68, v[38:39]
; %bb.647:                              ;   in Loop: Header=BB68_3 Depth=1
	s_or_b32 exec_lo, exec_lo, s23
	s_wait_dscnt 0x0
	s_barrier_signal -1
	s_barrier_wait -1
	s_and_saveexec_b32 s23, s48
	s_cbranch_execz .LBB68_649
; %bb.648:                              ;   in Loop: Header=BB68_3 Depth=1
	ds_load_b64 v[40:41], v64 offset:22848
	ds_load_b64 v[42:43], v68
	s_wait_dscnt 0x0
	v_pk_mul_f32 v[94:95], v[42:43], v[40:41] op_sel:[1,1] op_sel_hi:[0,1]
	s_delay_alu instid0(VALU_DEP_1) | instskip(SKIP_1) | instid1(VALU_DEP_2)
	v_pk_fma_f32 v[96:97], v[42:43], v[40:41], v[94:95] op_sel_hi:[1,0,1]
	v_pk_fma_f32 v[40:41], v[42:43], v[40:41], v[94:95] neg_lo:[0,0,1] neg_hi:[0,0,1]
	v_mov_b32_e32 v41, v97
	s_delay_alu instid0(VALU_DEP_1)
	v_pk_add_f32 v[38:39], v[38:39], v[40:41]
.LBB68_649:                             ;   in Loop: Header=BB68_3 Depth=1
	;; [unrolled: 25-line block ×4, first 2 shown]
	s_or_b32 exec_lo, exec_lo, s23
	s_barrier_signal -1
	s_barrier_wait -1
	s_and_saveexec_b32 s23, s52
; %bb.658:                              ;   in Loop: Header=BB68_3 Depth=1
	ds_store_b64 v68, v[38:39]
; %bb.659:                              ;   in Loop: Header=BB68_3 Depth=1
	s_or_b32 exec_lo, exec_lo, s23
	s_wait_dscnt 0x0
	s_barrier_signal -1
	s_barrier_wait -1
	s_barrier_signal -1
	s_barrier_wait -1
	s_and_saveexec_b32 s23, s5
; %bb.660:                              ;   in Loop: Header=BB68_3 Depth=1
	v_pk_add_f32 v[38:39], v[38:39], 0 neg_lo:[1,1] neg_hi:[1,1]
	ds_store_b64 v69, v[38:39] offset:16704
; %bb.661:                              ;   in Loop: Header=BB68_3 Depth=1
	s_or_b32 exec_lo, exec_lo, s23
	s_wait_dscnt 0x0
	s_barrier_signal -1
	s_barrier_wait -1
	s_barrier_signal -1
	s_barrier_wait -1
	s_and_saveexec_b32 s23, s53
	s_cbranch_execz .LBB68_663
; %bb.662:                              ;   in Loop: Header=BB68_3 Depth=1
	ds_load_b64 v[38:39], v9 offset:16704
	s_wait_dscnt 0x0
	ds_store_b64 v44, v[38:39] offset:20736
	ds_load_b64 v[38:39], v9 offset:16712
	s_wait_dscnt 0x0
	ds_store_b64 v44, v[38:39] offset:21248
	;; [unrolled: 3-line block ×8, first 2 shown]
.LBB68_663:                             ;   in Loop: Header=BB68_3 Depth=1
	s_or_b32 exec_lo, exec_lo, s23
	s_wait_dscnt 0x0
	s_barrier_signal -1
	s_barrier_wait -1
	s_and_saveexec_b32 s23, s10
	s_cbranch_execz .LBB68_665
; %bb.664:                              ;   in Loop: Header=BB68_3 Depth=1
	ds_load_b64 v[38:39], v5 offset:20808
	v_add_nc_u32_e64 v3, 0x140, 0
	ds_store_b64 v5, v[34:35] offset:21320
	s_wait_dscnt 0x1
	ds_store_2addr_stride64_b64 v3, v[34:35], v[38:39] offset0:40 offset1:41
.LBB68_665:                             ;   in Loop: Header=BB68_3 Depth=1
	s_or_b32 exec_lo, exec_lo, s23
	v_mov_b64_e32 v[38:39], 0
	s_wait_dscnt 0x0
	s_barrier_signal -1
	s_barrier_wait -1
	s_and_saveexec_b32 s23, s2
	s_cbranch_execz .LBB68_669
; %bb.666:                              ;   in Loop: Header=BB68_3 Depth=1
	ds_load_b64 v[38:39], v61 offset:20816
	ds_load_b64 v[40:41], v62 offset:20800
	s_wait_dscnt 0x0
	v_pk_mul_f32 v[42:43], v[40:41], v[38:39] op_sel:[1,1] op_sel_hi:[0,1]
	s_delay_alu instid0(VALU_DEP_1) | instskip(SKIP_1) | instid1(VALU_DEP_2)
	v_pk_fma_f32 v[94:95], v[40:41], v[38:39], v[42:43] op_sel_hi:[1,0,1]
	v_pk_fma_f32 v[38:39], v[40:41], v[38:39], v[42:43] neg_lo:[0,0,1] neg_hi:[0,0,1]
	v_mov_b32_e32 v39, v95
	s_delay_alu instid0(VALU_DEP_1)
	v_pk_add_f32 v[38:39], v[38:39], 0 op_sel_hi:[1,0]
	s_and_saveexec_b32 s25, s11
	s_cbranch_execz .LBB68_668
; %bb.667:                              ;   in Loop: Header=BB68_3 Depth=1
	ds_load_b64 v[40:41], v44 offset:21328
	ds_load_b64 v[42:43], v5 offset:20808
	s_wait_dscnt 0x0
	v_pk_mul_f32 v[94:95], v[42:43], v[40:41] op_sel:[1,1] op_sel_hi:[0,1]
	s_delay_alu instid0(VALU_DEP_1) | instskip(SKIP_1) | instid1(VALU_DEP_2)
	v_pk_fma_f32 v[96:97], v[42:43], v[40:41], v[94:95] op_sel_hi:[1,0,1]
	v_pk_fma_f32 v[40:41], v[42:43], v[40:41], v[94:95] neg_lo:[0,0,1] neg_hi:[0,0,1]
	v_mov_b32_e32 v41, v97
	s_delay_alu instid0(VALU_DEP_1)
	v_pk_add_f32 v[38:39], v[38:39], v[40:41]
.LBB68_668:                             ;   in Loop: Header=BB68_3 Depth=1
	s_or_b32 exec_lo, exec_lo, s25
	s_delay_alu instid0(VALU_DEP_1)
	v_pk_add_f32 v[38:39], v[38:39], 0 neg_lo:[1,1] neg_hi:[1,1]
.LBB68_669:                             ;   in Loop: Header=BB68_3 Depth=1
	s_or_b32 exec_lo, exec_lo, s23
	s_and_saveexec_b32 s23, s96
; %bb.670:                              ;   in Loop: Header=BB68_3 Depth=1
	ds_store_b64 v53, v[38:39]
; %bb.671:                              ;   in Loop: Header=BB68_3 Depth=1
	s_or_b32 exec_lo, exec_lo, s23
	s_wait_dscnt 0x0
	s_barrier_signal -1
	s_barrier_wait -1
	s_and_saveexec_b32 s23, s97
	s_cbranch_execz .LBB68_673
; %bb.672:                              ;   in Loop: Header=BB68_3 Depth=1
	ds_load_b64 v[40:41], v5 offset:21848
	ds_load_b64 v[42:43], v53
	s_wait_dscnt 0x0
	v_pk_mul_f32 v[94:95], v[42:43], v[40:41] op_sel:[1,1] op_sel_hi:[0,1]
	s_delay_alu instid0(VALU_DEP_1) | instskip(SKIP_1) | instid1(VALU_DEP_2)
	v_pk_fma_f32 v[96:97], v[42:43], v[40:41], v[94:95] op_sel_hi:[1,0,1]
	v_pk_fma_f32 v[40:41], v[42:43], v[40:41], v[94:95] neg_lo:[0,0,1] neg_hi:[0,0,1]
	v_mov_b32_e32 v41, v97
	s_delay_alu instid0(VALU_DEP_1)
	v_pk_add_f32 v[38:39], v[38:39], v[40:41]
.LBB68_673:                             ;   in Loop: Header=BB68_3 Depth=1
	s_or_b32 exec_lo, exec_lo, s23
	s_barrier_signal -1
	s_barrier_wait -1
	s_and_saveexec_b32 s23, s97
; %bb.674:                              ;   in Loop: Header=BB68_3 Depth=1
	ds_store_b64 v53, v[38:39]
; %bb.675:                              ;   in Loop: Header=BB68_3 Depth=1
	s_or_b32 exec_lo, exec_lo, s23
	s_wait_dscnt 0x0
	s_barrier_signal -1
	s_barrier_wait -1
	s_barrier_signal -1
	s_barrier_wait -1
	s_and_saveexec_b32 s23, s2
; %bb.676:                              ;   in Loop: Header=BB68_3 Depth=1
	v_pk_add_f32 v[38:39], v[38:39], 0 neg_lo:[1,1] neg_hi:[1,1]
	ds_store_b64 v61, v[38:39] offset:20816
; %bb.677:                              ;   in Loop: Header=BB68_3 Depth=1
	s_or_b32 exec_lo, exec_lo, s23
	s_wait_dscnt 0x0
	s_barrier_signal -1
	s_barrier_wait -1
	s_barrier_signal -1
	s_barrier_wait -1
	s_and_saveexec_b32 s23, s98
	s_cbranch_execz .LBB68_679
; %bb.678:                              ;   in Loop: Header=BB68_3 Depth=1
	ds_load_b64 v[38:39], v45 offset:20816
	s_wait_dscnt 0x0
	ds_store_b64 v44, v[38:39] offset:21824
	ds_load_b64 v[38:39], v45 offset:20824
	s_wait_dscnt 0x0
	ds_store_b64 v44, v[38:39] offset:22336
.LBB68_679:                             ;   in Loop: Header=BB68_3 Depth=1
	s_or_b32 exec_lo, exec_lo, s23
	s_wait_dscnt 0x0
	s_barrier_signal -1
	s_barrier_wait -1
	s_and_saveexec_b32 s23, s10
	s_cbranch_execz .LBB68_681
; %bb.680:                              ;   in Loop: Header=BB68_3 Depth=1
	ds_load_b64 v[38:39], v5 offset:21848
	v_add_nc_u32_e64 v3, 0x150, 0
	ds_store_b64 v5, v[34:35] offset:22360
	s_wait_dscnt 0x1
	ds_store_2addr_stride64_b64 v3, v[34:35], v[38:39] offset0:42 offset1:43
.LBB68_681:                             ;   in Loop: Header=BB68_3 Depth=1
	s_or_b32 exec_lo, exec_lo, s23
	v_mov_b64_e32 v[38:39], 0
	s_wait_dscnt 0x0
	s_barrier_signal -1
	s_barrier_wait -1
	s_and_saveexec_b32 s62, s4
	s_cbranch_execz .LBB68_687
; %bb.682:                              ;   in Loop: Header=BB68_3 Depth=1
	ds_load_b64 v[38:39], v65 offset:20832
	ds_load_b64 v[40:41], v51 offset:20800
	s_wait_dscnt 0x0
	v_dual_mul_f32 v3, v41, v39 :: v_dual_mul_f32 v39, v40, v39
	s_delay_alu instid0(VALU_DEP_1) | instskip(NEXT) | instid1(VALU_DEP_1)
	v_fmac_f32_e32 v39, v41, v38
	v_dual_fma_f32 v3, v40, v38, -v3 :: v_dual_add_f32 v39, 0, v39
	s_delay_alu instid0(VALU_DEP_1)
	v_add_f32_e32 v38, 0, v3
	s_and_saveexec_b32 s23, s12
	s_cbranch_execnz .LBB68_1096
; %bb.683:                              ;   in Loop: Header=BB68_3 Depth=1
	s_or_b32 exec_lo, exec_lo, s23
	s_and_saveexec_b32 s23, s13
	s_cbranch_execnz .LBB68_1097
.LBB68_684:                             ;   in Loop: Header=BB68_3 Depth=1
	s_or_b32 exec_lo, exec_lo, s23
	s_and_saveexec_b32 s23, s2
	s_cbranch_execz .LBB68_686
.LBB68_685:                             ;   in Loop: Header=BB68_3 Depth=1
	ds_load_b64 v[40:41], v46 offset:22368
	ds_load_b64 v[42:43], v5 offset:20824
	s_wait_dscnt 0x0
	v_dual_mul_f32 v3, v43, v41 :: v_dual_mul_f32 v95, v42, v41
	s_delay_alu instid0(VALU_DEP_1) | instskip(NEXT) | instid1(VALU_DEP_2)
	v_fma_f32 v94, v42, v40, -v3
	v_fmac_f32_e32 v95, v43, v40
	s_delay_alu instid0(VALU_DEP_1)
	v_pk_add_f32 v[38:39], v[38:39], v[94:95]
.LBB68_686:                             ;   in Loop: Header=BB68_3 Depth=1
	s_or_b32 exec_lo, exec_lo, s23
	s_delay_alu instid0(VALU_DEP_1)
	v_pk_add_f32 v[38:39], v[38:39], 0 neg_lo:[1,1] neg_hi:[1,1]
.LBB68_687:                             ;   in Loop: Header=BB68_3 Depth=1
	s_or_b32 exec_lo, exec_lo, s62
	s_and_saveexec_b32 s23, s99
; %bb.688:                              ;   in Loop: Header=BB68_3 Depth=1
	ds_store_b64 v63, v[38:39]
; %bb.689:                              ;   in Loop: Header=BB68_3 Depth=1
	s_or_b32 exec_lo, exec_lo, s23
	s_wait_dscnt 0x0
	s_barrier_signal -1
	s_barrier_wait -1
	s_and_saveexec_b32 s23, s100
	s_cbranch_execz .LBB68_691
; %bb.690:                              ;   in Loop: Header=BB68_3 Depth=1
	ds_load_b64 v[40:41], v60 offset:22880
	ds_load_b64 v[42:43], v63
	s_wait_dscnt 0x0
	v_pk_mul_f32 v[94:95], v[42:43], v[40:41] op_sel:[1,1] op_sel_hi:[0,1]
	s_delay_alu instid0(VALU_DEP_1) | instskip(SKIP_1) | instid1(VALU_DEP_2)
	v_pk_fma_f32 v[96:97], v[42:43], v[40:41], v[94:95] op_sel_hi:[1,0,1]
	v_pk_fma_f32 v[40:41], v[42:43], v[40:41], v[94:95] neg_lo:[0,0,1] neg_hi:[0,0,1]
	v_mov_b32_e32 v41, v97
	s_delay_alu instid0(VALU_DEP_1)
	v_pk_add_f32 v[38:39], v[38:39], v[40:41]
.LBB68_691:                             ;   in Loop: Header=BB68_3 Depth=1
	s_or_b32 exec_lo, exec_lo, s23
	s_barrier_signal -1
	s_barrier_wait -1
	s_and_saveexec_b32 s23, s101
; %bb.692:                              ;   in Loop: Header=BB68_3 Depth=1
	ds_store_b64 v63, v[38:39]
; %bb.693:                              ;   in Loop: Header=BB68_3 Depth=1
	s_or_b32 exec_lo, exec_lo, s23
	s_wait_dscnt 0x0
	s_barrier_signal -1
	s_barrier_wait -1
	s_and_saveexec_b32 s23, s102
	s_cbranch_execz .LBB68_695
; %bb.694:                              ;   in Loop: Header=BB68_3 Depth=1
	ds_load_b64 v[40:41], v60 offset:23392
	ds_load_b64 v[42:43], v63
	s_wait_dscnt 0x0
	v_pk_mul_f32 v[94:95], v[42:43], v[40:41] op_sel:[1,1] op_sel_hi:[0,1]
	s_delay_alu instid0(VALU_DEP_1) | instskip(SKIP_1) | instid1(VALU_DEP_2)
	v_pk_fma_f32 v[96:97], v[42:43], v[40:41], v[94:95] op_sel_hi:[1,0,1]
	v_pk_fma_f32 v[40:41], v[42:43], v[40:41], v[94:95] neg_lo:[0,0,1] neg_hi:[0,0,1]
	v_mov_b32_e32 v41, v97
	s_delay_alu instid0(VALU_DEP_1)
	v_pk_add_f32 v[38:39], v[38:39], v[40:41]
.LBB68_695:                             ;   in Loop: Header=BB68_3 Depth=1
	s_or_b32 exec_lo, exec_lo, s23
	s_barrier_signal -1
	s_barrier_wait -1
	;; [unrolled: 25-line block ×3, first 2 shown]
	s_and_saveexec_b32 s23, s104
; %bb.700:                              ;   in Loop: Header=BB68_3 Depth=1
	ds_store_b64 v63, v[38:39]
; %bb.701:                              ;   in Loop: Header=BB68_3 Depth=1
	s_or_b32 exec_lo, exec_lo, s23
	s_wait_dscnt 0x0
	s_barrier_signal -1
	s_barrier_wait -1
	s_barrier_signal -1
	s_barrier_wait -1
	s_and_saveexec_b32 s23, s4
; %bb.702:                              ;   in Loop: Header=BB68_3 Depth=1
	v_pk_add_f32 v[38:39], v[38:39], 0 neg_lo:[1,1] neg_hi:[1,1]
	ds_store_b64 v65, v[38:39] offset:20832
; %bb.703:                              ;   in Loop: Header=BB68_3 Depth=1
	s_or_b32 exec_lo, exec_lo, s23
	s_wait_dscnt 0x0
	s_barrier_signal -1
	s_barrier_wait -1
	s_barrier_signal -1
	s_barrier_wait -1
	s_and_saveexec_b32 s23, vcc_hi
	s_cbranch_execz .LBB68_705
; %bb.704:                              ;   in Loop: Header=BB68_3 Depth=1
	ds_load_b64 v[38:39], v47 offset:20832
	s_wait_dscnt 0x0
	ds_store_b64 v48, v[38:39] offset:22848
	ds_load_b64 v[38:39], v47 offset:20840
	s_wait_dscnt 0x0
	ds_store_b64 v48, v[38:39] offset:23360
	;; [unrolled: 3-line block ×4, first 2 shown]
.LBB68_705:                             ;   in Loop: Header=BB68_3 Depth=1
	s_or_b32 exec_lo, exec_lo, s23
	s_wait_dscnt 0x0
	s_barrier_signal -1
	s_barrier_wait -1
	s_and_saveexec_b32 s23, s10
	s_cbranch_execz .LBB68_707
; %bb.706:                              ;   in Loop: Header=BB68_3 Depth=1
	ds_load_b64 v[38:39], v5 offset:22888
	v_add_nc_u32_e64 v3, 0x160, 0
	ds_store_b64 v5, v[34:35] offset:23400
	s_wait_dscnt 0x1
	ds_store_2addr_stride64_b64 v3, v[34:35], v[38:39] offset0:44 offset1:45
.LBB68_707:                             ;   in Loop: Header=BB68_3 Depth=1
	s_or_b32 exec_lo, exec_lo, s23
	v_mov_b64_e32 v[38:39], 0
	s_wait_dscnt 0x0
	s_barrier_signal -1
	s_barrier_wait -1
	s_and_saveexec_b32 s23, s2
	s_cbranch_execz .LBB68_711
; %bb.708:                              ;   in Loop: Header=BB68_3 Depth=1
	ds_load_b64 v[38:39], v61 offset:22896
	ds_load_b64 v[40:41], v62 offset:22880
	s_wait_dscnt 0x0
	v_pk_mul_f32 v[42:43], v[40:41], v[38:39] op_sel:[1,1] op_sel_hi:[0,1]
	s_delay_alu instid0(VALU_DEP_1) | instskip(SKIP_1) | instid1(VALU_DEP_2)
	v_pk_fma_f32 v[94:95], v[40:41], v[38:39], v[42:43] op_sel_hi:[1,0,1]
	v_pk_fma_f32 v[38:39], v[40:41], v[38:39], v[42:43] neg_lo:[0,0,1] neg_hi:[0,0,1]
	v_mov_b32_e32 v39, v95
	s_delay_alu instid0(VALU_DEP_1)
	v_pk_add_f32 v[38:39], v[38:39], 0 op_sel_hi:[1,0]
	s_and_saveexec_b32 s25, s11
	s_cbranch_execz .LBB68_710
; %bb.709:                              ;   in Loop: Header=BB68_3 Depth=1
	ds_load_b64 v[40:41], v48 offset:23408
	ds_load_b64 v[42:43], v5 offset:22888
	s_wait_dscnt 0x0
	v_pk_mul_f32 v[94:95], v[42:43], v[40:41] op_sel:[1,1] op_sel_hi:[0,1]
	s_delay_alu instid0(VALU_DEP_1) | instskip(SKIP_1) | instid1(VALU_DEP_2)
	v_pk_fma_f32 v[96:97], v[42:43], v[40:41], v[94:95] op_sel_hi:[1,0,1]
	v_pk_fma_f32 v[40:41], v[42:43], v[40:41], v[94:95] neg_lo:[0,0,1] neg_hi:[0,0,1]
	v_mov_b32_e32 v41, v97
	s_delay_alu instid0(VALU_DEP_1)
	v_pk_add_f32 v[38:39], v[38:39], v[40:41]
.LBB68_710:                             ;   in Loop: Header=BB68_3 Depth=1
	s_or_b32 exec_lo, exec_lo, s25
	s_delay_alu instid0(VALU_DEP_1)
	v_pk_add_f32 v[38:39], v[38:39], 0 neg_lo:[1,1] neg_hi:[1,1]
.LBB68_711:                             ;   in Loop: Header=BB68_3 Depth=1
	s_or_b32 exec_lo, exec_lo, s23
	s_and_saveexec_b32 s23, s96
; %bb.712:                              ;   in Loop: Header=BB68_3 Depth=1
	ds_store_b64 v53, v[38:39]
; %bb.713:                              ;   in Loop: Header=BB68_3 Depth=1
	s_or_b32 exec_lo, exec_lo, s23
	s_wait_dscnt 0x0
	s_barrier_signal -1
	s_barrier_wait -1
	s_and_saveexec_b32 s23, s97
	s_cbranch_execz .LBB68_715
; %bb.714:                              ;   in Loop: Header=BB68_3 Depth=1
	ds_load_b64 v[40:41], v5 offset:23928
	ds_load_b64 v[42:43], v53
	s_wait_dscnt 0x0
	v_pk_mul_f32 v[94:95], v[42:43], v[40:41] op_sel:[1,1] op_sel_hi:[0,1]
	s_delay_alu instid0(VALU_DEP_1) | instskip(SKIP_1) | instid1(VALU_DEP_2)
	v_pk_fma_f32 v[96:97], v[42:43], v[40:41], v[94:95] op_sel_hi:[1,0,1]
	v_pk_fma_f32 v[40:41], v[42:43], v[40:41], v[94:95] neg_lo:[0,0,1] neg_hi:[0,0,1]
	v_mov_b32_e32 v41, v97
	s_delay_alu instid0(VALU_DEP_1)
	v_pk_add_f32 v[38:39], v[38:39], v[40:41]
.LBB68_715:                             ;   in Loop: Header=BB68_3 Depth=1
	s_or_b32 exec_lo, exec_lo, s23
	s_barrier_signal -1
	s_barrier_wait -1
	s_and_saveexec_b32 s23, s97
; %bb.716:                              ;   in Loop: Header=BB68_3 Depth=1
	ds_store_b64 v53, v[38:39]
; %bb.717:                              ;   in Loop: Header=BB68_3 Depth=1
	s_or_b32 exec_lo, exec_lo, s23
	s_wait_dscnt 0x0
	s_barrier_signal -1
	s_barrier_wait -1
	s_barrier_signal -1
	s_barrier_wait -1
	s_and_saveexec_b32 s23, s2
; %bb.718:                              ;   in Loop: Header=BB68_3 Depth=1
	v_pk_add_f32 v[38:39], v[38:39], 0 neg_lo:[1,1] neg_hi:[1,1]
	ds_store_b64 v61, v[38:39] offset:22896
; %bb.719:                              ;   in Loop: Header=BB68_3 Depth=1
	s_or_b32 exec_lo, exec_lo, s23
	s_wait_dscnt 0x0
	s_barrier_signal -1
	s_barrier_wait -1
	s_barrier_signal -1
	s_barrier_wait -1
	s_and_saveexec_b32 s23, s98
	s_cbranch_execz .LBB68_721
; %bb.720:                              ;   in Loop: Header=BB68_3 Depth=1
	ds_load_b64 v[38:39], v49 offset:22896
	s_wait_dscnt 0x0
	ds_store_b64 v48, v[38:39] offset:23904
	ds_load_b64 v[38:39], v49 offset:22904
	s_wait_dscnt 0x0
	ds_store_b64 v48, v[38:39] offset:24416
.LBB68_721:                             ;   in Loop: Header=BB68_3 Depth=1
	s_or_b32 exec_lo, exec_lo, s23
	s_wait_dscnt 0x0
	s_barrier_signal -1
	s_barrier_wait -1
	s_and_saveexec_b32 s23, s10
	s_cbranch_execz .LBB68_723
; %bb.722:                              ;   in Loop: Header=BB68_3 Depth=1
	ds_load_b64 v[38:39], v5 offset:23928
	v_add_nc_u32_e64 v3, 0x170, 0
	ds_store_b64 v5, v[34:35] offset:24440
	s_wait_dscnt 0x1
	ds_store_2addr_stride64_b64 v3, v[34:35], v[38:39] offset0:46 offset1:47
.LBB68_723:                             ;   in Loop: Header=BB68_3 Depth=1
	s_or_b32 exec_lo, exec_lo, s23
	v_mov_b64_e32 v[38:39], 0
	s_wait_dscnt 0x0
	s_barrier_signal -1
	s_barrier_wait -1
	s_and_saveexec_b32 s62, s6
	s_cbranch_execz .LBB68_751
; %bb.724:                              ;   in Loop: Header=BB68_3 Depth=1
	ds_load_b64 v[38:39], v72 offset:16768
	ds_load_b64 v[40:41], v57 offset:16640
	s_wait_dscnt 0x0
	v_dual_mul_f32 v3, v41, v39 :: v_dual_mul_f32 v39, v40, v39
	s_delay_alu instid0(VALU_DEP_1) | instskip(NEXT) | instid1(VALU_DEP_1)
	v_fmac_f32_e32 v39, v41, v38
	v_dual_fma_f32 v3, v40, v38, -v3 :: v_dual_add_f32 v39, 0, v39
	s_delay_alu instid0(VALU_DEP_1) | instskip(SKIP_3) | instid1(SALU_CYCLE_1)
	v_add_f32_e32 v38, 0, v3
	s_mov_b32 s23, exec_lo
	v_readlane_b32 s25, v103, 25
	s_and_b32 s25, s23, s25
	s_mov_b32 exec_lo, s25
	s_cbranch_execz .LBB68_726
; %bb.725:                              ;   in Loop: Header=BB68_3 Depth=1
	ds_load_b64 v[40:41], v73 offset:17280
	ds_load_b64 v[42:43], v57 offset:16648
	s_wait_dscnt 0x0
	v_dual_mul_f32 v3, v43, v41 :: v_dual_mul_f32 v41, v42, v41
	s_delay_alu instid0(VALU_DEP_1) | instskip(NEXT) | instid1(VALU_DEP_1)
	v_dual_fma_f32 v3, v42, v40, -v3 :: v_dual_fmac_f32 v41, v43, v40
	v_dual_add_f32 v38, v38, v3 :: v_dual_add_f32 v39, v39, v41
.LBB68_726:                             ;   in Loop: Header=BB68_3 Depth=1
	s_or_b32 exec_lo, exec_lo, s23
	s_delay_alu instid0(SALU_CYCLE_1) | instskip(SKIP_2) | instid1(SALU_CYCLE_1)
	s_mov_b32 s23, exec_lo
	v_readlane_b32 s25, v103, 26
	s_and_b32 s25, s23, s25
	s_mov_b32 exec_lo, s25
	s_cbranch_execz .LBB68_728
; %bb.727:                              ;   in Loop: Header=BB68_3 Depth=1
	ds_load_b64 v[40:41], v73 offset:17792
	ds_load_b64 v[42:43], v57 offset:16656
	s_wait_dscnt 0x0
	v_dual_mul_f32 v3, v43, v41 :: v_dual_mul_f32 v41, v42, v41
	s_delay_alu instid0(VALU_DEP_1) | instskip(NEXT) | instid1(VALU_DEP_1)
	v_dual_fma_f32 v3, v42, v40, -v3 :: v_dual_fmac_f32 v41, v43, v40
	v_dual_add_f32 v38, v38, v3 :: v_dual_add_f32 v39, v39, v41
.LBB68_728:                             ;   in Loop: Header=BB68_3 Depth=1
	s_or_b32 exec_lo, exec_lo, s23
	s_delay_alu instid0(SALU_CYCLE_1) | instskip(SKIP_2) | instid1(SALU_CYCLE_1)
	;; [unrolled: 16-line block ×10, first 2 shown]
	s_mov_b32 s23, exec_lo
	v_readlane_b32 s25, v102, 3
	s_and_b32 s25, s23, s25
	s_mov_b32 exec_lo, s25
	s_cbranch_execnz .LBB68_1098
; %bb.745:                              ;   in Loop: Header=BB68_3 Depth=1
	s_or_b32 exec_lo, exec_lo, s23
	s_and_saveexec_b32 s23, s5
	s_cbranch_execnz .LBB68_1099
.LBB68_746:                             ;   in Loop: Header=BB68_3 Depth=1
	s_or_b32 exec_lo, exec_lo, s23
	s_and_saveexec_b32 s23, s15
	s_cbranch_execnz .LBB68_1100
.LBB68_747:                             ;   in Loop: Header=BB68_3 Depth=1
	s_or_b32 exec_lo, exec_lo, s23
	s_and_saveexec_b32 s23, s17
	s_cbranch_execnz .LBB68_1101
.LBB68_748:                             ;   in Loop: Header=BB68_3 Depth=1
	s_or_b32 exec_lo, exec_lo, s23
	s_and_saveexec_b32 s23, s4
	s_cbranch_execz .LBB68_750
.LBB68_749:                             ;   in Loop: Header=BB68_3 Depth=1
	ds_load_b64 v[40:41], v7 offset:24448
	ds_load_b64 v[42:43], v5 offset:16760
	s_wait_dscnt 0x0
	v_dual_mul_f32 v3, v43, v41 :: v_dual_mul_f32 v95, v42, v41
	s_delay_alu instid0(VALU_DEP_1) | instskip(NEXT) | instid1(VALU_DEP_2)
	v_fma_f32 v94, v42, v40, -v3
	v_fmac_f32_e32 v95, v43, v40
	s_delay_alu instid0(VALU_DEP_1)
	v_pk_add_f32 v[38:39], v[38:39], v[94:95]
.LBB68_750:                             ;   in Loop: Header=BB68_3 Depth=1
	s_or_b32 exec_lo, exec_lo, s23
	s_delay_alu instid0(VALU_DEP_1)
	v_pk_add_f32 v[38:39], v[38:39], 0 neg_lo:[1,1] neg_hi:[1,1]
.LBB68_751:                             ;   in Loop: Header=BB68_3 Depth=1
	s_or_b32 exec_lo, exec_lo, s62
	s_delay_alu instid0(SALU_CYCLE_1) | instskip(SKIP_2) | instid1(SALU_CYCLE_1)
	s_mov_b32 s23, exec_lo
	v_readlane_b32 s25, v103, 1
	s_and_b32 s25, s23, s25
	s_mov_b32 exec_lo, s25
; %bb.752:                              ;   in Loop: Header=BB68_3 Depth=1
	ds_store_b64 v71, v[38:39]
; %bb.753:                              ;   in Loop: Header=BB68_3 Depth=1
	s_or_b32 exec_lo, exec_lo, s23
	s_wait_dscnt 0x0
	s_barrier_signal -1
	s_barrier_wait -1
	s_mov_b32 s23, exec_lo
	v_readlane_b32 s25, v103, 2
	s_and_b32 s25, s23, s25
	s_delay_alu instid0(SALU_CYCLE_1)
	s_mov_b32 exec_lo, s25
	s_cbranch_execz .LBB68_755
; %bb.754:                              ;   in Loop: Header=BB68_3 Depth=1
	ds_load_b64 v[40:41], v67 offset:24960
	ds_load_b64 v[42:43], v71
	s_wait_dscnt 0x0
	v_pk_mul_f32 v[94:95], v[42:43], v[40:41] op_sel:[1,1] op_sel_hi:[0,1]
	s_delay_alu instid0(VALU_DEP_1) | instskip(SKIP_1) | instid1(VALU_DEP_2)
	v_pk_fma_f32 v[96:97], v[42:43], v[40:41], v[94:95] op_sel_hi:[1,0,1]
	v_pk_fma_f32 v[40:41], v[42:43], v[40:41], v[94:95] neg_lo:[0,0,1] neg_hi:[0,0,1]
	v_mov_b32_e32 v41, v97
	s_delay_alu instid0(VALU_DEP_1)
	v_pk_add_f32 v[38:39], v[38:39], v[40:41]
.LBB68_755:                             ;   in Loop: Header=BB68_3 Depth=1
	s_or_b32 exec_lo, exec_lo, s23
	s_barrier_signal -1
	s_barrier_wait -1
	s_mov_b32 s23, exec_lo
	v_readlane_b32 s25, v103, 3
	s_and_b32 s25, s23, s25
	s_delay_alu instid0(SALU_CYCLE_1)
	s_mov_b32 exec_lo, s25
; %bb.756:                              ;   in Loop: Header=BB68_3 Depth=1
	ds_store_b64 v71, v[38:39]
; %bb.757:                              ;   in Loop: Header=BB68_3 Depth=1
	s_or_b32 exec_lo, exec_lo, s23
	s_wait_dscnt 0x0
	s_barrier_signal -1
	s_barrier_wait -1
	s_mov_b32 s23, exec_lo
	v_readlane_b32 s25, v103, 4
	s_and_b32 s25, s23, s25
	s_delay_alu instid0(SALU_CYCLE_1)
	s_mov_b32 exec_lo, s25
	s_cbranch_execz .LBB68_759
; %bb.758:                              ;   in Loop: Header=BB68_3 Depth=1
	ds_load_b64 v[40:41], v67 offset:25472
	ds_load_b64 v[42:43], v71
	s_wait_dscnt 0x0
	v_pk_mul_f32 v[94:95], v[42:43], v[40:41] op_sel:[1,1] op_sel_hi:[0,1]
	s_delay_alu instid0(VALU_DEP_1) | instskip(SKIP_1) | instid1(VALU_DEP_2)
	v_pk_fma_f32 v[96:97], v[42:43], v[40:41], v[94:95] op_sel_hi:[1,0,1]
	v_pk_fma_f32 v[40:41], v[42:43], v[40:41], v[94:95] neg_lo:[0,0,1] neg_hi:[0,0,1]
	v_mov_b32_e32 v41, v97
	s_delay_alu instid0(VALU_DEP_1)
	v_pk_add_f32 v[38:39], v[38:39], v[40:41]
.LBB68_759:                             ;   in Loop: Header=BB68_3 Depth=1
	s_or_b32 exec_lo, exec_lo, s23
	s_barrier_signal -1
	s_barrier_wait -1
	s_mov_b32 s23, exec_lo
	v_readlane_b32 s25, v103, 5
	s_and_b32 s25, s23, s25
	s_delay_alu instid0(SALU_CYCLE_1)
	s_mov_b32 exec_lo, s25
; %bb.760:                              ;   in Loop: Header=BB68_3 Depth=1
	ds_store_b64 v71, v[38:39]
; %bb.761:                              ;   in Loop: Header=BB68_3 Depth=1
	s_or_b32 exec_lo, exec_lo, s23
	s_wait_dscnt 0x0
	s_barrier_signal -1
	s_barrier_wait -1
	s_mov_b32 s23, exec_lo
	v_readlane_b32 s25, v103, 6
	s_and_b32 s25, s23, s25
	s_delay_alu instid0(SALU_CYCLE_1)
	s_mov_b32 exec_lo, s25
	s_cbranch_execz .LBB68_763
; %bb.762:                              ;   in Loop: Header=BB68_3 Depth=1
	ds_load_b64 v[40:41], v67 offset:25984
	ds_load_b64 v[42:43], v71
	s_wait_dscnt 0x0
	v_pk_mul_f32 v[94:95], v[42:43], v[40:41] op_sel:[1,1] op_sel_hi:[0,1]
	s_delay_alu instid0(VALU_DEP_1) | instskip(SKIP_1) | instid1(VALU_DEP_2)
	v_pk_fma_f32 v[96:97], v[42:43], v[40:41], v[94:95] op_sel_hi:[1,0,1]
	v_pk_fma_f32 v[40:41], v[42:43], v[40:41], v[94:95] neg_lo:[0,0,1] neg_hi:[0,0,1]
	v_mov_b32_e32 v41, v97
	s_delay_alu instid0(VALU_DEP_1)
	v_pk_add_f32 v[38:39], v[38:39], v[40:41]
.LBB68_763:                             ;   in Loop: Header=BB68_3 Depth=1
	s_or_b32 exec_lo, exec_lo, s23
	s_barrier_signal -1
	s_barrier_wait -1
	s_mov_b32 s23, exec_lo
	v_readlane_b32 s25, v103, 7
	s_and_b32 s25, s23, s25
	s_delay_alu instid0(SALU_CYCLE_1)
	s_mov_b32 exec_lo, s25
; %bb.764:                              ;   in Loop: Header=BB68_3 Depth=1
	ds_store_b64 v71, v[38:39]
; %bb.765:                              ;   in Loop: Header=BB68_3 Depth=1
	s_or_b32 exec_lo, exec_lo, s23
	s_wait_dscnt 0x0
	s_barrier_signal -1
	s_barrier_wait -1
	s_mov_b32 s23, exec_lo
	v_readlane_b32 s25, v103, 8
	s_and_b32 s25, s23, s25
	s_delay_alu instid0(SALU_CYCLE_1)
	s_mov_b32 exec_lo, s25
	s_cbranch_execz .LBB68_767
; %bb.766:                              ;   in Loop: Header=BB68_3 Depth=1
	ds_load_b64 v[40:41], v67 offset:26496
	ds_load_b64 v[42:43], v71
	s_wait_dscnt 0x0
	v_dual_mul_f32 v3, v43, v41 :: v_dual_mul_f32 v41, v42, v41
	s_delay_alu instid0(VALU_DEP_1) | instskip(NEXT) | instid1(VALU_DEP_1)
	v_dual_fma_f32 v3, v42, v40, -v3 :: v_dual_fmac_f32 v41, v43, v40
	v_dual_add_f32 v38, v38, v3 :: v_dual_add_f32 v39, v39, v41
.LBB68_767:                             ;   in Loop: Header=BB68_3 Depth=1
	s_or_b32 exec_lo, exec_lo, s23
	s_barrier_signal -1
	s_barrier_wait -1
	s_mov_b32 s23, exec_lo
	v_readlane_b32 s25, v103, 9
	s_and_b32 s25, s23, s25
	s_delay_alu instid0(SALU_CYCLE_1)
	s_mov_b32 exec_lo, s25
; %bb.768:                              ;   in Loop: Header=BB68_3 Depth=1
	ds_store_b64 v71, v[38:39]
; %bb.769:                              ;   in Loop: Header=BB68_3 Depth=1
	s_or_b32 exec_lo, exec_lo, s23
	s_wait_dscnt 0x0
	s_barrier_signal -1
	s_barrier_wait -1
	s_mov_b32 s23, exec_lo
	v_readlane_b32 s25, v103, 10
	s_and_b32 s25, s23, s25
	s_delay_alu instid0(SALU_CYCLE_1)
	s_mov_b32 exec_lo, s25
	s_cbranch_execz .LBB68_771
; %bb.770:                              ;   in Loop: Header=BB68_3 Depth=1
	ds_load_b64 v[40:41], v67 offset:27008
	ds_load_b64 v[42:43], v71
	s_wait_dscnt 0x0
	v_dual_mul_f32 v3, v43, v41 :: v_dual_mul_f32 v95, v42, v41
	s_delay_alu instid0(VALU_DEP_1) | instskip(NEXT) | instid1(VALU_DEP_2)
	v_fma_f32 v94, v42, v40, -v3
	v_fmac_f32_e32 v95, v43, v40
	s_delay_alu instid0(VALU_DEP_1)
	v_pk_add_f32 v[38:39], v[38:39], v[94:95]
.LBB68_771:                             ;   in Loop: Header=BB68_3 Depth=1
	s_or_b32 exec_lo, exec_lo, s23
	s_barrier_signal -1
	s_barrier_wait -1
	s_mov_b32 s23, exec_lo
	v_readlane_b32 s25, v103, 11
	s_and_b32 s25, s23, s25
	s_delay_alu instid0(SALU_CYCLE_1)
	s_mov_b32 exec_lo, s25
; %bb.772:                              ;   in Loop: Header=BB68_3 Depth=1
	ds_store_b64 v71, v[38:39]
; %bb.773:                              ;   in Loop: Header=BB68_3 Depth=1
	s_or_b32 exec_lo, exec_lo, s23
	s_wait_dscnt 0x0
	s_barrier_signal -1
	s_barrier_wait -1
	s_and_saveexec_b32 s23, s35
	s_cbranch_execz .LBB68_775
; %bb.774:                              ;   in Loop: Header=BB68_3 Depth=1
	ds_load_b64 v[40:41], v67 offset:27520
	ds_load_b64 v[42:43], v71
	s_wait_dscnt 0x0
	v_pk_mul_f32 v[94:95], v[42:43], v[40:41] op_sel:[1,1] op_sel_hi:[0,1]
	s_delay_alu instid0(VALU_DEP_1) | instskip(SKIP_1) | instid1(VALU_DEP_2)
	v_pk_fma_f32 v[96:97], v[42:43], v[40:41], v[94:95] op_sel_hi:[1,0,1]
	v_pk_fma_f32 v[40:41], v[42:43], v[40:41], v[94:95] neg_lo:[0,0,1] neg_hi:[0,0,1]
	v_mov_b32_e32 v41, v97
	s_delay_alu instid0(VALU_DEP_1)
	v_pk_add_f32 v[38:39], v[38:39], v[40:41]
.LBB68_775:                             ;   in Loop: Header=BB68_3 Depth=1
	s_or_b32 exec_lo, exec_lo, s23
	s_barrier_signal -1
	s_barrier_wait -1
	s_and_saveexec_b32 s23, s36
; %bb.776:                              ;   in Loop: Header=BB68_3 Depth=1
	ds_store_b64 v71, v[38:39]
; %bb.777:                              ;   in Loop: Header=BB68_3 Depth=1
	s_or_b32 exec_lo, exec_lo, s23
	s_wait_dscnt 0x0
	s_barrier_signal -1
	s_barrier_wait -1
	s_and_saveexec_b32 s23, s37
	s_cbranch_execz .LBB68_779
; %bb.778:                              ;   in Loop: Header=BB68_3 Depth=1
	ds_load_b64 v[40:41], v67 offset:28032
	ds_load_b64 v[42:43], v71
	s_wait_dscnt 0x0
	v_pk_mul_f32 v[94:95], v[42:43], v[40:41] op_sel:[1,1] op_sel_hi:[0,1]
	s_delay_alu instid0(VALU_DEP_1) | instskip(SKIP_1) | instid1(VALU_DEP_2)
	v_pk_fma_f32 v[96:97], v[42:43], v[40:41], v[94:95] op_sel_hi:[1,0,1]
	v_pk_fma_f32 v[40:41], v[42:43], v[40:41], v[94:95] neg_lo:[0,0,1] neg_hi:[0,0,1]
	v_mov_b32_e32 v41, v97
	s_delay_alu instid0(VALU_DEP_1)
	v_pk_add_f32 v[38:39], v[38:39], v[40:41]
.LBB68_779:                             ;   in Loop: Header=BB68_3 Depth=1
	s_or_b32 exec_lo, exec_lo, s23
	s_barrier_signal -1
	s_barrier_wait -1
	s_and_saveexec_b32 s23, s38
; %bb.780:                              ;   in Loop: Header=BB68_3 Depth=1
	ds_store_b64 v71, v[38:39]
; %bb.781:                              ;   in Loop: Header=BB68_3 Depth=1
	s_or_b32 exec_lo, exec_lo, s23
	s_wait_dscnt 0x0
	s_barrier_signal -1
	s_barrier_wait -1
	s_and_saveexec_b32 s23, s82
	s_cbranch_execz .LBB68_783
; %bb.782:                              ;   in Loop: Header=BB68_3 Depth=1
	ds_load_b64 v[40:41], v67 offset:28544
	ds_load_b64 v[42:43], v71
	s_wait_dscnt 0x0
	v_pk_mul_f32 v[94:95], v[42:43], v[40:41] op_sel:[1,1] op_sel_hi:[0,1]
	s_delay_alu instid0(VALU_DEP_1) | instskip(SKIP_1) | instid1(VALU_DEP_2)
	v_pk_fma_f32 v[96:97], v[42:43], v[40:41], v[94:95] op_sel_hi:[1,0,1]
	v_pk_fma_f32 v[40:41], v[42:43], v[40:41], v[94:95] neg_lo:[0,0,1] neg_hi:[0,0,1]
	v_mov_b32_e32 v41, v97
	s_delay_alu instid0(VALU_DEP_1)
	v_pk_add_f32 v[38:39], v[38:39], v[40:41]
.LBB68_783:                             ;   in Loop: Header=BB68_3 Depth=1
	s_or_b32 exec_lo, exec_lo, s23
	s_barrier_signal -1
	s_barrier_wait -1
	s_and_saveexec_b32 s23, s83
; %bb.784:                              ;   in Loop: Header=BB68_3 Depth=1
	ds_store_b64 v71, v[38:39]
; %bb.785:                              ;   in Loop: Header=BB68_3 Depth=1
	s_or_b32 exec_lo, exec_lo, s23
	s_wait_dscnt 0x0
	s_barrier_signal -1
	s_barrier_wait -1
	s_and_saveexec_b32 s23, s80
	s_cbranch_execz .LBB68_787
; %bb.786:                              ;   in Loop: Header=BB68_3 Depth=1
	ds_load_b64 v[40:41], v67 offset:29056
	ds_load_b64 v[42:43], v71
	s_wait_dscnt 0x0
	v_pk_mul_f32 v[94:95], v[42:43], v[40:41] op_sel:[1,1] op_sel_hi:[0,1]
	s_delay_alu instid0(VALU_DEP_1) | instskip(SKIP_1) | instid1(VALU_DEP_2)
	v_pk_fma_f32 v[96:97], v[42:43], v[40:41], v[94:95] op_sel_hi:[1,0,1]
	v_pk_fma_f32 v[40:41], v[42:43], v[40:41], v[94:95] neg_lo:[0,0,1] neg_hi:[0,0,1]
	v_mov_b32_e32 v41, v97
	s_delay_alu instid0(VALU_DEP_1)
	v_pk_add_f32 v[38:39], v[38:39], v[40:41]
.LBB68_787:                             ;   in Loop: Header=BB68_3 Depth=1
	s_or_b32 exec_lo, exec_lo, s23
	s_barrier_signal -1
	s_barrier_wait -1
	s_and_saveexec_b32 s23, s81
; %bb.788:                              ;   in Loop: Header=BB68_3 Depth=1
	ds_store_b64 v71, v[38:39]
; %bb.789:                              ;   in Loop: Header=BB68_3 Depth=1
	s_or_b32 exec_lo, exec_lo, s23
	s_wait_dscnt 0x0
	s_barrier_signal -1
	s_barrier_wait -1
	s_and_saveexec_b32 s23, s34
	s_cbranch_execz .LBB68_791
; %bb.790:                              ;   in Loop: Header=BB68_3 Depth=1
	ds_load_b64 v[40:41], v67 offset:29568
	ds_load_b64 v[42:43], v71
	s_wait_dscnt 0x0
	v_dual_mul_f32 v3, v43, v41 :: v_dual_mul_f32 v41, v42, v41
	s_delay_alu instid0(VALU_DEP_1) | instskip(NEXT) | instid1(VALU_DEP_1)
	v_dual_fma_f32 v3, v42, v40, -v3 :: v_dual_fmac_f32 v41, v43, v40
	v_dual_add_f32 v38, v38, v3 :: v_dual_add_f32 v39, v39, v41
.LBB68_791:                             ;   in Loop: Header=BB68_3 Depth=1
	s_or_b32 exec_lo, exec_lo, s23
	s_barrier_signal -1
	s_barrier_wait -1
	s_and_saveexec_b32 s23, s20
; %bb.792:                              ;   in Loop: Header=BB68_3 Depth=1
	ds_store_b64 v71, v[38:39]
; %bb.793:                              ;   in Loop: Header=BB68_3 Depth=1
	s_or_b32 exec_lo, exec_lo, s23
	s_wait_dscnt 0x0
	s_barrier_signal -1
	s_barrier_wait -1
	s_and_saveexec_b32 s23, s22
	s_cbranch_execz .LBB68_795
; %bb.794:                              ;   in Loop: Header=BB68_3 Depth=1
	ds_load_b64 v[40:41], v67 offset:30080
	ds_load_b64 v[42:43], v71
	s_wait_dscnt 0x0
	v_dual_mul_f32 v3, v43, v41 :: v_dual_mul_f32 v95, v42, v41
	s_delay_alu instid0(VALU_DEP_1) | instskip(NEXT) | instid1(VALU_DEP_2)
	v_fma_f32 v94, v42, v40, -v3
	v_fmac_f32_e32 v95, v43, v40
	s_delay_alu instid0(VALU_DEP_1)
	v_pk_add_f32 v[38:39], v[38:39], v[94:95]
.LBB68_795:                             ;   in Loop: Header=BB68_3 Depth=1
	s_or_b32 exec_lo, exec_lo, s23
	s_barrier_signal -1
	s_barrier_wait -1
	s_and_saveexec_b32 s23, s24
; %bb.796:                              ;   in Loop: Header=BB68_3 Depth=1
	ds_store_b64 v71, v[38:39]
; %bb.797:                              ;   in Loop: Header=BB68_3 Depth=1
	s_or_b32 exec_lo, exec_lo, s23
	s_wait_dscnt 0x0
	s_barrier_signal -1
	s_barrier_wait -1
	s_and_saveexec_b32 s23, s26
	s_cbranch_execz .LBB68_799
; %bb.798:                              ;   in Loop: Header=BB68_3 Depth=1
	ds_load_b64 v[40:41], v67 offset:30592
	ds_load_b64 v[42:43], v71
	s_wait_dscnt 0x0
	v_pk_mul_f32 v[94:95], v[42:43], v[40:41] op_sel:[1,1] op_sel_hi:[0,1]
	s_delay_alu instid0(VALU_DEP_1) | instskip(SKIP_1) | instid1(VALU_DEP_2)
	v_pk_fma_f32 v[96:97], v[42:43], v[40:41], v[94:95] op_sel_hi:[1,0,1]
	v_pk_fma_f32 v[40:41], v[42:43], v[40:41], v[94:95] neg_lo:[0,0,1] neg_hi:[0,0,1]
	v_mov_b32_e32 v41, v97
	s_delay_alu instid0(VALU_DEP_1)
	v_pk_add_f32 v[38:39], v[38:39], v[40:41]
.LBB68_799:                             ;   in Loop: Header=BB68_3 Depth=1
	s_or_b32 exec_lo, exec_lo, s23
	s_barrier_signal -1
	s_barrier_wait -1
	s_and_saveexec_b32 s23, s19
; %bb.800:                              ;   in Loop: Header=BB68_3 Depth=1
	ds_store_b64 v71, v[38:39]
; %bb.801:                              ;   in Loop: Header=BB68_3 Depth=1
	s_or_b32 exec_lo, exec_lo, s23
	s_wait_dscnt 0x0
	s_barrier_signal -1
	s_barrier_wait -1
	s_and_saveexec_b32 s23, s28
	s_cbranch_execz .LBB68_803
; %bb.802:                              ;   in Loop: Header=BB68_3 Depth=1
	ds_load_b64 v[40:41], v67 offset:31104
	ds_load_b64 v[42:43], v71
	s_wait_dscnt 0x0
	v_pk_mul_f32 v[94:95], v[42:43], v[40:41] op_sel:[1,1] op_sel_hi:[0,1]
	s_delay_alu instid0(VALU_DEP_1) | instskip(SKIP_1) | instid1(VALU_DEP_2)
	v_pk_fma_f32 v[96:97], v[42:43], v[40:41], v[94:95] op_sel_hi:[1,0,1]
	v_pk_fma_f32 v[40:41], v[42:43], v[40:41], v[94:95] neg_lo:[0,0,1] neg_hi:[0,0,1]
	v_mov_b32_e32 v41, v97
	s_delay_alu instid0(VALU_DEP_1)
	v_pk_add_f32 v[38:39], v[38:39], v[40:41]
.LBB68_803:                             ;   in Loop: Header=BB68_3 Depth=1
	;; [unrolled: 25-line block ×4, first 2 shown]
	s_or_b32 exec_lo, exec_lo, s23
	s_barrier_signal -1
	s_barrier_wait -1
	s_and_saveexec_b32 s23, s56
; %bb.812:                              ;   in Loop: Header=BB68_3 Depth=1
	ds_store_b64 v71, v[38:39]
; %bb.813:                              ;   in Loop: Header=BB68_3 Depth=1
	s_or_b32 exec_lo, exec_lo, s23
	s_wait_dscnt 0x0
	s_barrier_signal -1
	s_barrier_wait -1
	s_barrier_signal -1
	s_barrier_wait -1
	s_and_saveexec_b32 s23, s6
; %bb.814:                              ;   in Loop: Header=BB68_3 Depth=1
	v_pk_add_f32 v[38:39], v[38:39], 0 neg_lo:[1,1] neg_hi:[1,1]
	ds_store_b64 v72, v[38:39] offset:16768
; %bb.815:                              ;   in Loop: Header=BB68_3 Depth=1
	s_or_b32 exec_lo, exec_lo, s23
	s_wait_dscnt 0x0
	s_barrier_signal -1
	s_barrier_wait -1
	s_barrier_signal -1
	s_barrier_wait -1
	s_and_saveexec_b32 s23, s58
	s_cbranch_execz .LBB68_817
; %bb.816:                              ;   in Loop: Header=BB68_3 Depth=1
	ds_load_b64 v[38:39], v9 offset:16768
	s_wait_dscnt 0x0
	ds_store_b64 v44, v[38:39] offset:24832
	ds_load_b64 v[38:39], v9 offset:16776
	s_wait_dscnt 0x0
	ds_store_b64 v44, v[38:39] offset:25344
	;; [unrolled: 3-line block ×16, first 2 shown]
.LBB68_817:                             ;   in Loop: Header=BB68_3 Depth=1
	s_or_b32 exec_lo, exec_lo, s23
	s_wait_dscnt 0x0
	s_barrier_signal -1
	s_barrier_wait -1
	s_and_saveexec_b32 s23, s10
	s_cbranch_execz .LBB68_819
; %bb.818:                              ;   in Loop: Header=BB68_3 Depth=1
	ds_load_b64 v[38:39], v5 offset:24968
	v_add_nc_u32_e64 v3, 0x180, 0
	ds_store_b64 v5, v[34:35] offset:25480
	s_wait_dscnt 0x1
	ds_store_2addr_stride64_b64 v3, v[34:35], v[38:39] offset0:48 offset1:49
.LBB68_819:                             ;   in Loop: Header=BB68_3 Depth=1
	s_or_b32 exec_lo, exec_lo, s23
	v_mov_b64_e32 v[38:39], 0
	s_wait_dscnt 0x0
	s_barrier_signal -1
	s_barrier_wait -1
	s_and_saveexec_b32 s23, s2
	s_cbranch_execz .LBB68_823
; %bb.820:                              ;   in Loop: Header=BB68_3 Depth=1
	ds_load_b64 v[38:39], v61 offset:24976
	ds_load_b64 v[40:41], v62 offset:24960
	s_wait_dscnt 0x0
	v_pk_mul_f32 v[42:43], v[40:41], v[38:39] op_sel:[1,1] op_sel_hi:[0,1]
	s_delay_alu instid0(VALU_DEP_1) | instskip(SKIP_1) | instid1(VALU_DEP_2)
	v_pk_fma_f32 v[94:95], v[40:41], v[38:39], v[42:43] op_sel_hi:[1,0,1]
	v_pk_fma_f32 v[38:39], v[40:41], v[38:39], v[42:43] neg_lo:[0,0,1] neg_hi:[0,0,1]
	v_mov_b32_e32 v39, v95
	s_delay_alu instid0(VALU_DEP_1)
	v_pk_add_f32 v[38:39], v[38:39], 0 op_sel_hi:[1,0]
	s_and_saveexec_b32 s25, s11
	s_cbranch_execz .LBB68_822
; %bb.821:                              ;   in Loop: Header=BB68_3 Depth=1
	ds_load_b64 v[40:41], v7 offset:25488
	ds_load_b64 v[42:43], v5 offset:24968
	s_wait_dscnt 0x0
	v_pk_mul_f32 v[94:95], v[42:43], v[40:41] op_sel:[1,1] op_sel_hi:[0,1]
	s_delay_alu instid0(VALU_DEP_1) | instskip(SKIP_1) | instid1(VALU_DEP_2)
	v_pk_fma_f32 v[96:97], v[42:43], v[40:41], v[94:95] op_sel_hi:[1,0,1]
	v_pk_fma_f32 v[40:41], v[42:43], v[40:41], v[94:95] neg_lo:[0,0,1] neg_hi:[0,0,1]
	v_mov_b32_e32 v41, v97
	s_delay_alu instid0(VALU_DEP_1)
	v_pk_add_f32 v[38:39], v[38:39], v[40:41]
.LBB68_822:                             ;   in Loop: Header=BB68_3 Depth=1
	s_or_b32 exec_lo, exec_lo, s25
	s_delay_alu instid0(VALU_DEP_1)
	v_pk_add_f32 v[38:39], v[38:39], 0 neg_lo:[1,1] neg_hi:[1,1]
.LBB68_823:                             ;   in Loop: Header=BB68_3 Depth=1
	s_or_b32 exec_lo, exec_lo, s23
	s_and_saveexec_b32 s23, s96
; %bb.824:                              ;   in Loop: Header=BB68_3 Depth=1
	ds_store_b64 v53, v[38:39]
; %bb.825:                              ;   in Loop: Header=BB68_3 Depth=1
	s_or_b32 exec_lo, exec_lo, s23
	s_wait_dscnt 0x0
	s_barrier_signal -1
	s_barrier_wait -1
	s_and_saveexec_b32 s23, s97
	s_cbranch_execz .LBB68_827
; %bb.826:                              ;   in Loop: Header=BB68_3 Depth=1
	ds_load_b64 v[40:41], v5 offset:26008
	ds_load_b64 v[42:43], v53
	s_wait_dscnt 0x0
	v_pk_mul_f32 v[94:95], v[42:43], v[40:41] op_sel:[1,1] op_sel_hi:[0,1]
	s_delay_alu instid0(VALU_DEP_1) | instskip(SKIP_1) | instid1(VALU_DEP_2)
	v_pk_fma_f32 v[96:97], v[42:43], v[40:41], v[94:95] op_sel_hi:[1,0,1]
	v_pk_fma_f32 v[40:41], v[42:43], v[40:41], v[94:95] neg_lo:[0,0,1] neg_hi:[0,0,1]
	v_mov_b32_e32 v41, v97
	s_delay_alu instid0(VALU_DEP_1)
	v_pk_add_f32 v[38:39], v[38:39], v[40:41]
.LBB68_827:                             ;   in Loop: Header=BB68_3 Depth=1
	s_or_b32 exec_lo, exec_lo, s23
	s_barrier_signal -1
	s_barrier_wait -1
	s_and_saveexec_b32 s23, s97
; %bb.828:                              ;   in Loop: Header=BB68_3 Depth=1
	ds_store_b64 v53, v[38:39]
; %bb.829:                              ;   in Loop: Header=BB68_3 Depth=1
	s_or_b32 exec_lo, exec_lo, s23
	s_wait_dscnt 0x0
	s_barrier_signal -1
	s_barrier_wait -1
	s_barrier_signal -1
	s_barrier_wait -1
	s_and_saveexec_b32 s23, s2
; %bb.830:                              ;   in Loop: Header=BB68_3 Depth=1
	v_pk_add_f32 v[38:39], v[38:39], 0 neg_lo:[1,1] neg_hi:[1,1]
	ds_store_b64 v61, v[38:39] offset:24976
; %bb.831:                              ;   in Loop: Header=BB68_3 Depth=1
	s_or_b32 exec_lo, exec_lo, s23
	s_wait_dscnt 0x0
	s_barrier_signal -1
	s_barrier_wait -1
	s_barrier_signal -1
	s_barrier_wait -1
	s_and_saveexec_b32 s23, s98
	s_cbranch_execz .LBB68_833
; %bb.832:                              ;   in Loop: Header=BB68_3 Depth=1
	ds_load_b64 v[38:39], v9 offset:24976
	s_wait_dscnt 0x0
	ds_store_b64 v7, v[38:39] offset:25984
	ds_load_b64 v[38:39], v9 offset:24984
	s_wait_dscnt 0x0
	ds_store_b64 v7, v[38:39] offset:26496
.LBB68_833:                             ;   in Loop: Header=BB68_3 Depth=1
	s_or_b32 exec_lo, exec_lo, s23
	s_wait_dscnt 0x0
	s_barrier_signal -1
	s_barrier_wait -1
	s_and_saveexec_b32 s23, s10
	s_cbranch_execz .LBB68_835
; %bb.834:                              ;   in Loop: Header=BB68_3 Depth=1
	ds_load_b64 v[38:39], v5 offset:26008
	v_add_nc_u32_e64 v3, 0x190, 0
	ds_store_b64 v5, v[34:35] offset:26520
	s_wait_dscnt 0x1
	ds_store_2addr_stride64_b64 v3, v[34:35], v[38:39] offset0:50 offset1:51
.LBB68_835:                             ;   in Loop: Header=BB68_3 Depth=1
	s_or_b32 exec_lo, exec_lo, s23
	v_mov_b64_e32 v[38:39], 0
	s_wait_dscnt 0x0
	s_barrier_signal -1
	s_barrier_wait -1
	s_and_saveexec_b32 s62, s4
	s_cbranch_execz .LBB68_841
; %bb.836:                              ;   in Loop: Header=BB68_3 Depth=1
	ds_load_b64 v[38:39], v65 offset:24992
	ds_load_b64 v[40:41], v51 offset:24960
	s_wait_dscnt 0x0
	v_dual_mul_f32 v3, v41, v39 :: v_dual_mul_f32 v39, v40, v39
	s_delay_alu instid0(VALU_DEP_1) | instskip(NEXT) | instid1(VALU_DEP_1)
	v_fmac_f32_e32 v39, v41, v38
	v_dual_fma_f32 v3, v40, v38, -v3 :: v_dual_add_f32 v39, 0, v39
	s_delay_alu instid0(VALU_DEP_1)
	v_add_f32_e32 v38, 0, v3
	s_and_saveexec_b32 s23, s12
	s_cbranch_execnz .LBB68_1102
; %bb.837:                              ;   in Loop: Header=BB68_3 Depth=1
	s_or_b32 exec_lo, exec_lo, s23
	s_and_saveexec_b32 s23, s13
	s_cbranch_execnz .LBB68_1103
.LBB68_838:                             ;   in Loop: Header=BB68_3 Depth=1
	s_or_b32 exec_lo, exec_lo, s23
	s_and_saveexec_b32 s23, s2
	s_cbranch_execz .LBB68_840
.LBB68_839:                             ;   in Loop: Header=BB68_3 Depth=1
	ds_load_b64 v[40:41], v44 offset:26528
	ds_load_b64 v[42:43], v5 offset:24984
	s_wait_dscnt 0x0
	v_dual_mul_f32 v3, v43, v41 :: v_dual_mul_f32 v95, v42, v41
	s_delay_alu instid0(VALU_DEP_1) | instskip(NEXT) | instid1(VALU_DEP_2)
	v_fma_f32 v94, v42, v40, -v3
	v_fmac_f32_e32 v95, v43, v40
	s_delay_alu instid0(VALU_DEP_1)
	v_pk_add_f32 v[38:39], v[38:39], v[94:95]
.LBB68_840:                             ;   in Loop: Header=BB68_3 Depth=1
	s_or_b32 exec_lo, exec_lo, s23
	s_delay_alu instid0(VALU_DEP_1)
	v_pk_add_f32 v[38:39], v[38:39], 0 neg_lo:[1,1] neg_hi:[1,1]
.LBB68_841:                             ;   in Loop: Header=BB68_3 Depth=1
	s_or_b32 exec_lo, exec_lo, s62
	s_and_saveexec_b32 s23, s99
; %bb.842:                              ;   in Loop: Header=BB68_3 Depth=1
	ds_store_b64 v63, v[38:39]
; %bb.843:                              ;   in Loop: Header=BB68_3 Depth=1
	s_or_b32 exec_lo, exec_lo, s23
	s_wait_dscnt 0x0
	s_barrier_signal -1
	s_barrier_wait -1
	s_and_saveexec_b32 s23, s100
	s_cbranch_execz .LBB68_845
; %bb.844:                              ;   in Loop: Header=BB68_3 Depth=1
	ds_load_b64 v[40:41], v60 offset:27040
	ds_load_b64 v[42:43], v63
	s_wait_dscnt 0x0
	v_pk_mul_f32 v[94:95], v[42:43], v[40:41] op_sel:[1,1] op_sel_hi:[0,1]
	s_delay_alu instid0(VALU_DEP_1) | instskip(SKIP_1) | instid1(VALU_DEP_2)
	v_pk_fma_f32 v[96:97], v[42:43], v[40:41], v[94:95] op_sel_hi:[1,0,1]
	v_pk_fma_f32 v[40:41], v[42:43], v[40:41], v[94:95] neg_lo:[0,0,1] neg_hi:[0,0,1]
	v_mov_b32_e32 v41, v97
	s_delay_alu instid0(VALU_DEP_1)
	v_pk_add_f32 v[38:39], v[38:39], v[40:41]
.LBB68_845:                             ;   in Loop: Header=BB68_3 Depth=1
	s_or_b32 exec_lo, exec_lo, s23
	s_barrier_signal -1
	s_barrier_wait -1
	s_and_saveexec_b32 s23, s101
; %bb.846:                              ;   in Loop: Header=BB68_3 Depth=1
	ds_store_b64 v63, v[38:39]
; %bb.847:                              ;   in Loop: Header=BB68_3 Depth=1
	s_or_b32 exec_lo, exec_lo, s23
	s_wait_dscnt 0x0
	s_barrier_signal -1
	s_barrier_wait -1
	s_and_saveexec_b32 s23, s102
	s_cbranch_execz .LBB68_849
; %bb.848:                              ;   in Loop: Header=BB68_3 Depth=1
	ds_load_b64 v[40:41], v60 offset:27552
	ds_load_b64 v[42:43], v63
	s_wait_dscnt 0x0
	v_pk_mul_f32 v[94:95], v[42:43], v[40:41] op_sel:[1,1] op_sel_hi:[0,1]
	s_delay_alu instid0(VALU_DEP_1) | instskip(SKIP_1) | instid1(VALU_DEP_2)
	v_pk_fma_f32 v[96:97], v[42:43], v[40:41], v[94:95] op_sel_hi:[1,0,1]
	v_pk_fma_f32 v[40:41], v[42:43], v[40:41], v[94:95] neg_lo:[0,0,1] neg_hi:[0,0,1]
	v_mov_b32_e32 v41, v97
	s_delay_alu instid0(VALU_DEP_1)
	v_pk_add_f32 v[38:39], v[38:39], v[40:41]
.LBB68_849:                             ;   in Loop: Header=BB68_3 Depth=1
	s_or_b32 exec_lo, exec_lo, s23
	s_barrier_signal -1
	s_barrier_wait -1
	;; [unrolled: 25-line block ×3, first 2 shown]
	s_and_saveexec_b32 s23, s104
; %bb.854:                              ;   in Loop: Header=BB68_3 Depth=1
	ds_store_b64 v63, v[38:39]
; %bb.855:                              ;   in Loop: Header=BB68_3 Depth=1
	s_or_b32 exec_lo, exec_lo, s23
	s_wait_dscnt 0x0
	s_barrier_signal -1
	s_barrier_wait -1
	s_barrier_signal -1
	s_barrier_wait -1
	s_and_saveexec_b32 s23, s4
; %bb.856:                              ;   in Loop: Header=BB68_3 Depth=1
	v_pk_add_f32 v[38:39], v[38:39], 0 neg_lo:[1,1] neg_hi:[1,1]
	ds_store_b64 v65, v[38:39] offset:24992
; %bb.857:                              ;   in Loop: Header=BB68_3 Depth=1
	s_or_b32 exec_lo, exec_lo, s23
	s_wait_dscnt 0x0
	s_barrier_signal -1
	s_barrier_wait -1
	s_barrier_signal -1
	s_barrier_wait -1
	s_and_saveexec_b32 s23, vcc_hi
	s_cbranch_execz .LBB68_859
; %bb.858:                              ;   in Loop: Header=BB68_3 Depth=1
	ds_load_b64 v[38:39], v45 offset:24992
	s_wait_dscnt 0x0
	ds_store_b64 v46, v[38:39] offset:27008
	ds_load_b64 v[38:39], v45 offset:25000
	s_wait_dscnt 0x0
	ds_store_b64 v46, v[38:39] offset:27520
	;; [unrolled: 3-line block ×4, first 2 shown]
.LBB68_859:                             ;   in Loop: Header=BB68_3 Depth=1
	s_or_b32 exec_lo, exec_lo, s23
	s_wait_dscnt 0x0
	s_barrier_signal -1
	s_barrier_wait -1
	s_and_saveexec_b32 s23, s10
	s_cbranch_execz .LBB68_861
; %bb.860:                              ;   in Loop: Header=BB68_3 Depth=1
	ds_load_b64 v[38:39], v5 offset:27048
	v_add_nc_u32_e64 v3, 0x1a0, 0
	ds_store_b64 v5, v[34:35] offset:27560
	s_wait_dscnt 0x1
	ds_store_2addr_stride64_b64 v3, v[34:35], v[38:39] offset0:52 offset1:53
.LBB68_861:                             ;   in Loop: Header=BB68_3 Depth=1
	s_or_b32 exec_lo, exec_lo, s23
	v_mov_b64_e32 v[38:39], 0
	s_wait_dscnt 0x0
	s_barrier_signal -1
	s_barrier_wait -1
	s_and_saveexec_b32 s23, s2
	s_cbranch_execz .LBB68_865
; %bb.862:                              ;   in Loop: Header=BB68_3 Depth=1
	ds_load_b64 v[38:39], v61 offset:27056
	ds_load_b64 v[40:41], v62 offset:27040
	s_wait_dscnt 0x0
	v_pk_mul_f32 v[42:43], v[40:41], v[38:39] op_sel:[1,1] op_sel_hi:[0,1]
	s_delay_alu instid0(VALU_DEP_1) | instskip(SKIP_1) | instid1(VALU_DEP_2)
	v_pk_fma_f32 v[94:95], v[40:41], v[38:39], v[42:43] op_sel_hi:[1,0,1]
	v_pk_fma_f32 v[38:39], v[40:41], v[38:39], v[42:43] neg_lo:[0,0,1] neg_hi:[0,0,1]
	v_mov_b32_e32 v39, v95
	s_delay_alu instid0(VALU_DEP_1)
	v_pk_add_f32 v[38:39], v[38:39], 0 op_sel_hi:[1,0]
	s_and_saveexec_b32 s25, s11
	s_cbranch_execz .LBB68_864
; %bb.863:                              ;   in Loop: Header=BB68_3 Depth=1
	ds_load_b64 v[40:41], v46 offset:27568
	ds_load_b64 v[42:43], v5 offset:27048
	s_wait_dscnt 0x0
	v_pk_mul_f32 v[94:95], v[42:43], v[40:41] op_sel:[1,1] op_sel_hi:[0,1]
	s_delay_alu instid0(VALU_DEP_1) | instskip(SKIP_1) | instid1(VALU_DEP_2)
	v_pk_fma_f32 v[96:97], v[42:43], v[40:41], v[94:95] op_sel_hi:[1,0,1]
	v_pk_fma_f32 v[40:41], v[42:43], v[40:41], v[94:95] neg_lo:[0,0,1] neg_hi:[0,0,1]
	v_mov_b32_e32 v41, v97
	s_delay_alu instid0(VALU_DEP_1)
	v_pk_add_f32 v[38:39], v[38:39], v[40:41]
.LBB68_864:                             ;   in Loop: Header=BB68_3 Depth=1
	s_or_b32 exec_lo, exec_lo, s25
	s_delay_alu instid0(VALU_DEP_1)
	v_pk_add_f32 v[38:39], v[38:39], 0 neg_lo:[1,1] neg_hi:[1,1]
.LBB68_865:                             ;   in Loop: Header=BB68_3 Depth=1
	s_or_b32 exec_lo, exec_lo, s23
	s_and_saveexec_b32 s23, s96
; %bb.866:                              ;   in Loop: Header=BB68_3 Depth=1
	ds_store_b64 v53, v[38:39]
; %bb.867:                              ;   in Loop: Header=BB68_3 Depth=1
	s_or_b32 exec_lo, exec_lo, s23
	s_wait_dscnt 0x0
	s_barrier_signal -1
	s_barrier_wait -1
	s_and_saveexec_b32 s23, s97
	s_cbranch_execz .LBB68_869
; %bb.868:                              ;   in Loop: Header=BB68_3 Depth=1
	ds_load_b64 v[40:41], v5 offset:28088
	ds_load_b64 v[42:43], v53
	s_wait_dscnt 0x0
	v_pk_mul_f32 v[94:95], v[42:43], v[40:41] op_sel:[1,1] op_sel_hi:[0,1]
	s_delay_alu instid0(VALU_DEP_1) | instskip(SKIP_1) | instid1(VALU_DEP_2)
	v_pk_fma_f32 v[96:97], v[42:43], v[40:41], v[94:95] op_sel_hi:[1,0,1]
	v_pk_fma_f32 v[40:41], v[42:43], v[40:41], v[94:95] neg_lo:[0,0,1] neg_hi:[0,0,1]
	v_mov_b32_e32 v41, v97
	s_delay_alu instid0(VALU_DEP_1)
	v_pk_add_f32 v[38:39], v[38:39], v[40:41]
.LBB68_869:                             ;   in Loop: Header=BB68_3 Depth=1
	s_or_b32 exec_lo, exec_lo, s23
	s_barrier_signal -1
	s_barrier_wait -1
	s_and_saveexec_b32 s23, s97
; %bb.870:                              ;   in Loop: Header=BB68_3 Depth=1
	ds_store_b64 v53, v[38:39]
; %bb.871:                              ;   in Loop: Header=BB68_3 Depth=1
	s_or_b32 exec_lo, exec_lo, s23
	s_wait_dscnt 0x0
	s_barrier_signal -1
	s_barrier_wait -1
	s_barrier_signal -1
	s_barrier_wait -1
	s_and_saveexec_b32 s23, s2
; %bb.872:                              ;   in Loop: Header=BB68_3 Depth=1
	v_pk_add_f32 v[38:39], v[38:39], 0 neg_lo:[1,1] neg_hi:[1,1]
	ds_store_b64 v61, v[38:39] offset:27056
; %bb.873:                              ;   in Loop: Header=BB68_3 Depth=1
	s_or_b32 exec_lo, exec_lo, s23
	s_wait_dscnt 0x0
	s_barrier_signal -1
	s_barrier_wait -1
	s_barrier_signal -1
	s_barrier_wait -1
	s_and_saveexec_b32 s23, s98
	s_cbranch_execz .LBB68_875
; %bb.874:                              ;   in Loop: Header=BB68_3 Depth=1
	ds_load_b64 v[38:39], v47 offset:27056
	s_wait_dscnt 0x0
	ds_store_b64 v46, v[38:39] offset:28064
	ds_load_b64 v[38:39], v47 offset:27064
	s_wait_dscnt 0x0
	ds_store_b64 v46, v[38:39] offset:28576
.LBB68_875:                             ;   in Loop: Header=BB68_3 Depth=1
	s_or_b32 exec_lo, exec_lo, s23
	s_wait_dscnt 0x0
	s_barrier_signal -1
	s_barrier_wait -1
	s_and_saveexec_b32 s23, s10
	s_cbranch_execz .LBB68_877
; %bb.876:                              ;   in Loop: Header=BB68_3 Depth=1
	ds_load_b64 v[38:39], v5 offset:28088
	v_add_nc_u32_e64 v3, 0x1b0, 0
	ds_store_b64 v5, v[34:35] offset:28600
	s_wait_dscnt 0x1
	ds_store_2addr_stride64_b64 v3, v[34:35], v[38:39] offset0:54 offset1:55
.LBB68_877:                             ;   in Loop: Header=BB68_3 Depth=1
	s_or_b32 exec_lo, exec_lo, s23
	v_mov_b64_e32 v[38:39], 0
	s_wait_dscnt 0x0
	s_barrier_signal -1
	s_barrier_wait -1
	s_and_saveexec_b32 s62, s5
	s_cbranch_execz .LBB68_887
; %bb.878:                              ;   in Loop: Header=BB68_3 Depth=1
	ds_load_b64 v[38:39], v69 offset:25024
	ds_load_b64 v[40:41], v55 offset:24960
	s_wait_dscnt 0x0
	v_dual_mul_f32 v3, v41, v39 :: v_dual_mul_f32 v39, v40, v39
	s_delay_alu instid0(VALU_DEP_1) | instskip(NEXT) | instid1(VALU_DEP_1)
	v_fmac_f32_e32 v39, v41, v38
	v_dual_fma_f32 v3, v40, v38, -v3 :: v_dual_add_f32 v39, 0, v39
	s_delay_alu instid0(VALU_DEP_1)
	v_add_f32_e32 v38, 0, v3
	s_and_saveexec_b32 s23, s14
	s_cbranch_execnz .LBB68_1104
; %bb.879:                              ;   in Loop: Header=BB68_3 Depth=1
	s_or_b32 exec_lo, exec_lo, s23
	s_and_saveexec_b32 s23, s15
	s_cbranch_execnz .LBB68_1105
.LBB68_880:                             ;   in Loop: Header=BB68_3 Depth=1
	s_or_b32 exec_lo, exec_lo, s23
	s_and_saveexec_b32 s23, s16
	s_cbranch_execnz .LBB68_1106
.LBB68_881:                             ;   in Loop: Header=BB68_3 Depth=1
	s_or_b32 exec_lo, exec_lo, s23
	s_and_saveexec_b32 s23, s17
	s_cbranch_execnz .LBB68_1107
.LBB68_882:                             ;   in Loop: Header=BB68_3 Depth=1
	s_or_b32 exec_lo, exec_lo, s23
	s_and_saveexec_b32 s23, s18
	s_cbranch_execnz .LBB68_1108
.LBB68_883:                             ;   in Loop: Header=BB68_3 Depth=1
	s_or_b32 exec_lo, exec_lo, s23
	s_and_saveexec_b32 s23, s4
	s_cbranch_execnz .LBB68_1109
.LBB68_884:                             ;   in Loop: Header=BB68_3 Depth=1
	s_or_b32 exec_lo, exec_lo, s23
	s_and_saveexec_b32 s23, s13
	s_cbranch_execz .LBB68_886
.LBB68_885:                             ;   in Loop: Header=BB68_3 Depth=1
	ds_load_b64 v[40:41], v7 offset:28608
	ds_load_b64 v[42:43], v5 offset:25016
	s_wait_dscnt 0x0
	v_pk_mul_f32 v[94:95], v[42:43], v[40:41] op_sel:[1,1] op_sel_hi:[0,1]
	s_delay_alu instid0(VALU_DEP_1) | instskip(SKIP_1) | instid1(VALU_DEP_2)
	v_pk_fma_f32 v[96:97], v[42:43], v[40:41], v[94:95] op_sel_hi:[1,0,1]
	v_pk_fma_f32 v[40:41], v[42:43], v[40:41], v[94:95] neg_lo:[0,0,1] neg_hi:[0,0,1]
	v_mov_b32_e32 v41, v97
	s_delay_alu instid0(VALU_DEP_1)
	v_pk_add_f32 v[38:39], v[38:39], v[40:41]
.LBB68_886:                             ;   in Loop: Header=BB68_3 Depth=1
	s_or_b32 exec_lo, exec_lo, s23
	s_delay_alu instid0(VALU_DEP_1)
	v_pk_add_f32 v[38:39], v[38:39], 0 neg_lo:[1,1] neg_hi:[1,1]
.LBB68_887:                             ;   in Loop: Header=BB68_3 Depth=1
	s_or_b32 exec_lo, exec_lo, s62
	s_and_saveexec_b32 s23, s39
; %bb.888:                              ;   in Loop: Header=BB68_3 Depth=1
	ds_store_b64 v68, v[38:39]
; %bb.889:                              ;   in Loop: Header=BB68_3 Depth=1
	s_or_b32 exec_lo, exec_lo, s23
	s_wait_dscnt 0x0
	s_barrier_signal -1
	s_barrier_wait -1
	s_and_saveexec_b32 s23, s40
	s_cbranch_execz .LBB68_891
; %bb.890:                              ;   in Loop: Header=BB68_3 Depth=1
	ds_load_b64 v[40:41], v64 offset:29120
	ds_load_b64 v[42:43], v68
	s_wait_dscnt 0x0
	v_pk_mul_f32 v[94:95], v[42:43], v[40:41] op_sel:[1,1] op_sel_hi:[0,1]
	s_delay_alu instid0(VALU_DEP_1) | instskip(SKIP_1) | instid1(VALU_DEP_2)
	v_pk_fma_f32 v[96:97], v[42:43], v[40:41], v[94:95] op_sel_hi:[1,0,1]
	v_pk_fma_f32 v[40:41], v[42:43], v[40:41], v[94:95] neg_lo:[0,0,1] neg_hi:[0,0,1]
	v_mov_b32_e32 v41, v97
	s_delay_alu instid0(VALU_DEP_1)
	v_pk_add_f32 v[38:39], v[38:39], v[40:41]
.LBB68_891:                             ;   in Loop: Header=BB68_3 Depth=1
	s_or_b32 exec_lo, exec_lo, s23
	s_barrier_signal -1
	s_barrier_wait -1
	s_and_saveexec_b32 s23, s41
; %bb.892:                              ;   in Loop: Header=BB68_3 Depth=1
	ds_store_b64 v68, v[38:39]
; %bb.893:                              ;   in Loop: Header=BB68_3 Depth=1
	s_or_b32 exec_lo, exec_lo, s23
	s_wait_dscnt 0x0
	s_barrier_signal -1
	s_barrier_wait -1
	s_and_saveexec_b32 s23, s42
	s_cbranch_execz .LBB68_895
; %bb.894:                              ;   in Loop: Header=BB68_3 Depth=1
	ds_load_b64 v[40:41], v64 offset:29632
	ds_load_b64 v[42:43], v68
	s_wait_dscnt 0x0
	v_dual_mul_f32 v3, v43, v41 :: v_dual_mul_f32 v41, v42, v41
	s_delay_alu instid0(VALU_DEP_1) | instskip(NEXT) | instid1(VALU_DEP_1)
	v_dual_fma_f32 v3, v42, v40, -v3 :: v_dual_fmac_f32 v41, v43, v40
	v_dual_add_f32 v38, v38, v3 :: v_dual_add_f32 v39, v39, v41
.LBB68_895:                             ;   in Loop: Header=BB68_3 Depth=1
	s_or_b32 exec_lo, exec_lo, s23
	s_barrier_signal -1
	s_barrier_wait -1
	s_and_saveexec_b32 s23, s43
; %bb.896:                              ;   in Loop: Header=BB68_3 Depth=1
	ds_store_b64 v68, v[38:39]
; %bb.897:                              ;   in Loop: Header=BB68_3 Depth=1
	s_or_b32 exec_lo, exec_lo, s23
	s_wait_dscnt 0x0
	s_barrier_signal -1
	s_barrier_wait -1
	s_and_saveexec_b32 s23, s44
	s_cbranch_execz .LBB68_899
; %bb.898:                              ;   in Loop: Header=BB68_3 Depth=1
	ds_load_b64 v[40:41], v64 offset:30144
	ds_load_b64 v[42:43], v68
	s_wait_dscnt 0x0
	v_dual_mul_f32 v3, v43, v41 :: v_dual_mul_f32 v95, v42, v41
	s_delay_alu instid0(VALU_DEP_1) | instskip(NEXT) | instid1(VALU_DEP_2)
	v_fma_f32 v94, v42, v40, -v3
	v_fmac_f32_e32 v95, v43, v40
	s_delay_alu instid0(VALU_DEP_1)
	v_pk_add_f32 v[38:39], v[38:39], v[94:95]
.LBB68_899:                             ;   in Loop: Header=BB68_3 Depth=1
	s_or_b32 exec_lo, exec_lo, s23
	s_barrier_signal -1
	s_barrier_wait -1
	s_and_saveexec_b32 s23, s45
; %bb.900:                              ;   in Loop: Header=BB68_3 Depth=1
	ds_store_b64 v68, v[38:39]
; %bb.901:                              ;   in Loop: Header=BB68_3 Depth=1
	s_or_b32 exec_lo, exec_lo, s23
	s_wait_dscnt 0x0
	s_barrier_signal -1
	s_barrier_wait -1
	s_and_saveexec_b32 s23, s46
	s_cbranch_execz .LBB68_903
; %bb.902:                              ;   in Loop: Header=BB68_3 Depth=1
	ds_load_b64 v[40:41], v64 offset:30656
	ds_load_b64 v[42:43], v68
	s_wait_dscnt 0x0
	v_pk_mul_f32 v[94:95], v[42:43], v[40:41] op_sel:[1,1] op_sel_hi:[0,1]
	s_delay_alu instid0(VALU_DEP_1) | instskip(SKIP_1) | instid1(VALU_DEP_2)
	v_pk_fma_f32 v[96:97], v[42:43], v[40:41], v[94:95] op_sel_hi:[1,0,1]
	v_pk_fma_f32 v[40:41], v[42:43], v[40:41], v[94:95] neg_lo:[0,0,1] neg_hi:[0,0,1]
	v_mov_b32_e32 v41, v97
	s_delay_alu instid0(VALU_DEP_1)
	v_pk_add_f32 v[38:39], v[38:39], v[40:41]
.LBB68_903:                             ;   in Loop: Header=BB68_3 Depth=1
	s_or_b32 exec_lo, exec_lo, s23
	s_barrier_signal -1
	s_barrier_wait -1
	s_and_saveexec_b32 s23, s47
; %bb.904:                              ;   in Loop: Header=BB68_3 Depth=1
	ds_store_b64 v68, v[38:39]
; %bb.905:                              ;   in Loop: Header=BB68_3 Depth=1
	s_or_b32 exec_lo, exec_lo, s23
	s_wait_dscnt 0x0
	s_barrier_signal -1
	s_barrier_wait -1
	s_and_saveexec_b32 s23, s48
	s_cbranch_execz .LBB68_907
; %bb.906:                              ;   in Loop: Header=BB68_3 Depth=1
	ds_load_b64 v[40:41], v64 offset:31168
	ds_load_b64 v[42:43], v68
	s_wait_dscnt 0x0
	v_pk_mul_f32 v[94:95], v[42:43], v[40:41] op_sel:[1,1] op_sel_hi:[0,1]
	s_delay_alu instid0(VALU_DEP_1) | instskip(SKIP_1) | instid1(VALU_DEP_2)
	v_pk_fma_f32 v[96:97], v[42:43], v[40:41], v[94:95] op_sel_hi:[1,0,1]
	v_pk_fma_f32 v[40:41], v[42:43], v[40:41], v[94:95] neg_lo:[0,0,1] neg_hi:[0,0,1]
	v_mov_b32_e32 v41, v97
	s_delay_alu instid0(VALU_DEP_1)
	v_pk_add_f32 v[38:39], v[38:39], v[40:41]
.LBB68_907:                             ;   in Loop: Header=BB68_3 Depth=1
	;; [unrolled: 25-line block ×4, first 2 shown]
	s_or_b32 exec_lo, exec_lo, s23
	s_barrier_signal -1
	s_barrier_wait -1
	s_and_saveexec_b32 s23, s52
; %bb.916:                              ;   in Loop: Header=BB68_3 Depth=1
	ds_store_b64 v68, v[38:39]
; %bb.917:                              ;   in Loop: Header=BB68_3 Depth=1
	s_or_b32 exec_lo, exec_lo, s23
	s_wait_dscnt 0x0
	s_barrier_signal -1
	s_barrier_wait -1
	s_barrier_signal -1
	s_barrier_wait -1
	s_and_saveexec_b32 s23, s5
; %bb.918:                              ;   in Loop: Header=BB68_3 Depth=1
	v_pk_add_f32 v[38:39], v[38:39], 0 neg_lo:[1,1] neg_hi:[1,1]
	ds_store_b64 v69, v[38:39] offset:25024
; %bb.919:                              ;   in Loop: Header=BB68_3 Depth=1
	s_or_b32 exec_lo, exec_lo, s23
	s_wait_dscnt 0x0
	s_barrier_signal -1
	s_barrier_wait -1
	s_barrier_signal -1
	s_barrier_wait -1
	s_and_saveexec_b32 s23, s53
	s_cbranch_execz .LBB68_921
; %bb.920:                              ;   in Loop: Header=BB68_3 Depth=1
	ds_load_b64 v[38:39], v9 offset:25024
	s_wait_dscnt 0x0
	ds_store_b64 v44, v[38:39] offset:29056
	ds_load_b64 v[38:39], v9 offset:25032
	s_wait_dscnt 0x0
	ds_store_b64 v44, v[38:39] offset:29568
	;; [unrolled: 3-line block ×8, first 2 shown]
.LBB68_921:                             ;   in Loop: Header=BB68_3 Depth=1
	s_or_b32 exec_lo, exec_lo, s23
	s_wait_dscnt 0x0
	s_barrier_signal -1
	s_barrier_wait -1
	s_and_saveexec_b32 s23, s10
	s_cbranch_execz .LBB68_923
; %bb.922:                              ;   in Loop: Header=BB68_3 Depth=1
	ds_load_b64 v[38:39], v5 offset:29128
	v_add_nc_u32_e64 v3, 0x1c0, 0
	ds_store_b64 v5, v[34:35] offset:29640
	s_wait_dscnt 0x1
	ds_store_2addr_stride64_b64 v3, v[34:35], v[38:39] offset0:56 offset1:57
.LBB68_923:                             ;   in Loop: Header=BB68_3 Depth=1
	s_or_b32 exec_lo, exec_lo, s23
	v_mov_b64_e32 v[38:39], 0
	s_wait_dscnt 0x0
	s_barrier_signal -1
	s_barrier_wait -1
	s_and_saveexec_b32 s23, s2
	s_cbranch_execz .LBB68_927
; %bb.924:                              ;   in Loop: Header=BB68_3 Depth=1
	ds_load_b64 v[38:39], v61 offset:29136
	ds_load_b64 v[40:41], v62 offset:29120
	s_wait_dscnt 0x0
	v_pk_mul_f32 v[42:43], v[40:41], v[38:39] op_sel:[1,1] op_sel_hi:[0,1]
	s_delay_alu instid0(VALU_DEP_1) | instskip(SKIP_1) | instid1(VALU_DEP_2)
	v_pk_fma_f32 v[94:95], v[40:41], v[38:39], v[42:43] op_sel_hi:[1,0,1]
	v_pk_fma_f32 v[38:39], v[40:41], v[38:39], v[42:43] neg_lo:[0,0,1] neg_hi:[0,0,1]
	v_mov_b32_e32 v39, v95
	s_delay_alu instid0(VALU_DEP_1)
	v_pk_add_f32 v[38:39], v[38:39], 0 op_sel_hi:[1,0]
	s_and_saveexec_b32 s25, s11
	s_cbranch_execz .LBB68_926
; %bb.925:                              ;   in Loop: Header=BB68_3 Depth=1
	ds_load_b64 v[40:41], v44 offset:29648
	ds_load_b64 v[42:43], v5 offset:29128
	s_wait_dscnt 0x0
	v_pk_mul_f32 v[94:95], v[42:43], v[40:41] op_sel:[1,1] op_sel_hi:[0,1]
	s_delay_alu instid0(VALU_DEP_1) | instskip(SKIP_1) | instid1(VALU_DEP_2)
	v_pk_fma_f32 v[96:97], v[42:43], v[40:41], v[94:95] op_sel_hi:[1,0,1]
	v_pk_fma_f32 v[40:41], v[42:43], v[40:41], v[94:95] neg_lo:[0,0,1] neg_hi:[0,0,1]
	v_mov_b32_e32 v41, v97
	s_delay_alu instid0(VALU_DEP_1)
	v_pk_add_f32 v[38:39], v[38:39], v[40:41]
.LBB68_926:                             ;   in Loop: Header=BB68_3 Depth=1
	s_or_b32 exec_lo, exec_lo, s25
	s_delay_alu instid0(VALU_DEP_1)
	v_pk_add_f32 v[38:39], v[38:39], 0 neg_lo:[1,1] neg_hi:[1,1]
.LBB68_927:                             ;   in Loop: Header=BB68_3 Depth=1
	s_or_b32 exec_lo, exec_lo, s23
	s_and_saveexec_b32 s23, s96
; %bb.928:                              ;   in Loop: Header=BB68_3 Depth=1
	ds_store_b64 v53, v[38:39]
; %bb.929:                              ;   in Loop: Header=BB68_3 Depth=1
	s_or_b32 exec_lo, exec_lo, s23
	s_wait_dscnt 0x0
	s_barrier_signal -1
	s_barrier_wait -1
	s_and_saveexec_b32 s23, s97
	s_cbranch_execz .LBB68_931
; %bb.930:                              ;   in Loop: Header=BB68_3 Depth=1
	ds_load_b64 v[40:41], v5 offset:30168
	ds_load_b64 v[42:43], v53
	s_wait_dscnt 0x0
	v_pk_mul_f32 v[94:95], v[42:43], v[40:41] op_sel:[1,1] op_sel_hi:[0,1]
	s_delay_alu instid0(VALU_DEP_1) | instskip(SKIP_1) | instid1(VALU_DEP_2)
	v_pk_fma_f32 v[96:97], v[42:43], v[40:41], v[94:95] op_sel_hi:[1,0,1]
	v_pk_fma_f32 v[40:41], v[42:43], v[40:41], v[94:95] neg_lo:[0,0,1] neg_hi:[0,0,1]
	v_mov_b32_e32 v41, v97
	s_delay_alu instid0(VALU_DEP_1)
	v_pk_add_f32 v[38:39], v[38:39], v[40:41]
.LBB68_931:                             ;   in Loop: Header=BB68_3 Depth=1
	s_or_b32 exec_lo, exec_lo, s23
	s_barrier_signal -1
	s_barrier_wait -1
	s_and_saveexec_b32 s23, s97
; %bb.932:                              ;   in Loop: Header=BB68_3 Depth=1
	ds_store_b64 v53, v[38:39]
; %bb.933:                              ;   in Loop: Header=BB68_3 Depth=1
	s_or_b32 exec_lo, exec_lo, s23
	s_wait_dscnt 0x0
	s_barrier_signal -1
	s_barrier_wait -1
	s_barrier_signal -1
	s_barrier_wait -1
	s_and_saveexec_b32 s23, s2
; %bb.934:                              ;   in Loop: Header=BB68_3 Depth=1
	v_pk_add_f32 v[38:39], v[38:39], 0 neg_lo:[1,1] neg_hi:[1,1]
	ds_store_b64 v61, v[38:39] offset:29136
; %bb.935:                              ;   in Loop: Header=BB68_3 Depth=1
	s_or_b32 exec_lo, exec_lo, s23
	s_wait_dscnt 0x0
	s_barrier_signal -1
	s_barrier_wait -1
	s_barrier_signal -1
	s_barrier_wait -1
	s_and_saveexec_b32 s23, s98
	s_cbranch_execz .LBB68_937
; %bb.936:                              ;   in Loop: Header=BB68_3 Depth=1
	ds_load_b64 v[38:39], v45 offset:29136
	s_wait_dscnt 0x0
	ds_store_b64 v44, v[38:39] offset:30144
	ds_load_b64 v[38:39], v45 offset:29144
	s_wait_dscnt 0x0
	ds_store_b64 v44, v[38:39] offset:30656
.LBB68_937:                             ;   in Loop: Header=BB68_3 Depth=1
	s_or_b32 exec_lo, exec_lo, s23
	s_wait_dscnt 0x0
	s_barrier_signal -1
	s_barrier_wait -1
	s_and_saveexec_b32 s23, s10
	s_cbranch_execz .LBB68_939
; %bb.938:                              ;   in Loop: Header=BB68_3 Depth=1
	ds_load_b64 v[38:39], v5 offset:30168
	v_add_nc_u32_e64 v3, 0x1d0, 0
	ds_store_b64 v5, v[34:35] offset:30680
	s_wait_dscnt 0x1
	ds_store_2addr_stride64_b64 v3, v[34:35], v[38:39] offset0:58 offset1:59
.LBB68_939:                             ;   in Loop: Header=BB68_3 Depth=1
	s_or_b32 exec_lo, exec_lo, s23
	v_mov_b64_e32 v[38:39], 0
	s_wait_dscnt 0x0
	s_barrier_signal -1
	s_barrier_wait -1
	s_and_saveexec_b32 s62, s4
	s_cbranch_execz .LBB68_945
; %bb.940:                              ;   in Loop: Header=BB68_3 Depth=1
	ds_load_b64 v[38:39], v65 offset:29152
	ds_load_b64 v[40:41], v51 offset:29120
	s_wait_dscnt 0x0
	v_dual_mul_f32 v3, v41, v39 :: v_dual_mul_f32 v39, v40, v39
	s_delay_alu instid0(VALU_DEP_1) | instskip(NEXT) | instid1(VALU_DEP_1)
	v_fmac_f32_e32 v39, v41, v38
	v_dual_fma_f32 v3, v40, v38, -v3 :: v_dual_add_f32 v39, 0, v39
	s_delay_alu instid0(VALU_DEP_1)
	v_add_f32_e32 v38, 0, v3
	s_and_saveexec_b32 s23, s12
	s_cbranch_execnz .LBB68_1110
; %bb.941:                              ;   in Loop: Header=BB68_3 Depth=1
	s_or_b32 exec_lo, exec_lo, s23
	s_and_saveexec_b32 s23, s13
	s_cbranch_execnz .LBB68_1111
.LBB68_942:                             ;   in Loop: Header=BB68_3 Depth=1
	s_or_b32 exec_lo, exec_lo, s23
	s_and_saveexec_b32 s23, s2
	s_cbranch_execz .LBB68_944
.LBB68_943:                             ;   in Loop: Header=BB68_3 Depth=1
	ds_load_b64 v[40:41], v46 offset:30688
	ds_load_b64 v[42:43], v5 offset:29144
	s_wait_dscnt 0x0
	v_dual_mul_f32 v3, v43, v41 :: v_dual_mul_f32 v95, v42, v41
	s_delay_alu instid0(VALU_DEP_1) | instskip(NEXT) | instid1(VALU_DEP_2)
	v_fma_f32 v94, v42, v40, -v3
	v_fmac_f32_e32 v95, v43, v40
	s_delay_alu instid0(VALU_DEP_1)
	v_pk_add_f32 v[38:39], v[38:39], v[94:95]
.LBB68_944:                             ;   in Loop: Header=BB68_3 Depth=1
	s_or_b32 exec_lo, exec_lo, s23
	s_delay_alu instid0(VALU_DEP_1)
	v_pk_add_f32 v[38:39], v[38:39], 0 neg_lo:[1,1] neg_hi:[1,1]
.LBB68_945:                             ;   in Loop: Header=BB68_3 Depth=1
	s_or_b32 exec_lo, exec_lo, s62
	s_and_saveexec_b32 s23, s99
; %bb.946:                              ;   in Loop: Header=BB68_3 Depth=1
	ds_store_b64 v63, v[38:39]
; %bb.947:                              ;   in Loop: Header=BB68_3 Depth=1
	s_or_b32 exec_lo, exec_lo, s23
	s_wait_dscnt 0x0
	s_barrier_signal -1
	s_barrier_wait -1
	s_and_saveexec_b32 s23, s100
	s_cbranch_execz .LBB68_949
; %bb.948:                              ;   in Loop: Header=BB68_3 Depth=1
	ds_load_b64 v[40:41], v60 offset:31200
	ds_load_b64 v[42:43], v63
	s_wait_dscnt 0x0
	v_pk_mul_f32 v[94:95], v[42:43], v[40:41] op_sel:[1,1] op_sel_hi:[0,1]
	s_delay_alu instid0(VALU_DEP_1) | instskip(SKIP_1) | instid1(VALU_DEP_2)
	v_pk_fma_f32 v[96:97], v[42:43], v[40:41], v[94:95] op_sel_hi:[1,0,1]
	v_pk_fma_f32 v[40:41], v[42:43], v[40:41], v[94:95] neg_lo:[0,0,1] neg_hi:[0,0,1]
	v_mov_b32_e32 v41, v97
	s_delay_alu instid0(VALU_DEP_1)
	v_pk_add_f32 v[38:39], v[38:39], v[40:41]
.LBB68_949:                             ;   in Loop: Header=BB68_3 Depth=1
	s_or_b32 exec_lo, exec_lo, s23
	s_barrier_signal -1
	s_barrier_wait -1
	s_and_saveexec_b32 s23, s101
; %bb.950:                              ;   in Loop: Header=BB68_3 Depth=1
	ds_store_b64 v63, v[38:39]
; %bb.951:                              ;   in Loop: Header=BB68_3 Depth=1
	s_or_b32 exec_lo, exec_lo, s23
	s_wait_dscnt 0x0
	s_barrier_signal -1
	s_barrier_wait -1
	s_and_saveexec_b32 s23, s102
	s_cbranch_execz .LBB68_953
; %bb.952:                              ;   in Loop: Header=BB68_3 Depth=1
	ds_load_b64 v[40:41], v60 offset:31712
	ds_load_b64 v[42:43], v63
	s_wait_dscnt 0x0
	v_pk_mul_f32 v[94:95], v[42:43], v[40:41] op_sel:[1,1] op_sel_hi:[0,1]
	s_delay_alu instid0(VALU_DEP_1) | instskip(SKIP_1) | instid1(VALU_DEP_2)
	v_pk_fma_f32 v[96:97], v[42:43], v[40:41], v[94:95] op_sel_hi:[1,0,1]
	v_pk_fma_f32 v[40:41], v[42:43], v[40:41], v[94:95] neg_lo:[0,0,1] neg_hi:[0,0,1]
	v_mov_b32_e32 v41, v97
	s_delay_alu instid0(VALU_DEP_1)
	v_pk_add_f32 v[38:39], v[38:39], v[40:41]
.LBB68_953:                             ;   in Loop: Header=BB68_3 Depth=1
	s_or_b32 exec_lo, exec_lo, s23
	s_barrier_signal -1
	s_barrier_wait -1
	;; [unrolled: 25-line block ×3, first 2 shown]
	s_and_saveexec_b32 s23, s104
; %bb.958:                              ;   in Loop: Header=BB68_3 Depth=1
	ds_store_b64 v63, v[38:39]
; %bb.959:                              ;   in Loop: Header=BB68_3 Depth=1
	s_or_b32 exec_lo, exec_lo, s23
	s_wait_dscnt 0x0
	s_barrier_signal -1
	s_barrier_wait -1
	s_barrier_signal -1
	s_barrier_wait -1
	s_and_saveexec_b32 s23, s4
; %bb.960:                              ;   in Loop: Header=BB68_3 Depth=1
	v_pk_add_f32 v[38:39], v[38:39], 0 neg_lo:[1,1] neg_hi:[1,1]
	ds_store_b64 v65, v[38:39] offset:29152
; %bb.961:                              ;   in Loop: Header=BB68_3 Depth=1
	s_or_b32 exec_lo, exec_lo, s23
	s_wait_dscnt 0x0
	s_barrier_signal -1
	s_barrier_wait -1
	s_barrier_signal -1
	s_barrier_wait -1
	s_and_saveexec_b32 s23, vcc_hi
	s_cbranch_execz .LBB68_963
; %bb.962:                              ;   in Loop: Header=BB68_3 Depth=1
	ds_load_b64 v[38:39], v47 offset:29152
	s_wait_dscnt 0x0
	ds_store_b64 v48, v[38:39] offset:31168
	ds_load_b64 v[38:39], v47 offset:29160
	s_wait_dscnt 0x0
	ds_store_b64 v48, v[38:39] offset:31680
	;; [unrolled: 3-line block ×4, first 2 shown]
.LBB68_963:                             ;   in Loop: Header=BB68_3 Depth=1
	s_or_b32 exec_lo, exec_lo, s23
	s_wait_dscnt 0x0
	s_barrier_signal -1
	s_barrier_wait -1
	s_and_saveexec_b32 s23, s10
	s_cbranch_execz .LBB68_965
; %bb.964:                              ;   in Loop: Header=BB68_3 Depth=1
	ds_load_b64 v[38:39], v5 offset:31208
	v_add_nc_u32_e64 v3, 0x1e0, 0
	ds_store_b64 v5, v[34:35] offset:31720
	s_wait_dscnt 0x1
	ds_store_2addr_stride64_b64 v3, v[34:35], v[38:39] offset0:60 offset1:61
.LBB68_965:                             ;   in Loop: Header=BB68_3 Depth=1
	s_or_b32 exec_lo, exec_lo, s23
	v_mov_b64_e32 v[38:39], 0
	s_wait_dscnt 0x0
	s_barrier_signal -1
	s_barrier_wait -1
	s_and_saveexec_b32 s23, s2
	s_cbranch_execz .LBB68_969
; %bb.966:                              ;   in Loop: Header=BB68_3 Depth=1
	ds_load_b64 v[38:39], v61 offset:31216
	ds_load_b64 v[40:41], v62 offset:31200
	s_wait_dscnt 0x0
	v_pk_mul_f32 v[42:43], v[40:41], v[38:39] op_sel:[1,1] op_sel_hi:[0,1]
	s_delay_alu instid0(VALU_DEP_1) | instskip(SKIP_1) | instid1(VALU_DEP_2)
	v_pk_fma_f32 v[94:95], v[40:41], v[38:39], v[42:43] op_sel_hi:[1,0,1]
	v_pk_fma_f32 v[38:39], v[40:41], v[38:39], v[42:43] neg_lo:[0,0,1] neg_hi:[0,0,1]
	v_mov_b32_e32 v39, v95
	s_delay_alu instid0(VALU_DEP_1)
	v_pk_add_f32 v[38:39], v[38:39], 0 op_sel_hi:[1,0]
	s_and_saveexec_b32 s25, s11
	s_cbranch_execz .LBB68_968
; %bb.967:                              ;   in Loop: Header=BB68_3 Depth=1
	ds_load_b64 v[40:41], v48 offset:31728
	ds_load_b64 v[42:43], v5 offset:31208
	s_wait_dscnt 0x0
	v_pk_mul_f32 v[94:95], v[42:43], v[40:41] op_sel:[1,1] op_sel_hi:[0,1]
	s_delay_alu instid0(VALU_DEP_1) | instskip(SKIP_1) | instid1(VALU_DEP_2)
	v_pk_fma_f32 v[96:97], v[42:43], v[40:41], v[94:95] op_sel_hi:[1,0,1]
	v_pk_fma_f32 v[40:41], v[42:43], v[40:41], v[94:95] neg_lo:[0,0,1] neg_hi:[0,0,1]
	v_mov_b32_e32 v41, v97
	s_delay_alu instid0(VALU_DEP_1)
	v_pk_add_f32 v[38:39], v[38:39], v[40:41]
.LBB68_968:                             ;   in Loop: Header=BB68_3 Depth=1
	s_or_b32 exec_lo, exec_lo, s25
	s_delay_alu instid0(VALU_DEP_1)
	v_pk_add_f32 v[38:39], v[38:39], 0 neg_lo:[1,1] neg_hi:[1,1]
.LBB68_969:                             ;   in Loop: Header=BB68_3 Depth=1
	s_or_b32 exec_lo, exec_lo, s23
	s_and_saveexec_b32 s23, s96
; %bb.970:                              ;   in Loop: Header=BB68_3 Depth=1
	ds_store_b64 v53, v[38:39]
; %bb.971:                              ;   in Loop: Header=BB68_3 Depth=1
	s_or_b32 exec_lo, exec_lo, s23
	s_wait_dscnt 0x0
	s_barrier_signal -1
	s_barrier_wait -1
	s_and_saveexec_b32 s23, s97
	s_cbranch_execz .LBB68_973
; %bb.972:                              ;   in Loop: Header=BB68_3 Depth=1
	ds_load_b64 v[40:41], v5 offset:32248
	ds_load_b64 v[42:43], v53
	s_wait_dscnt 0x0
	v_pk_mul_f32 v[94:95], v[42:43], v[40:41] op_sel:[1,1] op_sel_hi:[0,1]
	s_delay_alu instid0(VALU_DEP_1) | instskip(SKIP_1) | instid1(VALU_DEP_2)
	v_pk_fma_f32 v[96:97], v[42:43], v[40:41], v[94:95] op_sel_hi:[1,0,1]
	v_pk_fma_f32 v[40:41], v[42:43], v[40:41], v[94:95] neg_lo:[0,0,1] neg_hi:[0,0,1]
	v_mov_b32_e32 v41, v97
	s_delay_alu instid0(VALU_DEP_1)
	v_pk_add_f32 v[38:39], v[38:39], v[40:41]
.LBB68_973:                             ;   in Loop: Header=BB68_3 Depth=1
	s_or_b32 exec_lo, exec_lo, s23
	s_barrier_signal -1
	s_barrier_wait -1
	s_and_saveexec_b32 s23, s97
; %bb.974:                              ;   in Loop: Header=BB68_3 Depth=1
	ds_store_b64 v53, v[38:39]
; %bb.975:                              ;   in Loop: Header=BB68_3 Depth=1
	s_or_b32 exec_lo, exec_lo, s23
	s_wait_dscnt 0x0
	s_barrier_signal -1
	s_barrier_wait -1
	s_barrier_signal -1
	s_barrier_wait -1
	s_and_saveexec_b32 s23, s2
; %bb.976:                              ;   in Loop: Header=BB68_3 Depth=1
	v_pk_add_f32 v[38:39], v[38:39], 0 neg_lo:[1,1] neg_hi:[1,1]
	ds_store_b64 v61, v[38:39] offset:31216
; %bb.977:                              ;   in Loop: Header=BB68_3 Depth=1
	s_or_b32 exec_lo, exec_lo, s23
	s_wait_dscnt 0x0
	s_barrier_signal -1
	s_barrier_wait -1
	s_barrier_signal -1
	s_barrier_wait -1
	s_and_saveexec_b32 s23, s98
	s_cbranch_execz .LBB68_979
; %bb.978:                              ;   in Loop: Header=BB68_3 Depth=1
	ds_load_b64 v[38:39], v49 offset:31216
	s_wait_dscnt 0x0
	ds_store_b64 v48, v[38:39] offset:32224
	ds_load_b64 v[38:39], v49 offset:31224
	s_wait_dscnt 0x0
	ds_store_b64 v48, v[38:39] offset:32736
.LBB68_979:                             ;   in Loop: Header=BB68_3 Depth=1
	s_or_b32 exec_lo, exec_lo, s23
	s_wait_dscnt 0x0
	s_barrier_signal -1
	s_barrier_wait -1
	s_and_saveexec_b32 s23, s10
	s_cbranch_execz .LBB68_981
; %bb.980:                              ;   in Loop: Header=BB68_3 Depth=1
	ds_load_b64 v[38:39], v5 offset:32248
	v_add_nc_u32_e64 v3, 0x1f0, 0
	ds_store_b64 v5, v[34:35] offset:32760
	s_wait_dscnt 0x1
	ds_store_2addr_stride64_b64 v3, v[34:35], v[38:39] offset0:62 offset1:63
.LBB68_981:                             ;   in Loop: Header=BB68_3 Depth=1
	s_or_b32 exec_lo, exec_lo, s23
.LBB68_982:                             ;   in Loop: Header=BB68_3 Depth=1
	v_mov_b64_e32 v[38:39], 0
	s_mul_u64 s[62:63], s[74:75], s[76:77]
	s_wait_dscnt 0x0
	s_lshl_b64 s[62:63], s[62:63], 3
	s_barrier_signal -1
	s_add_nc_u64 s[64:65], s[68:69], s[62:63]
	s_barrier_wait -1
	s_and_saveexec_b32 s23, s59
	s_cbranch_execz .LBB68_984
; %bb.983:                              ;   in Loop: Header=BB68_3 Depth=1
	v_lshl_add_u64 v[38:39], v[14:15], 3, s[64:65]
	v_readlane_b32 s62, v103, 21
	v_readlane_b32 s63, v103, 22
	global_load_b64 v[38:39], v[38:39], off
	v_mov_b64_e32 v[40:41], s[62:63]
	v_readlane_b32 s62, v103, 23
	v_readlane_b32 s63, v103, 24
	s_delay_alu instid0(VALU_DEP_1) | instskip(SKIP_1) | instid1(VALU_DEP_4)
	v_mov_b64_e32 v[42:43], s[62:63]
	s_wait_loadcnt 0x0
	v_pk_mul_f32 v[40:41], v[40:41], v[38:39]
	s_wait_xcnt 0x0
	s_delay_alu instid0(VALU_DEP_1)
	v_pk_fma_f32 v[38:39], v[42:43], v[38:39], v[40:41] op_sel:[0,0,1] op_sel_hi:[1,1,0] neg_lo:[1,0,0] neg_hi:[1,0,0]
.LBB68_984:                             ;   in Loop: Header=BB68_3 Depth=1
	s_or_b32 exec_lo, exec_lo, s23
	s_delay_alu instid0(SALU_CYCLE_1)
	s_and_not1_b32 vcc_lo, exec_lo, s21
	s_cbranch_vccnz .LBB68_1003
; %bb.985:                              ;   in Loop: Header=BB68_3 Depth=1
	v_mov_b32_e32 v3, -1
	s_lshl_b64 s[62:63], s[76:77], 2
	s_delay_alu instid0(SALU_CYCLE_1)
	s_add_nc_u64 s[88:89], s[70:71], s[62:63]
	s_mov_b32 s63, 0
	s_branch .LBB68_987
.LBB68_986:                             ;   in Loop: Header=BB68_987 Depth=2
	s_or_b32 exec_lo, exec_lo, s23
	s_add_co_i32 s63, s63, 1
	s_delay_alu instid0(SALU_CYCLE_1)
	s_cmp_eq_u32 s63, s91
	s_cbranch_scc1 .LBB68_1003
.LBB68_987:                             ;   Parent Loop BB68_3 Depth=1
                                        ; =>  This Loop Header: Depth=2
                                        ;       Child Loop BB68_989 Depth 3
	v_cmp_gt_i32_e32 vcc_lo, s63, v3
	s_and_b32 s25, s31, vcc_lo
	s_delay_alu instid0(SALU_CYCLE_1)
	s_and_saveexec_b32 s23, s25
	s_cbranch_execz .LBB68_990
; %bb.988:                              ;   in Loop: Header=BB68_987 Depth=2
	global_load_b32 v3, v5, s[88:89]
	s_wait_loadcnt 0x0
	v_cmp_le_i32_e32 vcc_lo, s63, v3
	s_cbranch_vccnz .LBB68_990
.LBB68_989:                             ;   Parent Loop BB68_3 Depth=1
                                        ;     Parent Loop BB68_987 Depth=2
                                        ; =>    This Inner Loop Header: Depth=3
	global_wb scope:SCOPE_DEV
	s_wait_storecnt 0x0
	global_inv scope:SCOPE_DEV
	global_load_b32 v3, v5, s[88:89]
	s_wait_loadcnt 0x0
	v_cmp_gt_i32_e32 vcc_lo, s63, v3
	s_cbranch_vccnz .LBB68_989
.LBB68_990:                             ;   in Loop: Header=BB68_987 Depth=2
	s_wait_xcnt 0x0
	s_or_b32 exec_lo, exec_lo, s23
	s_sub_co_i32 s23, s92, s63
	global_wb scope:SCOPE_DEV
	s_wait_storecnt 0x0
	global_inv scope:SCOPE_DEV
	s_lshl_b32 s62, s23, 6
	s_wait_loadcnt 0x0
	s_barrier_signal -1
	s_barrier_wait -1
	s_and_saveexec_b32 s25, s33
	s_cbranch_execz .LBB68_995
; %bb.991:                              ;   in Loop: Header=BB68_987 Depth=2
	s_ashr_i32 vcc_lo, s62, 31
	s_delay_alu instid0(SALU_CYCLE_1) | instskip(NEXT) | instid1(VALU_DEP_1)
	v_dual_mov_b32 v41, vcc_lo :: v_dual_bitop2_b32 v40, s62, v8 bitop3:0x54
	v_cmp_le_i64_e32 vcc_lo, s[78:79], v[40:41]
	s_and_saveexec_b32 s27, vcc_lo
	s_delay_alu instid0(SALU_CYCLE_1)
	s_xor_b32 vcc_lo, exec_lo, s27
; %bb.992:                              ;   in Loop: Header=BB68_987 Depth=2
	ds_store_b64 v87, v[32:33]
                                        ; implicit-def: $vgpr40_vgpr41
; %bb.993:                              ;   in Loop: Header=BB68_987 Depth=2
	s_and_not1_saveexec_b32 s27, vcc_lo
	s_cbranch_execz .LBB68_995
; %bb.994:                              ;   in Loop: Header=BB68_987 Depth=2
	v_mul_u64_e32 v[40:41], s[72:73], v[40:41]
	s_delay_alu instid0(VALU_DEP_1)
	v_lshl_add_u64 v[40:41], v[40:41], 3, s[64:65]
	global_load_b64 v[40:41], v[40:41], off
	s_wait_loadcnt 0x0
	ds_store_b64 v87, v[40:41]
.LBB68_995:                             ;   in Loop: Header=BB68_987 Depth=2
	s_or_b32 exec_lo, exec_lo, s25
	v_add_nc_u32_e32 v40, s62, v2
	s_cmp_eq_u32 s23, s61
	s_wait_dscnt 0x0
	s_cselect_b32 vcc_lo, -1, 0
	s_barrier_signal -1
	v_ashrrev_i32_e32 v41, 31, v40
	v_cmp_gt_i32_e64 s62, s78, v40
	s_barrier_wait -1
	s_delay_alu instid0(VALU_DEP_2) | instskip(SKIP_1) | instid1(SALU_CYCLE_1)
	v_lshl_add_u64 v[42:43], v[40:41], 3, v[36:37]
	s_and_b32 s25, s62, s0
	s_and_saveexec_b32 s23, s25
	s_cbranch_execz .LBB68_997
; %bb.996:                              ;   in Loop: Header=BB68_987 Depth=2
	s_delay_alu instid0(VALU_DEP_1) | instskip(SKIP_4) | instid1(VALU_DEP_1)
	v_dual_cndmask_b32 v95, v43, v17 :: v_dual_cndmask_b32 v94, v42, v16
	ds_load_b64 v[96:97], v81
	flat_load_b64 v[94:95], v[94:95]
	s_wait_loadcnt_dscnt 0x0
	v_dual_mul_f32 v41, v97, v95 :: v_dual_mul_f32 v95, v96, v95
	v_dual_fma_f32 v41, v96, v94, -v41 :: v_dual_fmac_f32 v95, v97, v94
	s_delay_alu instid0(VALU_DEP_1)
	v_dual_add_f32 v38, v38, v41 :: v_dual_add_f32 v39, v39, v95
.LBB68_997:                             ;   in Loop: Header=BB68_987 Depth=2
	s_or_b32 exec_lo, exec_lo, s23
	v_add_nc_u32_e32 v41, 16, v40
	s_delay_alu instid0(VALU_DEP_1) | instskip(SKIP_1) | instid1(SALU_CYCLE_1)
	v_cmp_gt_i32_e64 s62, s78, v41
	s_and_b32 s25, s62, s0
	s_and_saveexec_b32 s23, s25
	s_cbranch_execz .LBB68_999
; %bb.998:                              ;   in Loop: Header=BB68_987 Depth=2
	v_add_nc_u64_e32 v[94:95], 0x80, v[42:43]
	ds_load_b64 v[96:97], v81 offset:128
	v_dual_cndmask_b32 v95, v95, v19 :: v_dual_cndmask_b32 v94, v94, v18
	flat_load_b64 v[94:95], v[94:95]
	s_wait_loadcnt_dscnt 0x0
	v_dual_mul_f32 v41, v97, v95 :: v_dual_mul_f32 v95, v96, v95
	s_delay_alu instid0(VALU_DEP_1) | instskip(NEXT) | instid1(VALU_DEP_1)
	v_dual_fma_f32 v41, v96, v94, -v41 :: v_dual_fmac_f32 v95, v97, v94
	v_dual_add_f32 v38, v38, v41 :: v_dual_add_f32 v39, v39, v95
.LBB68_999:                             ;   in Loop: Header=BB68_987 Depth=2
	s_or_b32 exec_lo, exec_lo, s23
	v_add_nc_u32_e32 v41, 32, v40
	s_delay_alu instid0(VALU_DEP_1) | instskip(SKIP_1) | instid1(SALU_CYCLE_1)
	v_cmp_gt_i32_e64 s62, s78, v41
	s_and_b32 s25, s62, s0
	s_and_saveexec_b32 s23, s25
	s_cbranch_execz .LBB68_1001
; %bb.1000:                             ;   in Loop: Header=BB68_987 Depth=2
	v_add_nc_u64_e32 v[94:95], 0x100, v[42:43]
	ds_load_b64 v[96:97], v81 offset:256
	v_dual_cndmask_b32 v95, v95, v23 :: v_dual_cndmask_b32 v94, v94, v22
	flat_load_b64 v[94:95], v[94:95]
	s_wait_loadcnt_dscnt 0x0
	v_dual_mul_f32 v41, v97, v95 :: v_dual_mul_f32 v99, v96, v95
	s_delay_alu instid0(VALU_DEP_1) | instskip(NEXT) | instid1(VALU_DEP_1)
	v_dual_fma_f32 v98, v96, v94, -v41 :: v_dual_fmac_f32 v99, v97, v94
	v_pk_add_f32 v[38:39], v[38:39], v[98:99]
.LBB68_1001:                            ;   in Loop: Header=BB68_987 Depth=2
	s_or_b32 exec_lo, exec_lo, s23
	v_add_nc_u32_e32 v40, 48, v40
	s_delay_alu instid0(VALU_DEP_1) | instskip(SKIP_1) | instid1(SALU_CYCLE_1)
	v_cmp_gt_i32_e64 s62, s78, v40
	s_and_b32 s25, s62, s0
	s_and_saveexec_b32 s23, s25
	s_cbranch_execz .LBB68_986
; %bb.1002:                             ;   in Loop: Header=BB68_987 Depth=2
	v_add_nc_u64_e32 v[40:41], 0x180, v[42:43]
	ds_load_b64 v[42:43], v81 offset:384
	v_dual_cndmask_b32 v41, v41, v27 :: v_dual_cndmask_b32 v40, v40, v26
	flat_load_b64 v[40:41], v[40:41]
	s_wait_loadcnt_dscnt 0x0
	v_pk_mul_f32 v[94:95], v[42:43], v[40:41] op_sel:[1,1] op_sel_hi:[0,1]
	s_delay_alu instid0(VALU_DEP_1) | instskip(SKIP_1) | instid1(VALU_DEP_2)
	v_pk_fma_f32 v[96:97], v[42:43], v[40:41], v[94:95] op_sel_hi:[1,0,1]
	v_pk_fma_f32 v[40:41], v[42:43], v[40:41], v[94:95] neg_lo:[0,0,1] neg_hi:[0,0,1]
	v_mov_b32_e32 v41, v97
	s_delay_alu instid0(VALU_DEP_1)
	v_pk_add_f32 v[38:39], v[38:39], v[40:41]
	s_branch .LBB68_986
.LBB68_1003:                            ;   in Loop: Header=BB68_3 Depth=1
	ds_store_b64 v88, v[38:39]
	s_wait_dscnt 0x0
	s_barrier_signal -1
	s_barrier_wait -1
	s_and_saveexec_b32 s23, s3
	s_cbranch_execz .LBB68_1005
; %bb.1004:                             ;   in Loop: Header=BB68_3 Depth=1
	ds_load_2addr_stride64_b64 v[40:43], v89 offset0:1 offset1:2
	ds_load_2addr_stride64_b64 v[94:97], v89 offset0:3 offset1:4
	;; [unrolled: 1-line block ×3, first 2 shown]
	s_wait_dscnt 0x2
	v_pk_add_f32 v[36:37], v[38:39], v[40:41]
	s_delay_alu instid0(VALU_DEP_1) | instskip(SKIP_3) | instid1(VALU_DEP_1)
	v_pk_add_f32 v[40:41], v[36:37], v[42:43]
	ds_load_2addr_stride64_b64 v[36:39], v89 offset0:7 offset1:8
	s_wait_dscnt 0x2
	v_pk_add_f32 v[40:41], v[40:41], v[94:95]
	v_pk_add_f32 v[94:95], v[40:41], v[96:97]
	ds_load_2addr_stride64_b64 v[40:43], v89 offset0:9 offset1:10
	s_wait_dscnt 0x2
	v_pk_add_f32 v[94:95], v[94:95], v[98:99]
	s_delay_alu instid0(VALU_DEP_1) | instskip(SKIP_3) | instid1(VALU_DEP_1)
	v_pk_add_f32 v[98:99], v[94:95], v[100:101]
	ds_load_2addr_stride64_b64 v[94:97], v89 offset0:11 offset1:12
	s_wait_dscnt 0x2
	v_pk_add_f32 v[36:37], v[98:99], v[36:37]
	v_pk_add_f32 v[98:99], v[36:37], v[38:39]
	ds_load_2addr_stride64_b64 v[36:39], v89 offset0:13 offset1:14
	s_wait_dscnt 0x2
	v_pk_add_f32 v[40:41], v[98:99], v[40:41]
	s_delay_alu instid0(VALU_DEP_1) | instskip(SKIP_3) | instid1(VALU_DEP_1)
	v_pk_add_f32 v[40:41], v[40:41], v[42:43]
	ds_load_b64 v[42:43], v89 offset:7680
	s_wait_dscnt 0x2
	v_pk_add_f32 v[40:41], v[40:41], v[94:95]
	v_pk_add_f32 v[40:41], v[40:41], v[96:97]
	s_wait_dscnt 0x1
	s_delay_alu instid0(VALU_DEP_1) | instskip(NEXT) | instid1(VALU_DEP_1)
	v_pk_add_f32 v[36:37], v[40:41], v[36:37]
	v_pk_add_f32 v[36:37], v[36:37], v[38:39]
	s_wait_dscnt 0x0
	s_delay_alu instid0(VALU_DEP_1) | instskip(NEXT) | instid1(VALU_DEP_1)
	v_pk_add_f32 v[36:37], v[36:37], v[42:43]
	v_cndmask_b32_e64 v39, -v37, 0, s57
	s_delay_alu instid0(VALU_DEP_2)
	v_cndmask_b32_e64 v38, -v36, 0, s57
.LBB68_1005:                            ;   in Loop: Header=BB68_3 Depth=1
	s_or_b32 exec_lo, exec_lo, s23
	s_delay_alu instid0(SALU_CYCLE_1)
	s_and_not1_b32 vcc_lo, exec_lo, s95
	s_cbranch_vccnz .LBB68_1015
; %bb.1006:                             ;   in Loop: Header=BB68_3 Depth=1
	s_and_saveexec_b32 s23, s3
; %bb.1007:                             ;   in Loop: Header=BB68_3 Depth=1
	ds_store_b64 v91, v[38:39]
; %bb.1008:                             ;   in Loop: Header=BB68_3 Depth=1
	s_or_b32 exec_lo, exec_lo, s23
	v_mov_b64_e32 v[36:37], 0
	s_wait_dscnt 0x0
	s_barrier_signal -1
	s_barrier_wait -1
	s_and_saveexec_b32 s23, s1
	s_cbranch_execnz .LBB68_1055
; %bb.1009:                             ;   in Loop: Header=BB68_3 Depth=1
	s_or_b32 exec_lo, exec_lo, s23
	s_and_saveexec_b32 s23, s7
	s_cbranch_execnz .LBB68_1056
.LBB68_1010:                            ;   in Loop: Header=BB68_3 Depth=1
	s_or_b32 exec_lo, exec_lo, s23
	s_and_saveexec_b32 s23, s8
	s_cbranch_execnz .LBB68_1057
.LBB68_1011:                            ;   in Loop: Header=BB68_3 Depth=1
	s_or_b32 exec_lo, exec_lo, s23
	s_and_saveexec_b32 s23, s9
	s_cbranch_execz .LBB68_1013
.LBB68_1012:                            ;   in Loop: Header=BB68_3 Depth=1
	ds_load_b64 v[40:41], v90 offset:24576
	ds_load_b64 v[42:43], v81 offset:384
	s_wait_dscnt 0x0
	v_pk_mul_f32 v[94:95], v[42:43], v[40:41] op_sel:[1,1] op_sel_hi:[0,1]
	s_delay_alu instid0(VALU_DEP_1) | instskip(SKIP_1) | instid1(VALU_DEP_2)
	v_pk_fma_f32 v[96:97], v[42:43], v[40:41], v[94:95] op_sel_hi:[1,0,1]
	v_pk_fma_f32 v[40:41], v[42:43], v[40:41], v[94:95] neg_lo:[0,0,1] neg_hi:[0,0,1]
	v_mov_b32_e32 v41, v97
	s_delay_alu instid0(VALU_DEP_1)
	v_pk_add_f32 v[36:37], v[36:37], v[40:41]
.LBB68_1013:                            ;   in Loop: Header=BB68_3 Depth=1
	s_or_b32 exec_lo, exec_lo, s23
	s_mov_b32 s63, 0
	s_mov_b32 s62, 0
	ds_store_b64 v88, v[36:37]
	s_wait_dscnt 0x0
	s_barrier_signal -1
	s_barrier_wait -1
                                        ; implicit-def: $vgpr40_vgpr41
	s_and_saveexec_b32 s23, s3
	s_cbranch_execz .LBB68_1058
; %bb.1014:                             ;   in Loop: Header=BB68_3 Depth=1
	ds_load_2addr_stride64_b64 v[40:43], v89 offset0:1 offset1:2
	ds_load_2addr_stride64_b64 v[94:97], v89 offset0:3 offset1:4
	;; [unrolled: 1-line block ×3, first 2 shown]
	s_mov_b32 s62, exec_lo
	s_wait_dscnt 0x2
	v_pk_add_f32 v[36:37], v[36:37], v[40:41]
	s_delay_alu instid0(VALU_DEP_1) | instskip(SKIP_3) | instid1(VALU_DEP_1)
	v_pk_add_f32 v[36:37], v[36:37], v[42:43]
	ds_load_2addr_stride64_b64 v[40:43], v89 offset0:7 offset1:8
	s_wait_dscnt 0x2
	v_pk_add_f32 v[36:37], v[36:37], v[94:95]
	v_pk_add_f32 v[36:37], v[36:37], v[96:97]
	ds_load_2addr_stride64_b64 v[94:97], v89 offset0:9 offset1:10
	s_wait_dscnt 0x2
	v_pk_add_f32 v[36:37], v[36:37], v[98:99]
	s_delay_alu instid0(VALU_DEP_1) | instskip(SKIP_3) | instid1(VALU_DEP_1)
	v_pk_add_f32 v[36:37], v[36:37], v[100:101]
	ds_load_2addr_stride64_b64 v[98:101], v89 offset0:11 offset1:12
	s_wait_dscnt 0x2
	v_pk_add_f32 v[36:37], v[36:37], v[40:41]
	v_pk_add_f32 v[36:37], v[36:37], v[42:43]
	ds_load_2addr_stride64_b64 v[40:43], v89 offset0:13 offset1:14
	s_wait_dscnt 0x2
	v_pk_add_f32 v[36:37], v[36:37], v[94:95]
	ds_load_b64 v[94:95], v89 offset:7680
	v_pk_add_f32 v[36:37], v[36:37], v[96:97]
	s_wait_dscnt 0x2
	s_delay_alu instid0(VALU_DEP_1) | instskip(NEXT) | instid1(VALU_DEP_1)
	v_pk_add_f32 v[36:37], v[36:37], v[98:99]
	v_pk_add_f32 v[36:37], v[36:37], v[100:101]
	s_wait_dscnt 0x1
	s_delay_alu instid0(VALU_DEP_1) | instskip(NEXT) | instid1(VALU_DEP_1)
	v_pk_add_f32 v[36:37], v[36:37], v[40:41]
	v_pk_add_f32 v[36:37], v[36:37], v[42:43]
	s_wait_dscnt 0x0
	s_delay_alu instid0(VALU_DEP_1) | instskip(SKIP_1) | instid1(SALU_CYCLE_1)
	v_pk_add_f32 v[40:41], v[36:37], v[94:95]
	s_or_b32 exec_lo, exec_lo, s23
	s_and_b32 vcc_lo, exec_lo, s63
	s_cbranch_vccnz .LBB68_1016
	s_branch .LBB68_1059
.LBB68_1015:                            ;   in Loop: Header=BB68_3 Depth=1
	s_mov_b32 s62, 0
                                        ; implicit-def: $vgpr40_vgpr41
	s_cbranch_execz .LBB68_1059
.LBB68_1016:                            ;   in Loop: Header=BB68_3 Depth=1
	v_dual_mov_b32 v3, v93 :: v_dual_mov_b32 v36, v83
	s_mov_b32 s63, 63
	s_branch .LBB68_1018
.LBB68_1017:                            ;   in Loop: Header=BB68_1018 Depth=2
	s_or_b32 exec_lo, exec_lo, s25
	v_add_nc_u32_e32 v36, 0xfffff800, v36
	v_add_nc_u32_e32 v3, 4, v3
	s_add_co_i32 s63, s63, -4
	s_cmp_lg_u32 s23, 0
	s_barrier_signal -1
	s_barrier_wait -1
	s_cbranch_scc0 .LBB68_1034
.LBB68_1018:                            ;   Parent Loop BB68_3 Depth=1
                                        ; =>  This Inner Loop Header: Depth=2
	s_delay_alu instid0(VALU_DEP_1) | instskip(SKIP_1) | instid1(SALU_CYCLE_1)
	v_cmp_eq_u32_e32 vcc_lo, 0, v3
	s_and_b32 s25, s3, vcc_lo
	s_and_saveexec_b32 s23, s25
; %bb.1019:                             ;   in Loop: Header=BB68_1018 Depth=2
	ds_store_b64 v5, v[38:39] offset:41472
; %bb.1020:                             ;   in Loop: Header=BB68_1018 Depth=2
	s_or_b32 exec_lo, exec_lo, s23
	v_cmp_gt_u32_e32 vcc_lo, s63, v6
	s_wait_dscnt 0x0
	s_barrier_signal -1
	s_barrier_wait -1
	s_and_b32 s25, s3, vcc_lo
	s_delay_alu instid0(SALU_CYCLE_1)
	s_and_saveexec_b32 s23, s25
	s_cbranch_execz .LBB68_1022
; %bb.1021:                             ;   in Loop: Header=BB68_1018 Depth=2
	ds_load_b64 v[40:41], v36 offset:1536
	ds_load_b64 v[42:43], v5 offset:41472
	s_wait_dscnt 0x0
	v_pk_mul_f32 v[94:95], v[42:43], v[40:41] op_sel:[1,1] op_sel_hi:[0,1]
	s_delay_alu instid0(VALU_DEP_1) | instskip(SKIP_1) | instid1(VALU_DEP_2)
	v_pk_fma_f32 v[96:97], v[42:43], v[40:41], v[94:95] op_sel_hi:[1,0,1]
	v_pk_fma_f32 v[40:41], v[42:43], v[40:41], v[94:95] neg_lo:[0,0,1] neg_hi:[0,0,1]
	v_mov_b32_e32 v41, v97
	s_delay_alu instid0(VALU_DEP_1)
	v_pk_add_f32 v[38:39], v[38:39], v[40:41]
.LBB68_1022:                            ;   in Loop: Header=BB68_1018 Depth=2
	s_or_b32 exec_lo, exec_lo, s23
	s_add_co_i32 s23, s63, -1
	s_delay_alu instid0(SALU_CYCLE_1) | instskip(SKIP_3) | instid1(SALU_CYCLE_1)
	v_cmp_eq_u32_e32 vcc_lo, s23, v6
	s_barrier_signal -1
	s_barrier_wait -1
	s_and_b32 s27, s3, vcc_lo
	s_and_saveexec_b32 s25, s27
; %bb.1023:                             ;   in Loop: Header=BB68_1018 Depth=2
	ds_store_b64 v5, v[38:39] offset:41472
; %bb.1024:                             ;   in Loop: Header=BB68_1018 Depth=2
	s_or_b32 exec_lo, exec_lo, s25
	v_cmp_gt_u32_e32 vcc_lo, s23, v6
	s_wait_dscnt 0x0
	s_barrier_signal -1
	s_barrier_wait -1
	s_and_b32 s25, s3, vcc_lo
	s_delay_alu instid0(SALU_CYCLE_1)
	s_and_saveexec_b32 s23, s25
	s_cbranch_execz .LBB68_1026
; %bb.1025:                             ;   in Loop: Header=BB68_1018 Depth=2
	ds_load_b64 v[40:41], v36 offset:1024
	ds_load_b64 v[42:43], v5 offset:41472
	s_wait_dscnt 0x0
	v_pk_mul_f32 v[94:95], v[42:43], v[40:41] op_sel:[1,1] op_sel_hi:[0,1]
	s_delay_alu instid0(VALU_DEP_1) | instskip(SKIP_1) | instid1(VALU_DEP_2)
	v_pk_fma_f32 v[96:97], v[42:43], v[40:41], v[94:95] op_sel_hi:[1,0,1]
	v_pk_fma_f32 v[40:41], v[42:43], v[40:41], v[94:95] neg_lo:[0,0,1] neg_hi:[0,0,1]
	v_mov_b32_e32 v41, v97
	s_delay_alu instid0(VALU_DEP_1)
	v_pk_add_f32 v[38:39], v[38:39], v[40:41]
.LBB68_1026:                            ;   in Loop: Header=BB68_1018 Depth=2
	s_or_b32 exec_lo, exec_lo, s23
	s_add_co_i32 s23, s63, -2
	s_delay_alu instid0(SALU_CYCLE_1) | instskip(SKIP_3) | instid1(SALU_CYCLE_1)
	v_cmp_eq_u32_e32 vcc_lo, s23, v6
	s_barrier_signal -1
	s_barrier_wait -1
	;; [unrolled: 32-line block ×3, first 2 shown]
	s_and_b32 s27, s3, vcc_lo
	s_and_saveexec_b32 s25, s27
; %bb.1031:                             ;   in Loop: Header=BB68_1018 Depth=2
	ds_store_b64 v5, v[38:39] offset:41472
; %bb.1032:                             ;   in Loop: Header=BB68_1018 Depth=2
	s_or_b32 exec_lo, exec_lo, s25
	v_cmp_gt_u32_e32 vcc_lo, s23, v6
	s_wait_dscnt 0x0
	s_barrier_signal -1
	s_barrier_wait -1
	s_and_b32 s27, s3, vcc_lo
	s_delay_alu instid0(SALU_CYCLE_1)
	s_and_saveexec_b32 s25, s27
	s_cbranch_execz .LBB68_1017
; %bb.1033:                             ;   in Loop: Header=BB68_1018 Depth=2
	ds_load_b64 v[40:41], v36
	ds_load_b64 v[42:43], v5 offset:41472
	s_wait_dscnt 0x0
	v_pk_mul_f32 v[94:95], v[42:43], v[40:41] op_sel:[1,1] op_sel_hi:[0,1]
	s_delay_alu instid0(VALU_DEP_1) | instskip(SKIP_1) | instid1(VALU_DEP_2)
	v_pk_fma_f32 v[96:97], v[42:43], v[40:41], v[94:95] op_sel_hi:[1,0,1]
	v_pk_fma_f32 v[40:41], v[42:43], v[40:41], v[94:95] neg_lo:[0,0,1] neg_hi:[0,0,1]
	v_mov_b32_e32 v41, v97
	s_delay_alu instid0(VALU_DEP_1)
	v_pk_add_f32 v[38:39], v[38:39], v[40:41]
	s_branch .LBB68_1017
.LBB68_1034:                            ;   in Loop: Header=BB68_3 Depth=1
	s_and_b32 vcc_lo, exec_lo, s93
	s_mov_b32 s23, -1
	s_cbranch_vccnz .LBB68_1060
; %bb.1035:                             ;   in Loop: Header=BB68_3 Depth=1
	s_and_not1_b32 vcc_lo, exec_lo, s23
	s_cbranch_vccz .LBB68_1061
.LBB68_1036:                            ;   in Loop: Header=BB68_3 Depth=1
	s_and_saveexec_b32 s23, s62
	s_cbranch_execz .LBB68_1038
.LBB68_1037:                            ;   in Loop: Header=BB68_3 Depth=1
	v_lshl_add_u64 v[36:37], v[0:1], 3, s[64:65]
	global_store_b64 v[36:37], v[38:39], off
.LBB68_1038:                            ;   in Loop: Header=BB68_3 Depth=1
	s_wait_xcnt 0x0
	s_or_b32 exec_lo, exec_lo, s23
	global_wb scope:SCOPE_DEV
	s_wait_storecnt 0x0
	global_inv scope:SCOPE_DEV
	s_wait_loadcnt 0x0
	s_barrier_signal -1
	s_barrier_wait -1
	s_and_saveexec_b32 s23, s31
	s_cbranch_execz .LBB68_2
; %bb.1039:                             ;   in Loop: Header=BB68_3 Depth=1
	s_lshl_b64 s[62:63], s[76:77], 2
	s_delay_alu instid0(SALU_CYCLE_1)
	s_add_nc_u64 s[62:63], s[70:71], s[62:63]
	global_load_b32 v3, v5, s[62:63]
	s_wait_loadcnt 0x0
	v_add_nc_u32_e32 v3, 1, v3
	global_store_b32 v5, v3, s[62:63]
	s_branch .LBB68_2
.LBB68_1040:                            ;   in Loop: Header=BB68_3 Depth=1
	v_readlane_b32 s27, v102, 5
	s_and_saveexec_b32 s25, s27
; %bb.1041:                             ;   in Loop: Header=BB68_3 Depth=1
	ds_store_b64 v77, v[32:33]
; %bb.1042:                             ;   in Loop: Header=BB68_3 Depth=1
	s_or_b32 exec_lo, exec_lo, s25
	s_and_not1_saveexec_b32 s23, s23
	s_cbranch_execz .LBB68_18
.LBB68_1043:                            ;   in Loop: Header=BB68_3 Depth=1
	v_lshl_add_u64 v[40:41], v[30:31], 3, v[38:39]
	global_load_b64 v[40:41], v[40:41], off
	s_wait_loadcnt 0x0
	s_wait_xcnt 0x0
	v_pk_add_f32 v[40:41], v[40:41], 0 neg_lo:[1,1] neg_hi:[1,1]
	ds_store_b64 v77, v[40:41]
	s_or_b32 exec_lo, exec_lo, s23
	s_and_saveexec_b32 s23, s7
	s_delay_alu instid0(SALU_CYCLE_1)
	s_xor_b32 s23, exec_lo, s23
	s_cbranch_execz .LBB68_19
.LBB68_1044:                            ;   in Loop: Header=BB68_3 Depth=1
	v_readlane_b32 s27, v102, 6
	s_and_saveexec_b32 s25, s27
; %bb.1045:                             ;   in Loop: Header=BB68_3 Depth=1
	ds_store_b64 v78, v[32:33]
; %bb.1046:                             ;   in Loop: Header=BB68_3 Depth=1
	s_or_b32 exec_lo, exec_lo, s25
	s_and_not1_saveexec_b32 s23, s23
	s_cbranch_execz .LBB68_20
.LBB68_1047:                            ;   in Loop: Header=BB68_3 Depth=1
	v_lshl_add_u64 v[40:41], v[28:29], 3, v[38:39]
	global_load_b64 v[40:41], v[40:41], off
	s_wait_loadcnt 0x0
	s_wait_xcnt 0x0
	v_pk_add_f32 v[40:41], v[40:41], 0 neg_lo:[1,1] neg_hi:[1,1]
	ds_store_b64 v78, v[40:41]
	s_or_b32 exec_lo, exec_lo, s23
	s_and_saveexec_b32 s23, s8
	s_delay_alu instid0(SALU_CYCLE_1)
	s_xor_b32 s23, exec_lo, s23
	s_cbranch_execz .LBB68_21
.LBB68_1048:                            ;   in Loop: Header=BB68_3 Depth=1
	v_readlane_b32 s27, v102, 7
	s_and_saveexec_b32 s25, s27
; %bb.1049:                             ;   in Loop: Header=BB68_3 Depth=1
	ds_store_b64 v79, v[32:33]
; %bb.1050:                             ;   in Loop: Header=BB68_3 Depth=1
	s_or_b32 exec_lo, exec_lo, s25
	s_and_not1_saveexec_b32 s23, s23
	s_cbranch_execz .LBB68_22
.LBB68_1051:                            ;   in Loop: Header=BB68_3 Depth=1
	v_lshl_add_u64 v[40:41], v[20:21], 3, v[38:39]
	global_load_b64 v[40:41], v[40:41], off
	s_wait_loadcnt 0x0
	s_wait_xcnt 0x0
	v_pk_add_f32 v[40:41], v[40:41], 0 neg_lo:[1,1] neg_hi:[1,1]
	ds_store_b64 v79, v[40:41]
	s_or_b32 exec_lo, exec_lo, s23
	s_and_saveexec_b32 s23, s9
	s_delay_alu instid0(SALU_CYCLE_1)
	s_xor_b32 s23, exec_lo, s23
	s_cbranch_execz .LBB68_23
.LBB68_1052:                            ;   in Loop: Header=BB68_3 Depth=1
	v_readlane_b32 s27, v102, 8
	s_and_saveexec_b32 s25, s27
; %bb.1053:                             ;   in Loop: Header=BB68_3 Depth=1
	ds_store_b64 v80, v[32:33]
; %bb.1054:                             ;   in Loop: Header=BB68_3 Depth=1
	s_or_b32 exec_lo, exec_lo, s25
	s_and_not1_saveexec_b32 s23, s23
	s_cbranch_execnz .LBB68_24
	s_branch .LBB68_25
.LBB68_1055:                            ;   in Loop: Header=BB68_3 Depth=1
	ds_load_b64 v[36:37], v90
	ds_load_b64 v[40:41], v81
	s_wait_dscnt 0x0
	v_dual_mul_f32 v3, v41, v37 :: v_dual_mul_f32 v37, v40, v37
	s_delay_alu instid0(VALU_DEP_1) | instskip(NEXT) | instid1(VALU_DEP_1)
	v_dual_fma_f32 v3, v40, v36, -v3 :: v_dual_fmac_f32 v37, v41, v36
	v_dual_add_f32 v36, 0, v3 :: v_dual_add_f32 v37, 0, v37
	s_or_b32 exec_lo, exec_lo, s23
	s_and_saveexec_b32 s23, s7
	s_cbranch_execz .LBB68_1010
.LBB68_1056:                            ;   in Loop: Header=BB68_3 Depth=1
	ds_load_b64 v[40:41], v90 offset:8192
	ds_load_b64 v[42:43], v81 offset:128
	s_wait_dscnt 0x0
	v_dual_mul_f32 v3, v43, v41 :: v_dual_mul_f32 v95, v42, v41
	s_delay_alu instid0(VALU_DEP_1) | instskip(NEXT) | instid1(VALU_DEP_2)
	v_fma_f32 v94, v42, v40, -v3
	v_fmac_f32_e32 v95, v43, v40
	s_delay_alu instid0(VALU_DEP_1)
	v_pk_add_f32 v[36:37], v[36:37], v[94:95]
	s_or_b32 exec_lo, exec_lo, s23
	s_and_saveexec_b32 s23, s8
	s_cbranch_execz .LBB68_1011
.LBB68_1057:                            ;   in Loop: Header=BB68_3 Depth=1
	ds_load_b64 v[40:41], v90 offset:16384
	ds_load_b64 v[42:43], v81 offset:256
	s_wait_dscnt 0x0
	v_pk_mul_f32 v[94:95], v[42:43], v[40:41] op_sel:[1,1] op_sel_hi:[0,1]
	s_delay_alu instid0(VALU_DEP_1) | instskip(SKIP_1) | instid1(VALU_DEP_2)
	v_pk_fma_f32 v[96:97], v[42:43], v[40:41], v[94:95] op_sel_hi:[1,0,1]
	v_pk_fma_f32 v[40:41], v[42:43], v[40:41], v[94:95] neg_lo:[0,0,1] neg_hi:[0,0,1]
	v_mov_b32_e32 v41, v97
	s_delay_alu instid0(VALU_DEP_1)
	v_pk_add_f32 v[36:37], v[36:37], v[40:41]
	s_or_b32 exec_lo, exec_lo, s23
	s_and_saveexec_b32 s23, s9
	s_cbranch_execnz .LBB68_1012
	s_branch .LBB68_1013
.LBB68_1058:                            ;   in Loop: Header=BB68_3 Depth=1
	s_or_b32 exec_lo, exec_lo, s23
	s_delay_alu instid0(SALU_CYCLE_1)
	s_and_b32 vcc_lo, exec_lo, s63
	s_cbranch_vccnz .LBB68_1016
.LBB68_1059:                            ;   in Loop: Header=BB68_3 Depth=1
	v_mov_b64_e32 v[38:39], v[40:41]
	s_and_saveexec_b32 s23, s62
	s_cbranch_execnz .LBB68_1037
	s_branch .LBB68_1038
.LBB68_1060:                            ;   in Loop: Header=BB68_3 Depth=1
	s_and_not1_b32 s25, s62, exec_lo
	s_and_b32 s27, s3, exec_lo
	s_delay_alu instid0(SALU_CYCLE_1)
	s_or_b32 s62, s25, s27
	s_cbranch_execnz .LBB68_1036
.LBB68_1061:                            ;   in Loop: Header=BB68_3 Depth=1
	v_readlane_b32 s25, v103, 13
	s_and_not1_b32 s23, s62, exec_lo
	s_and_b32 s25, s25, exec_lo
	s_delay_alu instid0(SALU_CYCLE_1) | instskip(NEXT) | instid1(SALU_CYCLE_1)
	s_or_b32 s62, s23, s25
	s_and_saveexec_b32 s23, s62
	s_cbranch_execnz .LBB68_1037
	s_branch .LBB68_1038
.LBB68_1062:                            ;   in Loop: Header=BB68_3 Depth=1
	ds_load_b64 v[40:41], v66 offset:544
	ds_load_b64 v[42:43], v51 offset:8
	s_wait_dscnt 0x0
	v_dual_mul_f32 v3, v43, v41 :: v_dual_mul_f32 v41, v42, v41
	s_delay_alu instid0(VALU_DEP_1) | instskip(NEXT) | instid1(VALU_DEP_1)
	v_dual_fma_f32 v3, v42, v40, -v3 :: v_dual_fmac_f32 v41, v43, v40
	v_dual_add_f32 v38, v38, v3 :: v_dual_add_f32 v39, v39, v41
	s_or_b32 exec_lo, exec_lo, s23
	s_and_saveexec_b32 s23, s13
	s_cbranch_execz .LBB68_74
.LBB68_1063:                            ;   in Loop: Header=BB68_3 Depth=1
	ds_load_b64 v[40:41], v65 offset:1056
	ds_load_b64 v[42:43], v51 offset:16
	s_wait_dscnt 0x0
	v_dual_mul_f32 v3, v43, v41 :: v_dual_mul_f32 v41, v42, v41
	s_delay_alu instid0(VALU_DEP_1) | instskip(NEXT) | instid1(VALU_DEP_1)
	v_dual_fma_f32 v3, v42, v40, -v3 :: v_dual_fmac_f32 v41, v43, v40
	v_dual_add_f32 v38, v38, v3 :: v_dual_add_f32 v39, v39, v41
	s_or_b32 exec_lo, exec_lo, s23
	s_and_saveexec_b32 s23, s2
	s_cbranch_execnz .LBB68_75
	s_branch .LBB68_76
.LBB68_1064:                            ;   in Loop: Header=BB68_3 Depth=1
	ds_load_b64 v[40:41], v70 offset:576
	ds_load_b64 v[42:43], v55 offset:8
	s_wait_dscnt 0x0
	v_dual_mul_f32 v3, v43, v41 :: v_dual_mul_f32 v41, v42, v41
	s_delay_alu instid0(VALU_DEP_1) | instskip(NEXT) | instid1(VALU_DEP_1)
	v_dual_fma_f32 v3, v42, v40, -v3 :: v_dual_fmac_f32 v41, v43, v40
	v_dual_add_f32 v38, v38, v3 :: v_dual_add_f32 v39, v39, v41
	s_or_b32 exec_lo, exec_lo, s23
	s_and_saveexec_b32 s23, s15
	s_cbranch_execz .LBB68_116
.LBB68_1065:                            ;   in Loop: Header=BB68_3 Depth=1
	ds_load_b64 v[40:41], v70 offset:1088
	ds_load_b64 v[42:43], v55 offset:16
	s_wait_dscnt 0x0
	v_dual_mul_f32 v3, v43, v41 :: v_dual_mul_f32 v41, v42, v41
	s_delay_alu instid0(VALU_DEP_1) | instskip(NEXT) | instid1(VALU_DEP_1)
	v_dual_fma_f32 v3, v42, v40, -v3 :: v_dual_fmac_f32 v41, v43, v40
	v_dual_add_f32 v38, v38, v3 :: v_dual_add_f32 v39, v39, v41
	s_or_b32 exec_lo, exec_lo, s23
	s_and_saveexec_b32 s23, s16
	s_cbranch_execz .LBB68_117
.LBB68_1066:                            ;   in Loop: Header=BB68_3 Depth=1
	ds_load_b64 v[40:41], v70 offset:1600
	ds_load_b64 v[42:43], v55 offset:24
	s_wait_dscnt 0x0
	v_dual_mul_f32 v3, v43, v41 :: v_dual_mul_f32 v41, v42, v41
	s_delay_alu instid0(VALU_DEP_1) | instskip(NEXT) | instid1(VALU_DEP_1)
	v_dual_fma_f32 v3, v42, v40, -v3 :: v_dual_fmac_f32 v41, v43, v40
	v_dual_add_f32 v38, v38, v3 :: v_dual_add_f32 v39, v39, v41
	s_or_b32 exec_lo, exec_lo, s23
	s_and_saveexec_b32 s23, s17
	s_cbranch_execz .LBB68_118
.LBB68_1067:                            ;   in Loop: Header=BB68_3 Depth=1
	ds_load_b64 v[40:41], v69 offset:2112
	ds_load_b64 v[42:43], v55 offset:32
	s_wait_dscnt 0x0
	v_dual_mul_f32 v3, v43, v41 :: v_dual_mul_f32 v41, v42, v41
	s_delay_alu instid0(VALU_DEP_1) | instskip(NEXT) | instid1(VALU_DEP_1)
	v_dual_fma_f32 v3, v42, v40, -v3 :: v_dual_fmac_f32 v41, v43, v40
	v_dual_add_f32 v38, v38, v3 :: v_dual_add_f32 v39, v39, v41
	s_or_b32 exec_lo, exec_lo, s23
	s_and_saveexec_b32 s23, s18
	s_cbranch_execz .LBB68_119
.LBB68_1068:                            ;   in Loop: Header=BB68_3 Depth=1
	ds_load_b64 v[40:41], v70 offset:2624
	ds_load_b64 v[42:43], v55 offset:40
	s_wait_dscnt 0x0
	v_dual_mul_f32 v3, v43, v41 :: v_dual_mul_f32 v95, v42, v41
	s_delay_alu instid0(VALU_DEP_1) | instskip(NEXT) | instid1(VALU_DEP_2)
	v_fma_f32 v94, v42, v40, -v3
	v_fmac_f32_e32 v95, v43, v40
	s_delay_alu instid0(VALU_DEP_1)
	v_pk_add_f32 v[38:39], v[38:39], v[94:95]
	s_or_b32 exec_lo, exec_lo, s23
	s_and_saveexec_b32 s23, s4
	s_cbranch_execz .LBB68_120
.LBB68_1069:                            ;   in Loop: Header=BB68_3 Depth=1
	ds_load_b64 v[40:41], v69 offset:3136
	ds_load_b64 v[42:43], v55 offset:48
	s_wait_dscnt 0x0
	v_pk_mul_f32 v[94:95], v[42:43], v[40:41] op_sel:[1,1] op_sel_hi:[0,1]
	s_delay_alu instid0(VALU_DEP_1) | instskip(SKIP_1) | instid1(VALU_DEP_2)
	v_pk_fma_f32 v[96:97], v[42:43], v[40:41], v[94:95] op_sel_hi:[1,0,1]
	v_pk_fma_f32 v[40:41], v[42:43], v[40:41], v[94:95] neg_lo:[0,0,1] neg_hi:[0,0,1]
	v_mov_b32_e32 v41, v97
	s_delay_alu instid0(VALU_DEP_1)
	v_pk_add_f32 v[38:39], v[38:39], v[40:41]
	s_or_b32 exec_lo, exec_lo, s23
	s_and_saveexec_b32 s23, s13
	s_cbranch_execnz .LBB68_121
	s_branch .LBB68_122
.LBB68_1070:                            ;   in Loop: Header=BB68_3 Depth=1
	ds_load_b64 v[40:41], v66 offset:4704
	ds_load_b64 v[42:43], v51 offset:4168
	s_wait_dscnt 0x0
	v_dual_mul_f32 v3, v43, v41 :: v_dual_mul_f32 v41, v42, v41
	s_delay_alu instid0(VALU_DEP_1) | instskip(NEXT) | instid1(VALU_DEP_1)
	v_dual_fma_f32 v3, v42, v40, -v3 :: v_dual_fmac_f32 v41, v43, v40
	v_dual_add_f32 v38, v38, v3 :: v_dual_add_f32 v39, v39, v41
	s_or_b32 exec_lo, exec_lo, s23
	s_and_saveexec_b32 s23, s13
	s_cbranch_execz .LBB68_178
.LBB68_1071:                            ;   in Loop: Header=BB68_3 Depth=1
	ds_load_b64 v[40:41], v65 offset:5216
	ds_load_b64 v[42:43], v51 offset:4176
	s_wait_dscnt 0x0
	v_dual_mul_f32 v3, v43, v41 :: v_dual_mul_f32 v41, v42, v41
	s_delay_alu instid0(VALU_DEP_1) | instskip(NEXT) | instid1(VALU_DEP_1)
	v_dual_fma_f32 v3, v42, v40, -v3 :: v_dual_fmac_f32 v41, v43, v40
	v_dual_add_f32 v38, v38, v3 :: v_dual_add_f32 v39, v39, v41
	s_or_b32 exec_lo, exec_lo, s23
	s_and_saveexec_b32 s23, s2
	s_cbranch_execnz .LBB68_179
	s_branch .LBB68_180
.LBB68_1072:                            ;   in Loop: Header=BB68_3 Depth=1
	ds_load_b64 v[40:41], v73 offset:5760
	ds_load_b64 v[42:43], v57 offset:88
	s_wait_dscnt 0x0
	v_dual_mul_f32 v3, v43, v41 :: v_dual_mul_f32 v41, v42, v41
	s_delay_alu instid0(VALU_DEP_1) | instskip(NEXT) | instid1(VALU_DEP_1)
	v_dual_fma_f32 v3, v42, v40, -v3 :: v_dual_fmac_f32 v41, v43, v40
	v_dual_add_f32 v38, v38, v3 :: v_dual_add_f32 v39, v39, v41
	s_or_b32 exec_lo, exec_lo, s23
	s_and_saveexec_b32 s23, s5
	s_cbranch_execz .LBB68_240
.LBB68_1073:                            ;   in Loop: Header=BB68_3 Depth=1
	ds_load_b64 v[40:41], v72 offset:6272
	ds_load_b64 v[42:43], v57 offset:96
	s_wait_dscnt 0x0
	v_dual_mul_f32 v3, v43, v41 :: v_dual_mul_f32 v41, v42, v41
	s_delay_alu instid0(VALU_DEP_1) | instskip(NEXT) | instid1(VALU_DEP_1)
	v_dual_fma_f32 v3, v42, v40, -v3 :: v_dual_fmac_f32 v41, v43, v40
	v_dual_add_f32 v38, v38, v3 :: v_dual_add_f32 v39, v39, v41
	s_or_b32 exec_lo, exec_lo, s23
	s_and_saveexec_b32 s23, s15
	s_cbranch_execz .LBB68_241
.LBB68_1074:                            ;   in Loop: Header=BB68_3 Depth=1
	ds_load_b64 v[40:41], v73 offset:6784
	ds_load_b64 v[42:43], v57 offset:104
	s_wait_dscnt 0x0
	v_dual_mul_f32 v3, v43, v41 :: v_dual_mul_f32 v41, v42, v41
	s_delay_alu instid0(VALU_DEP_1) | instskip(NEXT) | instid1(VALU_DEP_1)
	v_dual_fma_f32 v3, v42, v40, -v3 :: v_dual_fmac_f32 v41, v43, v40
	v_dual_add_f32 v38, v38, v3 :: v_dual_add_f32 v39, v39, v41
	s_or_b32 exec_lo, exec_lo, s23
	s_and_saveexec_b32 s23, s17
	s_cbranch_execz .LBB68_242
.LBB68_1075:                            ;   in Loop: Header=BB68_3 Depth=1
	ds_load_b64 v[40:41], v72 offset:7296
	ds_load_b64 v[42:43], v57 offset:112
	s_wait_dscnt 0x0
	v_dual_mul_f32 v3, v43, v41 :: v_dual_mul_f32 v41, v42, v41
	s_delay_alu instid0(VALU_DEP_1) | instskip(NEXT) | instid1(VALU_DEP_1)
	v_dual_fma_f32 v3, v42, v40, -v3 :: v_dual_fmac_f32 v41, v43, v40
	v_dual_add_f32 v38, v38, v3 :: v_dual_add_f32 v39, v39, v41
	s_or_b32 exec_lo, exec_lo, s23
	s_and_saveexec_b32 s23, s4
	s_cbranch_execnz .LBB68_243
	s_branch .LBB68_244
.LBB68_1076:                            ;   in Loop: Header=BB68_3 Depth=1
	ds_load_b64 v[40:41], v66 offset:8864
	ds_load_b64 v[42:43], v51 offset:8328
	s_wait_dscnt 0x0
	v_dual_mul_f32 v3, v43, v41 :: v_dual_mul_f32 v41, v42, v41
	s_delay_alu instid0(VALU_DEP_1) | instskip(NEXT) | instid1(VALU_DEP_1)
	v_dual_fma_f32 v3, v42, v40, -v3 :: v_dual_fmac_f32 v41, v43, v40
	v_dual_add_f32 v38, v38, v3 :: v_dual_add_f32 v39, v39, v41
	s_or_b32 exec_lo, exec_lo, s23
	s_and_saveexec_b32 s23, s13
	s_cbranch_execz .LBB68_332
.LBB68_1077:                            ;   in Loop: Header=BB68_3 Depth=1
	ds_load_b64 v[40:41], v65 offset:9376
	ds_load_b64 v[42:43], v51 offset:8336
	s_wait_dscnt 0x0
	v_dual_mul_f32 v3, v43, v41 :: v_dual_mul_f32 v41, v42, v41
	s_delay_alu instid0(VALU_DEP_1) | instskip(NEXT) | instid1(VALU_DEP_1)
	v_dual_fma_f32 v3, v42, v40, -v3 :: v_dual_fmac_f32 v41, v43, v40
	v_dual_add_f32 v38, v38, v3 :: v_dual_add_f32 v39, v39, v41
	s_or_b32 exec_lo, exec_lo, s23
	s_and_saveexec_b32 s23, s2
	s_cbranch_execnz .LBB68_333
	s_branch .LBB68_334
.LBB68_1078:                            ;   in Loop: Header=BB68_3 Depth=1
	ds_load_b64 v[40:41], v70 offset:8896
	ds_load_b64 v[42:43], v55 offset:8328
	s_wait_dscnt 0x0
	v_dual_mul_f32 v3, v43, v41 :: v_dual_mul_f32 v41, v42, v41
	s_delay_alu instid0(VALU_DEP_1) | instskip(NEXT) | instid1(VALU_DEP_1)
	v_dual_fma_f32 v3, v42, v40, -v3 :: v_dual_fmac_f32 v41, v43, v40
	v_dual_add_f32 v38, v38, v3 :: v_dual_add_f32 v39, v39, v41
	s_or_b32 exec_lo, exec_lo, s23
	s_and_saveexec_b32 s23, s15
	s_cbranch_execz .LBB68_374
.LBB68_1079:                            ;   in Loop: Header=BB68_3 Depth=1
	ds_load_b64 v[40:41], v70 offset:9408
	ds_load_b64 v[42:43], v55 offset:8336
	s_wait_dscnt 0x0
	v_dual_mul_f32 v3, v43, v41 :: v_dual_mul_f32 v41, v42, v41
	s_delay_alu instid0(VALU_DEP_1) | instskip(NEXT) | instid1(VALU_DEP_1)
	v_dual_fma_f32 v3, v42, v40, -v3 :: v_dual_fmac_f32 v41, v43, v40
	v_dual_add_f32 v38, v38, v3 :: v_dual_add_f32 v39, v39, v41
	s_or_b32 exec_lo, exec_lo, s23
	s_and_saveexec_b32 s23, s16
	s_cbranch_execz .LBB68_375
.LBB68_1080:                            ;   in Loop: Header=BB68_3 Depth=1
	ds_load_b64 v[40:41], v70 offset:9920
	ds_load_b64 v[42:43], v55 offset:8344
	s_wait_dscnt 0x0
	v_dual_mul_f32 v3, v43, v41 :: v_dual_mul_f32 v41, v42, v41
	s_delay_alu instid0(VALU_DEP_1) | instskip(NEXT) | instid1(VALU_DEP_1)
	v_dual_fma_f32 v3, v42, v40, -v3 :: v_dual_fmac_f32 v41, v43, v40
	v_dual_add_f32 v38, v38, v3 :: v_dual_add_f32 v39, v39, v41
	s_or_b32 exec_lo, exec_lo, s23
	s_and_saveexec_b32 s23, s17
	s_cbranch_execz .LBB68_376
.LBB68_1081:                            ;   in Loop: Header=BB68_3 Depth=1
	ds_load_b64 v[40:41], v69 offset:10432
	ds_load_b64 v[42:43], v55 offset:8352
	s_wait_dscnt 0x0
	v_dual_mul_f32 v3, v43, v41 :: v_dual_mul_f32 v41, v42, v41
	s_delay_alu instid0(VALU_DEP_1) | instskip(NEXT) | instid1(VALU_DEP_1)
	v_dual_fma_f32 v3, v42, v40, -v3 :: v_dual_fmac_f32 v41, v43, v40
	v_dual_add_f32 v38, v38, v3 :: v_dual_add_f32 v39, v39, v41
	s_or_b32 exec_lo, exec_lo, s23
	s_and_saveexec_b32 s23, s18
	s_cbranch_execz .LBB68_377
.LBB68_1082:                            ;   in Loop: Header=BB68_3 Depth=1
	ds_load_b64 v[40:41], v70 offset:10944
	ds_load_b64 v[42:43], v55 offset:8360
	s_wait_dscnt 0x0
	v_dual_mul_f32 v3, v43, v41 :: v_dual_mul_f32 v95, v42, v41
	s_delay_alu instid0(VALU_DEP_1) | instskip(NEXT) | instid1(VALU_DEP_2)
	v_fma_f32 v94, v42, v40, -v3
	v_fmac_f32_e32 v95, v43, v40
	s_delay_alu instid0(VALU_DEP_1)
	v_pk_add_f32 v[38:39], v[38:39], v[94:95]
	s_or_b32 exec_lo, exec_lo, s23
	s_and_saveexec_b32 s23, s4
	s_cbranch_execz .LBB68_378
.LBB68_1083:                            ;   in Loop: Header=BB68_3 Depth=1
	ds_load_b64 v[40:41], v69 offset:11456
	ds_load_b64 v[42:43], v55 offset:8368
	s_wait_dscnt 0x0
	v_pk_mul_f32 v[94:95], v[42:43], v[40:41] op_sel:[1,1] op_sel_hi:[0,1]
	s_delay_alu instid0(VALU_DEP_1) | instskip(SKIP_1) | instid1(VALU_DEP_2)
	v_pk_fma_f32 v[96:97], v[42:43], v[40:41], v[94:95] op_sel_hi:[1,0,1]
	v_pk_fma_f32 v[40:41], v[42:43], v[40:41], v[94:95] neg_lo:[0,0,1] neg_hi:[0,0,1]
	v_mov_b32_e32 v41, v97
	s_delay_alu instid0(VALU_DEP_1)
	v_pk_add_f32 v[38:39], v[38:39], v[40:41]
	s_or_b32 exec_lo, exec_lo, s23
	s_and_saveexec_b32 s23, s13
	s_cbranch_execnz .LBB68_379
	s_branch .LBB68_380
.LBB68_1084:                            ;   in Loop: Header=BB68_3 Depth=1
	ds_load_b64 v[40:41], v66 offset:13024
	ds_load_b64 v[42:43], v51 offset:12488
	s_wait_dscnt 0x0
	v_dual_mul_f32 v3, v43, v41 :: v_dual_mul_f32 v41, v42, v41
	s_delay_alu instid0(VALU_DEP_1) | instskip(NEXT) | instid1(VALU_DEP_1)
	v_dual_fma_f32 v3, v42, v40, -v3 :: v_dual_fmac_f32 v41, v43, v40
	v_dual_add_f32 v38, v38, v3 :: v_dual_add_f32 v39, v39, v41
	s_or_b32 exec_lo, exec_lo, s23
	s_and_saveexec_b32 s23, s13
	s_cbranch_execz .LBB68_436
.LBB68_1085:                            ;   in Loop: Header=BB68_3 Depth=1
	ds_load_b64 v[40:41], v65 offset:13536
	ds_load_b64 v[42:43], v51 offset:12496
	s_wait_dscnt 0x0
	v_dual_mul_f32 v3, v43, v41 :: v_dual_mul_f32 v41, v42, v41
	s_delay_alu instid0(VALU_DEP_1) | instskip(NEXT) | instid1(VALU_DEP_1)
	v_dual_fma_f32 v3, v42, v40, -v3 :: v_dual_fmac_f32 v41, v43, v40
	v_dual_add_f32 v38, v38, v3 :: v_dual_add_f32 v39, v39, v41
	s_or_b32 exec_lo, exec_lo, s23
	s_and_saveexec_b32 s23, s2
	s_cbranch_execnz .LBB68_437
	s_branch .LBB68_438
.LBB68_1086:                            ;   in Loop: Header=BB68_3 Depth=1
	ds_load_b64 v[42:43], v40 offset:15104
	ds_load_b64 v[94:95], v3 offset:232
	s_wait_dscnt 0x0
	v_pk_mul_f32 v[96:97], v[94:95], v[42:43] op_sel:[1,1] op_sel_hi:[0,1]
	s_delay_alu instid0(VALU_DEP_1) | instskip(SKIP_1) | instid1(VALU_DEP_2)
	v_pk_fma_f32 v[98:99], v[94:95], v[42:43], v[96:97] op_sel_hi:[1,0,1]
	v_pk_fma_f32 v[42:43], v[94:95], v[42:43], v[96:97] neg_lo:[0,0,1] neg_hi:[0,0,1]
	v_mov_b32_e32 v43, v99
	s_delay_alu instid0(VALU_DEP_1)
	v_pk_add_f32 v[38:39], v[38:39], v[42:43]
	s_or_b32 exec_lo, exec_lo, s23
	s_and_saveexec_b32 s23, s5
	s_cbranch_execz .LBB68_534
.LBB68_1087:                            ;   in Loop: Header=BB68_3 Depth=1
	ds_load_b64 v[40:41], v40 offset:15616
	ds_load_b64 v[42:43], v3 offset:240
	s_wait_dscnt 0x0
	v_pk_mul_f32 v[94:95], v[42:43], v[40:41] op_sel:[1,1] op_sel_hi:[0,1]
	s_delay_alu instid0(VALU_DEP_1) | instskip(SKIP_1) | instid1(VALU_DEP_2)
	v_pk_fma_f32 v[96:97], v[42:43], v[40:41], v[94:95] op_sel_hi:[1,0,1]
	v_pk_fma_f32 v[40:41], v[42:43], v[40:41], v[94:95] neg_lo:[0,0,1] neg_hi:[0,0,1]
	v_mov_b32_e32 v41, v97
	s_delay_alu instid0(VALU_DEP_1)
	v_pk_add_f32 v[38:39], v[38:39], v[40:41]
	s_or_b32 exec_lo, exec_lo, s23
	s_and_saveexec_b32 s23, s17
	s_cbranch_execnz .LBB68_535
	s_branch .LBB68_536
.LBB68_1088:                            ;   in Loop: Header=BB68_3 Depth=1
	ds_load_b64 v[40:41], v66 offset:17184
	ds_load_b64 v[42:43], v51 offset:16648
	s_wait_dscnt 0x0
	v_dual_mul_f32 v3, v43, v41 :: v_dual_mul_f32 v41, v42, v41
	s_delay_alu instid0(VALU_DEP_1) | instskip(NEXT) | instid1(VALU_DEP_1)
	v_dual_fma_f32 v3, v42, v40, -v3 :: v_dual_fmac_f32 v41, v43, v40
	v_dual_add_f32 v38, v38, v3 :: v_dual_add_f32 v39, v39, v41
	s_or_b32 exec_lo, exec_lo, s23
	s_and_saveexec_b32 s23, s13
	s_cbranch_execz .LBB68_580
.LBB68_1089:                            ;   in Loop: Header=BB68_3 Depth=1
	ds_load_b64 v[40:41], v65 offset:17696
	ds_load_b64 v[42:43], v51 offset:16656
	s_wait_dscnt 0x0
	v_dual_mul_f32 v3, v43, v41 :: v_dual_mul_f32 v41, v42, v41
	s_delay_alu instid0(VALU_DEP_1) | instskip(NEXT) | instid1(VALU_DEP_1)
	v_dual_fma_f32 v3, v42, v40, -v3 :: v_dual_fmac_f32 v41, v43, v40
	v_dual_add_f32 v38, v38, v3 :: v_dual_add_f32 v39, v39, v41
	s_or_b32 exec_lo, exec_lo, s23
	s_and_saveexec_b32 s23, s2
	s_cbranch_execnz .LBB68_581
	s_branch .LBB68_582
.LBB68_1090:                            ;   in Loop: Header=BB68_3 Depth=1
	ds_load_b64 v[40:41], v70 offset:17216
	ds_load_b64 v[42:43], v55 offset:16648
	s_wait_dscnt 0x0
	v_dual_mul_f32 v3, v43, v41 :: v_dual_mul_f32 v41, v42, v41
	s_delay_alu instid0(VALU_DEP_1) | instskip(NEXT) | instid1(VALU_DEP_1)
	v_dual_fma_f32 v3, v42, v40, -v3 :: v_dual_fmac_f32 v41, v43, v40
	v_dual_add_f32 v38, v38, v3 :: v_dual_add_f32 v39, v39, v41
	s_or_b32 exec_lo, exec_lo, s23
	s_and_saveexec_b32 s23, s15
	s_cbranch_execz .LBB68_622
.LBB68_1091:                            ;   in Loop: Header=BB68_3 Depth=1
	ds_load_b64 v[40:41], v70 offset:17728
	ds_load_b64 v[42:43], v55 offset:16656
	s_wait_dscnt 0x0
	v_dual_mul_f32 v3, v43, v41 :: v_dual_mul_f32 v41, v42, v41
	s_delay_alu instid0(VALU_DEP_1) | instskip(NEXT) | instid1(VALU_DEP_1)
	v_dual_fma_f32 v3, v42, v40, -v3 :: v_dual_fmac_f32 v41, v43, v40
	v_dual_add_f32 v38, v38, v3 :: v_dual_add_f32 v39, v39, v41
	s_or_b32 exec_lo, exec_lo, s23
	s_and_saveexec_b32 s23, s16
	s_cbranch_execz .LBB68_623
.LBB68_1092:                            ;   in Loop: Header=BB68_3 Depth=1
	ds_load_b64 v[40:41], v70 offset:18240
	ds_load_b64 v[42:43], v55 offset:16664
	s_wait_dscnt 0x0
	v_dual_mul_f32 v3, v43, v41 :: v_dual_mul_f32 v41, v42, v41
	s_delay_alu instid0(VALU_DEP_1) | instskip(NEXT) | instid1(VALU_DEP_1)
	v_dual_fma_f32 v3, v42, v40, -v3 :: v_dual_fmac_f32 v41, v43, v40
	v_dual_add_f32 v38, v38, v3 :: v_dual_add_f32 v39, v39, v41
	s_or_b32 exec_lo, exec_lo, s23
	s_and_saveexec_b32 s23, s17
	s_cbranch_execz .LBB68_624
.LBB68_1093:                            ;   in Loop: Header=BB68_3 Depth=1
	ds_load_b64 v[40:41], v69 offset:18752
	ds_load_b64 v[42:43], v55 offset:16672
	s_wait_dscnt 0x0
	v_dual_mul_f32 v3, v43, v41 :: v_dual_mul_f32 v41, v42, v41
	s_delay_alu instid0(VALU_DEP_1) | instskip(NEXT) | instid1(VALU_DEP_1)
	v_dual_fma_f32 v3, v42, v40, -v3 :: v_dual_fmac_f32 v41, v43, v40
	v_dual_add_f32 v38, v38, v3 :: v_dual_add_f32 v39, v39, v41
	s_or_b32 exec_lo, exec_lo, s23
	s_and_saveexec_b32 s23, s18
	s_cbranch_execz .LBB68_625
.LBB68_1094:                            ;   in Loop: Header=BB68_3 Depth=1
	ds_load_b64 v[40:41], v70 offset:19264
	ds_load_b64 v[42:43], v55 offset:16680
	s_wait_dscnt 0x0
	v_dual_mul_f32 v3, v43, v41 :: v_dual_mul_f32 v95, v42, v41
	s_delay_alu instid0(VALU_DEP_1) | instskip(NEXT) | instid1(VALU_DEP_2)
	v_fma_f32 v94, v42, v40, -v3
	v_fmac_f32_e32 v95, v43, v40
	s_delay_alu instid0(VALU_DEP_1)
	v_pk_add_f32 v[38:39], v[38:39], v[94:95]
	s_or_b32 exec_lo, exec_lo, s23
	s_and_saveexec_b32 s23, s4
	s_cbranch_execz .LBB68_626
.LBB68_1095:                            ;   in Loop: Header=BB68_3 Depth=1
	ds_load_b64 v[40:41], v69 offset:19776
	ds_load_b64 v[42:43], v55 offset:16688
	s_wait_dscnt 0x0
	v_pk_mul_f32 v[94:95], v[42:43], v[40:41] op_sel:[1,1] op_sel_hi:[0,1]
	s_delay_alu instid0(VALU_DEP_1) | instskip(SKIP_1) | instid1(VALU_DEP_2)
	v_pk_fma_f32 v[96:97], v[42:43], v[40:41], v[94:95] op_sel_hi:[1,0,1]
	v_pk_fma_f32 v[40:41], v[42:43], v[40:41], v[94:95] neg_lo:[0,0,1] neg_hi:[0,0,1]
	v_mov_b32_e32 v41, v97
	s_delay_alu instid0(VALU_DEP_1)
	v_pk_add_f32 v[38:39], v[38:39], v[40:41]
	s_or_b32 exec_lo, exec_lo, s23
	s_and_saveexec_b32 s23, s13
	s_cbranch_execnz .LBB68_627
	s_branch .LBB68_628
.LBB68_1096:                            ;   in Loop: Header=BB68_3 Depth=1
	ds_load_b64 v[40:41], v66 offset:21344
	ds_load_b64 v[42:43], v51 offset:20808
	s_wait_dscnt 0x0
	v_dual_mul_f32 v3, v43, v41 :: v_dual_mul_f32 v41, v42, v41
	s_delay_alu instid0(VALU_DEP_1) | instskip(NEXT) | instid1(VALU_DEP_1)
	v_dual_fma_f32 v3, v42, v40, -v3 :: v_dual_fmac_f32 v41, v43, v40
	v_dual_add_f32 v38, v38, v3 :: v_dual_add_f32 v39, v39, v41
	s_or_b32 exec_lo, exec_lo, s23
	s_and_saveexec_b32 s23, s13
	s_cbranch_execz .LBB68_684
.LBB68_1097:                            ;   in Loop: Header=BB68_3 Depth=1
	ds_load_b64 v[40:41], v65 offset:21856
	ds_load_b64 v[42:43], v51 offset:20816
	s_wait_dscnt 0x0
	v_dual_mul_f32 v3, v43, v41 :: v_dual_mul_f32 v41, v42, v41
	s_delay_alu instid0(VALU_DEP_1) | instskip(NEXT) | instid1(VALU_DEP_1)
	v_dual_fma_f32 v3, v42, v40, -v3 :: v_dual_fmac_f32 v41, v43, v40
	v_dual_add_f32 v38, v38, v3 :: v_dual_add_f32 v39, v39, v41
	s_or_b32 exec_lo, exec_lo, s23
	s_and_saveexec_b32 s23, s2
	s_cbranch_execnz .LBB68_685
	s_branch .LBB68_686
.LBB68_1098:                            ;   in Loop: Header=BB68_3 Depth=1
	ds_load_b64 v[40:41], v73 offset:22400
	ds_load_b64 v[42:43], v57 offset:16728
	s_wait_dscnt 0x0
	v_dual_mul_f32 v3, v43, v41 :: v_dual_mul_f32 v41, v42, v41
	s_delay_alu instid0(VALU_DEP_1) | instskip(NEXT) | instid1(VALU_DEP_1)
	v_dual_fma_f32 v3, v42, v40, -v3 :: v_dual_fmac_f32 v41, v43, v40
	v_dual_add_f32 v38, v38, v3 :: v_dual_add_f32 v39, v39, v41
	s_or_b32 exec_lo, exec_lo, s23
	s_and_saveexec_b32 s23, s5
	s_cbranch_execz .LBB68_746
.LBB68_1099:                            ;   in Loop: Header=BB68_3 Depth=1
	ds_load_b64 v[40:41], v72 offset:22912
	ds_load_b64 v[42:43], v57 offset:16736
	s_wait_dscnt 0x0
	v_dual_mul_f32 v3, v43, v41 :: v_dual_mul_f32 v41, v42, v41
	s_delay_alu instid0(VALU_DEP_1) | instskip(NEXT) | instid1(VALU_DEP_1)
	v_dual_fma_f32 v3, v42, v40, -v3 :: v_dual_fmac_f32 v41, v43, v40
	v_dual_add_f32 v38, v38, v3 :: v_dual_add_f32 v39, v39, v41
	s_or_b32 exec_lo, exec_lo, s23
	s_and_saveexec_b32 s23, s15
	s_cbranch_execz .LBB68_747
.LBB68_1100:                            ;   in Loop: Header=BB68_3 Depth=1
	ds_load_b64 v[40:41], v73 offset:23424
	ds_load_b64 v[42:43], v57 offset:16744
	s_wait_dscnt 0x0
	v_dual_mul_f32 v3, v43, v41 :: v_dual_mul_f32 v41, v42, v41
	s_delay_alu instid0(VALU_DEP_1) | instskip(NEXT) | instid1(VALU_DEP_1)
	v_dual_fma_f32 v3, v42, v40, -v3 :: v_dual_fmac_f32 v41, v43, v40
	v_dual_add_f32 v38, v38, v3 :: v_dual_add_f32 v39, v39, v41
	s_or_b32 exec_lo, exec_lo, s23
	s_and_saveexec_b32 s23, s17
	s_cbranch_execz .LBB68_748
.LBB68_1101:                            ;   in Loop: Header=BB68_3 Depth=1
	ds_load_b64 v[40:41], v72 offset:23936
	ds_load_b64 v[42:43], v57 offset:16752
	s_wait_dscnt 0x0
	v_dual_mul_f32 v3, v43, v41 :: v_dual_mul_f32 v41, v42, v41
	s_delay_alu instid0(VALU_DEP_1) | instskip(NEXT) | instid1(VALU_DEP_1)
	v_dual_fma_f32 v3, v42, v40, -v3 :: v_dual_fmac_f32 v41, v43, v40
	v_dual_add_f32 v38, v38, v3 :: v_dual_add_f32 v39, v39, v41
	s_or_b32 exec_lo, exec_lo, s23
	s_and_saveexec_b32 s23, s4
	s_cbranch_execnz .LBB68_749
	s_branch .LBB68_750
.LBB68_1102:                            ;   in Loop: Header=BB68_3 Depth=1
	ds_load_b64 v[40:41], v66 offset:25504
	ds_load_b64 v[42:43], v51 offset:24968
	s_wait_dscnt 0x0
	v_dual_mul_f32 v3, v43, v41 :: v_dual_mul_f32 v41, v42, v41
	s_delay_alu instid0(VALU_DEP_1) | instskip(NEXT) | instid1(VALU_DEP_1)
	v_dual_fma_f32 v3, v42, v40, -v3 :: v_dual_fmac_f32 v41, v43, v40
	v_dual_add_f32 v38, v38, v3 :: v_dual_add_f32 v39, v39, v41
	s_or_b32 exec_lo, exec_lo, s23
	s_and_saveexec_b32 s23, s13
	s_cbranch_execz .LBB68_838
.LBB68_1103:                            ;   in Loop: Header=BB68_3 Depth=1
	ds_load_b64 v[40:41], v65 offset:26016
	ds_load_b64 v[42:43], v51 offset:24976
	s_wait_dscnt 0x0
	v_dual_mul_f32 v3, v43, v41 :: v_dual_mul_f32 v41, v42, v41
	s_delay_alu instid0(VALU_DEP_1) | instskip(NEXT) | instid1(VALU_DEP_1)
	v_dual_fma_f32 v3, v42, v40, -v3 :: v_dual_fmac_f32 v41, v43, v40
	v_dual_add_f32 v38, v38, v3 :: v_dual_add_f32 v39, v39, v41
	s_or_b32 exec_lo, exec_lo, s23
	s_and_saveexec_b32 s23, s2
	s_cbranch_execnz .LBB68_839
	s_branch .LBB68_840
.LBB68_1104:                            ;   in Loop: Header=BB68_3 Depth=1
	ds_load_b64 v[40:41], v70 offset:25536
	ds_load_b64 v[42:43], v55 offset:24968
	s_wait_dscnt 0x0
	v_dual_mul_f32 v3, v43, v41 :: v_dual_mul_f32 v41, v42, v41
	s_delay_alu instid0(VALU_DEP_1) | instskip(NEXT) | instid1(VALU_DEP_1)
	v_dual_fma_f32 v3, v42, v40, -v3 :: v_dual_fmac_f32 v41, v43, v40
	v_dual_add_f32 v38, v38, v3 :: v_dual_add_f32 v39, v39, v41
	s_or_b32 exec_lo, exec_lo, s23
	s_and_saveexec_b32 s23, s15
	s_cbranch_execz .LBB68_880
.LBB68_1105:                            ;   in Loop: Header=BB68_3 Depth=1
	ds_load_b64 v[40:41], v70 offset:26048
	ds_load_b64 v[42:43], v55 offset:24976
	s_wait_dscnt 0x0
	v_dual_mul_f32 v3, v43, v41 :: v_dual_mul_f32 v41, v42, v41
	s_delay_alu instid0(VALU_DEP_1) | instskip(NEXT) | instid1(VALU_DEP_1)
	v_dual_fma_f32 v3, v42, v40, -v3 :: v_dual_fmac_f32 v41, v43, v40
	v_dual_add_f32 v38, v38, v3 :: v_dual_add_f32 v39, v39, v41
	s_or_b32 exec_lo, exec_lo, s23
	s_and_saveexec_b32 s23, s16
	s_cbranch_execz .LBB68_881
.LBB68_1106:                            ;   in Loop: Header=BB68_3 Depth=1
	ds_load_b64 v[40:41], v70 offset:26560
	ds_load_b64 v[42:43], v55 offset:24984
	s_wait_dscnt 0x0
	v_dual_mul_f32 v3, v43, v41 :: v_dual_mul_f32 v41, v42, v41
	s_delay_alu instid0(VALU_DEP_1) | instskip(NEXT) | instid1(VALU_DEP_1)
	v_dual_fma_f32 v3, v42, v40, -v3 :: v_dual_fmac_f32 v41, v43, v40
	v_dual_add_f32 v38, v38, v3 :: v_dual_add_f32 v39, v39, v41
	s_or_b32 exec_lo, exec_lo, s23
	s_and_saveexec_b32 s23, s17
	s_cbranch_execz .LBB68_882
.LBB68_1107:                            ;   in Loop: Header=BB68_3 Depth=1
	ds_load_b64 v[40:41], v69 offset:27072
	ds_load_b64 v[42:43], v55 offset:24992
	s_wait_dscnt 0x0
	v_dual_mul_f32 v3, v43, v41 :: v_dual_mul_f32 v41, v42, v41
	s_delay_alu instid0(VALU_DEP_1) | instskip(NEXT) | instid1(VALU_DEP_1)
	v_dual_fma_f32 v3, v42, v40, -v3 :: v_dual_fmac_f32 v41, v43, v40
	v_dual_add_f32 v38, v38, v3 :: v_dual_add_f32 v39, v39, v41
	s_or_b32 exec_lo, exec_lo, s23
	s_and_saveexec_b32 s23, s18
	s_cbranch_execz .LBB68_883
.LBB68_1108:                            ;   in Loop: Header=BB68_3 Depth=1
	ds_load_b64 v[40:41], v70 offset:27584
	ds_load_b64 v[42:43], v55 offset:25000
	s_wait_dscnt 0x0
	v_dual_mul_f32 v3, v43, v41 :: v_dual_mul_f32 v95, v42, v41
	s_delay_alu instid0(VALU_DEP_1) | instskip(NEXT) | instid1(VALU_DEP_2)
	v_fma_f32 v94, v42, v40, -v3
	v_fmac_f32_e32 v95, v43, v40
	s_delay_alu instid0(VALU_DEP_1)
	v_pk_add_f32 v[38:39], v[38:39], v[94:95]
	s_or_b32 exec_lo, exec_lo, s23
	s_and_saveexec_b32 s23, s4
	s_cbranch_execz .LBB68_884
.LBB68_1109:                            ;   in Loop: Header=BB68_3 Depth=1
	ds_load_b64 v[40:41], v69 offset:28096
	ds_load_b64 v[42:43], v55 offset:25008
	s_wait_dscnt 0x0
	v_pk_mul_f32 v[94:95], v[42:43], v[40:41] op_sel:[1,1] op_sel_hi:[0,1]
	s_delay_alu instid0(VALU_DEP_1) | instskip(SKIP_1) | instid1(VALU_DEP_2)
	v_pk_fma_f32 v[96:97], v[42:43], v[40:41], v[94:95] op_sel_hi:[1,0,1]
	v_pk_fma_f32 v[40:41], v[42:43], v[40:41], v[94:95] neg_lo:[0,0,1] neg_hi:[0,0,1]
	v_mov_b32_e32 v41, v97
	s_delay_alu instid0(VALU_DEP_1)
	v_pk_add_f32 v[38:39], v[38:39], v[40:41]
	s_or_b32 exec_lo, exec_lo, s23
	s_and_saveexec_b32 s23, s13
	s_cbranch_execnz .LBB68_885
	s_branch .LBB68_886
.LBB68_1110:                            ;   in Loop: Header=BB68_3 Depth=1
	ds_load_b64 v[40:41], v66 offset:29664
	ds_load_b64 v[42:43], v51 offset:29128
	s_wait_dscnt 0x0
	v_dual_mul_f32 v3, v43, v41 :: v_dual_mul_f32 v41, v42, v41
	s_delay_alu instid0(VALU_DEP_1) | instskip(NEXT) | instid1(VALU_DEP_1)
	v_dual_fma_f32 v3, v42, v40, -v3 :: v_dual_fmac_f32 v41, v43, v40
	v_dual_add_f32 v38, v38, v3 :: v_dual_add_f32 v39, v39, v41
	s_or_b32 exec_lo, exec_lo, s23
	s_and_saveexec_b32 s23, s13
	s_cbranch_execz .LBB68_942
.LBB68_1111:                            ;   in Loop: Header=BB68_3 Depth=1
	ds_load_b64 v[40:41], v65 offset:30176
	ds_load_b64 v[42:43], v51 offset:29136
	s_wait_dscnt 0x0
	v_dual_mul_f32 v3, v43, v41 :: v_dual_mul_f32 v41, v42, v41
	s_delay_alu instid0(VALU_DEP_1) | instskip(NEXT) | instid1(VALU_DEP_1)
	v_dual_fma_f32 v3, v42, v40, -v3 :: v_dual_fmac_f32 v41, v43, v40
	v_dual_add_f32 v38, v38, v3 :: v_dual_add_f32 v39, v39, v41
	s_or_b32 exec_lo, exec_lo, s23
	s_and_saveexec_b32 s23, s2
	s_cbranch_execnz .LBB68_943
	s_branch .LBB68_944
.LBB68_1112:
	s_endpgm
	.section	.rodata,"a",@progbits
	.p2align	6, 0x0
	.amdhsa_kernel _ZL19rocblas_trsv_deviceILi64ELi16ELb1ELb1ELb0ELb1E19rocblas_complex_numIfES1_PKS1_PS1_EviT7_lllT6_T8_lllPii
		.amdhsa_group_segment_fixed_size 41480
		.amdhsa_private_segment_fixed_size 48
		.amdhsa_kernarg_size 352
		.amdhsa_user_sgpr_count 2
		.amdhsa_user_sgpr_dispatch_ptr 0
		.amdhsa_user_sgpr_queue_ptr 0
		.amdhsa_user_sgpr_kernarg_segment_ptr 1
		.amdhsa_user_sgpr_dispatch_id 0
		.amdhsa_user_sgpr_kernarg_preload_length 0
		.amdhsa_user_sgpr_kernarg_preload_offset 0
		.amdhsa_user_sgpr_private_segment_size 0
		.amdhsa_wavefront_size32 1
		.amdhsa_uses_dynamic_stack 0
		.amdhsa_enable_private_segment 1
		.amdhsa_system_sgpr_workgroup_id_x 1
		.amdhsa_system_sgpr_workgroup_id_y 0
		.amdhsa_system_sgpr_workgroup_id_z 1
		.amdhsa_system_sgpr_workgroup_info 0
		.amdhsa_system_vgpr_workitem_id 1
		.amdhsa_next_free_vgpr 104
		.amdhsa_next_free_sgpr 105
		.amdhsa_named_barrier_count 0
		.amdhsa_reserve_vcc 1
		.amdhsa_float_round_mode_32 0
		.amdhsa_float_round_mode_16_64 0
		.amdhsa_float_denorm_mode_32 3
		.amdhsa_float_denorm_mode_16_64 3
		.amdhsa_fp16_overflow 0
		.amdhsa_memory_ordered 1
		.amdhsa_forward_progress 1
		.amdhsa_inst_pref_size 255
		.amdhsa_round_robin_scheduling 0
		.amdhsa_exception_fp_ieee_invalid_op 0
		.amdhsa_exception_fp_denorm_src 0
		.amdhsa_exception_fp_ieee_div_zero 0
		.amdhsa_exception_fp_ieee_overflow 0
		.amdhsa_exception_fp_ieee_underflow 0
		.amdhsa_exception_fp_ieee_inexact 0
		.amdhsa_exception_int_div_zero 0
	.end_amdhsa_kernel
	.section	.text._ZL19rocblas_trsv_deviceILi64ELi16ELb1ELb1ELb0ELb1E19rocblas_complex_numIfES1_PKS1_PS1_EviT7_lllT6_T8_lllPii,"axG",@progbits,_ZL19rocblas_trsv_deviceILi64ELi16ELb1ELb1ELb0ELb1E19rocblas_complex_numIfES1_PKS1_PS1_EviT7_lllT6_T8_lllPii,comdat
.Lfunc_end68:
	.size	_ZL19rocblas_trsv_deviceILi64ELi16ELb1ELb1ELb0ELb1E19rocblas_complex_numIfES1_PKS1_PS1_EviT7_lllT6_T8_lllPii, .Lfunc_end68-_ZL19rocblas_trsv_deviceILi64ELi16ELb1ELb1ELb0ELb1E19rocblas_complex_numIfES1_PKS1_PS1_EviT7_lllT6_T8_lllPii
                                        ; -- End function
	.set _ZL19rocblas_trsv_deviceILi64ELi16ELb1ELb1ELb0ELb1E19rocblas_complex_numIfES1_PKS1_PS1_EviT7_lllT6_T8_lllPii.num_vgpr, 104
	.set _ZL19rocblas_trsv_deviceILi64ELi16ELb1ELb1ELb0ELb1E19rocblas_complex_numIfES1_PKS1_PS1_EviT7_lllT6_T8_lllPii.num_agpr, 0
	.set _ZL19rocblas_trsv_deviceILi64ELi16ELb1ELb1ELb0ELb1E19rocblas_complex_numIfES1_PKS1_PS1_EviT7_lllT6_T8_lllPii.numbered_sgpr, 105
	.set _ZL19rocblas_trsv_deviceILi64ELi16ELb1ELb1ELb0ELb1E19rocblas_complex_numIfES1_PKS1_PS1_EviT7_lllT6_T8_lllPii.num_named_barrier, 0
	.set _ZL19rocblas_trsv_deviceILi64ELi16ELb1ELb1ELb0ELb1E19rocblas_complex_numIfES1_PKS1_PS1_EviT7_lllT6_T8_lllPii.private_seg_size, 48
	.set _ZL19rocblas_trsv_deviceILi64ELi16ELb1ELb1ELb0ELb1E19rocblas_complex_numIfES1_PKS1_PS1_EviT7_lllT6_T8_lllPii.uses_vcc, 1
	.set _ZL19rocblas_trsv_deviceILi64ELi16ELb1ELb1ELb0ELb1E19rocblas_complex_numIfES1_PKS1_PS1_EviT7_lllT6_T8_lllPii.uses_flat_scratch, 0
	.set _ZL19rocblas_trsv_deviceILi64ELi16ELb1ELb1ELb0ELb1E19rocblas_complex_numIfES1_PKS1_PS1_EviT7_lllT6_T8_lllPii.has_dyn_sized_stack, 0
	.set _ZL19rocblas_trsv_deviceILi64ELi16ELb1ELb1ELb0ELb1E19rocblas_complex_numIfES1_PKS1_PS1_EviT7_lllT6_T8_lllPii.has_recursion, 0
	.set _ZL19rocblas_trsv_deviceILi64ELi16ELb1ELb1ELb0ELb1E19rocblas_complex_numIfES1_PKS1_PS1_EviT7_lllT6_T8_lllPii.has_indirect_call, 0
	.section	.AMDGPU.csdata,"",@progbits
; Kernel info:
; codeLenInByte = 41428
; TotalNumSgprs: 107
; NumVgprs: 104
; ScratchSize: 48
; MemoryBound: 0
; FloatMode: 240
; IeeeMode: 1
; LDSByteSize: 41480 bytes/workgroup (compile time only)
; SGPRBlocks: 0
; VGPRBlocks: 6
; NumSGPRsForWavesPerEU: 107
; NumVGPRsForWavesPerEU: 104
; NamedBarCnt: 0
; Occupancy: 9
; WaveLimiterHint : 0
; COMPUTE_PGM_RSRC2:SCRATCH_EN: 1
; COMPUTE_PGM_RSRC2:USER_SGPR: 2
; COMPUTE_PGM_RSRC2:TRAP_HANDLER: 0
; COMPUTE_PGM_RSRC2:TGID_X_EN: 1
; COMPUTE_PGM_RSRC2:TGID_Y_EN: 0
; COMPUTE_PGM_RSRC2:TGID_Z_EN: 1
; COMPUTE_PGM_RSRC2:TIDIG_COMP_CNT: 1
	.section	.text._ZL19rocblas_trsv_deviceILi64ELi16ELb1ELb1ELb1ELb1E19rocblas_complex_numIfES1_PKS1_PS1_EviT7_lllT6_T8_lllPii,"axG",@progbits,_ZL19rocblas_trsv_deviceILi64ELi16ELb1ELb1ELb1ELb1E19rocblas_complex_numIfES1_PKS1_PS1_EviT7_lllT6_T8_lllPii,comdat
	.globl	_ZL19rocblas_trsv_deviceILi64ELi16ELb1ELb1ELb1ELb1E19rocblas_complex_numIfES1_PKS1_PS1_EviT7_lllT6_T8_lllPii ; -- Begin function _ZL19rocblas_trsv_deviceILi64ELi16ELb1ELb1ELb1ELb1E19rocblas_complex_numIfES1_PKS1_PS1_EviT7_lllT6_T8_lllPii
	.p2align	8
	.type	_ZL19rocblas_trsv_deviceILi64ELi16ELb1ELb1ELb1ELb1E19rocblas_complex_numIfES1_PKS1_PS1_EviT7_lllT6_T8_lllPii,@function
_ZL19rocblas_trsv_deviceILi64ELi16ELb1ELb1ELb1ELb1E19rocblas_complex_numIfES1_PKS1_PS1_EviT7_lllT6_T8_lllPii: ; @_ZL19rocblas_trsv_deviceILi64ELi16ELb1ELb1ELb1ELb1E19rocblas_complex_numIfES1_PKS1_PS1_EviT7_lllT6_T8_lllPii
; %bb.0:
	s_load_b32 s88, s[0:1], 0x58
	s_bfe_u32 s2, ttmp6, 0x40014
	s_lshr_b32 s3, ttmp7, 16
	s_add_co_i32 s2, s2, 1
	s_bfe_u32 s5, ttmp6, 0x40008
	s_mul_i32 s2, s3, s2
	s_getreg_b32 s4, hwreg(HW_REG_IB_STS2, 6, 4)
	s_add_co_i32 s5, s5, s2
	s_cmp_eq_u32 s4, 0
	s_mov_b32 s73, 0
	s_cselect_b32 s72, s3, s5
	s_wait_kmcnt 0x0
	s_cmp_ge_u32 s72, s88
	s_cbranch_scc1 .LBB69_1126
; %bb.1:
	s_clause 0x4
	s_load_b256 s[56:63], s[0:1], 0x8
	s_load_b256 s[64:71], s[0:1], 0x30
	s_load_b32 s2, s[0:1], 0x6c
	s_load_b32 s90, s[0:1], 0x60
	s_load_b32 s74, s[0:1], 0x0
	s_bfe_u32 s3, ttmp6, 0x4000c
	s_and_b32 s5, ttmp6, 15
	s_add_co_i32 s3, s3, 1
	v_dual_mov_b32 v5, 0 :: v_dual_bitop2_b32 v1, 1, v0 bitop3:0x40
	s_mul_i32 s3, ttmp9, s3
	v_and_b32_e32 v6, 0x3ff, v0
	s_add_co_i32 s3, s5, s3
	v_bfe_u32 v2, v0, 10, 10
	v_mov_b32_e32 v9, v5
                                        ; implicit-def: $vgpr106 : SGPR spill to VGPR lane
	v_cmp_eq_u32_e32 vcc_lo, 1, v1
	v_dual_lshlrev_b32 v3, 6, v6 :: v_dual_bitop2_b32 v15, 7, v0 bitop3:0x40
	s_delay_alu instid0(VALU_DEP_4)
	v_add_nc_u32_e32 v20, 32, v2
	v_lshl_add_u32 v29, v2, 6, v6
	s_wait_kmcnt 0x0
	s_lshl_b64 s[12:13], s[58:59], 3
	s_lshl_b64 s[14:15], s[66:67], 3
	s_cmp_eq_u32 s4, 0
	v_dual_add_nc_u32 v22, 48, v2 :: v_dual_bitop2_b32 v23, 15, v0 bitop3:0x40
	s_cselect_b32 s89, ttmp9, s3
	s_add_co_i32 s3, s74, -1
	s_ashr_i32 s75, s74, 31
	s_ashr_i32 s4, s3, 31
	s_lshr_b32 s5, s75, 26
	s_lshr_b32 s4, s4, 26
	s_add_co_i32 s5, s74, s5
	s_add_co_i32 s90, s90, -1
	s_add_co_i32 s3, s3, s4
	s_and_not1_b32 s5, s5, 63
	s_sub_co_i32 s30, s90, s89
	s_ashr_i32 s3, s3, 6
	s_and_b32 s2, s2, 0xffff
	s_sub_co_i32 s31, s74, s5
	s_cmp_eq_u32 s3, s30
	v_mad_u32_u24 v8, v2, s2, v6
	s_cselect_b32 s3, -1, 0
	s_cmp_lg_u32 s31, 0
	v_cmp_lt_u32_e64 s10, 1, v23
	s_cselect_b32 s4, -1, 0
	v_cmp_eq_u32_e64 s11, 2, v23
	s_and_b32 s21, s4, s3
	v_add_nc_u32_e32 v7, v2, v3
	s_xor_b32 s91, s21, -1
	s_cmp_lg_u32 s89, 0
	v_and_b32_e32 v14, 3, v0
	s_cselect_b32 s2, -1, 0
	s_lshl_b32 s18, s30, 6
	s_delay_alu instid0(SALU_CYCLE_1)
	v_dual_add_nc_u32 v4, 16, v2 :: v_dual_add_nc_u32 v18, s18, v2
	v_add_nc_u32_e32 v16, s18, v6
	s_cmp_lt_i32 s89, 5
	v_writelane_b32 v106, s2, 0
	s_cselect_b32 s2, -1, 0
	v_add_nc_u32_e32 v10, v4, v3
	v_lshl_add_u32 v11, v4, 6, v6
	s_or_b32 s7, s2, s21
	v_cndmask_b32_e64 v19, v29, v7, s2
	v_cmp_gt_u32_e64 s2, 4, v29
	s_add_nc_u64 s[4:5], s[60:61], 1
	s_ashr_i32 s19, s18, 31
	s_xor_b32 s3, vcc_lo, -1
	s_mul_u64 s[16:17], s[4:5], s[18:19]
	s_and_b32 s94, s3, s2
	s_and_b32 s95, vcc_lo, s2
	v_cmp_eq_u32_e64 s3, 0, v2
	v_cmp_gt_u32_e32 vcc_lo, 2, v6
	v_cmp_gt_u32_e64 s4, 16, v29
	v_cmp_ne_u32_e64 s6, 0, v14
	v_cmp_eq_u32_e64 s5, 0, v14
	v_cmp_eq_u32_e64 s8, 1, v14
	s_and_b32 s96, s3, vcc_lo
	v_cmp_eq_u32_e32 vcc_lo, 2, v14
	s_and_b32 s98, s6, s4
	v_cmp_eq_u32_e64 s6, 3, v14
	s_and_b32 s97, s5, s4
	v_cmp_gt_u32_e64 s5, 64, v29
	s_and_b32 s101, vcc_lo, s4
	v_cmp_ne_u32_e32 vcc_lo, 0, v15
	s_and_b32 s102, s6, s4
	v_cmp_eq_u32_e64 s6, 1, v15
	v_cmp_lt_u32_e64 s9, 1, v14
	s_and_b32 s99, s8, s4
	v_cmp_gt_u32_e64 s8, 4, v6
	s_and_b32 vcc_hi, vcc_lo, s5
	v_cmp_lt_u32_e32 vcc_lo, 2, v15
	s_and_b32 s38, s6, s5
	v_cmp_eq_u32_e64 s6, 3, v15
	s_and_b32 s100, s9, s4
	v_cmp_eq_u32_e64 s9, 0, v15
	s_and_b32 s103, s3, s8
	v_cmp_lt_u32_e64 s8, 1, v15
	s_and_b32 s41, vcc_lo, s5
	v_cmp_lt_u32_e32 vcc_lo, 3, v15
	s_and_b32 s42, s6, s5
	v_cmp_eq_u32_e64 s6, 5, v15
	s_and_b32 s104, s9, s5
	v_cmp_eq_u32_e64 s9, 2, v15
	;; [unrolled: 2-line block ×3, first 2 shown]
	s_and_b32 s43, vcc_lo, s5
	v_cmp_lt_u32_e32 vcc_lo, 5, v15
	s_and_b32 s46, s6, s5
	v_cmp_eq_u32_e64 s6, 6, v15
	s_and_b32 s40, s9, s5
	v_cmp_lt_u32_e64 s9, 4, v15
	s_and_b32 s44, s8, s5
	v_cmp_eq_u32_e64 s8, 7, v15
	s_and_b32 s47, vcc_lo, s5
	s_and_b32 s48, s6, s5
	v_cmp_gt_u32_e64 s6, 0x100, v29
	v_cmp_eq_u32_e32 vcc_lo, 0, v23
	s_and_b32 s45, s9, s5
	v_cmp_gt_u32_e64 s9, 8, v6
	s_and_b32 s49, s8, s5
	v_cmp_ne_u32_e64 s8, 0, v23
	s_and_b32 s20, vcc_lo, s6
	v_cmp_lt_u32_e32 vcc_lo, 2, v23
	v_writelane_b32 v106, s20, 1
	s_and_b32 s50, s3, s9
	v_cmp_eq_u32_e64 s9, 1, v23
	s_and_b32 s8, s8, s6
	s_and_b32 s20, vcc_lo, s6
	v_writelane_b32 v106, s8, 2
	v_cmp_eq_u32_e32 vcc_lo, 5, v23
	s_and_b32 s8, s9, s6
	v_cmp_lt_u32_e64 s9, 3, v23
	s_clause 0x1
	s_load_b64 s[66:67], s[0:1], 0x50
	s_load_b64 s[82:83], s[0:1], 0x28
	v_writelane_b32 v106, s8, 3
	s_and_b32 s8, s10, s6
	v_cmp_eq_u32_e64 s10, 4, v23
	s_wait_xcnt 0x0
	v_cmp_lt_u32_e64 s0, 13, v23
	v_cndmask_b32_e64 v21, v11, v10, s7
	v_writelane_b32 v106, s8, 4
	s_and_b32 s8, s11, s6
	v_cmp_lt_u32_e64 s11, 4, v23
	v_dual_add_nc_u32 v7, v20, v3 :: v_dual_add_nc_u32 v3, v22, v3
	v_writelane_b32 v106, s8, 5
	v_cmp_eq_u32_e64 s8, 3, v23
	v_lshl_add_u32 v10, v20, 6, v6
	v_lshl_add_u32 v11, v22, 6, v6
	v_cmp_eq_u32_e64 s1, 14, v23
	v_writelane_b32 v106, s20, 6
	s_and_b32 s8, s8, s6
	s_and_b32 s20, vcc_lo, s6
	v_cmp_lt_u32_e32 vcc_lo, 7, v23
	s_and_b32 s51, s0, s6
	v_writelane_b32 v106, s8, 7
	s_and_b32 s8, s9, s6
	v_cmp_eq_u32_e64 s9, 6, v23
	s_and_b32 s37, vcc_lo, s6
	v_cmp_eq_u32_e32 vcc_lo, 10, v23
	v_writelane_b32 v106, s8, 8
	s_and_b32 s8, s10, s6
	v_cmp_lt_u32_e64 s10, 6, v23
	s_and_b32 s34, s9, s6
	v_cmp_lt_u32_e64 s9, 8, v23
	v_writelane_b32 v106, s8, 9
	s_and_b32 s8, s11, s6
	v_cmp_eq_u32_e64 s11, 7, v23
	s_and_b32 s35, s10, s6
	v_cmp_eq_u32_e64 s10, 9, v23
	v_writelane_b32 v106, s8, 10
	v_cmp_lt_u32_e64 s8, 5, v23
	s_and_b32 s36, s11, s6
	v_cmp_lt_u32_e64 s11, 9, v23
	v_cmp_le_i32_e64 s0, s31, v6
	v_writelane_b32 v106, s20, 11
	s_and_b32 s29, s8, s6
	v_cmp_eq_u32_e64 s8, 8, v23
	s_and_b32 s20, vcc_lo, s6
	v_cmp_lt_u32_e32 vcc_lo, 12, v23
	s_xor_b32 s93, s7, -1
	v_dual_cndmask_b32 v24, v10, v7, s7 :: v_dual_lshlrev_b32 v7, 3, v6
	s_and_b32 s78, s8, s6
	v_cmp_lt_u32_e64 s8, 10, v23
	v_dual_cndmask_b32 v25, v11, v3, s7 :: v_dual_lshrrev_b32 v3, 2, v29
	s_and_b32 s28, vcc_lo, s6
	v_cmp_eq_u32_e32 vcc_lo, 15, v23
	v_cmp_gt_u32_e64 s7, 16, v6
	s_and_b32 s79, s9, s6
	s_and_b32 s76, s10, s6
	;; [unrolled: 1-line block ×3, first 2 shown]
	v_cmp_eq_u32_e64 s9, 11, v23
	v_cmp_lt_u32_e64 s10, 11, v23
	v_cmp_eq_u32_e64 s11, 12, v23
	s_and_b32 s22, s8, s6
	v_cmp_eq_u32_e64 s8, 13, v23
	s_and_b32 s52, s1, s6
	v_cmp_gt_u32_e64 s1, 32, v6
	s_and_b32 s54, s0, s21
	s_and_b32 s53, vcc_lo, s6
	s_and_b32 s55, s3, s7
	s_xor_b32 s7, s54, -1
	v_cmp_le_i32_e32 vcc_lo, s31, v2
	s_and_b32 s24, s9, s6
	s_and_b32 s26, s10, s6
	v_add_nc_u64_e32 v[12:13], s[18:19], v[8:9]
	s_and_b32 s19, s11, s6
	s_and_b32 s92, s8, s6
	;; [unrolled: 1-line block ×4, first 2 shown]
	s_wait_kmcnt 0x0
	s_xor_b32 s84, s83, 0x80000000
	s_cmp_gt_i32 s89, 0
	v_writelane_b32 v106, s1, 12
	s_cselect_b32 s59, -1, 0
	s_or_b32 s7, vcc_lo, s0
	v_cmp_le_i32_e32 vcc_lo, s31, v4
	v_dual_add_nc_u32 v10, 64, v18 :: v_dual_lshrrev_b32 v26, 1, v29
	v_add_nc_u32_e32 v39, 0x50, v18
	v_dual_lshlrev_b32 v67, 3, v14 :: v_dual_lshlrev_b32 v71, 3, v15
	s_or_b32 s8, vcc_lo, s0
	v_cmp_le_i32_e32 vcc_lo, s31, v20
	v_dual_lshlrev_b32 v27, 3, v3 :: v_dual_lshrrev_b32 v11, 10, v0
	v_mul_u32_u24_e32 v55, 0x208, v3
	v_lshl_or_b32 v72, v3, 9, v67
	s_or_b32 s9, vcc_lo, s0
	v_cmp_le_i32_e32 vcc_lo, s31, v22
	v_add_nc_u32_e32 v3, 0x60, v18
	v_dual_lshrrev_b32 v32, 4, v29 :: v_dual_bitop2_b32 v33, -8, v29 bitop3:0x40
	v_add_nc_u32_e32 v18, 0x70, v18
	s_or_b32 s10, vcc_lo, s0
	v_cmp_gt_i32_e32 vcc_lo, s31, v6
	s_delay_alu instid0(VALU_DEP_3)
	v_dual_lshrrev_b32 v34, 5, v29 :: v_dual_lshlrev_b32 v35, 3, v32
	v_dual_mov_b32 v23, v5 :: v_dual_lshlrev_b32 v74, 3, v23
	s_and_b32 s0, s3, vcc_lo
	v_cmp_gt_i32_e32 vcc_lo, s74, v10
	v_writelane_b32 v106, s0, 13
	v_cmp_gt_i32_e64 s0, s74, v16
	s_mov_b32 s85, s83
	s_mov_b32 s83, s82
	v_cmp_gt_u32_e64 s21, 0xf0, v29
                                        ; implicit-def: $vgpr97 : SGPR spill to VGPR lane
	v_mul_u32_u24_e32 v17, 0x1f8, v6
	s_and_b32 s1, vcc_lo, s0
	v_cmp_gt_i32_e32 vcc_lo, s74, v39
	v_writelane_b32 v106, s1, 14
	v_dual_sub_nc_u32 v28, v55, v27 :: v_dual_lshrrev_b32 v31, 3, v29
	v_mul_i32_i24_e32 v30, 0xfffffe08, v6
	s_and_b32 s1, vcc_lo, s0
	v_cmp_gt_i32_e32 vcc_lo, s74, v3
	v_writelane_b32 v106, s1, 15
	v_dual_lshlrev_b32 v62, 3, v34 :: v_dual_bitop2_b32 v63, 31, v0 bitop3:0x40
	v_bitop3_b32 v38, v0, v11, 0x3ff bitop3:0xa8
	s_and_b32 s1, vcc_lo, s0
	v_cmp_gt_i32_e32 vcc_lo, s74, v18
	v_writelane_b32 v106, s1, 16
	v_mul_u32_u24_e32 v59, 0x208, v31
	v_dual_lshlrev_b32 v66, 3, v63 :: v_dual_lshlrev_b32 v0, 3, v1
	s_and_b32 s1, vcc_lo, s0
	v_add_lshl_u32 v30, v17, v30, 2
	v_writelane_b32 v106, s1, 17
	v_cmp_le_u32_e64 s1, v6, v2
	v_dual_ashrrev_i32 v11, 31, v10 :: v_dual_ashrrev_i32 v17, 31, v16
	v_lshl_or_b32 v76, v31, 9, v71
	v_or_b32_e32 v31, v4, v6
	s_or_b32 s7, s7, s1
	v_lshl_add_u32 v56, v26, 3, 0x8000
	v_writelane_b32 v106, s7, 18
	v_cmp_le_u32_e64 s7, v6, v4
	v_mul_u32_u24_e32 v61, 0x208, v32
	v_sub_nc_u32_e32 v36, v59, v33
	v_lshl_or_b32 v68, v26, 9, v0
	v_mul_u32_u24_e32 v69, 0x208, v26
	s_or_b32 s8, s8, s7
	v_add_nc_u32_e32 v75, 0x8000, v33
	v_writelane_b32 v106, s8, 19
	v_cmp_le_u32_e64 s8, v6, v20
	v_mul_u64_e32 v[0:1], s[68:69], v[12:13]
	v_mul_u64_e32 v[12:13], s[60:61], v[16:17]
	v_mul_u64_e32 v[14:15], s[68:69], v[16:17]
	v_dual_lshlrev_b32 v26, 3, v2 :: v_dual_lshlrev_b32 v84, 3, v19
	s_or_b32 s9, s9, s8
	v_mul_u64_e32 v[16:17], s[60:61], v[4:5]
	v_writelane_b32 v106, s9, 20
	v_cmp_le_u32_e64 s9, v6, v22
	v_dual_lshlrev_b32 v4, 3, v6 :: v_dual_bitop2_b32 v33, v20, v6 bitop3:0x54
	v_sub_nc_u32_e32 v37, v61, v35
	v_add_nc_u32_e32 v78, 0x8000, v35
	s_or_b32 s10, s10, s9
	v_or_b32_e32 v88, 0xa000, v26
	v_writelane_b32 v106, s10, 21
	v_or_b32_e32 v35, v22, v6
	v_mad_u32_u24 v9, 0x1f8, v6, v7
	v_dual_mov_b32 v3, v5 :: v_dual_add_nc_u32 v70, 0x8000, v27
	v_writelane_b32 v106, s84, 22
	v_add_nc_u32_e32 v94, v88, v7
	s_delay_alu instid0(VALU_DEP_4) | instskip(SKIP_3) | instid1(VALU_DEP_4)
	v_mad_i32_i24 v47, 0xfffffe08, v6, v9
	v_dual_lshlrev_b32 v85, 3, v21 :: v_dual_lshlrev_b32 v86, 3, v24
	v_writelane_b32 v106, s85, 23
	v_mov_b32_e32 v21, v5
	v_mad_u32_u24 v48, 0x1f8, v6, v47
	v_lshlrev_b32_e32 v81, 9, v34
	v_cmp_lt_u32_e32 vcc_lo, 0x3ff, v29
	v_writelane_b32 v106, s82, 24
	v_mul_u64_e32 v[18:19], s[60:61], v[20:21]
	v_mad_i32_i24 v49, 0xfffffe08, v6, v48
	v_mul_u64_e32 v[20:21], s[60:61], v[22:23]
	v_mul_u64_e32 v[22:23], s[60:61], v[2:3]
	v_writelane_b32 v106, s83, 25
	v_add_nc_u32_e32 v65, 0x8000, v62
	v_mad_u32_u24 v50, 0x1f8, v6, v49
	s_add_nc_u64 s[80:81], s[56:57], s[12:13]
	s_add_nc_u64 s[64:65], s[64:65], s[14:15]
	v_writelane_b32 v106, s21, 26
	v_cmp_gt_u32_e64 s21, 0xe0, v29
	v_mad_i32_i24 v51, 0xfffffe08, v6, v50
	v_dual_add_nc_u32 v73, v28, v67 :: v_dual_add_nc_u32 v80, v37, v74
	v_dual_add_nc_u32 v77, v36, v71 :: v_dual_bitop2_b32 v82, v81, v66 bitop3:0x54
	s_delay_alu instid0(VALU_DEP_4)
	v_writelane_b32 v106, s21, 27
	v_cmp_gt_u32_e64 s21, 0xd0, v29
	v_mad_u32_u24 v52, 0x1f8, v6, v51
	v_lshl_or_b32 v79, v32, 9, v74
	s_add_co_i32 s57, s30, 1
	v_lshl_add_u32 v83, v8, 3, 0xa000
	v_writelane_b32 v106, s21, 28
	v_cmp_gt_u32_e64 s21, 0xc0, v29
	v_mad_i32_i24 v53, 0xfffffe08, v6, v52
	v_add3_u32 v90, v7, v30, 0x7800
	s_lshl_b64 s[82:83], s[16:17], 3
	v_lshl_add_u32 v91, v29, 3, 0x8000
	v_writelane_b32 v106, s21, 29
	v_cmp_gt_u32_e64 s21, 0xb0, v29
	v_mad_u32_u24 v54, 0x1f8, v6, v53
	v_add_nc_u32_e32 v92, 0x8000, v7
	v_or_b32_e32 v95, 0x4100, v66
	v_subrev_nc_u32_e32 v96, 63, v6
	v_writelane_b32 v106, s21, 30
	v_cmp_gt_u32_e64 s21, 0xa0, v29
	v_mad_i32_i24 v57, 0xfffffe08, v6, v54
	v_cmp_eq_u32_e64 s10, 0, v38
	v_cmp_gt_u32_e64 s11, 2, v29
	v_cmp_gt_u32_e64 s12, 12, v29
	v_writelane_b32 v106, s21, 31
	v_cmp_gt_u32_e64 s21, 0x90, v29
	v_mad_u32_u24 v58, 0x1f8, v6, v57
	v_lshl_add_u32 v93, v2, 9, v57
	v_cmp_gt_u32_e64 s13, 8, v29
	v_cmp_gt_u32_e64 s14, 56, v29
	v_writelane_b32 v97, s21, 0
	v_cmp_gt_u32_e64 s21, 0x80, v29
	v_mad_i32_i24 v60, 0xfffffe08, v6, v58
	v_cmp_gt_u32_e64 s15, 48, v29
	v_cmp_gt_u32_e64 s16, 40, v29
	;; [unrolled: 1-line block ×3, first 2 shown]
	v_writelane_b32 v97, s21, 1
	v_cmp_gt_u32_e64 s21, 0x70, v29
	v_mad_u32_u24 v64, 0x1f8, v6, v60
	v_lshlrev_b32_e32 v87, 3, v25
	v_mov_b64_e32 v[24:25], 0
	v_cmp_gt_u32_e64 s18, 24, v29
	v_writelane_b32 v97, s21, 2
	v_cmp_gt_u32_e64 s21, 0x60, v29
	v_add_nc_u32_e32 v89, v64, v26
	v_mov_b64_e32 v[26:27], 0x3f800000
	v_cmp_gt_u32_e64 s30, 0x400, v29
	v_cmp_eq_u32_e64 s31, 0, v8
	v_writelane_b32 v97, s21, 3
	v_cmp_gt_u32_e64 s21, 0x50, v29
	v_cmp_gt_u32_e64 s33, 64, v8
	s_xor_b32 s56, vcc_lo, -1
                                        ; implicit-def: $vgpr28
                                        ; implicit-def: $vgpr30
                                        ; implicit-def: $vgpr32
                                        ; implicit-def: $vgpr34
	v_writelane_b32 v97, s21, 4
	v_cmp_gt_u32_e64 s21, 64, v38
	s_delay_alu instid0(VALU_DEP_1) | instskip(SKIP_1) | instid1(VALU_DEP_1)
	v_writelane_b32 v97, s21, 5
	v_cmp_gt_u32_e64 s21, 64, v31
	v_writelane_b32 v97, s21, 6
	v_cmp_gt_u32_e64 s21, 64, v33
	s_delay_alu instid0(VALU_DEP_1) | instskip(SKIP_1) | instid1(VALU_DEP_1)
	v_writelane_b32 v97, s21, 7
	v_cmp_gt_u32_e64 s21, 64, v35
	;; [unrolled: 5-line block ×13, first 2 shown]
	v_writelane_b32 v97, s21, 30
	v_cmp_gt_u32_e64 s21, 0x120, v29
	s_delay_alu instid0(VALU_DEP_1)
	v_writelane_b32 v97, s21, 31
	s_branch .LBB69_3
.LBB69_2:                               ;   in Loop: Header=BB69_3 Depth=1
	s_wait_xcnt 0x0
	s_or_b32 exec_lo, exec_lo, s21
	s_add_co_i32 s72, s72, 0x10000
	global_wb scope:SCOPE_DEV
	s_wait_storecnt 0x0
	global_inv scope:SCOPE_DEV
	s_cmp_lt_u32 s72, s88
	s_cbranch_scc0 .LBB69_1126
.LBB69_3:                               ; =>This Loop Header: Depth=1
                                        ;     Child Loop BB69_537 Depth 2
                                        ;     Child Loop BB69_986 Depth 2
                                        ;       Child Loop BB69_988 Depth 3
                                        ;     Child Loop BB69_1032 Depth 2
	s_mul_u64 s[60:61], s[62:63], s[72:73]
	v_readlane_b32 s21, v106, 0
	s_lshl_b64 s[60:61], s[60:61], 3
	s_delay_alu instid0(SALU_CYCLE_1)
	s_add_nc_u64 s[84:85], s[80:81], s[60:61]
	s_and_not1_b32 vcc_lo, exec_lo, s21
	v_lshl_add_u64 v[36:37], v[12:13], 3, s[84:85]
	s_cbranch_vccnz .LBB69_13
; %bb.4:                                ;   in Loop: Header=BB69_3 Depth=1
	s_delay_alu instid0(VALU_DEP_1)
	v_lshl_add_u64 v[38:39], v[10:11], 3, v[36:37]
	v_dual_mov_b32 v30, 0 :: v_dual_mov_b32 v28, 0
	v_mov_b32_e32 v29, 0
	s_barrier_signal -1
	s_barrier_wait -1
	s_mov_b32 s21, exec_lo
	v_readlane_b32 s23, v106, 14
	s_and_b32 s23, s21, s23
	s_delay_alu instid0(SALU_CYCLE_1)
	s_mov_b32 exec_lo, s23
	s_cbranch_execz .LBB69_6
; %bb.5:                                ;   in Loop: Header=BB69_3 Depth=1
	global_load_b64 v[28:29], v[38:39], off
.LBB69_6:                               ;   in Loop: Header=BB69_3 Depth=1
	s_wait_xcnt 0x0
	s_or_b32 exec_lo, exec_lo, s21
	v_mov_b32_e32 v31, 0
	s_wait_loadcnt 0x0
	s_barrier_signal -1
	s_barrier_wait -1
	s_mov_b32 s21, exec_lo
	v_readlane_b32 s23, v106, 15
	s_and_b32 s23, s21, s23
	s_delay_alu instid0(SALU_CYCLE_1)
	s_mov_b32 exec_lo, s23
	s_cbranch_execz .LBB69_8
; %bb.7:                                ;   in Loop: Header=BB69_3 Depth=1
	global_load_b64 v[30:31], v[38:39], off offset:128
.LBB69_8:                               ;   in Loop: Header=BB69_3 Depth=1
	s_wait_xcnt 0x0
	s_or_b32 exec_lo, exec_lo, s21
	v_dual_mov_b32 v35, 0 :: v_dual_mov_b32 v32, 0
	v_mov_b32_e32 v33, 0
	s_wait_loadcnt 0x0
	s_barrier_signal -1
	s_barrier_wait -1
	s_mov_b32 s21, exec_lo
	v_readlane_b32 s23, v106, 16
	s_and_b32 s23, s21, s23
	s_delay_alu instid0(SALU_CYCLE_1)
	s_mov_b32 exec_lo, s23
	s_cbranch_execz .LBB69_10
; %bb.9:                                ;   in Loop: Header=BB69_3 Depth=1
	global_load_b64 v[32:33], v[38:39], off offset:256
.LBB69_10:                              ;   in Loop: Header=BB69_3 Depth=1
	s_wait_xcnt 0x0
	s_or_b32 exec_lo, exec_lo, s21
	v_mov_b32_e32 v34, 0
	s_wait_loadcnt 0x0
	s_barrier_signal -1
	s_barrier_wait -1
	s_mov_b32 s21, exec_lo
	v_readlane_b32 s23, v106, 17
	s_and_b32 s23, s21, s23
	s_delay_alu instid0(SALU_CYCLE_1)
	s_mov_b32 exec_lo, s23
	s_cbranch_execz .LBB69_12
; %bb.11:                               ;   in Loop: Header=BB69_3 Depth=1
	global_load_b64 v[34:35], v[38:39], off offset:384
.LBB69_12:                              ;   in Loop: Header=BB69_3 Depth=1
	s_wait_xcnt 0x0
	s_or_b32 exec_lo, exec_lo, s21
.LBB69_13:                              ;   in Loop: Header=BB69_3 Depth=1
	s_add_nc_u64 s[60:61], s[84:85], s[82:83]
	s_and_not1_b32 vcc_lo, exec_lo, s91
	v_add_nc_u64_e32 v[38:39], s[60:61], v[4:5]
	s_mov_b32 s21, -1
	s_cbranch_vccnz .LBB69_24
; %bb.14:                               ;   in Loop: Header=BB69_3 Depth=1
	s_and_saveexec_b32 s21, s1
	s_delay_alu instid0(SALU_CYCLE_1)
	s_xor_b32 s21, exec_lo, s21
	s_cbranch_execnz .LBB69_1054
; %bb.15:                               ;   in Loop: Header=BB69_3 Depth=1
	s_and_not1_saveexec_b32 s21, s21
	s_cbranch_execnz .LBB69_1057
.LBB69_16:                              ;   in Loop: Header=BB69_3 Depth=1
	s_or_b32 exec_lo, exec_lo, s21
	s_and_saveexec_b32 s21, s7
	s_delay_alu instid0(SALU_CYCLE_1)
	s_xor_b32 s21, exec_lo, s21
	s_cbranch_execnz .LBB69_1058
.LBB69_17:                              ;   in Loop: Header=BB69_3 Depth=1
	s_and_not1_saveexec_b32 s21, s21
	s_cbranch_execnz .LBB69_1061
.LBB69_18:                              ;   in Loop: Header=BB69_3 Depth=1
	s_or_b32 exec_lo, exec_lo, s21
	s_and_saveexec_b32 s21, s8
	s_delay_alu instid0(SALU_CYCLE_1)
	s_xor_b32 s21, exec_lo, s21
	s_cbranch_execnz .LBB69_1062
.LBB69_19:                              ;   in Loop: Header=BB69_3 Depth=1
	s_and_not1_saveexec_b32 s21, s21
	s_cbranch_execnz .LBB69_1065
.LBB69_20:                              ;   in Loop: Header=BB69_3 Depth=1
	s_or_b32 exec_lo, exec_lo, s21
	s_and_saveexec_b32 s21, s9
	s_delay_alu instid0(SALU_CYCLE_1)
	s_xor_b32 s21, exec_lo, s21
	s_cbranch_execnz .LBB69_1066
.LBB69_21:                              ;   in Loop: Header=BB69_3 Depth=1
	s_and_not1_saveexec_b32 s21, s21
	s_cbranch_execz .LBB69_23
.LBB69_22:                              ;   in Loop: Header=BB69_3 Depth=1
	v_lshl_add_u64 v[40:41], v[20:21], 3, v[38:39]
	global_load_b64 v[40:41], v[40:41], off
	s_wait_loadcnt 0x0
	v_xor_b32_e32 v40, 0x80000000, v40
	ds_store_b64 v87, v[40:41]
.LBB69_23:                              ;   in Loop: Header=BB69_3 Depth=1
	s_or_b32 exec_lo, exec_lo, s21
	s_mov_b32 s21, 0
.LBB69_24:                              ;   in Loop: Header=BB69_3 Depth=1
	s_delay_alu instid0(SALU_CYCLE_1)
	s_and_b32 vcc_lo, exec_lo, s21
	s_cbranch_vccz .LBB69_50
; %bb.25:                               ;   in Loop: Header=BB69_3 Depth=1
	s_mov_b32 s21, exec_lo
	v_readlane_b32 s23, v106, 18
	s_and_b32 s23, s21, s23
	s_delay_alu instid0(SALU_CYCLE_1)
	s_xor_b32 s21, s23, s21
	s_mov_b32 exec_lo, s23
	s_cbranch_execz .LBB69_29
; %bb.26:                               ;   in Loop: Header=BB69_3 Depth=1
	v_readlane_b32 s25, v97, 5
	s_and_saveexec_b32 s23, s25
; %bb.27:                               ;   in Loop: Header=BB69_3 Depth=1
	ds_store_b64 v89, v[24:25]
; %bb.28:                               ;   in Loop: Header=BB69_3 Depth=1
	s_or_b32 exec_lo, exec_lo, s23
.LBB69_29:                              ;   in Loop: Header=BB69_3 Depth=1
	s_and_not1_saveexec_b32 s21, s21
	s_cbranch_execz .LBB69_31
; %bb.30:                               ;   in Loop: Header=BB69_3 Depth=1
	v_lshl_add_u64 v[40:41], v[22:23], 3, v[38:39]
	global_load_b64 v[40:41], v[40:41], off
	s_wait_loadcnt 0x0
	v_xor_b32_e32 v40, 0x80000000, v40
	ds_store_b64 v89, v[40:41]
.LBB69_31:                              ;   in Loop: Header=BB69_3 Depth=1
	s_or_b32 exec_lo, exec_lo, s21
	s_delay_alu instid0(SALU_CYCLE_1) | instskip(SKIP_2) | instid1(SALU_CYCLE_1)
	s_mov_b32 s21, exec_lo
	v_readlane_b32 s23, v106, 19
	s_and_b32 s23, s21, s23
	s_xor_b32 s21, s23, s21
	s_mov_b32 exec_lo, s23
	s_cbranch_execz .LBB69_35
; %bb.32:                               ;   in Loop: Header=BB69_3 Depth=1
	v_readlane_b32 s25, v97, 6
	s_and_saveexec_b32 s23, s25
; %bb.33:                               ;   in Loop: Header=BB69_3 Depth=1
	ds_store_b64 v85, v[24:25]
; %bb.34:                               ;   in Loop: Header=BB69_3 Depth=1
	s_or_b32 exec_lo, exec_lo, s23
.LBB69_35:                              ;   in Loop: Header=BB69_3 Depth=1
	s_and_not1_saveexec_b32 s21, s21
	s_cbranch_execz .LBB69_37
; %bb.36:                               ;   in Loop: Header=BB69_3 Depth=1
	v_lshl_add_u64 v[40:41], v[16:17], 3, v[38:39]
	global_load_b64 v[40:41], v[40:41], off
	s_wait_loadcnt 0x0
	v_xor_b32_e32 v40, 0x80000000, v40
	ds_store_b64 v85, v[40:41]
.LBB69_37:                              ;   in Loop: Header=BB69_3 Depth=1
	s_or_b32 exec_lo, exec_lo, s21
	s_delay_alu instid0(SALU_CYCLE_1) | instskip(SKIP_2) | instid1(SALU_CYCLE_1)
	s_mov_b32 s21, exec_lo
	v_readlane_b32 s23, v106, 20
	s_and_b32 s23, s21, s23
	;; [unrolled: 25-line block ×3, first 2 shown]
	s_xor_b32 s21, s23, s21
	s_mov_b32 exec_lo, s23
	s_cbranch_execz .LBB69_47
; %bb.44:                               ;   in Loop: Header=BB69_3 Depth=1
	v_readlane_b32 s25, v97, 8
	s_and_saveexec_b32 s23, s25
; %bb.45:                               ;   in Loop: Header=BB69_3 Depth=1
	ds_store_b64 v87, v[24:25]
; %bb.46:                               ;   in Loop: Header=BB69_3 Depth=1
	s_or_b32 exec_lo, exec_lo, s23
                                        ; implicit-def: $vgpr38_vgpr39
.LBB69_47:                              ;   in Loop: Header=BB69_3 Depth=1
	s_and_not1_saveexec_b32 s21, s21
	s_cbranch_execz .LBB69_49
; %bb.48:                               ;   in Loop: Header=BB69_3 Depth=1
	v_lshl_add_u64 v[38:39], v[20:21], 3, v[38:39]
	global_load_b64 v[38:39], v[38:39], off
	s_wait_loadcnt 0x0
	v_xor_b32_e32 v38, 0x80000000, v38
	ds_store_b64 v87, v[38:39]
.LBB69_49:                              ;   in Loop: Header=BB69_3 Depth=1
	s_or_b32 exec_lo, exec_lo, s21
.LBB69_50:                              ;   in Loop: Header=BB69_3 Depth=1
	s_delay_alu instid0(SALU_CYCLE_1)
	s_and_not1_b32 vcc_lo, exec_lo, s93
	s_wait_loadcnt_dscnt 0x0
	s_barrier_signal -1
	s_barrier_wait -1
	s_cbranch_vccnz .LBB69_980
; %bb.51:                               ;   in Loop: Header=BB69_3 Depth=1
	s_and_saveexec_b32 s21, s10
	s_cbranch_execz .LBB69_53
; %bb.52:                               ;   in Loop: Header=BB69_3 Depth=1
	ds_load_b64 v[38:39], v5 offset:8
	ds_store_b64 v5, v[26:27] offset:520
	s_wait_dscnt 0x1
	ds_store_2addr_stride64_b64 v5, v[26:27], v[38:39] offset1:1
.LBB69_53:                              ;   in Loop: Header=BB69_3 Depth=1
	s_or_b32 exec_lo, exec_lo, s21
	v_mov_b64_e32 v[38:39], 0
	s_wait_dscnt 0x0
	s_barrier_signal -1
	s_barrier_wait -1
	s_and_saveexec_b32 s21, s2
	s_cbranch_execz .LBB69_57
; %bb.54:                               ;   in Loop: Header=BB69_3 Depth=1
	ds_load_b64 v[38:39], v68 offset:16
	ds_load_b64 v[40:41], v69
	s_wait_dscnt 0x0
	v_pk_mul_f32 v[42:43], v[40:41], v[38:39] op_sel:[1,1] op_sel_hi:[0,1]
	s_delay_alu instid0(VALU_DEP_1) | instskip(SKIP_1) | instid1(VALU_DEP_2)
	v_pk_fma_f32 v[44:45], v[40:41], v[38:39], v[42:43] op_sel_hi:[1,0,1]
	v_pk_fma_f32 v[38:39], v[40:41], v[38:39], v[42:43] neg_lo:[0,0,1] neg_hi:[0,0,1]
	v_mov_b32_e32 v39, v45
	s_delay_alu instid0(VALU_DEP_1)
	v_pk_add_f32 v[38:39], v[38:39], 0 op_sel_hi:[1,0]
	s_and_saveexec_b32 s23, s11
	s_cbranch_execz .LBB69_56
; %bb.55:                               ;   in Loop: Header=BB69_3 Depth=1
	ds_load_b64 v[40:41], v7 offset:528
	ds_load_b64 v[42:43], v5 offset:8
	s_wait_dscnt 0x0
	v_pk_mul_f32 v[44:45], v[42:43], v[40:41] op_sel:[1,1] op_sel_hi:[0,1]
	s_delay_alu instid0(VALU_DEP_1) | instskip(SKIP_1) | instid1(VALU_DEP_2)
	v_pk_fma_f32 v[98:99], v[42:43], v[40:41], v[44:45] op_sel_hi:[1,0,1]
	v_pk_fma_f32 v[40:41], v[42:43], v[40:41], v[44:45] neg_lo:[0,0,1] neg_hi:[0,0,1]
	v_mov_b32_e32 v41, v99
	s_delay_alu instid0(VALU_DEP_1)
	v_pk_add_f32 v[38:39], v[38:39], v[40:41]
.LBB69_56:                              ;   in Loop: Header=BB69_3 Depth=1
	s_or_b32 exec_lo, exec_lo, s23
	s_delay_alu instid0(VALU_DEP_1)
	v_pk_add_f32 v[38:39], v[38:39], 0 neg_lo:[1,1] neg_hi:[1,1]
.LBB69_57:                              ;   in Loop: Header=BB69_3 Depth=1
	s_or_b32 exec_lo, exec_lo, s21
	s_and_saveexec_b32 s21, s94
; %bb.58:                               ;   in Loop: Header=BB69_3 Depth=1
	ds_store_b64 v56, v[38:39]
; %bb.59:                               ;   in Loop: Header=BB69_3 Depth=1
	s_or_b32 exec_lo, exec_lo, s21
	s_wait_dscnt 0x0
	s_barrier_signal -1
	s_barrier_wait -1
	s_and_saveexec_b32 s21, s95
	s_cbranch_execz .LBB69_61
; %bb.60:                               ;   in Loop: Header=BB69_3 Depth=1
	ds_load_b64 v[40:41], v5 offset:1048
	ds_load_b64 v[42:43], v56
	s_wait_dscnt 0x0
	v_pk_mul_f32 v[44:45], v[42:43], v[40:41] op_sel:[1,1] op_sel_hi:[0,1]
	s_delay_alu instid0(VALU_DEP_1) | instskip(SKIP_1) | instid1(VALU_DEP_2)
	v_pk_fma_f32 v[98:99], v[42:43], v[40:41], v[44:45] op_sel_hi:[1,0,1]
	v_pk_fma_f32 v[40:41], v[42:43], v[40:41], v[44:45] neg_lo:[0,0,1] neg_hi:[0,0,1]
	v_mov_b32_e32 v41, v99
	s_delay_alu instid0(VALU_DEP_1)
	v_pk_add_f32 v[38:39], v[38:39], v[40:41]
.LBB69_61:                              ;   in Loop: Header=BB69_3 Depth=1
	s_or_b32 exec_lo, exec_lo, s21
	s_barrier_signal -1
	s_barrier_wait -1
	s_and_saveexec_b32 s21, s95
; %bb.62:                               ;   in Loop: Header=BB69_3 Depth=1
	ds_store_b64 v56, v[38:39]
; %bb.63:                               ;   in Loop: Header=BB69_3 Depth=1
	s_or_b32 exec_lo, exec_lo, s21
	s_wait_dscnt 0x0
	s_barrier_signal -1
	s_barrier_wait -1
	s_barrier_signal -1
	s_barrier_wait -1
	s_and_saveexec_b32 s21, s2
; %bb.64:                               ;   in Loop: Header=BB69_3 Depth=1
	v_pk_add_f32 v[38:39], v[38:39], 0 neg_lo:[1,1] neg_hi:[1,1]
	ds_store_b64 v68, v[38:39] offset:16
; %bb.65:                               ;   in Loop: Header=BB69_3 Depth=1
	s_or_b32 exec_lo, exec_lo, s21
	s_wait_dscnt 0x0
	s_barrier_signal -1
	s_barrier_wait -1
	s_barrier_signal -1
	s_barrier_wait -1
	s_and_saveexec_b32 s21, s96
	s_cbranch_execz .LBB69_67
; %bb.66:                               ;   in Loop: Header=BB69_3 Depth=1
	ds_load_b64 v[38:39], v9 offset:16
	s_wait_dscnt 0x0
	ds_store_b64 v7, v[38:39] offset:1024
	ds_load_b64 v[38:39], v9 offset:24
	s_wait_dscnt 0x0
	ds_store_b64 v7, v[38:39] offset:1536
.LBB69_67:                              ;   in Loop: Header=BB69_3 Depth=1
	s_or_b32 exec_lo, exec_lo, s21
	s_wait_dscnt 0x0
	s_barrier_signal -1
	s_barrier_wait -1
	s_and_saveexec_b32 s21, s10
	s_cbranch_execz .LBB69_69
; %bb.68:                               ;   in Loop: Header=BB69_3 Depth=1
	ds_load_b64 v[38:39], v5 offset:1048
	ds_store_b64 v5, v[26:27] offset:1560
	s_wait_dscnt 0x1
	ds_store_2addr_b64 v5, v[26:27], v[38:39] offset0:130 offset1:194
.LBB69_69:                              ;   in Loop: Header=BB69_3 Depth=1
	s_or_b32 exec_lo, exec_lo, s21
	v_mov_b64_e32 v[38:39], 0
	s_wait_dscnt 0x0
	s_barrier_signal -1
	s_barrier_wait -1
	s_and_saveexec_b32 s61, s4
	s_cbranch_execz .LBB69_75
; %bb.70:                               ;   in Loop: Header=BB69_3 Depth=1
	ds_load_b64 v[38:39], v72 offset:32
	ds_load_b64 v[40:41], v55
	s_wait_dscnt 0x0
	v_dual_mul_f32 v3, v41, v39 :: v_dual_mul_f32 v39, v40, v39
	s_delay_alu instid0(VALU_DEP_1) | instskip(NEXT) | instid1(VALU_DEP_1)
	v_fmac_f32_e32 v39, v41, v38
	v_dual_fma_f32 v3, v40, v38, -v3 :: v_dual_add_f32 v39, 0, v39
	s_delay_alu instid0(VALU_DEP_1)
	v_add_f32_e32 v38, 0, v3
	s_and_saveexec_b32 s21, s12
	s_cbranch_execnz .LBB69_1076
; %bb.71:                               ;   in Loop: Header=BB69_3 Depth=1
	s_or_b32 exec_lo, exec_lo, s21
	s_and_saveexec_b32 s21, s13
	s_cbranch_execnz .LBB69_1077
.LBB69_72:                              ;   in Loop: Header=BB69_3 Depth=1
	s_or_b32 exec_lo, exec_lo, s21
	s_and_saveexec_b32 s21, s2
	s_cbranch_execz .LBB69_74
.LBB69_73:                              ;   in Loop: Header=BB69_3 Depth=1
	ds_load_b64 v[40:41], v47 offset:1568
	ds_load_b64 v[42:43], v5 offset:24
	s_wait_dscnt 0x0
	v_dual_mul_f32 v3, v43, v41 :: v_dual_mul_f32 v45, v42, v41
	s_delay_alu instid0(VALU_DEP_1) | instskip(NEXT) | instid1(VALU_DEP_1)
	v_dual_fma_f32 v44, v42, v40, -v3 :: v_dual_fmac_f32 v45, v43, v40
	v_pk_add_f32 v[38:39], v[38:39], v[44:45]
.LBB69_74:                              ;   in Loop: Header=BB69_3 Depth=1
	s_or_b32 exec_lo, exec_lo, s21
	s_delay_alu instid0(VALU_DEP_1)
	v_pk_add_f32 v[38:39], v[38:39], 0 neg_lo:[1,1] neg_hi:[1,1]
.LBB69_75:                              ;   in Loop: Header=BB69_3 Depth=1
	s_or_b32 exec_lo, exec_lo, s61
	s_and_saveexec_b32 s21, s97
; %bb.76:                               ;   in Loop: Header=BB69_3 Depth=1
	ds_store_b64 v70, v[38:39]
; %bb.77:                               ;   in Loop: Header=BB69_3 Depth=1
	s_or_b32 exec_lo, exec_lo, s21
	s_wait_dscnt 0x0
	s_barrier_signal -1
	s_barrier_wait -1
	s_and_saveexec_b32 s21, s98
	s_cbranch_execz .LBB69_79
; %bb.78:                               ;   in Loop: Header=BB69_3 Depth=1
	ds_load_b64 v[40:41], v67 offset:2080
	ds_load_b64 v[42:43], v70
	s_wait_dscnt 0x0
	v_pk_mul_f32 v[44:45], v[42:43], v[40:41] op_sel:[1,1] op_sel_hi:[0,1]
	s_delay_alu instid0(VALU_DEP_1) | instskip(SKIP_1) | instid1(VALU_DEP_2)
	v_pk_fma_f32 v[98:99], v[42:43], v[40:41], v[44:45] op_sel_hi:[1,0,1]
	v_pk_fma_f32 v[40:41], v[42:43], v[40:41], v[44:45] neg_lo:[0,0,1] neg_hi:[0,0,1]
	v_mov_b32_e32 v41, v99
	s_delay_alu instid0(VALU_DEP_1)
	v_pk_add_f32 v[38:39], v[38:39], v[40:41]
.LBB69_79:                              ;   in Loop: Header=BB69_3 Depth=1
	s_or_b32 exec_lo, exec_lo, s21
	s_barrier_signal -1
	s_barrier_wait -1
	s_and_saveexec_b32 s21, s99
; %bb.80:                               ;   in Loop: Header=BB69_3 Depth=1
	ds_store_b64 v70, v[38:39]
; %bb.81:                               ;   in Loop: Header=BB69_3 Depth=1
	s_or_b32 exec_lo, exec_lo, s21
	s_wait_dscnt 0x0
	s_barrier_signal -1
	s_barrier_wait -1
	s_and_saveexec_b32 s21, s100
	s_cbranch_execz .LBB69_83
; %bb.82:                               ;   in Loop: Header=BB69_3 Depth=1
	ds_load_b64 v[40:41], v67 offset:2592
	ds_load_b64 v[42:43], v70
	s_wait_dscnt 0x0
	v_pk_mul_f32 v[44:45], v[42:43], v[40:41] op_sel:[1,1] op_sel_hi:[0,1]
	s_delay_alu instid0(VALU_DEP_1) | instskip(SKIP_1) | instid1(VALU_DEP_2)
	v_pk_fma_f32 v[98:99], v[42:43], v[40:41], v[44:45] op_sel_hi:[1,0,1]
	v_pk_fma_f32 v[40:41], v[42:43], v[40:41], v[44:45] neg_lo:[0,0,1] neg_hi:[0,0,1]
	v_mov_b32_e32 v41, v99
	s_delay_alu instid0(VALU_DEP_1)
	v_pk_add_f32 v[38:39], v[38:39], v[40:41]
.LBB69_83:                              ;   in Loop: Header=BB69_3 Depth=1
	s_or_b32 exec_lo, exec_lo, s21
	s_barrier_signal -1
	s_barrier_wait -1
	;; [unrolled: 25-line block ×3, first 2 shown]
	s_and_saveexec_b32 s21, s102
; %bb.88:                               ;   in Loop: Header=BB69_3 Depth=1
	ds_store_b64 v70, v[38:39]
; %bb.89:                               ;   in Loop: Header=BB69_3 Depth=1
	s_or_b32 exec_lo, exec_lo, s21
	s_wait_dscnt 0x0
	s_barrier_signal -1
	s_barrier_wait -1
	s_barrier_signal -1
	s_barrier_wait -1
	s_and_saveexec_b32 s21, s4
; %bb.90:                               ;   in Loop: Header=BB69_3 Depth=1
	v_pk_add_f32 v[38:39], v[38:39], 0 neg_lo:[1,1] neg_hi:[1,1]
	ds_store_b64 v72, v[38:39] offset:32
; %bb.91:                               ;   in Loop: Header=BB69_3 Depth=1
	s_or_b32 exec_lo, exec_lo, s21
	s_wait_dscnt 0x0
	s_barrier_signal -1
	s_barrier_wait -1
	s_barrier_signal -1
	s_barrier_wait -1
	s_and_saveexec_b32 s21, s103
	s_cbranch_execz .LBB69_93
; %bb.92:                               ;   in Loop: Header=BB69_3 Depth=1
	ds_load_b64 v[38:39], v48 offset:32
	s_wait_dscnt 0x0
	ds_store_b64 v49, v[38:39] offset:2048
	ds_load_b64 v[38:39], v48 offset:40
	s_wait_dscnt 0x0
	ds_store_b64 v49, v[38:39] offset:2560
	ds_load_b64 v[38:39], v48 offset:48
	s_wait_dscnt 0x0
	ds_store_b64 v49, v[38:39] offset:3072
	ds_load_b64 v[38:39], v48 offset:56
	s_wait_dscnt 0x0
	ds_store_b64 v49, v[38:39] offset:3584
.LBB69_93:                              ;   in Loop: Header=BB69_3 Depth=1
	s_or_b32 exec_lo, exec_lo, s21
	s_wait_dscnt 0x0
	s_barrier_signal -1
	s_barrier_wait -1
	s_and_saveexec_b32 s21, s10
	s_cbranch_execz .LBB69_95
; %bb.94:                               ;   in Loop: Header=BB69_3 Depth=1
	ds_load_b64 v[38:39], v5 offset:2088
	v_add_nc_u32_e64 v3, 32, 0
	ds_store_b64 v5, v[26:27] offset:2600
	s_wait_dscnt 0x1
	ds_store_2addr_stride64_b64 v3, v[26:27], v[38:39] offset0:4 offset1:5
.LBB69_95:                              ;   in Loop: Header=BB69_3 Depth=1
	s_or_b32 exec_lo, exec_lo, s21
	v_mov_b64_e32 v[38:39], 0
	s_wait_dscnt 0x0
	s_barrier_signal -1
	s_barrier_wait -1
	s_and_saveexec_b32 s21, s2
	s_cbranch_execz .LBB69_99
; %bb.96:                               ;   in Loop: Header=BB69_3 Depth=1
	ds_load_b64 v[38:39], v68 offset:2096
	ds_load_b64 v[40:41], v69 offset:2080
	s_wait_dscnt 0x0
	v_pk_mul_f32 v[42:43], v[40:41], v[38:39] op_sel:[1,1] op_sel_hi:[0,1]
	s_delay_alu instid0(VALU_DEP_1) | instskip(SKIP_1) | instid1(VALU_DEP_2)
	v_pk_fma_f32 v[44:45], v[40:41], v[38:39], v[42:43] op_sel_hi:[1,0,1]
	v_pk_fma_f32 v[38:39], v[40:41], v[38:39], v[42:43] neg_lo:[0,0,1] neg_hi:[0,0,1]
	v_mov_b32_e32 v39, v45
	s_delay_alu instid0(VALU_DEP_1)
	v_pk_add_f32 v[38:39], v[38:39], 0 op_sel_hi:[1,0]
	s_and_saveexec_b32 s23, s11
	s_cbranch_execz .LBB69_98
; %bb.97:                               ;   in Loop: Header=BB69_3 Depth=1
	ds_load_b64 v[40:41], v49 offset:2608
	ds_load_b64 v[42:43], v5 offset:2088
	s_wait_dscnt 0x0
	v_pk_mul_f32 v[44:45], v[42:43], v[40:41] op_sel:[1,1] op_sel_hi:[0,1]
	s_delay_alu instid0(VALU_DEP_1) | instskip(SKIP_1) | instid1(VALU_DEP_2)
	v_pk_fma_f32 v[98:99], v[42:43], v[40:41], v[44:45] op_sel_hi:[1,0,1]
	v_pk_fma_f32 v[40:41], v[42:43], v[40:41], v[44:45] neg_lo:[0,0,1] neg_hi:[0,0,1]
	v_mov_b32_e32 v41, v99
	s_delay_alu instid0(VALU_DEP_1)
	v_pk_add_f32 v[38:39], v[38:39], v[40:41]
.LBB69_98:                              ;   in Loop: Header=BB69_3 Depth=1
	s_or_b32 exec_lo, exec_lo, s23
	s_delay_alu instid0(VALU_DEP_1)
	v_pk_add_f32 v[38:39], v[38:39], 0 neg_lo:[1,1] neg_hi:[1,1]
.LBB69_99:                              ;   in Loop: Header=BB69_3 Depth=1
	s_or_b32 exec_lo, exec_lo, s21
	s_and_saveexec_b32 s21, s94
; %bb.100:                              ;   in Loop: Header=BB69_3 Depth=1
	ds_store_b64 v56, v[38:39]
; %bb.101:                              ;   in Loop: Header=BB69_3 Depth=1
	s_or_b32 exec_lo, exec_lo, s21
	s_wait_dscnt 0x0
	s_barrier_signal -1
	s_barrier_wait -1
	s_and_saveexec_b32 s21, s95
	s_cbranch_execz .LBB69_103
; %bb.102:                              ;   in Loop: Header=BB69_3 Depth=1
	ds_load_b64 v[40:41], v5 offset:3128
	ds_load_b64 v[42:43], v56
	s_wait_dscnt 0x0
	v_pk_mul_f32 v[44:45], v[42:43], v[40:41] op_sel:[1,1] op_sel_hi:[0,1]
	s_delay_alu instid0(VALU_DEP_1) | instskip(SKIP_1) | instid1(VALU_DEP_2)
	v_pk_fma_f32 v[98:99], v[42:43], v[40:41], v[44:45] op_sel_hi:[1,0,1]
	v_pk_fma_f32 v[40:41], v[42:43], v[40:41], v[44:45] neg_lo:[0,0,1] neg_hi:[0,0,1]
	v_mov_b32_e32 v41, v99
	s_delay_alu instid0(VALU_DEP_1)
	v_pk_add_f32 v[38:39], v[38:39], v[40:41]
.LBB69_103:                             ;   in Loop: Header=BB69_3 Depth=1
	s_or_b32 exec_lo, exec_lo, s21
	s_barrier_signal -1
	s_barrier_wait -1
	s_and_saveexec_b32 s21, s95
; %bb.104:                              ;   in Loop: Header=BB69_3 Depth=1
	ds_store_b64 v56, v[38:39]
; %bb.105:                              ;   in Loop: Header=BB69_3 Depth=1
	s_or_b32 exec_lo, exec_lo, s21
	s_wait_dscnt 0x0
	s_barrier_signal -1
	s_barrier_wait -1
	s_barrier_signal -1
	s_barrier_wait -1
	s_and_saveexec_b32 s21, s2
; %bb.106:                              ;   in Loop: Header=BB69_3 Depth=1
	v_pk_add_f32 v[38:39], v[38:39], 0 neg_lo:[1,1] neg_hi:[1,1]
	ds_store_b64 v68, v[38:39] offset:2096
; %bb.107:                              ;   in Loop: Header=BB69_3 Depth=1
	s_or_b32 exec_lo, exec_lo, s21
	s_wait_dscnt 0x0
	s_barrier_signal -1
	s_barrier_wait -1
	s_barrier_signal -1
	s_barrier_wait -1
	s_and_saveexec_b32 s21, s96
	s_cbranch_execz .LBB69_109
; %bb.108:                              ;   in Loop: Header=BB69_3 Depth=1
	ds_load_b64 v[38:39], v50 offset:2096
	s_wait_dscnt 0x0
	ds_store_b64 v49, v[38:39] offset:3104
	ds_load_b64 v[38:39], v50 offset:2104
	s_wait_dscnt 0x0
	ds_store_b64 v49, v[38:39] offset:3616
.LBB69_109:                             ;   in Loop: Header=BB69_3 Depth=1
	s_or_b32 exec_lo, exec_lo, s21
	s_wait_dscnt 0x0
	s_barrier_signal -1
	s_barrier_wait -1
	s_and_saveexec_b32 s21, s10
	s_cbranch_execz .LBB69_111
; %bb.110:                              ;   in Loop: Header=BB69_3 Depth=1
	ds_load_b64 v[38:39], v5 offset:3128
	v_add_nc_u32_e64 v3, 48, 0
	ds_store_b64 v5, v[26:27] offset:3640
	s_wait_dscnt 0x1
	ds_store_2addr_stride64_b64 v3, v[26:27], v[38:39] offset0:6 offset1:7
.LBB69_111:                             ;   in Loop: Header=BB69_3 Depth=1
	s_or_b32 exec_lo, exec_lo, s21
	v_mov_b64_e32 v[38:39], 0
	s_wait_dscnt 0x0
	s_barrier_signal -1
	s_barrier_wait -1
	s_and_saveexec_b32 s61, s5
	s_cbranch_execz .LBB69_121
; %bb.112:                              ;   in Loop: Header=BB69_3 Depth=1
	ds_load_b64 v[38:39], v76 offset:64
	ds_load_b64 v[40:41], v59
	s_wait_dscnt 0x0
	v_dual_mul_f32 v3, v41, v39 :: v_dual_mul_f32 v39, v40, v39
	s_delay_alu instid0(VALU_DEP_1) | instskip(NEXT) | instid1(VALU_DEP_1)
	v_fmac_f32_e32 v39, v41, v38
	v_dual_fma_f32 v3, v40, v38, -v3 :: v_dual_add_f32 v39, 0, v39
	s_delay_alu instid0(VALU_DEP_1)
	v_add_f32_e32 v38, 0, v3
	s_and_saveexec_b32 s21, s14
	s_cbranch_execnz .LBB69_1078
; %bb.113:                              ;   in Loop: Header=BB69_3 Depth=1
	s_or_b32 exec_lo, exec_lo, s21
	s_and_saveexec_b32 s21, s15
	s_cbranch_execnz .LBB69_1079
.LBB69_114:                             ;   in Loop: Header=BB69_3 Depth=1
	s_or_b32 exec_lo, exec_lo, s21
	s_and_saveexec_b32 s21, s16
	s_cbranch_execnz .LBB69_1080
.LBB69_115:                             ;   in Loop: Header=BB69_3 Depth=1
	s_or_b32 exec_lo, exec_lo, s21
	s_and_saveexec_b32 s21, s17
	s_cbranch_execnz .LBB69_1081
.LBB69_116:                             ;   in Loop: Header=BB69_3 Depth=1
	s_or_b32 exec_lo, exec_lo, s21
	s_and_saveexec_b32 s21, s18
	s_cbranch_execnz .LBB69_1082
.LBB69_117:                             ;   in Loop: Header=BB69_3 Depth=1
	s_or_b32 exec_lo, exec_lo, s21
	s_and_saveexec_b32 s21, s4
	s_cbranch_execnz .LBB69_1083
.LBB69_118:                             ;   in Loop: Header=BB69_3 Depth=1
	s_or_b32 exec_lo, exec_lo, s21
	s_and_saveexec_b32 s21, s13
	s_cbranch_execz .LBB69_120
.LBB69_119:                             ;   in Loop: Header=BB69_3 Depth=1
	ds_load_b64 v[40:41], v51 offset:3648
	ds_load_b64 v[42:43], v5 offset:56
	s_wait_dscnt 0x0
	v_pk_mul_f32 v[44:45], v[42:43], v[40:41] op_sel:[1,1] op_sel_hi:[0,1]
	s_delay_alu instid0(VALU_DEP_1) | instskip(SKIP_1) | instid1(VALU_DEP_2)
	v_pk_fma_f32 v[98:99], v[42:43], v[40:41], v[44:45] op_sel_hi:[1,0,1]
	v_pk_fma_f32 v[40:41], v[42:43], v[40:41], v[44:45] neg_lo:[0,0,1] neg_hi:[0,0,1]
	v_mov_b32_e32 v41, v99
	s_delay_alu instid0(VALU_DEP_1)
	v_pk_add_f32 v[38:39], v[38:39], v[40:41]
.LBB69_120:                             ;   in Loop: Header=BB69_3 Depth=1
	s_or_b32 exec_lo, exec_lo, s21
	s_delay_alu instid0(VALU_DEP_1)
	v_pk_add_f32 v[38:39], v[38:39], 0 neg_lo:[1,1] neg_hi:[1,1]
.LBB69_121:                             ;   in Loop: Header=BB69_3 Depth=1
	s_or_b32 exec_lo, exec_lo, s61
	s_and_saveexec_b32 s21, s104
; %bb.122:                              ;   in Loop: Header=BB69_3 Depth=1
	ds_store_b64 v75, v[38:39]
; %bb.123:                              ;   in Loop: Header=BB69_3 Depth=1
	s_or_b32 exec_lo, exec_lo, s21
	s_wait_dscnt 0x0
	s_barrier_signal -1
	s_barrier_wait -1
	s_and_saveexec_b32 s21, vcc_hi
	s_cbranch_execz .LBB69_125
; %bb.124:                              ;   in Loop: Header=BB69_3 Depth=1
	ds_load_b64 v[40:41], v71 offset:4160
	ds_load_b64 v[42:43], v75
	s_wait_dscnt 0x0
	v_pk_mul_f32 v[44:45], v[42:43], v[40:41] op_sel:[1,1] op_sel_hi:[0,1]
	s_delay_alu instid0(VALU_DEP_1) | instskip(SKIP_1) | instid1(VALU_DEP_2)
	v_pk_fma_f32 v[98:99], v[42:43], v[40:41], v[44:45] op_sel_hi:[1,0,1]
	v_pk_fma_f32 v[40:41], v[42:43], v[40:41], v[44:45] neg_lo:[0,0,1] neg_hi:[0,0,1]
	v_mov_b32_e32 v41, v99
	s_delay_alu instid0(VALU_DEP_1)
	v_pk_add_f32 v[38:39], v[38:39], v[40:41]
.LBB69_125:                             ;   in Loop: Header=BB69_3 Depth=1
	s_or_b32 exec_lo, exec_lo, s21
	s_barrier_signal -1
	s_barrier_wait -1
	s_and_saveexec_b32 s21, s38
; %bb.126:                              ;   in Loop: Header=BB69_3 Depth=1
	ds_store_b64 v75, v[38:39]
; %bb.127:                              ;   in Loop: Header=BB69_3 Depth=1
	s_or_b32 exec_lo, exec_lo, s21
	s_wait_dscnt 0x0
	s_barrier_signal -1
	s_barrier_wait -1
	s_and_saveexec_b32 s21, s39
	s_cbranch_execz .LBB69_129
; %bb.128:                              ;   in Loop: Header=BB69_3 Depth=1
	ds_load_b64 v[40:41], v71 offset:4672
	ds_load_b64 v[42:43], v75
	s_wait_dscnt 0x0
	v_dual_mul_f32 v3, v43, v41 :: v_dual_mul_f32 v41, v42, v41
	s_delay_alu instid0(VALU_DEP_1) | instskip(NEXT) | instid1(VALU_DEP_1)
	v_dual_fma_f32 v3, v42, v40, -v3 :: v_dual_fmac_f32 v41, v43, v40
	v_dual_add_f32 v38, v38, v3 :: v_dual_add_f32 v39, v39, v41
.LBB69_129:                             ;   in Loop: Header=BB69_3 Depth=1
	s_or_b32 exec_lo, exec_lo, s21
	s_barrier_signal -1
	s_barrier_wait -1
	s_and_saveexec_b32 s21, s40
; %bb.130:                              ;   in Loop: Header=BB69_3 Depth=1
	ds_store_b64 v75, v[38:39]
; %bb.131:                              ;   in Loop: Header=BB69_3 Depth=1
	s_or_b32 exec_lo, exec_lo, s21
	s_wait_dscnt 0x0
	s_barrier_signal -1
	s_barrier_wait -1
	s_and_saveexec_b32 s21, s41
	s_cbranch_execz .LBB69_133
; %bb.132:                              ;   in Loop: Header=BB69_3 Depth=1
	ds_load_b64 v[40:41], v71 offset:5184
	ds_load_b64 v[42:43], v75
	s_wait_dscnt 0x0
	v_dual_mul_f32 v3, v43, v41 :: v_dual_mul_f32 v45, v42, v41
	s_delay_alu instid0(VALU_DEP_1) | instskip(NEXT) | instid1(VALU_DEP_1)
	v_dual_fma_f32 v44, v42, v40, -v3 :: v_dual_fmac_f32 v45, v43, v40
	v_pk_add_f32 v[38:39], v[38:39], v[44:45]
.LBB69_133:                             ;   in Loop: Header=BB69_3 Depth=1
	s_or_b32 exec_lo, exec_lo, s21
	s_barrier_signal -1
	s_barrier_wait -1
	s_and_saveexec_b32 s21, s42
; %bb.134:                              ;   in Loop: Header=BB69_3 Depth=1
	ds_store_b64 v75, v[38:39]
; %bb.135:                              ;   in Loop: Header=BB69_3 Depth=1
	s_or_b32 exec_lo, exec_lo, s21
	s_wait_dscnt 0x0
	s_barrier_signal -1
	s_barrier_wait -1
	s_and_saveexec_b32 s21, s43
	s_cbranch_execz .LBB69_137
; %bb.136:                              ;   in Loop: Header=BB69_3 Depth=1
	ds_load_b64 v[40:41], v71 offset:5696
	ds_load_b64 v[42:43], v75
	s_wait_dscnt 0x0
	v_pk_mul_f32 v[44:45], v[42:43], v[40:41] op_sel:[1,1] op_sel_hi:[0,1]
	s_delay_alu instid0(VALU_DEP_1) | instskip(SKIP_1) | instid1(VALU_DEP_2)
	v_pk_fma_f32 v[98:99], v[42:43], v[40:41], v[44:45] op_sel_hi:[1,0,1]
	v_pk_fma_f32 v[40:41], v[42:43], v[40:41], v[44:45] neg_lo:[0,0,1] neg_hi:[0,0,1]
	v_mov_b32_e32 v41, v99
	s_delay_alu instid0(VALU_DEP_1)
	v_pk_add_f32 v[38:39], v[38:39], v[40:41]
.LBB69_137:                             ;   in Loop: Header=BB69_3 Depth=1
	s_or_b32 exec_lo, exec_lo, s21
	s_barrier_signal -1
	s_barrier_wait -1
	s_and_saveexec_b32 s21, s44
; %bb.138:                              ;   in Loop: Header=BB69_3 Depth=1
	ds_store_b64 v75, v[38:39]
; %bb.139:                              ;   in Loop: Header=BB69_3 Depth=1
	s_or_b32 exec_lo, exec_lo, s21
	s_wait_dscnt 0x0
	s_barrier_signal -1
	s_barrier_wait -1
	s_and_saveexec_b32 s21, s45
	s_cbranch_execz .LBB69_141
; %bb.140:                              ;   in Loop: Header=BB69_3 Depth=1
	ds_load_b64 v[40:41], v71 offset:6208
	ds_load_b64 v[42:43], v75
	s_wait_dscnt 0x0
	v_pk_mul_f32 v[44:45], v[42:43], v[40:41] op_sel:[1,1] op_sel_hi:[0,1]
	s_delay_alu instid0(VALU_DEP_1) | instskip(SKIP_1) | instid1(VALU_DEP_2)
	v_pk_fma_f32 v[98:99], v[42:43], v[40:41], v[44:45] op_sel_hi:[1,0,1]
	v_pk_fma_f32 v[40:41], v[42:43], v[40:41], v[44:45] neg_lo:[0,0,1] neg_hi:[0,0,1]
	v_mov_b32_e32 v41, v99
	s_delay_alu instid0(VALU_DEP_1)
	v_pk_add_f32 v[38:39], v[38:39], v[40:41]
.LBB69_141:                             ;   in Loop: Header=BB69_3 Depth=1
	;; [unrolled: 25-line block ×4, first 2 shown]
	s_or_b32 exec_lo, exec_lo, s21
	s_barrier_signal -1
	s_barrier_wait -1
	s_and_saveexec_b32 s21, s49
; %bb.150:                              ;   in Loop: Header=BB69_3 Depth=1
	ds_store_b64 v75, v[38:39]
; %bb.151:                              ;   in Loop: Header=BB69_3 Depth=1
	s_or_b32 exec_lo, exec_lo, s21
	s_wait_dscnt 0x0
	s_barrier_signal -1
	s_barrier_wait -1
	s_barrier_signal -1
	s_barrier_wait -1
	s_and_saveexec_b32 s21, s5
; %bb.152:                              ;   in Loop: Header=BB69_3 Depth=1
	v_pk_add_f32 v[38:39], v[38:39], 0 neg_lo:[1,1] neg_hi:[1,1]
	ds_store_b64 v76, v[38:39] offset:64
; %bb.153:                              ;   in Loop: Header=BB69_3 Depth=1
	s_or_b32 exec_lo, exec_lo, s21
	s_wait_dscnt 0x0
	s_barrier_signal -1
	s_barrier_wait -1
	s_barrier_signal -1
	s_barrier_wait -1
	s_and_saveexec_b32 s21, s50
	s_cbranch_execz .LBB69_155
; %bb.154:                              ;   in Loop: Header=BB69_3 Depth=1
	ds_load_b64 v[38:39], v52 offset:64
	s_wait_dscnt 0x0
	ds_store_b64 v53, v[38:39] offset:4096
	ds_load_b64 v[38:39], v52 offset:72
	s_wait_dscnt 0x0
	ds_store_b64 v53, v[38:39] offset:4608
	;; [unrolled: 3-line block ×8, first 2 shown]
.LBB69_155:                             ;   in Loop: Header=BB69_3 Depth=1
	s_or_b32 exec_lo, exec_lo, s21
	s_wait_dscnt 0x0
	s_barrier_signal -1
	s_barrier_wait -1
	s_and_saveexec_b32 s21, s10
	s_cbranch_execz .LBB69_157
; %bb.156:                              ;   in Loop: Header=BB69_3 Depth=1
	ds_load_b64 v[38:39], v5 offset:4168
	v_add_nc_u32_e64 v3, 64, 0
	ds_store_b64 v5, v[26:27] offset:4680
	s_wait_dscnt 0x1
	ds_store_2addr_stride64_b64 v3, v[26:27], v[38:39] offset0:8 offset1:9
.LBB69_157:                             ;   in Loop: Header=BB69_3 Depth=1
	s_or_b32 exec_lo, exec_lo, s21
	v_mov_b64_e32 v[38:39], 0
	s_wait_dscnt 0x0
	s_barrier_signal -1
	s_barrier_wait -1
	s_and_saveexec_b32 s21, s2
	s_cbranch_execz .LBB69_161
; %bb.158:                              ;   in Loop: Header=BB69_3 Depth=1
	ds_load_b64 v[38:39], v68 offset:4176
	ds_load_b64 v[40:41], v69 offset:4160
	s_wait_dscnt 0x0
	v_pk_mul_f32 v[42:43], v[40:41], v[38:39] op_sel:[1,1] op_sel_hi:[0,1]
	s_delay_alu instid0(VALU_DEP_1) | instskip(SKIP_1) | instid1(VALU_DEP_2)
	v_pk_fma_f32 v[44:45], v[40:41], v[38:39], v[42:43] op_sel_hi:[1,0,1]
	v_pk_fma_f32 v[38:39], v[40:41], v[38:39], v[42:43] neg_lo:[0,0,1] neg_hi:[0,0,1]
	v_mov_b32_e32 v39, v45
	s_delay_alu instid0(VALU_DEP_1)
	v_pk_add_f32 v[38:39], v[38:39], 0 op_sel_hi:[1,0]
	s_and_saveexec_b32 s23, s11
	s_cbranch_execz .LBB69_160
; %bb.159:                              ;   in Loop: Header=BB69_3 Depth=1
	ds_load_b64 v[40:41], v53 offset:4688
	ds_load_b64 v[42:43], v5 offset:4168
	s_wait_dscnt 0x0
	v_pk_mul_f32 v[44:45], v[42:43], v[40:41] op_sel:[1,1] op_sel_hi:[0,1]
	s_delay_alu instid0(VALU_DEP_1) | instskip(SKIP_1) | instid1(VALU_DEP_2)
	v_pk_fma_f32 v[98:99], v[42:43], v[40:41], v[44:45] op_sel_hi:[1,0,1]
	v_pk_fma_f32 v[40:41], v[42:43], v[40:41], v[44:45] neg_lo:[0,0,1] neg_hi:[0,0,1]
	v_mov_b32_e32 v41, v99
	s_delay_alu instid0(VALU_DEP_1)
	v_pk_add_f32 v[38:39], v[38:39], v[40:41]
.LBB69_160:                             ;   in Loop: Header=BB69_3 Depth=1
	s_or_b32 exec_lo, exec_lo, s23
	s_delay_alu instid0(VALU_DEP_1)
	v_pk_add_f32 v[38:39], v[38:39], 0 neg_lo:[1,1] neg_hi:[1,1]
.LBB69_161:                             ;   in Loop: Header=BB69_3 Depth=1
	s_or_b32 exec_lo, exec_lo, s21
	s_and_saveexec_b32 s21, s94
; %bb.162:                              ;   in Loop: Header=BB69_3 Depth=1
	ds_store_b64 v56, v[38:39]
; %bb.163:                              ;   in Loop: Header=BB69_3 Depth=1
	s_or_b32 exec_lo, exec_lo, s21
	s_wait_dscnt 0x0
	s_barrier_signal -1
	s_barrier_wait -1
	s_and_saveexec_b32 s21, s95
	s_cbranch_execz .LBB69_165
; %bb.164:                              ;   in Loop: Header=BB69_3 Depth=1
	ds_load_b64 v[40:41], v5 offset:5208
	ds_load_b64 v[42:43], v56
	s_wait_dscnt 0x0
	v_pk_mul_f32 v[44:45], v[42:43], v[40:41] op_sel:[1,1] op_sel_hi:[0,1]
	s_delay_alu instid0(VALU_DEP_1) | instskip(SKIP_1) | instid1(VALU_DEP_2)
	v_pk_fma_f32 v[98:99], v[42:43], v[40:41], v[44:45] op_sel_hi:[1,0,1]
	v_pk_fma_f32 v[40:41], v[42:43], v[40:41], v[44:45] neg_lo:[0,0,1] neg_hi:[0,0,1]
	v_mov_b32_e32 v41, v99
	s_delay_alu instid0(VALU_DEP_1)
	v_pk_add_f32 v[38:39], v[38:39], v[40:41]
.LBB69_165:                             ;   in Loop: Header=BB69_3 Depth=1
	s_or_b32 exec_lo, exec_lo, s21
	s_barrier_signal -1
	s_barrier_wait -1
	s_and_saveexec_b32 s21, s95
; %bb.166:                              ;   in Loop: Header=BB69_3 Depth=1
	ds_store_b64 v56, v[38:39]
; %bb.167:                              ;   in Loop: Header=BB69_3 Depth=1
	s_or_b32 exec_lo, exec_lo, s21
	s_wait_dscnt 0x0
	s_barrier_signal -1
	s_barrier_wait -1
	s_barrier_signal -1
	s_barrier_wait -1
	s_and_saveexec_b32 s21, s2
; %bb.168:                              ;   in Loop: Header=BB69_3 Depth=1
	v_pk_add_f32 v[38:39], v[38:39], 0 neg_lo:[1,1] neg_hi:[1,1]
	ds_store_b64 v68, v[38:39] offset:4176
; %bb.169:                              ;   in Loop: Header=BB69_3 Depth=1
	s_or_b32 exec_lo, exec_lo, s21
	s_wait_dscnt 0x0
	s_barrier_signal -1
	s_barrier_wait -1
	s_barrier_signal -1
	s_barrier_wait -1
	s_and_saveexec_b32 s21, s96
	s_cbranch_execz .LBB69_171
; %bb.170:                              ;   in Loop: Header=BB69_3 Depth=1
	ds_load_b64 v[38:39], v54 offset:4176
	s_wait_dscnt 0x0
	ds_store_b64 v53, v[38:39] offset:5184
	ds_load_b64 v[38:39], v54 offset:4184
	s_wait_dscnt 0x0
	ds_store_b64 v53, v[38:39] offset:5696
.LBB69_171:                             ;   in Loop: Header=BB69_3 Depth=1
	s_or_b32 exec_lo, exec_lo, s21
	s_wait_dscnt 0x0
	s_barrier_signal -1
	s_barrier_wait -1
	s_and_saveexec_b32 s21, s10
	s_cbranch_execz .LBB69_173
; %bb.172:                              ;   in Loop: Header=BB69_3 Depth=1
	ds_load_b64 v[38:39], v5 offset:5208
	v_add_nc_u32_e64 v3, 0x50, 0
	ds_store_b64 v5, v[26:27] offset:5720
	s_wait_dscnt 0x1
	ds_store_2addr_stride64_b64 v3, v[26:27], v[38:39] offset0:10 offset1:11
.LBB69_173:                             ;   in Loop: Header=BB69_3 Depth=1
	s_or_b32 exec_lo, exec_lo, s21
	v_mov_b64_e32 v[38:39], 0
	s_wait_dscnt 0x0
	s_barrier_signal -1
	s_barrier_wait -1
	s_and_saveexec_b32 s61, s4
	s_cbranch_execz .LBB69_179
; %bb.174:                              ;   in Loop: Header=BB69_3 Depth=1
	ds_load_b64 v[38:39], v72 offset:4192
	ds_load_b64 v[40:41], v55 offset:4160
	s_wait_dscnt 0x0
	v_dual_mul_f32 v3, v41, v39 :: v_dual_mul_f32 v39, v40, v39
	s_delay_alu instid0(VALU_DEP_1) | instskip(NEXT) | instid1(VALU_DEP_1)
	v_fmac_f32_e32 v39, v41, v38
	v_dual_fma_f32 v3, v40, v38, -v3 :: v_dual_add_f32 v39, 0, v39
	s_delay_alu instid0(VALU_DEP_1)
	v_add_f32_e32 v38, 0, v3
	s_and_saveexec_b32 s21, s12
	s_cbranch_execnz .LBB69_1084
; %bb.175:                              ;   in Loop: Header=BB69_3 Depth=1
	s_or_b32 exec_lo, exec_lo, s21
	s_and_saveexec_b32 s21, s13
	s_cbranch_execnz .LBB69_1085
.LBB69_176:                             ;   in Loop: Header=BB69_3 Depth=1
	s_or_b32 exec_lo, exec_lo, s21
	s_and_saveexec_b32 s21, s2
	s_cbranch_execz .LBB69_178
.LBB69_177:                             ;   in Loop: Header=BB69_3 Depth=1
	ds_load_b64 v[40:41], v57 offset:5728
	ds_load_b64 v[42:43], v5 offset:4184
	s_wait_dscnt 0x0
	v_dual_mul_f32 v3, v43, v41 :: v_dual_mul_f32 v45, v42, v41
	s_delay_alu instid0(VALU_DEP_1) | instskip(NEXT) | instid1(VALU_DEP_1)
	v_dual_fma_f32 v44, v42, v40, -v3 :: v_dual_fmac_f32 v45, v43, v40
	v_pk_add_f32 v[38:39], v[38:39], v[44:45]
.LBB69_178:                             ;   in Loop: Header=BB69_3 Depth=1
	s_or_b32 exec_lo, exec_lo, s21
	s_delay_alu instid0(VALU_DEP_1)
	v_pk_add_f32 v[38:39], v[38:39], 0 neg_lo:[1,1] neg_hi:[1,1]
.LBB69_179:                             ;   in Loop: Header=BB69_3 Depth=1
	s_or_b32 exec_lo, exec_lo, s61
	s_and_saveexec_b32 s21, s97
; %bb.180:                              ;   in Loop: Header=BB69_3 Depth=1
	ds_store_b64 v70, v[38:39]
; %bb.181:                              ;   in Loop: Header=BB69_3 Depth=1
	s_or_b32 exec_lo, exec_lo, s21
	s_wait_dscnt 0x0
	s_barrier_signal -1
	s_barrier_wait -1
	s_and_saveexec_b32 s21, s98
	s_cbranch_execz .LBB69_183
; %bb.182:                              ;   in Loop: Header=BB69_3 Depth=1
	ds_load_b64 v[40:41], v67 offset:6240
	ds_load_b64 v[42:43], v70
	s_wait_dscnt 0x0
	v_pk_mul_f32 v[44:45], v[42:43], v[40:41] op_sel:[1,1] op_sel_hi:[0,1]
	s_delay_alu instid0(VALU_DEP_1) | instskip(SKIP_1) | instid1(VALU_DEP_2)
	v_pk_fma_f32 v[98:99], v[42:43], v[40:41], v[44:45] op_sel_hi:[1,0,1]
	v_pk_fma_f32 v[40:41], v[42:43], v[40:41], v[44:45] neg_lo:[0,0,1] neg_hi:[0,0,1]
	v_mov_b32_e32 v41, v99
	s_delay_alu instid0(VALU_DEP_1)
	v_pk_add_f32 v[38:39], v[38:39], v[40:41]
.LBB69_183:                             ;   in Loop: Header=BB69_3 Depth=1
	s_or_b32 exec_lo, exec_lo, s21
	s_barrier_signal -1
	s_barrier_wait -1
	s_and_saveexec_b32 s21, s99
; %bb.184:                              ;   in Loop: Header=BB69_3 Depth=1
	ds_store_b64 v70, v[38:39]
; %bb.185:                              ;   in Loop: Header=BB69_3 Depth=1
	s_or_b32 exec_lo, exec_lo, s21
	s_wait_dscnt 0x0
	s_barrier_signal -1
	s_barrier_wait -1
	s_and_saveexec_b32 s21, s100
	s_cbranch_execz .LBB69_187
; %bb.186:                              ;   in Loop: Header=BB69_3 Depth=1
	ds_load_b64 v[40:41], v67 offset:6752
	ds_load_b64 v[42:43], v70
	s_wait_dscnt 0x0
	v_pk_mul_f32 v[44:45], v[42:43], v[40:41] op_sel:[1,1] op_sel_hi:[0,1]
	s_delay_alu instid0(VALU_DEP_1) | instskip(SKIP_1) | instid1(VALU_DEP_2)
	v_pk_fma_f32 v[98:99], v[42:43], v[40:41], v[44:45] op_sel_hi:[1,0,1]
	v_pk_fma_f32 v[40:41], v[42:43], v[40:41], v[44:45] neg_lo:[0,0,1] neg_hi:[0,0,1]
	v_mov_b32_e32 v41, v99
	s_delay_alu instid0(VALU_DEP_1)
	v_pk_add_f32 v[38:39], v[38:39], v[40:41]
.LBB69_187:                             ;   in Loop: Header=BB69_3 Depth=1
	s_or_b32 exec_lo, exec_lo, s21
	s_barrier_signal -1
	s_barrier_wait -1
	;; [unrolled: 25-line block ×3, first 2 shown]
	s_and_saveexec_b32 s21, s102
; %bb.192:                              ;   in Loop: Header=BB69_3 Depth=1
	ds_store_b64 v70, v[38:39]
; %bb.193:                              ;   in Loop: Header=BB69_3 Depth=1
	s_or_b32 exec_lo, exec_lo, s21
	s_wait_dscnt 0x0
	s_barrier_signal -1
	s_barrier_wait -1
	s_barrier_signal -1
	s_barrier_wait -1
	s_and_saveexec_b32 s21, s4
; %bb.194:                              ;   in Loop: Header=BB69_3 Depth=1
	v_pk_add_f32 v[38:39], v[38:39], 0 neg_lo:[1,1] neg_hi:[1,1]
	ds_store_b64 v72, v[38:39] offset:4192
; %bb.195:                              ;   in Loop: Header=BB69_3 Depth=1
	s_or_b32 exec_lo, exec_lo, s21
	s_wait_dscnt 0x0
	s_barrier_signal -1
	s_barrier_wait -1
	s_barrier_signal -1
	s_barrier_wait -1
	s_and_saveexec_b32 s21, s103
	s_cbranch_execz .LBB69_197
; %bb.196:                              ;   in Loop: Header=BB69_3 Depth=1
	ds_load_b64 v[38:39], v58 offset:4192
	s_wait_dscnt 0x0
	ds_store_b64 v60, v[38:39] offset:6208
	ds_load_b64 v[38:39], v58 offset:4200
	s_wait_dscnt 0x0
	ds_store_b64 v60, v[38:39] offset:6720
	;; [unrolled: 3-line block ×4, first 2 shown]
.LBB69_197:                             ;   in Loop: Header=BB69_3 Depth=1
	s_or_b32 exec_lo, exec_lo, s21
	s_wait_dscnt 0x0
	s_barrier_signal -1
	s_barrier_wait -1
	s_and_saveexec_b32 s21, s10
	s_cbranch_execz .LBB69_199
; %bb.198:                              ;   in Loop: Header=BB69_3 Depth=1
	ds_load_b64 v[38:39], v5 offset:6248
	v_add_nc_u32_e64 v3, 0x60, 0
	ds_store_b64 v5, v[26:27] offset:6760
	s_wait_dscnt 0x1
	ds_store_2addr_stride64_b64 v3, v[26:27], v[38:39] offset0:12 offset1:13
.LBB69_199:                             ;   in Loop: Header=BB69_3 Depth=1
	s_or_b32 exec_lo, exec_lo, s21
	v_mov_b64_e32 v[38:39], 0
	s_wait_dscnt 0x0
	s_barrier_signal -1
	s_barrier_wait -1
	s_and_saveexec_b32 s21, s2
	s_cbranch_execz .LBB69_203
; %bb.200:                              ;   in Loop: Header=BB69_3 Depth=1
	ds_load_b64 v[38:39], v68 offset:6256
	ds_load_b64 v[40:41], v69 offset:6240
	s_wait_dscnt 0x0
	v_pk_mul_f32 v[42:43], v[40:41], v[38:39] op_sel:[1,1] op_sel_hi:[0,1]
	s_delay_alu instid0(VALU_DEP_1) | instskip(SKIP_1) | instid1(VALU_DEP_2)
	v_pk_fma_f32 v[44:45], v[40:41], v[38:39], v[42:43] op_sel_hi:[1,0,1]
	v_pk_fma_f32 v[38:39], v[40:41], v[38:39], v[42:43] neg_lo:[0,0,1] neg_hi:[0,0,1]
	v_mov_b32_e32 v39, v45
	s_delay_alu instid0(VALU_DEP_1)
	v_pk_add_f32 v[38:39], v[38:39], 0 op_sel_hi:[1,0]
	s_and_saveexec_b32 s23, s11
	s_cbranch_execz .LBB69_202
; %bb.201:                              ;   in Loop: Header=BB69_3 Depth=1
	ds_load_b64 v[40:41], v60 offset:6768
	ds_load_b64 v[42:43], v5 offset:6248
	s_wait_dscnt 0x0
	v_pk_mul_f32 v[44:45], v[42:43], v[40:41] op_sel:[1,1] op_sel_hi:[0,1]
	s_delay_alu instid0(VALU_DEP_1) | instskip(SKIP_1) | instid1(VALU_DEP_2)
	v_pk_fma_f32 v[98:99], v[42:43], v[40:41], v[44:45] op_sel_hi:[1,0,1]
	v_pk_fma_f32 v[40:41], v[42:43], v[40:41], v[44:45] neg_lo:[0,0,1] neg_hi:[0,0,1]
	v_mov_b32_e32 v41, v99
	s_delay_alu instid0(VALU_DEP_1)
	v_pk_add_f32 v[38:39], v[38:39], v[40:41]
.LBB69_202:                             ;   in Loop: Header=BB69_3 Depth=1
	s_or_b32 exec_lo, exec_lo, s23
	s_delay_alu instid0(VALU_DEP_1)
	v_pk_add_f32 v[38:39], v[38:39], 0 neg_lo:[1,1] neg_hi:[1,1]
.LBB69_203:                             ;   in Loop: Header=BB69_3 Depth=1
	s_or_b32 exec_lo, exec_lo, s21
	s_and_saveexec_b32 s21, s94
; %bb.204:                              ;   in Loop: Header=BB69_3 Depth=1
	ds_store_b64 v56, v[38:39]
; %bb.205:                              ;   in Loop: Header=BB69_3 Depth=1
	s_or_b32 exec_lo, exec_lo, s21
	s_wait_dscnt 0x0
	s_barrier_signal -1
	s_barrier_wait -1
	s_and_saveexec_b32 s21, s95
	s_cbranch_execz .LBB69_207
; %bb.206:                              ;   in Loop: Header=BB69_3 Depth=1
	ds_load_b64 v[40:41], v5 offset:7288
	ds_load_b64 v[42:43], v56
	s_wait_dscnt 0x0
	v_pk_mul_f32 v[44:45], v[42:43], v[40:41] op_sel:[1,1] op_sel_hi:[0,1]
	s_delay_alu instid0(VALU_DEP_1) | instskip(SKIP_1) | instid1(VALU_DEP_2)
	v_pk_fma_f32 v[98:99], v[42:43], v[40:41], v[44:45] op_sel_hi:[1,0,1]
	v_pk_fma_f32 v[40:41], v[42:43], v[40:41], v[44:45] neg_lo:[0,0,1] neg_hi:[0,0,1]
	v_mov_b32_e32 v41, v99
	s_delay_alu instid0(VALU_DEP_1)
	v_pk_add_f32 v[38:39], v[38:39], v[40:41]
.LBB69_207:                             ;   in Loop: Header=BB69_3 Depth=1
	s_or_b32 exec_lo, exec_lo, s21
	s_barrier_signal -1
	s_barrier_wait -1
	s_and_saveexec_b32 s21, s95
; %bb.208:                              ;   in Loop: Header=BB69_3 Depth=1
	ds_store_b64 v56, v[38:39]
; %bb.209:                              ;   in Loop: Header=BB69_3 Depth=1
	s_or_b32 exec_lo, exec_lo, s21
	s_wait_dscnt 0x0
	s_barrier_signal -1
	s_barrier_wait -1
	s_barrier_signal -1
	s_barrier_wait -1
	s_and_saveexec_b32 s21, s2
; %bb.210:                              ;   in Loop: Header=BB69_3 Depth=1
	v_pk_add_f32 v[38:39], v[38:39], 0 neg_lo:[1,1] neg_hi:[1,1]
	ds_store_b64 v68, v[38:39] offset:6256
; %bb.211:                              ;   in Loop: Header=BB69_3 Depth=1
	s_or_b32 exec_lo, exec_lo, s21
	s_wait_dscnt 0x0
	s_barrier_signal -1
	s_barrier_wait -1
	s_barrier_signal -1
	s_barrier_wait -1
	s_and_saveexec_b32 s21, s96
	s_cbranch_execz .LBB69_213
; %bb.212:                              ;   in Loop: Header=BB69_3 Depth=1
	ds_load_b64 v[38:39], v64 offset:6256
	s_wait_dscnt 0x0
	ds_store_b64 v60, v[38:39] offset:7264
	ds_load_b64 v[38:39], v64 offset:6264
	s_wait_dscnt 0x0
	ds_store_b64 v60, v[38:39] offset:7776
.LBB69_213:                             ;   in Loop: Header=BB69_3 Depth=1
	s_or_b32 exec_lo, exec_lo, s21
	s_wait_dscnt 0x0
	s_barrier_signal -1
	s_barrier_wait -1
	s_and_saveexec_b32 s21, s10
	s_cbranch_execz .LBB69_215
; %bb.214:                              ;   in Loop: Header=BB69_3 Depth=1
	ds_load_b64 v[38:39], v5 offset:7288
	v_add_nc_u32_e64 v3, 0x70, 0
	ds_store_b64 v5, v[26:27] offset:7800
	s_wait_dscnt 0x1
	ds_store_2addr_stride64_b64 v3, v[26:27], v[38:39] offset0:14 offset1:15
.LBB69_215:                             ;   in Loop: Header=BB69_3 Depth=1
	s_or_b32 exec_lo, exec_lo, s21
	v_mov_b64_e32 v[38:39], 0
	s_wait_dscnt 0x0
	s_barrier_signal -1
	s_barrier_wait -1
	s_and_saveexec_b32 s84, s6
	s_cbranch_execz .LBB69_243
; %bb.216:                              ;   in Loop: Header=BB69_3 Depth=1
	ds_load_b64 v[38:39], v79 offset:128
	ds_load_b64 v[40:41], v61
	s_wait_dscnt 0x0
	v_dual_mul_f32 v3, v41, v39 :: v_dual_mul_f32 v39, v40, v39
	s_delay_alu instid0(VALU_DEP_1) | instskip(NEXT) | instid1(VALU_DEP_1)
	v_fmac_f32_e32 v39, v41, v38
	v_dual_fma_f32 v3, v40, v38, -v3 :: v_dual_add_f32 v39, 0, v39
	s_delay_alu instid0(VALU_DEP_1) | instskip(SKIP_3) | instid1(SALU_CYCLE_1)
	v_add_f32_e32 v38, 0, v3
	s_mov_b32 s21, exec_lo
	v_readlane_b32 s23, v106, 26
	s_and_b32 s23, s21, s23
	s_mov_b32 exec_lo, s23
	s_cbranch_execz .LBB69_218
; %bb.217:                              ;   in Loop: Header=BB69_3 Depth=1
	ds_load_b64 v[40:41], v80 offset:640
	ds_load_b64 v[42:43], v61 offset:8
	s_wait_dscnt 0x0
	v_dual_mul_f32 v3, v43, v41 :: v_dual_mul_f32 v41, v42, v41
	s_delay_alu instid0(VALU_DEP_1) | instskip(NEXT) | instid1(VALU_DEP_1)
	v_dual_fma_f32 v3, v42, v40, -v3 :: v_dual_fmac_f32 v41, v43, v40
	v_dual_add_f32 v38, v38, v3 :: v_dual_add_f32 v39, v39, v41
.LBB69_218:                             ;   in Loop: Header=BB69_3 Depth=1
	s_or_b32 exec_lo, exec_lo, s21
	s_delay_alu instid0(SALU_CYCLE_1) | instskip(SKIP_2) | instid1(SALU_CYCLE_1)
	s_mov_b32 s21, exec_lo
	v_readlane_b32 s23, v106, 27
	s_and_b32 s23, s21, s23
	s_mov_b32 exec_lo, s23
	s_cbranch_execz .LBB69_220
; %bb.219:                              ;   in Loop: Header=BB69_3 Depth=1
	ds_load_b64 v[40:41], v80 offset:1152
	ds_load_b64 v[42:43], v61 offset:16
	s_wait_dscnt 0x0
	v_dual_mul_f32 v3, v43, v41 :: v_dual_mul_f32 v41, v42, v41
	s_delay_alu instid0(VALU_DEP_1) | instskip(NEXT) | instid1(VALU_DEP_1)
	v_dual_fma_f32 v3, v42, v40, -v3 :: v_dual_fmac_f32 v41, v43, v40
	v_dual_add_f32 v38, v38, v3 :: v_dual_add_f32 v39, v39, v41
.LBB69_220:                             ;   in Loop: Header=BB69_3 Depth=1
	s_or_b32 exec_lo, exec_lo, s21
	s_delay_alu instid0(SALU_CYCLE_1) | instskip(SKIP_2) | instid1(SALU_CYCLE_1)
	;; [unrolled: 16-line block ×10, first 2 shown]
	s_mov_b32 s21, exec_lo
	v_readlane_b32 s23, v97, 4
	s_and_b32 s23, s21, s23
	s_mov_b32 exec_lo, s23
	s_cbranch_execnz .LBB69_1086
; %bb.237:                              ;   in Loop: Header=BB69_3 Depth=1
	s_or_b32 exec_lo, exec_lo, s21
	s_and_saveexec_b32 s21, s5
	s_cbranch_execnz .LBB69_1087
.LBB69_238:                             ;   in Loop: Header=BB69_3 Depth=1
	s_or_b32 exec_lo, exec_lo, s21
	s_and_saveexec_b32 s21, s15
	s_cbranch_execnz .LBB69_1088
.LBB69_239:                             ;   in Loop: Header=BB69_3 Depth=1
	s_or_b32 exec_lo, exec_lo, s21
	s_and_saveexec_b32 s21, s17
	s_cbranch_execnz .LBB69_1089
.LBB69_240:                             ;   in Loop: Header=BB69_3 Depth=1
	s_or_b32 exec_lo, exec_lo, s21
	s_and_saveexec_b32 s21, s4
	s_cbranch_execz .LBB69_242
.LBB69_241:                             ;   in Loop: Header=BB69_3 Depth=1
	ds_load_b64 v[40:41], v7 offset:7808
	ds_load_b64 v[42:43], v5 offset:120
	s_wait_dscnt 0x0
	v_dual_mul_f32 v3, v43, v41 :: v_dual_mul_f32 v45, v42, v41
	s_delay_alu instid0(VALU_DEP_1) | instskip(NEXT) | instid1(VALU_DEP_1)
	v_dual_fma_f32 v44, v42, v40, -v3 :: v_dual_fmac_f32 v45, v43, v40
	v_pk_add_f32 v[38:39], v[38:39], v[44:45]
.LBB69_242:                             ;   in Loop: Header=BB69_3 Depth=1
	s_or_b32 exec_lo, exec_lo, s21
	s_delay_alu instid0(VALU_DEP_1)
	v_pk_add_f32 v[38:39], v[38:39], 0 neg_lo:[1,1] neg_hi:[1,1]
.LBB69_243:                             ;   in Loop: Header=BB69_3 Depth=1
	s_or_b32 exec_lo, exec_lo, s84
	s_delay_alu instid0(SALU_CYCLE_1) | instskip(SKIP_2) | instid1(SALU_CYCLE_1)
	s_mov_b32 s21, exec_lo
	v_readlane_b32 s23, v106, 1
	s_and_b32 s23, s21, s23
	s_mov_b32 exec_lo, s23
; %bb.244:                              ;   in Loop: Header=BB69_3 Depth=1
	ds_store_b64 v78, v[38:39]
; %bb.245:                              ;   in Loop: Header=BB69_3 Depth=1
	s_or_b32 exec_lo, exec_lo, s21
	s_wait_dscnt 0x0
	s_barrier_signal -1
	s_barrier_wait -1
	s_mov_b32 s21, exec_lo
	v_readlane_b32 s23, v106, 2
	s_and_b32 s23, s21, s23
	s_delay_alu instid0(SALU_CYCLE_1)
	s_mov_b32 exec_lo, s23
	s_cbranch_execz .LBB69_247
; %bb.246:                              ;   in Loop: Header=BB69_3 Depth=1
	ds_load_b64 v[40:41], v74 offset:8320
	ds_load_b64 v[42:43], v78
	s_wait_dscnt 0x0
	v_pk_mul_f32 v[44:45], v[42:43], v[40:41] op_sel:[1,1] op_sel_hi:[0,1]
	s_delay_alu instid0(VALU_DEP_1) | instskip(SKIP_1) | instid1(VALU_DEP_2)
	v_pk_fma_f32 v[98:99], v[42:43], v[40:41], v[44:45] op_sel_hi:[1,0,1]
	v_pk_fma_f32 v[40:41], v[42:43], v[40:41], v[44:45] neg_lo:[0,0,1] neg_hi:[0,0,1]
	v_mov_b32_e32 v41, v99
	s_delay_alu instid0(VALU_DEP_1)
	v_pk_add_f32 v[38:39], v[38:39], v[40:41]
.LBB69_247:                             ;   in Loop: Header=BB69_3 Depth=1
	s_or_b32 exec_lo, exec_lo, s21
	s_barrier_signal -1
	s_barrier_wait -1
	s_mov_b32 s21, exec_lo
	v_readlane_b32 s23, v106, 3
	s_and_b32 s23, s21, s23
	s_delay_alu instid0(SALU_CYCLE_1)
	s_mov_b32 exec_lo, s23
; %bb.248:                              ;   in Loop: Header=BB69_3 Depth=1
	ds_store_b64 v78, v[38:39]
; %bb.249:                              ;   in Loop: Header=BB69_3 Depth=1
	s_or_b32 exec_lo, exec_lo, s21
	s_wait_dscnt 0x0
	s_barrier_signal -1
	s_barrier_wait -1
	s_mov_b32 s21, exec_lo
	v_readlane_b32 s23, v106, 4
	s_and_b32 s23, s21, s23
	s_delay_alu instid0(SALU_CYCLE_1)
	s_mov_b32 exec_lo, s23
	s_cbranch_execz .LBB69_251
; %bb.250:                              ;   in Loop: Header=BB69_3 Depth=1
	ds_load_b64 v[40:41], v74 offset:8832
	ds_load_b64 v[42:43], v78
	s_wait_dscnt 0x0
	v_pk_mul_f32 v[44:45], v[42:43], v[40:41] op_sel:[1,1] op_sel_hi:[0,1]
	s_delay_alu instid0(VALU_DEP_1) | instskip(SKIP_1) | instid1(VALU_DEP_2)
	v_pk_fma_f32 v[98:99], v[42:43], v[40:41], v[44:45] op_sel_hi:[1,0,1]
	v_pk_fma_f32 v[40:41], v[42:43], v[40:41], v[44:45] neg_lo:[0,0,1] neg_hi:[0,0,1]
	v_mov_b32_e32 v41, v99
	s_delay_alu instid0(VALU_DEP_1)
	v_pk_add_f32 v[38:39], v[38:39], v[40:41]
.LBB69_251:                             ;   in Loop: Header=BB69_3 Depth=1
	s_or_b32 exec_lo, exec_lo, s21
	s_barrier_signal -1
	s_barrier_wait -1
	s_mov_b32 s21, exec_lo
	v_readlane_b32 s23, v106, 5
	s_and_b32 s23, s21, s23
	s_delay_alu instid0(SALU_CYCLE_1)
	;; [unrolled: 33-line block ×3, first 2 shown]
	s_mov_b32 exec_lo, s23
; %bb.256:                              ;   in Loop: Header=BB69_3 Depth=1
	ds_store_b64 v78, v[38:39]
; %bb.257:                              ;   in Loop: Header=BB69_3 Depth=1
	s_or_b32 exec_lo, exec_lo, s21
	s_wait_dscnt 0x0
	s_barrier_signal -1
	s_barrier_wait -1
	s_mov_b32 s21, exec_lo
	v_readlane_b32 s23, v106, 8
	s_and_b32 s23, s21, s23
	s_delay_alu instid0(SALU_CYCLE_1)
	s_mov_b32 exec_lo, s23
	s_cbranch_execz .LBB69_259
; %bb.258:                              ;   in Loop: Header=BB69_3 Depth=1
	ds_load_b64 v[40:41], v74 offset:9856
	ds_load_b64 v[42:43], v78
	s_wait_dscnt 0x0
	v_dual_mul_f32 v3, v43, v41 :: v_dual_mul_f32 v41, v42, v41
	s_delay_alu instid0(VALU_DEP_1) | instskip(NEXT) | instid1(VALU_DEP_1)
	v_dual_fma_f32 v3, v42, v40, -v3 :: v_dual_fmac_f32 v41, v43, v40
	v_dual_add_f32 v38, v38, v3 :: v_dual_add_f32 v39, v39, v41
.LBB69_259:                             ;   in Loop: Header=BB69_3 Depth=1
	s_or_b32 exec_lo, exec_lo, s21
	s_barrier_signal -1
	s_barrier_wait -1
	s_mov_b32 s21, exec_lo
	v_readlane_b32 s23, v106, 9
	s_and_b32 s23, s21, s23
	s_delay_alu instid0(SALU_CYCLE_1)
	s_mov_b32 exec_lo, s23
; %bb.260:                              ;   in Loop: Header=BB69_3 Depth=1
	ds_store_b64 v78, v[38:39]
; %bb.261:                              ;   in Loop: Header=BB69_3 Depth=1
	s_or_b32 exec_lo, exec_lo, s21
	s_wait_dscnt 0x0
	s_barrier_signal -1
	s_barrier_wait -1
	s_mov_b32 s21, exec_lo
	v_readlane_b32 s23, v106, 10
	s_and_b32 s23, s21, s23
	s_delay_alu instid0(SALU_CYCLE_1)
	s_mov_b32 exec_lo, s23
	s_cbranch_execz .LBB69_263
; %bb.262:                              ;   in Loop: Header=BB69_3 Depth=1
	ds_load_b64 v[40:41], v74 offset:10368
	ds_load_b64 v[42:43], v78
	s_wait_dscnt 0x0
	v_dual_mul_f32 v3, v43, v41 :: v_dual_mul_f32 v45, v42, v41
	s_delay_alu instid0(VALU_DEP_1) | instskip(NEXT) | instid1(VALU_DEP_1)
	v_dual_fma_f32 v44, v42, v40, -v3 :: v_dual_fmac_f32 v45, v43, v40
	v_pk_add_f32 v[38:39], v[38:39], v[44:45]
.LBB69_263:                             ;   in Loop: Header=BB69_3 Depth=1
	s_or_b32 exec_lo, exec_lo, s21
	s_barrier_signal -1
	s_barrier_wait -1
	s_mov_b32 s21, exec_lo
	v_readlane_b32 s23, v106, 11
	s_and_b32 s23, s21, s23
	s_delay_alu instid0(SALU_CYCLE_1)
	s_mov_b32 exec_lo, s23
; %bb.264:                              ;   in Loop: Header=BB69_3 Depth=1
	ds_store_b64 v78, v[38:39]
; %bb.265:                              ;   in Loop: Header=BB69_3 Depth=1
	s_or_b32 exec_lo, exec_lo, s21
	s_wait_dscnt 0x0
	s_barrier_signal -1
	s_barrier_wait -1
	s_and_saveexec_b32 s21, s29
	s_cbranch_execz .LBB69_267
; %bb.266:                              ;   in Loop: Header=BB69_3 Depth=1
	ds_load_b64 v[40:41], v74 offset:10880
	ds_load_b64 v[42:43], v78
	s_wait_dscnt 0x0
	v_pk_mul_f32 v[44:45], v[42:43], v[40:41] op_sel:[1,1] op_sel_hi:[0,1]
	s_delay_alu instid0(VALU_DEP_1) | instskip(SKIP_1) | instid1(VALU_DEP_2)
	v_pk_fma_f32 v[98:99], v[42:43], v[40:41], v[44:45] op_sel_hi:[1,0,1]
	v_pk_fma_f32 v[40:41], v[42:43], v[40:41], v[44:45] neg_lo:[0,0,1] neg_hi:[0,0,1]
	v_mov_b32_e32 v41, v99
	s_delay_alu instid0(VALU_DEP_1)
	v_pk_add_f32 v[38:39], v[38:39], v[40:41]
.LBB69_267:                             ;   in Loop: Header=BB69_3 Depth=1
	s_or_b32 exec_lo, exec_lo, s21
	s_barrier_signal -1
	s_barrier_wait -1
	s_and_saveexec_b32 s21, s34
; %bb.268:                              ;   in Loop: Header=BB69_3 Depth=1
	ds_store_b64 v78, v[38:39]
; %bb.269:                              ;   in Loop: Header=BB69_3 Depth=1
	s_or_b32 exec_lo, exec_lo, s21
	s_wait_dscnt 0x0
	s_barrier_signal -1
	s_barrier_wait -1
	s_and_saveexec_b32 s21, s35
	s_cbranch_execz .LBB69_271
; %bb.270:                              ;   in Loop: Header=BB69_3 Depth=1
	ds_load_b64 v[40:41], v74 offset:11392
	ds_load_b64 v[42:43], v78
	s_wait_dscnt 0x0
	v_pk_mul_f32 v[44:45], v[42:43], v[40:41] op_sel:[1,1] op_sel_hi:[0,1]
	s_delay_alu instid0(VALU_DEP_1) | instskip(SKIP_1) | instid1(VALU_DEP_2)
	v_pk_fma_f32 v[98:99], v[42:43], v[40:41], v[44:45] op_sel_hi:[1,0,1]
	v_pk_fma_f32 v[40:41], v[42:43], v[40:41], v[44:45] neg_lo:[0,0,1] neg_hi:[0,0,1]
	v_mov_b32_e32 v41, v99
	s_delay_alu instid0(VALU_DEP_1)
	v_pk_add_f32 v[38:39], v[38:39], v[40:41]
.LBB69_271:                             ;   in Loop: Header=BB69_3 Depth=1
	s_or_b32 exec_lo, exec_lo, s21
	s_barrier_signal -1
	s_barrier_wait -1
	s_and_saveexec_b32 s21, s36
	;; [unrolled: 25-line block ×4, first 2 shown]
; %bb.280:                              ;   in Loop: Header=BB69_3 Depth=1
	ds_store_b64 v78, v[38:39]
; %bb.281:                              ;   in Loop: Header=BB69_3 Depth=1
	s_or_b32 exec_lo, exec_lo, s21
	s_wait_dscnt 0x0
	s_barrier_signal -1
	s_barrier_wait -1
	s_and_saveexec_b32 s21, s77
	s_cbranch_execz .LBB69_283
; %bb.282:                              ;   in Loop: Header=BB69_3 Depth=1
	ds_load_b64 v[40:41], v74 offset:12928
	ds_load_b64 v[42:43], v78
	s_wait_dscnt 0x0
	v_dual_mul_f32 v3, v43, v41 :: v_dual_mul_f32 v41, v42, v41
	s_delay_alu instid0(VALU_DEP_1) | instskip(NEXT) | instid1(VALU_DEP_1)
	v_dual_fma_f32 v3, v42, v40, -v3 :: v_dual_fmac_f32 v41, v43, v40
	v_dual_add_f32 v38, v38, v3 :: v_dual_add_f32 v39, v39, v41
.LBB69_283:                             ;   in Loop: Header=BB69_3 Depth=1
	s_or_b32 exec_lo, exec_lo, s21
	s_barrier_signal -1
	s_barrier_wait -1
	s_and_saveexec_b32 s21, s20
; %bb.284:                              ;   in Loop: Header=BB69_3 Depth=1
	ds_store_b64 v78, v[38:39]
; %bb.285:                              ;   in Loop: Header=BB69_3 Depth=1
	s_or_b32 exec_lo, exec_lo, s21
	s_wait_dscnt 0x0
	s_barrier_signal -1
	s_barrier_wait -1
	s_and_saveexec_b32 s21, s22
	s_cbranch_execz .LBB69_287
; %bb.286:                              ;   in Loop: Header=BB69_3 Depth=1
	ds_load_b64 v[40:41], v74 offset:13440
	ds_load_b64 v[42:43], v78
	s_wait_dscnt 0x0
	v_dual_mul_f32 v3, v43, v41 :: v_dual_mul_f32 v45, v42, v41
	s_delay_alu instid0(VALU_DEP_1) | instskip(NEXT) | instid1(VALU_DEP_1)
	v_dual_fma_f32 v44, v42, v40, -v3 :: v_dual_fmac_f32 v45, v43, v40
	v_pk_add_f32 v[38:39], v[38:39], v[44:45]
.LBB69_287:                             ;   in Loop: Header=BB69_3 Depth=1
	s_or_b32 exec_lo, exec_lo, s21
	s_barrier_signal -1
	s_barrier_wait -1
	s_and_saveexec_b32 s21, s24
; %bb.288:                              ;   in Loop: Header=BB69_3 Depth=1
	ds_store_b64 v78, v[38:39]
; %bb.289:                              ;   in Loop: Header=BB69_3 Depth=1
	s_or_b32 exec_lo, exec_lo, s21
	s_wait_dscnt 0x0
	s_barrier_signal -1
	s_barrier_wait -1
	s_and_saveexec_b32 s21, s26
	s_cbranch_execz .LBB69_291
; %bb.290:                              ;   in Loop: Header=BB69_3 Depth=1
	ds_load_b64 v[40:41], v74 offset:13952
	ds_load_b64 v[42:43], v78
	s_wait_dscnt 0x0
	v_pk_mul_f32 v[44:45], v[42:43], v[40:41] op_sel:[1,1] op_sel_hi:[0,1]
	s_delay_alu instid0(VALU_DEP_1) | instskip(SKIP_1) | instid1(VALU_DEP_2)
	v_pk_fma_f32 v[98:99], v[42:43], v[40:41], v[44:45] op_sel_hi:[1,0,1]
	v_pk_fma_f32 v[40:41], v[42:43], v[40:41], v[44:45] neg_lo:[0,0,1] neg_hi:[0,0,1]
	v_mov_b32_e32 v41, v99
	s_delay_alu instid0(VALU_DEP_1)
	v_pk_add_f32 v[38:39], v[38:39], v[40:41]
.LBB69_291:                             ;   in Loop: Header=BB69_3 Depth=1
	s_or_b32 exec_lo, exec_lo, s21
	s_barrier_signal -1
	s_barrier_wait -1
	s_and_saveexec_b32 s21, s19
; %bb.292:                              ;   in Loop: Header=BB69_3 Depth=1
	ds_store_b64 v78, v[38:39]
; %bb.293:                              ;   in Loop: Header=BB69_3 Depth=1
	s_or_b32 exec_lo, exec_lo, s21
	s_wait_dscnt 0x0
	s_barrier_signal -1
	s_barrier_wait -1
	s_and_saveexec_b32 s21, s28
	s_cbranch_execz .LBB69_295
; %bb.294:                              ;   in Loop: Header=BB69_3 Depth=1
	ds_load_b64 v[40:41], v74 offset:14464
	ds_load_b64 v[42:43], v78
	s_wait_dscnt 0x0
	v_pk_mul_f32 v[44:45], v[42:43], v[40:41] op_sel:[1,1] op_sel_hi:[0,1]
	s_delay_alu instid0(VALU_DEP_1) | instskip(SKIP_1) | instid1(VALU_DEP_2)
	v_pk_fma_f32 v[98:99], v[42:43], v[40:41], v[44:45] op_sel_hi:[1,0,1]
	v_pk_fma_f32 v[40:41], v[42:43], v[40:41], v[44:45] neg_lo:[0,0,1] neg_hi:[0,0,1]
	v_mov_b32_e32 v41, v99
	s_delay_alu instid0(VALU_DEP_1)
	v_pk_add_f32 v[38:39], v[38:39], v[40:41]
.LBB69_295:                             ;   in Loop: Header=BB69_3 Depth=1
	;; [unrolled: 25-line block ×4, first 2 shown]
	s_or_b32 exec_lo, exec_lo, s21
	s_barrier_signal -1
	s_barrier_wait -1
	s_and_saveexec_b32 s21, s53
; %bb.304:                              ;   in Loop: Header=BB69_3 Depth=1
	ds_store_b64 v78, v[38:39]
; %bb.305:                              ;   in Loop: Header=BB69_3 Depth=1
	s_or_b32 exec_lo, exec_lo, s21
	s_wait_dscnt 0x0
	s_barrier_signal -1
	s_barrier_wait -1
	s_barrier_signal -1
	s_barrier_wait -1
	s_and_saveexec_b32 s21, s6
; %bb.306:                              ;   in Loop: Header=BB69_3 Depth=1
	v_pk_add_f32 v[38:39], v[38:39], 0 neg_lo:[1,1] neg_hi:[1,1]
	ds_store_b64 v79, v[38:39] offset:128
; %bb.307:                              ;   in Loop: Header=BB69_3 Depth=1
	s_or_b32 exec_lo, exec_lo, s21
	s_wait_dscnt 0x0
	s_barrier_signal -1
	s_barrier_wait -1
	s_barrier_signal -1
	s_barrier_wait -1
	s_and_saveexec_b32 s21, s55
	s_cbranch_execz .LBB69_309
; %bb.308:                              ;   in Loop: Header=BB69_3 Depth=1
	ds_load_b64 v[38:39], v9 offset:128
	s_wait_dscnt 0x0
	ds_store_b64 v47, v[38:39] offset:8192
	ds_load_b64 v[38:39], v9 offset:136
	s_wait_dscnt 0x0
	ds_store_b64 v47, v[38:39] offset:8704
	ds_load_b64 v[38:39], v9 offset:144
	s_wait_dscnt 0x0
	ds_store_b64 v47, v[38:39] offset:9216
	ds_load_b64 v[38:39], v9 offset:152
	s_wait_dscnt 0x0
	ds_store_b64 v47, v[38:39] offset:9728
	ds_load_b64 v[38:39], v9 offset:160
	s_wait_dscnt 0x0
	ds_store_b64 v47, v[38:39] offset:10240
	ds_load_b64 v[38:39], v9 offset:168
	s_wait_dscnt 0x0
	ds_store_b64 v47, v[38:39] offset:10752
	ds_load_b64 v[38:39], v9 offset:176
	s_wait_dscnt 0x0
	ds_store_b64 v47, v[38:39] offset:11264
	ds_load_b64 v[38:39], v9 offset:184
	s_wait_dscnt 0x0
	ds_store_b64 v47, v[38:39] offset:11776
	ds_load_b64 v[38:39], v9 offset:192
	s_wait_dscnt 0x0
	ds_store_b64 v47, v[38:39] offset:12288
	ds_load_b64 v[38:39], v9 offset:200
	s_wait_dscnt 0x0
	ds_store_b64 v47, v[38:39] offset:12800
	ds_load_b64 v[38:39], v9 offset:208
	s_wait_dscnt 0x0
	ds_store_b64 v47, v[38:39] offset:13312
	ds_load_b64 v[38:39], v9 offset:216
	s_wait_dscnt 0x0
	ds_store_b64 v47, v[38:39] offset:13824
	ds_load_b64 v[38:39], v9 offset:224
	s_wait_dscnt 0x0
	ds_store_b64 v47, v[38:39] offset:14336
	ds_load_b64 v[38:39], v9 offset:232
	s_wait_dscnt 0x0
	ds_store_b64 v47, v[38:39] offset:14848
	ds_load_b64 v[38:39], v9 offset:240
	s_wait_dscnt 0x0
	ds_store_b64 v47, v[38:39] offset:15360
	ds_load_b64 v[38:39], v9 offset:248
	s_wait_dscnt 0x0
	ds_store_b64 v47, v[38:39] offset:15872
.LBB69_309:                             ;   in Loop: Header=BB69_3 Depth=1
	s_or_b32 exec_lo, exec_lo, s21
	s_wait_dscnt 0x0
	s_barrier_signal -1
	s_barrier_wait -1
	s_and_saveexec_b32 s21, s10
	s_cbranch_execz .LBB69_311
; %bb.310:                              ;   in Loop: Header=BB69_3 Depth=1
	ds_load_b64 v[38:39], v5 offset:8328
	v_add_nc_u32_e64 v3, 0x80, 0
	ds_store_b64 v5, v[26:27] offset:8840
	s_wait_dscnt 0x1
	ds_store_2addr_stride64_b64 v3, v[26:27], v[38:39] offset0:16 offset1:17
.LBB69_311:                             ;   in Loop: Header=BB69_3 Depth=1
	s_or_b32 exec_lo, exec_lo, s21
	v_mov_b64_e32 v[38:39], 0
	s_wait_dscnt 0x0
	s_barrier_signal -1
	s_barrier_wait -1
	s_and_saveexec_b32 s21, s2
	s_cbranch_execz .LBB69_315
; %bb.312:                              ;   in Loop: Header=BB69_3 Depth=1
	ds_load_b64 v[38:39], v68 offset:8336
	ds_load_b64 v[40:41], v69 offset:8320
	s_wait_dscnt 0x0
	v_pk_mul_f32 v[42:43], v[40:41], v[38:39] op_sel:[1,1] op_sel_hi:[0,1]
	s_delay_alu instid0(VALU_DEP_1) | instskip(SKIP_1) | instid1(VALU_DEP_2)
	v_pk_fma_f32 v[44:45], v[40:41], v[38:39], v[42:43] op_sel_hi:[1,0,1]
	v_pk_fma_f32 v[38:39], v[40:41], v[38:39], v[42:43] neg_lo:[0,0,1] neg_hi:[0,0,1]
	v_mov_b32_e32 v39, v45
	s_delay_alu instid0(VALU_DEP_1)
	v_pk_add_f32 v[38:39], v[38:39], 0 op_sel_hi:[1,0]
	s_and_saveexec_b32 s23, s11
	s_cbranch_execz .LBB69_314
; %bb.313:                              ;   in Loop: Header=BB69_3 Depth=1
	ds_load_b64 v[40:41], v7 offset:8848
	ds_load_b64 v[42:43], v5 offset:8328
	s_wait_dscnt 0x0
	v_pk_mul_f32 v[44:45], v[42:43], v[40:41] op_sel:[1,1] op_sel_hi:[0,1]
	s_delay_alu instid0(VALU_DEP_1) | instskip(SKIP_1) | instid1(VALU_DEP_2)
	v_pk_fma_f32 v[98:99], v[42:43], v[40:41], v[44:45] op_sel_hi:[1,0,1]
	v_pk_fma_f32 v[40:41], v[42:43], v[40:41], v[44:45] neg_lo:[0,0,1] neg_hi:[0,0,1]
	v_mov_b32_e32 v41, v99
	s_delay_alu instid0(VALU_DEP_1)
	v_pk_add_f32 v[38:39], v[38:39], v[40:41]
.LBB69_314:                             ;   in Loop: Header=BB69_3 Depth=1
	s_or_b32 exec_lo, exec_lo, s23
	s_delay_alu instid0(VALU_DEP_1)
	v_pk_add_f32 v[38:39], v[38:39], 0 neg_lo:[1,1] neg_hi:[1,1]
.LBB69_315:                             ;   in Loop: Header=BB69_3 Depth=1
	s_or_b32 exec_lo, exec_lo, s21
	s_and_saveexec_b32 s21, s94
; %bb.316:                              ;   in Loop: Header=BB69_3 Depth=1
	ds_store_b64 v56, v[38:39]
; %bb.317:                              ;   in Loop: Header=BB69_3 Depth=1
	s_or_b32 exec_lo, exec_lo, s21
	s_wait_dscnt 0x0
	s_barrier_signal -1
	s_barrier_wait -1
	s_and_saveexec_b32 s21, s95
	s_cbranch_execz .LBB69_319
; %bb.318:                              ;   in Loop: Header=BB69_3 Depth=1
	ds_load_b64 v[40:41], v5 offset:9368
	ds_load_b64 v[42:43], v56
	s_wait_dscnt 0x0
	v_pk_mul_f32 v[44:45], v[42:43], v[40:41] op_sel:[1,1] op_sel_hi:[0,1]
	s_delay_alu instid0(VALU_DEP_1) | instskip(SKIP_1) | instid1(VALU_DEP_2)
	v_pk_fma_f32 v[98:99], v[42:43], v[40:41], v[44:45] op_sel_hi:[1,0,1]
	v_pk_fma_f32 v[40:41], v[42:43], v[40:41], v[44:45] neg_lo:[0,0,1] neg_hi:[0,0,1]
	v_mov_b32_e32 v41, v99
	s_delay_alu instid0(VALU_DEP_1)
	v_pk_add_f32 v[38:39], v[38:39], v[40:41]
.LBB69_319:                             ;   in Loop: Header=BB69_3 Depth=1
	s_or_b32 exec_lo, exec_lo, s21
	s_barrier_signal -1
	s_barrier_wait -1
	s_and_saveexec_b32 s21, s95
; %bb.320:                              ;   in Loop: Header=BB69_3 Depth=1
	ds_store_b64 v56, v[38:39]
; %bb.321:                              ;   in Loop: Header=BB69_3 Depth=1
	s_or_b32 exec_lo, exec_lo, s21
	s_wait_dscnt 0x0
	s_barrier_signal -1
	s_barrier_wait -1
	s_barrier_signal -1
	s_barrier_wait -1
	s_and_saveexec_b32 s21, s2
; %bb.322:                              ;   in Loop: Header=BB69_3 Depth=1
	v_pk_add_f32 v[38:39], v[38:39], 0 neg_lo:[1,1] neg_hi:[1,1]
	ds_store_b64 v68, v[38:39] offset:8336
; %bb.323:                              ;   in Loop: Header=BB69_3 Depth=1
	s_or_b32 exec_lo, exec_lo, s21
	s_wait_dscnt 0x0
	s_barrier_signal -1
	s_barrier_wait -1
	s_barrier_signal -1
	s_barrier_wait -1
	s_and_saveexec_b32 s21, s96
	s_cbranch_execz .LBB69_325
; %bb.324:                              ;   in Loop: Header=BB69_3 Depth=1
	ds_load_b64 v[38:39], v9 offset:8336
	s_wait_dscnt 0x0
	ds_store_b64 v7, v[38:39] offset:9344
	ds_load_b64 v[38:39], v9 offset:8344
	s_wait_dscnt 0x0
	ds_store_b64 v7, v[38:39] offset:9856
.LBB69_325:                             ;   in Loop: Header=BB69_3 Depth=1
	s_or_b32 exec_lo, exec_lo, s21
	s_wait_dscnt 0x0
	s_barrier_signal -1
	s_barrier_wait -1
	s_and_saveexec_b32 s21, s10
	s_cbranch_execz .LBB69_327
; %bb.326:                              ;   in Loop: Header=BB69_3 Depth=1
	ds_load_b64 v[38:39], v5 offset:9368
	v_add_nc_u32_e64 v3, 0x90, 0
	ds_store_b64 v5, v[26:27] offset:9880
	s_wait_dscnt 0x1
	ds_store_2addr_stride64_b64 v3, v[26:27], v[38:39] offset0:18 offset1:19
.LBB69_327:                             ;   in Loop: Header=BB69_3 Depth=1
	s_or_b32 exec_lo, exec_lo, s21
	v_mov_b64_e32 v[38:39], 0
	s_wait_dscnt 0x0
	s_barrier_signal -1
	s_barrier_wait -1
	s_and_saveexec_b32 s61, s4
	s_cbranch_execz .LBB69_333
; %bb.328:                              ;   in Loop: Header=BB69_3 Depth=1
	ds_load_b64 v[38:39], v72 offset:8352
	ds_load_b64 v[40:41], v55 offset:8320
	s_wait_dscnt 0x0
	v_dual_mul_f32 v3, v41, v39 :: v_dual_mul_f32 v39, v40, v39
	s_delay_alu instid0(VALU_DEP_1) | instskip(NEXT) | instid1(VALU_DEP_1)
	v_fmac_f32_e32 v39, v41, v38
	v_dual_fma_f32 v3, v40, v38, -v3 :: v_dual_add_f32 v39, 0, v39
	s_delay_alu instid0(VALU_DEP_1)
	v_add_f32_e32 v38, 0, v3
	s_and_saveexec_b32 s21, s12
	s_cbranch_execnz .LBB69_1090
; %bb.329:                              ;   in Loop: Header=BB69_3 Depth=1
	s_or_b32 exec_lo, exec_lo, s21
	s_and_saveexec_b32 s21, s13
	s_cbranch_execnz .LBB69_1091
.LBB69_330:                             ;   in Loop: Header=BB69_3 Depth=1
	s_or_b32 exec_lo, exec_lo, s21
	s_and_saveexec_b32 s21, s2
	s_cbranch_execz .LBB69_332
.LBB69_331:                             ;   in Loop: Header=BB69_3 Depth=1
	ds_load_b64 v[40:41], v47 offset:9888
	ds_load_b64 v[42:43], v5 offset:8344
	s_wait_dscnt 0x0
	v_dual_mul_f32 v3, v43, v41 :: v_dual_mul_f32 v45, v42, v41
	s_delay_alu instid0(VALU_DEP_1) | instskip(NEXT) | instid1(VALU_DEP_1)
	v_dual_fma_f32 v44, v42, v40, -v3 :: v_dual_fmac_f32 v45, v43, v40
	v_pk_add_f32 v[38:39], v[38:39], v[44:45]
.LBB69_332:                             ;   in Loop: Header=BB69_3 Depth=1
	s_or_b32 exec_lo, exec_lo, s21
	s_delay_alu instid0(VALU_DEP_1)
	v_pk_add_f32 v[38:39], v[38:39], 0 neg_lo:[1,1] neg_hi:[1,1]
.LBB69_333:                             ;   in Loop: Header=BB69_3 Depth=1
	s_or_b32 exec_lo, exec_lo, s61
	s_and_saveexec_b32 s21, s97
; %bb.334:                              ;   in Loop: Header=BB69_3 Depth=1
	ds_store_b64 v70, v[38:39]
; %bb.335:                              ;   in Loop: Header=BB69_3 Depth=1
	s_or_b32 exec_lo, exec_lo, s21
	s_wait_dscnt 0x0
	s_barrier_signal -1
	s_barrier_wait -1
	s_and_saveexec_b32 s21, s98
	s_cbranch_execz .LBB69_337
; %bb.336:                              ;   in Loop: Header=BB69_3 Depth=1
	ds_load_b64 v[40:41], v67 offset:10400
	ds_load_b64 v[42:43], v70
	s_wait_dscnt 0x0
	v_pk_mul_f32 v[44:45], v[42:43], v[40:41] op_sel:[1,1] op_sel_hi:[0,1]
	s_delay_alu instid0(VALU_DEP_1) | instskip(SKIP_1) | instid1(VALU_DEP_2)
	v_pk_fma_f32 v[98:99], v[42:43], v[40:41], v[44:45] op_sel_hi:[1,0,1]
	v_pk_fma_f32 v[40:41], v[42:43], v[40:41], v[44:45] neg_lo:[0,0,1] neg_hi:[0,0,1]
	v_mov_b32_e32 v41, v99
	s_delay_alu instid0(VALU_DEP_1)
	v_pk_add_f32 v[38:39], v[38:39], v[40:41]
.LBB69_337:                             ;   in Loop: Header=BB69_3 Depth=1
	s_or_b32 exec_lo, exec_lo, s21
	s_barrier_signal -1
	s_barrier_wait -1
	s_and_saveexec_b32 s21, s99
; %bb.338:                              ;   in Loop: Header=BB69_3 Depth=1
	ds_store_b64 v70, v[38:39]
; %bb.339:                              ;   in Loop: Header=BB69_3 Depth=1
	s_or_b32 exec_lo, exec_lo, s21
	s_wait_dscnt 0x0
	s_barrier_signal -1
	s_barrier_wait -1
	s_and_saveexec_b32 s21, s100
	s_cbranch_execz .LBB69_341
; %bb.340:                              ;   in Loop: Header=BB69_3 Depth=1
	ds_load_b64 v[40:41], v67 offset:10912
	ds_load_b64 v[42:43], v70
	s_wait_dscnt 0x0
	v_pk_mul_f32 v[44:45], v[42:43], v[40:41] op_sel:[1,1] op_sel_hi:[0,1]
	s_delay_alu instid0(VALU_DEP_1) | instskip(SKIP_1) | instid1(VALU_DEP_2)
	v_pk_fma_f32 v[98:99], v[42:43], v[40:41], v[44:45] op_sel_hi:[1,0,1]
	v_pk_fma_f32 v[40:41], v[42:43], v[40:41], v[44:45] neg_lo:[0,0,1] neg_hi:[0,0,1]
	v_mov_b32_e32 v41, v99
	s_delay_alu instid0(VALU_DEP_1)
	v_pk_add_f32 v[38:39], v[38:39], v[40:41]
.LBB69_341:                             ;   in Loop: Header=BB69_3 Depth=1
	s_or_b32 exec_lo, exec_lo, s21
	s_barrier_signal -1
	s_barrier_wait -1
	;; [unrolled: 25-line block ×3, first 2 shown]
	s_and_saveexec_b32 s21, s102
; %bb.346:                              ;   in Loop: Header=BB69_3 Depth=1
	ds_store_b64 v70, v[38:39]
; %bb.347:                              ;   in Loop: Header=BB69_3 Depth=1
	s_or_b32 exec_lo, exec_lo, s21
	s_wait_dscnt 0x0
	s_barrier_signal -1
	s_barrier_wait -1
	s_barrier_signal -1
	s_barrier_wait -1
	s_and_saveexec_b32 s21, s4
; %bb.348:                              ;   in Loop: Header=BB69_3 Depth=1
	v_pk_add_f32 v[38:39], v[38:39], 0 neg_lo:[1,1] neg_hi:[1,1]
	ds_store_b64 v72, v[38:39] offset:8352
; %bb.349:                              ;   in Loop: Header=BB69_3 Depth=1
	s_or_b32 exec_lo, exec_lo, s21
	s_wait_dscnt 0x0
	s_barrier_signal -1
	s_barrier_wait -1
	s_barrier_signal -1
	s_barrier_wait -1
	s_and_saveexec_b32 s21, s103
	s_cbranch_execz .LBB69_351
; %bb.350:                              ;   in Loop: Header=BB69_3 Depth=1
	ds_load_b64 v[38:39], v48 offset:8352
	s_wait_dscnt 0x0
	ds_store_b64 v49, v[38:39] offset:10368
	ds_load_b64 v[38:39], v48 offset:8360
	s_wait_dscnt 0x0
	ds_store_b64 v49, v[38:39] offset:10880
	;; [unrolled: 3-line block ×4, first 2 shown]
.LBB69_351:                             ;   in Loop: Header=BB69_3 Depth=1
	s_or_b32 exec_lo, exec_lo, s21
	s_wait_dscnt 0x0
	s_barrier_signal -1
	s_barrier_wait -1
	s_and_saveexec_b32 s21, s10
	s_cbranch_execz .LBB69_353
; %bb.352:                              ;   in Loop: Header=BB69_3 Depth=1
	ds_load_b64 v[38:39], v5 offset:10408
	v_add_nc_u32_e64 v3, 0xa0, 0
	ds_store_b64 v5, v[26:27] offset:10920
	s_wait_dscnt 0x1
	ds_store_2addr_stride64_b64 v3, v[26:27], v[38:39] offset0:20 offset1:21
.LBB69_353:                             ;   in Loop: Header=BB69_3 Depth=1
	s_or_b32 exec_lo, exec_lo, s21
	v_mov_b64_e32 v[38:39], 0
	s_wait_dscnt 0x0
	s_barrier_signal -1
	s_barrier_wait -1
	s_and_saveexec_b32 s21, s2
	s_cbranch_execz .LBB69_357
; %bb.354:                              ;   in Loop: Header=BB69_3 Depth=1
	ds_load_b64 v[38:39], v68 offset:10416
	ds_load_b64 v[40:41], v69 offset:10400
	s_wait_dscnt 0x0
	v_pk_mul_f32 v[42:43], v[40:41], v[38:39] op_sel:[1,1] op_sel_hi:[0,1]
	s_delay_alu instid0(VALU_DEP_1) | instskip(SKIP_1) | instid1(VALU_DEP_2)
	v_pk_fma_f32 v[44:45], v[40:41], v[38:39], v[42:43] op_sel_hi:[1,0,1]
	v_pk_fma_f32 v[38:39], v[40:41], v[38:39], v[42:43] neg_lo:[0,0,1] neg_hi:[0,0,1]
	v_mov_b32_e32 v39, v45
	s_delay_alu instid0(VALU_DEP_1)
	v_pk_add_f32 v[38:39], v[38:39], 0 op_sel_hi:[1,0]
	s_and_saveexec_b32 s23, s11
	s_cbranch_execz .LBB69_356
; %bb.355:                              ;   in Loop: Header=BB69_3 Depth=1
	ds_load_b64 v[40:41], v49 offset:10928
	ds_load_b64 v[42:43], v5 offset:10408
	s_wait_dscnt 0x0
	v_pk_mul_f32 v[44:45], v[42:43], v[40:41] op_sel:[1,1] op_sel_hi:[0,1]
	s_delay_alu instid0(VALU_DEP_1) | instskip(SKIP_1) | instid1(VALU_DEP_2)
	v_pk_fma_f32 v[98:99], v[42:43], v[40:41], v[44:45] op_sel_hi:[1,0,1]
	v_pk_fma_f32 v[40:41], v[42:43], v[40:41], v[44:45] neg_lo:[0,0,1] neg_hi:[0,0,1]
	v_mov_b32_e32 v41, v99
	s_delay_alu instid0(VALU_DEP_1)
	v_pk_add_f32 v[38:39], v[38:39], v[40:41]
.LBB69_356:                             ;   in Loop: Header=BB69_3 Depth=1
	s_or_b32 exec_lo, exec_lo, s23
	s_delay_alu instid0(VALU_DEP_1)
	v_pk_add_f32 v[38:39], v[38:39], 0 neg_lo:[1,1] neg_hi:[1,1]
.LBB69_357:                             ;   in Loop: Header=BB69_3 Depth=1
	s_or_b32 exec_lo, exec_lo, s21
	s_and_saveexec_b32 s21, s94
; %bb.358:                              ;   in Loop: Header=BB69_3 Depth=1
	ds_store_b64 v56, v[38:39]
; %bb.359:                              ;   in Loop: Header=BB69_3 Depth=1
	s_or_b32 exec_lo, exec_lo, s21
	s_wait_dscnt 0x0
	s_barrier_signal -1
	s_barrier_wait -1
	s_and_saveexec_b32 s21, s95
	s_cbranch_execz .LBB69_361
; %bb.360:                              ;   in Loop: Header=BB69_3 Depth=1
	ds_load_b64 v[40:41], v5 offset:11448
	ds_load_b64 v[42:43], v56
	s_wait_dscnt 0x0
	v_pk_mul_f32 v[44:45], v[42:43], v[40:41] op_sel:[1,1] op_sel_hi:[0,1]
	s_delay_alu instid0(VALU_DEP_1) | instskip(SKIP_1) | instid1(VALU_DEP_2)
	v_pk_fma_f32 v[98:99], v[42:43], v[40:41], v[44:45] op_sel_hi:[1,0,1]
	v_pk_fma_f32 v[40:41], v[42:43], v[40:41], v[44:45] neg_lo:[0,0,1] neg_hi:[0,0,1]
	v_mov_b32_e32 v41, v99
	s_delay_alu instid0(VALU_DEP_1)
	v_pk_add_f32 v[38:39], v[38:39], v[40:41]
.LBB69_361:                             ;   in Loop: Header=BB69_3 Depth=1
	s_or_b32 exec_lo, exec_lo, s21
	s_barrier_signal -1
	s_barrier_wait -1
	s_and_saveexec_b32 s21, s95
; %bb.362:                              ;   in Loop: Header=BB69_3 Depth=1
	ds_store_b64 v56, v[38:39]
; %bb.363:                              ;   in Loop: Header=BB69_3 Depth=1
	s_or_b32 exec_lo, exec_lo, s21
	s_wait_dscnt 0x0
	s_barrier_signal -1
	s_barrier_wait -1
	s_barrier_signal -1
	s_barrier_wait -1
	s_and_saveexec_b32 s21, s2
; %bb.364:                              ;   in Loop: Header=BB69_3 Depth=1
	v_pk_add_f32 v[38:39], v[38:39], 0 neg_lo:[1,1] neg_hi:[1,1]
	ds_store_b64 v68, v[38:39] offset:10416
; %bb.365:                              ;   in Loop: Header=BB69_3 Depth=1
	s_or_b32 exec_lo, exec_lo, s21
	s_wait_dscnt 0x0
	s_barrier_signal -1
	s_barrier_wait -1
	s_barrier_signal -1
	s_barrier_wait -1
	s_and_saveexec_b32 s21, s96
	s_cbranch_execz .LBB69_367
; %bb.366:                              ;   in Loop: Header=BB69_3 Depth=1
	ds_load_b64 v[38:39], v50 offset:10416
	s_wait_dscnt 0x0
	ds_store_b64 v49, v[38:39] offset:11424
	ds_load_b64 v[38:39], v50 offset:10424
	s_wait_dscnt 0x0
	ds_store_b64 v49, v[38:39] offset:11936
.LBB69_367:                             ;   in Loop: Header=BB69_3 Depth=1
	s_or_b32 exec_lo, exec_lo, s21
	s_wait_dscnt 0x0
	s_barrier_signal -1
	s_barrier_wait -1
	s_and_saveexec_b32 s21, s10
	s_cbranch_execz .LBB69_369
; %bb.368:                              ;   in Loop: Header=BB69_3 Depth=1
	ds_load_b64 v[38:39], v5 offset:11448
	v_add_nc_u32_e64 v3, 0xb0, 0
	ds_store_b64 v5, v[26:27] offset:11960
	s_wait_dscnt 0x1
	ds_store_2addr_stride64_b64 v3, v[26:27], v[38:39] offset0:22 offset1:23
.LBB69_369:                             ;   in Loop: Header=BB69_3 Depth=1
	s_or_b32 exec_lo, exec_lo, s21
	v_mov_b64_e32 v[38:39], 0
	s_wait_dscnt 0x0
	s_barrier_signal -1
	s_barrier_wait -1
	s_and_saveexec_b32 s61, s5
	s_cbranch_execz .LBB69_379
; %bb.370:                              ;   in Loop: Header=BB69_3 Depth=1
	ds_load_b64 v[38:39], v76 offset:8384
	ds_load_b64 v[40:41], v59 offset:8320
	s_wait_dscnt 0x0
	v_dual_mul_f32 v3, v41, v39 :: v_dual_mul_f32 v39, v40, v39
	s_delay_alu instid0(VALU_DEP_1) | instskip(NEXT) | instid1(VALU_DEP_1)
	v_fmac_f32_e32 v39, v41, v38
	v_dual_fma_f32 v3, v40, v38, -v3 :: v_dual_add_f32 v39, 0, v39
	s_delay_alu instid0(VALU_DEP_1)
	v_add_f32_e32 v38, 0, v3
	s_and_saveexec_b32 s21, s14
	s_cbranch_execnz .LBB69_1092
; %bb.371:                              ;   in Loop: Header=BB69_3 Depth=1
	s_or_b32 exec_lo, exec_lo, s21
	s_and_saveexec_b32 s21, s15
	s_cbranch_execnz .LBB69_1093
.LBB69_372:                             ;   in Loop: Header=BB69_3 Depth=1
	s_or_b32 exec_lo, exec_lo, s21
	s_and_saveexec_b32 s21, s16
	s_cbranch_execnz .LBB69_1094
.LBB69_373:                             ;   in Loop: Header=BB69_3 Depth=1
	s_or_b32 exec_lo, exec_lo, s21
	s_and_saveexec_b32 s21, s17
	s_cbranch_execnz .LBB69_1095
.LBB69_374:                             ;   in Loop: Header=BB69_3 Depth=1
	s_or_b32 exec_lo, exec_lo, s21
	s_and_saveexec_b32 s21, s18
	s_cbranch_execnz .LBB69_1096
.LBB69_375:                             ;   in Loop: Header=BB69_3 Depth=1
	s_or_b32 exec_lo, exec_lo, s21
	s_and_saveexec_b32 s21, s4
	s_cbranch_execnz .LBB69_1097
.LBB69_376:                             ;   in Loop: Header=BB69_3 Depth=1
	s_or_b32 exec_lo, exec_lo, s21
	s_and_saveexec_b32 s21, s13
	s_cbranch_execz .LBB69_378
.LBB69_377:                             ;   in Loop: Header=BB69_3 Depth=1
	ds_load_b64 v[40:41], v7 offset:11968
	ds_load_b64 v[42:43], v5 offset:8376
	s_wait_dscnt 0x0
	v_pk_mul_f32 v[44:45], v[42:43], v[40:41] op_sel:[1,1] op_sel_hi:[0,1]
	s_delay_alu instid0(VALU_DEP_1) | instskip(SKIP_1) | instid1(VALU_DEP_2)
	v_pk_fma_f32 v[98:99], v[42:43], v[40:41], v[44:45] op_sel_hi:[1,0,1]
	v_pk_fma_f32 v[40:41], v[42:43], v[40:41], v[44:45] neg_lo:[0,0,1] neg_hi:[0,0,1]
	v_mov_b32_e32 v41, v99
	s_delay_alu instid0(VALU_DEP_1)
	v_pk_add_f32 v[38:39], v[38:39], v[40:41]
.LBB69_378:                             ;   in Loop: Header=BB69_3 Depth=1
	s_or_b32 exec_lo, exec_lo, s21
	s_delay_alu instid0(VALU_DEP_1)
	v_pk_add_f32 v[38:39], v[38:39], 0 neg_lo:[1,1] neg_hi:[1,1]
.LBB69_379:                             ;   in Loop: Header=BB69_3 Depth=1
	s_or_b32 exec_lo, exec_lo, s61
	s_and_saveexec_b32 s21, s104
; %bb.380:                              ;   in Loop: Header=BB69_3 Depth=1
	ds_store_b64 v75, v[38:39]
; %bb.381:                              ;   in Loop: Header=BB69_3 Depth=1
	s_or_b32 exec_lo, exec_lo, s21
	s_wait_dscnt 0x0
	s_barrier_signal -1
	s_barrier_wait -1
	s_and_saveexec_b32 s21, vcc_hi
	s_cbranch_execz .LBB69_383
; %bb.382:                              ;   in Loop: Header=BB69_3 Depth=1
	ds_load_b64 v[40:41], v71 offset:12480
	ds_load_b64 v[42:43], v75
	s_wait_dscnt 0x0
	v_pk_mul_f32 v[44:45], v[42:43], v[40:41] op_sel:[1,1] op_sel_hi:[0,1]
	s_delay_alu instid0(VALU_DEP_1) | instskip(SKIP_1) | instid1(VALU_DEP_2)
	v_pk_fma_f32 v[98:99], v[42:43], v[40:41], v[44:45] op_sel_hi:[1,0,1]
	v_pk_fma_f32 v[40:41], v[42:43], v[40:41], v[44:45] neg_lo:[0,0,1] neg_hi:[0,0,1]
	v_mov_b32_e32 v41, v99
	s_delay_alu instid0(VALU_DEP_1)
	v_pk_add_f32 v[38:39], v[38:39], v[40:41]
.LBB69_383:                             ;   in Loop: Header=BB69_3 Depth=1
	s_or_b32 exec_lo, exec_lo, s21
	s_barrier_signal -1
	s_barrier_wait -1
	s_and_saveexec_b32 s21, s38
; %bb.384:                              ;   in Loop: Header=BB69_3 Depth=1
	ds_store_b64 v75, v[38:39]
; %bb.385:                              ;   in Loop: Header=BB69_3 Depth=1
	s_or_b32 exec_lo, exec_lo, s21
	s_wait_dscnt 0x0
	s_barrier_signal -1
	s_barrier_wait -1
	s_and_saveexec_b32 s21, s39
	s_cbranch_execz .LBB69_387
; %bb.386:                              ;   in Loop: Header=BB69_3 Depth=1
	ds_load_b64 v[40:41], v71 offset:12992
	ds_load_b64 v[42:43], v75
	s_wait_dscnt 0x0
	v_dual_mul_f32 v3, v43, v41 :: v_dual_mul_f32 v41, v42, v41
	s_delay_alu instid0(VALU_DEP_1) | instskip(NEXT) | instid1(VALU_DEP_1)
	v_dual_fma_f32 v3, v42, v40, -v3 :: v_dual_fmac_f32 v41, v43, v40
	v_dual_add_f32 v38, v38, v3 :: v_dual_add_f32 v39, v39, v41
.LBB69_387:                             ;   in Loop: Header=BB69_3 Depth=1
	s_or_b32 exec_lo, exec_lo, s21
	s_barrier_signal -1
	s_barrier_wait -1
	s_and_saveexec_b32 s21, s40
; %bb.388:                              ;   in Loop: Header=BB69_3 Depth=1
	ds_store_b64 v75, v[38:39]
; %bb.389:                              ;   in Loop: Header=BB69_3 Depth=1
	s_or_b32 exec_lo, exec_lo, s21
	s_wait_dscnt 0x0
	s_barrier_signal -1
	s_barrier_wait -1
	s_and_saveexec_b32 s21, s41
	s_cbranch_execz .LBB69_391
; %bb.390:                              ;   in Loop: Header=BB69_3 Depth=1
	ds_load_b64 v[40:41], v71 offset:13504
	ds_load_b64 v[42:43], v75
	s_wait_dscnt 0x0
	v_dual_mul_f32 v3, v43, v41 :: v_dual_mul_f32 v45, v42, v41
	s_delay_alu instid0(VALU_DEP_1) | instskip(NEXT) | instid1(VALU_DEP_1)
	v_dual_fma_f32 v44, v42, v40, -v3 :: v_dual_fmac_f32 v45, v43, v40
	v_pk_add_f32 v[38:39], v[38:39], v[44:45]
.LBB69_391:                             ;   in Loop: Header=BB69_3 Depth=1
	s_or_b32 exec_lo, exec_lo, s21
	s_barrier_signal -1
	s_barrier_wait -1
	s_and_saveexec_b32 s21, s42
; %bb.392:                              ;   in Loop: Header=BB69_3 Depth=1
	ds_store_b64 v75, v[38:39]
; %bb.393:                              ;   in Loop: Header=BB69_3 Depth=1
	s_or_b32 exec_lo, exec_lo, s21
	s_wait_dscnt 0x0
	s_barrier_signal -1
	s_barrier_wait -1
	s_and_saveexec_b32 s21, s43
	s_cbranch_execz .LBB69_395
; %bb.394:                              ;   in Loop: Header=BB69_3 Depth=1
	ds_load_b64 v[40:41], v71 offset:14016
	ds_load_b64 v[42:43], v75
	s_wait_dscnt 0x0
	v_pk_mul_f32 v[44:45], v[42:43], v[40:41] op_sel:[1,1] op_sel_hi:[0,1]
	s_delay_alu instid0(VALU_DEP_1) | instskip(SKIP_1) | instid1(VALU_DEP_2)
	v_pk_fma_f32 v[98:99], v[42:43], v[40:41], v[44:45] op_sel_hi:[1,0,1]
	v_pk_fma_f32 v[40:41], v[42:43], v[40:41], v[44:45] neg_lo:[0,0,1] neg_hi:[0,0,1]
	v_mov_b32_e32 v41, v99
	s_delay_alu instid0(VALU_DEP_1)
	v_pk_add_f32 v[38:39], v[38:39], v[40:41]
.LBB69_395:                             ;   in Loop: Header=BB69_3 Depth=1
	s_or_b32 exec_lo, exec_lo, s21
	s_barrier_signal -1
	s_barrier_wait -1
	s_and_saveexec_b32 s21, s44
; %bb.396:                              ;   in Loop: Header=BB69_3 Depth=1
	ds_store_b64 v75, v[38:39]
; %bb.397:                              ;   in Loop: Header=BB69_3 Depth=1
	s_or_b32 exec_lo, exec_lo, s21
	s_wait_dscnt 0x0
	s_barrier_signal -1
	s_barrier_wait -1
	s_and_saveexec_b32 s21, s45
	s_cbranch_execz .LBB69_399
; %bb.398:                              ;   in Loop: Header=BB69_3 Depth=1
	ds_load_b64 v[40:41], v71 offset:14528
	ds_load_b64 v[42:43], v75
	s_wait_dscnt 0x0
	v_pk_mul_f32 v[44:45], v[42:43], v[40:41] op_sel:[1,1] op_sel_hi:[0,1]
	s_delay_alu instid0(VALU_DEP_1) | instskip(SKIP_1) | instid1(VALU_DEP_2)
	v_pk_fma_f32 v[98:99], v[42:43], v[40:41], v[44:45] op_sel_hi:[1,0,1]
	v_pk_fma_f32 v[40:41], v[42:43], v[40:41], v[44:45] neg_lo:[0,0,1] neg_hi:[0,0,1]
	v_mov_b32_e32 v41, v99
	s_delay_alu instid0(VALU_DEP_1)
	v_pk_add_f32 v[38:39], v[38:39], v[40:41]
.LBB69_399:                             ;   in Loop: Header=BB69_3 Depth=1
	;; [unrolled: 25-line block ×4, first 2 shown]
	s_or_b32 exec_lo, exec_lo, s21
	s_barrier_signal -1
	s_barrier_wait -1
	s_and_saveexec_b32 s21, s49
; %bb.408:                              ;   in Loop: Header=BB69_3 Depth=1
	ds_store_b64 v75, v[38:39]
; %bb.409:                              ;   in Loop: Header=BB69_3 Depth=1
	s_or_b32 exec_lo, exec_lo, s21
	s_wait_dscnt 0x0
	s_barrier_signal -1
	s_barrier_wait -1
	s_barrier_signal -1
	s_barrier_wait -1
	s_and_saveexec_b32 s21, s5
; %bb.410:                              ;   in Loop: Header=BB69_3 Depth=1
	v_pk_add_f32 v[38:39], v[38:39], 0 neg_lo:[1,1] neg_hi:[1,1]
	ds_store_b64 v76, v[38:39] offset:8384
; %bb.411:                              ;   in Loop: Header=BB69_3 Depth=1
	s_or_b32 exec_lo, exec_lo, s21
	s_wait_dscnt 0x0
	s_barrier_signal -1
	s_barrier_wait -1
	s_barrier_signal -1
	s_barrier_wait -1
	s_and_saveexec_b32 s21, s50
	s_cbranch_execz .LBB69_413
; %bb.412:                              ;   in Loop: Header=BB69_3 Depth=1
	ds_load_b64 v[38:39], v9 offset:8384
	s_wait_dscnt 0x0
	ds_store_b64 v47, v[38:39] offset:12416
	ds_load_b64 v[38:39], v9 offset:8392
	s_wait_dscnt 0x0
	ds_store_b64 v47, v[38:39] offset:12928
	;; [unrolled: 3-line block ×8, first 2 shown]
.LBB69_413:                             ;   in Loop: Header=BB69_3 Depth=1
	s_or_b32 exec_lo, exec_lo, s21
	s_wait_dscnt 0x0
	s_barrier_signal -1
	s_barrier_wait -1
	s_and_saveexec_b32 s21, s10
	s_cbranch_execz .LBB69_415
; %bb.414:                              ;   in Loop: Header=BB69_3 Depth=1
	ds_load_b64 v[38:39], v5 offset:12488
	v_add_nc_u32_e64 v3, 0xc0, 0
	ds_store_b64 v5, v[26:27] offset:13000
	s_wait_dscnt 0x1
	ds_store_2addr_stride64_b64 v3, v[26:27], v[38:39] offset0:24 offset1:25
.LBB69_415:                             ;   in Loop: Header=BB69_3 Depth=1
	s_or_b32 exec_lo, exec_lo, s21
	v_mov_b64_e32 v[38:39], 0
	s_wait_dscnt 0x0
	s_barrier_signal -1
	s_barrier_wait -1
	s_and_saveexec_b32 s21, s2
	s_cbranch_execz .LBB69_419
; %bb.416:                              ;   in Loop: Header=BB69_3 Depth=1
	ds_load_b64 v[38:39], v68 offset:12496
	ds_load_b64 v[40:41], v69 offset:12480
	s_wait_dscnt 0x0
	v_pk_mul_f32 v[42:43], v[40:41], v[38:39] op_sel:[1,1] op_sel_hi:[0,1]
	s_delay_alu instid0(VALU_DEP_1) | instskip(SKIP_1) | instid1(VALU_DEP_2)
	v_pk_fma_f32 v[44:45], v[40:41], v[38:39], v[42:43] op_sel_hi:[1,0,1]
	v_pk_fma_f32 v[38:39], v[40:41], v[38:39], v[42:43] neg_lo:[0,0,1] neg_hi:[0,0,1]
	v_mov_b32_e32 v39, v45
	s_delay_alu instid0(VALU_DEP_1)
	v_pk_add_f32 v[38:39], v[38:39], 0 op_sel_hi:[1,0]
	s_and_saveexec_b32 s23, s11
	s_cbranch_execz .LBB69_418
; %bb.417:                              ;   in Loop: Header=BB69_3 Depth=1
	ds_load_b64 v[40:41], v47 offset:13008
	ds_load_b64 v[42:43], v5 offset:12488
	s_wait_dscnt 0x0
	v_pk_mul_f32 v[44:45], v[42:43], v[40:41] op_sel:[1,1] op_sel_hi:[0,1]
	s_delay_alu instid0(VALU_DEP_1) | instskip(SKIP_1) | instid1(VALU_DEP_2)
	v_pk_fma_f32 v[98:99], v[42:43], v[40:41], v[44:45] op_sel_hi:[1,0,1]
	v_pk_fma_f32 v[40:41], v[42:43], v[40:41], v[44:45] neg_lo:[0,0,1] neg_hi:[0,0,1]
	v_mov_b32_e32 v41, v99
	s_delay_alu instid0(VALU_DEP_1)
	v_pk_add_f32 v[38:39], v[38:39], v[40:41]
.LBB69_418:                             ;   in Loop: Header=BB69_3 Depth=1
	s_or_b32 exec_lo, exec_lo, s23
	s_delay_alu instid0(VALU_DEP_1)
	v_pk_add_f32 v[38:39], v[38:39], 0 neg_lo:[1,1] neg_hi:[1,1]
.LBB69_419:                             ;   in Loop: Header=BB69_3 Depth=1
	s_or_b32 exec_lo, exec_lo, s21
	s_and_saveexec_b32 s21, s94
; %bb.420:                              ;   in Loop: Header=BB69_3 Depth=1
	ds_store_b64 v56, v[38:39]
; %bb.421:                              ;   in Loop: Header=BB69_3 Depth=1
	s_or_b32 exec_lo, exec_lo, s21
	s_wait_dscnt 0x0
	s_barrier_signal -1
	s_barrier_wait -1
	s_and_saveexec_b32 s21, s95
	s_cbranch_execz .LBB69_423
; %bb.422:                              ;   in Loop: Header=BB69_3 Depth=1
	ds_load_b64 v[40:41], v5 offset:13528
	ds_load_b64 v[42:43], v56
	s_wait_dscnt 0x0
	v_pk_mul_f32 v[44:45], v[42:43], v[40:41] op_sel:[1,1] op_sel_hi:[0,1]
	s_delay_alu instid0(VALU_DEP_1) | instskip(SKIP_1) | instid1(VALU_DEP_2)
	v_pk_fma_f32 v[98:99], v[42:43], v[40:41], v[44:45] op_sel_hi:[1,0,1]
	v_pk_fma_f32 v[40:41], v[42:43], v[40:41], v[44:45] neg_lo:[0,0,1] neg_hi:[0,0,1]
	v_mov_b32_e32 v41, v99
	s_delay_alu instid0(VALU_DEP_1)
	v_pk_add_f32 v[38:39], v[38:39], v[40:41]
.LBB69_423:                             ;   in Loop: Header=BB69_3 Depth=1
	s_or_b32 exec_lo, exec_lo, s21
	s_barrier_signal -1
	s_barrier_wait -1
	s_and_saveexec_b32 s21, s95
; %bb.424:                              ;   in Loop: Header=BB69_3 Depth=1
	ds_store_b64 v56, v[38:39]
; %bb.425:                              ;   in Loop: Header=BB69_3 Depth=1
	s_or_b32 exec_lo, exec_lo, s21
	s_wait_dscnt 0x0
	s_barrier_signal -1
	s_barrier_wait -1
	s_barrier_signal -1
	s_barrier_wait -1
	s_and_saveexec_b32 s21, s2
; %bb.426:                              ;   in Loop: Header=BB69_3 Depth=1
	v_pk_add_f32 v[38:39], v[38:39], 0 neg_lo:[1,1] neg_hi:[1,1]
	ds_store_b64 v68, v[38:39] offset:12496
; %bb.427:                              ;   in Loop: Header=BB69_3 Depth=1
	s_or_b32 exec_lo, exec_lo, s21
	s_wait_dscnt 0x0
	s_barrier_signal -1
	s_barrier_wait -1
	s_barrier_signal -1
	s_barrier_wait -1
	s_and_saveexec_b32 s21, s96
	s_cbranch_execz .LBB69_429
; %bb.428:                              ;   in Loop: Header=BB69_3 Depth=1
	ds_load_b64 v[38:39], v48 offset:12496
	s_wait_dscnt 0x0
	ds_store_b64 v47, v[38:39] offset:13504
	ds_load_b64 v[38:39], v48 offset:12504
	s_wait_dscnt 0x0
	ds_store_b64 v47, v[38:39] offset:14016
.LBB69_429:                             ;   in Loop: Header=BB69_3 Depth=1
	s_or_b32 exec_lo, exec_lo, s21
	s_wait_dscnt 0x0
	s_barrier_signal -1
	s_barrier_wait -1
	s_and_saveexec_b32 s21, s10
	s_cbranch_execz .LBB69_431
; %bb.430:                              ;   in Loop: Header=BB69_3 Depth=1
	ds_load_b64 v[38:39], v5 offset:13528
	v_add_nc_u32_e64 v3, 0xd0, 0
	ds_store_b64 v5, v[26:27] offset:14040
	s_wait_dscnt 0x1
	ds_store_2addr_stride64_b64 v3, v[26:27], v[38:39] offset0:26 offset1:27
.LBB69_431:                             ;   in Loop: Header=BB69_3 Depth=1
	s_or_b32 exec_lo, exec_lo, s21
	v_mov_b64_e32 v[38:39], 0
	s_wait_dscnt 0x0
	s_barrier_signal -1
	s_barrier_wait -1
	s_and_saveexec_b32 s61, s4
	s_cbranch_execz .LBB69_437
; %bb.432:                              ;   in Loop: Header=BB69_3 Depth=1
	ds_load_b64 v[38:39], v72 offset:12512
	ds_load_b64 v[40:41], v55 offset:12480
	s_wait_dscnt 0x0
	v_dual_mul_f32 v3, v41, v39 :: v_dual_mul_f32 v39, v40, v39
	s_delay_alu instid0(VALU_DEP_1) | instskip(NEXT) | instid1(VALU_DEP_1)
	v_fmac_f32_e32 v39, v41, v38
	v_dual_fma_f32 v3, v40, v38, -v3 :: v_dual_add_f32 v39, 0, v39
	s_delay_alu instid0(VALU_DEP_1)
	v_add_f32_e32 v38, 0, v3
	s_and_saveexec_b32 s21, s12
	s_cbranch_execnz .LBB69_1098
; %bb.433:                              ;   in Loop: Header=BB69_3 Depth=1
	s_or_b32 exec_lo, exec_lo, s21
	s_and_saveexec_b32 s21, s13
	s_cbranch_execnz .LBB69_1099
.LBB69_434:                             ;   in Loop: Header=BB69_3 Depth=1
	s_or_b32 exec_lo, exec_lo, s21
	s_and_saveexec_b32 s21, s2
	s_cbranch_execz .LBB69_436
.LBB69_435:                             ;   in Loop: Header=BB69_3 Depth=1
	ds_load_b64 v[40:41], v49 offset:14048
	ds_load_b64 v[42:43], v5 offset:12504
	s_wait_dscnt 0x0
	v_dual_mul_f32 v3, v43, v41 :: v_dual_mul_f32 v45, v42, v41
	s_delay_alu instid0(VALU_DEP_1) | instskip(NEXT) | instid1(VALU_DEP_1)
	v_dual_fma_f32 v44, v42, v40, -v3 :: v_dual_fmac_f32 v45, v43, v40
	v_pk_add_f32 v[38:39], v[38:39], v[44:45]
.LBB69_436:                             ;   in Loop: Header=BB69_3 Depth=1
	s_or_b32 exec_lo, exec_lo, s21
	s_delay_alu instid0(VALU_DEP_1)
	v_pk_add_f32 v[38:39], v[38:39], 0 neg_lo:[1,1] neg_hi:[1,1]
.LBB69_437:                             ;   in Loop: Header=BB69_3 Depth=1
	s_or_b32 exec_lo, exec_lo, s61
	s_and_saveexec_b32 s21, s97
; %bb.438:                              ;   in Loop: Header=BB69_3 Depth=1
	ds_store_b64 v70, v[38:39]
; %bb.439:                              ;   in Loop: Header=BB69_3 Depth=1
	s_or_b32 exec_lo, exec_lo, s21
	s_wait_dscnt 0x0
	s_barrier_signal -1
	s_barrier_wait -1
	s_and_saveexec_b32 s21, s98
	s_cbranch_execz .LBB69_441
; %bb.440:                              ;   in Loop: Header=BB69_3 Depth=1
	ds_load_b64 v[40:41], v67 offset:14560
	ds_load_b64 v[42:43], v70
	s_wait_dscnt 0x0
	v_pk_mul_f32 v[44:45], v[42:43], v[40:41] op_sel:[1,1] op_sel_hi:[0,1]
	s_delay_alu instid0(VALU_DEP_1) | instskip(SKIP_1) | instid1(VALU_DEP_2)
	v_pk_fma_f32 v[98:99], v[42:43], v[40:41], v[44:45] op_sel_hi:[1,0,1]
	v_pk_fma_f32 v[40:41], v[42:43], v[40:41], v[44:45] neg_lo:[0,0,1] neg_hi:[0,0,1]
	v_mov_b32_e32 v41, v99
	s_delay_alu instid0(VALU_DEP_1)
	v_pk_add_f32 v[38:39], v[38:39], v[40:41]
.LBB69_441:                             ;   in Loop: Header=BB69_3 Depth=1
	s_or_b32 exec_lo, exec_lo, s21
	s_barrier_signal -1
	s_barrier_wait -1
	s_and_saveexec_b32 s21, s99
; %bb.442:                              ;   in Loop: Header=BB69_3 Depth=1
	ds_store_b64 v70, v[38:39]
; %bb.443:                              ;   in Loop: Header=BB69_3 Depth=1
	s_or_b32 exec_lo, exec_lo, s21
	s_wait_dscnt 0x0
	s_barrier_signal -1
	s_barrier_wait -1
	s_and_saveexec_b32 s21, s100
	s_cbranch_execz .LBB69_445
; %bb.444:                              ;   in Loop: Header=BB69_3 Depth=1
	ds_load_b64 v[40:41], v67 offset:15072
	ds_load_b64 v[42:43], v70
	s_wait_dscnt 0x0
	v_pk_mul_f32 v[44:45], v[42:43], v[40:41] op_sel:[1,1] op_sel_hi:[0,1]
	s_delay_alu instid0(VALU_DEP_1) | instskip(SKIP_1) | instid1(VALU_DEP_2)
	v_pk_fma_f32 v[98:99], v[42:43], v[40:41], v[44:45] op_sel_hi:[1,0,1]
	v_pk_fma_f32 v[40:41], v[42:43], v[40:41], v[44:45] neg_lo:[0,0,1] neg_hi:[0,0,1]
	v_mov_b32_e32 v41, v99
	s_delay_alu instid0(VALU_DEP_1)
	v_pk_add_f32 v[38:39], v[38:39], v[40:41]
.LBB69_445:                             ;   in Loop: Header=BB69_3 Depth=1
	s_or_b32 exec_lo, exec_lo, s21
	s_barrier_signal -1
	s_barrier_wait -1
	;; [unrolled: 25-line block ×3, first 2 shown]
	s_and_saveexec_b32 s21, s102
; %bb.450:                              ;   in Loop: Header=BB69_3 Depth=1
	ds_store_b64 v70, v[38:39]
; %bb.451:                              ;   in Loop: Header=BB69_3 Depth=1
	s_or_b32 exec_lo, exec_lo, s21
	s_wait_dscnt 0x0
	s_barrier_signal -1
	s_barrier_wait -1
	s_barrier_signal -1
	s_barrier_wait -1
	s_and_saveexec_b32 s21, s4
; %bb.452:                              ;   in Loop: Header=BB69_3 Depth=1
	v_pk_add_f32 v[38:39], v[38:39], 0 neg_lo:[1,1] neg_hi:[1,1]
	ds_store_b64 v72, v[38:39] offset:12512
; %bb.453:                              ;   in Loop: Header=BB69_3 Depth=1
	s_or_b32 exec_lo, exec_lo, s21
	s_wait_dscnt 0x0
	s_barrier_signal -1
	s_barrier_wait -1
	s_barrier_signal -1
	s_barrier_wait -1
	s_and_saveexec_b32 s21, s103
	s_cbranch_execz .LBB69_455
; %bb.454:                              ;   in Loop: Header=BB69_3 Depth=1
	ds_load_b64 v[38:39], v50 offset:12512
	s_wait_dscnt 0x0
	ds_store_b64 v51, v[38:39] offset:14528
	ds_load_b64 v[38:39], v50 offset:12520
	s_wait_dscnt 0x0
	ds_store_b64 v51, v[38:39] offset:15040
	;; [unrolled: 3-line block ×4, first 2 shown]
.LBB69_455:                             ;   in Loop: Header=BB69_3 Depth=1
	s_or_b32 exec_lo, exec_lo, s21
	s_wait_dscnt 0x0
	s_barrier_signal -1
	s_barrier_wait -1
	s_and_saveexec_b32 s21, s10
	s_cbranch_execz .LBB69_457
; %bb.456:                              ;   in Loop: Header=BB69_3 Depth=1
	ds_load_b64 v[38:39], v5 offset:14568
	v_add_nc_u32_e64 v3, 0xe0, 0
	ds_store_b64 v5, v[26:27] offset:15080
	s_wait_dscnt 0x1
	ds_store_2addr_stride64_b64 v3, v[26:27], v[38:39] offset0:28 offset1:29
.LBB69_457:                             ;   in Loop: Header=BB69_3 Depth=1
	s_or_b32 exec_lo, exec_lo, s21
	v_mov_b64_e32 v[38:39], 0
	s_wait_dscnt 0x0
	s_barrier_signal -1
	s_barrier_wait -1
	s_and_saveexec_b32 s21, s2
	s_cbranch_execz .LBB69_461
; %bb.458:                              ;   in Loop: Header=BB69_3 Depth=1
	ds_load_b64 v[38:39], v68 offset:14576
	ds_load_b64 v[40:41], v69 offset:14560
	s_wait_dscnt 0x0
	v_pk_mul_f32 v[42:43], v[40:41], v[38:39] op_sel:[1,1] op_sel_hi:[0,1]
	s_delay_alu instid0(VALU_DEP_1) | instskip(SKIP_1) | instid1(VALU_DEP_2)
	v_pk_fma_f32 v[44:45], v[40:41], v[38:39], v[42:43] op_sel_hi:[1,0,1]
	v_pk_fma_f32 v[38:39], v[40:41], v[38:39], v[42:43] neg_lo:[0,0,1] neg_hi:[0,0,1]
	v_mov_b32_e32 v39, v45
	s_delay_alu instid0(VALU_DEP_1)
	v_pk_add_f32 v[38:39], v[38:39], 0 op_sel_hi:[1,0]
	s_and_saveexec_b32 s23, s11
	s_cbranch_execz .LBB69_460
; %bb.459:                              ;   in Loop: Header=BB69_3 Depth=1
	ds_load_b64 v[40:41], v51 offset:15088
	ds_load_b64 v[42:43], v5 offset:14568
	s_wait_dscnt 0x0
	v_pk_mul_f32 v[44:45], v[42:43], v[40:41] op_sel:[1,1] op_sel_hi:[0,1]
	s_delay_alu instid0(VALU_DEP_1) | instskip(SKIP_1) | instid1(VALU_DEP_2)
	v_pk_fma_f32 v[98:99], v[42:43], v[40:41], v[44:45] op_sel_hi:[1,0,1]
	v_pk_fma_f32 v[40:41], v[42:43], v[40:41], v[44:45] neg_lo:[0,0,1] neg_hi:[0,0,1]
	v_mov_b32_e32 v41, v99
	s_delay_alu instid0(VALU_DEP_1)
	v_pk_add_f32 v[38:39], v[38:39], v[40:41]
.LBB69_460:                             ;   in Loop: Header=BB69_3 Depth=1
	s_or_b32 exec_lo, exec_lo, s23
	s_delay_alu instid0(VALU_DEP_1)
	v_pk_add_f32 v[38:39], v[38:39], 0 neg_lo:[1,1] neg_hi:[1,1]
.LBB69_461:                             ;   in Loop: Header=BB69_3 Depth=1
	s_or_b32 exec_lo, exec_lo, s21
	s_and_saveexec_b32 s21, s94
; %bb.462:                              ;   in Loop: Header=BB69_3 Depth=1
	ds_store_b64 v56, v[38:39]
; %bb.463:                              ;   in Loop: Header=BB69_3 Depth=1
	s_or_b32 exec_lo, exec_lo, s21
	s_wait_dscnt 0x0
	s_barrier_signal -1
	s_barrier_wait -1
	s_and_saveexec_b32 s21, s95
	s_cbranch_execz .LBB69_465
; %bb.464:                              ;   in Loop: Header=BB69_3 Depth=1
	ds_load_b64 v[40:41], v5 offset:15608
	ds_load_b64 v[42:43], v56
	s_wait_dscnt 0x0
	v_pk_mul_f32 v[44:45], v[42:43], v[40:41] op_sel:[1,1] op_sel_hi:[0,1]
	s_delay_alu instid0(VALU_DEP_1) | instskip(SKIP_1) | instid1(VALU_DEP_2)
	v_pk_fma_f32 v[98:99], v[42:43], v[40:41], v[44:45] op_sel_hi:[1,0,1]
	v_pk_fma_f32 v[40:41], v[42:43], v[40:41], v[44:45] neg_lo:[0,0,1] neg_hi:[0,0,1]
	v_mov_b32_e32 v41, v99
	s_delay_alu instid0(VALU_DEP_1)
	v_pk_add_f32 v[38:39], v[38:39], v[40:41]
.LBB69_465:                             ;   in Loop: Header=BB69_3 Depth=1
	s_or_b32 exec_lo, exec_lo, s21
	s_barrier_signal -1
	s_barrier_wait -1
	s_and_saveexec_b32 s21, s95
; %bb.466:                              ;   in Loop: Header=BB69_3 Depth=1
	ds_store_b64 v56, v[38:39]
; %bb.467:                              ;   in Loop: Header=BB69_3 Depth=1
	s_or_b32 exec_lo, exec_lo, s21
	s_wait_dscnt 0x0
	s_barrier_signal -1
	s_barrier_wait -1
	s_barrier_signal -1
	s_barrier_wait -1
	s_and_saveexec_b32 s21, s2
; %bb.468:                              ;   in Loop: Header=BB69_3 Depth=1
	v_pk_add_f32 v[38:39], v[38:39], 0 neg_lo:[1,1] neg_hi:[1,1]
	ds_store_b64 v68, v[38:39] offset:14576
; %bb.469:                              ;   in Loop: Header=BB69_3 Depth=1
	s_or_b32 exec_lo, exec_lo, s21
	s_wait_dscnt 0x0
	s_barrier_signal -1
	s_barrier_wait -1
	s_barrier_signal -1
	s_barrier_wait -1
	s_and_saveexec_b32 s21, s96
	s_cbranch_execz .LBB69_471
; %bb.470:                              ;   in Loop: Header=BB69_3 Depth=1
	ds_load_b64 v[38:39], v52 offset:14576
	s_wait_dscnt 0x0
	ds_store_b64 v51, v[38:39] offset:15584
	ds_load_b64 v[38:39], v52 offset:14584
	s_wait_dscnt 0x0
	ds_store_b64 v51, v[38:39] offset:16096
.LBB69_471:                             ;   in Loop: Header=BB69_3 Depth=1
	s_or_b32 exec_lo, exec_lo, s21
	s_wait_dscnt 0x0
	s_barrier_signal -1
	s_barrier_wait -1
	s_and_saveexec_b32 s21, s10
	s_cbranch_execz .LBB69_473
; %bb.472:                              ;   in Loop: Header=BB69_3 Depth=1
	ds_load_b64 v[38:39], v5 offset:15608
	v_add_nc_u32_e64 v3, 0xf0, 0
	ds_store_b64 v5, v[26:27] offset:16120
	s_wait_dscnt 0x1
	ds_store_2addr_stride64_b64 v3, v[26:27], v[38:39] offset0:30 offset1:31
.LBB69_473:                             ;   in Loop: Header=BB69_3 Depth=1
	s_or_b32 exec_lo, exec_lo, s21
	v_mov_b64_e32 v[38:39], 0
	s_wait_dscnt 0x0
	s_barrier_signal -1
	s_barrier_wait -1
	s_and_saveexec_b32 s84, s30
	s_cbranch_execz .LBB69_535
; %bb.474:                              ;   in Loop: Header=BB69_3 Depth=1
	v_dual_add_nc_u32 v40, v66, v81 :: v_dual_add_nc_u32 v3, v81, v62
	ds_load_b64 v[38:39], v40 offset:256
	ds_load_b64 v[42:43], v3
	s_wait_dscnt 0x0
	v_pk_mul_f32 v[44:45], v[42:43], v[38:39] op_sel:[1,1] op_sel_hi:[0,1]
	s_delay_alu instid0(VALU_DEP_1) | instskip(SKIP_1) | instid1(VALU_DEP_2)
	v_pk_fma_f32 v[98:99], v[42:43], v[38:39], v[44:45] op_sel_hi:[1,0,1]
	v_pk_fma_f32 v[38:39], v[42:43], v[38:39], v[44:45] neg_lo:[0,0,1] neg_hi:[0,0,1]
	v_mov_b32_e32 v39, v99
	s_delay_alu instid0(VALU_DEP_1) | instskip(SKIP_3) | instid1(SALU_CYCLE_1)
	v_pk_add_f32 v[38:39], v[38:39], 0 op_sel_hi:[1,0]
	s_mov_b32 s21, exec_lo
	v_readlane_b32 s23, v97, 9
	s_and_b32 s23, s21, s23
	s_mov_b32 exec_lo, s23
	s_cbranch_execz .LBB69_476
; %bb.475:                              ;   in Loop: Header=BB69_3 Depth=1
	ds_load_b64 v[42:43], v40 offset:768
	ds_load_b64 v[44:45], v3 offset:8
	s_wait_dscnt 0x0
	v_pk_mul_f32 v[98:99], v[44:45], v[42:43] op_sel:[1,1] op_sel_hi:[0,1]
	s_delay_alu instid0(VALU_DEP_1) | instskip(SKIP_1) | instid1(VALU_DEP_2)
	v_pk_fma_f32 v[100:101], v[44:45], v[42:43], v[98:99] op_sel_hi:[1,0,1]
	v_pk_fma_f32 v[42:43], v[44:45], v[42:43], v[98:99] neg_lo:[0,0,1] neg_hi:[0,0,1]
	v_mov_b32_e32 v43, v101
	s_delay_alu instid0(VALU_DEP_1)
	v_pk_add_f32 v[38:39], v[38:39], v[42:43]
.LBB69_476:                             ;   in Loop: Header=BB69_3 Depth=1
	s_or_b32 exec_lo, exec_lo, s21
	s_delay_alu instid0(SALU_CYCLE_1) | instskip(SKIP_2) | instid1(SALU_CYCLE_1)
	s_mov_b32 s21, exec_lo
	v_readlane_b32 s23, v97, 10
	s_and_b32 s23, s21, s23
	s_mov_b32 exec_lo, s23
	s_cbranch_execz .LBB69_478
; %bb.477:                              ;   in Loop: Header=BB69_3 Depth=1
	ds_load_b64 v[42:43], v40 offset:1280
	ds_load_b64 v[44:45], v3 offset:16
	s_wait_dscnt 0x0
	v_pk_mul_f32 v[98:99], v[44:45], v[42:43] op_sel:[1,1] op_sel_hi:[0,1]
	s_delay_alu instid0(VALU_DEP_1) | instskip(SKIP_1) | instid1(VALU_DEP_2)
	v_pk_fma_f32 v[100:101], v[44:45], v[42:43], v[98:99] op_sel_hi:[1,0,1]
	v_pk_fma_f32 v[42:43], v[44:45], v[42:43], v[98:99] neg_lo:[0,0,1] neg_hi:[0,0,1]
	v_mov_b32_e32 v43, v101
	s_delay_alu instid0(VALU_DEP_1)
	v_pk_add_f32 v[38:39], v[38:39], v[42:43]
.LBB69_478:                             ;   in Loop: Header=BB69_3 Depth=1
	s_or_b32 exec_lo, exec_lo, s21
	s_delay_alu instid0(SALU_CYCLE_1) | instskip(SKIP_2) | instid1(SALU_CYCLE_1)
	;; [unrolled: 19-line block ×22, first 2 shown]
	s_mov_b32 s21, exec_lo
	v_readlane_b32 s23, v97, 31
	s_and_b32 s23, s21, s23
	s_mov_b32 exec_lo, s23
	s_cbranch_execz .LBB69_520
; %bb.519:                              ;   in Loop: Header=BB69_3 Depth=1
	ds_load_b64 v[42:43], v40 offset:12032
	ds_load_b64 v[44:45], v3 offset:184
	s_wait_dscnt 0x0
	v_pk_mul_f32 v[98:99], v[44:45], v[42:43] op_sel:[1,1] op_sel_hi:[0,1]
	s_delay_alu instid0(VALU_DEP_1) | instskip(SKIP_1) | instid1(VALU_DEP_2)
	v_pk_fma_f32 v[100:101], v[44:45], v[42:43], v[98:99] op_sel_hi:[1,0,1]
	v_pk_fma_f32 v[42:43], v[44:45], v[42:43], v[98:99] neg_lo:[0,0,1] neg_hi:[0,0,1]
	v_mov_b32_e32 v43, v101
	s_delay_alu instid0(VALU_DEP_1)
	v_pk_add_f32 v[38:39], v[38:39], v[42:43]
.LBB69_520:                             ;   in Loop: Header=BB69_3 Depth=1
	s_or_b32 exec_lo, exec_lo, s21
	s_and_saveexec_b32 s21, s6
	s_cbranch_execz .LBB69_522
; %bb.521:                              ;   in Loop: Header=BB69_3 Depth=1
	ds_load_b64 v[42:43], v40 offset:12544
	ds_load_b64 v[44:45], v3 offset:192
	s_wait_dscnt 0x0
	v_pk_mul_f32 v[98:99], v[44:45], v[42:43] op_sel:[1,1] op_sel_hi:[0,1]
	s_delay_alu instid0(VALU_DEP_1) | instskip(SKIP_1) | instid1(VALU_DEP_2)
	v_pk_fma_f32 v[100:101], v[44:45], v[42:43], v[98:99] op_sel_hi:[1,0,1]
	v_pk_fma_f32 v[42:43], v[44:45], v[42:43], v[98:99] neg_lo:[0,0,1] neg_hi:[0,0,1]
	v_mov_b32_e32 v43, v101
	s_delay_alu instid0(VALU_DEP_1)
	v_pk_add_f32 v[38:39], v[38:39], v[42:43]
.LBB69_522:                             ;   in Loop: Header=BB69_3 Depth=1
	s_or_b32 exec_lo, exec_lo, s21
	s_delay_alu instid0(SALU_CYCLE_1) | instskip(SKIP_2) | instid1(SALU_CYCLE_1)
	s_mov_b32 s21, exec_lo
	v_readlane_b32 s23, v106, 27
	s_and_b32 s23, s21, s23
	s_mov_b32 exec_lo, s23
	s_cbranch_execz .LBB69_524
; %bb.523:                              ;   in Loop: Header=BB69_3 Depth=1
	ds_load_b64 v[42:43], v40 offset:13056
	ds_load_b64 v[44:45], v3 offset:200
	s_wait_dscnt 0x0
	v_pk_mul_f32 v[98:99], v[44:45], v[42:43] op_sel:[1,1] op_sel_hi:[0,1]
	s_delay_alu instid0(VALU_DEP_1) | instskip(SKIP_1) | instid1(VALU_DEP_2)
	v_pk_fma_f32 v[100:101], v[44:45], v[42:43], v[98:99] op_sel_hi:[1,0,1]
	v_pk_fma_f32 v[42:43], v[44:45], v[42:43], v[98:99] neg_lo:[0,0,1] neg_hi:[0,0,1]
	v_mov_b32_e32 v43, v101
	s_delay_alu instid0(VALU_DEP_1)
	v_pk_add_f32 v[38:39], v[38:39], v[42:43]
.LBB69_524:                             ;   in Loop: Header=BB69_3 Depth=1
	s_or_b32 exec_lo, exec_lo, s21
	s_delay_alu instid0(SALU_CYCLE_1) | instskip(SKIP_2) | instid1(SALU_CYCLE_1)
	s_mov_b32 s21, exec_lo
	v_readlane_b32 s23, v106, 29
	s_and_b32 s23, s21, s23
	s_mov_b32 exec_lo, s23
	;; [unrolled: 19-line block ×5, first 2 shown]
	s_cbranch_execnz .LBB69_1100
; %bb.531:                              ;   in Loop: Header=BB69_3 Depth=1
	s_or_b32 exec_lo, exec_lo, s21
	s_and_saveexec_b32 s21, s5
	s_cbranch_execnz .LBB69_1101
.LBB69_532:                             ;   in Loop: Header=BB69_3 Depth=1
	s_or_b32 exec_lo, exec_lo, s21
	s_and_saveexec_b32 s21, s17
	s_cbranch_execz .LBB69_534
.LBB69_533:                             ;   in Loop: Header=BB69_3 Depth=1
	ds_load_b64 v[40:41], v66 offset:16128
	ds_load_b64 v[42:43], v3 offset:248
	s_wait_dscnt 0x0
	v_pk_mul_f32 v[44:45], v[42:43], v[40:41] op_sel:[1,1] op_sel_hi:[0,1]
	s_delay_alu instid0(VALU_DEP_1) | instskip(SKIP_1) | instid1(VALU_DEP_2)
	v_pk_fma_f32 v[98:99], v[42:43], v[40:41], v[44:45] op_sel_hi:[1,0,1]
	v_pk_fma_f32 v[40:41], v[42:43], v[40:41], v[44:45] neg_lo:[0,0,1] neg_hi:[0,0,1]
	v_mov_b32_e32 v41, v99
	s_delay_alu instid0(VALU_DEP_1)
	v_pk_add_f32 v[38:39], v[38:39], v[40:41]
.LBB69_534:                             ;   in Loop: Header=BB69_3 Depth=1
	s_or_b32 exec_lo, exec_lo, s21
	s_delay_alu instid0(VALU_DEP_1)
	v_pk_add_f32 v[38:39], v[38:39], 0 neg_lo:[1,1] neg_hi:[1,1]
.LBB69_535:                             ;   in Loop: Header=BB69_3 Depth=1
	s_or_b32 exec_lo, exec_lo, s84
	v_dual_mov_b32 v3, v63 :: v_dual_mov_b32 v40, v95
	s_mov_b32 s61, 0
	s_branch .LBB69_537
.LBB69_536:                             ;   in Loop: Header=BB69_537 Depth=2
	s_or_b32 exec_lo, exec_lo, s21
	v_add_nc_u32_e32 v40, 0x800, v40
	v_add_nc_u32_e32 v3, -4, v3
	s_add_co_i32 s61, s61, 4
	s_delay_alu instid0(SALU_CYCLE_1)
	s_cmp_eq_u32 s61, 32
	s_barrier_signal -1
	s_barrier_wait -1
	s_cbranch_scc1 .LBB69_553
.LBB69_537:                             ;   Parent Loop BB69_3 Depth=1
                                        ; =>  This Inner Loop Header: Depth=2
	s_delay_alu instid0(VALU_DEP_1) | instskip(SKIP_1) | instid1(SALU_CYCLE_1)
	v_cmp_eq_u32_e32 vcc_lo, 0, v3
	s_and_b32 s23, s56, vcc_lo
	s_and_saveexec_b32 s21, s23
; %bb.538:                              ;   in Loop: Header=BB69_537 Depth=2
	ds_store_b64 v65, v[38:39]
; %bb.539:                              ;   in Loop: Header=BB69_537 Depth=2
	s_or_b32 exec_lo, exec_lo, s21
	v_cmp_lt_u32_e32 vcc_lo, s61, v63
	s_wait_dscnt 0x0
	s_barrier_signal -1
	s_barrier_wait -1
	s_and_b32 s23, s56, vcc_lo
	s_delay_alu instid0(SALU_CYCLE_1)
	s_and_saveexec_b32 s21, s23
	s_cbranch_execz .LBB69_541
; %bb.540:                              ;   in Loop: Header=BB69_537 Depth=2
	ds_load_b64 v[42:43], v40
	ds_load_b64 v[44:45], v65
	s_wait_dscnt 0x0
	v_pk_mul_f32 v[98:99], v[44:45], v[42:43] op_sel:[1,1] op_sel_hi:[0,1]
	s_delay_alu instid0(VALU_DEP_1) | instskip(SKIP_1) | instid1(VALU_DEP_2)
	v_pk_fma_f32 v[100:101], v[44:45], v[42:43], v[98:99] op_sel_hi:[1,0,1]
	v_pk_fma_f32 v[42:43], v[44:45], v[42:43], v[98:99] neg_lo:[0,0,1] neg_hi:[0,0,1]
	v_mov_b32_e32 v43, v101
	s_delay_alu instid0(VALU_DEP_1)
	v_pk_add_f32 v[38:39], v[38:39], v[42:43]
.LBB69_541:                             ;   in Loop: Header=BB69_537 Depth=2
	s_or_b32 exec_lo, exec_lo, s21
	s_or_b32 s21, s61, 1
	s_delay_alu instid0(SALU_CYCLE_1) | instskip(SKIP_3) | instid1(SALU_CYCLE_1)
	v_cmp_eq_u32_e32 vcc_lo, s21, v63
	s_barrier_signal -1
	s_barrier_wait -1
	s_and_b32 s60, s56, vcc_lo
	s_and_saveexec_b32 s23, s60
; %bb.542:                              ;   in Loop: Header=BB69_537 Depth=2
	ds_store_b64 v65, v[38:39]
; %bb.543:                              ;   in Loop: Header=BB69_537 Depth=2
	s_or_b32 exec_lo, exec_lo, s23
	v_cmp_lt_u32_e32 vcc_lo, s21, v63
	s_wait_dscnt 0x0
	s_barrier_signal -1
	s_barrier_wait -1
	s_and_b32 s23, s56, vcc_lo
	s_delay_alu instid0(SALU_CYCLE_1)
	s_and_saveexec_b32 s21, s23
	s_cbranch_execz .LBB69_545
; %bb.544:                              ;   in Loop: Header=BB69_537 Depth=2
	ds_load_b64 v[42:43], v40 offset:512
	ds_load_b64 v[44:45], v65
	s_wait_dscnt 0x0
	v_pk_mul_f32 v[98:99], v[44:45], v[42:43] op_sel:[1,1] op_sel_hi:[0,1]
	s_delay_alu instid0(VALU_DEP_1) | instskip(SKIP_1) | instid1(VALU_DEP_2)
	v_pk_fma_f32 v[100:101], v[44:45], v[42:43], v[98:99] op_sel_hi:[1,0,1]
	v_pk_fma_f32 v[42:43], v[44:45], v[42:43], v[98:99] neg_lo:[0,0,1] neg_hi:[0,0,1]
	v_mov_b32_e32 v43, v101
	s_delay_alu instid0(VALU_DEP_1)
	v_pk_add_f32 v[38:39], v[38:39], v[42:43]
.LBB69_545:                             ;   in Loop: Header=BB69_537 Depth=2
	s_or_b32 exec_lo, exec_lo, s21
	s_or_b32 s21, s61, 2
	s_delay_alu instid0(SALU_CYCLE_1) | instskip(SKIP_3) | instid1(SALU_CYCLE_1)
	v_cmp_eq_u32_e32 vcc_lo, s21, v63
	s_barrier_signal -1
	s_barrier_wait -1
	s_and_b32 s60, s56, vcc_lo
	s_and_saveexec_b32 s23, s60
; %bb.546:                              ;   in Loop: Header=BB69_537 Depth=2
	ds_store_b64 v65, v[38:39]
; %bb.547:                              ;   in Loop: Header=BB69_537 Depth=2
	s_or_b32 exec_lo, exec_lo, s23
	v_cmp_lt_u32_e32 vcc_lo, s21, v63
	s_wait_dscnt 0x0
	s_barrier_signal -1
	s_barrier_wait -1
	s_and_b32 s23, s56, vcc_lo
	s_delay_alu instid0(SALU_CYCLE_1)
	s_and_saveexec_b32 s21, s23
	s_cbranch_execz .LBB69_549
; %bb.548:                              ;   in Loop: Header=BB69_537 Depth=2
	ds_load_b64 v[42:43], v40 offset:1024
	ds_load_b64 v[44:45], v65
	s_wait_dscnt 0x0
	v_pk_mul_f32 v[98:99], v[44:45], v[42:43] op_sel:[1,1] op_sel_hi:[0,1]
	s_delay_alu instid0(VALU_DEP_1) | instskip(SKIP_1) | instid1(VALU_DEP_2)
	v_pk_fma_f32 v[100:101], v[44:45], v[42:43], v[98:99] op_sel_hi:[1,0,1]
	v_pk_fma_f32 v[42:43], v[44:45], v[42:43], v[98:99] neg_lo:[0,0,1] neg_hi:[0,0,1]
	v_mov_b32_e32 v43, v101
	s_delay_alu instid0(VALU_DEP_1)
	v_pk_add_f32 v[38:39], v[38:39], v[42:43]
.LBB69_549:                             ;   in Loop: Header=BB69_537 Depth=2
	s_or_b32 exec_lo, exec_lo, s21
	s_or_b32 s21, s61, 3
	s_delay_alu instid0(SALU_CYCLE_1) | instskip(SKIP_3) | instid1(SALU_CYCLE_1)
	v_cmp_eq_u32_e32 vcc_lo, s21, v63
	s_barrier_signal -1
	s_barrier_wait -1
	s_and_b32 s60, s56, vcc_lo
	s_and_saveexec_b32 s23, s60
; %bb.550:                              ;   in Loop: Header=BB69_537 Depth=2
	ds_store_b64 v65, v[38:39]
; %bb.551:                              ;   in Loop: Header=BB69_537 Depth=2
	s_or_b32 exec_lo, exec_lo, s23
	v_cmp_lt_u32_e32 vcc_lo, s21, v63
	s_wait_dscnt 0x0
	s_barrier_signal -1
	s_barrier_wait -1
	s_and_b32 s23, s56, vcc_lo
	s_delay_alu instid0(SALU_CYCLE_1)
	s_and_saveexec_b32 s21, s23
	s_cbranch_execz .LBB69_536
; %bb.552:                              ;   in Loop: Header=BB69_537 Depth=2
	ds_load_b64 v[42:43], v40 offset:1536
	ds_load_b64 v[44:45], v65
	s_wait_dscnt 0x0
	v_pk_mul_f32 v[98:99], v[44:45], v[42:43] op_sel:[1,1] op_sel_hi:[0,1]
	s_delay_alu instid0(VALU_DEP_1) | instskip(SKIP_1) | instid1(VALU_DEP_2)
	v_pk_fma_f32 v[100:101], v[44:45], v[42:43], v[98:99] op_sel_hi:[1,0,1]
	v_pk_fma_f32 v[42:43], v[44:45], v[42:43], v[98:99] neg_lo:[0,0,1] neg_hi:[0,0,1]
	v_mov_b32_e32 v43, v101
	s_delay_alu instid0(VALU_DEP_1)
	v_pk_add_f32 v[38:39], v[38:39], v[42:43]
	s_branch .LBB69_536
.LBB69_553:                             ;   in Loop: Header=BB69_3 Depth=1
	s_and_saveexec_b32 s21, s30
; %bb.554:                              ;   in Loop: Header=BB69_3 Depth=1
	v_pk_add_f32 v[38:39], v[38:39], 0 neg_lo:[1,1] neg_hi:[1,1]
	ds_store_b64 v82, v[38:39] offset:256
; %bb.555:                              ;   in Loop: Header=BB69_3 Depth=1
	s_or_b32 exec_lo, exec_lo, s21
	s_wait_dscnt 0x0
	s_barrier_signal -1
	s_barrier_wait -1
	s_barrier_signal -1
	s_barrier_wait -1
	s_mov_b32 s61, exec_lo
	v_readlane_b32 s21, v106, 12
	s_and_b32 s21, s61, s21
	s_delay_alu instid0(SALU_CYCLE_1)
	s_mov_b32 exec_lo, s21
	s_cbranch_execz .LBB69_557
; %bb.556:                              ;   in Loop: Header=BB69_3 Depth=1
	ds_load_b64 v[38:39], v52 offset:256
	s_wait_dscnt 0x0
	ds_store_b64 v53, v[38:39] offset:16384
	ds_load_b64 v[38:39], v52 offset:264
	s_wait_dscnt 0x0
	ds_store_b64 v53, v[38:39] offset:16896
	;; [unrolled: 3-line block ×32, first 2 shown]
.LBB69_557:                             ;   in Loop: Header=BB69_3 Depth=1
	s_or_b32 exec_lo, exec_lo, s61
	s_wait_dscnt 0x0
	s_barrier_signal -1
	s_barrier_wait -1
	s_and_saveexec_b32 s21, s10
	s_cbranch_execz .LBB69_559
; %bb.558:                              ;   in Loop: Header=BB69_3 Depth=1
	ds_load_b64 v[38:39], v5 offset:16648
	v_add_nc_u32_e64 v3, 0x100, 0
	ds_store_b64 v5, v[26:27] offset:17160
	s_wait_dscnt 0x1
	ds_store_2addr_stride64_b64 v3, v[26:27], v[38:39] offset0:32 offset1:33
.LBB69_559:                             ;   in Loop: Header=BB69_3 Depth=1
	s_or_b32 exec_lo, exec_lo, s21
	v_mov_b64_e32 v[38:39], 0
	s_wait_dscnt 0x0
	s_barrier_signal -1
	s_barrier_wait -1
	s_and_saveexec_b32 s21, s2
	s_cbranch_execz .LBB69_563
; %bb.560:                              ;   in Loop: Header=BB69_3 Depth=1
	ds_load_b64 v[38:39], v68 offset:16656
	ds_load_b64 v[40:41], v69 offset:16640
	s_wait_dscnt 0x0
	v_pk_mul_f32 v[42:43], v[40:41], v[38:39] op_sel:[1,1] op_sel_hi:[0,1]
	s_delay_alu instid0(VALU_DEP_1) | instskip(SKIP_1) | instid1(VALU_DEP_2)
	v_pk_fma_f32 v[44:45], v[40:41], v[38:39], v[42:43] op_sel_hi:[1,0,1]
	v_pk_fma_f32 v[38:39], v[40:41], v[38:39], v[42:43] neg_lo:[0,0,1] neg_hi:[0,0,1]
	v_mov_b32_e32 v39, v45
	s_delay_alu instid0(VALU_DEP_1)
	v_pk_add_f32 v[38:39], v[38:39], 0 op_sel_hi:[1,0]
	s_and_saveexec_b32 s23, s11
	s_cbranch_execz .LBB69_562
; %bb.561:                              ;   in Loop: Header=BB69_3 Depth=1
	ds_load_b64 v[40:41], v7 offset:17168
	ds_load_b64 v[42:43], v5 offset:16648
	s_wait_dscnt 0x0
	v_pk_mul_f32 v[44:45], v[42:43], v[40:41] op_sel:[1,1] op_sel_hi:[0,1]
	s_delay_alu instid0(VALU_DEP_1) | instskip(SKIP_1) | instid1(VALU_DEP_2)
	v_pk_fma_f32 v[98:99], v[42:43], v[40:41], v[44:45] op_sel_hi:[1,0,1]
	v_pk_fma_f32 v[40:41], v[42:43], v[40:41], v[44:45] neg_lo:[0,0,1] neg_hi:[0,0,1]
	v_mov_b32_e32 v41, v99
	s_delay_alu instid0(VALU_DEP_1)
	v_pk_add_f32 v[38:39], v[38:39], v[40:41]
.LBB69_562:                             ;   in Loop: Header=BB69_3 Depth=1
	s_or_b32 exec_lo, exec_lo, s23
	s_delay_alu instid0(VALU_DEP_1)
	v_pk_add_f32 v[38:39], v[38:39], 0 neg_lo:[1,1] neg_hi:[1,1]
.LBB69_563:                             ;   in Loop: Header=BB69_3 Depth=1
	s_or_b32 exec_lo, exec_lo, s21
	s_and_saveexec_b32 s21, s94
; %bb.564:                              ;   in Loop: Header=BB69_3 Depth=1
	ds_store_b64 v56, v[38:39]
; %bb.565:                              ;   in Loop: Header=BB69_3 Depth=1
	s_or_b32 exec_lo, exec_lo, s21
	s_wait_dscnt 0x0
	s_barrier_signal -1
	s_barrier_wait -1
	s_and_saveexec_b32 s21, s95
	s_cbranch_execz .LBB69_567
; %bb.566:                              ;   in Loop: Header=BB69_3 Depth=1
	ds_load_b64 v[40:41], v5 offset:17688
	ds_load_b64 v[42:43], v56
	s_wait_dscnt 0x0
	v_pk_mul_f32 v[44:45], v[42:43], v[40:41] op_sel:[1,1] op_sel_hi:[0,1]
	s_delay_alu instid0(VALU_DEP_1) | instskip(SKIP_1) | instid1(VALU_DEP_2)
	v_pk_fma_f32 v[98:99], v[42:43], v[40:41], v[44:45] op_sel_hi:[1,0,1]
	v_pk_fma_f32 v[40:41], v[42:43], v[40:41], v[44:45] neg_lo:[0,0,1] neg_hi:[0,0,1]
	v_mov_b32_e32 v41, v99
	s_delay_alu instid0(VALU_DEP_1)
	v_pk_add_f32 v[38:39], v[38:39], v[40:41]
.LBB69_567:                             ;   in Loop: Header=BB69_3 Depth=1
	s_or_b32 exec_lo, exec_lo, s21
	s_barrier_signal -1
	s_barrier_wait -1
	s_and_saveexec_b32 s21, s95
; %bb.568:                              ;   in Loop: Header=BB69_3 Depth=1
	ds_store_b64 v56, v[38:39]
; %bb.569:                              ;   in Loop: Header=BB69_3 Depth=1
	s_or_b32 exec_lo, exec_lo, s21
	s_wait_dscnt 0x0
	s_barrier_signal -1
	s_barrier_wait -1
	s_barrier_signal -1
	s_barrier_wait -1
	s_and_saveexec_b32 s21, s2
; %bb.570:                              ;   in Loop: Header=BB69_3 Depth=1
	v_pk_add_f32 v[38:39], v[38:39], 0 neg_lo:[1,1] neg_hi:[1,1]
	ds_store_b64 v68, v[38:39] offset:16656
; %bb.571:                              ;   in Loop: Header=BB69_3 Depth=1
	s_or_b32 exec_lo, exec_lo, s21
	s_wait_dscnt 0x0
	s_barrier_signal -1
	s_barrier_wait -1
	s_barrier_signal -1
	s_barrier_wait -1
	s_and_saveexec_b32 s21, s96
	s_cbranch_execz .LBB69_573
; %bb.572:                              ;   in Loop: Header=BB69_3 Depth=1
	ds_load_b64 v[38:39], v9 offset:16656
	s_wait_dscnt 0x0
	ds_store_b64 v7, v[38:39] offset:17664
	ds_load_b64 v[38:39], v9 offset:16664
	s_wait_dscnt 0x0
	ds_store_b64 v7, v[38:39] offset:18176
.LBB69_573:                             ;   in Loop: Header=BB69_3 Depth=1
	s_or_b32 exec_lo, exec_lo, s21
	s_wait_dscnt 0x0
	s_barrier_signal -1
	s_barrier_wait -1
	s_and_saveexec_b32 s21, s10
	s_cbranch_execz .LBB69_575
; %bb.574:                              ;   in Loop: Header=BB69_3 Depth=1
	ds_load_b64 v[38:39], v5 offset:17688
	v_add_nc_u32_e64 v3, 0x110, 0
	ds_store_b64 v5, v[26:27] offset:18200
	s_wait_dscnt 0x1
	ds_store_2addr_stride64_b64 v3, v[26:27], v[38:39] offset0:34 offset1:35
.LBB69_575:                             ;   in Loop: Header=BB69_3 Depth=1
	s_or_b32 exec_lo, exec_lo, s21
	v_mov_b64_e32 v[38:39], 0
	s_wait_dscnt 0x0
	s_barrier_signal -1
	s_barrier_wait -1
	s_and_saveexec_b32 s61, s4
	s_cbranch_execz .LBB69_581
; %bb.576:                              ;   in Loop: Header=BB69_3 Depth=1
	ds_load_b64 v[38:39], v72 offset:16672
	ds_load_b64 v[40:41], v55 offset:16640
	s_wait_dscnt 0x0
	v_dual_mul_f32 v3, v41, v39 :: v_dual_mul_f32 v39, v40, v39
	s_delay_alu instid0(VALU_DEP_1) | instskip(NEXT) | instid1(VALU_DEP_1)
	v_fmac_f32_e32 v39, v41, v38
	v_dual_fma_f32 v3, v40, v38, -v3 :: v_dual_add_f32 v39, 0, v39
	s_delay_alu instid0(VALU_DEP_1)
	v_add_f32_e32 v38, 0, v3
	s_and_saveexec_b32 s21, s12
	s_cbranch_execnz .LBB69_1102
; %bb.577:                              ;   in Loop: Header=BB69_3 Depth=1
	s_or_b32 exec_lo, exec_lo, s21
	s_and_saveexec_b32 s21, s13
	s_cbranch_execnz .LBB69_1103
.LBB69_578:                             ;   in Loop: Header=BB69_3 Depth=1
	s_or_b32 exec_lo, exec_lo, s21
	s_and_saveexec_b32 s21, s2
	s_cbranch_execz .LBB69_580
.LBB69_579:                             ;   in Loop: Header=BB69_3 Depth=1
	ds_load_b64 v[40:41], v47 offset:18208
	ds_load_b64 v[42:43], v5 offset:16664
	s_wait_dscnt 0x0
	v_dual_mul_f32 v3, v43, v41 :: v_dual_mul_f32 v45, v42, v41
	s_delay_alu instid0(VALU_DEP_1) | instskip(NEXT) | instid1(VALU_DEP_1)
	v_dual_fma_f32 v44, v42, v40, -v3 :: v_dual_fmac_f32 v45, v43, v40
	v_pk_add_f32 v[38:39], v[38:39], v[44:45]
.LBB69_580:                             ;   in Loop: Header=BB69_3 Depth=1
	s_or_b32 exec_lo, exec_lo, s21
	s_delay_alu instid0(VALU_DEP_1)
	v_pk_add_f32 v[38:39], v[38:39], 0 neg_lo:[1,1] neg_hi:[1,1]
.LBB69_581:                             ;   in Loop: Header=BB69_3 Depth=1
	s_or_b32 exec_lo, exec_lo, s61
	s_and_saveexec_b32 s21, s97
; %bb.582:                              ;   in Loop: Header=BB69_3 Depth=1
	ds_store_b64 v70, v[38:39]
; %bb.583:                              ;   in Loop: Header=BB69_3 Depth=1
	s_or_b32 exec_lo, exec_lo, s21
	s_wait_dscnt 0x0
	s_barrier_signal -1
	s_barrier_wait -1
	s_and_saveexec_b32 s21, s98
	s_cbranch_execz .LBB69_585
; %bb.584:                              ;   in Loop: Header=BB69_3 Depth=1
	ds_load_b64 v[40:41], v67 offset:18720
	ds_load_b64 v[42:43], v70
	s_wait_dscnt 0x0
	v_pk_mul_f32 v[44:45], v[42:43], v[40:41] op_sel:[1,1] op_sel_hi:[0,1]
	s_delay_alu instid0(VALU_DEP_1) | instskip(SKIP_1) | instid1(VALU_DEP_2)
	v_pk_fma_f32 v[98:99], v[42:43], v[40:41], v[44:45] op_sel_hi:[1,0,1]
	v_pk_fma_f32 v[40:41], v[42:43], v[40:41], v[44:45] neg_lo:[0,0,1] neg_hi:[0,0,1]
	v_mov_b32_e32 v41, v99
	s_delay_alu instid0(VALU_DEP_1)
	v_pk_add_f32 v[38:39], v[38:39], v[40:41]
.LBB69_585:                             ;   in Loop: Header=BB69_3 Depth=1
	s_or_b32 exec_lo, exec_lo, s21
	s_barrier_signal -1
	s_barrier_wait -1
	s_and_saveexec_b32 s21, s99
; %bb.586:                              ;   in Loop: Header=BB69_3 Depth=1
	ds_store_b64 v70, v[38:39]
; %bb.587:                              ;   in Loop: Header=BB69_3 Depth=1
	s_or_b32 exec_lo, exec_lo, s21
	s_wait_dscnt 0x0
	s_barrier_signal -1
	s_barrier_wait -1
	s_and_saveexec_b32 s21, s100
	s_cbranch_execz .LBB69_589
; %bb.588:                              ;   in Loop: Header=BB69_3 Depth=1
	ds_load_b64 v[40:41], v67 offset:19232
	ds_load_b64 v[42:43], v70
	s_wait_dscnt 0x0
	v_pk_mul_f32 v[44:45], v[42:43], v[40:41] op_sel:[1,1] op_sel_hi:[0,1]
	s_delay_alu instid0(VALU_DEP_1) | instskip(SKIP_1) | instid1(VALU_DEP_2)
	v_pk_fma_f32 v[98:99], v[42:43], v[40:41], v[44:45] op_sel_hi:[1,0,1]
	v_pk_fma_f32 v[40:41], v[42:43], v[40:41], v[44:45] neg_lo:[0,0,1] neg_hi:[0,0,1]
	v_mov_b32_e32 v41, v99
	s_delay_alu instid0(VALU_DEP_1)
	v_pk_add_f32 v[38:39], v[38:39], v[40:41]
.LBB69_589:                             ;   in Loop: Header=BB69_3 Depth=1
	s_or_b32 exec_lo, exec_lo, s21
	s_barrier_signal -1
	s_barrier_wait -1
	;; [unrolled: 25-line block ×3, first 2 shown]
	s_and_saveexec_b32 s21, s102
; %bb.594:                              ;   in Loop: Header=BB69_3 Depth=1
	ds_store_b64 v70, v[38:39]
; %bb.595:                              ;   in Loop: Header=BB69_3 Depth=1
	s_or_b32 exec_lo, exec_lo, s21
	s_wait_dscnt 0x0
	s_barrier_signal -1
	s_barrier_wait -1
	s_barrier_signal -1
	s_barrier_wait -1
	s_and_saveexec_b32 s21, s4
; %bb.596:                              ;   in Loop: Header=BB69_3 Depth=1
	v_pk_add_f32 v[38:39], v[38:39], 0 neg_lo:[1,1] neg_hi:[1,1]
	ds_store_b64 v72, v[38:39] offset:16672
; %bb.597:                              ;   in Loop: Header=BB69_3 Depth=1
	s_or_b32 exec_lo, exec_lo, s21
	s_wait_dscnt 0x0
	s_barrier_signal -1
	s_barrier_wait -1
	s_barrier_signal -1
	s_barrier_wait -1
	s_and_saveexec_b32 s21, s103
	s_cbranch_execz .LBB69_599
; %bb.598:                              ;   in Loop: Header=BB69_3 Depth=1
	ds_load_b64 v[38:39], v48 offset:16672
	s_wait_dscnt 0x0
	ds_store_b64 v49, v[38:39] offset:18688
	ds_load_b64 v[38:39], v48 offset:16680
	s_wait_dscnt 0x0
	ds_store_b64 v49, v[38:39] offset:19200
	;; [unrolled: 3-line block ×4, first 2 shown]
.LBB69_599:                             ;   in Loop: Header=BB69_3 Depth=1
	s_or_b32 exec_lo, exec_lo, s21
	s_wait_dscnt 0x0
	s_barrier_signal -1
	s_barrier_wait -1
	s_and_saveexec_b32 s21, s10
	s_cbranch_execz .LBB69_601
; %bb.600:                              ;   in Loop: Header=BB69_3 Depth=1
	ds_load_b64 v[38:39], v5 offset:18728
	v_add_nc_u32_e64 v3, 0x120, 0
	ds_store_b64 v5, v[26:27] offset:19240
	s_wait_dscnt 0x1
	ds_store_2addr_stride64_b64 v3, v[26:27], v[38:39] offset0:36 offset1:37
.LBB69_601:                             ;   in Loop: Header=BB69_3 Depth=1
	s_or_b32 exec_lo, exec_lo, s21
	v_mov_b64_e32 v[38:39], 0
	s_wait_dscnt 0x0
	s_barrier_signal -1
	s_barrier_wait -1
	s_and_saveexec_b32 s21, s2
	s_cbranch_execz .LBB69_605
; %bb.602:                              ;   in Loop: Header=BB69_3 Depth=1
	ds_load_b64 v[38:39], v68 offset:18736
	ds_load_b64 v[40:41], v69 offset:18720
	s_wait_dscnt 0x0
	v_pk_mul_f32 v[42:43], v[40:41], v[38:39] op_sel:[1,1] op_sel_hi:[0,1]
	s_delay_alu instid0(VALU_DEP_1) | instskip(SKIP_1) | instid1(VALU_DEP_2)
	v_pk_fma_f32 v[44:45], v[40:41], v[38:39], v[42:43] op_sel_hi:[1,0,1]
	v_pk_fma_f32 v[38:39], v[40:41], v[38:39], v[42:43] neg_lo:[0,0,1] neg_hi:[0,0,1]
	v_mov_b32_e32 v39, v45
	s_delay_alu instid0(VALU_DEP_1)
	v_pk_add_f32 v[38:39], v[38:39], 0 op_sel_hi:[1,0]
	s_and_saveexec_b32 s23, s11
	s_cbranch_execz .LBB69_604
; %bb.603:                              ;   in Loop: Header=BB69_3 Depth=1
	ds_load_b64 v[40:41], v49 offset:19248
	ds_load_b64 v[42:43], v5 offset:18728
	s_wait_dscnt 0x0
	v_pk_mul_f32 v[44:45], v[42:43], v[40:41] op_sel:[1,1] op_sel_hi:[0,1]
	s_delay_alu instid0(VALU_DEP_1) | instskip(SKIP_1) | instid1(VALU_DEP_2)
	v_pk_fma_f32 v[98:99], v[42:43], v[40:41], v[44:45] op_sel_hi:[1,0,1]
	v_pk_fma_f32 v[40:41], v[42:43], v[40:41], v[44:45] neg_lo:[0,0,1] neg_hi:[0,0,1]
	v_mov_b32_e32 v41, v99
	s_delay_alu instid0(VALU_DEP_1)
	v_pk_add_f32 v[38:39], v[38:39], v[40:41]
.LBB69_604:                             ;   in Loop: Header=BB69_3 Depth=1
	s_or_b32 exec_lo, exec_lo, s23
	s_delay_alu instid0(VALU_DEP_1)
	v_pk_add_f32 v[38:39], v[38:39], 0 neg_lo:[1,1] neg_hi:[1,1]
.LBB69_605:                             ;   in Loop: Header=BB69_3 Depth=1
	s_or_b32 exec_lo, exec_lo, s21
	s_and_saveexec_b32 s21, s94
; %bb.606:                              ;   in Loop: Header=BB69_3 Depth=1
	ds_store_b64 v56, v[38:39]
; %bb.607:                              ;   in Loop: Header=BB69_3 Depth=1
	s_or_b32 exec_lo, exec_lo, s21
	s_wait_dscnt 0x0
	s_barrier_signal -1
	s_barrier_wait -1
	s_and_saveexec_b32 s21, s95
	s_cbranch_execz .LBB69_609
; %bb.608:                              ;   in Loop: Header=BB69_3 Depth=1
	ds_load_b64 v[40:41], v5 offset:19768
	ds_load_b64 v[42:43], v56
	s_wait_dscnt 0x0
	v_pk_mul_f32 v[44:45], v[42:43], v[40:41] op_sel:[1,1] op_sel_hi:[0,1]
	s_delay_alu instid0(VALU_DEP_1) | instskip(SKIP_1) | instid1(VALU_DEP_2)
	v_pk_fma_f32 v[98:99], v[42:43], v[40:41], v[44:45] op_sel_hi:[1,0,1]
	v_pk_fma_f32 v[40:41], v[42:43], v[40:41], v[44:45] neg_lo:[0,0,1] neg_hi:[0,0,1]
	v_mov_b32_e32 v41, v99
	s_delay_alu instid0(VALU_DEP_1)
	v_pk_add_f32 v[38:39], v[38:39], v[40:41]
.LBB69_609:                             ;   in Loop: Header=BB69_3 Depth=1
	s_or_b32 exec_lo, exec_lo, s21
	s_barrier_signal -1
	s_barrier_wait -1
	s_and_saveexec_b32 s21, s95
; %bb.610:                              ;   in Loop: Header=BB69_3 Depth=1
	ds_store_b64 v56, v[38:39]
; %bb.611:                              ;   in Loop: Header=BB69_3 Depth=1
	s_or_b32 exec_lo, exec_lo, s21
	s_wait_dscnt 0x0
	s_barrier_signal -1
	s_barrier_wait -1
	s_barrier_signal -1
	s_barrier_wait -1
	s_and_saveexec_b32 s21, s2
; %bb.612:                              ;   in Loop: Header=BB69_3 Depth=1
	v_pk_add_f32 v[38:39], v[38:39], 0 neg_lo:[1,1] neg_hi:[1,1]
	ds_store_b64 v68, v[38:39] offset:18736
; %bb.613:                              ;   in Loop: Header=BB69_3 Depth=1
	s_or_b32 exec_lo, exec_lo, s21
	s_wait_dscnt 0x0
	s_barrier_signal -1
	s_barrier_wait -1
	s_barrier_signal -1
	s_barrier_wait -1
	s_and_saveexec_b32 s21, s96
	s_cbranch_execz .LBB69_615
; %bb.614:                              ;   in Loop: Header=BB69_3 Depth=1
	ds_load_b64 v[38:39], v50 offset:18736
	s_wait_dscnt 0x0
	ds_store_b64 v49, v[38:39] offset:19744
	ds_load_b64 v[38:39], v50 offset:18744
	s_wait_dscnt 0x0
	ds_store_b64 v49, v[38:39] offset:20256
.LBB69_615:                             ;   in Loop: Header=BB69_3 Depth=1
	s_or_b32 exec_lo, exec_lo, s21
	s_wait_dscnt 0x0
	s_barrier_signal -1
	s_barrier_wait -1
	s_and_saveexec_b32 s21, s10
	s_cbranch_execz .LBB69_617
; %bb.616:                              ;   in Loop: Header=BB69_3 Depth=1
	ds_load_b64 v[38:39], v5 offset:19768
	v_add_nc_u32_e64 v3, 0x130, 0
	ds_store_b64 v5, v[26:27] offset:20280
	s_wait_dscnt 0x1
	ds_store_2addr_stride64_b64 v3, v[26:27], v[38:39] offset0:38 offset1:39
.LBB69_617:                             ;   in Loop: Header=BB69_3 Depth=1
	s_or_b32 exec_lo, exec_lo, s21
	v_mov_b64_e32 v[38:39], 0
	s_wait_dscnt 0x0
	s_barrier_signal -1
	s_barrier_wait -1
	s_and_saveexec_b32 s61, s5
	s_cbranch_execz .LBB69_627
; %bb.618:                              ;   in Loop: Header=BB69_3 Depth=1
	ds_load_b64 v[38:39], v76 offset:16704
	ds_load_b64 v[40:41], v59 offset:16640
	s_wait_dscnt 0x0
	v_dual_mul_f32 v3, v41, v39 :: v_dual_mul_f32 v39, v40, v39
	s_delay_alu instid0(VALU_DEP_1) | instskip(NEXT) | instid1(VALU_DEP_1)
	v_fmac_f32_e32 v39, v41, v38
	v_dual_fma_f32 v3, v40, v38, -v3 :: v_dual_add_f32 v39, 0, v39
	s_delay_alu instid0(VALU_DEP_1)
	v_add_f32_e32 v38, 0, v3
	s_and_saveexec_b32 s21, s14
	s_cbranch_execnz .LBB69_1104
; %bb.619:                              ;   in Loop: Header=BB69_3 Depth=1
	s_or_b32 exec_lo, exec_lo, s21
	s_and_saveexec_b32 s21, s15
	s_cbranch_execnz .LBB69_1105
.LBB69_620:                             ;   in Loop: Header=BB69_3 Depth=1
	s_or_b32 exec_lo, exec_lo, s21
	s_and_saveexec_b32 s21, s16
	s_cbranch_execnz .LBB69_1106
.LBB69_621:                             ;   in Loop: Header=BB69_3 Depth=1
	s_or_b32 exec_lo, exec_lo, s21
	s_and_saveexec_b32 s21, s17
	s_cbranch_execnz .LBB69_1107
.LBB69_622:                             ;   in Loop: Header=BB69_3 Depth=1
	s_or_b32 exec_lo, exec_lo, s21
	s_and_saveexec_b32 s21, s18
	s_cbranch_execnz .LBB69_1108
.LBB69_623:                             ;   in Loop: Header=BB69_3 Depth=1
	s_or_b32 exec_lo, exec_lo, s21
	s_and_saveexec_b32 s21, s4
	s_cbranch_execnz .LBB69_1109
.LBB69_624:                             ;   in Loop: Header=BB69_3 Depth=1
	s_or_b32 exec_lo, exec_lo, s21
	s_and_saveexec_b32 s21, s13
	s_cbranch_execz .LBB69_626
.LBB69_625:                             ;   in Loop: Header=BB69_3 Depth=1
	ds_load_b64 v[40:41], v7 offset:20288
	ds_load_b64 v[42:43], v5 offset:16696
	s_wait_dscnt 0x0
	v_pk_mul_f32 v[44:45], v[42:43], v[40:41] op_sel:[1,1] op_sel_hi:[0,1]
	s_delay_alu instid0(VALU_DEP_1) | instskip(SKIP_1) | instid1(VALU_DEP_2)
	v_pk_fma_f32 v[98:99], v[42:43], v[40:41], v[44:45] op_sel_hi:[1,0,1]
	v_pk_fma_f32 v[40:41], v[42:43], v[40:41], v[44:45] neg_lo:[0,0,1] neg_hi:[0,0,1]
	v_mov_b32_e32 v41, v99
	s_delay_alu instid0(VALU_DEP_1)
	v_pk_add_f32 v[38:39], v[38:39], v[40:41]
.LBB69_626:                             ;   in Loop: Header=BB69_3 Depth=1
	s_or_b32 exec_lo, exec_lo, s21
	s_delay_alu instid0(VALU_DEP_1)
	v_pk_add_f32 v[38:39], v[38:39], 0 neg_lo:[1,1] neg_hi:[1,1]
.LBB69_627:                             ;   in Loop: Header=BB69_3 Depth=1
	s_or_b32 exec_lo, exec_lo, s61
	s_and_saveexec_b32 s21, s104
; %bb.628:                              ;   in Loop: Header=BB69_3 Depth=1
	ds_store_b64 v75, v[38:39]
; %bb.629:                              ;   in Loop: Header=BB69_3 Depth=1
	s_or_b32 exec_lo, exec_lo, s21
	s_wait_dscnt 0x0
	s_barrier_signal -1
	s_barrier_wait -1
	s_and_saveexec_b32 s21, vcc_hi
	s_cbranch_execz .LBB69_631
; %bb.630:                              ;   in Loop: Header=BB69_3 Depth=1
	ds_load_b64 v[40:41], v71 offset:20800
	ds_load_b64 v[42:43], v75
	s_wait_dscnt 0x0
	v_pk_mul_f32 v[44:45], v[42:43], v[40:41] op_sel:[1,1] op_sel_hi:[0,1]
	s_delay_alu instid0(VALU_DEP_1) | instskip(SKIP_1) | instid1(VALU_DEP_2)
	v_pk_fma_f32 v[98:99], v[42:43], v[40:41], v[44:45] op_sel_hi:[1,0,1]
	v_pk_fma_f32 v[40:41], v[42:43], v[40:41], v[44:45] neg_lo:[0,0,1] neg_hi:[0,0,1]
	v_mov_b32_e32 v41, v99
	s_delay_alu instid0(VALU_DEP_1)
	v_pk_add_f32 v[38:39], v[38:39], v[40:41]
.LBB69_631:                             ;   in Loop: Header=BB69_3 Depth=1
	s_or_b32 exec_lo, exec_lo, s21
	s_barrier_signal -1
	s_barrier_wait -1
	s_and_saveexec_b32 s21, s38
; %bb.632:                              ;   in Loop: Header=BB69_3 Depth=1
	ds_store_b64 v75, v[38:39]
; %bb.633:                              ;   in Loop: Header=BB69_3 Depth=1
	s_or_b32 exec_lo, exec_lo, s21
	s_wait_dscnt 0x0
	s_barrier_signal -1
	s_barrier_wait -1
	s_and_saveexec_b32 s21, s39
	s_cbranch_execz .LBB69_635
; %bb.634:                              ;   in Loop: Header=BB69_3 Depth=1
	ds_load_b64 v[40:41], v71 offset:21312
	ds_load_b64 v[42:43], v75
	s_wait_dscnt 0x0
	v_dual_mul_f32 v3, v43, v41 :: v_dual_mul_f32 v41, v42, v41
	s_delay_alu instid0(VALU_DEP_1) | instskip(NEXT) | instid1(VALU_DEP_1)
	v_dual_fma_f32 v3, v42, v40, -v3 :: v_dual_fmac_f32 v41, v43, v40
	v_dual_add_f32 v38, v38, v3 :: v_dual_add_f32 v39, v39, v41
.LBB69_635:                             ;   in Loop: Header=BB69_3 Depth=1
	s_or_b32 exec_lo, exec_lo, s21
	s_barrier_signal -1
	s_barrier_wait -1
	s_and_saveexec_b32 s21, s40
; %bb.636:                              ;   in Loop: Header=BB69_3 Depth=1
	ds_store_b64 v75, v[38:39]
; %bb.637:                              ;   in Loop: Header=BB69_3 Depth=1
	s_or_b32 exec_lo, exec_lo, s21
	s_wait_dscnt 0x0
	s_barrier_signal -1
	s_barrier_wait -1
	s_and_saveexec_b32 s21, s41
	s_cbranch_execz .LBB69_639
; %bb.638:                              ;   in Loop: Header=BB69_3 Depth=1
	ds_load_b64 v[40:41], v71 offset:21824
	ds_load_b64 v[42:43], v75
	s_wait_dscnt 0x0
	v_dual_mul_f32 v3, v43, v41 :: v_dual_mul_f32 v45, v42, v41
	s_delay_alu instid0(VALU_DEP_1) | instskip(NEXT) | instid1(VALU_DEP_1)
	v_dual_fma_f32 v44, v42, v40, -v3 :: v_dual_fmac_f32 v45, v43, v40
	v_pk_add_f32 v[38:39], v[38:39], v[44:45]
.LBB69_639:                             ;   in Loop: Header=BB69_3 Depth=1
	s_or_b32 exec_lo, exec_lo, s21
	s_barrier_signal -1
	s_barrier_wait -1
	s_and_saveexec_b32 s21, s42
; %bb.640:                              ;   in Loop: Header=BB69_3 Depth=1
	ds_store_b64 v75, v[38:39]
; %bb.641:                              ;   in Loop: Header=BB69_3 Depth=1
	s_or_b32 exec_lo, exec_lo, s21
	s_wait_dscnt 0x0
	s_barrier_signal -1
	s_barrier_wait -1
	s_and_saveexec_b32 s21, s43
	s_cbranch_execz .LBB69_643
; %bb.642:                              ;   in Loop: Header=BB69_3 Depth=1
	ds_load_b64 v[40:41], v71 offset:22336
	ds_load_b64 v[42:43], v75
	s_wait_dscnt 0x0
	v_pk_mul_f32 v[44:45], v[42:43], v[40:41] op_sel:[1,1] op_sel_hi:[0,1]
	s_delay_alu instid0(VALU_DEP_1) | instskip(SKIP_1) | instid1(VALU_DEP_2)
	v_pk_fma_f32 v[98:99], v[42:43], v[40:41], v[44:45] op_sel_hi:[1,0,1]
	v_pk_fma_f32 v[40:41], v[42:43], v[40:41], v[44:45] neg_lo:[0,0,1] neg_hi:[0,0,1]
	v_mov_b32_e32 v41, v99
	s_delay_alu instid0(VALU_DEP_1)
	v_pk_add_f32 v[38:39], v[38:39], v[40:41]
.LBB69_643:                             ;   in Loop: Header=BB69_3 Depth=1
	s_or_b32 exec_lo, exec_lo, s21
	s_barrier_signal -1
	s_barrier_wait -1
	s_and_saveexec_b32 s21, s44
; %bb.644:                              ;   in Loop: Header=BB69_3 Depth=1
	ds_store_b64 v75, v[38:39]
; %bb.645:                              ;   in Loop: Header=BB69_3 Depth=1
	s_or_b32 exec_lo, exec_lo, s21
	s_wait_dscnt 0x0
	s_barrier_signal -1
	s_barrier_wait -1
	s_and_saveexec_b32 s21, s45
	s_cbranch_execz .LBB69_647
; %bb.646:                              ;   in Loop: Header=BB69_3 Depth=1
	ds_load_b64 v[40:41], v71 offset:22848
	ds_load_b64 v[42:43], v75
	s_wait_dscnt 0x0
	v_pk_mul_f32 v[44:45], v[42:43], v[40:41] op_sel:[1,1] op_sel_hi:[0,1]
	s_delay_alu instid0(VALU_DEP_1) | instskip(SKIP_1) | instid1(VALU_DEP_2)
	v_pk_fma_f32 v[98:99], v[42:43], v[40:41], v[44:45] op_sel_hi:[1,0,1]
	v_pk_fma_f32 v[40:41], v[42:43], v[40:41], v[44:45] neg_lo:[0,0,1] neg_hi:[0,0,1]
	v_mov_b32_e32 v41, v99
	s_delay_alu instid0(VALU_DEP_1)
	v_pk_add_f32 v[38:39], v[38:39], v[40:41]
.LBB69_647:                             ;   in Loop: Header=BB69_3 Depth=1
	;; [unrolled: 25-line block ×4, first 2 shown]
	s_or_b32 exec_lo, exec_lo, s21
	s_barrier_signal -1
	s_barrier_wait -1
	s_and_saveexec_b32 s21, s49
; %bb.656:                              ;   in Loop: Header=BB69_3 Depth=1
	ds_store_b64 v75, v[38:39]
; %bb.657:                              ;   in Loop: Header=BB69_3 Depth=1
	s_or_b32 exec_lo, exec_lo, s21
	s_wait_dscnt 0x0
	s_barrier_signal -1
	s_barrier_wait -1
	s_barrier_signal -1
	s_barrier_wait -1
	s_and_saveexec_b32 s21, s5
; %bb.658:                              ;   in Loop: Header=BB69_3 Depth=1
	v_pk_add_f32 v[38:39], v[38:39], 0 neg_lo:[1,1] neg_hi:[1,1]
	ds_store_b64 v76, v[38:39] offset:16704
; %bb.659:                              ;   in Loop: Header=BB69_3 Depth=1
	s_or_b32 exec_lo, exec_lo, s21
	s_wait_dscnt 0x0
	s_barrier_signal -1
	s_barrier_wait -1
	s_barrier_signal -1
	s_barrier_wait -1
	s_and_saveexec_b32 s21, s50
	s_cbranch_execz .LBB69_661
; %bb.660:                              ;   in Loop: Header=BB69_3 Depth=1
	ds_load_b64 v[38:39], v9 offset:16704
	s_wait_dscnt 0x0
	ds_store_b64 v47, v[38:39] offset:20736
	ds_load_b64 v[38:39], v9 offset:16712
	s_wait_dscnt 0x0
	ds_store_b64 v47, v[38:39] offset:21248
	;; [unrolled: 3-line block ×8, first 2 shown]
.LBB69_661:                             ;   in Loop: Header=BB69_3 Depth=1
	s_or_b32 exec_lo, exec_lo, s21
	s_wait_dscnt 0x0
	s_barrier_signal -1
	s_barrier_wait -1
	s_and_saveexec_b32 s21, s10
	s_cbranch_execz .LBB69_663
; %bb.662:                              ;   in Loop: Header=BB69_3 Depth=1
	ds_load_b64 v[38:39], v5 offset:20808
	v_add_nc_u32_e64 v3, 0x140, 0
	ds_store_b64 v5, v[26:27] offset:21320
	s_wait_dscnt 0x1
	ds_store_2addr_stride64_b64 v3, v[26:27], v[38:39] offset0:40 offset1:41
.LBB69_663:                             ;   in Loop: Header=BB69_3 Depth=1
	s_or_b32 exec_lo, exec_lo, s21
	v_mov_b64_e32 v[38:39], 0
	s_wait_dscnt 0x0
	s_barrier_signal -1
	s_barrier_wait -1
	s_and_saveexec_b32 s21, s2
	s_cbranch_execz .LBB69_667
; %bb.664:                              ;   in Loop: Header=BB69_3 Depth=1
	ds_load_b64 v[38:39], v68 offset:20816
	ds_load_b64 v[40:41], v69 offset:20800
	s_wait_dscnt 0x0
	v_pk_mul_f32 v[42:43], v[40:41], v[38:39] op_sel:[1,1] op_sel_hi:[0,1]
	s_delay_alu instid0(VALU_DEP_1) | instskip(SKIP_1) | instid1(VALU_DEP_2)
	v_pk_fma_f32 v[44:45], v[40:41], v[38:39], v[42:43] op_sel_hi:[1,0,1]
	v_pk_fma_f32 v[38:39], v[40:41], v[38:39], v[42:43] neg_lo:[0,0,1] neg_hi:[0,0,1]
	v_mov_b32_e32 v39, v45
	s_delay_alu instid0(VALU_DEP_1)
	v_pk_add_f32 v[38:39], v[38:39], 0 op_sel_hi:[1,0]
	s_and_saveexec_b32 s23, s11
	s_cbranch_execz .LBB69_666
; %bb.665:                              ;   in Loop: Header=BB69_3 Depth=1
	ds_load_b64 v[40:41], v47 offset:21328
	ds_load_b64 v[42:43], v5 offset:20808
	s_wait_dscnt 0x0
	v_pk_mul_f32 v[44:45], v[42:43], v[40:41] op_sel:[1,1] op_sel_hi:[0,1]
	s_delay_alu instid0(VALU_DEP_1) | instskip(SKIP_1) | instid1(VALU_DEP_2)
	v_pk_fma_f32 v[98:99], v[42:43], v[40:41], v[44:45] op_sel_hi:[1,0,1]
	v_pk_fma_f32 v[40:41], v[42:43], v[40:41], v[44:45] neg_lo:[0,0,1] neg_hi:[0,0,1]
	v_mov_b32_e32 v41, v99
	s_delay_alu instid0(VALU_DEP_1)
	v_pk_add_f32 v[38:39], v[38:39], v[40:41]
.LBB69_666:                             ;   in Loop: Header=BB69_3 Depth=1
	s_or_b32 exec_lo, exec_lo, s23
	s_delay_alu instid0(VALU_DEP_1)
	v_pk_add_f32 v[38:39], v[38:39], 0 neg_lo:[1,1] neg_hi:[1,1]
.LBB69_667:                             ;   in Loop: Header=BB69_3 Depth=1
	s_or_b32 exec_lo, exec_lo, s21
	s_and_saveexec_b32 s21, s94
; %bb.668:                              ;   in Loop: Header=BB69_3 Depth=1
	ds_store_b64 v56, v[38:39]
; %bb.669:                              ;   in Loop: Header=BB69_3 Depth=1
	s_or_b32 exec_lo, exec_lo, s21
	s_wait_dscnt 0x0
	s_barrier_signal -1
	s_barrier_wait -1
	s_and_saveexec_b32 s21, s95
	s_cbranch_execz .LBB69_671
; %bb.670:                              ;   in Loop: Header=BB69_3 Depth=1
	ds_load_b64 v[40:41], v5 offset:21848
	ds_load_b64 v[42:43], v56
	s_wait_dscnt 0x0
	v_pk_mul_f32 v[44:45], v[42:43], v[40:41] op_sel:[1,1] op_sel_hi:[0,1]
	s_delay_alu instid0(VALU_DEP_1) | instskip(SKIP_1) | instid1(VALU_DEP_2)
	v_pk_fma_f32 v[98:99], v[42:43], v[40:41], v[44:45] op_sel_hi:[1,0,1]
	v_pk_fma_f32 v[40:41], v[42:43], v[40:41], v[44:45] neg_lo:[0,0,1] neg_hi:[0,0,1]
	v_mov_b32_e32 v41, v99
	s_delay_alu instid0(VALU_DEP_1)
	v_pk_add_f32 v[38:39], v[38:39], v[40:41]
.LBB69_671:                             ;   in Loop: Header=BB69_3 Depth=1
	s_or_b32 exec_lo, exec_lo, s21
	s_barrier_signal -1
	s_barrier_wait -1
	s_and_saveexec_b32 s21, s95
; %bb.672:                              ;   in Loop: Header=BB69_3 Depth=1
	ds_store_b64 v56, v[38:39]
; %bb.673:                              ;   in Loop: Header=BB69_3 Depth=1
	s_or_b32 exec_lo, exec_lo, s21
	s_wait_dscnt 0x0
	s_barrier_signal -1
	s_barrier_wait -1
	s_barrier_signal -1
	s_barrier_wait -1
	s_and_saveexec_b32 s21, s2
; %bb.674:                              ;   in Loop: Header=BB69_3 Depth=1
	v_pk_add_f32 v[38:39], v[38:39], 0 neg_lo:[1,1] neg_hi:[1,1]
	ds_store_b64 v68, v[38:39] offset:20816
; %bb.675:                              ;   in Loop: Header=BB69_3 Depth=1
	s_or_b32 exec_lo, exec_lo, s21
	s_wait_dscnt 0x0
	s_barrier_signal -1
	s_barrier_wait -1
	s_barrier_signal -1
	s_barrier_wait -1
	s_and_saveexec_b32 s21, s96
	s_cbranch_execz .LBB69_677
; %bb.676:                              ;   in Loop: Header=BB69_3 Depth=1
	ds_load_b64 v[38:39], v48 offset:20816
	s_wait_dscnt 0x0
	ds_store_b64 v47, v[38:39] offset:21824
	ds_load_b64 v[38:39], v48 offset:20824
	s_wait_dscnt 0x0
	ds_store_b64 v47, v[38:39] offset:22336
.LBB69_677:                             ;   in Loop: Header=BB69_3 Depth=1
	s_or_b32 exec_lo, exec_lo, s21
	s_wait_dscnt 0x0
	s_barrier_signal -1
	s_barrier_wait -1
	s_and_saveexec_b32 s21, s10
	s_cbranch_execz .LBB69_679
; %bb.678:                              ;   in Loop: Header=BB69_3 Depth=1
	ds_load_b64 v[38:39], v5 offset:21848
	v_add_nc_u32_e64 v3, 0x150, 0
	ds_store_b64 v5, v[26:27] offset:22360
	s_wait_dscnt 0x1
	ds_store_2addr_stride64_b64 v3, v[26:27], v[38:39] offset0:42 offset1:43
.LBB69_679:                             ;   in Loop: Header=BB69_3 Depth=1
	s_or_b32 exec_lo, exec_lo, s21
	v_mov_b64_e32 v[38:39], 0
	s_wait_dscnt 0x0
	s_barrier_signal -1
	s_barrier_wait -1
	s_and_saveexec_b32 s61, s4
	s_cbranch_execz .LBB69_685
; %bb.680:                              ;   in Loop: Header=BB69_3 Depth=1
	ds_load_b64 v[38:39], v72 offset:20832
	ds_load_b64 v[40:41], v55 offset:20800
	s_wait_dscnt 0x0
	v_dual_mul_f32 v3, v41, v39 :: v_dual_mul_f32 v39, v40, v39
	s_delay_alu instid0(VALU_DEP_1) | instskip(NEXT) | instid1(VALU_DEP_1)
	v_fmac_f32_e32 v39, v41, v38
	v_dual_fma_f32 v3, v40, v38, -v3 :: v_dual_add_f32 v39, 0, v39
	s_delay_alu instid0(VALU_DEP_1)
	v_add_f32_e32 v38, 0, v3
	s_and_saveexec_b32 s21, s12
	s_cbranch_execnz .LBB69_1110
; %bb.681:                              ;   in Loop: Header=BB69_3 Depth=1
	s_or_b32 exec_lo, exec_lo, s21
	s_and_saveexec_b32 s21, s13
	s_cbranch_execnz .LBB69_1111
.LBB69_682:                             ;   in Loop: Header=BB69_3 Depth=1
	s_or_b32 exec_lo, exec_lo, s21
	s_and_saveexec_b32 s21, s2
	s_cbranch_execz .LBB69_684
.LBB69_683:                             ;   in Loop: Header=BB69_3 Depth=1
	ds_load_b64 v[40:41], v49 offset:22368
	ds_load_b64 v[42:43], v5 offset:20824
	s_wait_dscnt 0x0
	v_dual_mul_f32 v3, v43, v41 :: v_dual_mul_f32 v45, v42, v41
	s_delay_alu instid0(VALU_DEP_1) | instskip(NEXT) | instid1(VALU_DEP_1)
	v_dual_fma_f32 v44, v42, v40, -v3 :: v_dual_fmac_f32 v45, v43, v40
	v_pk_add_f32 v[38:39], v[38:39], v[44:45]
.LBB69_684:                             ;   in Loop: Header=BB69_3 Depth=1
	s_or_b32 exec_lo, exec_lo, s21
	s_delay_alu instid0(VALU_DEP_1)
	v_pk_add_f32 v[38:39], v[38:39], 0 neg_lo:[1,1] neg_hi:[1,1]
.LBB69_685:                             ;   in Loop: Header=BB69_3 Depth=1
	s_or_b32 exec_lo, exec_lo, s61
	s_and_saveexec_b32 s21, s97
; %bb.686:                              ;   in Loop: Header=BB69_3 Depth=1
	ds_store_b64 v70, v[38:39]
; %bb.687:                              ;   in Loop: Header=BB69_3 Depth=1
	s_or_b32 exec_lo, exec_lo, s21
	s_wait_dscnt 0x0
	s_barrier_signal -1
	s_barrier_wait -1
	s_and_saveexec_b32 s21, s98
	s_cbranch_execz .LBB69_689
; %bb.688:                              ;   in Loop: Header=BB69_3 Depth=1
	ds_load_b64 v[40:41], v67 offset:22880
	ds_load_b64 v[42:43], v70
	s_wait_dscnt 0x0
	v_pk_mul_f32 v[44:45], v[42:43], v[40:41] op_sel:[1,1] op_sel_hi:[0,1]
	s_delay_alu instid0(VALU_DEP_1) | instskip(SKIP_1) | instid1(VALU_DEP_2)
	v_pk_fma_f32 v[98:99], v[42:43], v[40:41], v[44:45] op_sel_hi:[1,0,1]
	v_pk_fma_f32 v[40:41], v[42:43], v[40:41], v[44:45] neg_lo:[0,0,1] neg_hi:[0,0,1]
	v_mov_b32_e32 v41, v99
	s_delay_alu instid0(VALU_DEP_1)
	v_pk_add_f32 v[38:39], v[38:39], v[40:41]
.LBB69_689:                             ;   in Loop: Header=BB69_3 Depth=1
	s_or_b32 exec_lo, exec_lo, s21
	s_barrier_signal -1
	s_barrier_wait -1
	s_and_saveexec_b32 s21, s99
; %bb.690:                              ;   in Loop: Header=BB69_3 Depth=1
	ds_store_b64 v70, v[38:39]
; %bb.691:                              ;   in Loop: Header=BB69_3 Depth=1
	s_or_b32 exec_lo, exec_lo, s21
	s_wait_dscnt 0x0
	s_barrier_signal -1
	s_barrier_wait -1
	s_and_saveexec_b32 s21, s100
	s_cbranch_execz .LBB69_693
; %bb.692:                              ;   in Loop: Header=BB69_3 Depth=1
	ds_load_b64 v[40:41], v67 offset:23392
	ds_load_b64 v[42:43], v70
	s_wait_dscnt 0x0
	v_pk_mul_f32 v[44:45], v[42:43], v[40:41] op_sel:[1,1] op_sel_hi:[0,1]
	s_delay_alu instid0(VALU_DEP_1) | instskip(SKIP_1) | instid1(VALU_DEP_2)
	v_pk_fma_f32 v[98:99], v[42:43], v[40:41], v[44:45] op_sel_hi:[1,0,1]
	v_pk_fma_f32 v[40:41], v[42:43], v[40:41], v[44:45] neg_lo:[0,0,1] neg_hi:[0,0,1]
	v_mov_b32_e32 v41, v99
	s_delay_alu instid0(VALU_DEP_1)
	v_pk_add_f32 v[38:39], v[38:39], v[40:41]
.LBB69_693:                             ;   in Loop: Header=BB69_3 Depth=1
	s_or_b32 exec_lo, exec_lo, s21
	s_barrier_signal -1
	s_barrier_wait -1
	;; [unrolled: 25-line block ×3, first 2 shown]
	s_and_saveexec_b32 s21, s102
; %bb.698:                              ;   in Loop: Header=BB69_3 Depth=1
	ds_store_b64 v70, v[38:39]
; %bb.699:                              ;   in Loop: Header=BB69_3 Depth=1
	s_or_b32 exec_lo, exec_lo, s21
	s_wait_dscnt 0x0
	s_barrier_signal -1
	s_barrier_wait -1
	s_barrier_signal -1
	s_barrier_wait -1
	s_and_saveexec_b32 s21, s4
; %bb.700:                              ;   in Loop: Header=BB69_3 Depth=1
	v_pk_add_f32 v[38:39], v[38:39], 0 neg_lo:[1,1] neg_hi:[1,1]
	ds_store_b64 v72, v[38:39] offset:20832
; %bb.701:                              ;   in Loop: Header=BB69_3 Depth=1
	s_or_b32 exec_lo, exec_lo, s21
	s_wait_dscnt 0x0
	s_barrier_signal -1
	s_barrier_wait -1
	s_barrier_signal -1
	s_barrier_wait -1
	s_and_saveexec_b32 s21, s103
	s_cbranch_execz .LBB69_703
; %bb.702:                              ;   in Loop: Header=BB69_3 Depth=1
	ds_load_b64 v[38:39], v50 offset:20832
	s_wait_dscnt 0x0
	ds_store_b64 v51, v[38:39] offset:22848
	ds_load_b64 v[38:39], v50 offset:20840
	s_wait_dscnt 0x0
	ds_store_b64 v51, v[38:39] offset:23360
	;; [unrolled: 3-line block ×4, first 2 shown]
.LBB69_703:                             ;   in Loop: Header=BB69_3 Depth=1
	s_or_b32 exec_lo, exec_lo, s21
	s_wait_dscnt 0x0
	s_barrier_signal -1
	s_barrier_wait -1
	s_and_saveexec_b32 s21, s10
	s_cbranch_execz .LBB69_705
; %bb.704:                              ;   in Loop: Header=BB69_3 Depth=1
	ds_load_b64 v[38:39], v5 offset:22888
	v_add_nc_u32_e64 v3, 0x160, 0
	ds_store_b64 v5, v[26:27] offset:23400
	s_wait_dscnt 0x1
	ds_store_2addr_stride64_b64 v3, v[26:27], v[38:39] offset0:44 offset1:45
.LBB69_705:                             ;   in Loop: Header=BB69_3 Depth=1
	s_or_b32 exec_lo, exec_lo, s21
	v_mov_b64_e32 v[38:39], 0
	s_wait_dscnt 0x0
	s_barrier_signal -1
	s_barrier_wait -1
	s_and_saveexec_b32 s21, s2
	s_cbranch_execz .LBB69_709
; %bb.706:                              ;   in Loop: Header=BB69_3 Depth=1
	ds_load_b64 v[38:39], v68 offset:22896
	ds_load_b64 v[40:41], v69 offset:22880
	s_wait_dscnt 0x0
	v_pk_mul_f32 v[42:43], v[40:41], v[38:39] op_sel:[1,1] op_sel_hi:[0,1]
	s_delay_alu instid0(VALU_DEP_1) | instskip(SKIP_1) | instid1(VALU_DEP_2)
	v_pk_fma_f32 v[44:45], v[40:41], v[38:39], v[42:43] op_sel_hi:[1,0,1]
	v_pk_fma_f32 v[38:39], v[40:41], v[38:39], v[42:43] neg_lo:[0,0,1] neg_hi:[0,0,1]
	v_mov_b32_e32 v39, v45
	s_delay_alu instid0(VALU_DEP_1)
	v_pk_add_f32 v[38:39], v[38:39], 0 op_sel_hi:[1,0]
	s_and_saveexec_b32 s23, s11
	s_cbranch_execz .LBB69_708
; %bb.707:                              ;   in Loop: Header=BB69_3 Depth=1
	ds_load_b64 v[40:41], v51 offset:23408
	ds_load_b64 v[42:43], v5 offset:22888
	s_wait_dscnt 0x0
	v_pk_mul_f32 v[44:45], v[42:43], v[40:41] op_sel:[1,1] op_sel_hi:[0,1]
	s_delay_alu instid0(VALU_DEP_1) | instskip(SKIP_1) | instid1(VALU_DEP_2)
	v_pk_fma_f32 v[98:99], v[42:43], v[40:41], v[44:45] op_sel_hi:[1,0,1]
	v_pk_fma_f32 v[40:41], v[42:43], v[40:41], v[44:45] neg_lo:[0,0,1] neg_hi:[0,0,1]
	v_mov_b32_e32 v41, v99
	s_delay_alu instid0(VALU_DEP_1)
	v_pk_add_f32 v[38:39], v[38:39], v[40:41]
.LBB69_708:                             ;   in Loop: Header=BB69_3 Depth=1
	s_or_b32 exec_lo, exec_lo, s23
	s_delay_alu instid0(VALU_DEP_1)
	v_pk_add_f32 v[38:39], v[38:39], 0 neg_lo:[1,1] neg_hi:[1,1]
.LBB69_709:                             ;   in Loop: Header=BB69_3 Depth=1
	s_or_b32 exec_lo, exec_lo, s21
	s_and_saveexec_b32 s21, s94
; %bb.710:                              ;   in Loop: Header=BB69_3 Depth=1
	ds_store_b64 v56, v[38:39]
; %bb.711:                              ;   in Loop: Header=BB69_3 Depth=1
	s_or_b32 exec_lo, exec_lo, s21
	s_wait_dscnt 0x0
	s_barrier_signal -1
	s_barrier_wait -1
	s_and_saveexec_b32 s21, s95
	s_cbranch_execz .LBB69_713
; %bb.712:                              ;   in Loop: Header=BB69_3 Depth=1
	ds_load_b64 v[40:41], v5 offset:23928
	ds_load_b64 v[42:43], v56
	s_wait_dscnt 0x0
	v_pk_mul_f32 v[44:45], v[42:43], v[40:41] op_sel:[1,1] op_sel_hi:[0,1]
	s_delay_alu instid0(VALU_DEP_1) | instskip(SKIP_1) | instid1(VALU_DEP_2)
	v_pk_fma_f32 v[98:99], v[42:43], v[40:41], v[44:45] op_sel_hi:[1,0,1]
	v_pk_fma_f32 v[40:41], v[42:43], v[40:41], v[44:45] neg_lo:[0,0,1] neg_hi:[0,0,1]
	v_mov_b32_e32 v41, v99
	s_delay_alu instid0(VALU_DEP_1)
	v_pk_add_f32 v[38:39], v[38:39], v[40:41]
.LBB69_713:                             ;   in Loop: Header=BB69_3 Depth=1
	s_or_b32 exec_lo, exec_lo, s21
	s_barrier_signal -1
	s_barrier_wait -1
	s_and_saveexec_b32 s21, s95
; %bb.714:                              ;   in Loop: Header=BB69_3 Depth=1
	ds_store_b64 v56, v[38:39]
; %bb.715:                              ;   in Loop: Header=BB69_3 Depth=1
	s_or_b32 exec_lo, exec_lo, s21
	s_wait_dscnt 0x0
	s_barrier_signal -1
	s_barrier_wait -1
	s_barrier_signal -1
	s_barrier_wait -1
	s_and_saveexec_b32 s21, s2
; %bb.716:                              ;   in Loop: Header=BB69_3 Depth=1
	v_pk_add_f32 v[38:39], v[38:39], 0 neg_lo:[1,1] neg_hi:[1,1]
	ds_store_b64 v68, v[38:39] offset:22896
; %bb.717:                              ;   in Loop: Header=BB69_3 Depth=1
	s_or_b32 exec_lo, exec_lo, s21
	s_wait_dscnt 0x0
	s_barrier_signal -1
	s_barrier_wait -1
	s_barrier_signal -1
	s_barrier_wait -1
	s_and_saveexec_b32 s21, s96
	s_cbranch_execz .LBB69_719
; %bb.718:                              ;   in Loop: Header=BB69_3 Depth=1
	ds_load_b64 v[38:39], v52 offset:22896
	s_wait_dscnt 0x0
	ds_store_b64 v51, v[38:39] offset:23904
	ds_load_b64 v[38:39], v52 offset:22904
	s_wait_dscnt 0x0
	ds_store_b64 v51, v[38:39] offset:24416
.LBB69_719:                             ;   in Loop: Header=BB69_3 Depth=1
	s_or_b32 exec_lo, exec_lo, s21
	s_wait_dscnt 0x0
	s_barrier_signal -1
	s_barrier_wait -1
	s_and_saveexec_b32 s21, s10
	s_cbranch_execz .LBB69_721
; %bb.720:                              ;   in Loop: Header=BB69_3 Depth=1
	ds_load_b64 v[38:39], v5 offset:23928
	v_add_nc_u32_e64 v3, 0x170, 0
	ds_store_b64 v5, v[26:27] offset:24440
	s_wait_dscnt 0x1
	ds_store_2addr_stride64_b64 v3, v[26:27], v[38:39] offset0:46 offset1:47
.LBB69_721:                             ;   in Loop: Header=BB69_3 Depth=1
	s_or_b32 exec_lo, exec_lo, s21
	v_mov_b64_e32 v[38:39], 0
	s_wait_dscnt 0x0
	s_barrier_signal -1
	s_barrier_wait -1
	s_and_saveexec_b32 s84, s6
	s_cbranch_execz .LBB69_749
; %bb.722:                              ;   in Loop: Header=BB69_3 Depth=1
	ds_load_b64 v[38:39], v79 offset:16768
	ds_load_b64 v[40:41], v61 offset:16640
	s_wait_dscnt 0x0
	v_dual_mul_f32 v3, v41, v39 :: v_dual_mul_f32 v39, v40, v39
	s_delay_alu instid0(VALU_DEP_1) | instskip(NEXT) | instid1(VALU_DEP_1)
	v_fmac_f32_e32 v39, v41, v38
	v_dual_fma_f32 v3, v40, v38, -v3 :: v_dual_add_f32 v39, 0, v39
	s_delay_alu instid0(VALU_DEP_1) | instskip(SKIP_3) | instid1(SALU_CYCLE_1)
	v_add_f32_e32 v38, 0, v3
	s_mov_b32 s21, exec_lo
	v_readlane_b32 s23, v106, 26
	s_and_b32 s23, s21, s23
	s_mov_b32 exec_lo, s23
	s_cbranch_execz .LBB69_724
; %bb.723:                              ;   in Loop: Header=BB69_3 Depth=1
	ds_load_b64 v[40:41], v80 offset:17280
	ds_load_b64 v[42:43], v61 offset:16648
	s_wait_dscnt 0x0
	v_dual_mul_f32 v3, v43, v41 :: v_dual_mul_f32 v41, v42, v41
	s_delay_alu instid0(VALU_DEP_1) | instskip(NEXT) | instid1(VALU_DEP_1)
	v_dual_fma_f32 v3, v42, v40, -v3 :: v_dual_fmac_f32 v41, v43, v40
	v_dual_add_f32 v38, v38, v3 :: v_dual_add_f32 v39, v39, v41
.LBB69_724:                             ;   in Loop: Header=BB69_3 Depth=1
	s_or_b32 exec_lo, exec_lo, s21
	s_delay_alu instid0(SALU_CYCLE_1) | instskip(SKIP_2) | instid1(SALU_CYCLE_1)
	s_mov_b32 s21, exec_lo
	v_readlane_b32 s23, v106, 27
	s_and_b32 s23, s21, s23
	s_mov_b32 exec_lo, s23
	s_cbranch_execz .LBB69_726
; %bb.725:                              ;   in Loop: Header=BB69_3 Depth=1
	ds_load_b64 v[40:41], v80 offset:17792
	ds_load_b64 v[42:43], v61 offset:16656
	s_wait_dscnt 0x0
	v_dual_mul_f32 v3, v43, v41 :: v_dual_mul_f32 v41, v42, v41
	s_delay_alu instid0(VALU_DEP_1) | instskip(NEXT) | instid1(VALU_DEP_1)
	v_dual_fma_f32 v3, v42, v40, -v3 :: v_dual_fmac_f32 v41, v43, v40
	v_dual_add_f32 v38, v38, v3 :: v_dual_add_f32 v39, v39, v41
.LBB69_726:                             ;   in Loop: Header=BB69_3 Depth=1
	s_or_b32 exec_lo, exec_lo, s21
	s_delay_alu instid0(SALU_CYCLE_1) | instskip(SKIP_2) | instid1(SALU_CYCLE_1)
	;; [unrolled: 16-line block ×10, first 2 shown]
	s_mov_b32 s21, exec_lo
	v_readlane_b32 s23, v97, 4
	s_and_b32 s23, s21, s23
	s_mov_b32 exec_lo, s23
	s_cbranch_execnz .LBB69_1112
; %bb.743:                              ;   in Loop: Header=BB69_3 Depth=1
	s_or_b32 exec_lo, exec_lo, s21
	s_and_saveexec_b32 s21, s5
	s_cbranch_execnz .LBB69_1113
.LBB69_744:                             ;   in Loop: Header=BB69_3 Depth=1
	s_or_b32 exec_lo, exec_lo, s21
	s_and_saveexec_b32 s21, s15
	s_cbranch_execnz .LBB69_1114
.LBB69_745:                             ;   in Loop: Header=BB69_3 Depth=1
	s_or_b32 exec_lo, exec_lo, s21
	s_and_saveexec_b32 s21, s17
	s_cbranch_execnz .LBB69_1115
.LBB69_746:                             ;   in Loop: Header=BB69_3 Depth=1
	s_or_b32 exec_lo, exec_lo, s21
	s_and_saveexec_b32 s21, s4
	s_cbranch_execz .LBB69_748
.LBB69_747:                             ;   in Loop: Header=BB69_3 Depth=1
	ds_load_b64 v[40:41], v7 offset:24448
	ds_load_b64 v[42:43], v5 offset:16760
	s_wait_dscnt 0x0
	v_dual_mul_f32 v3, v43, v41 :: v_dual_mul_f32 v45, v42, v41
	s_delay_alu instid0(VALU_DEP_1) | instskip(NEXT) | instid1(VALU_DEP_1)
	v_dual_fma_f32 v44, v42, v40, -v3 :: v_dual_fmac_f32 v45, v43, v40
	v_pk_add_f32 v[38:39], v[38:39], v[44:45]
.LBB69_748:                             ;   in Loop: Header=BB69_3 Depth=1
	s_or_b32 exec_lo, exec_lo, s21
	s_delay_alu instid0(VALU_DEP_1)
	v_pk_add_f32 v[38:39], v[38:39], 0 neg_lo:[1,1] neg_hi:[1,1]
.LBB69_749:                             ;   in Loop: Header=BB69_3 Depth=1
	s_or_b32 exec_lo, exec_lo, s84
	s_delay_alu instid0(SALU_CYCLE_1) | instskip(SKIP_2) | instid1(SALU_CYCLE_1)
	s_mov_b32 s21, exec_lo
	v_readlane_b32 s23, v106, 1
	s_and_b32 s23, s21, s23
	s_mov_b32 exec_lo, s23
; %bb.750:                              ;   in Loop: Header=BB69_3 Depth=1
	ds_store_b64 v78, v[38:39]
; %bb.751:                              ;   in Loop: Header=BB69_3 Depth=1
	s_or_b32 exec_lo, exec_lo, s21
	s_wait_dscnt 0x0
	s_barrier_signal -1
	s_barrier_wait -1
	s_mov_b32 s21, exec_lo
	v_readlane_b32 s23, v106, 2
	s_and_b32 s23, s21, s23
	s_delay_alu instid0(SALU_CYCLE_1)
	s_mov_b32 exec_lo, s23
	s_cbranch_execz .LBB69_753
; %bb.752:                              ;   in Loop: Header=BB69_3 Depth=1
	ds_load_b64 v[40:41], v74 offset:24960
	ds_load_b64 v[42:43], v78
	s_wait_dscnt 0x0
	v_pk_mul_f32 v[44:45], v[42:43], v[40:41] op_sel:[1,1] op_sel_hi:[0,1]
	s_delay_alu instid0(VALU_DEP_1) | instskip(SKIP_1) | instid1(VALU_DEP_2)
	v_pk_fma_f32 v[98:99], v[42:43], v[40:41], v[44:45] op_sel_hi:[1,0,1]
	v_pk_fma_f32 v[40:41], v[42:43], v[40:41], v[44:45] neg_lo:[0,0,1] neg_hi:[0,0,1]
	v_mov_b32_e32 v41, v99
	s_delay_alu instid0(VALU_DEP_1)
	v_pk_add_f32 v[38:39], v[38:39], v[40:41]
.LBB69_753:                             ;   in Loop: Header=BB69_3 Depth=1
	s_or_b32 exec_lo, exec_lo, s21
	s_barrier_signal -1
	s_barrier_wait -1
	s_mov_b32 s21, exec_lo
	v_readlane_b32 s23, v106, 3
	s_and_b32 s23, s21, s23
	s_delay_alu instid0(SALU_CYCLE_1)
	s_mov_b32 exec_lo, s23
; %bb.754:                              ;   in Loop: Header=BB69_3 Depth=1
	ds_store_b64 v78, v[38:39]
; %bb.755:                              ;   in Loop: Header=BB69_3 Depth=1
	s_or_b32 exec_lo, exec_lo, s21
	s_wait_dscnt 0x0
	s_barrier_signal -1
	s_barrier_wait -1
	s_mov_b32 s21, exec_lo
	v_readlane_b32 s23, v106, 4
	s_and_b32 s23, s21, s23
	s_delay_alu instid0(SALU_CYCLE_1)
	s_mov_b32 exec_lo, s23
	s_cbranch_execz .LBB69_757
; %bb.756:                              ;   in Loop: Header=BB69_3 Depth=1
	ds_load_b64 v[40:41], v74 offset:25472
	ds_load_b64 v[42:43], v78
	s_wait_dscnt 0x0
	v_pk_mul_f32 v[44:45], v[42:43], v[40:41] op_sel:[1,1] op_sel_hi:[0,1]
	s_delay_alu instid0(VALU_DEP_1) | instskip(SKIP_1) | instid1(VALU_DEP_2)
	v_pk_fma_f32 v[98:99], v[42:43], v[40:41], v[44:45] op_sel_hi:[1,0,1]
	v_pk_fma_f32 v[40:41], v[42:43], v[40:41], v[44:45] neg_lo:[0,0,1] neg_hi:[0,0,1]
	v_mov_b32_e32 v41, v99
	s_delay_alu instid0(VALU_DEP_1)
	v_pk_add_f32 v[38:39], v[38:39], v[40:41]
.LBB69_757:                             ;   in Loop: Header=BB69_3 Depth=1
	s_or_b32 exec_lo, exec_lo, s21
	s_barrier_signal -1
	s_barrier_wait -1
	s_mov_b32 s21, exec_lo
	v_readlane_b32 s23, v106, 5
	s_and_b32 s23, s21, s23
	s_delay_alu instid0(SALU_CYCLE_1)
	;; [unrolled: 33-line block ×3, first 2 shown]
	s_mov_b32 exec_lo, s23
; %bb.762:                              ;   in Loop: Header=BB69_3 Depth=1
	ds_store_b64 v78, v[38:39]
; %bb.763:                              ;   in Loop: Header=BB69_3 Depth=1
	s_or_b32 exec_lo, exec_lo, s21
	s_wait_dscnt 0x0
	s_barrier_signal -1
	s_barrier_wait -1
	s_mov_b32 s21, exec_lo
	v_readlane_b32 s23, v106, 8
	s_and_b32 s23, s21, s23
	s_delay_alu instid0(SALU_CYCLE_1)
	s_mov_b32 exec_lo, s23
	s_cbranch_execz .LBB69_765
; %bb.764:                              ;   in Loop: Header=BB69_3 Depth=1
	ds_load_b64 v[40:41], v74 offset:26496
	ds_load_b64 v[42:43], v78
	s_wait_dscnt 0x0
	v_dual_mul_f32 v3, v43, v41 :: v_dual_mul_f32 v41, v42, v41
	s_delay_alu instid0(VALU_DEP_1) | instskip(NEXT) | instid1(VALU_DEP_1)
	v_dual_fma_f32 v3, v42, v40, -v3 :: v_dual_fmac_f32 v41, v43, v40
	v_dual_add_f32 v38, v38, v3 :: v_dual_add_f32 v39, v39, v41
.LBB69_765:                             ;   in Loop: Header=BB69_3 Depth=1
	s_or_b32 exec_lo, exec_lo, s21
	s_barrier_signal -1
	s_barrier_wait -1
	s_mov_b32 s21, exec_lo
	v_readlane_b32 s23, v106, 9
	s_and_b32 s23, s21, s23
	s_delay_alu instid0(SALU_CYCLE_1)
	s_mov_b32 exec_lo, s23
; %bb.766:                              ;   in Loop: Header=BB69_3 Depth=1
	ds_store_b64 v78, v[38:39]
; %bb.767:                              ;   in Loop: Header=BB69_3 Depth=1
	s_or_b32 exec_lo, exec_lo, s21
	s_wait_dscnt 0x0
	s_barrier_signal -1
	s_barrier_wait -1
	s_mov_b32 s21, exec_lo
	v_readlane_b32 s23, v106, 10
	s_and_b32 s23, s21, s23
	s_delay_alu instid0(SALU_CYCLE_1)
	s_mov_b32 exec_lo, s23
	s_cbranch_execz .LBB69_769
; %bb.768:                              ;   in Loop: Header=BB69_3 Depth=1
	ds_load_b64 v[40:41], v74 offset:27008
	ds_load_b64 v[42:43], v78
	s_wait_dscnt 0x0
	v_dual_mul_f32 v3, v43, v41 :: v_dual_mul_f32 v45, v42, v41
	s_delay_alu instid0(VALU_DEP_1) | instskip(NEXT) | instid1(VALU_DEP_1)
	v_dual_fma_f32 v44, v42, v40, -v3 :: v_dual_fmac_f32 v45, v43, v40
	v_pk_add_f32 v[38:39], v[38:39], v[44:45]
.LBB69_769:                             ;   in Loop: Header=BB69_3 Depth=1
	s_or_b32 exec_lo, exec_lo, s21
	s_barrier_signal -1
	s_barrier_wait -1
	s_mov_b32 s21, exec_lo
	v_readlane_b32 s23, v106, 11
	s_and_b32 s23, s21, s23
	s_delay_alu instid0(SALU_CYCLE_1)
	s_mov_b32 exec_lo, s23
; %bb.770:                              ;   in Loop: Header=BB69_3 Depth=1
	ds_store_b64 v78, v[38:39]
; %bb.771:                              ;   in Loop: Header=BB69_3 Depth=1
	s_or_b32 exec_lo, exec_lo, s21
	s_wait_dscnt 0x0
	s_barrier_signal -1
	s_barrier_wait -1
	s_and_saveexec_b32 s21, s29
	s_cbranch_execz .LBB69_773
; %bb.772:                              ;   in Loop: Header=BB69_3 Depth=1
	ds_load_b64 v[40:41], v74 offset:27520
	ds_load_b64 v[42:43], v78
	s_wait_dscnt 0x0
	v_pk_mul_f32 v[44:45], v[42:43], v[40:41] op_sel:[1,1] op_sel_hi:[0,1]
	s_delay_alu instid0(VALU_DEP_1) | instskip(SKIP_1) | instid1(VALU_DEP_2)
	v_pk_fma_f32 v[98:99], v[42:43], v[40:41], v[44:45] op_sel_hi:[1,0,1]
	v_pk_fma_f32 v[40:41], v[42:43], v[40:41], v[44:45] neg_lo:[0,0,1] neg_hi:[0,0,1]
	v_mov_b32_e32 v41, v99
	s_delay_alu instid0(VALU_DEP_1)
	v_pk_add_f32 v[38:39], v[38:39], v[40:41]
.LBB69_773:                             ;   in Loop: Header=BB69_3 Depth=1
	s_or_b32 exec_lo, exec_lo, s21
	s_barrier_signal -1
	s_barrier_wait -1
	s_and_saveexec_b32 s21, s34
; %bb.774:                              ;   in Loop: Header=BB69_3 Depth=1
	ds_store_b64 v78, v[38:39]
; %bb.775:                              ;   in Loop: Header=BB69_3 Depth=1
	s_or_b32 exec_lo, exec_lo, s21
	s_wait_dscnt 0x0
	s_barrier_signal -1
	s_barrier_wait -1
	s_and_saveexec_b32 s21, s35
	s_cbranch_execz .LBB69_777
; %bb.776:                              ;   in Loop: Header=BB69_3 Depth=1
	ds_load_b64 v[40:41], v74 offset:28032
	ds_load_b64 v[42:43], v78
	s_wait_dscnt 0x0
	v_pk_mul_f32 v[44:45], v[42:43], v[40:41] op_sel:[1,1] op_sel_hi:[0,1]
	s_delay_alu instid0(VALU_DEP_1) | instskip(SKIP_1) | instid1(VALU_DEP_2)
	v_pk_fma_f32 v[98:99], v[42:43], v[40:41], v[44:45] op_sel_hi:[1,0,1]
	v_pk_fma_f32 v[40:41], v[42:43], v[40:41], v[44:45] neg_lo:[0,0,1] neg_hi:[0,0,1]
	v_mov_b32_e32 v41, v99
	s_delay_alu instid0(VALU_DEP_1)
	v_pk_add_f32 v[38:39], v[38:39], v[40:41]
.LBB69_777:                             ;   in Loop: Header=BB69_3 Depth=1
	s_or_b32 exec_lo, exec_lo, s21
	s_barrier_signal -1
	s_barrier_wait -1
	s_and_saveexec_b32 s21, s36
	;; [unrolled: 25-line block ×4, first 2 shown]
; %bb.786:                              ;   in Loop: Header=BB69_3 Depth=1
	ds_store_b64 v78, v[38:39]
; %bb.787:                              ;   in Loop: Header=BB69_3 Depth=1
	s_or_b32 exec_lo, exec_lo, s21
	s_wait_dscnt 0x0
	s_barrier_signal -1
	s_barrier_wait -1
	s_and_saveexec_b32 s21, s77
	s_cbranch_execz .LBB69_789
; %bb.788:                              ;   in Loop: Header=BB69_3 Depth=1
	ds_load_b64 v[40:41], v74 offset:29568
	ds_load_b64 v[42:43], v78
	s_wait_dscnt 0x0
	v_dual_mul_f32 v3, v43, v41 :: v_dual_mul_f32 v41, v42, v41
	s_delay_alu instid0(VALU_DEP_1) | instskip(NEXT) | instid1(VALU_DEP_1)
	v_dual_fma_f32 v3, v42, v40, -v3 :: v_dual_fmac_f32 v41, v43, v40
	v_dual_add_f32 v38, v38, v3 :: v_dual_add_f32 v39, v39, v41
.LBB69_789:                             ;   in Loop: Header=BB69_3 Depth=1
	s_or_b32 exec_lo, exec_lo, s21
	s_barrier_signal -1
	s_barrier_wait -1
	s_and_saveexec_b32 s21, s20
; %bb.790:                              ;   in Loop: Header=BB69_3 Depth=1
	ds_store_b64 v78, v[38:39]
; %bb.791:                              ;   in Loop: Header=BB69_3 Depth=1
	s_or_b32 exec_lo, exec_lo, s21
	s_wait_dscnt 0x0
	s_barrier_signal -1
	s_barrier_wait -1
	s_and_saveexec_b32 s21, s22
	s_cbranch_execz .LBB69_793
; %bb.792:                              ;   in Loop: Header=BB69_3 Depth=1
	ds_load_b64 v[40:41], v74 offset:30080
	ds_load_b64 v[42:43], v78
	s_wait_dscnt 0x0
	v_dual_mul_f32 v3, v43, v41 :: v_dual_mul_f32 v45, v42, v41
	s_delay_alu instid0(VALU_DEP_1) | instskip(NEXT) | instid1(VALU_DEP_1)
	v_dual_fma_f32 v44, v42, v40, -v3 :: v_dual_fmac_f32 v45, v43, v40
	v_pk_add_f32 v[38:39], v[38:39], v[44:45]
.LBB69_793:                             ;   in Loop: Header=BB69_3 Depth=1
	s_or_b32 exec_lo, exec_lo, s21
	s_barrier_signal -1
	s_barrier_wait -1
	s_and_saveexec_b32 s21, s24
; %bb.794:                              ;   in Loop: Header=BB69_3 Depth=1
	ds_store_b64 v78, v[38:39]
; %bb.795:                              ;   in Loop: Header=BB69_3 Depth=1
	s_or_b32 exec_lo, exec_lo, s21
	s_wait_dscnt 0x0
	s_barrier_signal -1
	s_barrier_wait -1
	s_and_saveexec_b32 s21, s26
	s_cbranch_execz .LBB69_797
; %bb.796:                              ;   in Loop: Header=BB69_3 Depth=1
	ds_load_b64 v[40:41], v74 offset:30592
	ds_load_b64 v[42:43], v78
	s_wait_dscnt 0x0
	v_pk_mul_f32 v[44:45], v[42:43], v[40:41] op_sel:[1,1] op_sel_hi:[0,1]
	s_delay_alu instid0(VALU_DEP_1) | instskip(SKIP_1) | instid1(VALU_DEP_2)
	v_pk_fma_f32 v[98:99], v[42:43], v[40:41], v[44:45] op_sel_hi:[1,0,1]
	v_pk_fma_f32 v[40:41], v[42:43], v[40:41], v[44:45] neg_lo:[0,0,1] neg_hi:[0,0,1]
	v_mov_b32_e32 v41, v99
	s_delay_alu instid0(VALU_DEP_1)
	v_pk_add_f32 v[38:39], v[38:39], v[40:41]
.LBB69_797:                             ;   in Loop: Header=BB69_3 Depth=1
	s_or_b32 exec_lo, exec_lo, s21
	s_barrier_signal -1
	s_barrier_wait -1
	s_and_saveexec_b32 s21, s19
; %bb.798:                              ;   in Loop: Header=BB69_3 Depth=1
	ds_store_b64 v78, v[38:39]
; %bb.799:                              ;   in Loop: Header=BB69_3 Depth=1
	s_or_b32 exec_lo, exec_lo, s21
	s_wait_dscnt 0x0
	s_barrier_signal -1
	s_barrier_wait -1
	s_and_saveexec_b32 s21, s28
	s_cbranch_execz .LBB69_801
; %bb.800:                              ;   in Loop: Header=BB69_3 Depth=1
	ds_load_b64 v[40:41], v74 offset:31104
	ds_load_b64 v[42:43], v78
	s_wait_dscnt 0x0
	v_pk_mul_f32 v[44:45], v[42:43], v[40:41] op_sel:[1,1] op_sel_hi:[0,1]
	s_delay_alu instid0(VALU_DEP_1) | instskip(SKIP_1) | instid1(VALU_DEP_2)
	v_pk_fma_f32 v[98:99], v[42:43], v[40:41], v[44:45] op_sel_hi:[1,0,1]
	v_pk_fma_f32 v[40:41], v[42:43], v[40:41], v[44:45] neg_lo:[0,0,1] neg_hi:[0,0,1]
	v_mov_b32_e32 v41, v99
	s_delay_alu instid0(VALU_DEP_1)
	v_pk_add_f32 v[38:39], v[38:39], v[40:41]
.LBB69_801:                             ;   in Loop: Header=BB69_3 Depth=1
	;; [unrolled: 25-line block ×4, first 2 shown]
	s_or_b32 exec_lo, exec_lo, s21
	s_barrier_signal -1
	s_barrier_wait -1
	s_and_saveexec_b32 s21, s53
; %bb.810:                              ;   in Loop: Header=BB69_3 Depth=1
	ds_store_b64 v78, v[38:39]
; %bb.811:                              ;   in Loop: Header=BB69_3 Depth=1
	s_or_b32 exec_lo, exec_lo, s21
	s_wait_dscnt 0x0
	s_barrier_signal -1
	s_barrier_wait -1
	s_barrier_signal -1
	s_barrier_wait -1
	s_and_saveexec_b32 s21, s6
; %bb.812:                              ;   in Loop: Header=BB69_3 Depth=1
	v_pk_add_f32 v[38:39], v[38:39], 0 neg_lo:[1,1] neg_hi:[1,1]
	ds_store_b64 v79, v[38:39] offset:16768
; %bb.813:                              ;   in Loop: Header=BB69_3 Depth=1
	s_or_b32 exec_lo, exec_lo, s21
	s_wait_dscnt 0x0
	s_barrier_signal -1
	s_barrier_wait -1
	s_barrier_signal -1
	s_barrier_wait -1
	s_and_saveexec_b32 s21, s55
	s_cbranch_execz .LBB69_815
; %bb.814:                              ;   in Loop: Header=BB69_3 Depth=1
	ds_load_b64 v[38:39], v9 offset:16768
	s_wait_dscnt 0x0
	ds_store_b64 v47, v[38:39] offset:24832
	ds_load_b64 v[38:39], v9 offset:16776
	s_wait_dscnt 0x0
	ds_store_b64 v47, v[38:39] offset:25344
	;; [unrolled: 3-line block ×16, first 2 shown]
.LBB69_815:                             ;   in Loop: Header=BB69_3 Depth=1
	s_or_b32 exec_lo, exec_lo, s21
	s_wait_dscnt 0x0
	s_barrier_signal -1
	s_barrier_wait -1
	s_and_saveexec_b32 s21, s10
	s_cbranch_execz .LBB69_817
; %bb.816:                              ;   in Loop: Header=BB69_3 Depth=1
	ds_load_b64 v[38:39], v5 offset:24968
	v_add_nc_u32_e64 v3, 0x180, 0
	ds_store_b64 v5, v[26:27] offset:25480
	s_wait_dscnt 0x1
	ds_store_2addr_stride64_b64 v3, v[26:27], v[38:39] offset0:48 offset1:49
.LBB69_817:                             ;   in Loop: Header=BB69_3 Depth=1
	s_or_b32 exec_lo, exec_lo, s21
	v_mov_b64_e32 v[38:39], 0
	s_wait_dscnt 0x0
	s_barrier_signal -1
	s_barrier_wait -1
	s_and_saveexec_b32 s21, s2
	s_cbranch_execz .LBB69_821
; %bb.818:                              ;   in Loop: Header=BB69_3 Depth=1
	ds_load_b64 v[38:39], v68 offset:24976
	ds_load_b64 v[40:41], v69 offset:24960
	s_wait_dscnt 0x0
	v_pk_mul_f32 v[42:43], v[40:41], v[38:39] op_sel:[1,1] op_sel_hi:[0,1]
	s_delay_alu instid0(VALU_DEP_1) | instskip(SKIP_1) | instid1(VALU_DEP_2)
	v_pk_fma_f32 v[44:45], v[40:41], v[38:39], v[42:43] op_sel_hi:[1,0,1]
	v_pk_fma_f32 v[38:39], v[40:41], v[38:39], v[42:43] neg_lo:[0,0,1] neg_hi:[0,0,1]
	v_mov_b32_e32 v39, v45
	s_delay_alu instid0(VALU_DEP_1)
	v_pk_add_f32 v[38:39], v[38:39], 0 op_sel_hi:[1,0]
	s_and_saveexec_b32 s23, s11
	s_cbranch_execz .LBB69_820
; %bb.819:                              ;   in Loop: Header=BB69_3 Depth=1
	ds_load_b64 v[40:41], v7 offset:25488
	ds_load_b64 v[42:43], v5 offset:24968
	s_wait_dscnt 0x0
	v_pk_mul_f32 v[44:45], v[42:43], v[40:41] op_sel:[1,1] op_sel_hi:[0,1]
	s_delay_alu instid0(VALU_DEP_1) | instskip(SKIP_1) | instid1(VALU_DEP_2)
	v_pk_fma_f32 v[98:99], v[42:43], v[40:41], v[44:45] op_sel_hi:[1,0,1]
	v_pk_fma_f32 v[40:41], v[42:43], v[40:41], v[44:45] neg_lo:[0,0,1] neg_hi:[0,0,1]
	v_mov_b32_e32 v41, v99
	s_delay_alu instid0(VALU_DEP_1)
	v_pk_add_f32 v[38:39], v[38:39], v[40:41]
.LBB69_820:                             ;   in Loop: Header=BB69_3 Depth=1
	s_or_b32 exec_lo, exec_lo, s23
	s_delay_alu instid0(VALU_DEP_1)
	v_pk_add_f32 v[38:39], v[38:39], 0 neg_lo:[1,1] neg_hi:[1,1]
.LBB69_821:                             ;   in Loop: Header=BB69_3 Depth=1
	s_or_b32 exec_lo, exec_lo, s21
	s_and_saveexec_b32 s21, s94
; %bb.822:                              ;   in Loop: Header=BB69_3 Depth=1
	ds_store_b64 v56, v[38:39]
; %bb.823:                              ;   in Loop: Header=BB69_3 Depth=1
	s_or_b32 exec_lo, exec_lo, s21
	s_wait_dscnt 0x0
	s_barrier_signal -1
	s_barrier_wait -1
	s_and_saveexec_b32 s21, s95
	s_cbranch_execz .LBB69_825
; %bb.824:                              ;   in Loop: Header=BB69_3 Depth=1
	ds_load_b64 v[40:41], v5 offset:26008
	ds_load_b64 v[42:43], v56
	s_wait_dscnt 0x0
	v_pk_mul_f32 v[44:45], v[42:43], v[40:41] op_sel:[1,1] op_sel_hi:[0,1]
	s_delay_alu instid0(VALU_DEP_1) | instskip(SKIP_1) | instid1(VALU_DEP_2)
	v_pk_fma_f32 v[98:99], v[42:43], v[40:41], v[44:45] op_sel_hi:[1,0,1]
	v_pk_fma_f32 v[40:41], v[42:43], v[40:41], v[44:45] neg_lo:[0,0,1] neg_hi:[0,0,1]
	v_mov_b32_e32 v41, v99
	s_delay_alu instid0(VALU_DEP_1)
	v_pk_add_f32 v[38:39], v[38:39], v[40:41]
.LBB69_825:                             ;   in Loop: Header=BB69_3 Depth=1
	s_or_b32 exec_lo, exec_lo, s21
	s_barrier_signal -1
	s_barrier_wait -1
	s_and_saveexec_b32 s21, s95
; %bb.826:                              ;   in Loop: Header=BB69_3 Depth=1
	ds_store_b64 v56, v[38:39]
; %bb.827:                              ;   in Loop: Header=BB69_3 Depth=1
	s_or_b32 exec_lo, exec_lo, s21
	s_wait_dscnt 0x0
	s_barrier_signal -1
	s_barrier_wait -1
	s_barrier_signal -1
	s_barrier_wait -1
	s_and_saveexec_b32 s21, s2
; %bb.828:                              ;   in Loop: Header=BB69_3 Depth=1
	v_pk_add_f32 v[38:39], v[38:39], 0 neg_lo:[1,1] neg_hi:[1,1]
	ds_store_b64 v68, v[38:39] offset:24976
; %bb.829:                              ;   in Loop: Header=BB69_3 Depth=1
	s_or_b32 exec_lo, exec_lo, s21
	s_wait_dscnt 0x0
	s_barrier_signal -1
	s_barrier_wait -1
	s_barrier_signal -1
	s_barrier_wait -1
	s_and_saveexec_b32 s21, s96
	s_cbranch_execz .LBB69_831
; %bb.830:                              ;   in Loop: Header=BB69_3 Depth=1
	ds_load_b64 v[38:39], v9 offset:24976
	s_wait_dscnt 0x0
	ds_store_b64 v7, v[38:39] offset:25984
	ds_load_b64 v[38:39], v9 offset:24984
	s_wait_dscnt 0x0
	ds_store_b64 v7, v[38:39] offset:26496
.LBB69_831:                             ;   in Loop: Header=BB69_3 Depth=1
	s_or_b32 exec_lo, exec_lo, s21
	s_wait_dscnt 0x0
	s_barrier_signal -1
	s_barrier_wait -1
	s_and_saveexec_b32 s21, s10
	s_cbranch_execz .LBB69_833
; %bb.832:                              ;   in Loop: Header=BB69_3 Depth=1
	ds_load_b64 v[38:39], v5 offset:26008
	v_add_nc_u32_e64 v3, 0x190, 0
	ds_store_b64 v5, v[26:27] offset:26520
	s_wait_dscnt 0x1
	ds_store_2addr_stride64_b64 v3, v[26:27], v[38:39] offset0:50 offset1:51
.LBB69_833:                             ;   in Loop: Header=BB69_3 Depth=1
	s_or_b32 exec_lo, exec_lo, s21
	v_mov_b64_e32 v[38:39], 0
	s_wait_dscnt 0x0
	s_barrier_signal -1
	s_barrier_wait -1
	s_and_saveexec_b32 s61, s4
	s_cbranch_execz .LBB69_839
; %bb.834:                              ;   in Loop: Header=BB69_3 Depth=1
	ds_load_b64 v[38:39], v72 offset:24992
	ds_load_b64 v[40:41], v55 offset:24960
	s_wait_dscnt 0x0
	v_dual_mul_f32 v3, v41, v39 :: v_dual_mul_f32 v39, v40, v39
	s_delay_alu instid0(VALU_DEP_1) | instskip(NEXT) | instid1(VALU_DEP_1)
	v_fmac_f32_e32 v39, v41, v38
	v_dual_fma_f32 v3, v40, v38, -v3 :: v_dual_add_f32 v39, 0, v39
	s_delay_alu instid0(VALU_DEP_1)
	v_add_f32_e32 v38, 0, v3
	s_and_saveexec_b32 s21, s12
	s_cbranch_execnz .LBB69_1116
; %bb.835:                              ;   in Loop: Header=BB69_3 Depth=1
	s_or_b32 exec_lo, exec_lo, s21
	s_and_saveexec_b32 s21, s13
	s_cbranch_execnz .LBB69_1117
.LBB69_836:                             ;   in Loop: Header=BB69_3 Depth=1
	s_or_b32 exec_lo, exec_lo, s21
	s_and_saveexec_b32 s21, s2
	s_cbranch_execz .LBB69_838
.LBB69_837:                             ;   in Loop: Header=BB69_3 Depth=1
	ds_load_b64 v[40:41], v47 offset:26528
	ds_load_b64 v[42:43], v5 offset:24984
	s_wait_dscnt 0x0
	v_dual_mul_f32 v3, v43, v41 :: v_dual_mul_f32 v45, v42, v41
	s_delay_alu instid0(VALU_DEP_1) | instskip(NEXT) | instid1(VALU_DEP_1)
	v_dual_fma_f32 v44, v42, v40, -v3 :: v_dual_fmac_f32 v45, v43, v40
	v_pk_add_f32 v[38:39], v[38:39], v[44:45]
.LBB69_838:                             ;   in Loop: Header=BB69_3 Depth=1
	s_or_b32 exec_lo, exec_lo, s21
	s_delay_alu instid0(VALU_DEP_1)
	v_pk_add_f32 v[38:39], v[38:39], 0 neg_lo:[1,1] neg_hi:[1,1]
.LBB69_839:                             ;   in Loop: Header=BB69_3 Depth=1
	s_or_b32 exec_lo, exec_lo, s61
	s_and_saveexec_b32 s21, s97
; %bb.840:                              ;   in Loop: Header=BB69_3 Depth=1
	ds_store_b64 v70, v[38:39]
; %bb.841:                              ;   in Loop: Header=BB69_3 Depth=1
	s_or_b32 exec_lo, exec_lo, s21
	s_wait_dscnt 0x0
	s_barrier_signal -1
	s_barrier_wait -1
	s_and_saveexec_b32 s21, s98
	s_cbranch_execz .LBB69_843
; %bb.842:                              ;   in Loop: Header=BB69_3 Depth=1
	ds_load_b64 v[40:41], v67 offset:27040
	ds_load_b64 v[42:43], v70
	s_wait_dscnt 0x0
	v_pk_mul_f32 v[44:45], v[42:43], v[40:41] op_sel:[1,1] op_sel_hi:[0,1]
	s_delay_alu instid0(VALU_DEP_1) | instskip(SKIP_1) | instid1(VALU_DEP_2)
	v_pk_fma_f32 v[98:99], v[42:43], v[40:41], v[44:45] op_sel_hi:[1,0,1]
	v_pk_fma_f32 v[40:41], v[42:43], v[40:41], v[44:45] neg_lo:[0,0,1] neg_hi:[0,0,1]
	v_mov_b32_e32 v41, v99
	s_delay_alu instid0(VALU_DEP_1)
	v_pk_add_f32 v[38:39], v[38:39], v[40:41]
.LBB69_843:                             ;   in Loop: Header=BB69_3 Depth=1
	s_or_b32 exec_lo, exec_lo, s21
	s_barrier_signal -1
	s_barrier_wait -1
	s_and_saveexec_b32 s21, s99
; %bb.844:                              ;   in Loop: Header=BB69_3 Depth=1
	ds_store_b64 v70, v[38:39]
; %bb.845:                              ;   in Loop: Header=BB69_3 Depth=1
	s_or_b32 exec_lo, exec_lo, s21
	s_wait_dscnt 0x0
	s_barrier_signal -1
	s_barrier_wait -1
	s_and_saveexec_b32 s21, s100
	s_cbranch_execz .LBB69_847
; %bb.846:                              ;   in Loop: Header=BB69_3 Depth=1
	ds_load_b64 v[40:41], v67 offset:27552
	ds_load_b64 v[42:43], v70
	s_wait_dscnt 0x0
	v_pk_mul_f32 v[44:45], v[42:43], v[40:41] op_sel:[1,1] op_sel_hi:[0,1]
	s_delay_alu instid0(VALU_DEP_1) | instskip(SKIP_1) | instid1(VALU_DEP_2)
	v_pk_fma_f32 v[98:99], v[42:43], v[40:41], v[44:45] op_sel_hi:[1,0,1]
	v_pk_fma_f32 v[40:41], v[42:43], v[40:41], v[44:45] neg_lo:[0,0,1] neg_hi:[0,0,1]
	v_mov_b32_e32 v41, v99
	s_delay_alu instid0(VALU_DEP_1)
	v_pk_add_f32 v[38:39], v[38:39], v[40:41]
.LBB69_847:                             ;   in Loop: Header=BB69_3 Depth=1
	s_or_b32 exec_lo, exec_lo, s21
	s_barrier_signal -1
	s_barrier_wait -1
	;; [unrolled: 25-line block ×3, first 2 shown]
	s_and_saveexec_b32 s21, s102
; %bb.852:                              ;   in Loop: Header=BB69_3 Depth=1
	ds_store_b64 v70, v[38:39]
; %bb.853:                              ;   in Loop: Header=BB69_3 Depth=1
	s_or_b32 exec_lo, exec_lo, s21
	s_wait_dscnt 0x0
	s_barrier_signal -1
	s_barrier_wait -1
	s_barrier_signal -1
	s_barrier_wait -1
	s_and_saveexec_b32 s21, s4
; %bb.854:                              ;   in Loop: Header=BB69_3 Depth=1
	v_pk_add_f32 v[38:39], v[38:39], 0 neg_lo:[1,1] neg_hi:[1,1]
	ds_store_b64 v72, v[38:39] offset:24992
; %bb.855:                              ;   in Loop: Header=BB69_3 Depth=1
	s_or_b32 exec_lo, exec_lo, s21
	s_wait_dscnt 0x0
	s_barrier_signal -1
	s_barrier_wait -1
	s_barrier_signal -1
	s_barrier_wait -1
	s_and_saveexec_b32 s21, s103
	s_cbranch_execz .LBB69_857
; %bb.856:                              ;   in Loop: Header=BB69_3 Depth=1
	ds_load_b64 v[38:39], v48 offset:24992
	s_wait_dscnt 0x0
	ds_store_b64 v49, v[38:39] offset:27008
	ds_load_b64 v[38:39], v48 offset:25000
	s_wait_dscnt 0x0
	ds_store_b64 v49, v[38:39] offset:27520
	;; [unrolled: 3-line block ×4, first 2 shown]
.LBB69_857:                             ;   in Loop: Header=BB69_3 Depth=1
	s_or_b32 exec_lo, exec_lo, s21
	s_wait_dscnt 0x0
	s_barrier_signal -1
	s_barrier_wait -1
	s_and_saveexec_b32 s21, s10
	s_cbranch_execz .LBB69_859
; %bb.858:                              ;   in Loop: Header=BB69_3 Depth=1
	ds_load_b64 v[38:39], v5 offset:27048
	v_add_nc_u32_e64 v3, 0x1a0, 0
	ds_store_b64 v5, v[26:27] offset:27560
	s_wait_dscnt 0x1
	ds_store_2addr_stride64_b64 v3, v[26:27], v[38:39] offset0:52 offset1:53
.LBB69_859:                             ;   in Loop: Header=BB69_3 Depth=1
	s_or_b32 exec_lo, exec_lo, s21
	v_mov_b64_e32 v[38:39], 0
	s_wait_dscnt 0x0
	s_barrier_signal -1
	s_barrier_wait -1
	s_and_saveexec_b32 s21, s2
	s_cbranch_execz .LBB69_863
; %bb.860:                              ;   in Loop: Header=BB69_3 Depth=1
	ds_load_b64 v[38:39], v68 offset:27056
	ds_load_b64 v[40:41], v69 offset:27040
	s_wait_dscnt 0x0
	v_pk_mul_f32 v[42:43], v[40:41], v[38:39] op_sel:[1,1] op_sel_hi:[0,1]
	s_delay_alu instid0(VALU_DEP_1) | instskip(SKIP_1) | instid1(VALU_DEP_2)
	v_pk_fma_f32 v[44:45], v[40:41], v[38:39], v[42:43] op_sel_hi:[1,0,1]
	v_pk_fma_f32 v[38:39], v[40:41], v[38:39], v[42:43] neg_lo:[0,0,1] neg_hi:[0,0,1]
	v_mov_b32_e32 v39, v45
	s_delay_alu instid0(VALU_DEP_1)
	v_pk_add_f32 v[38:39], v[38:39], 0 op_sel_hi:[1,0]
	s_and_saveexec_b32 s23, s11
	s_cbranch_execz .LBB69_862
; %bb.861:                              ;   in Loop: Header=BB69_3 Depth=1
	ds_load_b64 v[40:41], v49 offset:27568
	ds_load_b64 v[42:43], v5 offset:27048
	s_wait_dscnt 0x0
	v_pk_mul_f32 v[44:45], v[42:43], v[40:41] op_sel:[1,1] op_sel_hi:[0,1]
	s_delay_alu instid0(VALU_DEP_1) | instskip(SKIP_1) | instid1(VALU_DEP_2)
	v_pk_fma_f32 v[98:99], v[42:43], v[40:41], v[44:45] op_sel_hi:[1,0,1]
	v_pk_fma_f32 v[40:41], v[42:43], v[40:41], v[44:45] neg_lo:[0,0,1] neg_hi:[0,0,1]
	v_mov_b32_e32 v41, v99
	s_delay_alu instid0(VALU_DEP_1)
	v_pk_add_f32 v[38:39], v[38:39], v[40:41]
.LBB69_862:                             ;   in Loop: Header=BB69_3 Depth=1
	s_or_b32 exec_lo, exec_lo, s23
	s_delay_alu instid0(VALU_DEP_1)
	v_pk_add_f32 v[38:39], v[38:39], 0 neg_lo:[1,1] neg_hi:[1,1]
.LBB69_863:                             ;   in Loop: Header=BB69_3 Depth=1
	s_or_b32 exec_lo, exec_lo, s21
	s_and_saveexec_b32 s21, s94
; %bb.864:                              ;   in Loop: Header=BB69_3 Depth=1
	ds_store_b64 v56, v[38:39]
; %bb.865:                              ;   in Loop: Header=BB69_3 Depth=1
	s_or_b32 exec_lo, exec_lo, s21
	s_wait_dscnt 0x0
	s_barrier_signal -1
	s_barrier_wait -1
	s_and_saveexec_b32 s21, s95
	s_cbranch_execz .LBB69_867
; %bb.866:                              ;   in Loop: Header=BB69_3 Depth=1
	ds_load_b64 v[40:41], v5 offset:28088
	ds_load_b64 v[42:43], v56
	s_wait_dscnt 0x0
	v_pk_mul_f32 v[44:45], v[42:43], v[40:41] op_sel:[1,1] op_sel_hi:[0,1]
	s_delay_alu instid0(VALU_DEP_1) | instskip(SKIP_1) | instid1(VALU_DEP_2)
	v_pk_fma_f32 v[98:99], v[42:43], v[40:41], v[44:45] op_sel_hi:[1,0,1]
	v_pk_fma_f32 v[40:41], v[42:43], v[40:41], v[44:45] neg_lo:[0,0,1] neg_hi:[0,0,1]
	v_mov_b32_e32 v41, v99
	s_delay_alu instid0(VALU_DEP_1)
	v_pk_add_f32 v[38:39], v[38:39], v[40:41]
.LBB69_867:                             ;   in Loop: Header=BB69_3 Depth=1
	s_or_b32 exec_lo, exec_lo, s21
	s_barrier_signal -1
	s_barrier_wait -1
	s_and_saveexec_b32 s21, s95
; %bb.868:                              ;   in Loop: Header=BB69_3 Depth=1
	ds_store_b64 v56, v[38:39]
; %bb.869:                              ;   in Loop: Header=BB69_3 Depth=1
	s_or_b32 exec_lo, exec_lo, s21
	s_wait_dscnt 0x0
	s_barrier_signal -1
	s_barrier_wait -1
	s_barrier_signal -1
	s_barrier_wait -1
	s_and_saveexec_b32 s21, s2
; %bb.870:                              ;   in Loop: Header=BB69_3 Depth=1
	v_pk_add_f32 v[38:39], v[38:39], 0 neg_lo:[1,1] neg_hi:[1,1]
	ds_store_b64 v68, v[38:39] offset:27056
; %bb.871:                              ;   in Loop: Header=BB69_3 Depth=1
	s_or_b32 exec_lo, exec_lo, s21
	s_wait_dscnt 0x0
	s_barrier_signal -1
	s_barrier_wait -1
	s_barrier_signal -1
	s_barrier_wait -1
	s_and_saveexec_b32 s21, s96
	s_cbranch_execz .LBB69_873
; %bb.872:                              ;   in Loop: Header=BB69_3 Depth=1
	ds_load_b64 v[38:39], v50 offset:27056
	s_wait_dscnt 0x0
	ds_store_b64 v49, v[38:39] offset:28064
	ds_load_b64 v[38:39], v50 offset:27064
	s_wait_dscnt 0x0
	ds_store_b64 v49, v[38:39] offset:28576
.LBB69_873:                             ;   in Loop: Header=BB69_3 Depth=1
	s_or_b32 exec_lo, exec_lo, s21
	s_wait_dscnt 0x0
	s_barrier_signal -1
	s_barrier_wait -1
	s_and_saveexec_b32 s21, s10
	s_cbranch_execz .LBB69_875
; %bb.874:                              ;   in Loop: Header=BB69_3 Depth=1
	ds_load_b64 v[38:39], v5 offset:28088
	v_add_nc_u32_e64 v3, 0x1b0, 0
	ds_store_b64 v5, v[26:27] offset:28600
	s_wait_dscnt 0x1
	ds_store_2addr_stride64_b64 v3, v[26:27], v[38:39] offset0:54 offset1:55
.LBB69_875:                             ;   in Loop: Header=BB69_3 Depth=1
	s_or_b32 exec_lo, exec_lo, s21
	v_mov_b64_e32 v[38:39], 0
	s_wait_dscnt 0x0
	s_barrier_signal -1
	s_barrier_wait -1
	s_and_saveexec_b32 s61, s5
	s_cbranch_execz .LBB69_885
; %bb.876:                              ;   in Loop: Header=BB69_3 Depth=1
	ds_load_b64 v[38:39], v76 offset:25024
	ds_load_b64 v[40:41], v59 offset:24960
	s_wait_dscnt 0x0
	v_dual_mul_f32 v3, v41, v39 :: v_dual_mul_f32 v39, v40, v39
	s_delay_alu instid0(VALU_DEP_1) | instskip(NEXT) | instid1(VALU_DEP_1)
	v_fmac_f32_e32 v39, v41, v38
	v_dual_fma_f32 v3, v40, v38, -v3 :: v_dual_add_f32 v39, 0, v39
	s_delay_alu instid0(VALU_DEP_1)
	v_add_f32_e32 v38, 0, v3
	s_and_saveexec_b32 s21, s14
	s_cbranch_execnz .LBB69_1118
; %bb.877:                              ;   in Loop: Header=BB69_3 Depth=1
	s_or_b32 exec_lo, exec_lo, s21
	s_and_saveexec_b32 s21, s15
	s_cbranch_execnz .LBB69_1119
.LBB69_878:                             ;   in Loop: Header=BB69_3 Depth=1
	s_or_b32 exec_lo, exec_lo, s21
	s_and_saveexec_b32 s21, s16
	s_cbranch_execnz .LBB69_1120
.LBB69_879:                             ;   in Loop: Header=BB69_3 Depth=1
	s_or_b32 exec_lo, exec_lo, s21
	s_and_saveexec_b32 s21, s17
	s_cbranch_execnz .LBB69_1121
.LBB69_880:                             ;   in Loop: Header=BB69_3 Depth=1
	s_or_b32 exec_lo, exec_lo, s21
	s_and_saveexec_b32 s21, s18
	s_cbranch_execnz .LBB69_1122
.LBB69_881:                             ;   in Loop: Header=BB69_3 Depth=1
	s_or_b32 exec_lo, exec_lo, s21
	s_and_saveexec_b32 s21, s4
	s_cbranch_execnz .LBB69_1123
.LBB69_882:                             ;   in Loop: Header=BB69_3 Depth=1
	s_or_b32 exec_lo, exec_lo, s21
	s_and_saveexec_b32 s21, s13
	s_cbranch_execz .LBB69_884
.LBB69_883:                             ;   in Loop: Header=BB69_3 Depth=1
	ds_load_b64 v[40:41], v7 offset:28608
	ds_load_b64 v[42:43], v5 offset:25016
	s_wait_dscnt 0x0
	v_pk_mul_f32 v[44:45], v[42:43], v[40:41] op_sel:[1,1] op_sel_hi:[0,1]
	s_delay_alu instid0(VALU_DEP_1) | instskip(SKIP_1) | instid1(VALU_DEP_2)
	v_pk_fma_f32 v[98:99], v[42:43], v[40:41], v[44:45] op_sel_hi:[1,0,1]
	v_pk_fma_f32 v[40:41], v[42:43], v[40:41], v[44:45] neg_lo:[0,0,1] neg_hi:[0,0,1]
	v_mov_b32_e32 v41, v99
	s_delay_alu instid0(VALU_DEP_1)
	v_pk_add_f32 v[38:39], v[38:39], v[40:41]
.LBB69_884:                             ;   in Loop: Header=BB69_3 Depth=1
	s_or_b32 exec_lo, exec_lo, s21
	s_delay_alu instid0(VALU_DEP_1)
	v_pk_add_f32 v[38:39], v[38:39], 0 neg_lo:[1,1] neg_hi:[1,1]
.LBB69_885:                             ;   in Loop: Header=BB69_3 Depth=1
	s_or_b32 exec_lo, exec_lo, s61
	s_and_saveexec_b32 s21, s104
; %bb.886:                              ;   in Loop: Header=BB69_3 Depth=1
	ds_store_b64 v75, v[38:39]
; %bb.887:                              ;   in Loop: Header=BB69_3 Depth=1
	s_or_b32 exec_lo, exec_lo, s21
	s_wait_dscnt 0x0
	s_barrier_signal -1
	s_barrier_wait -1
	s_and_saveexec_b32 s21, vcc_hi
	s_cbranch_execz .LBB69_889
; %bb.888:                              ;   in Loop: Header=BB69_3 Depth=1
	ds_load_b64 v[40:41], v71 offset:29120
	ds_load_b64 v[42:43], v75
	s_wait_dscnt 0x0
	v_pk_mul_f32 v[44:45], v[42:43], v[40:41] op_sel:[1,1] op_sel_hi:[0,1]
	s_delay_alu instid0(VALU_DEP_1) | instskip(SKIP_1) | instid1(VALU_DEP_2)
	v_pk_fma_f32 v[98:99], v[42:43], v[40:41], v[44:45] op_sel_hi:[1,0,1]
	v_pk_fma_f32 v[40:41], v[42:43], v[40:41], v[44:45] neg_lo:[0,0,1] neg_hi:[0,0,1]
	v_mov_b32_e32 v41, v99
	s_delay_alu instid0(VALU_DEP_1)
	v_pk_add_f32 v[38:39], v[38:39], v[40:41]
.LBB69_889:                             ;   in Loop: Header=BB69_3 Depth=1
	s_or_b32 exec_lo, exec_lo, s21
	s_barrier_signal -1
	s_barrier_wait -1
	s_and_saveexec_b32 s21, s38
; %bb.890:                              ;   in Loop: Header=BB69_3 Depth=1
	ds_store_b64 v75, v[38:39]
; %bb.891:                              ;   in Loop: Header=BB69_3 Depth=1
	s_or_b32 exec_lo, exec_lo, s21
	s_wait_dscnt 0x0
	s_barrier_signal -1
	s_barrier_wait -1
	s_and_saveexec_b32 s21, s39
	s_cbranch_execz .LBB69_893
; %bb.892:                              ;   in Loop: Header=BB69_3 Depth=1
	ds_load_b64 v[40:41], v71 offset:29632
	ds_load_b64 v[42:43], v75
	s_wait_dscnt 0x0
	v_dual_mul_f32 v3, v43, v41 :: v_dual_mul_f32 v41, v42, v41
	s_delay_alu instid0(VALU_DEP_1) | instskip(NEXT) | instid1(VALU_DEP_1)
	v_dual_fma_f32 v3, v42, v40, -v3 :: v_dual_fmac_f32 v41, v43, v40
	v_dual_add_f32 v38, v38, v3 :: v_dual_add_f32 v39, v39, v41
.LBB69_893:                             ;   in Loop: Header=BB69_3 Depth=1
	s_or_b32 exec_lo, exec_lo, s21
	s_barrier_signal -1
	s_barrier_wait -1
	s_and_saveexec_b32 s21, s40
; %bb.894:                              ;   in Loop: Header=BB69_3 Depth=1
	ds_store_b64 v75, v[38:39]
; %bb.895:                              ;   in Loop: Header=BB69_3 Depth=1
	s_or_b32 exec_lo, exec_lo, s21
	s_wait_dscnt 0x0
	s_barrier_signal -1
	s_barrier_wait -1
	s_and_saveexec_b32 s21, s41
	s_cbranch_execz .LBB69_897
; %bb.896:                              ;   in Loop: Header=BB69_3 Depth=1
	ds_load_b64 v[40:41], v71 offset:30144
	ds_load_b64 v[42:43], v75
	s_wait_dscnt 0x0
	v_dual_mul_f32 v3, v43, v41 :: v_dual_mul_f32 v45, v42, v41
	s_delay_alu instid0(VALU_DEP_1) | instskip(NEXT) | instid1(VALU_DEP_1)
	v_dual_fma_f32 v44, v42, v40, -v3 :: v_dual_fmac_f32 v45, v43, v40
	v_pk_add_f32 v[38:39], v[38:39], v[44:45]
.LBB69_897:                             ;   in Loop: Header=BB69_3 Depth=1
	s_or_b32 exec_lo, exec_lo, s21
	s_barrier_signal -1
	s_barrier_wait -1
	s_and_saveexec_b32 s21, s42
; %bb.898:                              ;   in Loop: Header=BB69_3 Depth=1
	ds_store_b64 v75, v[38:39]
; %bb.899:                              ;   in Loop: Header=BB69_3 Depth=1
	s_or_b32 exec_lo, exec_lo, s21
	s_wait_dscnt 0x0
	s_barrier_signal -1
	s_barrier_wait -1
	s_and_saveexec_b32 s21, s43
	s_cbranch_execz .LBB69_901
; %bb.900:                              ;   in Loop: Header=BB69_3 Depth=1
	ds_load_b64 v[40:41], v71 offset:30656
	ds_load_b64 v[42:43], v75
	s_wait_dscnt 0x0
	v_pk_mul_f32 v[44:45], v[42:43], v[40:41] op_sel:[1,1] op_sel_hi:[0,1]
	s_delay_alu instid0(VALU_DEP_1) | instskip(SKIP_1) | instid1(VALU_DEP_2)
	v_pk_fma_f32 v[98:99], v[42:43], v[40:41], v[44:45] op_sel_hi:[1,0,1]
	v_pk_fma_f32 v[40:41], v[42:43], v[40:41], v[44:45] neg_lo:[0,0,1] neg_hi:[0,0,1]
	v_mov_b32_e32 v41, v99
	s_delay_alu instid0(VALU_DEP_1)
	v_pk_add_f32 v[38:39], v[38:39], v[40:41]
.LBB69_901:                             ;   in Loop: Header=BB69_3 Depth=1
	s_or_b32 exec_lo, exec_lo, s21
	s_barrier_signal -1
	s_barrier_wait -1
	s_and_saveexec_b32 s21, s44
; %bb.902:                              ;   in Loop: Header=BB69_3 Depth=1
	ds_store_b64 v75, v[38:39]
; %bb.903:                              ;   in Loop: Header=BB69_3 Depth=1
	s_or_b32 exec_lo, exec_lo, s21
	s_wait_dscnt 0x0
	s_barrier_signal -1
	s_barrier_wait -1
	s_and_saveexec_b32 s21, s45
	s_cbranch_execz .LBB69_905
; %bb.904:                              ;   in Loop: Header=BB69_3 Depth=1
	ds_load_b64 v[40:41], v71 offset:31168
	ds_load_b64 v[42:43], v75
	s_wait_dscnt 0x0
	v_pk_mul_f32 v[44:45], v[42:43], v[40:41] op_sel:[1,1] op_sel_hi:[0,1]
	s_delay_alu instid0(VALU_DEP_1) | instskip(SKIP_1) | instid1(VALU_DEP_2)
	v_pk_fma_f32 v[98:99], v[42:43], v[40:41], v[44:45] op_sel_hi:[1,0,1]
	v_pk_fma_f32 v[40:41], v[42:43], v[40:41], v[44:45] neg_lo:[0,0,1] neg_hi:[0,0,1]
	v_mov_b32_e32 v41, v99
	s_delay_alu instid0(VALU_DEP_1)
	v_pk_add_f32 v[38:39], v[38:39], v[40:41]
.LBB69_905:                             ;   in Loop: Header=BB69_3 Depth=1
	;; [unrolled: 25-line block ×4, first 2 shown]
	s_or_b32 exec_lo, exec_lo, s21
	s_barrier_signal -1
	s_barrier_wait -1
	s_and_saveexec_b32 s21, s49
; %bb.914:                              ;   in Loop: Header=BB69_3 Depth=1
	ds_store_b64 v75, v[38:39]
; %bb.915:                              ;   in Loop: Header=BB69_3 Depth=1
	s_or_b32 exec_lo, exec_lo, s21
	s_wait_dscnt 0x0
	s_barrier_signal -1
	s_barrier_wait -1
	s_barrier_signal -1
	s_barrier_wait -1
	s_and_saveexec_b32 s21, s5
; %bb.916:                              ;   in Loop: Header=BB69_3 Depth=1
	v_pk_add_f32 v[38:39], v[38:39], 0 neg_lo:[1,1] neg_hi:[1,1]
	ds_store_b64 v76, v[38:39] offset:25024
; %bb.917:                              ;   in Loop: Header=BB69_3 Depth=1
	s_or_b32 exec_lo, exec_lo, s21
	s_wait_dscnt 0x0
	s_barrier_signal -1
	s_barrier_wait -1
	s_barrier_signal -1
	s_barrier_wait -1
	s_and_saveexec_b32 s21, s50
	s_cbranch_execz .LBB69_919
; %bb.918:                              ;   in Loop: Header=BB69_3 Depth=1
	ds_load_b64 v[38:39], v9 offset:25024
	s_wait_dscnt 0x0
	ds_store_b64 v47, v[38:39] offset:29056
	ds_load_b64 v[38:39], v9 offset:25032
	s_wait_dscnt 0x0
	ds_store_b64 v47, v[38:39] offset:29568
	;; [unrolled: 3-line block ×8, first 2 shown]
.LBB69_919:                             ;   in Loop: Header=BB69_3 Depth=1
	s_or_b32 exec_lo, exec_lo, s21
	s_wait_dscnt 0x0
	s_barrier_signal -1
	s_barrier_wait -1
	s_and_saveexec_b32 s21, s10
	s_cbranch_execz .LBB69_921
; %bb.920:                              ;   in Loop: Header=BB69_3 Depth=1
	ds_load_b64 v[38:39], v5 offset:29128
	v_add_nc_u32_e64 v3, 0x1c0, 0
	ds_store_b64 v5, v[26:27] offset:29640
	s_wait_dscnt 0x1
	ds_store_2addr_stride64_b64 v3, v[26:27], v[38:39] offset0:56 offset1:57
.LBB69_921:                             ;   in Loop: Header=BB69_3 Depth=1
	s_or_b32 exec_lo, exec_lo, s21
	v_mov_b64_e32 v[38:39], 0
	s_wait_dscnt 0x0
	s_barrier_signal -1
	s_barrier_wait -1
	s_and_saveexec_b32 s21, s2
	s_cbranch_execz .LBB69_925
; %bb.922:                              ;   in Loop: Header=BB69_3 Depth=1
	ds_load_b64 v[38:39], v68 offset:29136
	ds_load_b64 v[40:41], v69 offset:29120
	s_wait_dscnt 0x0
	v_pk_mul_f32 v[42:43], v[40:41], v[38:39] op_sel:[1,1] op_sel_hi:[0,1]
	s_delay_alu instid0(VALU_DEP_1) | instskip(SKIP_1) | instid1(VALU_DEP_2)
	v_pk_fma_f32 v[44:45], v[40:41], v[38:39], v[42:43] op_sel_hi:[1,0,1]
	v_pk_fma_f32 v[38:39], v[40:41], v[38:39], v[42:43] neg_lo:[0,0,1] neg_hi:[0,0,1]
	v_mov_b32_e32 v39, v45
	s_delay_alu instid0(VALU_DEP_1)
	v_pk_add_f32 v[38:39], v[38:39], 0 op_sel_hi:[1,0]
	s_and_saveexec_b32 s23, s11
	s_cbranch_execz .LBB69_924
; %bb.923:                              ;   in Loop: Header=BB69_3 Depth=1
	ds_load_b64 v[40:41], v47 offset:29648
	ds_load_b64 v[42:43], v5 offset:29128
	s_wait_dscnt 0x0
	v_pk_mul_f32 v[44:45], v[42:43], v[40:41] op_sel:[1,1] op_sel_hi:[0,1]
	s_delay_alu instid0(VALU_DEP_1) | instskip(SKIP_1) | instid1(VALU_DEP_2)
	v_pk_fma_f32 v[98:99], v[42:43], v[40:41], v[44:45] op_sel_hi:[1,0,1]
	v_pk_fma_f32 v[40:41], v[42:43], v[40:41], v[44:45] neg_lo:[0,0,1] neg_hi:[0,0,1]
	v_mov_b32_e32 v41, v99
	s_delay_alu instid0(VALU_DEP_1)
	v_pk_add_f32 v[38:39], v[38:39], v[40:41]
.LBB69_924:                             ;   in Loop: Header=BB69_3 Depth=1
	s_or_b32 exec_lo, exec_lo, s23
	s_delay_alu instid0(VALU_DEP_1)
	v_pk_add_f32 v[38:39], v[38:39], 0 neg_lo:[1,1] neg_hi:[1,1]
.LBB69_925:                             ;   in Loop: Header=BB69_3 Depth=1
	s_or_b32 exec_lo, exec_lo, s21
	s_and_saveexec_b32 s21, s94
; %bb.926:                              ;   in Loop: Header=BB69_3 Depth=1
	ds_store_b64 v56, v[38:39]
; %bb.927:                              ;   in Loop: Header=BB69_3 Depth=1
	s_or_b32 exec_lo, exec_lo, s21
	s_wait_dscnt 0x0
	s_barrier_signal -1
	s_barrier_wait -1
	s_and_saveexec_b32 s21, s95
	s_cbranch_execz .LBB69_929
; %bb.928:                              ;   in Loop: Header=BB69_3 Depth=1
	ds_load_b64 v[40:41], v5 offset:30168
	ds_load_b64 v[42:43], v56
	s_wait_dscnt 0x0
	v_pk_mul_f32 v[44:45], v[42:43], v[40:41] op_sel:[1,1] op_sel_hi:[0,1]
	s_delay_alu instid0(VALU_DEP_1) | instskip(SKIP_1) | instid1(VALU_DEP_2)
	v_pk_fma_f32 v[98:99], v[42:43], v[40:41], v[44:45] op_sel_hi:[1,0,1]
	v_pk_fma_f32 v[40:41], v[42:43], v[40:41], v[44:45] neg_lo:[0,0,1] neg_hi:[0,0,1]
	v_mov_b32_e32 v41, v99
	s_delay_alu instid0(VALU_DEP_1)
	v_pk_add_f32 v[38:39], v[38:39], v[40:41]
.LBB69_929:                             ;   in Loop: Header=BB69_3 Depth=1
	s_or_b32 exec_lo, exec_lo, s21
	s_barrier_signal -1
	s_barrier_wait -1
	s_and_saveexec_b32 s21, s95
; %bb.930:                              ;   in Loop: Header=BB69_3 Depth=1
	ds_store_b64 v56, v[38:39]
; %bb.931:                              ;   in Loop: Header=BB69_3 Depth=1
	s_or_b32 exec_lo, exec_lo, s21
	s_wait_dscnt 0x0
	s_barrier_signal -1
	s_barrier_wait -1
	s_barrier_signal -1
	s_barrier_wait -1
	s_and_saveexec_b32 s21, s2
; %bb.932:                              ;   in Loop: Header=BB69_3 Depth=1
	v_pk_add_f32 v[38:39], v[38:39], 0 neg_lo:[1,1] neg_hi:[1,1]
	ds_store_b64 v68, v[38:39] offset:29136
; %bb.933:                              ;   in Loop: Header=BB69_3 Depth=1
	s_or_b32 exec_lo, exec_lo, s21
	s_wait_dscnt 0x0
	s_barrier_signal -1
	s_barrier_wait -1
	s_barrier_signal -1
	s_barrier_wait -1
	s_and_saveexec_b32 s21, s96
	s_cbranch_execz .LBB69_935
; %bb.934:                              ;   in Loop: Header=BB69_3 Depth=1
	ds_load_b64 v[38:39], v48 offset:29136
	s_wait_dscnt 0x0
	ds_store_b64 v47, v[38:39] offset:30144
	ds_load_b64 v[38:39], v48 offset:29144
	s_wait_dscnt 0x0
	ds_store_b64 v47, v[38:39] offset:30656
.LBB69_935:                             ;   in Loop: Header=BB69_3 Depth=1
	s_or_b32 exec_lo, exec_lo, s21
	s_wait_dscnt 0x0
	s_barrier_signal -1
	s_barrier_wait -1
	s_and_saveexec_b32 s21, s10
	s_cbranch_execz .LBB69_937
; %bb.936:                              ;   in Loop: Header=BB69_3 Depth=1
	ds_load_b64 v[38:39], v5 offset:30168
	v_add_nc_u32_e64 v3, 0x1d0, 0
	ds_store_b64 v5, v[26:27] offset:30680
	s_wait_dscnt 0x1
	ds_store_2addr_stride64_b64 v3, v[26:27], v[38:39] offset0:58 offset1:59
.LBB69_937:                             ;   in Loop: Header=BB69_3 Depth=1
	s_or_b32 exec_lo, exec_lo, s21
	v_mov_b64_e32 v[38:39], 0
	s_wait_dscnt 0x0
	s_barrier_signal -1
	s_barrier_wait -1
	s_and_saveexec_b32 s61, s4
	s_cbranch_execz .LBB69_943
; %bb.938:                              ;   in Loop: Header=BB69_3 Depth=1
	ds_load_b64 v[38:39], v72 offset:29152
	ds_load_b64 v[40:41], v55 offset:29120
	s_wait_dscnt 0x0
	v_dual_mul_f32 v3, v41, v39 :: v_dual_mul_f32 v39, v40, v39
	s_delay_alu instid0(VALU_DEP_1) | instskip(NEXT) | instid1(VALU_DEP_1)
	v_fmac_f32_e32 v39, v41, v38
	v_dual_fma_f32 v3, v40, v38, -v3 :: v_dual_add_f32 v39, 0, v39
	s_delay_alu instid0(VALU_DEP_1)
	v_add_f32_e32 v38, 0, v3
	s_and_saveexec_b32 s21, s12
	s_cbranch_execnz .LBB69_1124
; %bb.939:                              ;   in Loop: Header=BB69_3 Depth=1
	s_or_b32 exec_lo, exec_lo, s21
	s_and_saveexec_b32 s21, s13
	s_cbranch_execnz .LBB69_1125
.LBB69_940:                             ;   in Loop: Header=BB69_3 Depth=1
	s_or_b32 exec_lo, exec_lo, s21
	s_and_saveexec_b32 s21, s2
	s_cbranch_execz .LBB69_942
.LBB69_941:                             ;   in Loop: Header=BB69_3 Depth=1
	ds_load_b64 v[40:41], v49 offset:30688
	ds_load_b64 v[42:43], v5 offset:29144
	s_wait_dscnt 0x0
	v_dual_mul_f32 v3, v43, v41 :: v_dual_mul_f32 v45, v42, v41
	s_delay_alu instid0(VALU_DEP_1) | instskip(NEXT) | instid1(VALU_DEP_1)
	v_dual_fma_f32 v44, v42, v40, -v3 :: v_dual_fmac_f32 v45, v43, v40
	v_pk_add_f32 v[38:39], v[38:39], v[44:45]
.LBB69_942:                             ;   in Loop: Header=BB69_3 Depth=1
	s_or_b32 exec_lo, exec_lo, s21
	s_delay_alu instid0(VALU_DEP_1)
	v_pk_add_f32 v[38:39], v[38:39], 0 neg_lo:[1,1] neg_hi:[1,1]
.LBB69_943:                             ;   in Loop: Header=BB69_3 Depth=1
	s_or_b32 exec_lo, exec_lo, s61
	s_and_saveexec_b32 s21, s97
; %bb.944:                              ;   in Loop: Header=BB69_3 Depth=1
	ds_store_b64 v70, v[38:39]
; %bb.945:                              ;   in Loop: Header=BB69_3 Depth=1
	s_or_b32 exec_lo, exec_lo, s21
	s_wait_dscnt 0x0
	s_barrier_signal -1
	s_barrier_wait -1
	s_and_saveexec_b32 s21, s98
	s_cbranch_execz .LBB69_947
; %bb.946:                              ;   in Loop: Header=BB69_3 Depth=1
	ds_load_b64 v[40:41], v67 offset:31200
	ds_load_b64 v[42:43], v70
	s_wait_dscnt 0x0
	v_pk_mul_f32 v[44:45], v[42:43], v[40:41] op_sel:[1,1] op_sel_hi:[0,1]
	s_delay_alu instid0(VALU_DEP_1) | instskip(SKIP_1) | instid1(VALU_DEP_2)
	v_pk_fma_f32 v[98:99], v[42:43], v[40:41], v[44:45] op_sel_hi:[1,0,1]
	v_pk_fma_f32 v[40:41], v[42:43], v[40:41], v[44:45] neg_lo:[0,0,1] neg_hi:[0,0,1]
	v_mov_b32_e32 v41, v99
	s_delay_alu instid0(VALU_DEP_1)
	v_pk_add_f32 v[38:39], v[38:39], v[40:41]
.LBB69_947:                             ;   in Loop: Header=BB69_3 Depth=1
	s_or_b32 exec_lo, exec_lo, s21
	s_barrier_signal -1
	s_barrier_wait -1
	s_and_saveexec_b32 s21, s99
; %bb.948:                              ;   in Loop: Header=BB69_3 Depth=1
	ds_store_b64 v70, v[38:39]
; %bb.949:                              ;   in Loop: Header=BB69_3 Depth=1
	s_or_b32 exec_lo, exec_lo, s21
	s_wait_dscnt 0x0
	s_barrier_signal -1
	s_barrier_wait -1
	s_and_saveexec_b32 s21, s100
	s_cbranch_execz .LBB69_951
; %bb.950:                              ;   in Loop: Header=BB69_3 Depth=1
	ds_load_b64 v[40:41], v67 offset:31712
	ds_load_b64 v[42:43], v70
	s_wait_dscnt 0x0
	v_pk_mul_f32 v[44:45], v[42:43], v[40:41] op_sel:[1,1] op_sel_hi:[0,1]
	s_delay_alu instid0(VALU_DEP_1) | instskip(SKIP_1) | instid1(VALU_DEP_2)
	v_pk_fma_f32 v[98:99], v[42:43], v[40:41], v[44:45] op_sel_hi:[1,0,1]
	v_pk_fma_f32 v[40:41], v[42:43], v[40:41], v[44:45] neg_lo:[0,0,1] neg_hi:[0,0,1]
	v_mov_b32_e32 v41, v99
	s_delay_alu instid0(VALU_DEP_1)
	v_pk_add_f32 v[38:39], v[38:39], v[40:41]
.LBB69_951:                             ;   in Loop: Header=BB69_3 Depth=1
	s_or_b32 exec_lo, exec_lo, s21
	s_barrier_signal -1
	s_barrier_wait -1
	s_and_saveexec_b32 s21, s101
; %bb.952:                              ;   in Loop: Header=BB69_3 Depth=1
	ds_store_b64 v70, v[38:39]
; %bb.953:                              ;   in Loop: Header=BB69_3 Depth=1
	s_or_b32 exec_lo, exec_lo, s21
	s_wait_dscnt 0x0
	s_barrier_signal -1
	s_barrier_wait -1
	s_and_saveexec_b32 s21, s102
	s_cbranch_execz .LBB69_955
; %bb.954:                              ;   in Loop: Header=BB69_3 Depth=1
	ds_load_b64 v[40:41], v5 offset:32248
	ds_load_b64 v[42:43], v70
	s_wait_dscnt 0x0
	v_pk_mul_f32 v[44:45], v[42:43], v[40:41] op_sel:[1,1] op_sel_hi:[0,1]
	s_delay_alu instid0(VALU_DEP_1) | instskip(SKIP_1) | instid1(VALU_DEP_2)
	v_pk_fma_f32 v[98:99], v[42:43], v[40:41], v[44:45] op_sel_hi:[1,0,1]
	v_pk_fma_f32 v[40:41], v[42:43], v[40:41], v[44:45] neg_lo:[0,0,1] neg_hi:[0,0,1]
	v_mov_b32_e32 v41, v99
	s_delay_alu instid0(VALU_DEP_1)
	v_pk_add_f32 v[38:39], v[38:39], v[40:41]
.LBB69_955:                             ;   in Loop: Header=BB69_3 Depth=1
	s_or_b32 exec_lo, exec_lo, s21
	s_barrier_signal -1
	s_barrier_wait -1
	s_and_saveexec_b32 s21, s102
; %bb.956:                              ;   in Loop: Header=BB69_3 Depth=1
	ds_store_b64 v70, v[38:39]
; %bb.957:                              ;   in Loop: Header=BB69_3 Depth=1
	s_or_b32 exec_lo, exec_lo, s21
	s_wait_dscnt 0x0
	s_barrier_signal -1
	s_barrier_wait -1
	s_barrier_signal -1
	s_barrier_wait -1
	s_and_saveexec_b32 s21, s4
; %bb.958:                              ;   in Loop: Header=BB69_3 Depth=1
	v_pk_add_f32 v[38:39], v[38:39], 0 neg_lo:[1,1] neg_hi:[1,1]
	ds_store_b64 v72, v[38:39] offset:29152
; %bb.959:                              ;   in Loop: Header=BB69_3 Depth=1
	s_or_b32 exec_lo, exec_lo, s21
	s_wait_dscnt 0x0
	s_barrier_signal -1
	s_barrier_wait -1
	s_barrier_signal -1
	s_barrier_wait -1
	s_and_saveexec_b32 s21, s103
	s_cbranch_execz .LBB69_961
; %bb.960:                              ;   in Loop: Header=BB69_3 Depth=1
	ds_load_b64 v[38:39], v50 offset:29152
	s_wait_dscnt 0x0
	ds_store_b64 v51, v[38:39] offset:31168
	ds_load_b64 v[38:39], v50 offset:29160
	s_wait_dscnt 0x0
	ds_store_b64 v51, v[38:39] offset:31680
	;; [unrolled: 3-line block ×4, first 2 shown]
.LBB69_961:                             ;   in Loop: Header=BB69_3 Depth=1
	s_or_b32 exec_lo, exec_lo, s21
	s_wait_dscnt 0x0
	s_barrier_signal -1
	s_barrier_wait -1
	s_and_saveexec_b32 s21, s10
	s_cbranch_execz .LBB69_963
; %bb.962:                              ;   in Loop: Header=BB69_3 Depth=1
	ds_load_b64 v[38:39], v5 offset:31208
	v_add_nc_u32_e64 v3, 0x1e0, 0
	ds_store_b64 v5, v[26:27] offset:31720
	s_wait_dscnt 0x1
	ds_store_2addr_stride64_b64 v3, v[26:27], v[38:39] offset0:60 offset1:61
.LBB69_963:                             ;   in Loop: Header=BB69_3 Depth=1
	s_or_b32 exec_lo, exec_lo, s21
	v_mov_b64_e32 v[38:39], 0
	s_wait_dscnt 0x0
	s_barrier_signal -1
	s_barrier_wait -1
	s_and_saveexec_b32 s21, s2
	s_cbranch_execz .LBB69_967
; %bb.964:                              ;   in Loop: Header=BB69_3 Depth=1
	ds_load_b64 v[38:39], v68 offset:31216
	ds_load_b64 v[40:41], v69 offset:31200
	s_wait_dscnt 0x0
	v_pk_mul_f32 v[42:43], v[40:41], v[38:39] op_sel:[1,1] op_sel_hi:[0,1]
	s_delay_alu instid0(VALU_DEP_1) | instskip(SKIP_1) | instid1(VALU_DEP_2)
	v_pk_fma_f32 v[44:45], v[40:41], v[38:39], v[42:43] op_sel_hi:[1,0,1]
	v_pk_fma_f32 v[38:39], v[40:41], v[38:39], v[42:43] neg_lo:[0,0,1] neg_hi:[0,0,1]
	v_mov_b32_e32 v39, v45
	s_delay_alu instid0(VALU_DEP_1)
	v_pk_add_f32 v[38:39], v[38:39], 0 op_sel_hi:[1,0]
	s_and_saveexec_b32 s23, s11
	s_cbranch_execz .LBB69_966
; %bb.965:                              ;   in Loop: Header=BB69_3 Depth=1
	ds_load_b64 v[40:41], v51 offset:31728
	ds_load_b64 v[42:43], v5 offset:31208
	s_wait_dscnt 0x0
	v_pk_mul_f32 v[44:45], v[42:43], v[40:41] op_sel:[1,1] op_sel_hi:[0,1]
	s_delay_alu instid0(VALU_DEP_1) | instskip(SKIP_1) | instid1(VALU_DEP_2)
	v_pk_fma_f32 v[98:99], v[42:43], v[40:41], v[44:45] op_sel_hi:[1,0,1]
	v_pk_fma_f32 v[40:41], v[42:43], v[40:41], v[44:45] neg_lo:[0,0,1] neg_hi:[0,0,1]
	v_mov_b32_e32 v41, v99
	s_delay_alu instid0(VALU_DEP_1)
	v_pk_add_f32 v[38:39], v[38:39], v[40:41]
.LBB69_966:                             ;   in Loop: Header=BB69_3 Depth=1
	s_or_b32 exec_lo, exec_lo, s23
	s_delay_alu instid0(VALU_DEP_1)
	v_pk_add_f32 v[38:39], v[38:39], 0 neg_lo:[1,1] neg_hi:[1,1]
.LBB69_967:                             ;   in Loop: Header=BB69_3 Depth=1
	s_or_b32 exec_lo, exec_lo, s21
	s_and_saveexec_b32 s21, s94
; %bb.968:                              ;   in Loop: Header=BB69_3 Depth=1
	ds_store_b64 v56, v[38:39]
; %bb.969:                              ;   in Loop: Header=BB69_3 Depth=1
	s_or_b32 exec_lo, exec_lo, s21
	s_wait_dscnt 0x0
	s_barrier_signal -1
	s_barrier_wait -1
	s_and_saveexec_b32 s21, s95
	s_cbranch_execz .LBB69_971
; %bb.970:                              ;   in Loop: Header=BB69_3 Depth=1
	ds_load_b64 v[40:41], v5 offset:32248
	ds_load_b64 v[42:43], v56
	s_wait_dscnt 0x0
	v_pk_mul_f32 v[44:45], v[42:43], v[40:41] op_sel:[1,1] op_sel_hi:[0,1]
	s_delay_alu instid0(VALU_DEP_1) | instskip(SKIP_1) | instid1(VALU_DEP_2)
	v_pk_fma_f32 v[98:99], v[42:43], v[40:41], v[44:45] op_sel_hi:[1,0,1]
	v_pk_fma_f32 v[40:41], v[42:43], v[40:41], v[44:45] neg_lo:[0,0,1] neg_hi:[0,0,1]
	v_mov_b32_e32 v41, v99
	s_delay_alu instid0(VALU_DEP_1)
	v_pk_add_f32 v[38:39], v[38:39], v[40:41]
.LBB69_971:                             ;   in Loop: Header=BB69_3 Depth=1
	s_or_b32 exec_lo, exec_lo, s21
	s_barrier_signal -1
	s_barrier_wait -1
	s_and_saveexec_b32 s21, s95
; %bb.972:                              ;   in Loop: Header=BB69_3 Depth=1
	ds_store_b64 v56, v[38:39]
; %bb.973:                              ;   in Loop: Header=BB69_3 Depth=1
	s_or_b32 exec_lo, exec_lo, s21
	s_wait_dscnt 0x0
	s_barrier_signal -1
	s_barrier_wait -1
	s_barrier_signal -1
	s_barrier_wait -1
	s_and_saveexec_b32 s21, s2
; %bb.974:                              ;   in Loop: Header=BB69_3 Depth=1
	v_pk_add_f32 v[38:39], v[38:39], 0 neg_lo:[1,1] neg_hi:[1,1]
	ds_store_b64 v68, v[38:39] offset:31216
; %bb.975:                              ;   in Loop: Header=BB69_3 Depth=1
	s_or_b32 exec_lo, exec_lo, s21
	s_wait_dscnt 0x0
	s_barrier_signal -1
	s_barrier_wait -1
	s_barrier_signal -1
	s_barrier_wait -1
	s_and_saveexec_b32 s21, s96
	s_cbranch_execz .LBB69_977
; %bb.976:                              ;   in Loop: Header=BB69_3 Depth=1
	ds_load_b64 v[38:39], v52 offset:31216
	s_wait_dscnt 0x0
	ds_store_b64 v51, v[38:39] offset:32224
	ds_load_b64 v[38:39], v52 offset:31224
	s_wait_dscnt 0x0
	ds_store_b64 v51, v[38:39] offset:32736
.LBB69_977:                             ;   in Loop: Header=BB69_3 Depth=1
	s_or_b32 exec_lo, exec_lo, s21
	s_wait_dscnt 0x0
	s_barrier_signal -1
	s_barrier_wait -1
	s_and_saveexec_b32 s21, s10
	s_cbranch_execz .LBB69_979
; %bb.978:                              ;   in Loop: Header=BB69_3 Depth=1
	ds_load_b64 v[38:39], v5 offset:32248
	v_add_nc_u32_e64 v3, 0x1f0, 0
	ds_store_b64 v5, v[26:27] offset:32760
	s_wait_dscnt 0x1
	ds_store_2addr_stride64_b64 v3, v[26:27], v[38:39] offset0:62 offset1:63
.LBB69_979:                             ;   in Loop: Header=BB69_3 Depth=1
	s_or_b32 exec_lo, exec_lo, s21
.LBB69_980:                             ;   in Loop: Header=BB69_3 Depth=1
	v_mov_b64_e32 v[38:39], 0
	s_mul_u64 s[60:61], s[70:71], s[72:73]
	s_wait_dscnt 0x0
	s_lshl_b64 s[60:61], s[60:61], 3
	s_barrier_signal -1
	s_add_nc_u64 s[84:85], s[64:65], s[60:61]
	s_barrier_wait -1
	s_and_saveexec_b32 s21, s58
	s_cbranch_execz .LBB69_982
; %bb.981:                              ;   in Loop: Header=BB69_3 Depth=1
	v_lshl_add_u64 v[38:39], v[14:15], 3, s[84:85]
	v_readlane_b32 s60, v106, 22
	v_readlane_b32 s61, v106, 23
	global_load_b64 v[38:39], v[38:39], off
	v_mov_b64_e32 v[40:41], s[60:61]
	v_readlane_b32 s60, v106, 24
	v_readlane_b32 s61, v106, 25
	s_delay_alu instid0(VALU_DEP_1) | instskip(SKIP_1) | instid1(VALU_DEP_4)
	v_mov_b64_e32 v[42:43], s[60:61]
	s_wait_loadcnt 0x0
	v_pk_mul_f32 v[40:41], v[40:41], v[38:39]
	s_delay_alu instid0(VALU_DEP_1)
	v_pk_fma_f32 v[38:39], v[42:43], v[38:39], v[40:41] op_sel:[0,0,1] op_sel_hi:[1,1,0] neg_lo:[1,0,0] neg_hi:[1,0,0]
.LBB69_982:                             ;   in Loop: Header=BB69_3 Depth=1
	s_or_b32 exec_lo, exec_lo, s21
	s_delay_alu instid0(SALU_CYCLE_1)
	s_and_not1_b32 vcc_lo, exec_lo, s59
	s_cbranch_vccnz .LBB69_1017
; %bb.983:                              ;   in Loop: Header=BB69_3 Depth=1
	v_mov_b32_e32 v3, -1
	s_lshl_b64 s[60:61], s[72:73], 2
	s_delay_alu instid0(SALU_CYCLE_1)
	s_add_nc_u64 s[86:87], s[66:67], s[60:61]
	s_mov_b32 s61, 0
	s_branch .LBB69_986
.LBB69_984:                             ;   in Loop: Header=BB69_986 Depth=2
	s_wait_xcnt 0x0
	ds_load_b64 v[40:41], v88 offset:384
	s_wait_loadcnt_dscnt 0x0
	v_pk_mul_f32 v[44:45], v[44:45], v[40:41] op_sel:[0,1] op_sel_hi:[0,0]
	s_delay_alu instid0(VALU_DEP_1) | instskip(SKIP_1) | instid1(VALU_DEP_2)
	v_pk_fma_f32 v[98:99], v[42:43], v[40:41], v[44:45] op_sel_hi:[0,1,1] neg_lo:[0,0,1] neg_hi:[0,0,1]
	v_pk_fma_f32 v[40:41], v[42:43], v[40:41], v[44:45]
	v_mov_b32_e32 v41, v99
	s_delay_alu instid0(VALU_DEP_1)
	v_pk_add_f32 v[38:39], v[38:39], v[40:41]
.LBB69_985:                             ;   in Loop: Header=BB69_986 Depth=2
	s_or_b32 exec_lo, exec_lo, s60
	s_add_co_i32 s61, s61, 1
	s_delay_alu instid0(SALU_CYCLE_1)
	s_cmp_eq_u32 s61, s89
	s_cbranch_scc1 .LBB69_1017
.LBB69_986:                             ;   Parent Loop BB69_3 Depth=1
                                        ; =>  This Loop Header: Depth=2
                                        ;       Child Loop BB69_988 Depth 3
	v_cmp_gt_i32_e32 vcc_lo, s61, v3
	s_and_b32 s23, s31, vcc_lo
	s_delay_alu instid0(SALU_CYCLE_1)
	s_and_saveexec_b32 s21, s23
	s_cbranch_execz .LBB69_989
; %bb.987:                              ;   in Loop: Header=BB69_986 Depth=2
	global_load_b32 v3, v5, s[86:87]
	s_wait_loadcnt 0x0
	v_cmp_le_i32_e32 vcc_lo, s61, v3
	s_cbranch_vccnz .LBB69_989
.LBB69_988:                             ;   Parent Loop BB69_3 Depth=1
                                        ;     Parent Loop BB69_986 Depth=2
                                        ; =>    This Inner Loop Header: Depth=3
	global_wb scope:SCOPE_DEV
	s_wait_storecnt 0x0
	global_inv scope:SCOPE_DEV
	global_load_b32 v3, v5, s[86:87]
	s_wait_loadcnt 0x0
	v_cmp_gt_i32_e32 vcc_lo, s61, v3
	s_cbranch_vccnz .LBB69_988
.LBB69_989:                             ;   in Loop: Header=BB69_986 Depth=2
	s_or_b32 exec_lo, exec_lo, s21
	s_sub_co_i32 s60, s90, s61
	global_wb scope:SCOPE_DEV
	s_wait_storecnt 0x0
	global_inv scope:SCOPE_DEV
	s_lshl_b32 s21, s60, 6
	s_wait_loadcnt 0x0
	s_barrier_signal -1
	s_barrier_wait -1
	s_and_saveexec_b32 s23, s33
	s_cbranch_execz .LBB69_994
; %bb.990:                              ;   in Loop: Header=BB69_986 Depth=2
	s_ashr_i32 vcc_lo, s21, 31
	s_delay_alu instid0(SALU_CYCLE_1) | instskip(NEXT) | instid1(VALU_DEP_1)
	v_dual_mov_b32 v41, vcc_lo :: v_dual_bitop2_b32 v40, s21, v8 bitop3:0x54
	v_cmp_le_i64_e32 vcc_lo, s[74:75], v[40:41]
	s_and_saveexec_b32 s25, vcc_lo
	s_delay_alu instid0(SALU_CYCLE_1)
	s_xor_b32 vcc_lo, exec_lo, s25
; %bb.991:                              ;   in Loop: Header=BB69_986 Depth=2
	ds_store_b64 v83, v[24:25]
                                        ; implicit-def: $vgpr40_vgpr41
; %bb.992:                              ;   in Loop: Header=BB69_986 Depth=2
	s_and_not1_saveexec_b32 s25, vcc_lo
	s_cbranch_execz .LBB69_994
; %bb.993:                              ;   in Loop: Header=BB69_986 Depth=2
	v_mul_u64_e32 v[40:41], s[68:69], v[40:41]
	s_delay_alu instid0(VALU_DEP_1)
	v_lshl_add_u64 v[40:41], v[40:41], 3, s[84:85]
	global_load_b64 v[40:41], v[40:41], off
	s_wait_loadcnt 0x0
	ds_store_b64 v83, v[40:41]
.LBB69_994:                             ;   in Loop: Header=BB69_986 Depth=2
	s_or_b32 exec_lo, exec_lo, s23
	v_add_nc_u32_e32 v42, s21, v2
	s_cmp_lg_u32 s60, s57
	s_wait_dscnt 0x0
	s_cselect_b32 s21, -1, 0
	s_barrier_signal -1
	v_ashrrev_i32_e32 v43, 31, v42
	v_cmp_gt_i32_e32 vcc_lo, s74, v42
	s_barrier_wait -1
	s_delay_alu instid0(VALU_DEP_2) | instskip(SKIP_2) | instid1(SALU_CYCLE_1)
	v_lshl_add_u64 v[40:41], v[42:43], 3, v[36:37]
	v_cndmask_b32_e64 v43, 0, 1, s21
	s_and_b32 s23, vcc_lo, s0
	s_and_saveexec_b32 s60, s23
	s_cbranch_execz .LBB69_1000
; %bb.995:                              ;   in Loop: Header=BB69_986 Depth=2
	v_mov_b32_e32 v44, v28
	s_and_not1_b32 vcc_lo, exec_lo, s21
	s_cbranch_vccnz .LBB69_997
; %bb.996:                              ;   in Loop: Header=BB69_986 Depth=2
	global_load_b32 v44, v[40:41], off
.LBB69_997:                             ;   in Loop: Header=BB69_986 Depth=2
	v_cmp_ne_u32_e32 vcc_lo, 1, v43
	v_mov_b32_e32 v46, v29
	s_cbranch_vccnz .LBB69_999
; %bb.998:                              ;   in Loop: Header=BB69_986 Depth=2
	global_load_b32 v46, v[40:41], off offset:4
.LBB69_999:                             ;   in Loop: Header=BB69_986 Depth=2
	ds_load_b64 v[98:99], v88
	s_wait_loadcnt_dscnt 0x0
	v_pk_mul_f32 v[100:101], v[46:47], v[98:99] op_sel:[0,1] op_sel_hi:[0,0]
	s_delay_alu instid0(VALU_DEP_1) | instskip(SKIP_1) | instid1(VALU_DEP_2)
	v_pk_fma_f32 v[102:103], v[44:45], v[98:99], v[100:101] op_sel_hi:[0,1,1] neg_lo:[0,0,1] neg_hi:[0,0,1]
	v_pk_fma_f32 v[44:45], v[44:45], v[98:99], v[100:101]
	v_mov_b32_e32 v45, v103
	s_delay_alu instid0(VALU_DEP_1)
	v_pk_add_f32 v[38:39], v[38:39], v[44:45]
.LBB69_1000:                            ;   in Loop: Header=BB69_986 Depth=2
	s_or_b32 exec_lo, exec_lo, s60
	v_add_nc_u32_e32 v44, 16, v42
	s_delay_alu instid0(VALU_DEP_1) | instskip(SKIP_1) | instid1(SALU_CYCLE_1)
	v_cmp_gt_i32_e32 vcc_lo, s74, v44
	s_and_b32 s21, vcc_lo, s0
	s_and_saveexec_b32 s60, s21
	s_cbranch_execz .LBB69_1006
; %bb.1001:                             ;   in Loop: Header=BB69_986 Depth=2
	v_cmp_ne_u32_e32 vcc_lo, 1, v43
	v_mov_b32_e32 v44, v30
	s_cbranch_vccnz .LBB69_1003
; %bb.1002:                             ;   in Loop: Header=BB69_986 Depth=2
	global_load_b32 v44, v[40:41], off offset:128
.LBB69_1003:                            ;   in Loop: Header=BB69_986 Depth=2
	v_cmp_ne_u32_e32 vcc_lo, 1, v43
	v_mov_b32_e32 v45, v31
	s_cbranch_vccnz .LBB69_1005
; %bb.1004:                             ;   in Loop: Header=BB69_986 Depth=2
	global_load_b32 v45, v[40:41], off offset:132
.LBB69_1005:                            ;   in Loop: Header=BB69_986 Depth=2
	ds_load_b64 v[98:99], v88 offset:128
	s_wait_loadcnt 0x0
	v_dual_mov_b32 v100, v45 :: v_dual_mov_b32 v101, v44
	s_wait_dscnt 0x0
	v_dual_mul_f32 v46, v45, v98 :: v_dual_mul_f32 v102, v45, v99
	s_delay_alu instid0(VALU_DEP_1) | instskip(NEXT) | instid1(VALU_DEP_2)
	v_pk_fma_f32 v[100:101], v[100:101], v[98:99], v[46:47] op_sel_hi:[1,1,0] neg_lo:[0,0,1] neg_hi:[0,0,1]
	v_pk_fma_f32 v[44:45], v[44:45], v[98:99], v[102:103] op_sel_hi:[1,1,0]
	s_delay_alu instid0(VALU_DEP_2) | instskip(NEXT) | instid1(VALU_DEP_1)
	v_mov_b32_e32 v45, v101
	v_pk_add_f32 v[38:39], v[38:39], v[44:45]
.LBB69_1006:                            ;   in Loop: Header=BB69_986 Depth=2
	s_or_b32 exec_lo, exec_lo, s60
	v_add_nc_u32_e32 v44, 32, v42
	s_delay_alu instid0(VALU_DEP_1) | instskip(SKIP_1) | instid1(SALU_CYCLE_1)
	v_cmp_gt_i32_e32 vcc_lo, s74, v44
	s_and_b32 s21, vcc_lo, s0
	s_and_saveexec_b32 s60, s21
	s_cbranch_execz .LBB69_1012
; %bb.1007:                             ;   in Loop: Header=BB69_986 Depth=2
	v_cmp_ne_u32_e32 vcc_lo, 1, v43
	v_mov_b32_e32 v44, v32
	s_cbranch_vccnz .LBB69_1009
; %bb.1008:                             ;   in Loop: Header=BB69_986 Depth=2
	global_load_b32 v44, v[40:41], off offset:256
.LBB69_1009:                            ;   in Loop: Header=BB69_986 Depth=2
	v_cmp_ne_u32_e32 vcc_lo, 1, v43
	v_mov_b32_e32 v46, v33
	s_cbranch_vccnz .LBB69_1011
; %bb.1010:                             ;   in Loop: Header=BB69_986 Depth=2
	global_load_b32 v46, v[40:41], off offset:260
.LBB69_1011:                            ;   in Loop: Header=BB69_986 Depth=2
	ds_load_b64 v[98:99], v88 offset:256
	s_wait_loadcnt_dscnt 0x0
	v_pk_mul_f32 v[100:101], v[46:47], v[98:99] op_sel:[0,1] op_sel_hi:[0,0]
	s_delay_alu instid0(VALU_DEP_1) | instskip(SKIP_1) | instid1(VALU_DEP_2)
	v_pk_fma_f32 v[102:103], v[44:45], v[98:99], v[100:101] op_sel_hi:[0,1,1] neg_lo:[0,0,1] neg_hi:[0,0,1]
	v_pk_fma_f32 v[44:45], v[44:45], v[98:99], v[100:101]
	v_mov_b32_e32 v45, v103
	s_delay_alu instid0(VALU_DEP_1)
	v_pk_add_f32 v[38:39], v[38:39], v[44:45]
.LBB69_1012:                            ;   in Loop: Header=BB69_986 Depth=2
	s_or_b32 exec_lo, exec_lo, s60
	v_add_nc_u32_e32 v42, 48, v42
	s_delay_alu instid0(VALU_DEP_1) | instskip(SKIP_1) | instid1(SALU_CYCLE_1)
	v_cmp_gt_i32_e32 vcc_lo, s74, v42
	s_and_b32 s21, vcc_lo, s0
	s_and_saveexec_b32 s60, s21
	s_cbranch_execz .LBB69_985
; %bb.1013:                             ;   in Loop: Header=BB69_986 Depth=2
	v_cmp_ne_u32_e32 vcc_lo, 1, v43
	v_mov_b32_e32 v42, v34
	s_cbranch_vccnz .LBB69_1015
; %bb.1014:                             ;   in Loop: Header=BB69_986 Depth=2
	global_load_b32 v42, v[40:41], off offset:384
.LBB69_1015:                            ;   in Loop: Header=BB69_986 Depth=2
	v_cmp_ne_u32_e32 vcc_lo, 1, v43
	v_mov_b32_e32 v44, v35
	s_cbranch_vccnz .LBB69_984
; %bb.1016:                             ;   in Loop: Header=BB69_986 Depth=2
	global_load_b32 v44, v[40:41], off offset:388
	s_branch .LBB69_984
.LBB69_1017:                            ;   in Loop: Header=BB69_3 Depth=1
	ds_store_b64 v91, v[38:39]
	s_wait_dscnt 0x0
	s_barrier_signal -1
	s_barrier_wait -1
	s_and_saveexec_b32 s60, s3
	s_cbranch_execz .LBB69_1019
; %bb.1018:                             ;   in Loop: Header=BB69_3 Depth=1
	ds_load_2addr_stride64_b64 v[40:43], v92 offset0:1 offset1:2
	ds_load_2addr_stride64_b64 v[98:101], v92 offset0:3 offset1:4
	;; [unrolled: 1-line block ×3, first 2 shown]
	s_wait_dscnt 0x2
	v_pk_add_f32 v[36:37], v[38:39], v[40:41]
	s_delay_alu instid0(VALU_DEP_1) | instskip(SKIP_3) | instid1(VALU_DEP_1)
	v_pk_add_f32 v[40:41], v[36:37], v[42:43]
	ds_load_2addr_stride64_b64 v[36:39], v92 offset0:7 offset1:8
	s_wait_dscnt 0x2
	v_pk_add_f32 v[40:41], v[40:41], v[98:99]
	v_pk_add_f32 v[44:45], v[40:41], v[100:101]
	ds_load_2addr_stride64_b64 v[40:43], v92 offset0:9 offset1:10
	ds_load_2addr_stride64_b64 v[98:101], v92 offset0:11 offset1:12
	s_wait_dscnt 0x3
	v_pk_add_f32 v[44:45], v[44:45], v[102:103]
	s_delay_alu instid0(VALU_DEP_1) | instskip(SKIP_1) | instid1(VALU_DEP_1)
	v_pk_add_f32 v[44:45], v[44:45], v[104:105]
	s_wait_dscnt 0x2
	v_pk_add_f32 v[36:37], v[44:45], v[36:37]
	s_delay_alu instid0(VALU_DEP_1) | instskip(SKIP_3) | instid1(VALU_DEP_1)
	v_pk_add_f32 v[44:45], v[36:37], v[38:39]
	ds_load_2addr_stride64_b64 v[36:39], v92 offset0:13 offset1:14
	s_wait_dscnt 0x2
	v_pk_add_f32 v[40:41], v[44:45], v[40:41]
	v_pk_add_f32 v[40:41], v[40:41], v[42:43]
	ds_load_b64 v[42:43], v92 offset:7680
	s_wait_dscnt 0x2
	v_pk_add_f32 v[40:41], v[40:41], v[98:99]
	s_delay_alu instid0(VALU_DEP_1) | instskip(SKIP_1) | instid1(VALU_DEP_1)
	v_pk_add_f32 v[40:41], v[40:41], v[100:101]
	s_wait_dscnt 0x1
	v_pk_add_f32 v[36:37], v[40:41], v[36:37]
	s_delay_alu instid0(VALU_DEP_1) | instskip(SKIP_1) | instid1(VALU_DEP_1)
	v_pk_add_f32 v[36:37], v[36:37], v[38:39]
	s_wait_dscnt 0x0
	v_pk_add_f32 v[36:37], v[36:37], v[42:43]
	s_delay_alu instid0(VALU_DEP_1) | instskip(NEXT) | instid1(VALU_DEP_2)
	v_cndmask_b32_e64 v39, -v37, 0, s54
	v_cndmask_b32_e64 v38, -v36, 0, s54
.LBB69_1019:                            ;   in Loop: Header=BB69_3 Depth=1
	s_or_b32 exec_lo, exec_lo, s60
	s_delay_alu instid0(SALU_CYCLE_1)
	s_and_not1_b32 vcc_lo, exec_lo, s93
	s_cbranch_vccnz .LBB69_1029
; %bb.1020:                             ;   in Loop: Header=BB69_3 Depth=1
	s_and_saveexec_b32 s21, s3
; %bb.1021:                             ;   in Loop: Header=BB69_3 Depth=1
	ds_store_b64 v94, v[38:39]
; %bb.1022:                             ;   in Loop: Header=BB69_3 Depth=1
	s_or_b32 exec_lo, exec_lo, s21
	v_mov_b64_e32 v[36:37], 0
	s_wait_dscnt 0x0
	s_barrier_signal -1
	s_barrier_wait -1
	s_and_saveexec_b32 s21, s1
	s_cbranch_execnz .LBB69_1069
; %bb.1023:                             ;   in Loop: Header=BB69_3 Depth=1
	s_or_b32 exec_lo, exec_lo, s21
	s_and_saveexec_b32 s21, s7
	s_cbranch_execnz .LBB69_1070
.LBB69_1024:                            ;   in Loop: Header=BB69_3 Depth=1
	s_or_b32 exec_lo, exec_lo, s21
	s_and_saveexec_b32 s21, s8
	s_cbranch_execnz .LBB69_1071
.LBB69_1025:                            ;   in Loop: Header=BB69_3 Depth=1
	s_or_b32 exec_lo, exec_lo, s21
	s_and_saveexec_b32 s21, s9
	s_cbranch_execz .LBB69_1027
.LBB69_1026:                            ;   in Loop: Header=BB69_3 Depth=1
	ds_load_b64 v[40:41], v93 offset:24576
	ds_load_b64 v[42:43], v88 offset:384
	s_wait_dscnt 0x0
	v_pk_mul_f32 v[44:45], v[42:43], v[40:41] op_sel:[1,1] op_sel_hi:[0,1]
	s_delay_alu instid0(VALU_DEP_1) | instskip(SKIP_1) | instid1(VALU_DEP_2)
	v_pk_fma_f32 v[98:99], v[42:43], v[40:41], v[44:45] op_sel_hi:[1,0,1]
	v_pk_fma_f32 v[40:41], v[42:43], v[40:41], v[44:45] neg_lo:[0,0,1] neg_hi:[0,0,1]
	v_mov_b32_e32 v41, v99
	s_delay_alu instid0(VALU_DEP_1)
	v_pk_add_f32 v[36:37], v[36:37], v[40:41]
.LBB69_1027:                            ;   in Loop: Header=BB69_3 Depth=1
	s_or_b32 exec_lo, exec_lo, s21
	s_mov_b32 s61, 0
	s_mov_b32 s86, 0
	ds_store_b64 v91, v[36:37]
	s_wait_dscnt 0x0
	s_barrier_signal -1
	s_barrier_wait -1
                                        ; implicit-def: $vgpr40_vgpr41
	s_and_saveexec_b32 s60, s3
	s_cbranch_execz .LBB69_1072
; %bb.1028:                             ;   in Loop: Header=BB69_3 Depth=1
	ds_load_2addr_stride64_b64 v[40:43], v92 offset0:1 offset1:2
	ds_load_2addr_stride64_b64 v[98:101], v92 offset0:3 offset1:4
	;; [unrolled: 1-line block ×3, first 2 shown]
	ds_load_b64 v[44:45], v92 offset:7680
	s_mov_b32 s86, exec_lo
	s_wait_dscnt 0x3
	v_pk_add_f32 v[36:37], v[36:37], v[40:41]
	s_delay_alu instid0(VALU_DEP_1) | instskip(SKIP_3) | instid1(VALU_DEP_1)
	v_pk_add_f32 v[36:37], v[36:37], v[42:43]
	ds_load_2addr_stride64_b64 v[40:43], v92 offset0:7 offset1:8
	s_wait_dscnt 0x3
	v_pk_add_f32 v[36:37], v[36:37], v[98:99]
	v_pk_add_f32 v[36:37], v[36:37], v[100:101]
	ds_load_2addr_stride64_b64 v[98:101], v92 offset0:9 offset1:10
	s_wait_dscnt 0x3
	v_pk_add_f32 v[36:37], v[36:37], v[102:103]
	s_delay_alu instid0(VALU_DEP_1) | instskip(SKIP_3) | instid1(VALU_DEP_1)
	v_pk_add_f32 v[36:37], v[36:37], v[104:105]
	ds_load_2addr_stride64_b64 v[102:105], v92 offset0:11 offset1:12
	s_wait_dscnt 0x2
	v_pk_add_f32 v[36:37], v[36:37], v[40:41]
	v_pk_add_f32 v[36:37], v[36:37], v[42:43]
	ds_load_2addr_stride64_b64 v[40:43], v92 offset0:13 offset1:14
	s_wait_dscnt 0x2
	v_pk_add_f32 v[36:37], v[36:37], v[98:99]
	s_delay_alu instid0(VALU_DEP_1) | instskip(SKIP_1) | instid1(VALU_DEP_1)
	v_pk_add_f32 v[36:37], v[36:37], v[100:101]
	s_wait_dscnt 0x1
	v_pk_add_f32 v[36:37], v[36:37], v[102:103]
	s_delay_alu instid0(VALU_DEP_1) | instskip(SKIP_1) | instid1(VALU_DEP_1)
	v_pk_add_f32 v[36:37], v[36:37], v[104:105]
	s_wait_dscnt 0x0
	v_pk_add_f32 v[36:37], v[36:37], v[40:41]
	s_delay_alu instid0(VALU_DEP_1) | instskip(NEXT) | instid1(VALU_DEP_1)
	v_pk_add_f32 v[36:37], v[36:37], v[42:43]
	v_pk_add_f32 v[40:41], v[36:37], v[44:45]
	s_or_b32 exec_lo, exec_lo, s60
	s_delay_alu instid0(SALU_CYCLE_1)
	s_and_b32 vcc_lo, exec_lo, s61
	s_cbranch_vccnz .LBB69_1030
	s_branch .LBB69_1073
.LBB69_1029:                            ;   in Loop: Header=BB69_3 Depth=1
	s_mov_b32 s86, 0
                                        ; implicit-def: $vgpr40_vgpr41
	s_cbranch_execz .LBB69_1073
.LBB69_1030:                            ;   in Loop: Header=BB69_3 Depth=1
	v_dual_mov_b32 v3, v96 :: v_dual_mov_b32 v36, v90
	s_mov_b32 s61, 63
	s_branch .LBB69_1032
.LBB69_1031:                            ;   in Loop: Header=BB69_1032 Depth=2
	s_or_b32 exec_lo, exec_lo, s21
	v_add_nc_u32_e32 v36, 0xfffff800, v36
	v_add_nc_u32_e32 v3, 4, v3
	s_add_co_i32 s61, s61, -4
	s_cmp_lg_u32 s87, 0
	s_barrier_signal -1
	s_barrier_wait -1
	s_cbranch_scc0 .LBB69_1048
.LBB69_1032:                            ;   Parent Loop BB69_3 Depth=1
                                        ; =>  This Inner Loop Header: Depth=2
	s_delay_alu instid0(VALU_DEP_1) | instskip(SKIP_1) | instid1(SALU_CYCLE_1)
	v_cmp_eq_u32_e32 vcc_lo, 0, v3
	s_and_b32 s23, s3, vcc_lo
	s_and_saveexec_b32 s21, s23
; %bb.1033:                             ;   in Loop: Header=BB69_1032 Depth=2
	ds_store_b64 v5, v[38:39] offset:41472
; %bb.1034:                             ;   in Loop: Header=BB69_1032 Depth=2
	s_or_b32 exec_lo, exec_lo, s21
	v_cmp_gt_u32_e32 vcc_lo, s61, v6
	s_wait_dscnt 0x0
	s_barrier_signal -1
	s_barrier_wait -1
	s_and_b32 s23, s3, vcc_lo
	s_delay_alu instid0(SALU_CYCLE_1)
	s_and_saveexec_b32 s21, s23
	s_cbranch_execz .LBB69_1036
; %bb.1035:                             ;   in Loop: Header=BB69_1032 Depth=2
	ds_load_b64 v[40:41], v36 offset:1536
	ds_load_b64 v[42:43], v5 offset:41472
	s_wait_dscnt 0x0
	v_pk_mul_f32 v[44:45], v[42:43], v[40:41] op_sel:[1,1] op_sel_hi:[0,1]
	s_delay_alu instid0(VALU_DEP_1) | instskip(SKIP_1) | instid1(VALU_DEP_2)
	v_pk_fma_f32 v[98:99], v[42:43], v[40:41], v[44:45] op_sel_hi:[1,0,1]
	v_pk_fma_f32 v[40:41], v[42:43], v[40:41], v[44:45] neg_lo:[0,0,1] neg_hi:[0,0,1]
	v_mov_b32_e32 v41, v99
	s_delay_alu instid0(VALU_DEP_1)
	v_pk_add_f32 v[38:39], v[38:39], v[40:41]
.LBB69_1036:                            ;   in Loop: Header=BB69_1032 Depth=2
	s_or_b32 exec_lo, exec_lo, s21
	s_add_co_i32 s21, s61, -1
	s_delay_alu instid0(SALU_CYCLE_1) | instskip(SKIP_3) | instid1(SALU_CYCLE_1)
	v_cmp_eq_u32_e32 vcc_lo, s21, v6
	s_barrier_signal -1
	s_barrier_wait -1
	s_and_b32 s25, s3, vcc_lo
	s_and_saveexec_b32 s23, s25
; %bb.1037:                             ;   in Loop: Header=BB69_1032 Depth=2
	ds_store_b64 v5, v[38:39] offset:41472
; %bb.1038:                             ;   in Loop: Header=BB69_1032 Depth=2
	s_or_b32 exec_lo, exec_lo, s23
	v_cmp_gt_u32_e32 vcc_lo, s21, v6
	s_wait_dscnt 0x0
	s_barrier_signal -1
	s_barrier_wait -1
	s_and_b32 s23, s3, vcc_lo
	s_delay_alu instid0(SALU_CYCLE_1)
	s_and_saveexec_b32 s21, s23
	s_cbranch_execz .LBB69_1040
; %bb.1039:                             ;   in Loop: Header=BB69_1032 Depth=2
	ds_load_b64 v[40:41], v36 offset:1024
	ds_load_b64 v[42:43], v5 offset:41472
	s_wait_dscnt 0x0
	v_pk_mul_f32 v[44:45], v[42:43], v[40:41] op_sel:[1,1] op_sel_hi:[0,1]
	s_delay_alu instid0(VALU_DEP_1) | instskip(SKIP_1) | instid1(VALU_DEP_2)
	v_pk_fma_f32 v[98:99], v[42:43], v[40:41], v[44:45] op_sel_hi:[1,0,1]
	v_pk_fma_f32 v[40:41], v[42:43], v[40:41], v[44:45] neg_lo:[0,0,1] neg_hi:[0,0,1]
	v_mov_b32_e32 v41, v99
	s_delay_alu instid0(VALU_DEP_1)
	v_pk_add_f32 v[38:39], v[38:39], v[40:41]
.LBB69_1040:                            ;   in Loop: Header=BB69_1032 Depth=2
	s_or_b32 exec_lo, exec_lo, s21
	s_add_co_i32 s21, s61, -2
	s_delay_alu instid0(SALU_CYCLE_1) | instskip(SKIP_3) | instid1(SALU_CYCLE_1)
	v_cmp_eq_u32_e32 vcc_lo, s21, v6
	s_barrier_signal -1
	s_barrier_wait -1
	;; [unrolled: 32-line block ×3, first 2 shown]
	s_and_b32 s23, s3, vcc_lo
	s_and_saveexec_b32 s21, s23
; %bb.1045:                             ;   in Loop: Header=BB69_1032 Depth=2
	ds_store_b64 v5, v[38:39] offset:41472
; %bb.1046:                             ;   in Loop: Header=BB69_1032 Depth=2
	s_or_b32 exec_lo, exec_lo, s21
	v_cmp_gt_u32_e32 vcc_lo, s87, v6
	s_wait_dscnt 0x0
	s_barrier_signal -1
	s_barrier_wait -1
	s_and_b32 s23, s3, vcc_lo
	s_delay_alu instid0(SALU_CYCLE_1)
	s_and_saveexec_b32 s21, s23
	s_cbranch_execz .LBB69_1031
; %bb.1047:                             ;   in Loop: Header=BB69_1032 Depth=2
	ds_load_b64 v[40:41], v36
	ds_load_b64 v[42:43], v5 offset:41472
	s_wait_dscnt 0x0
	v_pk_mul_f32 v[44:45], v[42:43], v[40:41] op_sel:[1,1] op_sel_hi:[0,1]
	s_delay_alu instid0(VALU_DEP_1) | instskip(SKIP_1) | instid1(VALU_DEP_2)
	v_pk_fma_f32 v[98:99], v[42:43], v[40:41], v[44:45] op_sel_hi:[1,0,1]
	v_pk_fma_f32 v[40:41], v[42:43], v[40:41], v[44:45] neg_lo:[0,0,1] neg_hi:[0,0,1]
	v_mov_b32_e32 v41, v99
	s_delay_alu instid0(VALU_DEP_1)
	v_pk_add_f32 v[38:39], v[38:39], v[40:41]
	s_branch .LBB69_1031
.LBB69_1048:                            ;   in Loop: Header=BB69_3 Depth=1
	s_and_b32 vcc_lo, exec_lo, s91
	s_mov_b32 s21, -1
	s_cbranch_vccnz .LBB69_1074
; %bb.1049:                             ;   in Loop: Header=BB69_3 Depth=1
	s_and_not1_b32 vcc_lo, exec_lo, s21
	s_cbranch_vccz .LBB69_1075
.LBB69_1050:                            ;   in Loop: Header=BB69_3 Depth=1
	s_and_saveexec_b32 s21, s86
	s_cbranch_execz .LBB69_1052
.LBB69_1051:                            ;   in Loop: Header=BB69_3 Depth=1
	v_lshl_add_u64 v[36:37], v[0:1], 3, s[84:85]
	global_store_b64 v[36:37], v[38:39], off
.LBB69_1052:                            ;   in Loop: Header=BB69_3 Depth=1
	s_wait_xcnt 0x0
	s_or_b32 exec_lo, exec_lo, s21
	global_wb scope:SCOPE_DEV
	s_wait_storecnt 0x0
	global_inv scope:SCOPE_DEV
	s_wait_loadcnt 0x0
	s_barrier_signal -1
	s_barrier_wait -1
	s_and_saveexec_b32 s21, s31
	s_cbranch_execz .LBB69_2
; %bb.1053:                             ;   in Loop: Header=BB69_3 Depth=1
	s_lshl_b64 s[60:61], s[72:73], 2
	s_delay_alu instid0(SALU_CYCLE_1)
	s_add_nc_u64 s[60:61], s[66:67], s[60:61]
	global_load_b32 v3, v5, s[60:61]
	s_wait_loadcnt 0x0
	v_add_nc_u32_e32 v3, 1, v3
	global_store_b32 v5, v3, s[60:61]
	s_branch .LBB69_2
.LBB69_1054:                            ;   in Loop: Header=BB69_3 Depth=1
	v_readlane_b32 s25, v97, 5
	s_and_saveexec_b32 s23, s25
; %bb.1055:                             ;   in Loop: Header=BB69_3 Depth=1
	ds_store_b64 v84, v[24:25]
; %bb.1056:                             ;   in Loop: Header=BB69_3 Depth=1
	s_or_b32 exec_lo, exec_lo, s23
	s_and_not1_saveexec_b32 s21, s21
	s_cbranch_execz .LBB69_16
.LBB69_1057:                            ;   in Loop: Header=BB69_3 Depth=1
	v_lshl_add_u64 v[40:41], v[22:23], 3, v[38:39]
	global_load_b64 v[40:41], v[40:41], off
	s_wait_loadcnt 0x0
	v_xor_b32_e32 v40, 0x80000000, v40
	ds_store_b64 v84, v[40:41]
	s_or_b32 exec_lo, exec_lo, s21
	s_and_saveexec_b32 s21, s7
	s_delay_alu instid0(SALU_CYCLE_1)
	s_xor_b32 s21, exec_lo, s21
	s_cbranch_execz .LBB69_17
.LBB69_1058:                            ;   in Loop: Header=BB69_3 Depth=1
	v_readlane_b32 s25, v97, 6
	s_and_saveexec_b32 s23, s25
; %bb.1059:                             ;   in Loop: Header=BB69_3 Depth=1
	ds_store_b64 v85, v[24:25]
; %bb.1060:                             ;   in Loop: Header=BB69_3 Depth=1
	s_or_b32 exec_lo, exec_lo, s23
	s_and_not1_saveexec_b32 s21, s21
	s_cbranch_execz .LBB69_18
.LBB69_1061:                            ;   in Loop: Header=BB69_3 Depth=1
	v_lshl_add_u64 v[40:41], v[16:17], 3, v[38:39]
	global_load_b64 v[40:41], v[40:41], off
	s_wait_loadcnt 0x0
	v_xor_b32_e32 v40, 0x80000000, v40
	ds_store_b64 v85, v[40:41]
	s_or_b32 exec_lo, exec_lo, s21
	s_and_saveexec_b32 s21, s8
	s_delay_alu instid0(SALU_CYCLE_1)
	s_xor_b32 s21, exec_lo, s21
	s_cbranch_execz .LBB69_19
.LBB69_1062:                            ;   in Loop: Header=BB69_3 Depth=1
	v_readlane_b32 s25, v97, 7
	s_and_saveexec_b32 s23, s25
; %bb.1063:                             ;   in Loop: Header=BB69_3 Depth=1
	ds_store_b64 v86, v[24:25]
; %bb.1064:                             ;   in Loop: Header=BB69_3 Depth=1
	s_or_b32 exec_lo, exec_lo, s23
	s_and_not1_saveexec_b32 s21, s21
	s_cbranch_execz .LBB69_20
.LBB69_1065:                            ;   in Loop: Header=BB69_3 Depth=1
	v_lshl_add_u64 v[40:41], v[18:19], 3, v[38:39]
	global_load_b64 v[40:41], v[40:41], off
	s_wait_loadcnt 0x0
	v_xor_b32_e32 v40, 0x80000000, v40
	ds_store_b64 v86, v[40:41]
	s_or_b32 exec_lo, exec_lo, s21
	s_and_saveexec_b32 s21, s9
	s_delay_alu instid0(SALU_CYCLE_1)
	s_xor_b32 s21, exec_lo, s21
	s_cbranch_execz .LBB69_21
.LBB69_1066:                            ;   in Loop: Header=BB69_3 Depth=1
	v_readlane_b32 s25, v97, 8
	s_and_saveexec_b32 s23, s25
; %bb.1067:                             ;   in Loop: Header=BB69_3 Depth=1
	ds_store_b64 v87, v[24:25]
; %bb.1068:                             ;   in Loop: Header=BB69_3 Depth=1
	s_or_b32 exec_lo, exec_lo, s23
	s_and_not1_saveexec_b32 s21, s21
	s_cbranch_execnz .LBB69_22
	s_branch .LBB69_23
.LBB69_1069:                            ;   in Loop: Header=BB69_3 Depth=1
	ds_load_b64 v[36:37], v93
	ds_load_b64 v[40:41], v88
	s_wait_dscnt 0x0
	v_dual_mul_f32 v3, v41, v37 :: v_dual_mul_f32 v37, v40, v37
	s_delay_alu instid0(VALU_DEP_1) | instskip(NEXT) | instid1(VALU_DEP_1)
	v_dual_fma_f32 v3, v40, v36, -v3 :: v_dual_fmac_f32 v37, v41, v36
	v_dual_add_f32 v36, 0, v3 :: v_dual_add_f32 v37, 0, v37
	s_or_b32 exec_lo, exec_lo, s21
	s_and_saveexec_b32 s21, s7
	s_cbranch_execz .LBB69_1024
.LBB69_1070:                            ;   in Loop: Header=BB69_3 Depth=1
	ds_load_b64 v[40:41], v93 offset:8192
	ds_load_b64 v[42:43], v88 offset:128
	s_wait_dscnt 0x0
	v_dual_mul_f32 v3, v43, v41 :: v_dual_mul_f32 v45, v42, v41
	s_delay_alu instid0(VALU_DEP_1) | instskip(NEXT) | instid1(VALU_DEP_1)
	v_dual_fma_f32 v44, v42, v40, -v3 :: v_dual_fmac_f32 v45, v43, v40
	v_pk_add_f32 v[36:37], v[36:37], v[44:45]
	s_or_b32 exec_lo, exec_lo, s21
	s_and_saveexec_b32 s21, s8
	s_cbranch_execz .LBB69_1025
.LBB69_1071:                            ;   in Loop: Header=BB69_3 Depth=1
	ds_load_b64 v[40:41], v93 offset:16384
	ds_load_b64 v[42:43], v88 offset:256
	s_wait_dscnt 0x0
	v_pk_mul_f32 v[44:45], v[42:43], v[40:41] op_sel:[1,1] op_sel_hi:[0,1]
	s_delay_alu instid0(VALU_DEP_1) | instskip(SKIP_1) | instid1(VALU_DEP_2)
	v_pk_fma_f32 v[98:99], v[42:43], v[40:41], v[44:45] op_sel_hi:[1,0,1]
	v_pk_fma_f32 v[40:41], v[42:43], v[40:41], v[44:45] neg_lo:[0,0,1] neg_hi:[0,0,1]
	v_mov_b32_e32 v41, v99
	s_delay_alu instid0(VALU_DEP_1)
	v_pk_add_f32 v[36:37], v[36:37], v[40:41]
	s_or_b32 exec_lo, exec_lo, s21
	s_and_saveexec_b32 s21, s9
	s_cbranch_execnz .LBB69_1026
	s_branch .LBB69_1027
.LBB69_1072:                            ;   in Loop: Header=BB69_3 Depth=1
	s_or_b32 exec_lo, exec_lo, s60
	s_delay_alu instid0(SALU_CYCLE_1)
	s_and_b32 vcc_lo, exec_lo, s61
	s_cbranch_vccnz .LBB69_1030
.LBB69_1073:                            ;   in Loop: Header=BB69_3 Depth=1
	v_mov_b64_e32 v[38:39], v[40:41]
	s_and_saveexec_b32 s21, s86
	s_cbranch_execnz .LBB69_1051
	s_branch .LBB69_1052
.LBB69_1074:                            ;   in Loop: Header=BB69_3 Depth=1
	s_and_not1_b32 s23, s86, exec_lo
	s_and_b32 s25, s3, exec_lo
	s_delay_alu instid0(SALU_CYCLE_1)
	s_or_b32 s86, s23, s25
	s_cbranch_execnz .LBB69_1050
.LBB69_1075:                            ;   in Loop: Header=BB69_3 Depth=1
	v_readlane_b32 s23, v106, 13
	s_and_not1_b32 s21, s86, exec_lo
	s_and_b32 s23, s23, exec_lo
	s_delay_alu instid0(SALU_CYCLE_1) | instskip(NEXT) | instid1(SALU_CYCLE_1)
	s_or_b32 s86, s21, s23
	s_and_saveexec_b32 s21, s86
	s_cbranch_execnz .LBB69_1051
	s_branch .LBB69_1052
.LBB69_1076:                            ;   in Loop: Header=BB69_3 Depth=1
	ds_load_b64 v[40:41], v73 offset:544
	ds_load_b64 v[42:43], v55 offset:8
	s_wait_dscnt 0x0
	v_dual_mul_f32 v3, v43, v41 :: v_dual_mul_f32 v41, v42, v41
	s_delay_alu instid0(VALU_DEP_1) | instskip(NEXT) | instid1(VALU_DEP_1)
	v_dual_fma_f32 v3, v42, v40, -v3 :: v_dual_fmac_f32 v41, v43, v40
	v_dual_add_f32 v38, v38, v3 :: v_dual_add_f32 v39, v39, v41
	s_or_b32 exec_lo, exec_lo, s21
	s_and_saveexec_b32 s21, s13
	s_cbranch_execz .LBB69_72
.LBB69_1077:                            ;   in Loop: Header=BB69_3 Depth=1
	ds_load_b64 v[40:41], v72 offset:1056
	ds_load_b64 v[42:43], v55 offset:16
	s_wait_dscnt 0x0
	v_dual_mul_f32 v3, v43, v41 :: v_dual_mul_f32 v41, v42, v41
	s_delay_alu instid0(VALU_DEP_1) | instskip(NEXT) | instid1(VALU_DEP_1)
	v_dual_fma_f32 v3, v42, v40, -v3 :: v_dual_fmac_f32 v41, v43, v40
	v_dual_add_f32 v38, v38, v3 :: v_dual_add_f32 v39, v39, v41
	s_or_b32 exec_lo, exec_lo, s21
	s_and_saveexec_b32 s21, s2
	s_cbranch_execnz .LBB69_73
	s_branch .LBB69_74
.LBB69_1078:                            ;   in Loop: Header=BB69_3 Depth=1
	ds_load_b64 v[40:41], v77 offset:576
	ds_load_b64 v[42:43], v59 offset:8
	s_wait_dscnt 0x0
	v_dual_mul_f32 v3, v43, v41 :: v_dual_mul_f32 v41, v42, v41
	s_delay_alu instid0(VALU_DEP_1) | instskip(NEXT) | instid1(VALU_DEP_1)
	v_dual_fma_f32 v3, v42, v40, -v3 :: v_dual_fmac_f32 v41, v43, v40
	v_dual_add_f32 v38, v38, v3 :: v_dual_add_f32 v39, v39, v41
	s_or_b32 exec_lo, exec_lo, s21
	s_and_saveexec_b32 s21, s15
	s_cbranch_execz .LBB69_114
.LBB69_1079:                            ;   in Loop: Header=BB69_3 Depth=1
	ds_load_b64 v[40:41], v77 offset:1088
	ds_load_b64 v[42:43], v59 offset:16
	s_wait_dscnt 0x0
	v_dual_mul_f32 v3, v43, v41 :: v_dual_mul_f32 v41, v42, v41
	s_delay_alu instid0(VALU_DEP_1) | instskip(NEXT) | instid1(VALU_DEP_1)
	v_dual_fma_f32 v3, v42, v40, -v3 :: v_dual_fmac_f32 v41, v43, v40
	v_dual_add_f32 v38, v38, v3 :: v_dual_add_f32 v39, v39, v41
	s_or_b32 exec_lo, exec_lo, s21
	s_and_saveexec_b32 s21, s16
	s_cbranch_execz .LBB69_115
.LBB69_1080:                            ;   in Loop: Header=BB69_3 Depth=1
	ds_load_b64 v[40:41], v77 offset:1600
	ds_load_b64 v[42:43], v59 offset:24
	s_wait_dscnt 0x0
	v_dual_mul_f32 v3, v43, v41 :: v_dual_mul_f32 v41, v42, v41
	s_delay_alu instid0(VALU_DEP_1) | instskip(NEXT) | instid1(VALU_DEP_1)
	v_dual_fma_f32 v3, v42, v40, -v3 :: v_dual_fmac_f32 v41, v43, v40
	v_dual_add_f32 v38, v38, v3 :: v_dual_add_f32 v39, v39, v41
	s_or_b32 exec_lo, exec_lo, s21
	s_and_saveexec_b32 s21, s17
	s_cbranch_execz .LBB69_116
.LBB69_1081:                            ;   in Loop: Header=BB69_3 Depth=1
	ds_load_b64 v[40:41], v76 offset:2112
	ds_load_b64 v[42:43], v59 offset:32
	s_wait_dscnt 0x0
	v_dual_mul_f32 v3, v43, v41 :: v_dual_mul_f32 v41, v42, v41
	s_delay_alu instid0(VALU_DEP_1) | instskip(NEXT) | instid1(VALU_DEP_1)
	v_dual_fma_f32 v3, v42, v40, -v3 :: v_dual_fmac_f32 v41, v43, v40
	v_dual_add_f32 v38, v38, v3 :: v_dual_add_f32 v39, v39, v41
	s_or_b32 exec_lo, exec_lo, s21
	s_and_saveexec_b32 s21, s18
	s_cbranch_execz .LBB69_117
.LBB69_1082:                            ;   in Loop: Header=BB69_3 Depth=1
	ds_load_b64 v[40:41], v77 offset:2624
	ds_load_b64 v[42:43], v59 offset:40
	s_wait_dscnt 0x0
	v_dual_mul_f32 v3, v43, v41 :: v_dual_mul_f32 v45, v42, v41
	s_delay_alu instid0(VALU_DEP_1) | instskip(NEXT) | instid1(VALU_DEP_1)
	v_dual_fma_f32 v44, v42, v40, -v3 :: v_dual_fmac_f32 v45, v43, v40
	v_pk_add_f32 v[38:39], v[38:39], v[44:45]
	s_or_b32 exec_lo, exec_lo, s21
	s_and_saveexec_b32 s21, s4
	s_cbranch_execz .LBB69_118
.LBB69_1083:                            ;   in Loop: Header=BB69_3 Depth=1
	ds_load_b64 v[40:41], v76 offset:3136
	ds_load_b64 v[42:43], v59 offset:48
	s_wait_dscnt 0x0
	v_pk_mul_f32 v[44:45], v[42:43], v[40:41] op_sel:[1,1] op_sel_hi:[0,1]
	s_delay_alu instid0(VALU_DEP_1) | instskip(SKIP_1) | instid1(VALU_DEP_2)
	v_pk_fma_f32 v[98:99], v[42:43], v[40:41], v[44:45] op_sel_hi:[1,0,1]
	v_pk_fma_f32 v[40:41], v[42:43], v[40:41], v[44:45] neg_lo:[0,0,1] neg_hi:[0,0,1]
	v_mov_b32_e32 v41, v99
	s_delay_alu instid0(VALU_DEP_1)
	v_pk_add_f32 v[38:39], v[38:39], v[40:41]
	s_or_b32 exec_lo, exec_lo, s21
	s_and_saveexec_b32 s21, s13
	s_cbranch_execnz .LBB69_119
	s_branch .LBB69_120
.LBB69_1084:                            ;   in Loop: Header=BB69_3 Depth=1
	ds_load_b64 v[40:41], v73 offset:4704
	ds_load_b64 v[42:43], v55 offset:4168
	s_wait_dscnt 0x0
	v_dual_mul_f32 v3, v43, v41 :: v_dual_mul_f32 v41, v42, v41
	s_delay_alu instid0(VALU_DEP_1) | instskip(NEXT) | instid1(VALU_DEP_1)
	v_dual_fma_f32 v3, v42, v40, -v3 :: v_dual_fmac_f32 v41, v43, v40
	v_dual_add_f32 v38, v38, v3 :: v_dual_add_f32 v39, v39, v41
	s_or_b32 exec_lo, exec_lo, s21
	s_and_saveexec_b32 s21, s13
	s_cbranch_execz .LBB69_176
.LBB69_1085:                            ;   in Loop: Header=BB69_3 Depth=1
	ds_load_b64 v[40:41], v72 offset:5216
	ds_load_b64 v[42:43], v55 offset:4176
	s_wait_dscnt 0x0
	v_dual_mul_f32 v3, v43, v41 :: v_dual_mul_f32 v41, v42, v41
	s_delay_alu instid0(VALU_DEP_1) | instskip(NEXT) | instid1(VALU_DEP_1)
	v_dual_fma_f32 v3, v42, v40, -v3 :: v_dual_fmac_f32 v41, v43, v40
	v_dual_add_f32 v38, v38, v3 :: v_dual_add_f32 v39, v39, v41
	s_or_b32 exec_lo, exec_lo, s21
	s_and_saveexec_b32 s21, s2
	s_cbranch_execnz .LBB69_177
	s_branch .LBB69_178
.LBB69_1086:                            ;   in Loop: Header=BB69_3 Depth=1
	ds_load_b64 v[40:41], v80 offset:5760
	ds_load_b64 v[42:43], v61 offset:88
	s_wait_dscnt 0x0
	v_dual_mul_f32 v3, v43, v41 :: v_dual_mul_f32 v41, v42, v41
	s_delay_alu instid0(VALU_DEP_1) | instskip(NEXT) | instid1(VALU_DEP_1)
	v_dual_fma_f32 v3, v42, v40, -v3 :: v_dual_fmac_f32 v41, v43, v40
	v_dual_add_f32 v38, v38, v3 :: v_dual_add_f32 v39, v39, v41
	s_or_b32 exec_lo, exec_lo, s21
	s_and_saveexec_b32 s21, s5
	s_cbranch_execz .LBB69_238
.LBB69_1087:                            ;   in Loop: Header=BB69_3 Depth=1
	ds_load_b64 v[40:41], v79 offset:6272
	ds_load_b64 v[42:43], v61 offset:96
	s_wait_dscnt 0x0
	v_dual_mul_f32 v3, v43, v41 :: v_dual_mul_f32 v41, v42, v41
	s_delay_alu instid0(VALU_DEP_1) | instskip(NEXT) | instid1(VALU_DEP_1)
	v_dual_fma_f32 v3, v42, v40, -v3 :: v_dual_fmac_f32 v41, v43, v40
	v_dual_add_f32 v38, v38, v3 :: v_dual_add_f32 v39, v39, v41
	s_or_b32 exec_lo, exec_lo, s21
	s_and_saveexec_b32 s21, s15
	s_cbranch_execz .LBB69_239
.LBB69_1088:                            ;   in Loop: Header=BB69_3 Depth=1
	ds_load_b64 v[40:41], v80 offset:6784
	ds_load_b64 v[42:43], v61 offset:104
	s_wait_dscnt 0x0
	v_dual_mul_f32 v3, v43, v41 :: v_dual_mul_f32 v41, v42, v41
	s_delay_alu instid0(VALU_DEP_1) | instskip(NEXT) | instid1(VALU_DEP_1)
	v_dual_fma_f32 v3, v42, v40, -v3 :: v_dual_fmac_f32 v41, v43, v40
	v_dual_add_f32 v38, v38, v3 :: v_dual_add_f32 v39, v39, v41
	s_or_b32 exec_lo, exec_lo, s21
	s_and_saveexec_b32 s21, s17
	s_cbranch_execz .LBB69_240
.LBB69_1089:                            ;   in Loop: Header=BB69_3 Depth=1
	ds_load_b64 v[40:41], v79 offset:7296
	ds_load_b64 v[42:43], v61 offset:112
	s_wait_dscnt 0x0
	v_dual_mul_f32 v3, v43, v41 :: v_dual_mul_f32 v41, v42, v41
	s_delay_alu instid0(VALU_DEP_1) | instskip(NEXT) | instid1(VALU_DEP_1)
	v_dual_fma_f32 v3, v42, v40, -v3 :: v_dual_fmac_f32 v41, v43, v40
	v_dual_add_f32 v38, v38, v3 :: v_dual_add_f32 v39, v39, v41
	s_or_b32 exec_lo, exec_lo, s21
	s_and_saveexec_b32 s21, s4
	s_cbranch_execnz .LBB69_241
	s_branch .LBB69_242
.LBB69_1090:                            ;   in Loop: Header=BB69_3 Depth=1
	ds_load_b64 v[40:41], v73 offset:8864
	ds_load_b64 v[42:43], v55 offset:8328
	s_wait_dscnt 0x0
	v_dual_mul_f32 v3, v43, v41 :: v_dual_mul_f32 v41, v42, v41
	s_delay_alu instid0(VALU_DEP_1) | instskip(NEXT) | instid1(VALU_DEP_1)
	v_dual_fma_f32 v3, v42, v40, -v3 :: v_dual_fmac_f32 v41, v43, v40
	v_dual_add_f32 v38, v38, v3 :: v_dual_add_f32 v39, v39, v41
	s_or_b32 exec_lo, exec_lo, s21
	s_and_saveexec_b32 s21, s13
	s_cbranch_execz .LBB69_330
.LBB69_1091:                            ;   in Loop: Header=BB69_3 Depth=1
	ds_load_b64 v[40:41], v72 offset:9376
	ds_load_b64 v[42:43], v55 offset:8336
	s_wait_dscnt 0x0
	v_dual_mul_f32 v3, v43, v41 :: v_dual_mul_f32 v41, v42, v41
	s_delay_alu instid0(VALU_DEP_1) | instskip(NEXT) | instid1(VALU_DEP_1)
	v_dual_fma_f32 v3, v42, v40, -v3 :: v_dual_fmac_f32 v41, v43, v40
	v_dual_add_f32 v38, v38, v3 :: v_dual_add_f32 v39, v39, v41
	s_or_b32 exec_lo, exec_lo, s21
	s_and_saveexec_b32 s21, s2
	s_cbranch_execnz .LBB69_331
	s_branch .LBB69_332
.LBB69_1092:                            ;   in Loop: Header=BB69_3 Depth=1
	ds_load_b64 v[40:41], v77 offset:8896
	ds_load_b64 v[42:43], v59 offset:8328
	s_wait_dscnt 0x0
	v_dual_mul_f32 v3, v43, v41 :: v_dual_mul_f32 v41, v42, v41
	s_delay_alu instid0(VALU_DEP_1) | instskip(NEXT) | instid1(VALU_DEP_1)
	v_dual_fma_f32 v3, v42, v40, -v3 :: v_dual_fmac_f32 v41, v43, v40
	v_dual_add_f32 v38, v38, v3 :: v_dual_add_f32 v39, v39, v41
	s_or_b32 exec_lo, exec_lo, s21
	s_and_saveexec_b32 s21, s15
	s_cbranch_execz .LBB69_372
.LBB69_1093:                            ;   in Loop: Header=BB69_3 Depth=1
	ds_load_b64 v[40:41], v77 offset:9408
	ds_load_b64 v[42:43], v59 offset:8336
	s_wait_dscnt 0x0
	v_dual_mul_f32 v3, v43, v41 :: v_dual_mul_f32 v41, v42, v41
	s_delay_alu instid0(VALU_DEP_1) | instskip(NEXT) | instid1(VALU_DEP_1)
	v_dual_fma_f32 v3, v42, v40, -v3 :: v_dual_fmac_f32 v41, v43, v40
	v_dual_add_f32 v38, v38, v3 :: v_dual_add_f32 v39, v39, v41
	s_or_b32 exec_lo, exec_lo, s21
	s_and_saveexec_b32 s21, s16
	s_cbranch_execz .LBB69_373
.LBB69_1094:                            ;   in Loop: Header=BB69_3 Depth=1
	ds_load_b64 v[40:41], v77 offset:9920
	ds_load_b64 v[42:43], v59 offset:8344
	s_wait_dscnt 0x0
	v_dual_mul_f32 v3, v43, v41 :: v_dual_mul_f32 v41, v42, v41
	s_delay_alu instid0(VALU_DEP_1) | instskip(NEXT) | instid1(VALU_DEP_1)
	v_dual_fma_f32 v3, v42, v40, -v3 :: v_dual_fmac_f32 v41, v43, v40
	v_dual_add_f32 v38, v38, v3 :: v_dual_add_f32 v39, v39, v41
	s_or_b32 exec_lo, exec_lo, s21
	s_and_saveexec_b32 s21, s17
	s_cbranch_execz .LBB69_374
.LBB69_1095:                            ;   in Loop: Header=BB69_3 Depth=1
	ds_load_b64 v[40:41], v76 offset:10432
	ds_load_b64 v[42:43], v59 offset:8352
	s_wait_dscnt 0x0
	v_dual_mul_f32 v3, v43, v41 :: v_dual_mul_f32 v41, v42, v41
	s_delay_alu instid0(VALU_DEP_1) | instskip(NEXT) | instid1(VALU_DEP_1)
	v_dual_fma_f32 v3, v42, v40, -v3 :: v_dual_fmac_f32 v41, v43, v40
	v_dual_add_f32 v38, v38, v3 :: v_dual_add_f32 v39, v39, v41
	s_or_b32 exec_lo, exec_lo, s21
	s_and_saveexec_b32 s21, s18
	s_cbranch_execz .LBB69_375
.LBB69_1096:                            ;   in Loop: Header=BB69_3 Depth=1
	ds_load_b64 v[40:41], v77 offset:10944
	ds_load_b64 v[42:43], v59 offset:8360
	s_wait_dscnt 0x0
	v_dual_mul_f32 v3, v43, v41 :: v_dual_mul_f32 v45, v42, v41
	s_delay_alu instid0(VALU_DEP_1) | instskip(NEXT) | instid1(VALU_DEP_1)
	v_dual_fma_f32 v44, v42, v40, -v3 :: v_dual_fmac_f32 v45, v43, v40
	v_pk_add_f32 v[38:39], v[38:39], v[44:45]
	s_or_b32 exec_lo, exec_lo, s21
	s_and_saveexec_b32 s21, s4
	s_cbranch_execz .LBB69_376
.LBB69_1097:                            ;   in Loop: Header=BB69_3 Depth=1
	ds_load_b64 v[40:41], v76 offset:11456
	ds_load_b64 v[42:43], v59 offset:8368
	s_wait_dscnt 0x0
	v_pk_mul_f32 v[44:45], v[42:43], v[40:41] op_sel:[1,1] op_sel_hi:[0,1]
	s_delay_alu instid0(VALU_DEP_1) | instskip(SKIP_1) | instid1(VALU_DEP_2)
	v_pk_fma_f32 v[98:99], v[42:43], v[40:41], v[44:45] op_sel_hi:[1,0,1]
	v_pk_fma_f32 v[40:41], v[42:43], v[40:41], v[44:45] neg_lo:[0,0,1] neg_hi:[0,0,1]
	v_mov_b32_e32 v41, v99
	s_delay_alu instid0(VALU_DEP_1)
	v_pk_add_f32 v[38:39], v[38:39], v[40:41]
	s_or_b32 exec_lo, exec_lo, s21
	s_and_saveexec_b32 s21, s13
	s_cbranch_execnz .LBB69_377
	s_branch .LBB69_378
.LBB69_1098:                            ;   in Loop: Header=BB69_3 Depth=1
	ds_load_b64 v[40:41], v73 offset:13024
	ds_load_b64 v[42:43], v55 offset:12488
	s_wait_dscnt 0x0
	v_dual_mul_f32 v3, v43, v41 :: v_dual_mul_f32 v41, v42, v41
	s_delay_alu instid0(VALU_DEP_1) | instskip(NEXT) | instid1(VALU_DEP_1)
	v_dual_fma_f32 v3, v42, v40, -v3 :: v_dual_fmac_f32 v41, v43, v40
	v_dual_add_f32 v38, v38, v3 :: v_dual_add_f32 v39, v39, v41
	s_or_b32 exec_lo, exec_lo, s21
	s_and_saveexec_b32 s21, s13
	s_cbranch_execz .LBB69_434
.LBB69_1099:                            ;   in Loop: Header=BB69_3 Depth=1
	ds_load_b64 v[40:41], v72 offset:13536
	ds_load_b64 v[42:43], v55 offset:12496
	s_wait_dscnt 0x0
	v_dual_mul_f32 v3, v43, v41 :: v_dual_mul_f32 v41, v42, v41
	s_delay_alu instid0(VALU_DEP_1) | instskip(NEXT) | instid1(VALU_DEP_1)
	v_dual_fma_f32 v3, v42, v40, -v3 :: v_dual_fmac_f32 v41, v43, v40
	v_dual_add_f32 v38, v38, v3 :: v_dual_add_f32 v39, v39, v41
	s_or_b32 exec_lo, exec_lo, s21
	s_and_saveexec_b32 s21, s2
	s_cbranch_execnz .LBB69_435
	s_branch .LBB69_436
.LBB69_1100:                            ;   in Loop: Header=BB69_3 Depth=1
	ds_load_b64 v[42:43], v40 offset:15104
	ds_load_b64 v[44:45], v3 offset:232
	s_wait_dscnt 0x0
	v_pk_mul_f32 v[98:99], v[44:45], v[42:43] op_sel:[1,1] op_sel_hi:[0,1]
	s_delay_alu instid0(VALU_DEP_1) | instskip(SKIP_1) | instid1(VALU_DEP_2)
	v_pk_fma_f32 v[100:101], v[44:45], v[42:43], v[98:99] op_sel_hi:[1,0,1]
	v_pk_fma_f32 v[42:43], v[44:45], v[42:43], v[98:99] neg_lo:[0,0,1] neg_hi:[0,0,1]
	v_mov_b32_e32 v43, v101
	s_delay_alu instid0(VALU_DEP_1)
	v_pk_add_f32 v[38:39], v[38:39], v[42:43]
	s_or_b32 exec_lo, exec_lo, s21
	s_and_saveexec_b32 s21, s5
	s_cbranch_execz .LBB69_532
.LBB69_1101:                            ;   in Loop: Header=BB69_3 Depth=1
	ds_load_b64 v[40:41], v40 offset:15616
	ds_load_b64 v[42:43], v3 offset:240
	s_wait_dscnt 0x0
	v_pk_mul_f32 v[44:45], v[42:43], v[40:41] op_sel:[1,1] op_sel_hi:[0,1]
	s_delay_alu instid0(VALU_DEP_1) | instskip(SKIP_1) | instid1(VALU_DEP_2)
	v_pk_fma_f32 v[98:99], v[42:43], v[40:41], v[44:45] op_sel_hi:[1,0,1]
	v_pk_fma_f32 v[40:41], v[42:43], v[40:41], v[44:45] neg_lo:[0,0,1] neg_hi:[0,0,1]
	v_mov_b32_e32 v41, v99
	s_delay_alu instid0(VALU_DEP_1)
	v_pk_add_f32 v[38:39], v[38:39], v[40:41]
	s_or_b32 exec_lo, exec_lo, s21
	s_and_saveexec_b32 s21, s17
	s_cbranch_execnz .LBB69_533
	s_branch .LBB69_534
.LBB69_1102:                            ;   in Loop: Header=BB69_3 Depth=1
	ds_load_b64 v[40:41], v73 offset:17184
	ds_load_b64 v[42:43], v55 offset:16648
	s_wait_dscnt 0x0
	v_dual_mul_f32 v3, v43, v41 :: v_dual_mul_f32 v41, v42, v41
	s_delay_alu instid0(VALU_DEP_1) | instskip(NEXT) | instid1(VALU_DEP_1)
	v_dual_fma_f32 v3, v42, v40, -v3 :: v_dual_fmac_f32 v41, v43, v40
	v_dual_add_f32 v38, v38, v3 :: v_dual_add_f32 v39, v39, v41
	s_or_b32 exec_lo, exec_lo, s21
	s_and_saveexec_b32 s21, s13
	s_cbranch_execz .LBB69_578
.LBB69_1103:                            ;   in Loop: Header=BB69_3 Depth=1
	ds_load_b64 v[40:41], v72 offset:17696
	ds_load_b64 v[42:43], v55 offset:16656
	s_wait_dscnt 0x0
	v_dual_mul_f32 v3, v43, v41 :: v_dual_mul_f32 v41, v42, v41
	s_delay_alu instid0(VALU_DEP_1) | instskip(NEXT) | instid1(VALU_DEP_1)
	v_dual_fma_f32 v3, v42, v40, -v3 :: v_dual_fmac_f32 v41, v43, v40
	v_dual_add_f32 v38, v38, v3 :: v_dual_add_f32 v39, v39, v41
	s_or_b32 exec_lo, exec_lo, s21
	s_and_saveexec_b32 s21, s2
	s_cbranch_execnz .LBB69_579
	s_branch .LBB69_580
.LBB69_1104:                            ;   in Loop: Header=BB69_3 Depth=1
	ds_load_b64 v[40:41], v77 offset:17216
	ds_load_b64 v[42:43], v59 offset:16648
	s_wait_dscnt 0x0
	v_dual_mul_f32 v3, v43, v41 :: v_dual_mul_f32 v41, v42, v41
	s_delay_alu instid0(VALU_DEP_1) | instskip(NEXT) | instid1(VALU_DEP_1)
	v_dual_fma_f32 v3, v42, v40, -v3 :: v_dual_fmac_f32 v41, v43, v40
	v_dual_add_f32 v38, v38, v3 :: v_dual_add_f32 v39, v39, v41
	s_or_b32 exec_lo, exec_lo, s21
	s_and_saveexec_b32 s21, s15
	s_cbranch_execz .LBB69_620
.LBB69_1105:                            ;   in Loop: Header=BB69_3 Depth=1
	ds_load_b64 v[40:41], v77 offset:17728
	ds_load_b64 v[42:43], v59 offset:16656
	s_wait_dscnt 0x0
	v_dual_mul_f32 v3, v43, v41 :: v_dual_mul_f32 v41, v42, v41
	s_delay_alu instid0(VALU_DEP_1) | instskip(NEXT) | instid1(VALU_DEP_1)
	v_dual_fma_f32 v3, v42, v40, -v3 :: v_dual_fmac_f32 v41, v43, v40
	v_dual_add_f32 v38, v38, v3 :: v_dual_add_f32 v39, v39, v41
	s_or_b32 exec_lo, exec_lo, s21
	s_and_saveexec_b32 s21, s16
	s_cbranch_execz .LBB69_621
.LBB69_1106:                            ;   in Loop: Header=BB69_3 Depth=1
	ds_load_b64 v[40:41], v77 offset:18240
	ds_load_b64 v[42:43], v59 offset:16664
	s_wait_dscnt 0x0
	v_dual_mul_f32 v3, v43, v41 :: v_dual_mul_f32 v41, v42, v41
	s_delay_alu instid0(VALU_DEP_1) | instskip(NEXT) | instid1(VALU_DEP_1)
	v_dual_fma_f32 v3, v42, v40, -v3 :: v_dual_fmac_f32 v41, v43, v40
	v_dual_add_f32 v38, v38, v3 :: v_dual_add_f32 v39, v39, v41
	s_or_b32 exec_lo, exec_lo, s21
	s_and_saveexec_b32 s21, s17
	s_cbranch_execz .LBB69_622
.LBB69_1107:                            ;   in Loop: Header=BB69_3 Depth=1
	ds_load_b64 v[40:41], v76 offset:18752
	ds_load_b64 v[42:43], v59 offset:16672
	s_wait_dscnt 0x0
	v_dual_mul_f32 v3, v43, v41 :: v_dual_mul_f32 v41, v42, v41
	s_delay_alu instid0(VALU_DEP_1) | instskip(NEXT) | instid1(VALU_DEP_1)
	v_dual_fma_f32 v3, v42, v40, -v3 :: v_dual_fmac_f32 v41, v43, v40
	v_dual_add_f32 v38, v38, v3 :: v_dual_add_f32 v39, v39, v41
	s_or_b32 exec_lo, exec_lo, s21
	s_and_saveexec_b32 s21, s18
	s_cbranch_execz .LBB69_623
.LBB69_1108:                            ;   in Loop: Header=BB69_3 Depth=1
	ds_load_b64 v[40:41], v77 offset:19264
	ds_load_b64 v[42:43], v59 offset:16680
	s_wait_dscnt 0x0
	v_dual_mul_f32 v3, v43, v41 :: v_dual_mul_f32 v45, v42, v41
	s_delay_alu instid0(VALU_DEP_1) | instskip(NEXT) | instid1(VALU_DEP_1)
	v_dual_fma_f32 v44, v42, v40, -v3 :: v_dual_fmac_f32 v45, v43, v40
	v_pk_add_f32 v[38:39], v[38:39], v[44:45]
	s_or_b32 exec_lo, exec_lo, s21
	s_and_saveexec_b32 s21, s4
	s_cbranch_execz .LBB69_624
.LBB69_1109:                            ;   in Loop: Header=BB69_3 Depth=1
	ds_load_b64 v[40:41], v76 offset:19776
	ds_load_b64 v[42:43], v59 offset:16688
	s_wait_dscnt 0x0
	v_pk_mul_f32 v[44:45], v[42:43], v[40:41] op_sel:[1,1] op_sel_hi:[0,1]
	s_delay_alu instid0(VALU_DEP_1) | instskip(SKIP_1) | instid1(VALU_DEP_2)
	v_pk_fma_f32 v[98:99], v[42:43], v[40:41], v[44:45] op_sel_hi:[1,0,1]
	v_pk_fma_f32 v[40:41], v[42:43], v[40:41], v[44:45] neg_lo:[0,0,1] neg_hi:[0,0,1]
	v_mov_b32_e32 v41, v99
	s_delay_alu instid0(VALU_DEP_1)
	v_pk_add_f32 v[38:39], v[38:39], v[40:41]
	s_or_b32 exec_lo, exec_lo, s21
	s_and_saveexec_b32 s21, s13
	s_cbranch_execnz .LBB69_625
	s_branch .LBB69_626
.LBB69_1110:                            ;   in Loop: Header=BB69_3 Depth=1
	ds_load_b64 v[40:41], v73 offset:21344
	ds_load_b64 v[42:43], v55 offset:20808
	s_wait_dscnt 0x0
	v_dual_mul_f32 v3, v43, v41 :: v_dual_mul_f32 v41, v42, v41
	s_delay_alu instid0(VALU_DEP_1) | instskip(NEXT) | instid1(VALU_DEP_1)
	v_dual_fma_f32 v3, v42, v40, -v3 :: v_dual_fmac_f32 v41, v43, v40
	v_dual_add_f32 v38, v38, v3 :: v_dual_add_f32 v39, v39, v41
	s_or_b32 exec_lo, exec_lo, s21
	s_and_saveexec_b32 s21, s13
	s_cbranch_execz .LBB69_682
.LBB69_1111:                            ;   in Loop: Header=BB69_3 Depth=1
	ds_load_b64 v[40:41], v72 offset:21856
	ds_load_b64 v[42:43], v55 offset:20816
	s_wait_dscnt 0x0
	v_dual_mul_f32 v3, v43, v41 :: v_dual_mul_f32 v41, v42, v41
	s_delay_alu instid0(VALU_DEP_1) | instskip(NEXT) | instid1(VALU_DEP_1)
	v_dual_fma_f32 v3, v42, v40, -v3 :: v_dual_fmac_f32 v41, v43, v40
	v_dual_add_f32 v38, v38, v3 :: v_dual_add_f32 v39, v39, v41
	s_or_b32 exec_lo, exec_lo, s21
	s_and_saveexec_b32 s21, s2
	s_cbranch_execnz .LBB69_683
	s_branch .LBB69_684
.LBB69_1112:                            ;   in Loop: Header=BB69_3 Depth=1
	ds_load_b64 v[40:41], v80 offset:22400
	ds_load_b64 v[42:43], v61 offset:16728
	s_wait_dscnt 0x0
	v_dual_mul_f32 v3, v43, v41 :: v_dual_mul_f32 v41, v42, v41
	s_delay_alu instid0(VALU_DEP_1) | instskip(NEXT) | instid1(VALU_DEP_1)
	v_dual_fma_f32 v3, v42, v40, -v3 :: v_dual_fmac_f32 v41, v43, v40
	v_dual_add_f32 v38, v38, v3 :: v_dual_add_f32 v39, v39, v41
	s_or_b32 exec_lo, exec_lo, s21
	s_and_saveexec_b32 s21, s5
	s_cbranch_execz .LBB69_744
.LBB69_1113:                            ;   in Loop: Header=BB69_3 Depth=1
	ds_load_b64 v[40:41], v79 offset:22912
	ds_load_b64 v[42:43], v61 offset:16736
	s_wait_dscnt 0x0
	v_dual_mul_f32 v3, v43, v41 :: v_dual_mul_f32 v41, v42, v41
	s_delay_alu instid0(VALU_DEP_1) | instskip(NEXT) | instid1(VALU_DEP_1)
	v_dual_fma_f32 v3, v42, v40, -v3 :: v_dual_fmac_f32 v41, v43, v40
	v_dual_add_f32 v38, v38, v3 :: v_dual_add_f32 v39, v39, v41
	s_or_b32 exec_lo, exec_lo, s21
	s_and_saveexec_b32 s21, s15
	s_cbranch_execz .LBB69_745
.LBB69_1114:                            ;   in Loop: Header=BB69_3 Depth=1
	ds_load_b64 v[40:41], v80 offset:23424
	ds_load_b64 v[42:43], v61 offset:16744
	s_wait_dscnt 0x0
	v_dual_mul_f32 v3, v43, v41 :: v_dual_mul_f32 v41, v42, v41
	s_delay_alu instid0(VALU_DEP_1) | instskip(NEXT) | instid1(VALU_DEP_1)
	v_dual_fma_f32 v3, v42, v40, -v3 :: v_dual_fmac_f32 v41, v43, v40
	v_dual_add_f32 v38, v38, v3 :: v_dual_add_f32 v39, v39, v41
	s_or_b32 exec_lo, exec_lo, s21
	s_and_saveexec_b32 s21, s17
	s_cbranch_execz .LBB69_746
.LBB69_1115:                            ;   in Loop: Header=BB69_3 Depth=1
	ds_load_b64 v[40:41], v79 offset:23936
	ds_load_b64 v[42:43], v61 offset:16752
	s_wait_dscnt 0x0
	v_dual_mul_f32 v3, v43, v41 :: v_dual_mul_f32 v41, v42, v41
	s_delay_alu instid0(VALU_DEP_1) | instskip(NEXT) | instid1(VALU_DEP_1)
	v_dual_fma_f32 v3, v42, v40, -v3 :: v_dual_fmac_f32 v41, v43, v40
	v_dual_add_f32 v38, v38, v3 :: v_dual_add_f32 v39, v39, v41
	s_or_b32 exec_lo, exec_lo, s21
	s_and_saveexec_b32 s21, s4
	s_cbranch_execnz .LBB69_747
	s_branch .LBB69_748
.LBB69_1116:                            ;   in Loop: Header=BB69_3 Depth=1
	ds_load_b64 v[40:41], v73 offset:25504
	ds_load_b64 v[42:43], v55 offset:24968
	s_wait_dscnt 0x0
	v_dual_mul_f32 v3, v43, v41 :: v_dual_mul_f32 v41, v42, v41
	s_delay_alu instid0(VALU_DEP_1) | instskip(NEXT) | instid1(VALU_DEP_1)
	v_dual_fma_f32 v3, v42, v40, -v3 :: v_dual_fmac_f32 v41, v43, v40
	v_dual_add_f32 v38, v38, v3 :: v_dual_add_f32 v39, v39, v41
	s_or_b32 exec_lo, exec_lo, s21
	s_and_saveexec_b32 s21, s13
	s_cbranch_execz .LBB69_836
.LBB69_1117:                            ;   in Loop: Header=BB69_3 Depth=1
	ds_load_b64 v[40:41], v72 offset:26016
	ds_load_b64 v[42:43], v55 offset:24976
	s_wait_dscnt 0x0
	v_dual_mul_f32 v3, v43, v41 :: v_dual_mul_f32 v41, v42, v41
	s_delay_alu instid0(VALU_DEP_1) | instskip(NEXT) | instid1(VALU_DEP_1)
	v_dual_fma_f32 v3, v42, v40, -v3 :: v_dual_fmac_f32 v41, v43, v40
	v_dual_add_f32 v38, v38, v3 :: v_dual_add_f32 v39, v39, v41
	s_or_b32 exec_lo, exec_lo, s21
	s_and_saveexec_b32 s21, s2
	s_cbranch_execnz .LBB69_837
	s_branch .LBB69_838
.LBB69_1118:                            ;   in Loop: Header=BB69_3 Depth=1
	ds_load_b64 v[40:41], v77 offset:25536
	ds_load_b64 v[42:43], v59 offset:24968
	s_wait_dscnt 0x0
	v_dual_mul_f32 v3, v43, v41 :: v_dual_mul_f32 v41, v42, v41
	s_delay_alu instid0(VALU_DEP_1) | instskip(NEXT) | instid1(VALU_DEP_1)
	v_dual_fma_f32 v3, v42, v40, -v3 :: v_dual_fmac_f32 v41, v43, v40
	v_dual_add_f32 v38, v38, v3 :: v_dual_add_f32 v39, v39, v41
	s_or_b32 exec_lo, exec_lo, s21
	s_and_saveexec_b32 s21, s15
	s_cbranch_execz .LBB69_878
.LBB69_1119:                            ;   in Loop: Header=BB69_3 Depth=1
	ds_load_b64 v[40:41], v77 offset:26048
	ds_load_b64 v[42:43], v59 offset:24976
	s_wait_dscnt 0x0
	v_dual_mul_f32 v3, v43, v41 :: v_dual_mul_f32 v41, v42, v41
	s_delay_alu instid0(VALU_DEP_1) | instskip(NEXT) | instid1(VALU_DEP_1)
	v_dual_fma_f32 v3, v42, v40, -v3 :: v_dual_fmac_f32 v41, v43, v40
	v_dual_add_f32 v38, v38, v3 :: v_dual_add_f32 v39, v39, v41
	s_or_b32 exec_lo, exec_lo, s21
	s_and_saveexec_b32 s21, s16
	s_cbranch_execz .LBB69_879
.LBB69_1120:                            ;   in Loop: Header=BB69_3 Depth=1
	ds_load_b64 v[40:41], v77 offset:26560
	ds_load_b64 v[42:43], v59 offset:24984
	s_wait_dscnt 0x0
	v_dual_mul_f32 v3, v43, v41 :: v_dual_mul_f32 v41, v42, v41
	s_delay_alu instid0(VALU_DEP_1) | instskip(NEXT) | instid1(VALU_DEP_1)
	v_dual_fma_f32 v3, v42, v40, -v3 :: v_dual_fmac_f32 v41, v43, v40
	v_dual_add_f32 v38, v38, v3 :: v_dual_add_f32 v39, v39, v41
	s_or_b32 exec_lo, exec_lo, s21
	s_and_saveexec_b32 s21, s17
	s_cbranch_execz .LBB69_880
.LBB69_1121:                            ;   in Loop: Header=BB69_3 Depth=1
	ds_load_b64 v[40:41], v76 offset:27072
	ds_load_b64 v[42:43], v59 offset:24992
	s_wait_dscnt 0x0
	v_dual_mul_f32 v3, v43, v41 :: v_dual_mul_f32 v41, v42, v41
	s_delay_alu instid0(VALU_DEP_1) | instskip(NEXT) | instid1(VALU_DEP_1)
	v_dual_fma_f32 v3, v42, v40, -v3 :: v_dual_fmac_f32 v41, v43, v40
	v_dual_add_f32 v38, v38, v3 :: v_dual_add_f32 v39, v39, v41
	s_or_b32 exec_lo, exec_lo, s21
	s_and_saveexec_b32 s21, s18
	s_cbranch_execz .LBB69_881
.LBB69_1122:                            ;   in Loop: Header=BB69_3 Depth=1
	ds_load_b64 v[40:41], v77 offset:27584
	ds_load_b64 v[42:43], v59 offset:25000
	s_wait_dscnt 0x0
	v_dual_mul_f32 v3, v43, v41 :: v_dual_mul_f32 v45, v42, v41
	s_delay_alu instid0(VALU_DEP_1) | instskip(NEXT) | instid1(VALU_DEP_1)
	v_dual_fma_f32 v44, v42, v40, -v3 :: v_dual_fmac_f32 v45, v43, v40
	v_pk_add_f32 v[38:39], v[38:39], v[44:45]
	s_or_b32 exec_lo, exec_lo, s21
	s_and_saveexec_b32 s21, s4
	s_cbranch_execz .LBB69_882
.LBB69_1123:                            ;   in Loop: Header=BB69_3 Depth=1
	ds_load_b64 v[40:41], v76 offset:28096
	ds_load_b64 v[42:43], v59 offset:25008
	s_wait_dscnt 0x0
	v_pk_mul_f32 v[44:45], v[42:43], v[40:41] op_sel:[1,1] op_sel_hi:[0,1]
	s_delay_alu instid0(VALU_DEP_1) | instskip(SKIP_1) | instid1(VALU_DEP_2)
	v_pk_fma_f32 v[98:99], v[42:43], v[40:41], v[44:45] op_sel_hi:[1,0,1]
	v_pk_fma_f32 v[40:41], v[42:43], v[40:41], v[44:45] neg_lo:[0,0,1] neg_hi:[0,0,1]
	v_mov_b32_e32 v41, v99
	s_delay_alu instid0(VALU_DEP_1)
	v_pk_add_f32 v[38:39], v[38:39], v[40:41]
	s_or_b32 exec_lo, exec_lo, s21
	s_and_saveexec_b32 s21, s13
	s_cbranch_execnz .LBB69_883
	s_branch .LBB69_884
.LBB69_1124:                            ;   in Loop: Header=BB69_3 Depth=1
	ds_load_b64 v[40:41], v73 offset:29664
	ds_load_b64 v[42:43], v55 offset:29128
	s_wait_dscnt 0x0
	v_dual_mul_f32 v3, v43, v41 :: v_dual_mul_f32 v41, v42, v41
	s_delay_alu instid0(VALU_DEP_1) | instskip(NEXT) | instid1(VALU_DEP_1)
	v_dual_fma_f32 v3, v42, v40, -v3 :: v_dual_fmac_f32 v41, v43, v40
	v_dual_add_f32 v38, v38, v3 :: v_dual_add_f32 v39, v39, v41
	s_or_b32 exec_lo, exec_lo, s21
	s_and_saveexec_b32 s21, s13
	s_cbranch_execz .LBB69_940
.LBB69_1125:                            ;   in Loop: Header=BB69_3 Depth=1
	ds_load_b64 v[40:41], v72 offset:30176
	ds_load_b64 v[42:43], v55 offset:29136
	s_wait_dscnt 0x0
	v_dual_mul_f32 v3, v43, v41 :: v_dual_mul_f32 v41, v42, v41
	s_delay_alu instid0(VALU_DEP_1) | instskip(NEXT) | instid1(VALU_DEP_1)
	v_dual_fma_f32 v3, v42, v40, -v3 :: v_dual_fmac_f32 v41, v43, v40
	v_dual_add_f32 v38, v38, v3 :: v_dual_add_f32 v39, v39, v41
	s_or_b32 exec_lo, exec_lo, s21
	s_and_saveexec_b32 s21, s2
	s_cbranch_execnz .LBB69_941
	s_branch .LBB69_942
.LBB69_1126:
	s_endpgm
	.section	.rodata,"a",@progbits
	.p2align	6, 0x0
	.amdhsa_kernel _ZL19rocblas_trsv_deviceILi64ELi16ELb1ELb1ELb1ELb1E19rocblas_complex_numIfES1_PKS1_PS1_EviT7_lllT6_T8_lllPii
		.amdhsa_group_segment_fixed_size 41480
		.amdhsa_private_segment_fixed_size 0
		.amdhsa_kernarg_size 352
		.amdhsa_user_sgpr_count 2
		.amdhsa_user_sgpr_dispatch_ptr 0
		.amdhsa_user_sgpr_queue_ptr 0
		.amdhsa_user_sgpr_kernarg_segment_ptr 1
		.amdhsa_user_sgpr_dispatch_id 0
		.amdhsa_user_sgpr_kernarg_preload_length 0
		.amdhsa_user_sgpr_kernarg_preload_offset 0
		.amdhsa_user_sgpr_private_segment_size 0
		.amdhsa_wavefront_size32 1
		.amdhsa_uses_dynamic_stack 0
		.amdhsa_enable_private_segment 0
		.amdhsa_system_sgpr_workgroup_id_x 1
		.amdhsa_system_sgpr_workgroup_id_y 0
		.amdhsa_system_sgpr_workgroup_id_z 1
		.amdhsa_system_sgpr_workgroup_info 0
		.amdhsa_system_vgpr_workitem_id 1
		.amdhsa_next_free_vgpr 107
		.amdhsa_next_free_sgpr 105
		.amdhsa_named_barrier_count 0
		.amdhsa_reserve_vcc 1
		.amdhsa_float_round_mode_32 0
		.amdhsa_float_round_mode_16_64 0
		.amdhsa_float_denorm_mode_32 3
		.amdhsa_float_denorm_mode_16_64 3
		.amdhsa_fp16_overflow 0
		.amdhsa_memory_ordered 1
		.amdhsa_forward_progress 1
		.amdhsa_inst_pref_size 255
		.amdhsa_round_robin_scheduling 0
		.amdhsa_exception_fp_ieee_invalid_op 0
		.amdhsa_exception_fp_denorm_src 0
		.amdhsa_exception_fp_ieee_div_zero 0
		.amdhsa_exception_fp_ieee_overflow 0
		.amdhsa_exception_fp_ieee_underflow 0
		.amdhsa_exception_fp_ieee_inexact 0
		.amdhsa_exception_int_div_zero 0
	.end_amdhsa_kernel
	.section	.text._ZL19rocblas_trsv_deviceILi64ELi16ELb1ELb1ELb1ELb1E19rocblas_complex_numIfES1_PKS1_PS1_EviT7_lllT6_T8_lllPii,"axG",@progbits,_ZL19rocblas_trsv_deviceILi64ELi16ELb1ELb1ELb1ELb1E19rocblas_complex_numIfES1_PKS1_PS1_EviT7_lllT6_T8_lllPii,comdat
.Lfunc_end69:
	.size	_ZL19rocblas_trsv_deviceILi64ELi16ELb1ELb1ELb1ELb1E19rocblas_complex_numIfES1_PKS1_PS1_EviT7_lllT6_T8_lllPii, .Lfunc_end69-_ZL19rocblas_trsv_deviceILi64ELi16ELb1ELb1ELb1ELb1E19rocblas_complex_numIfES1_PKS1_PS1_EviT7_lllT6_T8_lllPii
                                        ; -- End function
	.set _ZL19rocblas_trsv_deviceILi64ELi16ELb1ELb1ELb1ELb1E19rocblas_complex_numIfES1_PKS1_PS1_EviT7_lllT6_T8_lllPii.num_vgpr, 107
	.set _ZL19rocblas_trsv_deviceILi64ELi16ELb1ELb1ELb1ELb1E19rocblas_complex_numIfES1_PKS1_PS1_EviT7_lllT6_T8_lllPii.num_agpr, 0
	.set _ZL19rocblas_trsv_deviceILi64ELi16ELb1ELb1ELb1ELb1E19rocblas_complex_numIfES1_PKS1_PS1_EviT7_lllT6_T8_lllPii.numbered_sgpr, 105
	.set _ZL19rocblas_trsv_deviceILi64ELi16ELb1ELb1ELb1ELb1E19rocblas_complex_numIfES1_PKS1_PS1_EviT7_lllT6_T8_lllPii.num_named_barrier, 0
	.set _ZL19rocblas_trsv_deviceILi64ELi16ELb1ELb1ELb1ELb1E19rocblas_complex_numIfES1_PKS1_PS1_EviT7_lllT6_T8_lllPii.private_seg_size, 0
	.set _ZL19rocblas_trsv_deviceILi64ELi16ELb1ELb1ELb1ELb1E19rocblas_complex_numIfES1_PKS1_PS1_EviT7_lllT6_T8_lllPii.uses_vcc, 1
	.set _ZL19rocblas_trsv_deviceILi64ELi16ELb1ELb1ELb1ELb1E19rocblas_complex_numIfES1_PKS1_PS1_EviT7_lllT6_T8_lllPii.uses_flat_scratch, 0
	.set _ZL19rocblas_trsv_deviceILi64ELi16ELb1ELb1ELb1ELb1E19rocblas_complex_numIfES1_PKS1_PS1_EviT7_lllT6_T8_lllPii.has_dyn_sized_stack, 0
	.set _ZL19rocblas_trsv_deviceILi64ELi16ELb1ELb1ELb1ELb1E19rocblas_complex_numIfES1_PKS1_PS1_EviT7_lllT6_T8_lllPii.has_recursion, 0
	.set _ZL19rocblas_trsv_deviceILi64ELi16ELb1ELb1ELb1ELb1E19rocblas_complex_numIfES1_PKS1_PS1_EviT7_lllT6_T8_lllPii.has_indirect_call, 0
	.section	.AMDGPU.csdata,"",@progbits
; Kernel info:
; codeLenInByte = 41268
; TotalNumSgprs: 107
; NumVgprs: 107
; ScratchSize: 0
; MemoryBound: 0
; FloatMode: 240
; IeeeMode: 1
; LDSByteSize: 41480 bytes/workgroup (compile time only)
; SGPRBlocks: 0
; VGPRBlocks: 6
; NumSGPRsForWavesPerEU: 107
; NumVGPRsForWavesPerEU: 107
; NamedBarCnt: 0
; Occupancy: 9
; WaveLimiterHint : 0
; COMPUTE_PGM_RSRC2:SCRATCH_EN: 0
; COMPUTE_PGM_RSRC2:USER_SGPR: 2
; COMPUTE_PGM_RSRC2:TRAP_HANDLER: 0
; COMPUTE_PGM_RSRC2:TGID_X_EN: 1
; COMPUTE_PGM_RSRC2:TGID_Y_EN: 0
; COMPUTE_PGM_RSRC2:TGID_Z_EN: 1
; COMPUTE_PGM_RSRC2:TIDIG_COMP_CNT: 1
	.section	.text._ZL19rocblas_trsv_deviceILi64ELi16ELb1ELb0ELb0ELb0E19rocblas_complex_numIfES1_PKS1_PS1_EviT7_lllT6_T8_lllPii,"axG",@progbits,_ZL19rocblas_trsv_deviceILi64ELi16ELb1ELb0ELb0ELb0E19rocblas_complex_numIfES1_PKS1_PS1_EviT7_lllT6_T8_lllPii,comdat
	.globl	_ZL19rocblas_trsv_deviceILi64ELi16ELb1ELb0ELb0ELb0E19rocblas_complex_numIfES1_PKS1_PS1_EviT7_lllT6_T8_lllPii ; -- Begin function _ZL19rocblas_trsv_deviceILi64ELi16ELb1ELb0ELb0ELb0E19rocblas_complex_numIfES1_PKS1_PS1_EviT7_lllT6_T8_lllPii
	.p2align	8
	.type	_ZL19rocblas_trsv_deviceILi64ELi16ELb1ELb0ELb0ELb0E19rocblas_complex_numIfES1_PKS1_PS1_EviT7_lllT6_T8_lllPii,@function
_ZL19rocblas_trsv_deviceILi64ELi16ELb1ELb0ELb0ELb0E19rocblas_complex_numIfES1_PKS1_PS1_EviT7_lllT6_T8_lllPii: ; @_ZL19rocblas_trsv_deviceILi64ELi16ELb1ELb0ELb0ELb0E19rocblas_complex_numIfES1_PKS1_PS1_EviT7_lllT6_T8_lllPii
; %bb.0:
	s_load_b32 s6, s[0:1], 0x58
	s_bfe_u32 s2, ttmp6, 0x40014
	s_lshr_b32 s3, ttmp7, 16
	s_add_co_i32 s2, s2, 1
	s_bfe_u32 s4, ttmp6, 0x40008
	s_mul_i32 s2, s3, s2
	s_getreg_b32 s5, hwreg(HW_REG_IB_STS2, 6, 4)
	s_add_co_i32 s4, s4, s2
	s_cmp_eq_u32 s5, 0
	s_mov_b32 s85, 0
	s_cselect_b32 s84, s3, s4
                                        ; implicit-def: $vgpr92 : SGPR spill to VGPR lane
	s_wait_kmcnt 0x0
	s_cmp_ge_u32 s84, s6
	v_writelane_b32 v92, s6, 0
	s_cbranch_scc1 .LBB70_1098
; %bb.1:
	s_clause 0x5
	s_load_b256 s[68:75], s[0:1], 0x8
	s_load_b256 s[76:83], s[0:1], 0x30
	s_load_b32 s4, s[0:1], 0x6c
	s_load_b32 s103, s[0:1], 0x0
	s_load_b64 s[86:87], s[0:1], 0x50
	s_load_b64 s[18:19], s[0:1], 0x28
	s_wait_xcnt 0x0
	s_bfe_u32 s1, ttmp6, 0x4000c
	s_and_b32 s0, ttmp6, 15
	s_add_co_i32 s1, s1, 1
	v_bfe_u32 v40, v0, 10, 10
	s_mul_i32 s1, ttmp9, s1
	v_mov_b32_e32 v1, 0
	s_add_co_i32 s6, s0, s1
	v_and_b32_e32 v2, 0x3ff, v0
	v_dual_lshlrev_b32 v11, 6, v40 :: v_dual_add_nc_u32 v38, 16, v40
	s_delay_alu instid0(VALU_DEP_3) | instskip(NEXT) | instid1(VALU_DEP_2)
	v_dual_add_nc_u32 v37, 32, v40 :: v_dual_mov_b32 v5, v1
	v_dual_mov_b32 v3, v1 :: v_dual_add_nc_u32 v34, v11, v2
	s_wait_kmcnt 0x0
	s_lshl_b64 s[0:1], s[70:71], 3
	s_lshl_b64 s[2:3], s[78:79], 3
	s_cmp_eq_u32 s5, 0
	s_add_nc_u64 s[0:1], s[68:69], s[0:1]
	s_cselect_b32 s104, ttmp9, s6
	s_and_b32 s6, s4, 0xffff
	s_add_co_i32 s4, s103, -1
	s_ashr_i32 s5, s103, 31
	s_ashr_i32 s7, s4, 31
	s_lshr_b32 s5, s5, 26
	s_lshr_b32 s7, s7, 26
	s_add_co_i32 s5, s103, s5
	s_add_co_i32 s4, s4, s7
	s_and_not1_b32 s5, s5, 63
	s_ashr_i32 s4, s4, 6
	s_sub_co_i32 s15, s103, s5
	s_cmp_eq_u32 s4, s104
	v_writelane_b32 v92, s0, 1
	s_cselect_b32 s7, -1, 0
	s_cmp_lg_u32 s15, 0
	s_add_nc_u64 s[4:5], s[72:73], 1
	s_cselect_b32 s8, -1, 0
	s_lshl_b32 s10, s104, 6
	s_delay_alu instid0(SALU_CYCLE_1)
	v_dual_add_nc_u32 v24, s10, v40 :: v_dual_bitop2_b32 v10, v11, v2 bitop3:0x14
	v_writelane_b32 v92, s1, 2
	v_add_nc_u32_e32 v6, s10, v2
	v_mad_nc_u64_u32 v[22:23], s4, s10, v[2:3]
	v_and_b32_e32 v3, v11, v2
	v_lshrrev_b16 v10, 1, v10
	s_add_nc_u64 s[0:1], s[76:77], s[2:3]
	v_subrev_nc_u32_e32 v14, 64, v24
	v_writelane_b32 v92, s0, 3
	v_ashrrev_i32_e32 v7, 31, v6
	v_add_nc_u16 v12, v3, v10
	v_and_b32_e32 v10, 1, v0
	s_and_b32 s16, s8, s7
	v_writelane_b32 v92, s1, 4
	v_sub_co_u32 v41, s0, s104, 1
	s_ashr_i32 s11, s10, 31
	s_xor_b32 s0, s0, -1
	v_dual_ashrrev_i32 v15, 31, v14 :: v_dual_lshrrev_b32 v3, 10, v0
	s_xor_b32 s43, s16, -1
	v_and_b32_e32 v11, 0xffff, v12
	v_lshlrev_b32_e32 v12, 3, v10
	s_mul_i32 s1, s4, s11
	s_mul_i32 s2, s5, s10
	s_cmp_gt_i32 s104, 4
	v_add3_u32 v23, s1, s2, v23
	s_cselect_b32 s1, -1, 0
	v_cmp_eq_u32_e64 s2, 1, v10
	s_and_b32 s44, s1, s43
	v_bitop3_b32 v35, v0, v3, 0x3ff bitop3:0xa8
	v_lshl_add_u32 v3, v11, 3, 0x8000
	v_lshl_or_b32 v42, v11, 9, v12
	v_mul_u32_u24_e32 v43, 0x208, v11
	v_and_b32_e32 v11, 3, v0
	v_cmp_gt_u32_e64 s1, 4, v34
	s_xor_b32 s3, s2, -1
	v_lshrrev_b32_e32 v10, 2, v34
	v_mad_u32_u24 v4, v40, s6, v2
	v_cmp_ne_u32_e64 s4, 0, v11
	s_and_b32 s45, s3, s1
	s_and_b32 s46, s2, s1
	v_cmp_gt_u32_e64 s2, 16, v34
	v_cmp_eq_u32_e64 s3, 0, v11
	v_lshlrev_b32_e32 v45, 3, v11
	v_cmp_eq_u32_e64 s5, 1, v11
	v_cmp_lt_u32_e64 s6, 1, v11
	s_and_b32 s48, s4, s2
	s_and_b32 s47, s3, s2
	v_cmp_eq_u32_e64 s3, 2, v11
	v_cmp_eq_u32_e64 s4, 3, v11
	v_dual_lshlrev_b32 v12, 3, v10 :: v_dual_bitop2_b32 v11, 7, v0 bitop3:0x40
	v_mul_u32_u24_e32 v46, 0x208, v10
	v_lshlrev_b32_e32 v44, 3, v2
	v_lshl_or_b32 v48, v10, 9, v45
	s_and_b32 s49, s5, s2
	s_and_b32 s51, s3, s2
	v_sub_nc_u32_e32 v10, v46, v12
	s_and_b32 s52, s4, s2
	v_cmp_gt_u32_e64 s3, 64, v34
	v_cmp_eq_u32_e64 s4, 0, v11
	v_cmp_ne_u32_e64 s5, 0, v11
	v_dual_add_nc_u32 v49, v10, v45 :: v_dual_lshrrev_b32 v10, 3, v34
	v_lshlrev_b32_e32 v51, 3, v11
	s_and_b32 s53, s4, s3
	v_cmp_eq_u32_e64 s4, 1, v11
	s_and_b32 s54, s5, s3
	v_cmp_lt_u32_e64 s5, 1, v11
	v_dual_mov_b32 v30, 0 :: v_dual_add_nc_u32 v47, 0x8000, v12
	v_and_b32_e32 v12, 0x1fff8, v34
	v_mul_u32_u24_e32 v50, 0x208, v10
	s_and_b32 s55, s4, s3
	v_cmp_eq_u32_e64 s4, 3, v11
	s_and_b32 s56, s5, s3
	v_cmp_lt_u32_e64 s5, 3, v11
	v_sub_nc_u32_e32 v13, v50, v12
	v_add_nc_u32_e32 v52, 0x8000, v12
	s_and_b32 s59, s4, s3
	v_cmp_eq_u32_e64 s4, 4, v11
	s_and_b32 s60, s5, s3
	v_cmp_lt_u32_e64 s5, 5, v11
	v_lshl_or_b32 v53, v10, 9, v51
	v_dual_lshrrev_b32 v10, 4, v34 :: v_dual_add_nc_u32 v54, v13, v51
	v_and_b32_e32 v12, 15, v0
	s_and_b32 s61, s4, s3
	s_and_b32 s64, s5, s3
	v_cmp_eq_u32_e64 s4, 6, v11
	v_cmp_eq_u32_e64 s5, 7, v11
	s_and_b32 s50, s6, s2
	v_cmp_eq_u32_e64 s6, 2, v11
	v_cmp_lt_u32_e64 s7, 2, v11
	s_and_b32 s65, s4, s3
	s_and_b32 s66, s5, s3
	v_cmp_gt_u32_e64 s4, 0x100, v34
	v_cmp_eq_u32_e64 s5, 0, v12
	s_and_b32 s57, s6, s3
	v_cmp_lt_u32_e64 s6, 4, v11
	s_and_b32 s58, s7, s3
	v_cmp_eq_u32_e64 s7, 5, v11
	s_and_b32 s67, s5, s4
	v_cmp_eq_u32_e64 s5, 2, v12
	s_and_b32 s62, s6, s3
	v_cmp_ne_u32_e64 s6, 0, v12
	s_and_b32 s63, s7, s3
	v_cmp_eq_u32_e64 s7, 1, v12
	s_and_b32 s13, s5, s4
	v_cmp_lt_u32_e64 s5, 3, v12
	s_and_b32 s68, s6, s4
	v_cmp_lt_u32_e64 s6, 2, v12
	v_cmp_lt_u32_e64 s8, 1, v12
	s_and_b32 s69, s7, s4
	s_and_b32 s27, s5, s4
	v_cmp_eq_u32_e64 s5, 5, v12
	s_and_b32 s23, s6, s4
	v_cmp_lt_u32_e64 s6, 4, v12
	s_and_b32 s12, s8, s4
	v_cmp_eq_u32_e64 s7, 3, v12
	s_and_b32 s34, s5, s4
	v_cmp_eq_u32_e64 s5, 7, v12
	;; [unrolled: 2-line block ×3, first 2 shown]
	v_cmp_eq_u32_e64 s8, 4, v12
	s_and_b32 s25, s7, s4
	s_and_b32 s41, s5, s4
	v_cmp_lt_u32_e64 s5, 8, v12
	s_and_b32 s39, s6, s4
	v_cmp_lt_u32_e64 s6, 7, v12
	;; [unrolled: 2-line block ×3, first 2 shown]
	s_and_b32 s90, s5, s4
	v_cmp_eq_u32_e64 s5, 10, v12
	v_cmp_lt_u32_e64 s8, 6, v12
	v_dual_lshlrev_b32 v11, 3, v10 :: v_dual_lshlrev_b32 v56, 3, v12
	v_mul_u32_u24_e32 v55, 0x208, v10
	s_and_b32 s89, s5, s4
	v_cmp_eq_u32_e64 s5, 12, v12
	s_and_b32 s42, s6, s4
	v_cmp_lt_u32_e64 s6, 9, v12
	s_and_b32 s38, s7, s4
	s_and_b32 s40, s8, s4
	v_cmp_eq_u32_e64 s7, 8, v12
	v_cmp_eq_u32_e64 s8, 9, v12
	s_and_b32 s30, s5, s4
	v_cmp_lt_u32_e64 s5, 13, v12
	v_sub_nc_u32_e32 v13, v55, v11
	v_lshl_or_b32 v58, v10, 9, v56
	s_and_b32 s88, s6, s4
	v_cmp_eq_u32_e64 s6, 11, v12
	v_dual_lshrrev_b32 v10, 5, v34 :: v_dual_bitop2_b32 v60, 31, v0 bitop3:0x40
	s_and_b32 s9, s7, s4
	s_and_b32 s91, s8, s4
	v_cmp_lt_u32_e64 s7, 10, v12
	v_cmp_lt_u32_e64 s8, 11, v12
	s_and_b32 s79, s5, s4
	v_cmp_eq_u32_e64 s5, 15, v12
	v_cmp_le_i32_e64 s14, s15, v2
	s_and_b32 s26, s6, s4
	v_cmp_lt_u32_e64 s6, 12, v12
	v_dual_lshlrev_b32 v62, 9, v10 :: v_dual_lshlrev_b32 v63, 3, v60
	v_lshlrev_b32_e32 v76, 9, v60
	s_and_b32 s24, s7, s4
	s_and_b32 s28, s8, s4
	v_cmp_eq_u32_e64 s7, 13, v12
	v_cmp_eq_u32_e64 s8, 14, v12
	s_and_b32 s76, s5, s4
	v_cmp_eq_u32_e64 s5, 0, v40
	s_and_b32 s77, s14, s16
	v_cmp_gt_i32_e32 vcc_lo, s15, v2
	s_and_b32 s33, s6, s4
	v_dual_add_nc_u32 v0, s10, v4 :: v_dual_bitop2_b32 v65, v62, v63 bitop3:0x54
	s_xor_b32 s6, s77, -1
	v_writelane_b32 v92, s0, 5
	s_and_b32 s78, s7, s4
	s_and_b32 s8, s8, s4
	s_and_b32 vcc_hi, s5, s6
	s_xor_b32 s16, s19, 0x80000000
	s_cmp_gt_i32 s104, 0
	v_cmp_gt_i32_e64 s0, s103, v6
	v_dual_add_nc_u32 v59, v13, v56 :: v_dual_lshlrev_b32 v61, 3, v10
	s_cselect_b32 s102, -1, 0
	v_mul_u64_e32 v[12:13], s[80:81], v[0:1]
	s_and_b32 s6, s5, vcc_lo
	v_subrev_nc_u32_e32 v0, 48, v24
	v_cmp_gt_i32_e32 vcc_lo, s103, v14
	v_writelane_b32 v92, s6, 6
	v_add_nc_u64_e32 v[18:19], s[10:11], v[4:5]
	v_subrev_nc_u32_e32 v5, 32, v24
	v_cmp_gt_i32_e64 s6, s103, v0
	s_and_b32 s10, s0, vcc_lo
	v_cmp_le_i32_e32 vcc_lo, s15, v40
	v_writelane_b32 v92, s10, 7
	v_cmp_gt_i32_e64 s7, s103, v5
	s_and_b32 s6, s0, s6
	v_cmp_le_u32_e64 s10, v2, v40
	v_dual_add_nc_u32 v36, 48, v40 :: v_dual_bitop2_b32 v77, v37, v2 bitop3:0x54
	v_writelane_b32 v92, s6, 8
	s_and_b32 s6, s0, s7
	v_cmp_le_i32_e64 s7, s15, v38
	s_delay_alu instid0(VALU_DEP_3)
	v_cmp_ne_u32_e64 s11, v2, v36
	s_mov_b32 s17, s19
	v_writelane_b32 v92, s6, 9
	s_or_b32 s6, vcc_lo, s14
	v_cmp_le_i32_e32 vcc_lo, s15, v37
	s_or_b32 s6, s6, s10
	s_mov_b32 s19, s18
	v_writelane_b32 v92, s10, 10
	v_cmp_ne_u32_e64 s10, v2, v37
                                        ; implicit-def: $vgpr91 : SGPR spill to VGPR lane
	v_add_max_i32_e64 v0, v24, -16, v6
	v_lshl_add_u32 v67, v40, 3, 0xa000
	v_or_b32_e32 v39, v38, v2
	v_writelane_b32 v92, s6, 11
	s_or_b32 s6, s7, s14
	v_cmp_le_u32_e64 s7, v2, v38
	v_add_nc_u32_e32 v71, v67, v44
	v_mbcnt_lo_u32_b32 v24, -1, 0
	v_or_b32_e32 v78, v36, v2
                                        ; implicit-def: $vgpr90 : SGPR spill to VGPR lane
	v_mul_u64_e32 v[8:9], s[72:73], v[14:15]
	v_writelane_b32 v92, s7, 12
	s_or_b32 s6, s6, s7
	v_cmp_le_u32_e64 s7, v2, v37
	v_lshlrev_b32_e32 v31, 20, v24
	v_add_nc_u32_e32 v57, 0x8000, v11
	v_writelane_b32 v92, s6, 13
	s_or_b32 s6, vcc_lo, s14
	v_cmp_le_i32_e32 vcc_lo, s15, v36
	s_or_b32 s6, s6, s7
	v_mul_u64_e32 v[10:11], s[80:81], v[6:7]
	v_writelane_b32 v92, s7, 14
	v_cmp_le_u32_e64 s7, v2, v36
	v_mul_u64_e32 v[18:19], s[80:81], v[18:19]
	v_mad_nc_u64_u32 v[14:15], s72, v40, v[22:23]
	v_mad_nc_u64_u32 v[16:17], s72, v38, v[22:23]
	v_writelane_b32 v92, s6, 15
	s_or_b32 s6, vcc_lo, s14
	v_mad_nc_u64_u32 v[20:21], s72, v37, v[22:23]
	s_or_b32 s6, s6, s7
	v_mad_nc_u64_u32 v[22:23], s72, v36, v[22:23]
	v_writelane_b32 v92, s7, 16
	v_cmp_ne_u32_e64 s7, v2, v38
	v_add_nc_u64_e32 v[24:25], src_flat_scratch_base_lo, v[30:31]
	v_dual_mov_b32 v30, 8 :: v_dual_add_nc_u32 v69, 0x8000, v44
	v_writelane_b32 v92, s6, 17
	v_cmp_ne_u32_e64 s6, v2, v40
	v_mad_u32 v15, s73, v40, v15
	s_delay_alu instid0(VALU_DEP_4)
	v_add_nc_u64_e32 v[26:27], src_flat_scratch_base_lo, v[30:31]
	v_mov_b32_e32 v30, 16
	v_mad_u32 v17, s73, v38, v17
	v_writelane_b32 v92, s6, 18
	s_or_b32 s6, s14, s6
	v_mad_u32 v21, s73, v37, v21
	v_add_nc_u64_e32 v[28:29], src_flat_scratch_base_lo, v[30:31]
	v_dual_mov_b32 v30, 24 :: v_dual_add_nc_u32 v76, v63, v76
	v_writelane_b32 v92, s6, 19
	s_or_b32 s6, s14, s7
	v_mad_u32 v23, s73, v36, v23
	s_delay_alu instid0(VALU_DEP_3)
	v_add_nc_u64_e32 v[30:31], src_flat_scratch_base_lo, v[30:31]
	v_mov_b64_e32 v[32:33], 0
	v_writelane_b32 v92, s7, 20
	v_cmp_gt_u32_e64 s7, 0xf0, v34
	v_cmp_lt_u32_e32 vcc_lo, 0x3ff, v34
	v_add_nc_u32_e32 v64, 0x8000, v61
	v_lshl_add_u32 v66, v4, 3, 0xa000
	v_writelane_b32 v92, s6, 21
	s_or_b32 s6, s14, s10
	v_lshl_add_u32 v68, v34, 3, 0x8000
	v_lshl_add_u32 v70, v40, 9, v44
	;; [unrolled: 1-line block ×3, first 2 shown]
	v_writelane_b32 v92, s10, 22
	v_lshl_add_u32 v5, v38, 9, v44
	v_lshl_add_u32 v73, v37, 9, v44
	;; [unrolled: 1-line block ×3, first 2 shown]
	v_or_b32_e32 v75, 0x4100, v63
	v_writelane_b32 v92, s6, 23
	s_or_b32 s6, s14, s11
	v_cmp_eq_u32_e64 s14, 0, v35
	v_cmp_gt_u32_e64 s15, 2, v34
	v_cmp_gt_u32_e64 s20, 40, v34
	v_writelane_b32 v92, s11, 24
	v_cmp_gt_u32_e64 s21, 32, v34
	v_cmp_gt_u32_e64 s22, 24, v34
	;; [unrolled: 1-line block ×3, first 2 shown]
	v_cmp_eq_u32_e64 s36, 0, v4
	v_writelane_b32 v92, s6, 25
	v_cmp_gt_u32_e64 s37, 64, v4
	s_xor_b32 s6, vcc_lo, -1
	s_lshl_b64 s[92:93], s[72:73], 7
	s_lshl_b64 s[94:95], s[72:73], 8
	v_writelane_b32 v92, s16, 26
	s_mul_u64 s[96:97], s[72:73], 0x180
	v_writelane_b32 v92, s17, 27
	v_cmp_gt_u32_e64 s16, 12, v34
	v_cmp_gt_u32_e64 s17, 8, v34
	v_writelane_b32 v92, s18, 28
	v_writelane_b32 v92, s19, 29
	v_cmp_gt_u32_e64 s18, 56, v34
	v_cmp_gt_u32_e64 s19, 48, v34
	v_writelane_b32 v92, s7, 30
	v_cmp_gt_u32_e64 s7, 0xe0, v34
	s_delay_alu instid0(VALU_DEP_1) | instskip(SKIP_1) | instid1(VALU_DEP_1)
	v_writelane_b32 v92, s7, 31
	v_cmp_gt_u32_e64 s7, 0xd0, v34
	v_writelane_b32 v91, s7, 0
	v_cmp_gt_u32_e64 s7, 0xc0, v34
	s_delay_alu instid0(VALU_DEP_1) | instskip(SKIP_1) | instid1(VALU_DEP_1)
	v_writelane_b32 v91, s7, 1
	;; [unrolled: 5-line block ×5, first 2 shown]
	v_cmp_gt_u32_e64 s7, 0x50, v34
	v_writelane_b32 v91, s7, 8
	v_cmp_ge_u32_e64 s7, v2, v40
	s_delay_alu instid0(VALU_DEP_1) | instskip(SKIP_1) | instid1(VALU_DEP_1)
	v_writelane_b32 v91, s7, 9
	v_cmp_ge_u32_e64 s7, v2, v38
	v_writelane_b32 v91, s7, 10
	v_cmp_ge_u32_e64 s7, v2, v37
	s_delay_alu instid0(VALU_DEP_1) | instskip(SKIP_1) | instid1(VALU_DEP_1)
	v_writelane_b32 v91, s7, 11
	v_cmp_ge_u32_e64 s7, v2, v36
	v_writelane_b32 v91, s7, 12
	v_cmp_le_i32_e64 s7, s103, v0
	s_delay_alu instid0(VALU_DEP_1) | instskip(SKIP_1) | instid1(VALU_DEP_1)
	v_writelane_b32 v91, s7, 13
	v_cmp_gt_u32_e64 s7, 64, v35
	v_writelane_b32 v91, s7, 14
	v_cmp_gt_u32_e64 s7, 64, v39
	s_delay_alu instid0(VALU_DEP_1) | instskip(SKIP_1) | instid1(VALU_DEP_1)
	v_writelane_b32 v91, s7, 15
	v_cmp_gt_u32_e64 s7, 64, v77
	v_writelane_b32 v91, s7, 16
	v_cmp_gt_u32_e64 s7, 64, v78
	s_delay_alu instid0(VALU_DEP_1) | instskip(SKIP_1) | instid1(VALU_DEP_1)
	v_writelane_b32 v91, s7, 17
	v_cmp_gt_u32_e64 s7, 0x3e0, v34
	v_writelane_b32 v91, s7, 18
	v_cmp_gt_u32_e64 s7, 0x3c0, v34
	s_delay_alu instid0(VALU_DEP_1) | instskip(SKIP_1) | instid1(VALU_DEP_1)
	v_writelane_b32 v91, s7, 19
	v_cmp_gt_u32_e64 s7, 0x3a0, v34
	v_writelane_b32 v91, s7, 20
	v_cmp_gt_u32_e64 s7, 0x380, v34
	s_delay_alu instid0(VALU_DEP_1) | instskip(SKIP_1) | instid1(VALU_DEP_1)
	v_writelane_b32 v91, s7, 21
	v_cmp_gt_u32_e64 s7, 0x360, v34
	v_writelane_b32 v91, s7, 22
	v_cmp_gt_u32_e64 s7, 0x340, v34
	s_delay_alu instid0(VALU_DEP_1) | instskip(SKIP_1) | instid1(VALU_DEP_1)
	v_writelane_b32 v91, s7, 23
	v_cmp_gt_u32_e64 s7, 0x320, v34
	v_writelane_b32 v91, s7, 24
	v_cmp_gt_u32_e64 s7, 0x300, v34
	s_delay_alu instid0(VALU_DEP_1) | instskip(SKIP_1) | instid1(VALU_DEP_1)
	v_writelane_b32 v91, s7, 25
	v_cmp_gt_u32_e64 s7, 0x2e0, v34
	v_writelane_b32 v91, s7, 26
	v_cmp_gt_u32_e64 s7, 0x2c0, v34
	s_delay_alu instid0(VALU_DEP_1) | instskip(SKIP_1) | instid1(VALU_DEP_1)
	v_writelane_b32 v91, s7, 27
	v_cmp_gt_u32_e64 s7, 0x2a0, v34
	v_writelane_b32 v91, s7, 28
	v_cmp_gt_u32_e64 s7, 0x280, v34
	s_delay_alu instid0(VALU_DEP_1) | instskip(SKIP_1) | instid1(VALU_DEP_1)
	v_writelane_b32 v91, s7, 29
	v_cmp_gt_u32_e64 s7, 0x260, v34
	v_writelane_b32 v91, s7, 30
	v_cmp_gt_u32_e64 s7, 0x240, v34
	s_delay_alu instid0(VALU_DEP_1) | instskip(SKIP_1) | instid1(VALU_DEP_1)
	v_writelane_b32 v91, s7, 31
	v_cmp_gt_u32_e64 s7, 0x220, v34
	v_writelane_b32 v90, s7, 0
	v_cmp_gt_u32_e64 s7, 0x200, v34
	s_delay_alu instid0(VALU_DEP_1) | instskip(SKIP_1) | instid1(VALU_DEP_1)
	v_writelane_b32 v90, s7, 1
	v_cmp_gt_u32_e64 s7, 0x1e0, v34
	v_writelane_b32 v90, s7, 2
	v_cmp_gt_u32_e64 s7, 0x1c0, v34
	s_delay_alu instid0(VALU_DEP_1) | instskip(SKIP_1) | instid1(VALU_DEP_1)
	v_writelane_b32 v90, s7, 3
	v_cmp_gt_u32_e64 s7, 0x1a0, v34
	v_writelane_b32 v90, s7, 4
	v_cmp_gt_u32_e64 s7, 0x180, v34
	s_delay_alu instid0(VALU_DEP_1) | instskip(SKIP_1) | instid1(VALU_DEP_1)
	v_writelane_b32 v90, s7, 5
	v_cmp_gt_u32_e64 s7, 0x160, v34
	v_writelane_b32 v90, s7, 6
	v_cmp_gt_u32_e64 s7, 0x140, v34
	s_delay_alu instid0(VALU_DEP_1) | instskip(SKIP_1) | instid1(VALU_DEP_1)
	v_writelane_b32 v90, s7, 7
	v_cmp_gt_u32_e64 s7, 0x120, v34
	v_writelane_b32 v90, s7, 8
	s_branch .LBB70_3
.LBB70_2:                               ;   in Loop: Header=BB70_3 Depth=1
	s_wait_xcnt 0x0
	s_or_b32 exec_lo, exec_lo, s7
	v_readlane_b32 s7, v92, 0
	s_add_co_i32 s84, s84, 0x10000
	global_wb scope:SCOPE_DEV
	s_wait_storecnt 0x0
	global_inv scope:SCOPE_DEV
	s_cmp_lt_u32 s84, s7
	s_cbranch_scc0 .LBB70_1098
.LBB70_3:                               ; =>This Loop Header: Depth=1
                                        ;     Child Loop BB70_588 Depth 2
                                        ;     Child Loop BB70_996 Depth 2
                                        ;       Child Loop BB70_998 Depth 3
                                        ;     Child Loop BB70_1030 Depth 2
	v_readlane_b32 s10, v92, 1
	v_readlane_b32 s7, v92, 5
	;; [unrolled: 1-line block ×3, first 2 shown]
	s_mul_u64 s[70:71], s[74:75], s[84:85]
	s_delay_alu instid0(SALU_CYCLE_1)
	s_lshl_b64 s[70:71], s[70:71], 3
	s_and_not1_b32 vcc_lo, exec_lo, s7
	s_add_nc_u64 s[70:71], s[10:11], s[70:71]
	s_cbranch_vccz .LBB70_6
; %bb.4:                                ;   in Loop: Header=BB70_3 Depth=1
	s_and_not1_b32 vcc_lo, exec_lo, s43
	s_mov_b32 s7, -1
	s_cbranch_vccz .LBB70_17
.LBB70_5:                               ;   in Loop: Header=BB70_3 Depth=1
	s_and_b32 vcc_lo, exec_lo, s7
	s_cbranch_vccnz .LBB70_74
	s_branch .LBB70_131
.LBB70_6:                               ;   in Loop: Header=BB70_3 Depth=1
	v_lshl_add_u64 v[34:35], v[8:9], 3, s[70:71]
	v_dual_mov_b32 v36, 0 :: v_dual_mov_b32 v38, 0
	v_mov_b32_e32 v39, 0
	v_readlane_b32 s10, v92, 7
	s_delay_alu instid0(VALU_DEP_4)
	v_lshl_add_u64 v[34:35], v[6:7], 3, v[34:35]
	s_barrier_signal -1
	s_barrier_wait -1
	s_and_saveexec_b32 s7, s10
	s_cbranch_execz .LBB70_8
; %bb.7:                                ;   in Loop: Header=BB70_3 Depth=1
	global_load_b64 v[38:39], v[34:35], off
.LBB70_8:                               ;   in Loop: Header=BB70_3 Depth=1
	s_wait_xcnt 0x0
	s_or_b32 exec_lo, exec_lo, s7
	v_mov_b32_e32 v37, 0
	v_readlane_b32 s10, v92, 8
	s_wait_loadcnt 0x0
	scratch_store_b64 off, v[38:39], off
	s_wait_storecnt 0x0
	s_barrier_signal -1
	s_barrier_wait -1
	s_wait_xcnt 0x0
	s_and_saveexec_b32 s7, s10
	s_cbranch_execz .LBB70_10
; %bb.9:                                ;   in Loop: Header=BB70_3 Depth=1
	v_add_nc_u64_e32 v[36:37], s[92:93], v[34:35]
	global_load_b64 v[36:37], v[36:37], off
.LBB70_10:                              ;   in Loop: Header=BB70_3 Depth=1
	s_wait_xcnt 0x0
	s_or_b32 exec_lo, exec_lo, s7
	s_wait_loadcnt 0x0
	scratch_store_b64 off, v[36:37], off offset:8
	s_wait_xcnt 0x0
	v_dual_mov_b32 v36, 0 :: v_dual_mov_b32 v37, 0
	v_readlane_b32 s10, v92, 9
	s_wait_storecnt 0x0
	s_barrier_signal -1
	s_barrier_wait -1
	s_and_saveexec_b32 s7, s10
	s_cbranch_execz .LBB70_12
; %bb.11:                               ;   in Loop: Header=BB70_3 Depth=1
	v_add_nc_u64_e32 v[36:37], s[94:95], v[34:35]
	global_load_b64 v[36:37], v[36:37], off
.LBB70_12:                              ;   in Loop: Header=BB70_3 Depth=1
	s_wait_xcnt 0x0
	s_or_b32 exec_lo, exec_lo, s7
	v_readlane_b32 s10, v91, 13
	s_wait_loadcnt 0x0
	scratch_store_b64 off, v[36:37], off offset:16
	s_wait_storecnt 0x0
	s_barrier_signal -1
	s_barrier_wait -1
	s_wait_xcnt 0x0
	s_and_saveexec_b32 s7, s10
	s_delay_alu instid0(SALU_CYCLE_1)
	s_xor_b32 s7, exec_lo, s7
	s_cbranch_execz .LBB70_14
; %bb.13:                               ;   in Loop: Header=BB70_3 Depth=1
	scratch_store_b64 off, v[32:33], off offset:24
                                        ; implicit-def: $vgpr34_vgpr35
.LBB70_14:                              ;   in Loop: Header=BB70_3 Depth=1
	s_wait_xcnt 0x0
	s_and_not1_saveexec_b32 s7, s7
	s_cbranch_execz .LBB70_16
; %bb.15:                               ;   in Loop: Header=BB70_3 Depth=1
	v_add_nc_u64_e32 v[34:35], s[96:97], v[34:35]
	global_load_b64 v[34:35], v[34:35], off
	s_wait_loadcnt 0x0
	scratch_store_b64 off, v[34:35], off offset:24
.LBB70_16:                              ;   in Loop: Header=BB70_3 Depth=1
	s_wait_xcnt 0x0
	s_or_b32 exec_lo, exec_lo, s7
	s_delay_alu instid0(SALU_CYCLE_1)
	s_and_not1_b32 vcc_lo, exec_lo, s43
	s_mov_b32 s7, -1
	s_cbranch_vccnz .LBB70_5
.LBB70_17:                              ;   in Loop: Header=BB70_3 Depth=1
	v_readlane_b32 s10, v92, 10
	s_and_saveexec_b32 s7, s10
	s_delay_alu instid0(SALU_CYCLE_1)
	s_xor_b32 s98, exec_lo, s7
	s_cbranch_execz .LBB70_29
; %bb.18:                               ;   in Loop: Header=BB70_3 Depth=1
	v_readlane_b32 s10, v92, 18
	s_and_saveexec_b32 s7, s10
	s_delay_alu instid0(SALU_CYCLE_1)
	s_xor_b32 s7, exec_lo, s7
	s_cbranch_execz .LBB70_22
; %bb.19:                               ;   in Loop: Header=BB70_3 Depth=1
	v_readlane_b32 s10, v91, 14
	s_and_saveexec_b32 s99, s10
; %bb.20:                               ;   in Loop: Header=BB70_3 Depth=1
	ds_store_b64 v70, v[32:33]
; %bb.21:                               ;   in Loop: Header=BB70_3 Depth=1
	s_or_b32 exec_lo, exec_lo, s99
.LBB70_22:                              ;   in Loop: Header=BB70_3 Depth=1
	s_and_not1_saveexec_b32 s99, s7
	s_cbranch_execz .LBB70_28
; %bb.23:                               ;   in Loop: Header=BB70_3 Depth=1
	v_lshl_add_u64 v[34:35], v[14:15], 3, s[70:71]
	s_mov_b32 s100, exec_lo
                                        ; implicit-def: $vgpr36_vgpr37
	global_load_b64 v[34:35], v[34:35], off
	s_wait_loadcnt 0x0
	s_wait_xcnt 0x0
	v_cmpx_ngt_f32_e64 |v34|, |v35|
	s_xor_b32 s100, exec_lo, s100
	s_cbranch_execz .LBB70_25
; %bb.24:                               ;   in Loop: Header=BB70_3 Depth=1
	v_div_scale_f32 v0, null, v35, v35, v34
	v_div_scale_f32 v38, vcc_lo, v34, v35, v34
	s_delay_alu instid0(VALU_DEP_2) | instskip(SKIP_1) | instid1(TRANS32_DEP_1)
	v_rcp_f32_e32 v36, v0
	v_nop
	v_fma_f32 v37, -v0, v36, 1.0
	s_delay_alu instid0(VALU_DEP_1) | instskip(NEXT) | instid1(VALU_DEP_1)
	v_fmac_f32_e32 v36, v37, v36
	v_mul_f32_e32 v37, v38, v36
	s_delay_alu instid0(VALU_DEP_1) | instskip(NEXT) | instid1(VALU_DEP_1)
	v_fma_f32 v39, -v0, v37, v38
	v_fmac_f32_e32 v37, v39, v36
	s_delay_alu instid0(VALU_DEP_1) | instskip(NEXT) | instid1(VALU_DEP_1)
	v_fma_f32 v0, -v0, v37, v38
	v_div_fmas_f32 v0, v0, v36, v37
	s_delay_alu instid0(VALU_DEP_1) | instskip(NEXT) | instid1(VALU_DEP_1)
	v_div_fixup_f32 v0, v0, v35, v34
	v_fmac_f32_e32 v35, v34, v0
	s_delay_alu instid0(VALU_DEP_1) | instskip(SKIP_1) | instid1(VALU_DEP_2)
	v_div_scale_f32 v34, null, v35, v35, 1.0
	v_div_scale_f32 v38, vcc_lo, 1.0, v35, 1.0
	v_rcp_f32_e32 v36, v34
	v_nop
	s_delay_alu instid0(TRANS32_DEP_1) | instskip(NEXT) | instid1(VALU_DEP_1)
	v_fma_f32 v37, -v34, v36, 1.0
	v_fmac_f32_e32 v36, v37, v36
	s_delay_alu instid0(VALU_DEP_1) | instskip(NEXT) | instid1(VALU_DEP_1)
	v_mul_f32_e32 v37, v38, v36
	v_fma_f32 v39, -v34, v37, v38
	s_delay_alu instid0(VALU_DEP_1) | instskip(NEXT) | instid1(VALU_DEP_1)
	v_fmac_f32_e32 v37, v39, v36
	v_fma_f32 v34, -v34, v37, v38
	s_delay_alu instid0(VALU_DEP_1) | instskip(NEXT) | instid1(VALU_DEP_1)
	v_div_fmas_f32 v34, v34, v36, v37
	v_div_fixup_f32 v34, v34, v35, 1.0
	s_delay_alu instid0(VALU_DEP_1)
	v_mul_f32_e32 v36, v0, v34
	v_xor_b32_e32 v37, 0x80000000, v34
                                        ; implicit-def: $vgpr34_vgpr35
.LBB70_25:                              ;   in Loop: Header=BB70_3 Depth=1
	s_and_not1_saveexec_b32 s100, s100
	s_cbranch_execz .LBB70_27
; %bb.26:                               ;   in Loop: Header=BB70_3 Depth=1
	v_div_scale_f32 v0, null, v34, v34, v35
	v_div_scale_f32 v38, vcc_lo, v35, v34, v35
	s_delay_alu instid0(VALU_DEP_2) | instskip(SKIP_1) | instid1(TRANS32_DEP_1)
	v_rcp_f32_e32 v36, v0
	v_nop
	v_fma_f32 v37, -v0, v36, 1.0
	s_delay_alu instid0(VALU_DEP_1) | instskip(NEXT) | instid1(VALU_DEP_1)
	v_fmac_f32_e32 v36, v37, v36
	v_mul_f32_e32 v37, v38, v36
	s_delay_alu instid0(VALU_DEP_1) | instskip(NEXT) | instid1(VALU_DEP_1)
	v_fma_f32 v39, -v0, v37, v38
	v_fmac_f32_e32 v37, v39, v36
	s_delay_alu instid0(VALU_DEP_1) | instskip(NEXT) | instid1(VALU_DEP_1)
	v_fma_f32 v0, -v0, v37, v38
	v_div_fmas_f32 v0, v0, v36, v37
	s_delay_alu instid0(VALU_DEP_1) | instskip(NEXT) | instid1(VALU_DEP_1)
	v_div_fixup_f32 v0, v0, v34, v35
	v_fmac_f32_e32 v34, v35, v0
	s_delay_alu instid0(VALU_DEP_1) | instskip(NEXT) | instid1(VALU_DEP_1)
	v_div_scale_f32 v35, null, v34, v34, 1.0
	v_rcp_f32_e32 v36, v35
	v_nop
	s_delay_alu instid0(TRANS32_DEP_1) | instskip(NEXT) | instid1(VALU_DEP_1)
	v_fma_f32 v37, -v35, v36, 1.0
	v_fmac_f32_e32 v36, v37, v36
	v_div_scale_f32 v37, vcc_lo, 1.0, v34, 1.0
	s_delay_alu instid0(VALU_DEP_1) | instskip(NEXT) | instid1(VALU_DEP_1)
	v_mul_f32_e32 v38, v37, v36
	v_fma_f32 v39, -v35, v38, v37
	s_delay_alu instid0(VALU_DEP_1) | instskip(NEXT) | instid1(VALU_DEP_1)
	v_fmac_f32_e32 v38, v39, v36
	v_fma_f32 v35, -v35, v38, v37
	s_delay_alu instid0(VALU_DEP_1) | instskip(NEXT) | instid1(VALU_DEP_1)
	v_div_fmas_f32 v35, v35, v36, v38
	v_div_fixup_f32 v36, v35, v34, 1.0
	s_delay_alu instid0(VALU_DEP_1)
	v_mul_f32_e64 v37, v0, -v36
.LBB70_27:                              ;   in Loop: Header=BB70_3 Depth=1
	s_or_b32 exec_lo, exec_lo, s100
	ds_store_b64 v70, v[36:37]
.LBB70_28:                              ;   in Loop: Header=BB70_3 Depth=1
	s_or_b32 exec_lo, exec_lo, s99
.LBB70_29:                              ;   in Loop: Header=BB70_3 Depth=1
	s_and_not1_saveexec_b32 s7, s98
	s_cbranch_execz .LBB70_31
; %bb.30:                               ;   in Loop: Header=BB70_3 Depth=1
	v_lshl_add_u64 v[34:35], v[14:15], 3, s[70:71]
	global_load_b64 v[34:35], v[34:35], off
	s_wait_loadcnt 0x0
	s_wait_xcnt 0x0
	v_pk_add_f32 v[34:35], v[34:35], 0 neg_lo:[1,1] neg_hi:[1,1]
	ds_store_b64 v70, v[34:35]
.LBB70_31:                              ;   in Loop: Header=BB70_3 Depth=1
	s_or_b32 exec_lo, exec_lo, s7
	v_readlane_b32 s10, v92, 12
	s_and_saveexec_b32 s7, s10
	s_delay_alu instid0(SALU_CYCLE_1)
	s_xor_b32 s98, exec_lo, s7
	s_cbranch_execz .LBB70_43
; %bb.32:                               ;   in Loop: Header=BB70_3 Depth=1
	v_readlane_b32 s10, v92, 20
	s_and_saveexec_b32 s7, s10
	s_delay_alu instid0(SALU_CYCLE_1)
	s_xor_b32 s7, exec_lo, s7
	s_cbranch_execz .LBB70_36
; %bb.33:                               ;   in Loop: Header=BB70_3 Depth=1
	v_readlane_b32 s10, v91, 15
	s_and_saveexec_b32 s99, s10
; %bb.34:                               ;   in Loop: Header=BB70_3 Depth=1
	ds_store_b64 v5, v[32:33]
; %bb.35:                               ;   in Loop: Header=BB70_3 Depth=1
	s_or_b32 exec_lo, exec_lo, s99
.LBB70_36:                              ;   in Loop: Header=BB70_3 Depth=1
	s_and_not1_saveexec_b32 s99, s7
	s_cbranch_execz .LBB70_42
; %bb.37:                               ;   in Loop: Header=BB70_3 Depth=1
	v_lshl_add_u64 v[34:35], v[16:17], 3, s[70:71]
	s_mov_b32 s100, exec_lo
                                        ; implicit-def: $vgpr36_vgpr37
	global_load_b64 v[34:35], v[34:35], off
	s_wait_loadcnt 0x0
	s_wait_xcnt 0x0
	v_cmpx_ngt_f32_e64 |v34|, |v35|
	s_xor_b32 s100, exec_lo, s100
	s_cbranch_execz .LBB70_39
; %bb.38:                               ;   in Loop: Header=BB70_3 Depth=1
	v_div_scale_f32 v0, null, v35, v35, v34
	v_div_scale_f32 v38, vcc_lo, v34, v35, v34
	s_delay_alu instid0(VALU_DEP_2) | instskip(SKIP_1) | instid1(TRANS32_DEP_1)
	v_rcp_f32_e32 v36, v0
	v_nop
	v_fma_f32 v37, -v0, v36, 1.0
	s_delay_alu instid0(VALU_DEP_1) | instskip(NEXT) | instid1(VALU_DEP_1)
	v_fmac_f32_e32 v36, v37, v36
	v_mul_f32_e32 v37, v38, v36
	s_delay_alu instid0(VALU_DEP_1) | instskip(NEXT) | instid1(VALU_DEP_1)
	v_fma_f32 v39, -v0, v37, v38
	v_fmac_f32_e32 v37, v39, v36
	s_delay_alu instid0(VALU_DEP_1) | instskip(NEXT) | instid1(VALU_DEP_1)
	v_fma_f32 v0, -v0, v37, v38
	v_div_fmas_f32 v0, v0, v36, v37
	s_delay_alu instid0(VALU_DEP_1) | instskip(NEXT) | instid1(VALU_DEP_1)
	v_div_fixup_f32 v0, v0, v35, v34
	v_fmac_f32_e32 v35, v34, v0
	s_delay_alu instid0(VALU_DEP_1) | instskip(SKIP_1) | instid1(VALU_DEP_2)
	v_div_scale_f32 v34, null, v35, v35, 1.0
	v_div_scale_f32 v38, vcc_lo, 1.0, v35, 1.0
	v_rcp_f32_e32 v36, v34
	v_nop
	s_delay_alu instid0(TRANS32_DEP_1) | instskip(NEXT) | instid1(VALU_DEP_1)
	v_fma_f32 v37, -v34, v36, 1.0
	v_fmac_f32_e32 v36, v37, v36
	s_delay_alu instid0(VALU_DEP_1) | instskip(NEXT) | instid1(VALU_DEP_1)
	v_mul_f32_e32 v37, v38, v36
	v_fma_f32 v39, -v34, v37, v38
	s_delay_alu instid0(VALU_DEP_1) | instskip(NEXT) | instid1(VALU_DEP_1)
	v_fmac_f32_e32 v37, v39, v36
	v_fma_f32 v34, -v34, v37, v38
	s_delay_alu instid0(VALU_DEP_1) | instskip(NEXT) | instid1(VALU_DEP_1)
	v_div_fmas_f32 v34, v34, v36, v37
	v_div_fixup_f32 v34, v34, v35, 1.0
	s_delay_alu instid0(VALU_DEP_1)
	v_mul_f32_e32 v36, v0, v34
	v_xor_b32_e32 v37, 0x80000000, v34
                                        ; implicit-def: $vgpr34_vgpr35
.LBB70_39:                              ;   in Loop: Header=BB70_3 Depth=1
	s_and_not1_saveexec_b32 s100, s100
	s_cbranch_execz .LBB70_41
; %bb.40:                               ;   in Loop: Header=BB70_3 Depth=1
	v_div_scale_f32 v0, null, v34, v34, v35
	v_div_scale_f32 v38, vcc_lo, v35, v34, v35
	s_delay_alu instid0(VALU_DEP_2) | instskip(SKIP_1) | instid1(TRANS32_DEP_1)
	v_rcp_f32_e32 v36, v0
	v_nop
	v_fma_f32 v37, -v0, v36, 1.0
	s_delay_alu instid0(VALU_DEP_1) | instskip(NEXT) | instid1(VALU_DEP_1)
	v_fmac_f32_e32 v36, v37, v36
	v_mul_f32_e32 v37, v38, v36
	s_delay_alu instid0(VALU_DEP_1) | instskip(NEXT) | instid1(VALU_DEP_1)
	v_fma_f32 v39, -v0, v37, v38
	v_fmac_f32_e32 v37, v39, v36
	s_delay_alu instid0(VALU_DEP_1) | instskip(NEXT) | instid1(VALU_DEP_1)
	v_fma_f32 v0, -v0, v37, v38
	v_div_fmas_f32 v0, v0, v36, v37
	s_delay_alu instid0(VALU_DEP_1) | instskip(NEXT) | instid1(VALU_DEP_1)
	v_div_fixup_f32 v0, v0, v34, v35
	v_fmac_f32_e32 v34, v35, v0
	s_delay_alu instid0(VALU_DEP_1) | instskip(NEXT) | instid1(VALU_DEP_1)
	v_div_scale_f32 v35, null, v34, v34, 1.0
	v_rcp_f32_e32 v36, v35
	v_nop
	s_delay_alu instid0(TRANS32_DEP_1) | instskip(NEXT) | instid1(VALU_DEP_1)
	v_fma_f32 v37, -v35, v36, 1.0
	v_fmac_f32_e32 v36, v37, v36
	v_div_scale_f32 v37, vcc_lo, 1.0, v34, 1.0
	s_delay_alu instid0(VALU_DEP_1) | instskip(NEXT) | instid1(VALU_DEP_1)
	v_mul_f32_e32 v38, v37, v36
	v_fma_f32 v39, -v35, v38, v37
	s_delay_alu instid0(VALU_DEP_1) | instskip(NEXT) | instid1(VALU_DEP_1)
	v_fmac_f32_e32 v38, v39, v36
	v_fma_f32 v35, -v35, v38, v37
	s_delay_alu instid0(VALU_DEP_1) | instskip(NEXT) | instid1(VALU_DEP_1)
	v_div_fmas_f32 v35, v35, v36, v38
	v_div_fixup_f32 v36, v35, v34, 1.0
	s_delay_alu instid0(VALU_DEP_1)
	v_mul_f32_e64 v37, v0, -v36
.LBB70_41:                              ;   in Loop: Header=BB70_3 Depth=1
	s_or_b32 exec_lo, exec_lo, s100
	ds_store_b64 v5, v[36:37]
.LBB70_42:                              ;   in Loop: Header=BB70_3 Depth=1
	s_or_b32 exec_lo, exec_lo, s99
.LBB70_43:                              ;   in Loop: Header=BB70_3 Depth=1
	s_and_not1_saveexec_b32 s7, s98
	s_cbranch_execz .LBB70_45
; %bb.44:                               ;   in Loop: Header=BB70_3 Depth=1
	v_lshl_add_u64 v[34:35], v[16:17], 3, s[70:71]
	global_load_b64 v[34:35], v[34:35], off
	s_wait_loadcnt 0x0
	s_wait_xcnt 0x0
	v_pk_add_f32 v[34:35], v[34:35], 0 neg_lo:[1,1] neg_hi:[1,1]
	ds_store_b64 v5, v[34:35]
.LBB70_45:                              ;   in Loop: Header=BB70_3 Depth=1
	s_or_b32 exec_lo, exec_lo, s7
	v_readlane_b32 s10, v92, 14
	s_and_saveexec_b32 s7, s10
	s_delay_alu instid0(SALU_CYCLE_1)
	s_xor_b32 s98, exec_lo, s7
	s_cbranch_execz .LBB70_57
; %bb.46:                               ;   in Loop: Header=BB70_3 Depth=1
	v_readlane_b32 s10, v92, 22
	s_and_saveexec_b32 s7, s10
	s_delay_alu instid0(SALU_CYCLE_1)
	s_xor_b32 s7, exec_lo, s7
	s_cbranch_execz .LBB70_50
; %bb.47:                               ;   in Loop: Header=BB70_3 Depth=1
	v_readlane_b32 s10, v91, 16
	s_and_saveexec_b32 s99, s10
; %bb.48:                               ;   in Loop: Header=BB70_3 Depth=1
	ds_store_b64 v73, v[32:33]
; %bb.49:                               ;   in Loop: Header=BB70_3 Depth=1
	s_or_b32 exec_lo, exec_lo, s99
.LBB70_50:                              ;   in Loop: Header=BB70_3 Depth=1
	s_and_not1_saveexec_b32 s99, s7
	s_cbranch_execz .LBB70_56
; %bb.51:                               ;   in Loop: Header=BB70_3 Depth=1
	v_lshl_add_u64 v[34:35], v[20:21], 3, s[70:71]
	s_mov_b32 s100, exec_lo
                                        ; implicit-def: $vgpr36_vgpr37
	global_load_b64 v[34:35], v[34:35], off
	s_wait_loadcnt 0x0
	s_wait_xcnt 0x0
	v_cmpx_ngt_f32_e64 |v34|, |v35|
	s_xor_b32 s100, exec_lo, s100
	s_cbranch_execz .LBB70_53
; %bb.52:                               ;   in Loop: Header=BB70_3 Depth=1
	v_div_scale_f32 v0, null, v35, v35, v34
	v_div_scale_f32 v38, vcc_lo, v34, v35, v34
	s_delay_alu instid0(VALU_DEP_2) | instskip(SKIP_1) | instid1(TRANS32_DEP_1)
	v_rcp_f32_e32 v36, v0
	v_nop
	v_fma_f32 v37, -v0, v36, 1.0
	s_delay_alu instid0(VALU_DEP_1) | instskip(NEXT) | instid1(VALU_DEP_1)
	v_fmac_f32_e32 v36, v37, v36
	v_mul_f32_e32 v37, v38, v36
	s_delay_alu instid0(VALU_DEP_1) | instskip(NEXT) | instid1(VALU_DEP_1)
	v_fma_f32 v39, -v0, v37, v38
	v_fmac_f32_e32 v37, v39, v36
	s_delay_alu instid0(VALU_DEP_1) | instskip(NEXT) | instid1(VALU_DEP_1)
	v_fma_f32 v0, -v0, v37, v38
	v_div_fmas_f32 v0, v0, v36, v37
	s_delay_alu instid0(VALU_DEP_1) | instskip(NEXT) | instid1(VALU_DEP_1)
	v_div_fixup_f32 v0, v0, v35, v34
	v_fmac_f32_e32 v35, v34, v0
	s_delay_alu instid0(VALU_DEP_1) | instskip(SKIP_1) | instid1(VALU_DEP_2)
	v_div_scale_f32 v34, null, v35, v35, 1.0
	v_div_scale_f32 v38, vcc_lo, 1.0, v35, 1.0
	v_rcp_f32_e32 v36, v34
	v_nop
	s_delay_alu instid0(TRANS32_DEP_1) | instskip(NEXT) | instid1(VALU_DEP_1)
	v_fma_f32 v37, -v34, v36, 1.0
	v_fmac_f32_e32 v36, v37, v36
	s_delay_alu instid0(VALU_DEP_1) | instskip(NEXT) | instid1(VALU_DEP_1)
	v_mul_f32_e32 v37, v38, v36
	v_fma_f32 v39, -v34, v37, v38
	s_delay_alu instid0(VALU_DEP_1) | instskip(NEXT) | instid1(VALU_DEP_1)
	v_fmac_f32_e32 v37, v39, v36
	v_fma_f32 v34, -v34, v37, v38
	s_delay_alu instid0(VALU_DEP_1) | instskip(NEXT) | instid1(VALU_DEP_1)
	v_div_fmas_f32 v34, v34, v36, v37
	v_div_fixup_f32 v34, v34, v35, 1.0
	s_delay_alu instid0(VALU_DEP_1)
	v_mul_f32_e32 v36, v0, v34
	v_xor_b32_e32 v37, 0x80000000, v34
                                        ; implicit-def: $vgpr34_vgpr35
.LBB70_53:                              ;   in Loop: Header=BB70_3 Depth=1
	s_and_not1_saveexec_b32 s100, s100
	s_cbranch_execz .LBB70_55
; %bb.54:                               ;   in Loop: Header=BB70_3 Depth=1
	v_div_scale_f32 v0, null, v34, v34, v35
	v_div_scale_f32 v38, vcc_lo, v35, v34, v35
	s_delay_alu instid0(VALU_DEP_2) | instskip(SKIP_1) | instid1(TRANS32_DEP_1)
	v_rcp_f32_e32 v36, v0
	v_nop
	v_fma_f32 v37, -v0, v36, 1.0
	s_delay_alu instid0(VALU_DEP_1) | instskip(NEXT) | instid1(VALU_DEP_1)
	v_fmac_f32_e32 v36, v37, v36
	v_mul_f32_e32 v37, v38, v36
	s_delay_alu instid0(VALU_DEP_1) | instskip(NEXT) | instid1(VALU_DEP_1)
	v_fma_f32 v39, -v0, v37, v38
	v_fmac_f32_e32 v37, v39, v36
	s_delay_alu instid0(VALU_DEP_1) | instskip(NEXT) | instid1(VALU_DEP_1)
	v_fma_f32 v0, -v0, v37, v38
	v_div_fmas_f32 v0, v0, v36, v37
	s_delay_alu instid0(VALU_DEP_1) | instskip(NEXT) | instid1(VALU_DEP_1)
	v_div_fixup_f32 v0, v0, v34, v35
	v_fmac_f32_e32 v34, v35, v0
	s_delay_alu instid0(VALU_DEP_1) | instskip(NEXT) | instid1(VALU_DEP_1)
	v_div_scale_f32 v35, null, v34, v34, 1.0
	v_rcp_f32_e32 v36, v35
	v_nop
	s_delay_alu instid0(TRANS32_DEP_1) | instskip(NEXT) | instid1(VALU_DEP_1)
	v_fma_f32 v37, -v35, v36, 1.0
	v_fmac_f32_e32 v36, v37, v36
	v_div_scale_f32 v37, vcc_lo, 1.0, v34, 1.0
	s_delay_alu instid0(VALU_DEP_1) | instskip(NEXT) | instid1(VALU_DEP_1)
	v_mul_f32_e32 v38, v37, v36
	v_fma_f32 v39, -v35, v38, v37
	s_delay_alu instid0(VALU_DEP_1) | instskip(NEXT) | instid1(VALU_DEP_1)
	v_fmac_f32_e32 v38, v39, v36
	v_fma_f32 v35, -v35, v38, v37
	s_delay_alu instid0(VALU_DEP_1) | instskip(NEXT) | instid1(VALU_DEP_1)
	v_div_fmas_f32 v35, v35, v36, v38
	v_div_fixup_f32 v36, v35, v34, 1.0
	s_delay_alu instid0(VALU_DEP_1)
	v_mul_f32_e64 v37, v0, -v36
.LBB70_55:                              ;   in Loop: Header=BB70_3 Depth=1
	s_or_b32 exec_lo, exec_lo, s100
	ds_store_b64 v73, v[36:37]
.LBB70_56:                              ;   in Loop: Header=BB70_3 Depth=1
	s_or_b32 exec_lo, exec_lo, s99
.LBB70_57:                              ;   in Loop: Header=BB70_3 Depth=1
	s_and_not1_saveexec_b32 s7, s98
	s_cbranch_execz .LBB70_59
; %bb.58:                               ;   in Loop: Header=BB70_3 Depth=1
	v_lshl_add_u64 v[34:35], v[20:21], 3, s[70:71]
	global_load_b64 v[34:35], v[34:35], off
	s_wait_loadcnt 0x0
	s_wait_xcnt 0x0
	v_pk_add_f32 v[34:35], v[34:35], 0 neg_lo:[1,1] neg_hi:[1,1]
	ds_store_b64 v73, v[34:35]
.LBB70_59:                              ;   in Loop: Header=BB70_3 Depth=1
	s_or_b32 exec_lo, exec_lo, s7
	v_readlane_b32 s10, v92, 16
	s_and_saveexec_b32 s7, s10
	s_delay_alu instid0(SALU_CYCLE_1)
	s_xor_b32 s98, exec_lo, s7
	s_cbranch_execz .LBB70_71
; %bb.60:                               ;   in Loop: Header=BB70_3 Depth=1
	v_readlane_b32 s10, v92, 24
	s_and_saveexec_b32 s7, s10
	s_delay_alu instid0(SALU_CYCLE_1)
	s_xor_b32 s7, exec_lo, s7
	s_cbranch_execz .LBB70_64
; %bb.61:                               ;   in Loop: Header=BB70_3 Depth=1
	v_readlane_b32 s10, v91, 17
	s_and_saveexec_b32 s99, s10
; %bb.62:                               ;   in Loop: Header=BB70_3 Depth=1
	ds_store_b64 v74, v[32:33]
; %bb.63:                               ;   in Loop: Header=BB70_3 Depth=1
	s_or_b32 exec_lo, exec_lo, s99
.LBB70_64:                              ;   in Loop: Header=BB70_3 Depth=1
	s_and_not1_saveexec_b32 s99, s7
	s_cbranch_execz .LBB70_70
; %bb.65:                               ;   in Loop: Header=BB70_3 Depth=1
	v_lshl_add_u64 v[34:35], v[22:23], 3, s[70:71]
	s_mov_b32 s100, exec_lo
                                        ; implicit-def: $vgpr36_vgpr37
	global_load_b64 v[34:35], v[34:35], off
	s_wait_loadcnt 0x0
	s_wait_xcnt 0x0
	v_cmpx_ngt_f32_e64 |v34|, |v35|
	s_xor_b32 s100, exec_lo, s100
	s_cbranch_execz .LBB70_67
; %bb.66:                               ;   in Loop: Header=BB70_3 Depth=1
	v_div_scale_f32 v0, null, v35, v35, v34
	v_div_scale_f32 v38, vcc_lo, v34, v35, v34
	s_delay_alu instid0(VALU_DEP_2) | instskip(SKIP_1) | instid1(TRANS32_DEP_1)
	v_rcp_f32_e32 v36, v0
	v_nop
	v_fma_f32 v37, -v0, v36, 1.0
	s_delay_alu instid0(VALU_DEP_1) | instskip(NEXT) | instid1(VALU_DEP_1)
	v_fmac_f32_e32 v36, v37, v36
	v_mul_f32_e32 v37, v38, v36
	s_delay_alu instid0(VALU_DEP_1) | instskip(NEXT) | instid1(VALU_DEP_1)
	v_fma_f32 v39, -v0, v37, v38
	v_fmac_f32_e32 v37, v39, v36
	s_delay_alu instid0(VALU_DEP_1) | instskip(NEXT) | instid1(VALU_DEP_1)
	v_fma_f32 v0, -v0, v37, v38
	v_div_fmas_f32 v0, v0, v36, v37
	s_delay_alu instid0(VALU_DEP_1) | instskip(NEXT) | instid1(VALU_DEP_1)
	v_div_fixup_f32 v0, v0, v35, v34
	v_fmac_f32_e32 v35, v34, v0
	s_delay_alu instid0(VALU_DEP_1) | instskip(SKIP_1) | instid1(VALU_DEP_2)
	v_div_scale_f32 v34, null, v35, v35, 1.0
	v_div_scale_f32 v38, vcc_lo, 1.0, v35, 1.0
	v_rcp_f32_e32 v36, v34
	v_nop
	s_delay_alu instid0(TRANS32_DEP_1) | instskip(NEXT) | instid1(VALU_DEP_1)
	v_fma_f32 v37, -v34, v36, 1.0
	v_fmac_f32_e32 v36, v37, v36
	s_delay_alu instid0(VALU_DEP_1) | instskip(NEXT) | instid1(VALU_DEP_1)
	v_mul_f32_e32 v37, v38, v36
	v_fma_f32 v39, -v34, v37, v38
	s_delay_alu instid0(VALU_DEP_1) | instskip(NEXT) | instid1(VALU_DEP_1)
	v_fmac_f32_e32 v37, v39, v36
	v_fma_f32 v34, -v34, v37, v38
	s_delay_alu instid0(VALU_DEP_1) | instskip(NEXT) | instid1(VALU_DEP_1)
	v_div_fmas_f32 v34, v34, v36, v37
	v_div_fixup_f32 v34, v34, v35, 1.0
	s_delay_alu instid0(VALU_DEP_1)
	v_mul_f32_e32 v36, v0, v34
	v_xor_b32_e32 v37, 0x80000000, v34
                                        ; implicit-def: $vgpr34_vgpr35
.LBB70_67:                              ;   in Loop: Header=BB70_3 Depth=1
	s_and_not1_saveexec_b32 s100, s100
	s_cbranch_execz .LBB70_69
; %bb.68:                               ;   in Loop: Header=BB70_3 Depth=1
	v_div_scale_f32 v0, null, v34, v34, v35
	v_div_scale_f32 v38, vcc_lo, v35, v34, v35
	s_delay_alu instid0(VALU_DEP_2) | instskip(SKIP_1) | instid1(TRANS32_DEP_1)
	v_rcp_f32_e32 v36, v0
	v_nop
	v_fma_f32 v37, -v0, v36, 1.0
	s_delay_alu instid0(VALU_DEP_1) | instskip(NEXT) | instid1(VALU_DEP_1)
	v_fmac_f32_e32 v36, v37, v36
	v_mul_f32_e32 v37, v38, v36
	s_delay_alu instid0(VALU_DEP_1) | instskip(NEXT) | instid1(VALU_DEP_1)
	v_fma_f32 v39, -v0, v37, v38
	v_fmac_f32_e32 v37, v39, v36
	s_delay_alu instid0(VALU_DEP_1) | instskip(NEXT) | instid1(VALU_DEP_1)
	v_fma_f32 v0, -v0, v37, v38
	v_div_fmas_f32 v0, v0, v36, v37
	s_delay_alu instid0(VALU_DEP_1) | instskip(NEXT) | instid1(VALU_DEP_1)
	v_div_fixup_f32 v0, v0, v34, v35
	v_fmac_f32_e32 v34, v35, v0
	s_delay_alu instid0(VALU_DEP_1) | instskip(NEXT) | instid1(VALU_DEP_1)
	v_div_scale_f32 v35, null, v34, v34, 1.0
	v_rcp_f32_e32 v36, v35
	v_nop
	s_delay_alu instid0(TRANS32_DEP_1) | instskip(NEXT) | instid1(VALU_DEP_1)
	v_fma_f32 v37, -v35, v36, 1.0
	v_fmac_f32_e32 v36, v37, v36
	v_div_scale_f32 v37, vcc_lo, 1.0, v34, 1.0
	s_delay_alu instid0(VALU_DEP_1) | instskip(NEXT) | instid1(VALU_DEP_1)
	v_mul_f32_e32 v38, v37, v36
	v_fma_f32 v39, -v35, v38, v37
	s_delay_alu instid0(VALU_DEP_1) | instskip(NEXT) | instid1(VALU_DEP_1)
	v_fmac_f32_e32 v38, v39, v36
	v_fma_f32 v35, -v35, v38, v37
	s_delay_alu instid0(VALU_DEP_1) | instskip(NEXT) | instid1(VALU_DEP_1)
	v_div_fmas_f32 v35, v35, v36, v38
	v_div_fixup_f32 v36, v35, v34, 1.0
	s_delay_alu instid0(VALU_DEP_1)
	v_mul_f32_e64 v37, v0, -v36
.LBB70_69:                              ;   in Loop: Header=BB70_3 Depth=1
	s_or_b32 exec_lo, exec_lo, s100
	ds_store_b64 v74, v[36:37]
.LBB70_70:                              ;   in Loop: Header=BB70_3 Depth=1
	s_or_b32 exec_lo, exec_lo, s99
.LBB70_71:                              ;   in Loop: Header=BB70_3 Depth=1
	s_and_not1_saveexec_b32 s7, s98
	s_cbranch_execz .LBB70_73
; %bb.72:                               ;   in Loop: Header=BB70_3 Depth=1
	v_lshl_add_u64 v[34:35], v[22:23], 3, s[70:71]
	global_load_b64 v[34:35], v[34:35], off
	s_wait_loadcnt 0x0
	s_wait_xcnt 0x0
	v_pk_add_f32 v[34:35], v[34:35], 0 neg_lo:[1,1] neg_hi:[1,1]
	ds_store_b64 v74, v[34:35]
.LBB70_73:                              ;   in Loop: Header=BB70_3 Depth=1
	s_or_b32 exec_lo, exec_lo, s7
	s_branch .LBB70_131
.LBB70_74:                              ;   in Loop: Header=BB70_3 Depth=1
	v_readlane_b32 s10, v92, 11
	s_and_saveexec_b32 s7, s10
	s_delay_alu instid0(SALU_CYCLE_1)
	s_xor_b32 s98, exec_lo, s7
	s_cbranch_execz .LBB70_86
; %bb.75:                               ;   in Loop: Header=BB70_3 Depth=1
	v_readlane_b32 s10, v92, 19
	s_and_saveexec_b32 s7, s10
	s_delay_alu instid0(SALU_CYCLE_1)
	s_xor_b32 s7, exec_lo, s7
	s_cbranch_execz .LBB70_79
; %bb.76:                               ;   in Loop: Header=BB70_3 Depth=1
	v_readlane_b32 s10, v91, 14
	s_and_saveexec_b32 s99, s10
; %bb.77:                               ;   in Loop: Header=BB70_3 Depth=1
	ds_store_b64 v70, v[32:33]
; %bb.78:                               ;   in Loop: Header=BB70_3 Depth=1
	s_or_b32 exec_lo, exec_lo, s99
.LBB70_79:                              ;   in Loop: Header=BB70_3 Depth=1
	s_and_not1_saveexec_b32 s99, s7
	s_cbranch_execz .LBB70_85
; %bb.80:                               ;   in Loop: Header=BB70_3 Depth=1
	v_lshl_add_u64 v[34:35], v[14:15], 3, s[70:71]
	s_mov_b32 s100, exec_lo
                                        ; implicit-def: $vgpr36_vgpr37
	global_load_b64 v[34:35], v[34:35], off
	s_wait_loadcnt 0x0
	s_wait_xcnt 0x0
	v_cmpx_ngt_f32_e64 |v34|, |v35|
	s_xor_b32 s100, exec_lo, s100
	s_cbranch_execz .LBB70_82
; %bb.81:                               ;   in Loop: Header=BB70_3 Depth=1
	v_div_scale_f32 v0, null, v35, v35, v34
	v_div_scale_f32 v38, vcc_lo, v34, v35, v34
	s_delay_alu instid0(VALU_DEP_2) | instskip(SKIP_1) | instid1(TRANS32_DEP_1)
	v_rcp_f32_e32 v36, v0
	v_nop
	v_fma_f32 v37, -v0, v36, 1.0
	s_delay_alu instid0(VALU_DEP_1) | instskip(NEXT) | instid1(VALU_DEP_1)
	v_fmac_f32_e32 v36, v37, v36
	v_mul_f32_e32 v37, v38, v36
	s_delay_alu instid0(VALU_DEP_1) | instskip(NEXT) | instid1(VALU_DEP_1)
	v_fma_f32 v39, -v0, v37, v38
	v_fmac_f32_e32 v37, v39, v36
	s_delay_alu instid0(VALU_DEP_1) | instskip(NEXT) | instid1(VALU_DEP_1)
	v_fma_f32 v0, -v0, v37, v38
	v_div_fmas_f32 v0, v0, v36, v37
	s_delay_alu instid0(VALU_DEP_1) | instskip(NEXT) | instid1(VALU_DEP_1)
	v_div_fixup_f32 v0, v0, v35, v34
	v_fmac_f32_e32 v35, v34, v0
	s_delay_alu instid0(VALU_DEP_1) | instskip(SKIP_1) | instid1(VALU_DEP_2)
	v_div_scale_f32 v34, null, v35, v35, 1.0
	v_div_scale_f32 v38, vcc_lo, 1.0, v35, 1.0
	v_rcp_f32_e32 v36, v34
	v_nop
	s_delay_alu instid0(TRANS32_DEP_1) | instskip(NEXT) | instid1(VALU_DEP_1)
	v_fma_f32 v37, -v34, v36, 1.0
	v_fmac_f32_e32 v36, v37, v36
	s_delay_alu instid0(VALU_DEP_1) | instskip(NEXT) | instid1(VALU_DEP_1)
	v_mul_f32_e32 v37, v38, v36
	v_fma_f32 v39, -v34, v37, v38
	s_delay_alu instid0(VALU_DEP_1) | instskip(NEXT) | instid1(VALU_DEP_1)
	v_fmac_f32_e32 v37, v39, v36
	v_fma_f32 v34, -v34, v37, v38
	s_delay_alu instid0(VALU_DEP_1) | instskip(NEXT) | instid1(VALU_DEP_1)
	v_div_fmas_f32 v34, v34, v36, v37
	v_div_fixup_f32 v34, v34, v35, 1.0
	s_delay_alu instid0(VALU_DEP_1)
	v_mul_f32_e32 v36, v0, v34
	v_xor_b32_e32 v37, 0x80000000, v34
                                        ; implicit-def: $vgpr34_vgpr35
.LBB70_82:                              ;   in Loop: Header=BB70_3 Depth=1
	s_and_not1_saveexec_b32 s100, s100
	s_cbranch_execz .LBB70_84
; %bb.83:                               ;   in Loop: Header=BB70_3 Depth=1
	v_div_scale_f32 v0, null, v34, v34, v35
	v_div_scale_f32 v38, vcc_lo, v35, v34, v35
	s_delay_alu instid0(VALU_DEP_2) | instskip(SKIP_1) | instid1(TRANS32_DEP_1)
	v_rcp_f32_e32 v36, v0
	v_nop
	v_fma_f32 v37, -v0, v36, 1.0
	s_delay_alu instid0(VALU_DEP_1) | instskip(NEXT) | instid1(VALU_DEP_1)
	v_fmac_f32_e32 v36, v37, v36
	v_mul_f32_e32 v37, v38, v36
	s_delay_alu instid0(VALU_DEP_1) | instskip(NEXT) | instid1(VALU_DEP_1)
	v_fma_f32 v39, -v0, v37, v38
	v_fmac_f32_e32 v37, v39, v36
	s_delay_alu instid0(VALU_DEP_1) | instskip(NEXT) | instid1(VALU_DEP_1)
	v_fma_f32 v0, -v0, v37, v38
	v_div_fmas_f32 v0, v0, v36, v37
	s_delay_alu instid0(VALU_DEP_1) | instskip(NEXT) | instid1(VALU_DEP_1)
	v_div_fixup_f32 v0, v0, v34, v35
	v_fmac_f32_e32 v34, v35, v0
	s_delay_alu instid0(VALU_DEP_1) | instskip(NEXT) | instid1(VALU_DEP_1)
	v_div_scale_f32 v35, null, v34, v34, 1.0
	v_rcp_f32_e32 v36, v35
	v_nop
	s_delay_alu instid0(TRANS32_DEP_1) | instskip(NEXT) | instid1(VALU_DEP_1)
	v_fma_f32 v37, -v35, v36, 1.0
	v_fmac_f32_e32 v36, v37, v36
	v_div_scale_f32 v37, vcc_lo, 1.0, v34, 1.0
	s_delay_alu instid0(VALU_DEP_1) | instskip(NEXT) | instid1(VALU_DEP_1)
	v_mul_f32_e32 v38, v37, v36
	v_fma_f32 v39, -v35, v38, v37
	s_delay_alu instid0(VALU_DEP_1) | instskip(NEXT) | instid1(VALU_DEP_1)
	v_fmac_f32_e32 v38, v39, v36
	v_fma_f32 v35, -v35, v38, v37
	s_delay_alu instid0(VALU_DEP_1) | instskip(NEXT) | instid1(VALU_DEP_1)
	v_div_fmas_f32 v35, v35, v36, v38
	v_div_fixup_f32 v36, v35, v34, 1.0
	s_delay_alu instid0(VALU_DEP_1)
	v_mul_f32_e64 v37, v0, -v36
.LBB70_84:                              ;   in Loop: Header=BB70_3 Depth=1
	s_or_b32 exec_lo, exec_lo, s100
	ds_store_b64 v70, v[36:37]
.LBB70_85:                              ;   in Loop: Header=BB70_3 Depth=1
	s_or_b32 exec_lo, exec_lo, s99
.LBB70_86:                              ;   in Loop: Header=BB70_3 Depth=1
	s_and_not1_saveexec_b32 s7, s98
	s_cbranch_execz .LBB70_88
; %bb.87:                               ;   in Loop: Header=BB70_3 Depth=1
	v_lshl_add_u64 v[34:35], v[14:15], 3, s[70:71]
	global_load_b64 v[34:35], v[34:35], off
	s_wait_loadcnt 0x0
	s_wait_xcnt 0x0
	v_pk_add_f32 v[34:35], v[34:35], 0 neg_lo:[1,1] neg_hi:[1,1]
	ds_store_b64 v70, v[34:35]
.LBB70_88:                              ;   in Loop: Header=BB70_3 Depth=1
	s_or_b32 exec_lo, exec_lo, s7
	v_readlane_b32 s10, v92, 13
	s_and_saveexec_b32 s7, s10
	s_delay_alu instid0(SALU_CYCLE_1)
	s_xor_b32 s98, exec_lo, s7
	s_cbranch_execz .LBB70_100
; %bb.89:                               ;   in Loop: Header=BB70_3 Depth=1
	v_readlane_b32 s10, v92, 21
	s_and_saveexec_b32 s7, s10
	s_delay_alu instid0(SALU_CYCLE_1)
	s_xor_b32 s7, exec_lo, s7
	s_cbranch_execz .LBB70_93
; %bb.90:                               ;   in Loop: Header=BB70_3 Depth=1
	v_readlane_b32 s10, v91, 15
	s_and_saveexec_b32 s99, s10
; %bb.91:                               ;   in Loop: Header=BB70_3 Depth=1
	ds_store_b64 v5, v[32:33]
; %bb.92:                               ;   in Loop: Header=BB70_3 Depth=1
	s_or_b32 exec_lo, exec_lo, s99
.LBB70_93:                              ;   in Loop: Header=BB70_3 Depth=1
	s_and_not1_saveexec_b32 s99, s7
	s_cbranch_execz .LBB70_99
; %bb.94:                               ;   in Loop: Header=BB70_3 Depth=1
	v_lshl_add_u64 v[34:35], v[16:17], 3, s[70:71]
	s_mov_b32 s100, exec_lo
                                        ; implicit-def: $vgpr36_vgpr37
	global_load_b64 v[34:35], v[34:35], off
	s_wait_loadcnt 0x0
	s_wait_xcnt 0x0
	v_cmpx_ngt_f32_e64 |v34|, |v35|
	s_xor_b32 s100, exec_lo, s100
	s_cbranch_execz .LBB70_96
; %bb.95:                               ;   in Loop: Header=BB70_3 Depth=1
	v_div_scale_f32 v0, null, v35, v35, v34
	v_div_scale_f32 v38, vcc_lo, v34, v35, v34
	s_delay_alu instid0(VALU_DEP_2) | instskip(SKIP_1) | instid1(TRANS32_DEP_1)
	v_rcp_f32_e32 v36, v0
	v_nop
	v_fma_f32 v37, -v0, v36, 1.0
	s_delay_alu instid0(VALU_DEP_1) | instskip(NEXT) | instid1(VALU_DEP_1)
	v_fmac_f32_e32 v36, v37, v36
	v_mul_f32_e32 v37, v38, v36
	s_delay_alu instid0(VALU_DEP_1) | instskip(NEXT) | instid1(VALU_DEP_1)
	v_fma_f32 v39, -v0, v37, v38
	v_fmac_f32_e32 v37, v39, v36
	s_delay_alu instid0(VALU_DEP_1) | instskip(NEXT) | instid1(VALU_DEP_1)
	v_fma_f32 v0, -v0, v37, v38
	v_div_fmas_f32 v0, v0, v36, v37
	s_delay_alu instid0(VALU_DEP_1) | instskip(NEXT) | instid1(VALU_DEP_1)
	v_div_fixup_f32 v0, v0, v35, v34
	v_fmac_f32_e32 v35, v34, v0
	s_delay_alu instid0(VALU_DEP_1) | instskip(SKIP_1) | instid1(VALU_DEP_2)
	v_div_scale_f32 v34, null, v35, v35, 1.0
	v_div_scale_f32 v38, vcc_lo, 1.0, v35, 1.0
	v_rcp_f32_e32 v36, v34
	v_nop
	s_delay_alu instid0(TRANS32_DEP_1) | instskip(NEXT) | instid1(VALU_DEP_1)
	v_fma_f32 v37, -v34, v36, 1.0
	v_fmac_f32_e32 v36, v37, v36
	s_delay_alu instid0(VALU_DEP_1) | instskip(NEXT) | instid1(VALU_DEP_1)
	v_mul_f32_e32 v37, v38, v36
	v_fma_f32 v39, -v34, v37, v38
	s_delay_alu instid0(VALU_DEP_1) | instskip(NEXT) | instid1(VALU_DEP_1)
	v_fmac_f32_e32 v37, v39, v36
	v_fma_f32 v34, -v34, v37, v38
	s_delay_alu instid0(VALU_DEP_1) | instskip(NEXT) | instid1(VALU_DEP_1)
	v_div_fmas_f32 v34, v34, v36, v37
	v_div_fixup_f32 v34, v34, v35, 1.0
	s_delay_alu instid0(VALU_DEP_1)
	v_mul_f32_e32 v36, v0, v34
	v_xor_b32_e32 v37, 0x80000000, v34
                                        ; implicit-def: $vgpr34_vgpr35
.LBB70_96:                              ;   in Loop: Header=BB70_3 Depth=1
	s_and_not1_saveexec_b32 s100, s100
	s_cbranch_execz .LBB70_98
; %bb.97:                               ;   in Loop: Header=BB70_3 Depth=1
	v_div_scale_f32 v0, null, v34, v34, v35
	v_div_scale_f32 v38, vcc_lo, v35, v34, v35
	s_delay_alu instid0(VALU_DEP_2) | instskip(SKIP_1) | instid1(TRANS32_DEP_1)
	v_rcp_f32_e32 v36, v0
	v_nop
	v_fma_f32 v37, -v0, v36, 1.0
	s_delay_alu instid0(VALU_DEP_1) | instskip(NEXT) | instid1(VALU_DEP_1)
	v_fmac_f32_e32 v36, v37, v36
	v_mul_f32_e32 v37, v38, v36
	s_delay_alu instid0(VALU_DEP_1) | instskip(NEXT) | instid1(VALU_DEP_1)
	v_fma_f32 v39, -v0, v37, v38
	v_fmac_f32_e32 v37, v39, v36
	s_delay_alu instid0(VALU_DEP_1) | instskip(NEXT) | instid1(VALU_DEP_1)
	v_fma_f32 v0, -v0, v37, v38
	v_div_fmas_f32 v0, v0, v36, v37
	s_delay_alu instid0(VALU_DEP_1) | instskip(NEXT) | instid1(VALU_DEP_1)
	v_div_fixup_f32 v0, v0, v34, v35
	v_fmac_f32_e32 v34, v35, v0
	s_delay_alu instid0(VALU_DEP_1) | instskip(NEXT) | instid1(VALU_DEP_1)
	v_div_scale_f32 v35, null, v34, v34, 1.0
	v_rcp_f32_e32 v36, v35
	v_nop
	s_delay_alu instid0(TRANS32_DEP_1) | instskip(NEXT) | instid1(VALU_DEP_1)
	v_fma_f32 v37, -v35, v36, 1.0
	v_fmac_f32_e32 v36, v37, v36
	v_div_scale_f32 v37, vcc_lo, 1.0, v34, 1.0
	s_delay_alu instid0(VALU_DEP_1) | instskip(NEXT) | instid1(VALU_DEP_1)
	v_mul_f32_e32 v38, v37, v36
	v_fma_f32 v39, -v35, v38, v37
	s_delay_alu instid0(VALU_DEP_1) | instskip(NEXT) | instid1(VALU_DEP_1)
	v_fmac_f32_e32 v38, v39, v36
	v_fma_f32 v35, -v35, v38, v37
	s_delay_alu instid0(VALU_DEP_1) | instskip(NEXT) | instid1(VALU_DEP_1)
	v_div_fmas_f32 v35, v35, v36, v38
	v_div_fixup_f32 v36, v35, v34, 1.0
	s_delay_alu instid0(VALU_DEP_1)
	v_mul_f32_e64 v37, v0, -v36
.LBB70_98:                              ;   in Loop: Header=BB70_3 Depth=1
	s_or_b32 exec_lo, exec_lo, s100
	ds_store_b64 v5, v[36:37]
.LBB70_99:                              ;   in Loop: Header=BB70_3 Depth=1
	s_or_b32 exec_lo, exec_lo, s99
.LBB70_100:                             ;   in Loop: Header=BB70_3 Depth=1
	s_and_not1_saveexec_b32 s7, s98
	s_cbranch_execz .LBB70_102
; %bb.101:                              ;   in Loop: Header=BB70_3 Depth=1
	v_lshl_add_u64 v[34:35], v[16:17], 3, s[70:71]
	global_load_b64 v[34:35], v[34:35], off
	s_wait_loadcnt 0x0
	s_wait_xcnt 0x0
	v_pk_add_f32 v[34:35], v[34:35], 0 neg_lo:[1,1] neg_hi:[1,1]
	ds_store_b64 v5, v[34:35]
.LBB70_102:                             ;   in Loop: Header=BB70_3 Depth=1
	s_or_b32 exec_lo, exec_lo, s7
	v_readlane_b32 s10, v92, 15
	s_and_saveexec_b32 s7, s10
	s_delay_alu instid0(SALU_CYCLE_1)
	s_xor_b32 s98, exec_lo, s7
	s_cbranch_execz .LBB70_114
; %bb.103:                              ;   in Loop: Header=BB70_3 Depth=1
	v_readlane_b32 s10, v92, 23
	s_and_saveexec_b32 s7, s10
	s_delay_alu instid0(SALU_CYCLE_1)
	s_xor_b32 s7, exec_lo, s7
	s_cbranch_execz .LBB70_107
; %bb.104:                              ;   in Loop: Header=BB70_3 Depth=1
	v_readlane_b32 s10, v91, 16
	s_and_saveexec_b32 s99, s10
; %bb.105:                              ;   in Loop: Header=BB70_3 Depth=1
	ds_store_b64 v73, v[32:33]
; %bb.106:                              ;   in Loop: Header=BB70_3 Depth=1
	s_or_b32 exec_lo, exec_lo, s99
.LBB70_107:                             ;   in Loop: Header=BB70_3 Depth=1
	s_and_not1_saveexec_b32 s99, s7
	s_cbranch_execz .LBB70_113
; %bb.108:                              ;   in Loop: Header=BB70_3 Depth=1
	v_lshl_add_u64 v[34:35], v[20:21], 3, s[70:71]
	s_mov_b32 s100, exec_lo
                                        ; implicit-def: $vgpr36_vgpr37
	global_load_b64 v[34:35], v[34:35], off
	s_wait_loadcnt 0x0
	s_wait_xcnt 0x0
	v_cmpx_ngt_f32_e64 |v34|, |v35|
	s_xor_b32 s100, exec_lo, s100
	s_cbranch_execz .LBB70_110
; %bb.109:                              ;   in Loop: Header=BB70_3 Depth=1
	v_div_scale_f32 v0, null, v35, v35, v34
	v_div_scale_f32 v38, vcc_lo, v34, v35, v34
	s_delay_alu instid0(VALU_DEP_2) | instskip(SKIP_1) | instid1(TRANS32_DEP_1)
	v_rcp_f32_e32 v36, v0
	v_nop
	v_fma_f32 v37, -v0, v36, 1.0
	s_delay_alu instid0(VALU_DEP_1) | instskip(NEXT) | instid1(VALU_DEP_1)
	v_fmac_f32_e32 v36, v37, v36
	v_mul_f32_e32 v37, v38, v36
	s_delay_alu instid0(VALU_DEP_1) | instskip(NEXT) | instid1(VALU_DEP_1)
	v_fma_f32 v39, -v0, v37, v38
	v_fmac_f32_e32 v37, v39, v36
	s_delay_alu instid0(VALU_DEP_1) | instskip(NEXT) | instid1(VALU_DEP_1)
	v_fma_f32 v0, -v0, v37, v38
	v_div_fmas_f32 v0, v0, v36, v37
	s_delay_alu instid0(VALU_DEP_1) | instskip(NEXT) | instid1(VALU_DEP_1)
	v_div_fixup_f32 v0, v0, v35, v34
	v_fmac_f32_e32 v35, v34, v0
	s_delay_alu instid0(VALU_DEP_1) | instskip(SKIP_1) | instid1(VALU_DEP_2)
	v_div_scale_f32 v34, null, v35, v35, 1.0
	v_div_scale_f32 v38, vcc_lo, 1.0, v35, 1.0
	v_rcp_f32_e32 v36, v34
	v_nop
	s_delay_alu instid0(TRANS32_DEP_1) | instskip(NEXT) | instid1(VALU_DEP_1)
	v_fma_f32 v37, -v34, v36, 1.0
	v_fmac_f32_e32 v36, v37, v36
	s_delay_alu instid0(VALU_DEP_1) | instskip(NEXT) | instid1(VALU_DEP_1)
	v_mul_f32_e32 v37, v38, v36
	v_fma_f32 v39, -v34, v37, v38
	s_delay_alu instid0(VALU_DEP_1) | instskip(NEXT) | instid1(VALU_DEP_1)
	v_fmac_f32_e32 v37, v39, v36
	v_fma_f32 v34, -v34, v37, v38
	s_delay_alu instid0(VALU_DEP_1) | instskip(NEXT) | instid1(VALU_DEP_1)
	v_div_fmas_f32 v34, v34, v36, v37
	v_div_fixup_f32 v34, v34, v35, 1.0
	s_delay_alu instid0(VALU_DEP_1)
	v_mul_f32_e32 v36, v0, v34
	v_xor_b32_e32 v37, 0x80000000, v34
                                        ; implicit-def: $vgpr34_vgpr35
.LBB70_110:                             ;   in Loop: Header=BB70_3 Depth=1
	s_and_not1_saveexec_b32 s100, s100
	s_cbranch_execz .LBB70_112
; %bb.111:                              ;   in Loop: Header=BB70_3 Depth=1
	v_div_scale_f32 v0, null, v34, v34, v35
	v_div_scale_f32 v38, vcc_lo, v35, v34, v35
	s_delay_alu instid0(VALU_DEP_2) | instskip(SKIP_1) | instid1(TRANS32_DEP_1)
	v_rcp_f32_e32 v36, v0
	v_nop
	v_fma_f32 v37, -v0, v36, 1.0
	s_delay_alu instid0(VALU_DEP_1) | instskip(NEXT) | instid1(VALU_DEP_1)
	v_fmac_f32_e32 v36, v37, v36
	v_mul_f32_e32 v37, v38, v36
	s_delay_alu instid0(VALU_DEP_1) | instskip(NEXT) | instid1(VALU_DEP_1)
	v_fma_f32 v39, -v0, v37, v38
	v_fmac_f32_e32 v37, v39, v36
	s_delay_alu instid0(VALU_DEP_1) | instskip(NEXT) | instid1(VALU_DEP_1)
	v_fma_f32 v0, -v0, v37, v38
	v_div_fmas_f32 v0, v0, v36, v37
	s_delay_alu instid0(VALU_DEP_1) | instskip(NEXT) | instid1(VALU_DEP_1)
	v_div_fixup_f32 v0, v0, v34, v35
	v_fmac_f32_e32 v34, v35, v0
	s_delay_alu instid0(VALU_DEP_1) | instskip(NEXT) | instid1(VALU_DEP_1)
	v_div_scale_f32 v35, null, v34, v34, 1.0
	v_rcp_f32_e32 v36, v35
	v_nop
	s_delay_alu instid0(TRANS32_DEP_1) | instskip(NEXT) | instid1(VALU_DEP_1)
	v_fma_f32 v37, -v35, v36, 1.0
	v_fmac_f32_e32 v36, v37, v36
	v_div_scale_f32 v37, vcc_lo, 1.0, v34, 1.0
	s_delay_alu instid0(VALU_DEP_1) | instskip(NEXT) | instid1(VALU_DEP_1)
	v_mul_f32_e32 v38, v37, v36
	v_fma_f32 v39, -v35, v38, v37
	s_delay_alu instid0(VALU_DEP_1) | instskip(NEXT) | instid1(VALU_DEP_1)
	v_fmac_f32_e32 v38, v39, v36
	v_fma_f32 v35, -v35, v38, v37
	s_delay_alu instid0(VALU_DEP_1) | instskip(NEXT) | instid1(VALU_DEP_1)
	v_div_fmas_f32 v35, v35, v36, v38
	v_div_fixup_f32 v36, v35, v34, 1.0
	s_delay_alu instid0(VALU_DEP_1)
	v_mul_f32_e64 v37, v0, -v36
.LBB70_112:                             ;   in Loop: Header=BB70_3 Depth=1
	s_or_b32 exec_lo, exec_lo, s100
	ds_store_b64 v73, v[36:37]
.LBB70_113:                             ;   in Loop: Header=BB70_3 Depth=1
	s_or_b32 exec_lo, exec_lo, s99
.LBB70_114:                             ;   in Loop: Header=BB70_3 Depth=1
	s_and_not1_saveexec_b32 s7, s98
	s_cbranch_execz .LBB70_116
; %bb.115:                              ;   in Loop: Header=BB70_3 Depth=1
	v_lshl_add_u64 v[34:35], v[20:21], 3, s[70:71]
	global_load_b64 v[34:35], v[34:35], off
	s_wait_loadcnt 0x0
	s_wait_xcnt 0x0
	v_pk_add_f32 v[34:35], v[34:35], 0 neg_lo:[1,1] neg_hi:[1,1]
	ds_store_b64 v73, v[34:35]
.LBB70_116:                             ;   in Loop: Header=BB70_3 Depth=1
	s_or_b32 exec_lo, exec_lo, s7
	v_readlane_b32 s10, v92, 17
	s_and_saveexec_b32 s7, s10
	s_delay_alu instid0(SALU_CYCLE_1)
	s_xor_b32 s98, exec_lo, s7
	s_cbranch_execz .LBB70_128
; %bb.117:                              ;   in Loop: Header=BB70_3 Depth=1
	v_readlane_b32 s10, v92, 25
	s_and_saveexec_b32 s7, s10
	s_delay_alu instid0(SALU_CYCLE_1)
	s_xor_b32 s7, exec_lo, s7
	s_cbranch_execz .LBB70_121
; %bb.118:                              ;   in Loop: Header=BB70_3 Depth=1
	v_readlane_b32 s10, v91, 17
	s_and_saveexec_b32 s99, s10
; %bb.119:                              ;   in Loop: Header=BB70_3 Depth=1
	ds_store_b64 v74, v[32:33]
; %bb.120:                              ;   in Loop: Header=BB70_3 Depth=1
	s_or_b32 exec_lo, exec_lo, s99
.LBB70_121:                             ;   in Loop: Header=BB70_3 Depth=1
	s_and_not1_saveexec_b32 s99, s7
	s_cbranch_execz .LBB70_127
; %bb.122:                              ;   in Loop: Header=BB70_3 Depth=1
	v_lshl_add_u64 v[34:35], v[22:23], 3, s[70:71]
	s_mov_b32 s100, exec_lo
                                        ; implicit-def: $vgpr36_vgpr37
	global_load_b64 v[34:35], v[34:35], off
	s_wait_loadcnt 0x0
	s_wait_xcnt 0x0
	v_cmpx_ngt_f32_e64 |v34|, |v35|
	s_xor_b32 s100, exec_lo, s100
	s_cbranch_execz .LBB70_124
; %bb.123:                              ;   in Loop: Header=BB70_3 Depth=1
	v_div_scale_f32 v0, null, v35, v35, v34
	v_div_scale_f32 v38, vcc_lo, v34, v35, v34
	s_delay_alu instid0(VALU_DEP_2) | instskip(SKIP_1) | instid1(TRANS32_DEP_1)
	v_rcp_f32_e32 v36, v0
	v_nop
	v_fma_f32 v37, -v0, v36, 1.0
	s_delay_alu instid0(VALU_DEP_1) | instskip(NEXT) | instid1(VALU_DEP_1)
	v_fmac_f32_e32 v36, v37, v36
	v_mul_f32_e32 v37, v38, v36
	s_delay_alu instid0(VALU_DEP_1) | instskip(NEXT) | instid1(VALU_DEP_1)
	v_fma_f32 v39, -v0, v37, v38
	v_fmac_f32_e32 v37, v39, v36
	s_delay_alu instid0(VALU_DEP_1) | instskip(NEXT) | instid1(VALU_DEP_1)
	v_fma_f32 v0, -v0, v37, v38
	v_div_fmas_f32 v0, v0, v36, v37
	s_delay_alu instid0(VALU_DEP_1) | instskip(NEXT) | instid1(VALU_DEP_1)
	v_div_fixup_f32 v0, v0, v35, v34
	v_fmac_f32_e32 v35, v34, v0
	s_delay_alu instid0(VALU_DEP_1) | instskip(SKIP_1) | instid1(VALU_DEP_2)
	v_div_scale_f32 v34, null, v35, v35, 1.0
	v_div_scale_f32 v38, vcc_lo, 1.0, v35, 1.0
	v_rcp_f32_e32 v36, v34
	v_nop
	s_delay_alu instid0(TRANS32_DEP_1) | instskip(NEXT) | instid1(VALU_DEP_1)
	v_fma_f32 v37, -v34, v36, 1.0
	v_fmac_f32_e32 v36, v37, v36
	s_delay_alu instid0(VALU_DEP_1) | instskip(NEXT) | instid1(VALU_DEP_1)
	v_mul_f32_e32 v37, v38, v36
	v_fma_f32 v39, -v34, v37, v38
	s_delay_alu instid0(VALU_DEP_1) | instskip(NEXT) | instid1(VALU_DEP_1)
	v_fmac_f32_e32 v37, v39, v36
	v_fma_f32 v34, -v34, v37, v38
	s_delay_alu instid0(VALU_DEP_1) | instskip(NEXT) | instid1(VALU_DEP_1)
	v_div_fmas_f32 v34, v34, v36, v37
	v_div_fixup_f32 v34, v34, v35, 1.0
	s_delay_alu instid0(VALU_DEP_1)
	v_mul_f32_e32 v36, v0, v34
	v_xor_b32_e32 v37, 0x80000000, v34
                                        ; implicit-def: $vgpr34_vgpr35
.LBB70_124:                             ;   in Loop: Header=BB70_3 Depth=1
	s_and_not1_saveexec_b32 s100, s100
	s_cbranch_execz .LBB70_126
; %bb.125:                              ;   in Loop: Header=BB70_3 Depth=1
	v_div_scale_f32 v0, null, v34, v34, v35
	v_div_scale_f32 v38, vcc_lo, v35, v34, v35
	s_delay_alu instid0(VALU_DEP_2) | instskip(SKIP_1) | instid1(TRANS32_DEP_1)
	v_rcp_f32_e32 v36, v0
	v_nop
	v_fma_f32 v37, -v0, v36, 1.0
	s_delay_alu instid0(VALU_DEP_1) | instskip(NEXT) | instid1(VALU_DEP_1)
	v_fmac_f32_e32 v36, v37, v36
	v_mul_f32_e32 v37, v38, v36
	s_delay_alu instid0(VALU_DEP_1) | instskip(NEXT) | instid1(VALU_DEP_1)
	v_fma_f32 v39, -v0, v37, v38
	v_fmac_f32_e32 v37, v39, v36
	s_delay_alu instid0(VALU_DEP_1) | instskip(NEXT) | instid1(VALU_DEP_1)
	v_fma_f32 v0, -v0, v37, v38
	v_div_fmas_f32 v0, v0, v36, v37
	s_delay_alu instid0(VALU_DEP_1) | instskip(NEXT) | instid1(VALU_DEP_1)
	v_div_fixup_f32 v0, v0, v34, v35
	v_fmac_f32_e32 v34, v35, v0
	s_delay_alu instid0(VALU_DEP_1) | instskip(NEXT) | instid1(VALU_DEP_1)
	v_div_scale_f32 v35, null, v34, v34, 1.0
	v_rcp_f32_e32 v36, v35
	v_nop
	s_delay_alu instid0(TRANS32_DEP_1) | instskip(NEXT) | instid1(VALU_DEP_1)
	v_fma_f32 v37, -v35, v36, 1.0
	v_fmac_f32_e32 v36, v37, v36
	v_div_scale_f32 v37, vcc_lo, 1.0, v34, 1.0
	s_delay_alu instid0(VALU_DEP_1) | instskip(NEXT) | instid1(VALU_DEP_1)
	v_mul_f32_e32 v38, v37, v36
	v_fma_f32 v39, -v35, v38, v37
	s_delay_alu instid0(VALU_DEP_1) | instskip(NEXT) | instid1(VALU_DEP_1)
	v_fmac_f32_e32 v38, v39, v36
	v_fma_f32 v35, -v35, v38, v37
	s_delay_alu instid0(VALU_DEP_1) | instskip(NEXT) | instid1(VALU_DEP_1)
	v_div_fmas_f32 v35, v35, v36, v38
	v_div_fixup_f32 v36, v35, v34, 1.0
	s_delay_alu instid0(VALU_DEP_1)
	v_mul_f32_e64 v37, v0, -v36
.LBB70_126:                             ;   in Loop: Header=BB70_3 Depth=1
	s_or_b32 exec_lo, exec_lo, s100
	ds_store_b64 v74, v[36:37]
.LBB70_127:                             ;   in Loop: Header=BB70_3 Depth=1
	s_or_b32 exec_lo, exec_lo, s99
.LBB70_128:                             ;   in Loop: Header=BB70_3 Depth=1
	s_and_not1_saveexec_b32 s7, s98
	s_cbranch_execz .LBB70_130
; %bb.129:                              ;   in Loop: Header=BB70_3 Depth=1
	v_lshl_add_u64 v[34:35], v[22:23], 3, s[70:71]
	global_load_b64 v[34:35], v[34:35], off
	s_wait_loadcnt 0x0
	s_wait_xcnt 0x0
	v_pk_add_f32 v[34:35], v[34:35], 0 neg_lo:[1,1] neg_hi:[1,1]
	ds_store_b64 v74, v[34:35]
.LBB70_130:                             ;   in Loop: Header=BB70_3 Depth=1
	s_or_b32 exec_lo, exec_lo, s7
.LBB70_131:                             ;   in Loop: Header=BB70_3 Depth=1
	s_delay_alu instid0(SALU_CYCLE_1)
	s_and_not1_b32 vcc_lo, exec_lo, s44
	s_wait_storecnt_dscnt 0x0
	s_barrier_signal -1
	s_barrier_wait -1
	s_cbranch_vccnz .LBB70_991
; %bb.132:                              ;   in Loop: Header=BB70_3 Depth=1
	s_and_saveexec_b32 s98, s14
	s_cbranch_execz .LBB70_134
; %bb.133:                              ;   in Loop: Header=BB70_3 Depth=1
	ds_load_b128 v[34:37], v1
	ds_load_b64 v[38:39], v1 offset:520
	s_wait_dscnt 0x1
	v_dual_mov_b32 v78, v37 :: v_dual_mov_b32 v79, v36
	s_wait_dscnt 0x0
	v_dual_mul_f32 v77, v39, v35 :: v_dual_mul_f32 v0, v38, v35
	s_delay_alu instid0(VALU_DEP_1) | instskip(NEXT) | instid1(VALU_DEP_2)
	v_xor_b32_e32 v80, 0x80000000, v77
	v_fmac_f32_e32 v0, v39, v34
	s_delay_alu instid0(VALU_DEP_2) | instskip(NEXT) | instid1(VALU_DEP_2)
	v_fmac_f32_e32 v80, v38, v34
	v_pk_mul_f32 v[34:35], v[0:1], v[78:79] op_sel_hi:[0,1]
	s_delay_alu instid0(VALU_DEP_1) | instskip(SKIP_1) | instid1(VALU_DEP_2)
	v_pk_fma_f32 v[38:39], v[80:81], v[36:37], v[34:35] op_sel_hi:[0,1,1]
	v_pk_fma_f32 v[34:35], v[80:81], v[36:37], v[34:35] neg_lo:[0,0,1] neg_hi:[0,0,1]
	v_mov_b32_e32 v35, v39
	ds_store_b64 v1, v[34:35] offset:8
.LBB70_134:                             ;   in Loop: Header=BB70_3 Depth=1
	s_or_b32 exec_lo, exec_lo, s98
	v_mov_b32_e32 v35, 0
	s_wait_dscnt 0x0
	s_barrier_signal -1
	s_barrier_wait -1
	s_delay_alu instid0(VALU_DEP_1)
	v_mov_b32_e32 v34, v35
	s_and_saveexec_b32 s98, s1
	s_cbranch_execz .LBB70_138
; %bb.135:                              ;   in Loop: Header=BB70_3 Depth=1
	ds_load_b64 v[34:35], v42 offset:16
	ds_load_b64 v[36:37], v43
	s_wait_dscnt 0x0
	v_dual_mul_f32 v0, v37, v35 :: v_dual_mul_f32 v39, v36, v35
	s_delay_alu instid0(VALU_DEP_1) | instskip(NEXT) | instid1(VALU_DEP_1)
	v_dual_fma_f32 v38, v36, v34, -v0 :: v_dual_fmac_f32 v39, v37, v34
	v_pk_add_f32 v[34:35], v[38:39], 0 op_sel_hi:[1,0]
	s_and_saveexec_b32 s7, s15
	s_cbranch_execz .LBB70_137
; %bb.136:                              ;   in Loop: Header=BB70_3 Depth=1
	ds_load_b64 v[36:37], v44 offset:528
	ds_load_b64 v[38:39], v1 offset:8
	s_wait_dscnt 0x0
	v_pk_mul_f32 v[78:79], v[38:39], v[36:37] op_sel:[1,1] op_sel_hi:[0,1]
	s_delay_alu instid0(VALU_DEP_1) | instskip(SKIP_1) | instid1(VALU_DEP_2)
	v_pk_fma_f32 v[80:81], v[38:39], v[36:37], v[78:79] op_sel_hi:[1,0,1]
	v_pk_fma_f32 v[36:37], v[38:39], v[36:37], v[78:79] neg_lo:[0,0,1] neg_hi:[0,0,1]
	v_mov_b32_e32 v37, v81
	s_delay_alu instid0(VALU_DEP_1)
	v_pk_add_f32 v[34:35], v[34:35], v[36:37]
.LBB70_137:                             ;   in Loop: Header=BB70_3 Depth=1
	s_or_b32 exec_lo, exec_lo, s7
	s_delay_alu instid0(VALU_DEP_1)
	v_pk_add_f32 v[34:35], v[34:35], 0 neg_lo:[1,1] neg_hi:[1,1]
.LBB70_138:                             ;   in Loop: Header=BB70_3 Depth=1
	s_or_b32 exec_lo, exec_lo, s98
	s_and_saveexec_b32 s7, s45
	s_cbranch_execz .LBB70_140
; %bb.139:                              ;   in Loop: Header=BB70_3 Depth=1
	ds_load_b64 v[36:37], v1 offset:1040
	s_wait_dscnt 0x0
	v_pk_mul_f32 v[38:39], v[34:35], v[36:37] op_sel:[1,1] op_sel_hi:[1,0]
	s_delay_alu instid0(VALU_DEP_1) | instskip(SKIP_1) | instid1(VALU_DEP_2)
	v_pk_fma_f32 v[78:79], v[34:35], v[36:37], v[38:39] op_sel_hi:[0,1,1]
	v_pk_fma_f32 v[36:37], v[34:35], v[36:37], v[38:39] neg_lo:[0,0,1] neg_hi:[0,0,1]
	v_mov_b32_e32 v37, v79
	s_delay_alu instid0(VALU_DEP_1)
	v_mov_b64_e32 v[34:35], v[36:37]
	ds_store_b64 v3, v[36:37]
.LBB70_140:                             ;   in Loop: Header=BB70_3 Depth=1
	s_or_b32 exec_lo, exec_lo, s7
	s_wait_dscnt 0x0
	s_barrier_signal -1
	s_barrier_wait -1
	s_and_saveexec_b32 s7, s46
	s_cbranch_execz .LBB70_142
; %bb.141:                              ;   in Loop: Header=BB70_3 Depth=1
	ds_load_b64 v[36:37], v1 offset:1048
	ds_load_b64 v[38:39], v3
	s_wait_dscnt 0x0
	v_pk_mul_f32 v[78:79], v[38:39], v[36:37] op_sel:[1,1] op_sel_hi:[0,1]
	s_delay_alu instid0(VALU_DEP_1) | instskip(SKIP_1) | instid1(VALU_DEP_2)
	v_pk_fma_f32 v[80:81], v[38:39], v[36:37], v[78:79] op_sel_hi:[1,0,1]
	v_pk_fma_f32 v[36:37], v[38:39], v[36:37], v[78:79] neg_lo:[0,0,1] neg_hi:[0,0,1]
	v_mov_b32_e32 v37, v81
	s_delay_alu instid0(VALU_DEP_1)
	v_pk_add_f32 v[34:35], v[34:35], v[36:37]
.LBB70_142:                             ;   in Loop: Header=BB70_3 Depth=1
	s_or_b32 exec_lo, exec_lo, s7
	s_barrier_signal -1
	s_barrier_wait -1
	s_and_saveexec_b32 s7, s46
	s_cbranch_execz .LBB70_144
; %bb.143:                              ;   in Loop: Header=BB70_3 Depth=1
	ds_load_b64 v[36:37], v1 offset:1560
	s_wait_dscnt 0x0
	v_pk_mul_f32 v[38:39], v[34:35], v[36:37] op_sel:[1,1] op_sel_hi:[1,0]
	s_delay_alu instid0(VALU_DEP_1) | instskip(SKIP_1) | instid1(VALU_DEP_2)
	v_pk_fma_f32 v[78:79], v[34:35], v[36:37], v[38:39] op_sel_hi:[0,1,1]
	v_pk_fma_f32 v[36:37], v[34:35], v[36:37], v[38:39] neg_lo:[0,0,1] neg_hi:[0,0,1]
	v_mov_b32_e32 v37, v79
	s_delay_alu instid0(VALU_DEP_1)
	v_mov_b64_e32 v[34:35], v[36:37]
	ds_store_b64 v3, v[36:37]
.LBB70_144:                             ;   in Loop: Header=BB70_3 Depth=1
	s_or_b32 exec_lo, exec_lo, s7
	s_wait_dscnt 0x0
	s_barrier_signal -1
	s_barrier_wait -1
	s_barrier_signal -1
	s_barrier_wait -1
	s_and_saveexec_b32 s7, s1
; %bb.145:                              ;   in Loop: Header=BB70_3 Depth=1
	v_pk_add_f32 v[34:35], v[34:35], 0 neg_lo:[1,1] neg_hi:[1,1]
	ds_store_b64 v42, v[34:35] offset:16
; %bb.146:                              ;   in Loop: Header=BB70_3 Depth=1
	s_or_b32 exec_lo, exec_lo, s7
	s_wait_dscnt 0x0
	s_barrier_signal -1
	s_barrier_wait -1
	s_barrier_signal -1
	s_barrier_wait -1
	s_and_saveexec_b32 s98, s14
	s_cbranch_execz .LBB70_148
; %bb.147:                              ;   in Loop: Header=BB70_3 Depth=1
	ds_load_b128 v[34:37], v1 offset:1040
	ds_load_b64 v[38:39], v1 offset:1560
	s_wait_dscnt 0x1
	v_dual_mov_b32 v78, v37 :: v_dual_mov_b32 v79, v36
	s_wait_dscnt 0x0
	v_dual_mul_f32 v77, v39, v35 :: v_dual_mul_f32 v0, v38, v35
	s_delay_alu instid0(VALU_DEP_1) | instskip(NEXT) | instid1(VALU_DEP_2)
	v_xor_b32_e32 v80, 0x80000000, v77
	v_fmac_f32_e32 v0, v39, v34
	s_delay_alu instid0(VALU_DEP_2) | instskip(NEXT) | instid1(VALU_DEP_2)
	v_fmac_f32_e32 v80, v38, v34
	v_pk_mul_f32 v[34:35], v[0:1], v[78:79] op_sel_hi:[0,1]
	s_delay_alu instid0(VALU_DEP_1) | instskip(SKIP_1) | instid1(VALU_DEP_2)
	v_pk_fma_f32 v[38:39], v[80:81], v[36:37], v[34:35] op_sel_hi:[0,1,1]
	v_pk_fma_f32 v[34:35], v[80:81], v[36:37], v[34:35] neg_lo:[0,0,1] neg_hi:[0,0,1]
	v_mov_b32_e32 v35, v39
	ds_store_b64 v1, v[34:35] offset:1048
.LBB70_148:                             ;   in Loop: Header=BB70_3 Depth=1
	s_or_b32 exec_lo, exec_lo, s98
	v_mov_b32_e32 v34, 0
	s_wait_dscnt 0x0
	s_barrier_signal -1
	s_barrier_wait -1
	s_delay_alu instid0(VALU_DEP_1)
	v_mov_b32_e32 v35, v34
	s_and_saveexec_b32 s98, s2
	s_cbranch_execz .LBB70_154
; %bb.149:                              ;   in Loop: Header=BB70_3 Depth=1
	ds_load_b64 v[34:35], v48 offset:32
	ds_load_b64 v[36:37], v46
	s_wait_dscnt 0x0
	v_pk_mul_f32 v[38:39], v[36:37], v[34:35] op_sel:[0,1]
	s_delay_alu instid0(VALU_DEP_1) | instskip(SKIP_1) | instid1(VALU_DEP_2)
	v_pk_fma_f32 v[78:79], v[36:37], v[34:35], v[38:39] op_sel:[1,0,0] op_sel_hi:[0,0,1] neg_lo:[0,0,1] neg_hi:[0,0,1]
	v_pk_fma_f32 v[34:35], v[36:37], v[34:35], v[38:39] op_sel:[1,0,0] op_sel_hi:[0,1,1]
	v_mov_b32_e32 v35, v79
	s_delay_alu instid0(VALU_DEP_1)
	v_pk_add_f32 v[34:35], v[34:35], 0 op_sel_hi:[1,0]
	s_and_saveexec_b32 s7, s16
	s_cbranch_execnz .LBB70_1048
; %bb.150:                              ;   in Loop: Header=BB70_3 Depth=1
	s_or_b32 exec_lo, exec_lo, s7
	s_and_saveexec_b32 s7, s17
	s_cbranch_execnz .LBB70_1049
.LBB70_151:                             ;   in Loop: Header=BB70_3 Depth=1
	s_or_b32 exec_lo, exec_lo, s7
	s_and_saveexec_b32 s7, s1
	s_cbranch_execz .LBB70_153
.LBB70_152:                             ;   in Loop: Header=BB70_3 Depth=1
	ds_load_b64 v[36:37], v44 offset:1568
	ds_load_b64 v[38:39], v1 offset:24
	s_wait_dscnt 0x0
	v_pk_mul_f32 v[78:79], v[38:39], v[36:37] op_sel:[0,1]
	s_delay_alu instid0(VALU_DEP_1) | instskip(SKIP_1) | instid1(VALU_DEP_2)
	v_pk_fma_f32 v[80:81], v[38:39], v[36:37], v[78:79] op_sel:[1,0,0] op_sel_hi:[0,0,1] neg_lo:[0,0,1] neg_hi:[0,0,1]
	v_pk_fma_f32 v[36:37], v[38:39], v[36:37], v[78:79] op_sel:[1,0,0] op_sel_hi:[0,1,1]
	v_mov_b32_e32 v37, v81
	s_delay_alu instid0(VALU_DEP_1)
	v_pk_add_f32 v[34:35], v[34:35], v[36:37]
.LBB70_153:                             ;   in Loop: Header=BB70_3 Depth=1
	s_or_b32 exec_lo, exec_lo, s7
	s_delay_alu instid0(VALU_DEP_1) | instskip(NEXT) | instid1(VALU_DEP_1)
	v_pk_add_f32 v[36:37], v[34:35], 0 neg_lo:[1,1] neg_hi:[1,1]
	v_dual_mov_b32 v34, v37 :: v_dual_mov_b32 v35, v36
.LBB70_154:                             ;   in Loop: Header=BB70_3 Depth=1
	s_or_b32 exec_lo, exec_lo, s98
	s_and_saveexec_b32 s7, s47
	s_cbranch_execz .LBB70_156
; %bb.155:                              ;   in Loop: Header=BB70_3 Depth=1
	ds_load_b64 v[36:37], v1 offset:2080
	v_dual_mov_b32 v38, v35 :: v_dual_mov_b32 v39, v34
	s_wait_dscnt 0x0
	s_delay_alu instid0(VALU_DEP_1) | instskip(NEXT) | instid1(VALU_DEP_1)
	v_dual_mul_f32 v0, v38, v36 :: v_dual_mul_f32 v78, v35, v37
	v_pk_fma_f32 v[38:39], v[38:39], v[36:37], v[0:1] op_sel_hi:[1,1,0]
	s_delay_alu instid0(VALU_DEP_2) | instskip(NEXT) | instid1(VALU_DEP_2)
	v_pk_fma_f32 v[34:35], v[34:35], v[36:37], v[78:79] op_sel_hi:[1,1,0] neg_lo:[0,0,1] neg_hi:[0,0,1]
	v_mov_b32_e32 v35, v39
	ds_store_b64 v47, v[34:35]
.LBB70_156:                             ;   in Loop: Header=BB70_3 Depth=1
	s_or_b32 exec_lo, exec_lo, s7
	s_wait_dscnt 0x0
	s_barrier_signal -1
	s_barrier_wait -1
	s_and_saveexec_b32 s7, s48
	s_cbranch_execz .LBB70_158
; %bb.157:                              ;   in Loop: Header=BB70_3 Depth=1
	ds_load_b64 v[36:37], v45 offset:2080
	ds_load_b64 v[38:39], v47
	s_wait_dscnt 0x0
	v_dual_mul_f32 v0, v39, v37 :: v_dual_mul_f32 v79, v38, v37
	s_delay_alu instid0(VALU_DEP_1) | instskip(NEXT) | instid1(VALU_DEP_1)
	v_dual_fma_f32 v78, v38, v36, -v0 :: v_dual_fmac_f32 v79, v39, v36
	v_pk_add_f32 v[34:35], v[34:35], v[78:79]
.LBB70_158:                             ;   in Loop: Header=BB70_3 Depth=1
	s_or_b32 exec_lo, exec_lo, s7
	s_barrier_signal -1
	s_barrier_wait -1
	s_and_saveexec_b32 s7, s49
	s_cbranch_execz .LBB70_160
; %bb.159:                              ;   in Loop: Header=BB70_3 Depth=1
	ds_load_b64 v[36:37], v1 offset:2600
	s_wait_dscnt 0x0
	v_pk_mul_f32 v[38:39], v[34:35], v[36:37] op_sel:[1,1] op_sel_hi:[1,0]
	s_delay_alu instid0(VALU_DEP_1) | instskip(SKIP_1) | instid1(VALU_DEP_2)
	v_pk_fma_f32 v[78:79], v[34:35], v[36:37], v[38:39] op_sel_hi:[0,1,1]
	v_pk_fma_f32 v[36:37], v[34:35], v[36:37], v[38:39] neg_lo:[0,0,1] neg_hi:[0,0,1]
	v_mov_b32_e32 v37, v79
	s_delay_alu instid0(VALU_DEP_1)
	v_mov_b64_e32 v[34:35], v[36:37]
	ds_store_b64 v47, v[36:37]
.LBB70_160:                             ;   in Loop: Header=BB70_3 Depth=1
	s_or_b32 exec_lo, exec_lo, s7
	s_wait_dscnt 0x0
	s_barrier_signal -1
	s_barrier_wait -1
	s_and_saveexec_b32 s7, s50
	s_cbranch_execz .LBB70_162
; %bb.161:                              ;   in Loop: Header=BB70_3 Depth=1
	ds_load_b64 v[36:37], v45 offset:2592
	ds_load_b64 v[38:39], v47
	s_wait_dscnt 0x0
	v_pk_mul_f32 v[78:79], v[38:39], v[36:37] op_sel:[1,1] op_sel_hi:[0,1]
	s_delay_alu instid0(VALU_DEP_1) | instskip(SKIP_1) | instid1(VALU_DEP_2)
	v_pk_fma_f32 v[80:81], v[38:39], v[36:37], v[78:79] op_sel_hi:[1,0,1]
	v_pk_fma_f32 v[36:37], v[38:39], v[36:37], v[78:79] neg_lo:[0,0,1] neg_hi:[0,0,1]
	v_mov_b32_e32 v37, v81
	s_delay_alu instid0(VALU_DEP_1)
	v_pk_add_f32 v[34:35], v[34:35], v[36:37]
.LBB70_162:                             ;   in Loop: Header=BB70_3 Depth=1
	s_or_b32 exec_lo, exec_lo, s7
	s_barrier_signal -1
	s_barrier_wait -1
	s_and_saveexec_b32 s7, s51
	s_cbranch_execz .LBB70_164
; %bb.163:                              ;   in Loop: Header=BB70_3 Depth=1
	ds_load_b64 v[36:37], v1 offset:3120
	s_wait_dscnt 0x0
	v_pk_mul_f32 v[38:39], v[34:35], v[36:37] op_sel:[1,1] op_sel_hi:[1,0]
	s_delay_alu instid0(VALU_DEP_1) | instskip(SKIP_1) | instid1(VALU_DEP_2)
	v_pk_fma_f32 v[78:79], v[34:35], v[36:37], v[38:39] op_sel_hi:[0,1,1]
	v_pk_fma_f32 v[36:37], v[34:35], v[36:37], v[38:39] neg_lo:[0,0,1] neg_hi:[0,0,1]
	v_mov_b32_e32 v37, v79
	s_delay_alu instid0(VALU_DEP_1)
	v_mov_b64_e32 v[34:35], v[36:37]
	ds_store_b64 v47, v[36:37]
.LBB70_164:                             ;   in Loop: Header=BB70_3 Depth=1
	s_or_b32 exec_lo, exec_lo, s7
	s_wait_dscnt 0x0
	s_barrier_signal -1
	s_barrier_wait -1
	s_and_saveexec_b32 s7, s52
	s_cbranch_execz .LBB70_166
; %bb.165:                              ;   in Loop: Header=BB70_3 Depth=1
	ds_load_b64 v[36:37], v1 offset:3128
	ds_load_b64 v[38:39], v47
	s_wait_dscnt 0x0
	v_pk_mul_f32 v[78:79], v[38:39], v[36:37] op_sel:[1,1] op_sel_hi:[0,1]
	s_delay_alu instid0(VALU_DEP_1) | instskip(SKIP_1) | instid1(VALU_DEP_2)
	v_pk_fma_f32 v[80:81], v[38:39], v[36:37], v[78:79] op_sel_hi:[1,0,1]
	v_pk_fma_f32 v[36:37], v[38:39], v[36:37], v[78:79] neg_lo:[0,0,1] neg_hi:[0,0,1]
	v_mov_b32_e32 v37, v81
	s_delay_alu instid0(VALU_DEP_1)
	v_pk_add_f32 v[34:35], v[34:35], v[36:37]
.LBB70_166:                             ;   in Loop: Header=BB70_3 Depth=1
	s_or_b32 exec_lo, exec_lo, s7
	s_barrier_signal -1
	s_barrier_wait -1
	s_and_saveexec_b32 s7, s52
	s_cbranch_execz .LBB70_168
; %bb.167:                              ;   in Loop: Header=BB70_3 Depth=1
	ds_load_b64 v[36:37], v1 offset:3640
	s_wait_dscnt 0x0
	v_pk_mul_f32 v[38:39], v[34:35], v[36:37] op_sel:[1,1] op_sel_hi:[1,0]
	s_delay_alu instid0(VALU_DEP_1) | instskip(SKIP_1) | instid1(VALU_DEP_2)
	v_pk_fma_f32 v[78:79], v[34:35], v[36:37], v[38:39] op_sel_hi:[0,1,1]
	v_pk_fma_f32 v[36:37], v[34:35], v[36:37], v[38:39] neg_lo:[0,0,1] neg_hi:[0,0,1]
	v_mov_b32_e32 v37, v79
	s_delay_alu instid0(VALU_DEP_1)
	v_mov_b64_e32 v[34:35], v[36:37]
	ds_store_b64 v47, v[36:37]
.LBB70_168:                             ;   in Loop: Header=BB70_3 Depth=1
	s_or_b32 exec_lo, exec_lo, s7
	s_wait_dscnt 0x0
	s_barrier_signal -1
	s_barrier_wait -1
	s_barrier_signal -1
	s_barrier_wait -1
	s_and_saveexec_b32 s7, s2
; %bb.169:                              ;   in Loop: Header=BB70_3 Depth=1
	v_pk_add_f32 v[34:35], v[34:35], 0 neg_lo:[1,1] neg_hi:[1,1]
	ds_store_b64 v48, v[34:35] offset:32
; %bb.170:                              ;   in Loop: Header=BB70_3 Depth=1
	s_or_b32 exec_lo, exec_lo, s7
	s_wait_dscnt 0x0
	s_barrier_signal -1
	s_barrier_wait -1
	s_barrier_signal -1
	s_barrier_wait -1
	s_and_saveexec_b32 s98, s14
	s_cbranch_execz .LBB70_172
; %bb.171:                              ;   in Loop: Header=BB70_3 Depth=1
	ds_load_b128 v[34:37], v1 offset:2080
	ds_load_b64 v[38:39], v1 offset:2600
	s_wait_dscnt 0x1
	v_dual_mov_b32 v78, v37 :: v_dual_mov_b32 v79, v36
	s_wait_dscnt 0x0
	v_dual_mul_f32 v77, v39, v35 :: v_dual_mul_f32 v0, v38, v35
	s_delay_alu instid0(VALU_DEP_1) | instskip(NEXT) | instid1(VALU_DEP_2)
	v_xor_b32_e32 v80, 0x80000000, v77
	v_fmac_f32_e32 v0, v39, v34
	s_delay_alu instid0(VALU_DEP_2) | instskip(NEXT) | instid1(VALU_DEP_2)
	v_fmac_f32_e32 v80, v38, v34
	v_pk_mul_f32 v[34:35], v[0:1], v[78:79] op_sel_hi:[0,1]
	s_delay_alu instid0(VALU_DEP_1) | instskip(SKIP_1) | instid1(VALU_DEP_2)
	v_pk_fma_f32 v[38:39], v[80:81], v[36:37], v[34:35] op_sel_hi:[0,1,1]
	v_pk_fma_f32 v[34:35], v[80:81], v[36:37], v[34:35] neg_lo:[0,0,1] neg_hi:[0,0,1]
	v_mov_b32_e32 v35, v39
	ds_store_b64 v1, v[34:35] offset:2088
.LBB70_172:                             ;   in Loop: Header=BB70_3 Depth=1
	s_or_b32 exec_lo, exec_lo, s98
	v_mov_b32_e32 v35, 0
	s_wait_dscnt 0x0
	s_barrier_signal -1
	s_barrier_wait -1
	s_delay_alu instid0(VALU_DEP_1)
	v_mov_b32_e32 v34, v35
	s_and_saveexec_b32 s98, s1
	s_cbranch_execz .LBB70_176
; %bb.173:                              ;   in Loop: Header=BB70_3 Depth=1
	ds_load_b64 v[34:35], v42 offset:2096
	ds_load_b64 v[36:37], v43 offset:2080
	s_wait_dscnt 0x0
	v_dual_mul_f32 v0, v37, v35 :: v_dual_mul_f32 v39, v36, v35
	s_delay_alu instid0(VALU_DEP_1) | instskip(NEXT) | instid1(VALU_DEP_1)
	v_dual_fma_f32 v38, v36, v34, -v0 :: v_dual_fmac_f32 v39, v37, v34
	v_pk_add_f32 v[34:35], v[38:39], 0 op_sel_hi:[1,0]
	s_and_saveexec_b32 s7, s15
	s_cbranch_execz .LBB70_175
; %bb.174:                              ;   in Loop: Header=BB70_3 Depth=1
	ds_load_b64 v[36:37], v44 offset:2608
	ds_load_b64 v[38:39], v1 offset:2088
	s_wait_dscnt 0x0
	v_pk_mul_f32 v[78:79], v[38:39], v[36:37] op_sel:[1,1] op_sel_hi:[0,1]
	s_delay_alu instid0(VALU_DEP_1) | instskip(SKIP_1) | instid1(VALU_DEP_2)
	v_pk_fma_f32 v[80:81], v[38:39], v[36:37], v[78:79] op_sel_hi:[1,0,1]
	v_pk_fma_f32 v[36:37], v[38:39], v[36:37], v[78:79] neg_lo:[0,0,1] neg_hi:[0,0,1]
	v_mov_b32_e32 v37, v81
	s_delay_alu instid0(VALU_DEP_1)
	v_pk_add_f32 v[34:35], v[34:35], v[36:37]
.LBB70_175:                             ;   in Loop: Header=BB70_3 Depth=1
	s_or_b32 exec_lo, exec_lo, s7
	s_delay_alu instid0(VALU_DEP_1)
	v_pk_add_f32 v[34:35], v[34:35], 0 neg_lo:[1,1] neg_hi:[1,1]
.LBB70_176:                             ;   in Loop: Header=BB70_3 Depth=1
	s_or_b32 exec_lo, exec_lo, s98
	s_and_saveexec_b32 s7, s45
	s_cbranch_execz .LBB70_178
; %bb.177:                              ;   in Loop: Header=BB70_3 Depth=1
	ds_load_b64 v[36:37], v1 offset:3120
	s_wait_dscnt 0x0
	v_pk_mul_f32 v[38:39], v[34:35], v[36:37] op_sel:[1,1] op_sel_hi:[1,0]
	s_delay_alu instid0(VALU_DEP_1) | instskip(SKIP_1) | instid1(VALU_DEP_2)
	v_pk_fma_f32 v[78:79], v[34:35], v[36:37], v[38:39] op_sel_hi:[0,1,1]
	v_pk_fma_f32 v[36:37], v[34:35], v[36:37], v[38:39] neg_lo:[0,0,1] neg_hi:[0,0,1]
	v_mov_b32_e32 v37, v79
	s_delay_alu instid0(VALU_DEP_1)
	v_mov_b64_e32 v[34:35], v[36:37]
	ds_store_b64 v3, v[36:37]
.LBB70_178:                             ;   in Loop: Header=BB70_3 Depth=1
	s_or_b32 exec_lo, exec_lo, s7
	s_wait_dscnt 0x0
	s_barrier_signal -1
	s_barrier_wait -1
	s_and_saveexec_b32 s7, s46
	s_cbranch_execz .LBB70_180
; %bb.179:                              ;   in Loop: Header=BB70_3 Depth=1
	ds_load_b64 v[36:37], v1 offset:3128
	ds_load_b64 v[38:39], v3
	s_wait_dscnt 0x0
	v_pk_mul_f32 v[78:79], v[38:39], v[36:37] op_sel:[1,1] op_sel_hi:[0,1]
	s_delay_alu instid0(VALU_DEP_1) | instskip(SKIP_1) | instid1(VALU_DEP_2)
	v_pk_fma_f32 v[80:81], v[38:39], v[36:37], v[78:79] op_sel_hi:[1,0,1]
	v_pk_fma_f32 v[36:37], v[38:39], v[36:37], v[78:79] neg_lo:[0,0,1] neg_hi:[0,0,1]
	v_mov_b32_e32 v37, v81
	s_delay_alu instid0(VALU_DEP_1)
	v_pk_add_f32 v[34:35], v[34:35], v[36:37]
.LBB70_180:                             ;   in Loop: Header=BB70_3 Depth=1
	s_or_b32 exec_lo, exec_lo, s7
	s_barrier_signal -1
	s_barrier_wait -1
	s_and_saveexec_b32 s7, s46
	s_cbranch_execz .LBB70_182
; %bb.181:                              ;   in Loop: Header=BB70_3 Depth=1
	ds_load_b64 v[36:37], v1 offset:3640
	s_wait_dscnt 0x0
	v_pk_mul_f32 v[38:39], v[34:35], v[36:37] op_sel:[1,1] op_sel_hi:[1,0]
	s_delay_alu instid0(VALU_DEP_1) | instskip(SKIP_1) | instid1(VALU_DEP_2)
	v_pk_fma_f32 v[78:79], v[34:35], v[36:37], v[38:39] op_sel_hi:[0,1,1]
	v_pk_fma_f32 v[36:37], v[34:35], v[36:37], v[38:39] neg_lo:[0,0,1] neg_hi:[0,0,1]
	v_mov_b32_e32 v37, v79
	s_delay_alu instid0(VALU_DEP_1)
	v_mov_b64_e32 v[34:35], v[36:37]
	ds_store_b64 v3, v[36:37]
.LBB70_182:                             ;   in Loop: Header=BB70_3 Depth=1
	s_or_b32 exec_lo, exec_lo, s7
	s_wait_dscnt 0x0
	s_barrier_signal -1
	s_barrier_wait -1
	s_barrier_signal -1
	s_barrier_wait -1
	s_and_saveexec_b32 s7, s1
; %bb.183:                              ;   in Loop: Header=BB70_3 Depth=1
	v_pk_add_f32 v[34:35], v[34:35], 0 neg_lo:[1,1] neg_hi:[1,1]
	ds_store_b64 v42, v[34:35] offset:2096
; %bb.184:                              ;   in Loop: Header=BB70_3 Depth=1
	s_or_b32 exec_lo, exec_lo, s7
	s_wait_dscnt 0x0
	s_barrier_signal -1
	s_barrier_wait -1
	s_barrier_signal -1
	s_barrier_wait -1
	s_and_saveexec_b32 s98, s14
	s_cbranch_execz .LBB70_186
; %bb.185:                              ;   in Loop: Header=BB70_3 Depth=1
	ds_load_b128 v[34:37], v1 offset:3120
	ds_load_b64 v[38:39], v1 offset:3640
	s_wait_dscnt 0x1
	v_dual_mov_b32 v78, v37 :: v_dual_mov_b32 v79, v36
	s_wait_dscnt 0x0
	v_dual_mul_f32 v77, v39, v35 :: v_dual_mul_f32 v0, v38, v35
	s_delay_alu instid0(VALU_DEP_1) | instskip(NEXT) | instid1(VALU_DEP_2)
	v_xor_b32_e32 v80, 0x80000000, v77
	v_fmac_f32_e32 v0, v39, v34
	s_delay_alu instid0(VALU_DEP_2) | instskip(NEXT) | instid1(VALU_DEP_2)
	v_fmac_f32_e32 v80, v38, v34
	v_pk_mul_f32 v[34:35], v[0:1], v[78:79] op_sel_hi:[0,1]
	s_delay_alu instid0(VALU_DEP_1) | instskip(SKIP_1) | instid1(VALU_DEP_2)
	v_pk_fma_f32 v[38:39], v[80:81], v[36:37], v[34:35] op_sel_hi:[0,1,1]
	v_pk_fma_f32 v[34:35], v[80:81], v[36:37], v[34:35] neg_lo:[0,0,1] neg_hi:[0,0,1]
	v_mov_b32_e32 v35, v39
	ds_store_b64 v1, v[34:35] offset:3128
.LBB70_186:                             ;   in Loop: Header=BB70_3 Depth=1
	s_or_b32 exec_lo, exec_lo, s98
	v_mov_b32_e32 v34, 0
	s_wait_dscnt 0x0
	s_barrier_signal -1
	s_barrier_wait -1
	s_delay_alu instid0(VALU_DEP_1)
	v_mov_b32_e32 v35, v34
	s_and_saveexec_b32 s98, s3
	s_cbranch_execz .LBB70_196
; %bb.187:                              ;   in Loop: Header=BB70_3 Depth=1
	ds_load_b64 v[34:35], v53 offset:64
	ds_load_b64 v[36:37], v50
	s_wait_dscnt 0x0
	v_dual_mul_f32 v0, v37, v35 :: v_dual_mul_f32 v38, v36, v35
	s_delay_alu instid0(VALU_DEP_1) | instskip(NEXT) | instid1(VALU_DEP_1)
	v_dual_fma_f32 v0, v36, v34, -v0 :: v_dual_fmac_f32 v38, v37, v34
	v_dual_add_f32 v35, 0, v0 :: v_dual_add_f32 v34, 0, v38
	s_and_saveexec_b32 s7, s18
	s_cbranch_execnz .LBB70_1050
; %bb.188:                              ;   in Loop: Header=BB70_3 Depth=1
	s_or_b32 exec_lo, exec_lo, s7
	s_and_saveexec_b32 s7, s19
	s_cbranch_execnz .LBB70_1051
.LBB70_189:                             ;   in Loop: Header=BB70_3 Depth=1
	s_or_b32 exec_lo, exec_lo, s7
	s_and_saveexec_b32 s7, s20
	s_cbranch_execnz .LBB70_1052
.LBB70_190:                             ;   in Loop: Header=BB70_3 Depth=1
	s_or_b32 exec_lo, exec_lo, s7
	s_and_saveexec_b32 s7, s21
	s_cbranch_execnz .LBB70_1053
.LBB70_191:                             ;   in Loop: Header=BB70_3 Depth=1
	s_or_b32 exec_lo, exec_lo, s7
	s_and_saveexec_b32 s7, s22
	s_cbranch_execnz .LBB70_1054
.LBB70_192:                             ;   in Loop: Header=BB70_3 Depth=1
	s_or_b32 exec_lo, exec_lo, s7
	s_and_saveexec_b32 s7, s2
	s_cbranch_execnz .LBB70_1055
.LBB70_193:                             ;   in Loop: Header=BB70_3 Depth=1
	s_or_b32 exec_lo, exec_lo, s7
	s_and_saveexec_b32 s7, s17
	s_cbranch_execz .LBB70_195
.LBB70_194:                             ;   in Loop: Header=BB70_3 Depth=1
	ds_load_b64 v[36:37], v44 offset:3648
	ds_load_b64 v[38:39], v1 offset:56
	s_wait_dscnt 0x0
	v_pk_mul_f32 v[78:79], v[38:39], v[36:37] op_sel:[0,1]
	s_delay_alu instid0(VALU_DEP_1) | instskip(SKIP_1) | instid1(VALU_DEP_2)
	v_pk_fma_f32 v[80:81], v[38:39], v[36:37], v[78:79] op_sel:[1,0,0] op_sel_hi:[0,0,1] neg_lo:[0,0,1] neg_hi:[0,0,1]
	v_pk_fma_f32 v[36:37], v[38:39], v[36:37], v[78:79] op_sel:[1,0,0] op_sel_hi:[0,1,1]
	v_mov_b32_e32 v37, v81
	s_delay_alu instid0(VALU_DEP_1)
	v_pk_add_f32 v[34:35], v[34:35], v[36:37]
.LBB70_195:                             ;   in Loop: Header=BB70_3 Depth=1
	s_or_b32 exec_lo, exec_lo, s7
	s_delay_alu instid0(VALU_DEP_1) | instskip(NEXT) | instid1(VALU_DEP_1)
	v_pk_add_f32 v[36:37], v[34:35], 0 neg_lo:[1,1] neg_hi:[1,1]
	v_dual_mov_b32 v34, v37 :: v_dual_mov_b32 v35, v36
.LBB70_196:                             ;   in Loop: Header=BB70_3 Depth=1
	s_or_b32 exec_lo, exec_lo, s98
	s_and_saveexec_b32 s7, s53
	s_cbranch_execz .LBB70_198
; %bb.197:                              ;   in Loop: Header=BB70_3 Depth=1
	ds_load_b64 v[36:37], v1 offset:4160
	v_dual_mov_b32 v38, v35 :: v_dual_mov_b32 v39, v34
	s_wait_dscnt 0x0
	s_delay_alu instid0(VALU_DEP_1) | instskip(NEXT) | instid1(VALU_DEP_1)
	v_dual_mul_f32 v0, v38, v36 :: v_dual_mul_f32 v78, v35, v37
	v_pk_fma_f32 v[38:39], v[38:39], v[36:37], v[0:1] op_sel_hi:[1,1,0]
	s_delay_alu instid0(VALU_DEP_2) | instskip(NEXT) | instid1(VALU_DEP_2)
	v_pk_fma_f32 v[34:35], v[34:35], v[36:37], v[78:79] op_sel_hi:[1,1,0] neg_lo:[0,0,1] neg_hi:[0,0,1]
	v_mov_b32_e32 v35, v39
	ds_store_b64 v52, v[34:35]
.LBB70_198:                             ;   in Loop: Header=BB70_3 Depth=1
	s_or_b32 exec_lo, exec_lo, s7
	s_wait_dscnt 0x0
	s_barrier_signal -1
	s_barrier_wait -1
	s_and_saveexec_b32 s7, s54
	s_cbranch_execz .LBB70_200
; %bb.199:                              ;   in Loop: Header=BB70_3 Depth=1
	ds_load_b64 v[36:37], v51 offset:4160
	ds_load_b64 v[38:39], v52
	s_wait_dscnt 0x0
	v_dual_mul_f32 v0, v39, v37 :: v_dual_mul_f32 v79, v38, v37
	s_delay_alu instid0(VALU_DEP_1) | instskip(NEXT) | instid1(VALU_DEP_1)
	v_dual_fma_f32 v78, v38, v36, -v0 :: v_dual_fmac_f32 v79, v39, v36
	v_pk_add_f32 v[34:35], v[34:35], v[78:79]
.LBB70_200:                             ;   in Loop: Header=BB70_3 Depth=1
	s_or_b32 exec_lo, exec_lo, s7
	s_barrier_signal -1
	s_barrier_wait -1
	s_and_saveexec_b32 s7, s55
	s_cbranch_execz .LBB70_202
; %bb.201:                              ;   in Loop: Header=BB70_3 Depth=1
	ds_load_b64 v[36:37], v1 offset:4680
	s_wait_dscnt 0x0
	v_pk_mul_f32 v[38:39], v[34:35], v[36:37] op_sel:[1,1] op_sel_hi:[1,0]
	s_delay_alu instid0(VALU_DEP_1) | instskip(SKIP_1) | instid1(VALU_DEP_2)
	v_pk_fma_f32 v[78:79], v[34:35], v[36:37], v[38:39] op_sel_hi:[0,1,1]
	v_pk_fma_f32 v[34:35], v[34:35], v[36:37], v[38:39] op_sel_hi:[0,1,1] neg_lo:[0,0,1] neg_hi:[0,0,1]
	v_mov_b32_e32 v35, v79
	ds_store_b64 v52, v[34:35]
.LBB70_202:                             ;   in Loop: Header=BB70_3 Depth=1
	s_or_b32 exec_lo, exec_lo, s7
	s_wait_dscnt 0x0
	s_barrier_signal -1
	s_barrier_wait -1
	s_and_saveexec_b32 s7, s56
	s_cbranch_execz .LBB70_204
; %bb.203:                              ;   in Loop: Header=BB70_3 Depth=1
	ds_load_b64 v[36:37], v51 offset:4672
	ds_load_b64 v[38:39], v52
	s_wait_dscnt 0x0
	v_pk_mul_f32 v[78:79], v[38:39], v[36:37] op_sel:[1,1] op_sel_hi:[0,1]
	s_delay_alu instid0(VALU_DEP_1) | instskip(SKIP_1) | instid1(VALU_DEP_2)
	v_pk_fma_f32 v[80:81], v[38:39], v[36:37], v[78:79] op_sel_hi:[1,0,1]
	v_pk_fma_f32 v[36:37], v[38:39], v[36:37], v[78:79] op_sel_hi:[1,0,1] neg_lo:[0,0,1] neg_hi:[0,0,1]
	v_mov_b32_e32 v37, v81
	s_delay_alu instid0(VALU_DEP_1)
	v_pk_add_f32 v[34:35], v[34:35], v[36:37]
.LBB70_204:                             ;   in Loop: Header=BB70_3 Depth=1
	s_or_b32 exec_lo, exec_lo, s7
	s_barrier_signal -1
	s_barrier_wait -1
	s_and_saveexec_b32 s7, s57
	s_cbranch_execz .LBB70_206
; %bb.205:                              ;   in Loop: Header=BB70_3 Depth=1
	ds_load_b64 v[36:37], v1 offset:5200
	s_wait_dscnt 0x0
	v_pk_mul_f32 v[38:39], v[34:35], v[36:37] op_sel:[1,1] op_sel_hi:[1,0]
	s_delay_alu instid0(VALU_DEP_1) | instskip(SKIP_1) | instid1(VALU_DEP_2)
	v_pk_fma_f32 v[78:79], v[34:35], v[36:37], v[38:39] op_sel_hi:[0,1,1]
	v_pk_fma_f32 v[34:35], v[34:35], v[36:37], v[38:39] op_sel_hi:[0,1,1] neg_lo:[0,0,1] neg_hi:[0,0,1]
	v_mov_b32_e32 v35, v79
	ds_store_b64 v52, v[34:35]
.LBB70_206:                             ;   in Loop: Header=BB70_3 Depth=1
	s_or_b32 exec_lo, exec_lo, s7
	s_wait_dscnt 0x0
	s_barrier_signal -1
	s_barrier_wait -1
	s_and_saveexec_b32 s7, s58
	s_cbranch_execz .LBB70_208
; %bb.207:                              ;   in Loop: Header=BB70_3 Depth=1
	ds_load_b64 v[36:37], v51 offset:5184
	ds_load_b64 v[38:39], v52
	s_wait_dscnt 0x0
	v_pk_mul_f32 v[78:79], v[38:39], v[36:37] op_sel:[1,1] op_sel_hi:[0,1]
	s_delay_alu instid0(VALU_DEP_1) | instskip(SKIP_1) | instid1(VALU_DEP_2)
	v_pk_fma_f32 v[80:81], v[38:39], v[36:37], v[78:79] op_sel_hi:[1,0,1]
	v_pk_fma_f32 v[36:37], v[38:39], v[36:37], v[78:79] op_sel_hi:[1,0,1] neg_lo:[0,0,1] neg_hi:[0,0,1]
	v_mov_b32_e32 v37, v81
	s_delay_alu instid0(VALU_DEP_1)
	v_pk_add_f32 v[34:35], v[34:35], v[36:37]
.LBB70_208:                             ;   in Loop: Header=BB70_3 Depth=1
	;; [unrolled: 33-line block ×3, first 2 shown]
	s_or_b32 exec_lo, exec_lo, s7
	s_barrier_signal -1
	s_barrier_wait -1
	s_and_saveexec_b32 s7, s61
	s_cbranch_execz .LBB70_214
; %bb.213:                              ;   in Loop: Header=BB70_3 Depth=1
	ds_load_b64 v[36:37], v1 offset:6240
	s_wait_dscnt 0x0
	v_dual_mul_f32 v0, v34, v37 :: v_dual_mul_f32 v38, v35, v37
	s_delay_alu instid0(VALU_DEP_1) | instskip(NEXT) | instid1(VALU_DEP_2)
	v_pk_fma_f32 v[78:79], v[34:35], v[36:37], v[0:1] op_sel:[0,1,0] op_sel_hi:[1,0,0]
	v_pk_fma_f32 v[36:37], v[34:35], v[36:37], v[38:39] op_sel_hi:[1,1,0] neg_lo:[0,0,1] neg_hi:[0,0,1]
	s_delay_alu instid0(VALU_DEP_2) | instskip(NEXT) | instid1(VALU_DEP_1)
	v_mov_b32_e32 v37, v79
	v_mov_b64_e32 v[34:35], v[36:37]
	ds_store_b64 v52, v[36:37]
.LBB70_214:                             ;   in Loop: Header=BB70_3 Depth=1
	s_or_b32 exec_lo, exec_lo, s7
	s_wait_dscnt 0x0
	s_barrier_signal -1
	s_barrier_wait -1
	s_and_saveexec_b32 s7, s62
	s_cbranch_execz .LBB70_216
; %bb.215:                              ;   in Loop: Header=BB70_3 Depth=1
	ds_load_b64 v[36:37], v51 offset:6208
	ds_load_b64 v[38:39], v52
	s_wait_dscnt 0x0
	v_dual_mul_f32 v0, v39, v37 :: v_dual_mul_f32 v79, v38, v37
	s_delay_alu instid0(VALU_DEP_1) | instskip(NEXT) | instid1(VALU_DEP_1)
	v_dual_fma_f32 v78, v38, v36, -v0 :: v_dual_fmac_f32 v79, v39, v36
	v_pk_add_f32 v[34:35], v[34:35], v[78:79]
.LBB70_216:                             ;   in Loop: Header=BB70_3 Depth=1
	s_or_b32 exec_lo, exec_lo, s7
	s_barrier_signal -1
	s_barrier_wait -1
	s_and_saveexec_b32 s7, s63
	s_cbranch_execz .LBB70_218
; %bb.217:                              ;   in Loop: Header=BB70_3 Depth=1
	ds_load_b64 v[36:37], v1 offset:6760
	s_wait_dscnt 0x0
	v_pk_mul_f32 v[38:39], v[34:35], v[36:37] op_sel:[1,1] op_sel_hi:[1,0]
	s_delay_alu instid0(VALU_DEP_1) | instskip(SKIP_1) | instid1(VALU_DEP_2)
	v_pk_fma_f32 v[78:79], v[34:35], v[36:37], v[38:39] op_sel_hi:[0,1,1]
	v_pk_fma_f32 v[36:37], v[34:35], v[36:37], v[38:39] neg_lo:[0,0,1] neg_hi:[0,0,1]
	v_mov_b32_e32 v37, v79
	s_delay_alu instid0(VALU_DEP_1)
	v_mov_b64_e32 v[34:35], v[36:37]
	ds_store_b64 v52, v[36:37]
.LBB70_218:                             ;   in Loop: Header=BB70_3 Depth=1
	s_or_b32 exec_lo, exec_lo, s7
	s_wait_dscnt 0x0
	s_barrier_signal -1
	s_barrier_wait -1
	s_and_saveexec_b32 s7, s64
	s_cbranch_execz .LBB70_220
; %bb.219:                              ;   in Loop: Header=BB70_3 Depth=1
	ds_load_b64 v[36:37], v51 offset:6720
	ds_load_b64 v[38:39], v52
	s_wait_dscnt 0x0
	v_pk_mul_f32 v[78:79], v[38:39], v[36:37] op_sel:[1,1] op_sel_hi:[0,1]
	s_delay_alu instid0(VALU_DEP_1) | instskip(SKIP_1) | instid1(VALU_DEP_2)
	v_pk_fma_f32 v[80:81], v[38:39], v[36:37], v[78:79] op_sel_hi:[1,0,1]
	v_pk_fma_f32 v[36:37], v[38:39], v[36:37], v[78:79] neg_lo:[0,0,1] neg_hi:[0,0,1]
	v_mov_b32_e32 v37, v81
	s_delay_alu instid0(VALU_DEP_1)
	v_pk_add_f32 v[34:35], v[34:35], v[36:37]
.LBB70_220:                             ;   in Loop: Header=BB70_3 Depth=1
	s_or_b32 exec_lo, exec_lo, s7
	s_barrier_signal -1
	s_barrier_wait -1
	s_and_saveexec_b32 s7, s65
	s_cbranch_execz .LBB70_222
; %bb.221:                              ;   in Loop: Header=BB70_3 Depth=1
	ds_load_b64 v[36:37], v1 offset:7280
	s_wait_dscnt 0x0
	v_pk_mul_f32 v[38:39], v[34:35], v[36:37] op_sel:[1,1] op_sel_hi:[1,0]
	s_delay_alu instid0(VALU_DEP_1) | instskip(SKIP_1) | instid1(VALU_DEP_2)
	v_pk_fma_f32 v[78:79], v[34:35], v[36:37], v[38:39] op_sel_hi:[0,1,1]
	v_pk_fma_f32 v[36:37], v[34:35], v[36:37], v[38:39] neg_lo:[0,0,1] neg_hi:[0,0,1]
	v_mov_b32_e32 v37, v79
	s_delay_alu instid0(VALU_DEP_1)
	v_mov_b64_e32 v[34:35], v[36:37]
	ds_store_b64 v52, v[36:37]
.LBB70_222:                             ;   in Loop: Header=BB70_3 Depth=1
	s_or_b32 exec_lo, exec_lo, s7
	s_wait_dscnt 0x0
	s_barrier_signal -1
	s_barrier_wait -1
	s_and_saveexec_b32 s7, s66
	s_cbranch_execz .LBB70_224
; %bb.223:                              ;   in Loop: Header=BB70_3 Depth=1
	ds_load_b64 v[36:37], v1 offset:7288
	ds_load_b64 v[38:39], v52
	s_wait_dscnt 0x0
	v_pk_mul_f32 v[78:79], v[38:39], v[36:37] op_sel:[1,1] op_sel_hi:[0,1]
	s_delay_alu instid0(VALU_DEP_1) | instskip(SKIP_1) | instid1(VALU_DEP_2)
	v_pk_fma_f32 v[80:81], v[38:39], v[36:37], v[78:79] op_sel_hi:[1,0,1]
	v_pk_fma_f32 v[36:37], v[38:39], v[36:37], v[78:79] neg_lo:[0,0,1] neg_hi:[0,0,1]
	v_mov_b32_e32 v37, v81
	s_delay_alu instid0(VALU_DEP_1)
	v_pk_add_f32 v[34:35], v[34:35], v[36:37]
.LBB70_224:                             ;   in Loop: Header=BB70_3 Depth=1
	s_or_b32 exec_lo, exec_lo, s7
	s_barrier_signal -1
	s_barrier_wait -1
	s_and_saveexec_b32 s7, s66
	s_cbranch_execz .LBB70_226
; %bb.225:                              ;   in Loop: Header=BB70_3 Depth=1
	ds_load_b64 v[36:37], v1 offset:7800
	s_wait_dscnt 0x0
	v_pk_mul_f32 v[38:39], v[34:35], v[36:37] op_sel:[1,1] op_sel_hi:[1,0]
	s_delay_alu instid0(VALU_DEP_1) | instskip(SKIP_1) | instid1(VALU_DEP_2)
	v_pk_fma_f32 v[78:79], v[34:35], v[36:37], v[38:39] op_sel_hi:[0,1,1]
	v_pk_fma_f32 v[36:37], v[34:35], v[36:37], v[38:39] neg_lo:[0,0,1] neg_hi:[0,0,1]
	v_mov_b32_e32 v37, v79
	s_delay_alu instid0(VALU_DEP_1)
	v_mov_b64_e32 v[34:35], v[36:37]
	ds_store_b64 v52, v[36:37]
.LBB70_226:                             ;   in Loop: Header=BB70_3 Depth=1
	s_or_b32 exec_lo, exec_lo, s7
	s_wait_dscnt 0x0
	s_barrier_signal -1
	s_barrier_wait -1
	s_barrier_signal -1
	s_barrier_wait -1
	s_and_saveexec_b32 s7, s3
; %bb.227:                              ;   in Loop: Header=BB70_3 Depth=1
	v_pk_add_f32 v[34:35], v[34:35], 0 neg_lo:[1,1] neg_hi:[1,1]
	ds_store_b64 v53, v[34:35] offset:64
; %bb.228:                              ;   in Loop: Header=BB70_3 Depth=1
	s_or_b32 exec_lo, exec_lo, s7
	s_wait_dscnt 0x0
	s_barrier_signal -1
	s_barrier_wait -1
	s_barrier_signal -1
	s_barrier_wait -1
	s_and_saveexec_b32 s98, s14
	s_cbranch_execz .LBB70_230
; %bb.229:                              ;   in Loop: Header=BB70_3 Depth=1
	ds_load_b128 v[34:37], v1 offset:4160
	ds_load_b64 v[38:39], v1 offset:4680
	s_wait_dscnt 0x1
	v_dual_mov_b32 v78, v37 :: v_dual_mov_b32 v79, v36
	s_wait_dscnt 0x0
	v_dual_mul_f32 v77, v39, v35 :: v_dual_mul_f32 v0, v38, v35
	s_delay_alu instid0(VALU_DEP_1) | instskip(NEXT) | instid1(VALU_DEP_2)
	v_xor_b32_e32 v80, 0x80000000, v77
	v_fmac_f32_e32 v0, v39, v34
	s_delay_alu instid0(VALU_DEP_2) | instskip(NEXT) | instid1(VALU_DEP_2)
	v_fmac_f32_e32 v80, v38, v34
	v_pk_mul_f32 v[34:35], v[0:1], v[78:79] op_sel_hi:[0,1]
	s_delay_alu instid0(VALU_DEP_1) | instskip(SKIP_1) | instid1(VALU_DEP_2)
	v_pk_fma_f32 v[38:39], v[80:81], v[36:37], v[34:35] op_sel_hi:[0,1,1]
	v_pk_fma_f32 v[34:35], v[80:81], v[36:37], v[34:35] neg_lo:[0,0,1] neg_hi:[0,0,1]
	v_mov_b32_e32 v35, v39
	ds_store_b64 v1, v[34:35] offset:4168
.LBB70_230:                             ;   in Loop: Header=BB70_3 Depth=1
	s_or_b32 exec_lo, exec_lo, s98
	v_mov_b32_e32 v35, 0
	s_wait_dscnt 0x0
	s_barrier_signal -1
	s_barrier_wait -1
	s_delay_alu instid0(VALU_DEP_1)
	v_mov_b32_e32 v34, v35
	s_and_saveexec_b32 s98, s1
	s_cbranch_execz .LBB70_234
; %bb.231:                              ;   in Loop: Header=BB70_3 Depth=1
	ds_load_b64 v[34:35], v42 offset:4176
	ds_load_b64 v[36:37], v43 offset:4160
	s_wait_dscnt 0x0
	v_dual_mul_f32 v0, v37, v35 :: v_dual_mul_f32 v39, v36, v35
	s_delay_alu instid0(VALU_DEP_1) | instskip(NEXT) | instid1(VALU_DEP_1)
	v_dual_fma_f32 v38, v36, v34, -v0 :: v_dual_fmac_f32 v39, v37, v34
	v_pk_add_f32 v[34:35], v[38:39], 0 op_sel_hi:[1,0]
	s_and_saveexec_b32 s7, s15
	s_cbranch_execz .LBB70_233
; %bb.232:                              ;   in Loop: Header=BB70_3 Depth=1
	ds_load_b64 v[36:37], v44 offset:4688
	ds_load_b64 v[38:39], v1 offset:4168
	s_wait_dscnt 0x0
	v_pk_mul_f32 v[78:79], v[38:39], v[36:37] op_sel:[1,1] op_sel_hi:[0,1]
	s_delay_alu instid0(VALU_DEP_1) | instskip(SKIP_1) | instid1(VALU_DEP_2)
	v_pk_fma_f32 v[80:81], v[38:39], v[36:37], v[78:79] op_sel_hi:[1,0,1]
	v_pk_fma_f32 v[36:37], v[38:39], v[36:37], v[78:79] neg_lo:[0,0,1] neg_hi:[0,0,1]
	v_mov_b32_e32 v37, v81
	s_delay_alu instid0(VALU_DEP_1)
	v_pk_add_f32 v[34:35], v[34:35], v[36:37]
.LBB70_233:                             ;   in Loop: Header=BB70_3 Depth=1
	s_or_b32 exec_lo, exec_lo, s7
	s_delay_alu instid0(VALU_DEP_1)
	v_pk_add_f32 v[34:35], v[34:35], 0 neg_lo:[1,1] neg_hi:[1,1]
.LBB70_234:                             ;   in Loop: Header=BB70_3 Depth=1
	s_or_b32 exec_lo, exec_lo, s98
	s_and_saveexec_b32 s7, s45
	s_cbranch_execz .LBB70_236
; %bb.235:                              ;   in Loop: Header=BB70_3 Depth=1
	ds_load_b64 v[36:37], v1 offset:5200
	s_wait_dscnt 0x0
	v_pk_mul_f32 v[38:39], v[34:35], v[36:37] op_sel:[1,1] op_sel_hi:[1,0]
	s_delay_alu instid0(VALU_DEP_1) | instskip(SKIP_1) | instid1(VALU_DEP_2)
	v_pk_fma_f32 v[78:79], v[34:35], v[36:37], v[38:39] op_sel_hi:[0,1,1]
	v_pk_fma_f32 v[36:37], v[34:35], v[36:37], v[38:39] neg_lo:[0,0,1] neg_hi:[0,0,1]
	v_mov_b32_e32 v37, v79
	s_delay_alu instid0(VALU_DEP_1)
	v_mov_b64_e32 v[34:35], v[36:37]
	ds_store_b64 v3, v[36:37]
.LBB70_236:                             ;   in Loop: Header=BB70_3 Depth=1
	s_or_b32 exec_lo, exec_lo, s7
	s_wait_dscnt 0x0
	s_barrier_signal -1
	s_barrier_wait -1
	s_and_saveexec_b32 s7, s46
	s_cbranch_execz .LBB70_238
; %bb.237:                              ;   in Loop: Header=BB70_3 Depth=1
	ds_load_b64 v[36:37], v1 offset:5208
	ds_load_b64 v[38:39], v3
	s_wait_dscnt 0x0
	v_pk_mul_f32 v[78:79], v[38:39], v[36:37] op_sel:[1,1] op_sel_hi:[0,1]
	s_delay_alu instid0(VALU_DEP_1) | instskip(SKIP_1) | instid1(VALU_DEP_2)
	v_pk_fma_f32 v[80:81], v[38:39], v[36:37], v[78:79] op_sel_hi:[1,0,1]
	v_pk_fma_f32 v[36:37], v[38:39], v[36:37], v[78:79] neg_lo:[0,0,1] neg_hi:[0,0,1]
	v_mov_b32_e32 v37, v81
	s_delay_alu instid0(VALU_DEP_1)
	v_pk_add_f32 v[34:35], v[34:35], v[36:37]
.LBB70_238:                             ;   in Loop: Header=BB70_3 Depth=1
	s_or_b32 exec_lo, exec_lo, s7
	s_barrier_signal -1
	s_barrier_wait -1
	s_and_saveexec_b32 s7, s46
	s_cbranch_execz .LBB70_240
; %bb.239:                              ;   in Loop: Header=BB70_3 Depth=1
	ds_load_b64 v[36:37], v1 offset:5720
	s_wait_dscnt 0x0
	v_pk_mul_f32 v[38:39], v[34:35], v[36:37] op_sel:[1,1] op_sel_hi:[1,0]
	s_delay_alu instid0(VALU_DEP_1) | instskip(SKIP_1) | instid1(VALU_DEP_2)
	v_pk_fma_f32 v[78:79], v[34:35], v[36:37], v[38:39] op_sel_hi:[0,1,1]
	v_pk_fma_f32 v[36:37], v[34:35], v[36:37], v[38:39] neg_lo:[0,0,1] neg_hi:[0,0,1]
	v_mov_b32_e32 v37, v79
	s_delay_alu instid0(VALU_DEP_1)
	v_mov_b64_e32 v[34:35], v[36:37]
	ds_store_b64 v3, v[36:37]
.LBB70_240:                             ;   in Loop: Header=BB70_3 Depth=1
	s_or_b32 exec_lo, exec_lo, s7
	s_wait_dscnt 0x0
	s_barrier_signal -1
	s_barrier_wait -1
	s_barrier_signal -1
	s_barrier_wait -1
	s_and_saveexec_b32 s7, s1
; %bb.241:                              ;   in Loop: Header=BB70_3 Depth=1
	v_pk_add_f32 v[34:35], v[34:35], 0 neg_lo:[1,1] neg_hi:[1,1]
	ds_store_b64 v42, v[34:35] offset:4176
; %bb.242:                              ;   in Loop: Header=BB70_3 Depth=1
	s_or_b32 exec_lo, exec_lo, s7
	s_wait_dscnt 0x0
	s_barrier_signal -1
	s_barrier_wait -1
	s_barrier_signal -1
	s_barrier_wait -1
	s_and_saveexec_b32 s98, s14
	s_cbranch_execz .LBB70_244
; %bb.243:                              ;   in Loop: Header=BB70_3 Depth=1
	ds_load_b128 v[34:37], v1 offset:5200
	ds_load_b64 v[38:39], v1 offset:5720
	s_wait_dscnt 0x1
	v_dual_mov_b32 v78, v37 :: v_dual_mov_b32 v79, v36
	s_wait_dscnt 0x0
	v_dual_mul_f32 v77, v39, v35 :: v_dual_mul_f32 v0, v38, v35
	s_delay_alu instid0(VALU_DEP_1) | instskip(NEXT) | instid1(VALU_DEP_2)
	v_xor_b32_e32 v80, 0x80000000, v77
	v_fmac_f32_e32 v0, v39, v34
	s_delay_alu instid0(VALU_DEP_2) | instskip(NEXT) | instid1(VALU_DEP_2)
	v_fmac_f32_e32 v80, v38, v34
	v_pk_mul_f32 v[34:35], v[0:1], v[78:79] op_sel_hi:[0,1]
	s_delay_alu instid0(VALU_DEP_1) | instskip(SKIP_1) | instid1(VALU_DEP_2)
	v_pk_fma_f32 v[38:39], v[80:81], v[36:37], v[34:35] op_sel_hi:[0,1,1]
	v_pk_fma_f32 v[34:35], v[80:81], v[36:37], v[34:35] neg_lo:[0,0,1] neg_hi:[0,0,1]
	v_mov_b32_e32 v35, v39
	ds_store_b64 v1, v[34:35] offset:5208
.LBB70_244:                             ;   in Loop: Header=BB70_3 Depth=1
	s_or_b32 exec_lo, exec_lo, s98
	v_mov_b32_e32 v34, 0
	s_wait_dscnt 0x0
	s_barrier_signal -1
	s_barrier_wait -1
	s_delay_alu instid0(VALU_DEP_1)
	v_mov_b32_e32 v35, v34
	s_and_saveexec_b32 s98, s2
	s_cbranch_execz .LBB70_250
; %bb.245:                              ;   in Loop: Header=BB70_3 Depth=1
	ds_load_b64 v[34:35], v48 offset:4192
	ds_load_b64 v[36:37], v46 offset:4160
	s_wait_dscnt 0x0
	v_pk_mul_f32 v[38:39], v[36:37], v[34:35] op_sel:[0,1]
	s_delay_alu instid0(VALU_DEP_1) | instskip(SKIP_1) | instid1(VALU_DEP_2)
	v_pk_fma_f32 v[78:79], v[36:37], v[34:35], v[38:39] op_sel:[1,0,0] op_sel_hi:[0,0,1] neg_lo:[0,0,1] neg_hi:[0,0,1]
	v_pk_fma_f32 v[34:35], v[36:37], v[34:35], v[38:39] op_sel:[1,0,0] op_sel_hi:[0,1,1]
	v_mov_b32_e32 v35, v79
	s_delay_alu instid0(VALU_DEP_1)
	v_pk_add_f32 v[34:35], v[34:35], 0 op_sel_hi:[1,0]
	s_and_saveexec_b32 s7, s16
	s_cbranch_execnz .LBB70_1056
; %bb.246:                              ;   in Loop: Header=BB70_3 Depth=1
	s_or_b32 exec_lo, exec_lo, s7
	s_and_saveexec_b32 s7, s17
	s_cbranch_execnz .LBB70_1057
.LBB70_247:                             ;   in Loop: Header=BB70_3 Depth=1
	s_or_b32 exec_lo, exec_lo, s7
	s_and_saveexec_b32 s7, s1
	s_cbranch_execz .LBB70_249
.LBB70_248:                             ;   in Loop: Header=BB70_3 Depth=1
	ds_load_b64 v[36:37], v44 offset:5728
	ds_load_b64 v[38:39], v1 offset:4184
	s_wait_dscnt 0x0
	v_pk_mul_f32 v[78:79], v[38:39], v[36:37] op_sel:[0,1]
	s_delay_alu instid0(VALU_DEP_1) | instskip(SKIP_1) | instid1(VALU_DEP_2)
	v_pk_fma_f32 v[80:81], v[38:39], v[36:37], v[78:79] op_sel:[1,0,0] op_sel_hi:[0,0,1] neg_lo:[0,0,1] neg_hi:[0,0,1]
	v_pk_fma_f32 v[36:37], v[38:39], v[36:37], v[78:79] op_sel:[1,0,0] op_sel_hi:[0,1,1]
	v_mov_b32_e32 v37, v81
	s_delay_alu instid0(VALU_DEP_1)
	v_pk_add_f32 v[34:35], v[34:35], v[36:37]
.LBB70_249:                             ;   in Loop: Header=BB70_3 Depth=1
	s_or_b32 exec_lo, exec_lo, s7
	s_delay_alu instid0(VALU_DEP_1) | instskip(NEXT) | instid1(VALU_DEP_1)
	v_pk_add_f32 v[36:37], v[34:35], 0 neg_lo:[1,1] neg_hi:[1,1]
	v_dual_mov_b32 v34, v37 :: v_dual_mov_b32 v35, v36
.LBB70_250:                             ;   in Loop: Header=BB70_3 Depth=1
	s_or_b32 exec_lo, exec_lo, s98
	s_and_saveexec_b32 s7, s47
	s_cbranch_execz .LBB70_252
; %bb.251:                              ;   in Loop: Header=BB70_3 Depth=1
	ds_load_b64 v[36:37], v1 offset:6240
	v_dual_mov_b32 v38, v35 :: v_dual_mov_b32 v39, v34
	s_wait_dscnt 0x0
	s_delay_alu instid0(VALU_DEP_1) | instskip(NEXT) | instid1(VALU_DEP_1)
	v_dual_mul_f32 v0, v38, v36 :: v_dual_mul_f32 v78, v35, v37
	v_pk_fma_f32 v[38:39], v[38:39], v[36:37], v[0:1] op_sel_hi:[1,1,0]
	s_delay_alu instid0(VALU_DEP_2) | instskip(NEXT) | instid1(VALU_DEP_2)
	v_pk_fma_f32 v[34:35], v[34:35], v[36:37], v[78:79] op_sel_hi:[1,1,0] neg_lo:[0,0,1] neg_hi:[0,0,1]
	v_mov_b32_e32 v35, v39
	ds_store_b64 v47, v[34:35]
.LBB70_252:                             ;   in Loop: Header=BB70_3 Depth=1
	s_or_b32 exec_lo, exec_lo, s7
	s_wait_dscnt 0x0
	s_barrier_signal -1
	s_barrier_wait -1
	s_and_saveexec_b32 s7, s48
	s_cbranch_execz .LBB70_254
; %bb.253:                              ;   in Loop: Header=BB70_3 Depth=1
	ds_load_b64 v[36:37], v45 offset:6240
	ds_load_b64 v[38:39], v47
	s_wait_dscnt 0x0
	v_dual_mul_f32 v0, v39, v37 :: v_dual_mul_f32 v79, v38, v37
	s_delay_alu instid0(VALU_DEP_1) | instskip(NEXT) | instid1(VALU_DEP_1)
	v_dual_fma_f32 v78, v38, v36, -v0 :: v_dual_fmac_f32 v79, v39, v36
	v_pk_add_f32 v[34:35], v[34:35], v[78:79]
.LBB70_254:                             ;   in Loop: Header=BB70_3 Depth=1
	s_or_b32 exec_lo, exec_lo, s7
	s_barrier_signal -1
	s_barrier_wait -1
	s_and_saveexec_b32 s7, s49
	s_cbranch_execz .LBB70_256
; %bb.255:                              ;   in Loop: Header=BB70_3 Depth=1
	ds_load_b64 v[36:37], v1 offset:6760
	s_wait_dscnt 0x0
	v_pk_mul_f32 v[38:39], v[34:35], v[36:37] op_sel:[1,1] op_sel_hi:[1,0]
	s_delay_alu instid0(VALU_DEP_1) | instskip(SKIP_1) | instid1(VALU_DEP_2)
	v_pk_fma_f32 v[78:79], v[34:35], v[36:37], v[38:39] op_sel_hi:[0,1,1]
	v_pk_fma_f32 v[36:37], v[34:35], v[36:37], v[38:39] neg_lo:[0,0,1] neg_hi:[0,0,1]
	v_mov_b32_e32 v37, v79
	s_delay_alu instid0(VALU_DEP_1)
	v_mov_b64_e32 v[34:35], v[36:37]
	ds_store_b64 v47, v[36:37]
.LBB70_256:                             ;   in Loop: Header=BB70_3 Depth=1
	s_or_b32 exec_lo, exec_lo, s7
	s_wait_dscnt 0x0
	s_barrier_signal -1
	s_barrier_wait -1
	s_and_saveexec_b32 s7, s50
	s_cbranch_execz .LBB70_258
; %bb.257:                              ;   in Loop: Header=BB70_3 Depth=1
	ds_load_b64 v[36:37], v45 offset:6752
	ds_load_b64 v[38:39], v47
	s_wait_dscnt 0x0
	v_pk_mul_f32 v[78:79], v[38:39], v[36:37] op_sel:[1,1] op_sel_hi:[0,1]
	s_delay_alu instid0(VALU_DEP_1) | instskip(SKIP_1) | instid1(VALU_DEP_2)
	v_pk_fma_f32 v[80:81], v[38:39], v[36:37], v[78:79] op_sel_hi:[1,0,1]
	v_pk_fma_f32 v[36:37], v[38:39], v[36:37], v[78:79] neg_lo:[0,0,1] neg_hi:[0,0,1]
	v_mov_b32_e32 v37, v81
	s_delay_alu instid0(VALU_DEP_1)
	v_pk_add_f32 v[34:35], v[34:35], v[36:37]
.LBB70_258:                             ;   in Loop: Header=BB70_3 Depth=1
	s_or_b32 exec_lo, exec_lo, s7
	s_barrier_signal -1
	s_barrier_wait -1
	s_and_saveexec_b32 s7, s51
	s_cbranch_execz .LBB70_260
; %bb.259:                              ;   in Loop: Header=BB70_3 Depth=1
	ds_load_b64 v[36:37], v1 offset:7280
	s_wait_dscnt 0x0
	v_pk_mul_f32 v[38:39], v[34:35], v[36:37] op_sel:[1,1] op_sel_hi:[1,0]
	s_delay_alu instid0(VALU_DEP_1) | instskip(SKIP_1) | instid1(VALU_DEP_2)
	v_pk_fma_f32 v[78:79], v[34:35], v[36:37], v[38:39] op_sel_hi:[0,1,1]
	v_pk_fma_f32 v[36:37], v[34:35], v[36:37], v[38:39] neg_lo:[0,0,1] neg_hi:[0,0,1]
	v_mov_b32_e32 v37, v79
	s_delay_alu instid0(VALU_DEP_1)
	v_mov_b64_e32 v[34:35], v[36:37]
	ds_store_b64 v47, v[36:37]
.LBB70_260:                             ;   in Loop: Header=BB70_3 Depth=1
	s_or_b32 exec_lo, exec_lo, s7
	s_wait_dscnt 0x0
	s_barrier_signal -1
	s_barrier_wait -1
	s_and_saveexec_b32 s7, s52
	s_cbranch_execz .LBB70_262
; %bb.261:                              ;   in Loop: Header=BB70_3 Depth=1
	ds_load_b64 v[36:37], v1 offset:7288
	ds_load_b64 v[38:39], v47
	s_wait_dscnt 0x0
	v_pk_mul_f32 v[78:79], v[38:39], v[36:37] op_sel:[1,1] op_sel_hi:[0,1]
	s_delay_alu instid0(VALU_DEP_1) | instskip(SKIP_1) | instid1(VALU_DEP_2)
	v_pk_fma_f32 v[80:81], v[38:39], v[36:37], v[78:79] op_sel_hi:[1,0,1]
	v_pk_fma_f32 v[36:37], v[38:39], v[36:37], v[78:79] neg_lo:[0,0,1] neg_hi:[0,0,1]
	v_mov_b32_e32 v37, v81
	s_delay_alu instid0(VALU_DEP_1)
	v_pk_add_f32 v[34:35], v[34:35], v[36:37]
.LBB70_262:                             ;   in Loop: Header=BB70_3 Depth=1
	s_or_b32 exec_lo, exec_lo, s7
	s_barrier_signal -1
	s_barrier_wait -1
	s_and_saveexec_b32 s7, s52
	s_cbranch_execz .LBB70_264
; %bb.263:                              ;   in Loop: Header=BB70_3 Depth=1
	ds_load_b64 v[36:37], v1 offset:7800
	s_wait_dscnt 0x0
	v_pk_mul_f32 v[38:39], v[34:35], v[36:37] op_sel:[1,1] op_sel_hi:[1,0]
	s_delay_alu instid0(VALU_DEP_1) | instskip(SKIP_1) | instid1(VALU_DEP_2)
	v_pk_fma_f32 v[78:79], v[34:35], v[36:37], v[38:39] op_sel_hi:[0,1,1]
	v_pk_fma_f32 v[36:37], v[34:35], v[36:37], v[38:39] neg_lo:[0,0,1] neg_hi:[0,0,1]
	v_mov_b32_e32 v37, v79
	s_delay_alu instid0(VALU_DEP_1)
	v_mov_b64_e32 v[34:35], v[36:37]
	ds_store_b64 v47, v[36:37]
.LBB70_264:                             ;   in Loop: Header=BB70_3 Depth=1
	s_or_b32 exec_lo, exec_lo, s7
	s_wait_dscnt 0x0
	s_barrier_signal -1
	s_barrier_wait -1
	s_barrier_signal -1
	s_barrier_wait -1
	s_and_saveexec_b32 s7, s2
; %bb.265:                              ;   in Loop: Header=BB70_3 Depth=1
	v_pk_add_f32 v[34:35], v[34:35], 0 neg_lo:[1,1] neg_hi:[1,1]
	ds_store_b64 v48, v[34:35] offset:4192
; %bb.266:                              ;   in Loop: Header=BB70_3 Depth=1
	s_or_b32 exec_lo, exec_lo, s7
	s_wait_dscnt 0x0
	s_barrier_signal -1
	s_barrier_wait -1
	s_barrier_signal -1
	s_barrier_wait -1
	s_and_saveexec_b32 s98, s14
	s_cbranch_execz .LBB70_268
; %bb.267:                              ;   in Loop: Header=BB70_3 Depth=1
	ds_load_b128 v[34:37], v1 offset:6240
	ds_load_b64 v[38:39], v1 offset:6760
	s_wait_dscnt 0x1
	v_dual_mov_b32 v78, v37 :: v_dual_mov_b32 v79, v36
	s_wait_dscnt 0x0
	v_dual_mul_f32 v77, v39, v35 :: v_dual_mul_f32 v0, v38, v35
	s_delay_alu instid0(VALU_DEP_1) | instskip(NEXT) | instid1(VALU_DEP_2)
	v_xor_b32_e32 v80, 0x80000000, v77
	v_fmac_f32_e32 v0, v39, v34
	s_delay_alu instid0(VALU_DEP_2) | instskip(NEXT) | instid1(VALU_DEP_2)
	v_fmac_f32_e32 v80, v38, v34
	v_pk_mul_f32 v[34:35], v[0:1], v[78:79] op_sel_hi:[0,1]
	s_delay_alu instid0(VALU_DEP_1) | instskip(SKIP_1) | instid1(VALU_DEP_2)
	v_pk_fma_f32 v[38:39], v[80:81], v[36:37], v[34:35] op_sel_hi:[0,1,1]
	v_pk_fma_f32 v[34:35], v[80:81], v[36:37], v[34:35] neg_lo:[0,0,1] neg_hi:[0,0,1]
	v_mov_b32_e32 v35, v39
	ds_store_b64 v1, v[34:35] offset:6248
.LBB70_268:                             ;   in Loop: Header=BB70_3 Depth=1
	s_or_b32 exec_lo, exec_lo, s98
	v_mov_b32_e32 v35, 0
	s_wait_dscnt 0x0
	s_barrier_signal -1
	s_barrier_wait -1
	s_delay_alu instid0(VALU_DEP_1)
	v_mov_b32_e32 v34, v35
	s_and_saveexec_b32 s98, s1
	s_cbranch_execz .LBB70_272
; %bb.269:                              ;   in Loop: Header=BB70_3 Depth=1
	ds_load_b64 v[34:35], v42 offset:6256
	ds_load_b64 v[36:37], v43 offset:6240
	s_wait_dscnt 0x0
	v_dual_mul_f32 v0, v37, v35 :: v_dual_mul_f32 v39, v36, v35
	s_delay_alu instid0(VALU_DEP_1) | instskip(NEXT) | instid1(VALU_DEP_1)
	v_dual_fma_f32 v38, v36, v34, -v0 :: v_dual_fmac_f32 v39, v37, v34
	v_pk_add_f32 v[34:35], v[38:39], 0 op_sel_hi:[1,0]
	s_and_saveexec_b32 s7, s15
	s_cbranch_execz .LBB70_271
; %bb.270:                              ;   in Loop: Header=BB70_3 Depth=1
	ds_load_b64 v[36:37], v44 offset:6768
	ds_load_b64 v[38:39], v1 offset:6248
	s_wait_dscnt 0x0
	v_pk_mul_f32 v[78:79], v[38:39], v[36:37] op_sel:[1,1] op_sel_hi:[0,1]
	s_delay_alu instid0(VALU_DEP_1) | instskip(SKIP_1) | instid1(VALU_DEP_2)
	v_pk_fma_f32 v[80:81], v[38:39], v[36:37], v[78:79] op_sel_hi:[1,0,1]
	v_pk_fma_f32 v[36:37], v[38:39], v[36:37], v[78:79] neg_lo:[0,0,1] neg_hi:[0,0,1]
	v_mov_b32_e32 v37, v81
	s_delay_alu instid0(VALU_DEP_1)
	v_pk_add_f32 v[34:35], v[34:35], v[36:37]
.LBB70_271:                             ;   in Loop: Header=BB70_3 Depth=1
	s_or_b32 exec_lo, exec_lo, s7
	s_delay_alu instid0(VALU_DEP_1)
	v_pk_add_f32 v[34:35], v[34:35], 0 neg_lo:[1,1] neg_hi:[1,1]
.LBB70_272:                             ;   in Loop: Header=BB70_3 Depth=1
	s_or_b32 exec_lo, exec_lo, s98
	s_and_saveexec_b32 s7, s45
	s_cbranch_execz .LBB70_274
; %bb.273:                              ;   in Loop: Header=BB70_3 Depth=1
	ds_load_b64 v[36:37], v1 offset:7280
	s_wait_dscnt 0x0
	v_pk_mul_f32 v[38:39], v[34:35], v[36:37] op_sel:[1,1] op_sel_hi:[1,0]
	s_delay_alu instid0(VALU_DEP_1) | instskip(SKIP_1) | instid1(VALU_DEP_2)
	v_pk_fma_f32 v[78:79], v[34:35], v[36:37], v[38:39] op_sel_hi:[0,1,1]
	v_pk_fma_f32 v[36:37], v[34:35], v[36:37], v[38:39] neg_lo:[0,0,1] neg_hi:[0,0,1]
	v_mov_b32_e32 v37, v79
	s_delay_alu instid0(VALU_DEP_1)
	v_mov_b64_e32 v[34:35], v[36:37]
	ds_store_b64 v3, v[36:37]
.LBB70_274:                             ;   in Loop: Header=BB70_3 Depth=1
	s_or_b32 exec_lo, exec_lo, s7
	s_wait_dscnt 0x0
	s_barrier_signal -1
	s_barrier_wait -1
	s_and_saveexec_b32 s7, s46
	s_cbranch_execz .LBB70_276
; %bb.275:                              ;   in Loop: Header=BB70_3 Depth=1
	ds_load_b64 v[36:37], v1 offset:7288
	ds_load_b64 v[38:39], v3
	s_wait_dscnt 0x0
	v_pk_mul_f32 v[78:79], v[38:39], v[36:37] op_sel:[1,1] op_sel_hi:[0,1]
	s_delay_alu instid0(VALU_DEP_1) | instskip(SKIP_1) | instid1(VALU_DEP_2)
	v_pk_fma_f32 v[80:81], v[38:39], v[36:37], v[78:79] op_sel_hi:[1,0,1]
	v_pk_fma_f32 v[36:37], v[38:39], v[36:37], v[78:79] neg_lo:[0,0,1] neg_hi:[0,0,1]
	v_mov_b32_e32 v37, v81
	s_delay_alu instid0(VALU_DEP_1)
	v_pk_add_f32 v[34:35], v[34:35], v[36:37]
.LBB70_276:                             ;   in Loop: Header=BB70_3 Depth=1
	s_or_b32 exec_lo, exec_lo, s7
	s_barrier_signal -1
	s_barrier_wait -1
	s_and_saveexec_b32 s7, s46
	s_cbranch_execz .LBB70_278
; %bb.277:                              ;   in Loop: Header=BB70_3 Depth=1
	ds_load_b64 v[36:37], v1 offset:7800
	s_wait_dscnt 0x0
	v_pk_mul_f32 v[38:39], v[34:35], v[36:37] op_sel:[1,1] op_sel_hi:[1,0]
	s_delay_alu instid0(VALU_DEP_1) | instskip(SKIP_1) | instid1(VALU_DEP_2)
	v_pk_fma_f32 v[78:79], v[34:35], v[36:37], v[38:39] op_sel_hi:[0,1,1]
	v_pk_fma_f32 v[36:37], v[34:35], v[36:37], v[38:39] neg_lo:[0,0,1] neg_hi:[0,0,1]
	v_mov_b32_e32 v37, v79
	s_delay_alu instid0(VALU_DEP_1)
	v_mov_b64_e32 v[34:35], v[36:37]
	ds_store_b64 v3, v[36:37]
.LBB70_278:                             ;   in Loop: Header=BB70_3 Depth=1
	s_or_b32 exec_lo, exec_lo, s7
	s_wait_dscnt 0x0
	s_barrier_signal -1
	s_barrier_wait -1
	s_barrier_signal -1
	s_barrier_wait -1
	s_and_saveexec_b32 s7, s1
; %bb.279:                              ;   in Loop: Header=BB70_3 Depth=1
	v_pk_add_f32 v[34:35], v[34:35], 0 neg_lo:[1,1] neg_hi:[1,1]
	ds_store_b64 v42, v[34:35] offset:6256
; %bb.280:                              ;   in Loop: Header=BB70_3 Depth=1
	s_or_b32 exec_lo, exec_lo, s7
	s_wait_dscnt 0x0
	s_barrier_signal -1
	s_barrier_wait -1
	s_barrier_signal -1
	s_barrier_wait -1
	s_and_saveexec_b32 s98, s14
	s_cbranch_execz .LBB70_282
; %bb.281:                              ;   in Loop: Header=BB70_3 Depth=1
	ds_load_b128 v[34:37], v1 offset:7280
	ds_load_b64 v[38:39], v1 offset:7800
	s_wait_dscnt 0x1
	v_dual_mov_b32 v78, v37 :: v_dual_mov_b32 v79, v36
	s_wait_dscnt 0x0
	v_dual_mul_f32 v77, v39, v35 :: v_dual_mul_f32 v0, v38, v35
	s_delay_alu instid0(VALU_DEP_1) | instskip(NEXT) | instid1(VALU_DEP_2)
	v_xor_b32_e32 v80, 0x80000000, v77
	v_fmac_f32_e32 v0, v39, v34
	s_delay_alu instid0(VALU_DEP_2) | instskip(NEXT) | instid1(VALU_DEP_2)
	v_fmac_f32_e32 v80, v38, v34
	v_pk_mul_f32 v[34:35], v[0:1], v[78:79] op_sel_hi:[0,1]
	s_delay_alu instid0(VALU_DEP_1) | instskip(SKIP_1) | instid1(VALU_DEP_2)
	v_pk_fma_f32 v[38:39], v[80:81], v[36:37], v[34:35] op_sel_hi:[0,1,1]
	v_pk_fma_f32 v[34:35], v[80:81], v[36:37], v[34:35] neg_lo:[0,0,1] neg_hi:[0,0,1]
	v_mov_b32_e32 v35, v39
	ds_store_b64 v1, v[34:35] offset:7288
.LBB70_282:                             ;   in Loop: Header=BB70_3 Depth=1
	s_or_b32 exec_lo, exec_lo, s98
	v_mov_b32_e32 v34, 0
	s_wait_dscnt 0x0
	s_barrier_signal -1
	s_barrier_wait -1
	s_delay_alu instid0(VALU_DEP_1)
	v_mov_b32_e32 v35, v34
	s_and_saveexec_b32 s98, s4
	s_cbranch_execz .LBB70_310
; %bb.283:                              ;   in Loop: Header=BB70_3 Depth=1
	ds_load_b64 v[34:35], v58 offset:128
	ds_load_b64 v[36:37], v55
	v_readlane_b32 s10, v92, 30
	s_wait_dscnt 0x0
	v_dual_mul_f32 v0, v37, v35 :: v_dual_mul_f32 v38, v36, v35
	s_delay_alu instid0(VALU_DEP_1) | instskip(NEXT) | instid1(VALU_DEP_1)
	v_dual_fma_f32 v0, v36, v34, -v0 :: v_dual_fmac_f32 v38, v37, v34
	v_dual_add_f32 v35, 0, v0 :: v_dual_add_f32 v34, 0, v38
	s_and_saveexec_b32 s7, s10
	s_cbranch_execz .LBB70_285
; %bb.284:                              ;   in Loop: Header=BB70_3 Depth=1
	ds_load_b64 v[36:37], v59 offset:640
	ds_load_b64 v[38:39], v55 offset:8
	s_wait_dscnt 0x0
	v_dual_mul_f32 v0, v39, v37 :: v_dual_mul_f32 v37, v38, v37
	s_delay_alu instid0(VALU_DEP_1) | instskip(NEXT) | instid1(VALU_DEP_1)
	v_dual_fma_f32 v0, v38, v36, -v0 :: v_dual_fmac_f32 v37, v39, v36
	v_dual_add_f32 v35, v35, v0 :: v_dual_add_f32 v34, v34, v37
.LBB70_285:                             ;   in Loop: Header=BB70_3 Depth=1
	s_or_b32 exec_lo, exec_lo, s7
	v_readlane_b32 s10, v92, 31
	s_and_saveexec_b32 s7, s10
	s_cbranch_execz .LBB70_287
; %bb.286:                              ;   in Loop: Header=BB70_3 Depth=1
	ds_load_b64 v[36:37], v59 offset:1152
	ds_load_b64 v[38:39], v55 offset:16
	s_wait_dscnt 0x0
	v_dual_mul_f32 v0, v39, v37 :: v_dual_mul_f32 v37, v38, v37
	s_delay_alu instid0(VALU_DEP_1) | instskip(NEXT) | instid1(VALU_DEP_1)
	v_dual_fma_f32 v0, v38, v36, -v0 :: v_dual_fmac_f32 v37, v39, v36
	v_dual_add_f32 v35, v35, v0 :: v_dual_add_f32 v34, v34, v37
.LBB70_287:                             ;   in Loop: Header=BB70_3 Depth=1
	s_or_b32 exec_lo, exec_lo, s7
	v_readlane_b32 s10, v91, 0
	;; [unrolled: 13-line block ×10, first 2 shown]
	s_and_saveexec_b32 s7, s10
	s_cbranch_execnz .LBB70_1058
; %bb.304:                              ;   in Loop: Header=BB70_3 Depth=1
	s_or_b32 exec_lo, exec_lo, s7
	s_and_saveexec_b32 s7, s3
	s_cbranch_execnz .LBB70_1059
.LBB70_305:                             ;   in Loop: Header=BB70_3 Depth=1
	s_or_b32 exec_lo, exec_lo, s7
	s_and_saveexec_b32 s7, s19
	s_cbranch_execnz .LBB70_1060
.LBB70_306:                             ;   in Loop: Header=BB70_3 Depth=1
	s_or_b32 exec_lo, exec_lo, s7
	s_and_saveexec_b32 s7, s21
	s_cbranch_execnz .LBB70_1061
.LBB70_307:                             ;   in Loop: Header=BB70_3 Depth=1
	s_or_b32 exec_lo, exec_lo, s7
	s_and_saveexec_b32 s7, s2
	s_cbranch_execz .LBB70_309
.LBB70_308:                             ;   in Loop: Header=BB70_3 Depth=1
	ds_load_b64 v[36:37], v44 offset:7808
	ds_load_b64 v[38:39], v1 offset:120
	s_wait_dscnt 0x0
	v_pk_mul_f32 v[78:79], v[38:39], v[36:37] op_sel:[0,1]
	s_delay_alu instid0(VALU_DEP_1) | instskip(SKIP_1) | instid1(VALU_DEP_2)
	v_pk_fma_f32 v[80:81], v[38:39], v[36:37], v[78:79] op_sel:[1,0,0] op_sel_hi:[0,0,1] neg_lo:[0,0,1] neg_hi:[0,0,1]
	v_pk_fma_f32 v[36:37], v[38:39], v[36:37], v[78:79] op_sel:[1,0,0] op_sel_hi:[0,1,1]
	v_mov_b32_e32 v37, v81
	s_delay_alu instid0(VALU_DEP_1)
	v_pk_add_f32 v[34:35], v[34:35], v[36:37]
.LBB70_309:                             ;   in Loop: Header=BB70_3 Depth=1
	s_or_b32 exec_lo, exec_lo, s7
	s_delay_alu instid0(VALU_DEP_1) | instskip(NEXT) | instid1(VALU_DEP_1)
	v_pk_add_f32 v[36:37], v[34:35], 0 neg_lo:[1,1] neg_hi:[1,1]
	v_dual_mov_b32 v34, v37 :: v_dual_mov_b32 v35, v36
.LBB70_310:                             ;   in Loop: Header=BB70_3 Depth=1
	s_or_b32 exec_lo, exec_lo, s98
	s_and_saveexec_b32 s7, s67
	s_cbranch_execz .LBB70_312
; %bb.311:                              ;   in Loop: Header=BB70_3 Depth=1
	ds_load_b64 v[36:37], v1 offset:8320
	v_dual_mov_b32 v38, v35 :: v_dual_mov_b32 v39, v34
	s_wait_dscnt 0x0
	s_delay_alu instid0(VALU_DEP_1) | instskip(NEXT) | instid1(VALU_DEP_1)
	v_dual_mul_f32 v0, v38, v36 :: v_dual_mul_f32 v78, v35, v37
	v_pk_fma_f32 v[38:39], v[38:39], v[36:37], v[0:1] op_sel_hi:[1,1,0]
	s_delay_alu instid0(VALU_DEP_2) | instskip(NEXT) | instid1(VALU_DEP_2)
	v_pk_fma_f32 v[34:35], v[34:35], v[36:37], v[78:79] op_sel_hi:[1,1,0] neg_lo:[0,0,1] neg_hi:[0,0,1]
	v_mov_b32_e32 v35, v39
	ds_store_b64 v57, v[34:35]
.LBB70_312:                             ;   in Loop: Header=BB70_3 Depth=1
	s_or_b32 exec_lo, exec_lo, s7
	s_wait_dscnt 0x0
	s_barrier_signal -1
	s_barrier_wait -1
	s_and_saveexec_b32 s7, s68
	s_cbranch_execz .LBB70_314
; %bb.313:                              ;   in Loop: Header=BB70_3 Depth=1
	ds_load_b64 v[36:37], v56 offset:8320
	ds_load_b64 v[38:39], v57
	s_wait_dscnt 0x0
	v_dual_mul_f32 v0, v39, v37 :: v_dual_mul_f32 v79, v38, v37
	s_delay_alu instid0(VALU_DEP_1) | instskip(NEXT) | instid1(VALU_DEP_1)
	v_dual_fma_f32 v78, v38, v36, -v0 :: v_dual_fmac_f32 v79, v39, v36
	v_pk_add_f32 v[34:35], v[34:35], v[78:79]
.LBB70_314:                             ;   in Loop: Header=BB70_3 Depth=1
	s_or_b32 exec_lo, exec_lo, s7
	s_barrier_signal -1
	s_barrier_wait -1
	s_and_saveexec_b32 s7, s69
	s_cbranch_execz .LBB70_316
; %bb.315:                              ;   in Loop: Header=BB70_3 Depth=1
	ds_load_b64 v[36:37], v1 offset:8840
	s_wait_dscnt 0x0
	v_pk_mul_f32 v[38:39], v[34:35], v[36:37] op_sel:[1,1] op_sel_hi:[1,0]
	s_delay_alu instid0(VALU_DEP_1) | instskip(SKIP_1) | instid1(VALU_DEP_2)
	v_pk_fma_f32 v[78:79], v[34:35], v[36:37], v[38:39] op_sel_hi:[0,1,1]
	v_pk_fma_f32 v[34:35], v[34:35], v[36:37], v[38:39] op_sel_hi:[0,1,1] neg_lo:[0,0,1] neg_hi:[0,0,1]
	v_mov_b32_e32 v35, v79
	ds_store_b64 v57, v[34:35]
.LBB70_316:                             ;   in Loop: Header=BB70_3 Depth=1
	s_or_b32 exec_lo, exec_lo, s7
	s_wait_dscnt 0x0
	s_barrier_signal -1
	s_barrier_wait -1
	s_and_saveexec_b32 s7, s12
	s_cbranch_execz .LBB70_318
; %bb.317:                              ;   in Loop: Header=BB70_3 Depth=1
	ds_load_b64 v[36:37], v56 offset:8832
	ds_load_b64 v[38:39], v57
	s_wait_dscnt 0x0
	v_pk_mul_f32 v[78:79], v[38:39], v[36:37] op_sel:[1,1] op_sel_hi:[0,1]
	s_delay_alu instid0(VALU_DEP_1) | instskip(SKIP_1) | instid1(VALU_DEP_2)
	v_pk_fma_f32 v[80:81], v[38:39], v[36:37], v[78:79] op_sel_hi:[1,0,1]
	v_pk_fma_f32 v[36:37], v[38:39], v[36:37], v[78:79] op_sel_hi:[1,0,1] neg_lo:[0,0,1] neg_hi:[0,0,1]
	v_mov_b32_e32 v37, v81
	s_delay_alu instid0(VALU_DEP_1)
	v_pk_add_f32 v[34:35], v[34:35], v[36:37]
.LBB70_318:                             ;   in Loop: Header=BB70_3 Depth=1
	s_or_b32 exec_lo, exec_lo, s7
	s_barrier_signal -1
	s_barrier_wait -1
	s_and_saveexec_b32 s7, s13
	s_cbranch_execz .LBB70_320
; %bb.319:                              ;   in Loop: Header=BB70_3 Depth=1
	ds_load_b64 v[36:37], v1 offset:9360
	s_wait_dscnt 0x0
	v_pk_mul_f32 v[38:39], v[34:35], v[36:37] op_sel:[1,1] op_sel_hi:[1,0]
	s_delay_alu instid0(VALU_DEP_1) | instskip(SKIP_1) | instid1(VALU_DEP_2)
	v_pk_fma_f32 v[78:79], v[34:35], v[36:37], v[38:39] op_sel_hi:[0,1,1]
	v_pk_fma_f32 v[34:35], v[34:35], v[36:37], v[38:39] op_sel_hi:[0,1,1] neg_lo:[0,0,1] neg_hi:[0,0,1]
	v_mov_b32_e32 v35, v79
	ds_store_b64 v57, v[34:35]
.LBB70_320:                             ;   in Loop: Header=BB70_3 Depth=1
	s_or_b32 exec_lo, exec_lo, s7
	s_wait_dscnt 0x0
	s_barrier_signal -1
	s_barrier_wait -1
	s_and_saveexec_b32 s7, s23
	s_cbranch_execz .LBB70_322
; %bb.321:                              ;   in Loop: Header=BB70_3 Depth=1
	ds_load_b64 v[36:37], v56 offset:9344
	ds_load_b64 v[38:39], v57
	s_wait_dscnt 0x0
	v_pk_mul_f32 v[78:79], v[38:39], v[36:37] op_sel:[1,1] op_sel_hi:[0,1]
	s_delay_alu instid0(VALU_DEP_1) | instskip(SKIP_1) | instid1(VALU_DEP_2)
	v_pk_fma_f32 v[80:81], v[38:39], v[36:37], v[78:79] op_sel_hi:[1,0,1]
	v_pk_fma_f32 v[36:37], v[38:39], v[36:37], v[78:79] op_sel_hi:[1,0,1] neg_lo:[0,0,1] neg_hi:[0,0,1]
	v_mov_b32_e32 v37, v81
	s_delay_alu instid0(VALU_DEP_1)
	v_pk_add_f32 v[34:35], v[34:35], v[36:37]
.LBB70_322:                             ;   in Loop: Header=BB70_3 Depth=1
	;; [unrolled: 33-line block ×3, first 2 shown]
	s_or_b32 exec_lo, exec_lo, s7
	s_barrier_signal -1
	s_barrier_wait -1
	s_and_saveexec_b32 s7, s29
	s_cbranch_execz .LBB70_328
; %bb.327:                              ;   in Loop: Header=BB70_3 Depth=1
	ds_load_b64 v[36:37], v1 offset:10400
	s_wait_dscnt 0x0
	v_dual_mul_f32 v0, v34, v37 :: v_dual_mul_f32 v38, v35, v37
	s_delay_alu instid0(VALU_DEP_1) | instskip(NEXT) | instid1(VALU_DEP_2)
	v_pk_fma_f32 v[78:79], v[34:35], v[36:37], v[0:1] op_sel:[0,1,0] op_sel_hi:[1,0,0]
	v_pk_fma_f32 v[36:37], v[34:35], v[36:37], v[38:39] op_sel_hi:[1,1,0] neg_lo:[0,0,1] neg_hi:[0,0,1]
	s_delay_alu instid0(VALU_DEP_2) | instskip(NEXT) | instid1(VALU_DEP_1)
	v_mov_b32_e32 v37, v79
	v_mov_b64_e32 v[34:35], v[36:37]
	ds_store_b64 v57, v[36:37]
.LBB70_328:                             ;   in Loop: Header=BB70_3 Depth=1
	s_or_b32 exec_lo, exec_lo, s7
	s_wait_dscnt 0x0
	s_barrier_signal -1
	s_barrier_wait -1
	s_and_saveexec_b32 s7, s31
	s_cbranch_execz .LBB70_330
; %bb.329:                              ;   in Loop: Header=BB70_3 Depth=1
	ds_load_b64 v[36:37], v56 offset:10368
	ds_load_b64 v[38:39], v57
	s_wait_dscnt 0x0
	v_dual_mul_f32 v0, v39, v37 :: v_dual_mul_f32 v79, v38, v37
	s_delay_alu instid0(VALU_DEP_1) | instskip(NEXT) | instid1(VALU_DEP_1)
	v_dual_fma_f32 v78, v38, v36, -v0 :: v_dual_fmac_f32 v79, v39, v36
	v_pk_add_f32 v[34:35], v[34:35], v[78:79]
.LBB70_330:                             ;   in Loop: Header=BB70_3 Depth=1
	s_or_b32 exec_lo, exec_lo, s7
	s_barrier_signal -1
	s_barrier_wait -1
	s_and_saveexec_b32 s7, s34
	s_cbranch_execz .LBB70_332
; %bb.331:                              ;   in Loop: Header=BB70_3 Depth=1
	ds_load_b64 v[36:37], v1 offset:10920
	s_wait_dscnt 0x0
	v_pk_mul_f32 v[38:39], v[34:35], v[36:37] op_sel:[1,1] op_sel_hi:[1,0]
	s_delay_alu instid0(VALU_DEP_1) | instskip(SKIP_1) | instid1(VALU_DEP_2)
	v_pk_fma_f32 v[78:79], v[34:35], v[36:37], v[38:39] op_sel_hi:[0,1,1]
	v_pk_fma_f32 v[34:35], v[34:35], v[36:37], v[38:39] op_sel_hi:[0,1,1] neg_lo:[0,0,1] neg_hi:[0,0,1]
	v_mov_b32_e32 v35, v79
	ds_store_b64 v57, v[34:35]
.LBB70_332:                             ;   in Loop: Header=BB70_3 Depth=1
	s_or_b32 exec_lo, exec_lo, s7
	s_wait_dscnt 0x0
	s_barrier_signal -1
	s_barrier_wait -1
	s_and_saveexec_b32 s7, s38
	s_cbranch_execz .LBB70_334
; %bb.333:                              ;   in Loop: Header=BB70_3 Depth=1
	ds_load_b64 v[36:37], v56 offset:10880
	ds_load_b64 v[38:39], v57
	s_wait_dscnt 0x0
	v_pk_mul_f32 v[78:79], v[38:39], v[36:37] op_sel:[1,1] op_sel_hi:[0,1]
	s_delay_alu instid0(VALU_DEP_1) | instskip(SKIP_1) | instid1(VALU_DEP_2)
	v_pk_fma_f32 v[80:81], v[38:39], v[36:37], v[78:79] op_sel_hi:[1,0,1]
	v_pk_fma_f32 v[36:37], v[38:39], v[36:37], v[78:79] op_sel_hi:[1,0,1] neg_lo:[0,0,1] neg_hi:[0,0,1]
	v_mov_b32_e32 v37, v81
	s_delay_alu instid0(VALU_DEP_1)
	v_pk_add_f32 v[34:35], v[34:35], v[36:37]
.LBB70_334:                             ;   in Loop: Header=BB70_3 Depth=1
	s_or_b32 exec_lo, exec_lo, s7
	s_barrier_signal -1
	s_barrier_wait -1
	s_and_saveexec_b32 s7, s39
	s_cbranch_execz .LBB70_336
; %bb.335:                              ;   in Loop: Header=BB70_3 Depth=1
	ds_load_b64 v[36:37], v1 offset:11440
	s_wait_dscnt 0x0
	v_pk_mul_f32 v[38:39], v[34:35], v[36:37] op_sel:[1,1] op_sel_hi:[1,0]
	s_delay_alu instid0(VALU_DEP_1) | instskip(SKIP_1) | instid1(VALU_DEP_2)
	v_pk_fma_f32 v[78:79], v[34:35], v[36:37], v[38:39] op_sel_hi:[0,1,1]
	v_pk_fma_f32 v[34:35], v[34:35], v[36:37], v[38:39] op_sel_hi:[0,1,1] neg_lo:[0,0,1] neg_hi:[0,0,1]
	v_mov_b32_e32 v35, v79
	ds_store_b64 v57, v[34:35]
.LBB70_336:                             ;   in Loop: Header=BB70_3 Depth=1
	s_or_b32 exec_lo, exec_lo, s7
	s_wait_dscnt 0x0
	s_barrier_signal -1
	s_barrier_wait -1
	s_and_saveexec_b32 s7, s40
	s_cbranch_execz .LBB70_338
; %bb.337:                              ;   in Loop: Header=BB70_3 Depth=1
	ds_load_b64 v[36:37], v56 offset:11392
	ds_load_b64 v[38:39], v57
	s_wait_dscnt 0x0
	v_pk_mul_f32 v[78:79], v[38:39], v[36:37] op_sel:[1,1] op_sel_hi:[0,1]
	s_delay_alu instid0(VALU_DEP_1) | instskip(SKIP_1) | instid1(VALU_DEP_2)
	v_pk_fma_f32 v[80:81], v[38:39], v[36:37], v[78:79] op_sel_hi:[1,0,1]
	v_pk_fma_f32 v[36:37], v[38:39], v[36:37], v[78:79] op_sel_hi:[1,0,1] neg_lo:[0,0,1] neg_hi:[0,0,1]
	v_mov_b32_e32 v37, v81
	s_delay_alu instid0(VALU_DEP_1)
	v_pk_add_f32 v[34:35], v[34:35], v[36:37]
.LBB70_338:                             ;   in Loop: Header=BB70_3 Depth=1
	;; [unrolled: 33-line block ×3, first 2 shown]
	s_or_b32 exec_lo, exec_lo, s7
	s_barrier_signal -1
	s_barrier_wait -1
	s_and_saveexec_b32 s7, s9
	s_cbranch_execz .LBB70_344
; %bb.343:                              ;   in Loop: Header=BB70_3 Depth=1
	ds_load_b64 v[36:37], v1 offset:12480
	s_wait_dscnt 0x0
	v_dual_mul_f32 v0, v34, v37 :: v_dual_mul_f32 v38, v35, v37
	s_delay_alu instid0(VALU_DEP_1) | instskip(NEXT) | instid1(VALU_DEP_2)
	v_pk_fma_f32 v[78:79], v[34:35], v[36:37], v[0:1] op_sel:[0,1,0] op_sel_hi:[1,0,0]
	v_pk_fma_f32 v[36:37], v[34:35], v[36:37], v[38:39] op_sel_hi:[1,1,0] neg_lo:[0,0,1] neg_hi:[0,0,1]
	s_delay_alu instid0(VALU_DEP_2) | instskip(NEXT) | instid1(VALU_DEP_1)
	v_mov_b32_e32 v37, v79
	v_mov_b64_e32 v[34:35], v[36:37]
	ds_store_b64 v57, v[36:37]
.LBB70_344:                             ;   in Loop: Header=BB70_3 Depth=1
	s_or_b32 exec_lo, exec_lo, s7
	s_wait_dscnt 0x0
	s_barrier_signal -1
	s_barrier_wait -1
	s_and_saveexec_b32 s7, s90
	s_cbranch_execz .LBB70_346
; %bb.345:                              ;   in Loop: Header=BB70_3 Depth=1
	ds_load_b64 v[36:37], v56 offset:12416
	ds_load_b64 v[38:39], v57
	s_wait_dscnt 0x0
	v_dual_mul_f32 v0, v39, v37 :: v_dual_mul_f32 v79, v38, v37
	s_delay_alu instid0(VALU_DEP_1) | instskip(NEXT) | instid1(VALU_DEP_1)
	v_dual_fma_f32 v78, v38, v36, -v0 :: v_dual_fmac_f32 v79, v39, v36
	v_pk_add_f32 v[34:35], v[34:35], v[78:79]
.LBB70_346:                             ;   in Loop: Header=BB70_3 Depth=1
	s_or_b32 exec_lo, exec_lo, s7
	s_barrier_signal -1
	s_barrier_wait -1
	s_and_saveexec_b32 s7, s91
	s_cbranch_execz .LBB70_348
; %bb.347:                              ;   in Loop: Header=BB70_3 Depth=1
	ds_load_b64 v[36:37], v1 offset:13000
	s_wait_dscnt 0x0
	v_pk_mul_f32 v[38:39], v[34:35], v[36:37] op_sel:[1,1] op_sel_hi:[1,0]
	s_delay_alu instid0(VALU_DEP_1) | instskip(SKIP_1) | instid1(VALU_DEP_2)
	v_pk_fma_f32 v[78:79], v[34:35], v[36:37], v[38:39] op_sel_hi:[0,1,1]
	v_pk_fma_f32 v[34:35], v[34:35], v[36:37], v[38:39] op_sel_hi:[0,1,1] neg_lo:[0,0,1] neg_hi:[0,0,1]
	v_mov_b32_e32 v35, v79
	ds_store_b64 v57, v[34:35]
.LBB70_348:                             ;   in Loop: Header=BB70_3 Depth=1
	s_or_b32 exec_lo, exec_lo, s7
	s_wait_dscnt 0x0
	s_barrier_signal -1
	s_barrier_wait -1
	s_and_saveexec_b32 s7, s88
	s_cbranch_execz .LBB70_350
; %bb.349:                              ;   in Loop: Header=BB70_3 Depth=1
	ds_load_b64 v[36:37], v56 offset:12928
	ds_load_b64 v[38:39], v57
	s_wait_dscnt 0x0
	v_pk_mul_f32 v[78:79], v[38:39], v[36:37] op_sel:[1,1] op_sel_hi:[0,1]
	s_delay_alu instid0(VALU_DEP_1) | instskip(SKIP_1) | instid1(VALU_DEP_2)
	v_pk_fma_f32 v[80:81], v[38:39], v[36:37], v[78:79] op_sel_hi:[1,0,1]
	v_pk_fma_f32 v[36:37], v[38:39], v[36:37], v[78:79] op_sel_hi:[1,0,1] neg_lo:[0,0,1] neg_hi:[0,0,1]
	v_mov_b32_e32 v37, v81
	s_delay_alu instid0(VALU_DEP_1)
	v_pk_add_f32 v[34:35], v[34:35], v[36:37]
.LBB70_350:                             ;   in Loop: Header=BB70_3 Depth=1
	s_or_b32 exec_lo, exec_lo, s7
	s_barrier_signal -1
	s_barrier_wait -1
	s_and_saveexec_b32 s7, s89
	s_cbranch_execz .LBB70_352
; %bb.351:                              ;   in Loop: Header=BB70_3 Depth=1
	ds_load_b64 v[36:37], v1 offset:13520
	s_wait_dscnt 0x0
	v_pk_mul_f32 v[38:39], v[34:35], v[36:37] op_sel:[1,1] op_sel_hi:[1,0]
	s_delay_alu instid0(VALU_DEP_1) | instskip(SKIP_1) | instid1(VALU_DEP_2)
	v_pk_fma_f32 v[78:79], v[34:35], v[36:37], v[38:39] op_sel_hi:[0,1,1]
	v_pk_fma_f32 v[34:35], v[34:35], v[36:37], v[38:39] op_sel_hi:[0,1,1] neg_lo:[0,0,1] neg_hi:[0,0,1]
	v_mov_b32_e32 v35, v79
	ds_store_b64 v57, v[34:35]
.LBB70_352:                             ;   in Loop: Header=BB70_3 Depth=1
	s_or_b32 exec_lo, exec_lo, s7
	s_wait_dscnt 0x0
	s_barrier_signal -1
	s_barrier_wait -1
	s_and_saveexec_b32 s7, s24
	s_cbranch_execz .LBB70_354
; %bb.353:                              ;   in Loop: Header=BB70_3 Depth=1
	ds_load_b64 v[36:37], v56 offset:13440
	ds_load_b64 v[38:39], v57
	s_wait_dscnt 0x0
	v_pk_mul_f32 v[78:79], v[38:39], v[36:37] op_sel:[1,1] op_sel_hi:[0,1]
	s_delay_alu instid0(VALU_DEP_1) | instskip(SKIP_1) | instid1(VALU_DEP_2)
	v_pk_fma_f32 v[80:81], v[38:39], v[36:37], v[78:79] op_sel_hi:[1,0,1]
	v_pk_fma_f32 v[36:37], v[38:39], v[36:37], v[78:79] op_sel_hi:[1,0,1] neg_lo:[0,0,1] neg_hi:[0,0,1]
	v_mov_b32_e32 v37, v81
	s_delay_alu instid0(VALU_DEP_1)
	v_pk_add_f32 v[34:35], v[34:35], v[36:37]
.LBB70_354:                             ;   in Loop: Header=BB70_3 Depth=1
	;; [unrolled: 33-line block ×3, first 2 shown]
	s_or_b32 exec_lo, exec_lo, s7
	s_barrier_signal -1
	s_barrier_wait -1
	s_and_saveexec_b32 s7, s30
	s_cbranch_execz .LBB70_360
; %bb.359:                              ;   in Loop: Header=BB70_3 Depth=1
	ds_load_b64 v[36:37], v1 offset:14560
	s_wait_dscnt 0x0
	v_dual_mul_f32 v0, v34, v37 :: v_dual_mul_f32 v38, v35, v37
	s_delay_alu instid0(VALU_DEP_1) | instskip(NEXT) | instid1(VALU_DEP_2)
	v_pk_fma_f32 v[78:79], v[34:35], v[36:37], v[0:1] op_sel:[0,1,0] op_sel_hi:[1,0,0]
	v_pk_fma_f32 v[36:37], v[34:35], v[36:37], v[38:39] op_sel_hi:[1,1,0] neg_lo:[0,0,1] neg_hi:[0,0,1]
	s_delay_alu instid0(VALU_DEP_2) | instskip(NEXT) | instid1(VALU_DEP_1)
	v_mov_b32_e32 v37, v79
	v_mov_b64_e32 v[34:35], v[36:37]
	ds_store_b64 v57, v[36:37]
.LBB70_360:                             ;   in Loop: Header=BB70_3 Depth=1
	s_or_b32 exec_lo, exec_lo, s7
	s_wait_dscnt 0x0
	s_barrier_signal -1
	s_barrier_wait -1
	s_and_saveexec_b32 s7, s33
	s_cbranch_execz .LBB70_362
; %bb.361:                              ;   in Loop: Header=BB70_3 Depth=1
	ds_load_b64 v[36:37], v56 offset:14464
	ds_load_b64 v[38:39], v57
	s_wait_dscnt 0x0
	v_dual_mul_f32 v0, v39, v37 :: v_dual_mul_f32 v79, v38, v37
	s_delay_alu instid0(VALU_DEP_1) | instskip(NEXT) | instid1(VALU_DEP_1)
	v_dual_fma_f32 v78, v38, v36, -v0 :: v_dual_fmac_f32 v79, v39, v36
	v_pk_add_f32 v[34:35], v[34:35], v[78:79]
.LBB70_362:                             ;   in Loop: Header=BB70_3 Depth=1
	s_or_b32 exec_lo, exec_lo, s7
	s_barrier_signal -1
	s_barrier_wait -1
	s_and_saveexec_b32 s7, s78
	s_cbranch_execz .LBB70_364
; %bb.363:                              ;   in Loop: Header=BB70_3 Depth=1
	ds_load_b64 v[36:37], v1 offset:15080
	s_wait_dscnt 0x0
	v_pk_mul_f32 v[38:39], v[34:35], v[36:37] op_sel:[1,1] op_sel_hi:[1,0]
	s_delay_alu instid0(VALU_DEP_1) | instskip(SKIP_1) | instid1(VALU_DEP_2)
	v_pk_fma_f32 v[78:79], v[34:35], v[36:37], v[38:39] op_sel_hi:[0,1,1]
	v_pk_fma_f32 v[36:37], v[34:35], v[36:37], v[38:39] neg_lo:[0,0,1] neg_hi:[0,0,1]
	v_mov_b32_e32 v37, v79
	s_delay_alu instid0(VALU_DEP_1)
	v_mov_b64_e32 v[34:35], v[36:37]
	ds_store_b64 v57, v[36:37]
.LBB70_364:                             ;   in Loop: Header=BB70_3 Depth=1
	s_or_b32 exec_lo, exec_lo, s7
	s_wait_dscnt 0x0
	s_barrier_signal -1
	s_barrier_wait -1
	s_and_saveexec_b32 s7, s79
	s_cbranch_execz .LBB70_366
; %bb.365:                              ;   in Loop: Header=BB70_3 Depth=1
	ds_load_b64 v[36:37], v56 offset:14976
	ds_load_b64 v[38:39], v57
	s_wait_dscnt 0x0
	v_pk_mul_f32 v[78:79], v[38:39], v[36:37] op_sel:[1,1] op_sel_hi:[0,1]
	s_delay_alu instid0(VALU_DEP_1) | instskip(SKIP_1) | instid1(VALU_DEP_2)
	v_pk_fma_f32 v[80:81], v[38:39], v[36:37], v[78:79] op_sel_hi:[1,0,1]
	v_pk_fma_f32 v[36:37], v[38:39], v[36:37], v[78:79] neg_lo:[0,0,1] neg_hi:[0,0,1]
	v_mov_b32_e32 v37, v81
	s_delay_alu instid0(VALU_DEP_1)
	v_pk_add_f32 v[34:35], v[34:35], v[36:37]
.LBB70_366:                             ;   in Loop: Header=BB70_3 Depth=1
	s_or_b32 exec_lo, exec_lo, s7
	s_barrier_signal -1
	s_barrier_wait -1
	s_and_saveexec_b32 s7, s8
	s_cbranch_execz .LBB70_368
; %bb.367:                              ;   in Loop: Header=BB70_3 Depth=1
	ds_load_b64 v[36:37], v1 offset:15600
	s_wait_dscnt 0x0
	v_pk_mul_f32 v[38:39], v[34:35], v[36:37] op_sel:[1,1] op_sel_hi:[1,0]
	s_delay_alu instid0(VALU_DEP_1) | instskip(SKIP_1) | instid1(VALU_DEP_2)
	v_pk_fma_f32 v[78:79], v[34:35], v[36:37], v[38:39] op_sel_hi:[0,1,1]
	v_pk_fma_f32 v[36:37], v[34:35], v[36:37], v[38:39] neg_lo:[0,0,1] neg_hi:[0,0,1]
	v_mov_b32_e32 v37, v79
	s_delay_alu instid0(VALU_DEP_1)
	v_mov_b64_e32 v[34:35], v[36:37]
	ds_store_b64 v57, v[36:37]
.LBB70_368:                             ;   in Loop: Header=BB70_3 Depth=1
	s_or_b32 exec_lo, exec_lo, s7
	s_wait_dscnt 0x0
	s_barrier_signal -1
	s_barrier_wait -1
	s_and_saveexec_b32 s7, s76
	s_cbranch_execz .LBB70_370
; %bb.369:                              ;   in Loop: Header=BB70_3 Depth=1
	ds_load_b64 v[36:37], v1 offset:15608
	ds_load_b64 v[38:39], v57
	s_wait_dscnt 0x0
	v_pk_mul_f32 v[78:79], v[38:39], v[36:37] op_sel:[1,1] op_sel_hi:[0,1]
	s_delay_alu instid0(VALU_DEP_1) | instskip(SKIP_1) | instid1(VALU_DEP_2)
	v_pk_fma_f32 v[80:81], v[38:39], v[36:37], v[78:79] op_sel_hi:[1,0,1]
	v_pk_fma_f32 v[36:37], v[38:39], v[36:37], v[78:79] neg_lo:[0,0,1] neg_hi:[0,0,1]
	v_mov_b32_e32 v37, v81
	s_delay_alu instid0(VALU_DEP_1)
	v_pk_add_f32 v[34:35], v[34:35], v[36:37]
.LBB70_370:                             ;   in Loop: Header=BB70_3 Depth=1
	s_or_b32 exec_lo, exec_lo, s7
	s_barrier_signal -1
	s_barrier_wait -1
	s_and_saveexec_b32 s7, s76
	s_cbranch_execz .LBB70_372
; %bb.371:                              ;   in Loop: Header=BB70_3 Depth=1
	ds_load_b64 v[36:37], v1 offset:16120
	s_wait_dscnt 0x0
	v_pk_mul_f32 v[38:39], v[34:35], v[36:37] op_sel:[1,1] op_sel_hi:[1,0]
	s_delay_alu instid0(VALU_DEP_1) | instskip(SKIP_1) | instid1(VALU_DEP_2)
	v_pk_fma_f32 v[78:79], v[34:35], v[36:37], v[38:39] op_sel_hi:[0,1,1]
	v_pk_fma_f32 v[36:37], v[34:35], v[36:37], v[38:39] neg_lo:[0,0,1] neg_hi:[0,0,1]
	v_mov_b32_e32 v37, v79
	s_delay_alu instid0(VALU_DEP_1)
	v_mov_b64_e32 v[34:35], v[36:37]
	ds_store_b64 v57, v[36:37]
.LBB70_372:                             ;   in Loop: Header=BB70_3 Depth=1
	s_or_b32 exec_lo, exec_lo, s7
	s_wait_dscnt 0x0
	s_barrier_signal -1
	s_barrier_wait -1
	s_barrier_signal -1
	s_barrier_wait -1
	s_and_saveexec_b32 s7, s4
; %bb.373:                              ;   in Loop: Header=BB70_3 Depth=1
	v_pk_add_f32 v[34:35], v[34:35], 0 neg_lo:[1,1] neg_hi:[1,1]
	ds_store_b64 v58, v[34:35] offset:128
; %bb.374:                              ;   in Loop: Header=BB70_3 Depth=1
	s_or_b32 exec_lo, exec_lo, s7
	s_wait_dscnt 0x0
	s_barrier_signal -1
	s_barrier_wait -1
	s_barrier_signal -1
	s_barrier_wait -1
	s_and_saveexec_b32 s98, s14
	s_cbranch_execz .LBB70_376
; %bb.375:                              ;   in Loop: Header=BB70_3 Depth=1
	ds_load_b128 v[34:37], v1 offset:8320
	ds_load_b64 v[38:39], v1 offset:8840
	s_wait_dscnt 0x1
	v_dual_mov_b32 v78, v37 :: v_dual_mov_b32 v79, v36
	s_wait_dscnt 0x0
	v_dual_mul_f32 v77, v39, v35 :: v_dual_mul_f32 v0, v38, v35
	s_delay_alu instid0(VALU_DEP_1) | instskip(NEXT) | instid1(VALU_DEP_2)
	v_xor_b32_e32 v80, 0x80000000, v77
	v_fmac_f32_e32 v0, v39, v34
	s_delay_alu instid0(VALU_DEP_2) | instskip(NEXT) | instid1(VALU_DEP_2)
	v_fmac_f32_e32 v80, v38, v34
	v_pk_mul_f32 v[34:35], v[0:1], v[78:79] op_sel_hi:[0,1]
	s_delay_alu instid0(VALU_DEP_1) | instskip(SKIP_1) | instid1(VALU_DEP_2)
	v_pk_fma_f32 v[38:39], v[80:81], v[36:37], v[34:35] op_sel_hi:[0,1,1]
	v_pk_fma_f32 v[34:35], v[80:81], v[36:37], v[34:35] neg_lo:[0,0,1] neg_hi:[0,0,1]
	v_mov_b32_e32 v35, v39
	ds_store_b64 v1, v[34:35] offset:8328
.LBB70_376:                             ;   in Loop: Header=BB70_3 Depth=1
	s_or_b32 exec_lo, exec_lo, s98
	v_mov_b32_e32 v35, 0
	s_wait_dscnt 0x0
	s_barrier_signal -1
	s_barrier_wait -1
	s_delay_alu instid0(VALU_DEP_1)
	v_mov_b32_e32 v34, v35
	s_and_saveexec_b32 s98, s1
	s_cbranch_execz .LBB70_380
; %bb.377:                              ;   in Loop: Header=BB70_3 Depth=1
	ds_load_b64 v[34:35], v42 offset:8336
	ds_load_b64 v[36:37], v43 offset:8320
	s_wait_dscnt 0x0
	v_dual_mul_f32 v0, v37, v35 :: v_dual_mul_f32 v39, v36, v35
	s_delay_alu instid0(VALU_DEP_1) | instskip(NEXT) | instid1(VALU_DEP_1)
	v_dual_fma_f32 v38, v36, v34, -v0 :: v_dual_fmac_f32 v39, v37, v34
	v_pk_add_f32 v[34:35], v[38:39], 0 op_sel_hi:[1,0]
	s_and_saveexec_b32 s7, s15
	s_cbranch_execz .LBB70_379
; %bb.378:                              ;   in Loop: Header=BB70_3 Depth=1
	ds_load_b64 v[36:37], v44 offset:8848
	ds_load_b64 v[38:39], v1 offset:8328
	s_wait_dscnt 0x0
	v_pk_mul_f32 v[78:79], v[38:39], v[36:37] op_sel:[1,1] op_sel_hi:[0,1]
	s_delay_alu instid0(VALU_DEP_1) | instskip(SKIP_1) | instid1(VALU_DEP_2)
	v_pk_fma_f32 v[80:81], v[38:39], v[36:37], v[78:79] op_sel_hi:[1,0,1]
	v_pk_fma_f32 v[36:37], v[38:39], v[36:37], v[78:79] neg_lo:[0,0,1] neg_hi:[0,0,1]
	v_mov_b32_e32 v37, v81
	s_delay_alu instid0(VALU_DEP_1)
	v_pk_add_f32 v[34:35], v[34:35], v[36:37]
.LBB70_379:                             ;   in Loop: Header=BB70_3 Depth=1
	s_or_b32 exec_lo, exec_lo, s7
	s_delay_alu instid0(VALU_DEP_1)
	v_pk_add_f32 v[34:35], v[34:35], 0 neg_lo:[1,1] neg_hi:[1,1]
.LBB70_380:                             ;   in Loop: Header=BB70_3 Depth=1
	s_or_b32 exec_lo, exec_lo, s98
	s_and_saveexec_b32 s7, s45
	s_cbranch_execz .LBB70_382
; %bb.381:                              ;   in Loop: Header=BB70_3 Depth=1
	ds_load_b64 v[36:37], v1 offset:9360
	s_wait_dscnt 0x0
	v_pk_mul_f32 v[38:39], v[34:35], v[36:37] op_sel:[1,1] op_sel_hi:[1,0]
	s_delay_alu instid0(VALU_DEP_1) | instskip(SKIP_1) | instid1(VALU_DEP_2)
	v_pk_fma_f32 v[78:79], v[34:35], v[36:37], v[38:39] op_sel_hi:[0,1,1]
	v_pk_fma_f32 v[36:37], v[34:35], v[36:37], v[38:39] neg_lo:[0,0,1] neg_hi:[0,0,1]
	v_mov_b32_e32 v37, v79
	s_delay_alu instid0(VALU_DEP_1)
	v_mov_b64_e32 v[34:35], v[36:37]
	ds_store_b64 v3, v[36:37]
.LBB70_382:                             ;   in Loop: Header=BB70_3 Depth=1
	s_or_b32 exec_lo, exec_lo, s7
	s_wait_dscnt 0x0
	s_barrier_signal -1
	s_barrier_wait -1
	s_and_saveexec_b32 s7, s46
	s_cbranch_execz .LBB70_384
; %bb.383:                              ;   in Loop: Header=BB70_3 Depth=1
	ds_load_b64 v[36:37], v1 offset:9368
	ds_load_b64 v[38:39], v3
	s_wait_dscnt 0x0
	v_pk_mul_f32 v[78:79], v[38:39], v[36:37] op_sel:[1,1] op_sel_hi:[0,1]
	s_delay_alu instid0(VALU_DEP_1) | instskip(SKIP_1) | instid1(VALU_DEP_2)
	v_pk_fma_f32 v[80:81], v[38:39], v[36:37], v[78:79] op_sel_hi:[1,0,1]
	v_pk_fma_f32 v[36:37], v[38:39], v[36:37], v[78:79] neg_lo:[0,0,1] neg_hi:[0,0,1]
	v_mov_b32_e32 v37, v81
	s_delay_alu instid0(VALU_DEP_1)
	v_pk_add_f32 v[34:35], v[34:35], v[36:37]
.LBB70_384:                             ;   in Loop: Header=BB70_3 Depth=1
	s_or_b32 exec_lo, exec_lo, s7
	s_barrier_signal -1
	s_barrier_wait -1
	s_and_saveexec_b32 s7, s46
	s_cbranch_execz .LBB70_386
; %bb.385:                              ;   in Loop: Header=BB70_3 Depth=1
	ds_load_b64 v[36:37], v1 offset:9880
	s_wait_dscnt 0x0
	v_pk_mul_f32 v[38:39], v[34:35], v[36:37] op_sel:[1,1] op_sel_hi:[1,0]
	s_delay_alu instid0(VALU_DEP_1) | instskip(SKIP_1) | instid1(VALU_DEP_2)
	v_pk_fma_f32 v[78:79], v[34:35], v[36:37], v[38:39] op_sel_hi:[0,1,1]
	v_pk_fma_f32 v[36:37], v[34:35], v[36:37], v[38:39] neg_lo:[0,0,1] neg_hi:[0,0,1]
	v_mov_b32_e32 v37, v79
	s_delay_alu instid0(VALU_DEP_1)
	v_mov_b64_e32 v[34:35], v[36:37]
	ds_store_b64 v3, v[36:37]
.LBB70_386:                             ;   in Loop: Header=BB70_3 Depth=1
	s_or_b32 exec_lo, exec_lo, s7
	s_wait_dscnt 0x0
	s_barrier_signal -1
	s_barrier_wait -1
	s_barrier_signal -1
	s_barrier_wait -1
	s_and_saveexec_b32 s7, s1
; %bb.387:                              ;   in Loop: Header=BB70_3 Depth=1
	v_pk_add_f32 v[34:35], v[34:35], 0 neg_lo:[1,1] neg_hi:[1,1]
	ds_store_b64 v42, v[34:35] offset:8336
; %bb.388:                              ;   in Loop: Header=BB70_3 Depth=1
	s_or_b32 exec_lo, exec_lo, s7
	s_wait_dscnt 0x0
	s_barrier_signal -1
	s_barrier_wait -1
	s_barrier_signal -1
	s_barrier_wait -1
	s_and_saveexec_b32 s98, s14
	s_cbranch_execz .LBB70_390
; %bb.389:                              ;   in Loop: Header=BB70_3 Depth=1
	ds_load_b128 v[34:37], v1 offset:9360
	ds_load_b64 v[38:39], v1 offset:9880
	s_wait_dscnt 0x1
	v_dual_mov_b32 v78, v37 :: v_dual_mov_b32 v79, v36
	s_wait_dscnt 0x0
	v_dual_mul_f32 v77, v39, v35 :: v_dual_mul_f32 v0, v38, v35
	s_delay_alu instid0(VALU_DEP_1) | instskip(NEXT) | instid1(VALU_DEP_2)
	v_xor_b32_e32 v80, 0x80000000, v77
	v_fmac_f32_e32 v0, v39, v34
	s_delay_alu instid0(VALU_DEP_2) | instskip(NEXT) | instid1(VALU_DEP_2)
	v_fmac_f32_e32 v80, v38, v34
	v_pk_mul_f32 v[34:35], v[0:1], v[78:79] op_sel_hi:[0,1]
	s_delay_alu instid0(VALU_DEP_1) | instskip(SKIP_1) | instid1(VALU_DEP_2)
	v_pk_fma_f32 v[38:39], v[80:81], v[36:37], v[34:35] op_sel_hi:[0,1,1]
	v_pk_fma_f32 v[34:35], v[80:81], v[36:37], v[34:35] neg_lo:[0,0,1] neg_hi:[0,0,1]
	v_mov_b32_e32 v35, v39
	ds_store_b64 v1, v[34:35] offset:9368
.LBB70_390:                             ;   in Loop: Header=BB70_3 Depth=1
	s_or_b32 exec_lo, exec_lo, s98
	v_mov_b32_e32 v34, 0
	s_wait_dscnt 0x0
	s_barrier_signal -1
	s_barrier_wait -1
	s_delay_alu instid0(VALU_DEP_1)
	v_mov_b32_e32 v35, v34
	s_and_saveexec_b32 s98, s2
	s_cbranch_execz .LBB70_396
; %bb.391:                              ;   in Loop: Header=BB70_3 Depth=1
	ds_load_b64 v[34:35], v48 offset:8352
	ds_load_b64 v[36:37], v46 offset:8320
	s_wait_dscnt 0x0
	v_pk_mul_f32 v[38:39], v[36:37], v[34:35] op_sel:[0,1]
	s_delay_alu instid0(VALU_DEP_1) | instskip(SKIP_1) | instid1(VALU_DEP_2)
	v_pk_fma_f32 v[78:79], v[36:37], v[34:35], v[38:39] op_sel:[1,0,0] op_sel_hi:[0,0,1] neg_lo:[0,0,1] neg_hi:[0,0,1]
	v_pk_fma_f32 v[34:35], v[36:37], v[34:35], v[38:39] op_sel:[1,0,0] op_sel_hi:[0,1,1]
	v_mov_b32_e32 v35, v79
	s_delay_alu instid0(VALU_DEP_1)
	v_pk_add_f32 v[34:35], v[34:35], 0 op_sel_hi:[1,0]
	s_and_saveexec_b32 s7, s16
	s_cbranch_execnz .LBB70_1062
; %bb.392:                              ;   in Loop: Header=BB70_3 Depth=1
	s_or_b32 exec_lo, exec_lo, s7
	s_and_saveexec_b32 s7, s17
	s_cbranch_execnz .LBB70_1063
.LBB70_393:                             ;   in Loop: Header=BB70_3 Depth=1
	s_or_b32 exec_lo, exec_lo, s7
	s_and_saveexec_b32 s7, s1
	s_cbranch_execz .LBB70_395
.LBB70_394:                             ;   in Loop: Header=BB70_3 Depth=1
	ds_load_b64 v[36:37], v44 offset:9888
	ds_load_b64 v[38:39], v1 offset:8344
	s_wait_dscnt 0x0
	v_pk_mul_f32 v[78:79], v[38:39], v[36:37] op_sel:[0,1]
	s_delay_alu instid0(VALU_DEP_1) | instskip(SKIP_1) | instid1(VALU_DEP_2)
	v_pk_fma_f32 v[80:81], v[38:39], v[36:37], v[78:79] op_sel:[1,0,0] op_sel_hi:[0,0,1] neg_lo:[0,0,1] neg_hi:[0,0,1]
	v_pk_fma_f32 v[36:37], v[38:39], v[36:37], v[78:79] op_sel:[1,0,0] op_sel_hi:[0,1,1]
	v_mov_b32_e32 v37, v81
	s_delay_alu instid0(VALU_DEP_1)
	v_pk_add_f32 v[34:35], v[34:35], v[36:37]
.LBB70_395:                             ;   in Loop: Header=BB70_3 Depth=1
	s_or_b32 exec_lo, exec_lo, s7
	s_delay_alu instid0(VALU_DEP_1) | instskip(NEXT) | instid1(VALU_DEP_1)
	v_pk_add_f32 v[36:37], v[34:35], 0 neg_lo:[1,1] neg_hi:[1,1]
	v_dual_mov_b32 v34, v37 :: v_dual_mov_b32 v35, v36
.LBB70_396:                             ;   in Loop: Header=BB70_3 Depth=1
	s_or_b32 exec_lo, exec_lo, s98
	s_and_saveexec_b32 s7, s47
	s_cbranch_execz .LBB70_398
; %bb.397:                              ;   in Loop: Header=BB70_3 Depth=1
	ds_load_b64 v[36:37], v1 offset:10400
	v_dual_mov_b32 v38, v35 :: v_dual_mov_b32 v39, v34
	s_wait_dscnt 0x0
	s_delay_alu instid0(VALU_DEP_1) | instskip(NEXT) | instid1(VALU_DEP_1)
	v_dual_mul_f32 v0, v38, v36 :: v_dual_mul_f32 v78, v35, v37
	v_pk_fma_f32 v[38:39], v[38:39], v[36:37], v[0:1] op_sel_hi:[1,1,0]
	s_delay_alu instid0(VALU_DEP_2) | instskip(NEXT) | instid1(VALU_DEP_2)
	v_pk_fma_f32 v[34:35], v[34:35], v[36:37], v[78:79] op_sel_hi:[1,1,0] neg_lo:[0,0,1] neg_hi:[0,0,1]
	v_mov_b32_e32 v35, v39
	ds_store_b64 v47, v[34:35]
.LBB70_398:                             ;   in Loop: Header=BB70_3 Depth=1
	s_or_b32 exec_lo, exec_lo, s7
	s_wait_dscnt 0x0
	s_barrier_signal -1
	s_barrier_wait -1
	s_and_saveexec_b32 s7, s48
	s_cbranch_execz .LBB70_400
; %bb.399:                              ;   in Loop: Header=BB70_3 Depth=1
	ds_load_b64 v[36:37], v45 offset:10400
	ds_load_b64 v[38:39], v47
	s_wait_dscnt 0x0
	v_dual_mul_f32 v0, v39, v37 :: v_dual_mul_f32 v79, v38, v37
	s_delay_alu instid0(VALU_DEP_1) | instskip(NEXT) | instid1(VALU_DEP_1)
	v_dual_fma_f32 v78, v38, v36, -v0 :: v_dual_fmac_f32 v79, v39, v36
	v_pk_add_f32 v[34:35], v[34:35], v[78:79]
.LBB70_400:                             ;   in Loop: Header=BB70_3 Depth=1
	s_or_b32 exec_lo, exec_lo, s7
	s_barrier_signal -1
	s_barrier_wait -1
	s_and_saveexec_b32 s7, s49
	s_cbranch_execz .LBB70_402
; %bb.401:                              ;   in Loop: Header=BB70_3 Depth=1
	ds_load_b64 v[36:37], v1 offset:10920
	s_wait_dscnt 0x0
	v_pk_mul_f32 v[38:39], v[34:35], v[36:37] op_sel:[1,1] op_sel_hi:[1,0]
	s_delay_alu instid0(VALU_DEP_1) | instskip(SKIP_1) | instid1(VALU_DEP_2)
	v_pk_fma_f32 v[78:79], v[34:35], v[36:37], v[38:39] op_sel_hi:[0,1,1]
	v_pk_fma_f32 v[36:37], v[34:35], v[36:37], v[38:39] neg_lo:[0,0,1] neg_hi:[0,0,1]
	v_mov_b32_e32 v37, v79
	s_delay_alu instid0(VALU_DEP_1)
	v_mov_b64_e32 v[34:35], v[36:37]
	ds_store_b64 v47, v[36:37]
.LBB70_402:                             ;   in Loop: Header=BB70_3 Depth=1
	s_or_b32 exec_lo, exec_lo, s7
	s_wait_dscnt 0x0
	s_barrier_signal -1
	s_barrier_wait -1
	s_and_saveexec_b32 s7, s50
	s_cbranch_execz .LBB70_404
; %bb.403:                              ;   in Loop: Header=BB70_3 Depth=1
	ds_load_b64 v[36:37], v45 offset:10912
	ds_load_b64 v[38:39], v47
	s_wait_dscnt 0x0
	v_pk_mul_f32 v[78:79], v[38:39], v[36:37] op_sel:[1,1] op_sel_hi:[0,1]
	s_delay_alu instid0(VALU_DEP_1) | instskip(SKIP_1) | instid1(VALU_DEP_2)
	v_pk_fma_f32 v[80:81], v[38:39], v[36:37], v[78:79] op_sel_hi:[1,0,1]
	v_pk_fma_f32 v[36:37], v[38:39], v[36:37], v[78:79] neg_lo:[0,0,1] neg_hi:[0,0,1]
	v_mov_b32_e32 v37, v81
	s_delay_alu instid0(VALU_DEP_1)
	v_pk_add_f32 v[34:35], v[34:35], v[36:37]
.LBB70_404:                             ;   in Loop: Header=BB70_3 Depth=1
	s_or_b32 exec_lo, exec_lo, s7
	s_barrier_signal -1
	s_barrier_wait -1
	s_and_saveexec_b32 s7, s51
	s_cbranch_execz .LBB70_406
; %bb.405:                              ;   in Loop: Header=BB70_3 Depth=1
	ds_load_b64 v[36:37], v1 offset:11440
	s_wait_dscnt 0x0
	v_pk_mul_f32 v[38:39], v[34:35], v[36:37] op_sel:[1,1] op_sel_hi:[1,0]
	s_delay_alu instid0(VALU_DEP_1) | instskip(SKIP_1) | instid1(VALU_DEP_2)
	v_pk_fma_f32 v[78:79], v[34:35], v[36:37], v[38:39] op_sel_hi:[0,1,1]
	v_pk_fma_f32 v[36:37], v[34:35], v[36:37], v[38:39] neg_lo:[0,0,1] neg_hi:[0,0,1]
	v_mov_b32_e32 v37, v79
	s_delay_alu instid0(VALU_DEP_1)
	v_mov_b64_e32 v[34:35], v[36:37]
	ds_store_b64 v47, v[36:37]
.LBB70_406:                             ;   in Loop: Header=BB70_3 Depth=1
	s_or_b32 exec_lo, exec_lo, s7
	s_wait_dscnt 0x0
	s_barrier_signal -1
	s_barrier_wait -1
	s_and_saveexec_b32 s7, s52
	s_cbranch_execz .LBB70_408
; %bb.407:                              ;   in Loop: Header=BB70_3 Depth=1
	ds_load_b64 v[36:37], v1 offset:11448
	ds_load_b64 v[38:39], v47
	s_wait_dscnt 0x0
	v_pk_mul_f32 v[78:79], v[38:39], v[36:37] op_sel:[1,1] op_sel_hi:[0,1]
	s_delay_alu instid0(VALU_DEP_1) | instskip(SKIP_1) | instid1(VALU_DEP_2)
	v_pk_fma_f32 v[80:81], v[38:39], v[36:37], v[78:79] op_sel_hi:[1,0,1]
	v_pk_fma_f32 v[36:37], v[38:39], v[36:37], v[78:79] neg_lo:[0,0,1] neg_hi:[0,0,1]
	v_mov_b32_e32 v37, v81
	s_delay_alu instid0(VALU_DEP_1)
	v_pk_add_f32 v[34:35], v[34:35], v[36:37]
.LBB70_408:                             ;   in Loop: Header=BB70_3 Depth=1
	s_or_b32 exec_lo, exec_lo, s7
	s_barrier_signal -1
	s_barrier_wait -1
	s_and_saveexec_b32 s7, s52
	s_cbranch_execz .LBB70_410
; %bb.409:                              ;   in Loop: Header=BB70_3 Depth=1
	ds_load_b64 v[36:37], v1 offset:11960
	s_wait_dscnt 0x0
	v_pk_mul_f32 v[38:39], v[34:35], v[36:37] op_sel:[1,1] op_sel_hi:[1,0]
	s_delay_alu instid0(VALU_DEP_1) | instskip(SKIP_1) | instid1(VALU_DEP_2)
	v_pk_fma_f32 v[78:79], v[34:35], v[36:37], v[38:39] op_sel_hi:[0,1,1]
	v_pk_fma_f32 v[36:37], v[34:35], v[36:37], v[38:39] neg_lo:[0,0,1] neg_hi:[0,0,1]
	v_mov_b32_e32 v37, v79
	s_delay_alu instid0(VALU_DEP_1)
	v_mov_b64_e32 v[34:35], v[36:37]
	ds_store_b64 v47, v[36:37]
.LBB70_410:                             ;   in Loop: Header=BB70_3 Depth=1
	s_or_b32 exec_lo, exec_lo, s7
	s_wait_dscnt 0x0
	s_barrier_signal -1
	s_barrier_wait -1
	s_barrier_signal -1
	s_barrier_wait -1
	s_and_saveexec_b32 s7, s2
; %bb.411:                              ;   in Loop: Header=BB70_3 Depth=1
	v_pk_add_f32 v[34:35], v[34:35], 0 neg_lo:[1,1] neg_hi:[1,1]
	ds_store_b64 v48, v[34:35] offset:8352
; %bb.412:                              ;   in Loop: Header=BB70_3 Depth=1
	s_or_b32 exec_lo, exec_lo, s7
	s_wait_dscnt 0x0
	s_barrier_signal -1
	s_barrier_wait -1
	s_barrier_signal -1
	s_barrier_wait -1
	s_and_saveexec_b32 s98, s14
	s_cbranch_execz .LBB70_414
; %bb.413:                              ;   in Loop: Header=BB70_3 Depth=1
	ds_load_b128 v[34:37], v1 offset:10400
	ds_load_b64 v[38:39], v1 offset:10920
	s_wait_dscnt 0x1
	v_dual_mov_b32 v78, v37 :: v_dual_mov_b32 v79, v36
	s_wait_dscnt 0x0
	v_dual_mul_f32 v77, v39, v35 :: v_dual_mul_f32 v0, v38, v35
	s_delay_alu instid0(VALU_DEP_1) | instskip(NEXT) | instid1(VALU_DEP_2)
	v_xor_b32_e32 v80, 0x80000000, v77
	v_fmac_f32_e32 v0, v39, v34
	s_delay_alu instid0(VALU_DEP_2) | instskip(NEXT) | instid1(VALU_DEP_2)
	v_fmac_f32_e32 v80, v38, v34
	v_pk_mul_f32 v[34:35], v[0:1], v[78:79] op_sel_hi:[0,1]
	s_delay_alu instid0(VALU_DEP_1) | instskip(SKIP_1) | instid1(VALU_DEP_2)
	v_pk_fma_f32 v[38:39], v[80:81], v[36:37], v[34:35] op_sel_hi:[0,1,1]
	v_pk_fma_f32 v[34:35], v[80:81], v[36:37], v[34:35] neg_lo:[0,0,1] neg_hi:[0,0,1]
	v_mov_b32_e32 v35, v39
	ds_store_b64 v1, v[34:35] offset:10408
.LBB70_414:                             ;   in Loop: Header=BB70_3 Depth=1
	s_or_b32 exec_lo, exec_lo, s98
	v_mov_b32_e32 v35, 0
	s_wait_dscnt 0x0
	s_barrier_signal -1
	s_barrier_wait -1
	s_delay_alu instid0(VALU_DEP_1)
	v_mov_b32_e32 v34, v35
	s_and_saveexec_b32 s98, s1
	s_cbranch_execz .LBB70_418
; %bb.415:                              ;   in Loop: Header=BB70_3 Depth=1
	ds_load_b64 v[34:35], v42 offset:10416
	ds_load_b64 v[36:37], v43 offset:10400
	s_wait_dscnt 0x0
	v_dual_mul_f32 v0, v37, v35 :: v_dual_mul_f32 v39, v36, v35
	s_delay_alu instid0(VALU_DEP_1) | instskip(NEXT) | instid1(VALU_DEP_1)
	v_dual_fma_f32 v38, v36, v34, -v0 :: v_dual_fmac_f32 v39, v37, v34
	v_pk_add_f32 v[34:35], v[38:39], 0 op_sel_hi:[1,0]
	s_and_saveexec_b32 s7, s15
	s_cbranch_execz .LBB70_417
; %bb.416:                              ;   in Loop: Header=BB70_3 Depth=1
	ds_load_b64 v[36:37], v44 offset:10928
	ds_load_b64 v[38:39], v1 offset:10408
	s_wait_dscnt 0x0
	v_pk_mul_f32 v[78:79], v[38:39], v[36:37] op_sel:[1,1] op_sel_hi:[0,1]
	s_delay_alu instid0(VALU_DEP_1) | instskip(SKIP_1) | instid1(VALU_DEP_2)
	v_pk_fma_f32 v[80:81], v[38:39], v[36:37], v[78:79] op_sel_hi:[1,0,1]
	v_pk_fma_f32 v[36:37], v[38:39], v[36:37], v[78:79] neg_lo:[0,0,1] neg_hi:[0,0,1]
	v_mov_b32_e32 v37, v81
	s_delay_alu instid0(VALU_DEP_1)
	v_pk_add_f32 v[34:35], v[34:35], v[36:37]
.LBB70_417:                             ;   in Loop: Header=BB70_3 Depth=1
	s_or_b32 exec_lo, exec_lo, s7
	s_delay_alu instid0(VALU_DEP_1)
	v_pk_add_f32 v[34:35], v[34:35], 0 neg_lo:[1,1] neg_hi:[1,1]
.LBB70_418:                             ;   in Loop: Header=BB70_3 Depth=1
	s_or_b32 exec_lo, exec_lo, s98
	s_and_saveexec_b32 s7, s45
	s_cbranch_execz .LBB70_420
; %bb.419:                              ;   in Loop: Header=BB70_3 Depth=1
	ds_load_b64 v[36:37], v1 offset:11440
	s_wait_dscnt 0x0
	v_pk_mul_f32 v[38:39], v[34:35], v[36:37] op_sel:[1,1] op_sel_hi:[1,0]
	s_delay_alu instid0(VALU_DEP_1) | instskip(SKIP_1) | instid1(VALU_DEP_2)
	v_pk_fma_f32 v[78:79], v[34:35], v[36:37], v[38:39] op_sel_hi:[0,1,1]
	v_pk_fma_f32 v[36:37], v[34:35], v[36:37], v[38:39] neg_lo:[0,0,1] neg_hi:[0,0,1]
	v_mov_b32_e32 v37, v79
	s_delay_alu instid0(VALU_DEP_1)
	v_mov_b64_e32 v[34:35], v[36:37]
	ds_store_b64 v3, v[36:37]
.LBB70_420:                             ;   in Loop: Header=BB70_3 Depth=1
	s_or_b32 exec_lo, exec_lo, s7
	s_wait_dscnt 0x0
	s_barrier_signal -1
	s_barrier_wait -1
	s_and_saveexec_b32 s7, s46
	s_cbranch_execz .LBB70_422
; %bb.421:                              ;   in Loop: Header=BB70_3 Depth=1
	ds_load_b64 v[36:37], v1 offset:11448
	ds_load_b64 v[38:39], v3
	s_wait_dscnt 0x0
	v_pk_mul_f32 v[78:79], v[38:39], v[36:37] op_sel:[1,1] op_sel_hi:[0,1]
	s_delay_alu instid0(VALU_DEP_1) | instskip(SKIP_1) | instid1(VALU_DEP_2)
	v_pk_fma_f32 v[80:81], v[38:39], v[36:37], v[78:79] op_sel_hi:[1,0,1]
	v_pk_fma_f32 v[36:37], v[38:39], v[36:37], v[78:79] neg_lo:[0,0,1] neg_hi:[0,0,1]
	v_mov_b32_e32 v37, v81
	s_delay_alu instid0(VALU_DEP_1)
	v_pk_add_f32 v[34:35], v[34:35], v[36:37]
.LBB70_422:                             ;   in Loop: Header=BB70_3 Depth=1
	s_or_b32 exec_lo, exec_lo, s7
	s_barrier_signal -1
	s_barrier_wait -1
	s_and_saveexec_b32 s7, s46
	s_cbranch_execz .LBB70_424
; %bb.423:                              ;   in Loop: Header=BB70_3 Depth=1
	ds_load_b64 v[36:37], v1 offset:11960
	s_wait_dscnt 0x0
	v_pk_mul_f32 v[38:39], v[34:35], v[36:37] op_sel:[1,1] op_sel_hi:[1,0]
	s_delay_alu instid0(VALU_DEP_1) | instskip(SKIP_1) | instid1(VALU_DEP_2)
	v_pk_fma_f32 v[78:79], v[34:35], v[36:37], v[38:39] op_sel_hi:[0,1,1]
	v_pk_fma_f32 v[36:37], v[34:35], v[36:37], v[38:39] neg_lo:[0,0,1] neg_hi:[0,0,1]
	v_mov_b32_e32 v37, v79
	s_delay_alu instid0(VALU_DEP_1)
	v_mov_b64_e32 v[34:35], v[36:37]
	ds_store_b64 v3, v[36:37]
.LBB70_424:                             ;   in Loop: Header=BB70_3 Depth=1
	s_or_b32 exec_lo, exec_lo, s7
	s_wait_dscnt 0x0
	s_barrier_signal -1
	s_barrier_wait -1
	s_barrier_signal -1
	s_barrier_wait -1
	s_and_saveexec_b32 s7, s1
; %bb.425:                              ;   in Loop: Header=BB70_3 Depth=1
	v_pk_add_f32 v[34:35], v[34:35], 0 neg_lo:[1,1] neg_hi:[1,1]
	ds_store_b64 v42, v[34:35] offset:10416
; %bb.426:                              ;   in Loop: Header=BB70_3 Depth=1
	s_or_b32 exec_lo, exec_lo, s7
	s_wait_dscnt 0x0
	s_barrier_signal -1
	s_barrier_wait -1
	s_barrier_signal -1
	s_barrier_wait -1
	s_and_saveexec_b32 s98, s14
	s_cbranch_execz .LBB70_428
; %bb.427:                              ;   in Loop: Header=BB70_3 Depth=1
	ds_load_b128 v[34:37], v1 offset:11440
	ds_load_b64 v[38:39], v1 offset:11960
	s_wait_dscnt 0x1
	v_dual_mov_b32 v78, v37 :: v_dual_mov_b32 v79, v36
	s_wait_dscnt 0x0
	v_dual_mul_f32 v77, v39, v35 :: v_dual_mul_f32 v0, v38, v35
	s_delay_alu instid0(VALU_DEP_1) | instskip(NEXT) | instid1(VALU_DEP_2)
	v_xor_b32_e32 v80, 0x80000000, v77
	v_fmac_f32_e32 v0, v39, v34
	s_delay_alu instid0(VALU_DEP_2) | instskip(NEXT) | instid1(VALU_DEP_2)
	v_fmac_f32_e32 v80, v38, v34
	v_pk_mul_f32 v[34:35], v[0:1], v[78:79] op_sel_hi:[0,1]
	s_delay_alu instid0(VALU_DEP_1) | instskip(SKIP_1) | instid1(VALU_DEP_2)
	v_pk_fma_f32 v[38:39], v[80:81], v[36:37], v[34:35] op_sel_hi:[0,1,1]
	v_pk_fma_f32 v[34:35], v[80:81], v[36:37], v[34:35] neg_lo:[0,0,1] neg_hi:[0,0,1]
	v_mov_b32_e32 v35, v39
	ds_store_b64 v1, v[34:35] offset:11448
.LBB70_428:                             ;   in Loop: Header=BB70_3 Depth=1
	s_or_b32 exec_lo, exec_lo, s98
	v_mov_b32_e32 v34, 0
	s_wait_dscnt 0x0
	s_barrier_signal -1
	s_barrier_wait -1
	s_delay_alu instid0(VALU_DEP_1)
	v_mov_b32_e32 v35, v34
	s_and_saveexec_b32 s98, s3
	s_cbranch_execz .LBB70_438
; %bb.429:                              ;   in Loop: Header=BB70_3 Depth=1
	ds_load_b64 v[34:35], v53 offset:8384
	ds_load_b64 v[36:37], v50 offset:8320
	s_wait_dscnt 0x0
	v_dual_mul_f32 v0, v37, v35 :: v_dual_mul_f32 v38, v36, v35
	s_delay_alu instid0(VALU_DEP_1) | instskip(NEXT) | instid1(VALU_DEP_1)
	v_dual_fma_f32 v0, v36, v34, -v0 :: v_dual_fmac_f32 v38, v37, v34
	v_dual_add_f32 v35, 0, v0 :: v_dual_add_f32 v34, 0, v38
	s_and_saveexec_b32 s7, s18
	s_cbranch_execnz .LBB70_1064
; %bb.430:                              ;   in Loop: Header=BB70_3 Depth=1
	s_or_b32 exec_lo, exec_lo, s7
	s_and_saveexec_b32 s7, s19
	s_cbranch_execnz .LBB70_1065
.LBB70_431:                             ;   in Loop: Header=BB70_3 Depth=1
	s_or_b32 exec_lo, exec_lo, s7
	s_and_saveexec_b32 s7, s20
	s_cbranch_execnz .LBB70_1066
.LBB70_432:                             ;   in Loop: Header=BB70_3 Depth=1
	s_or_b32 exec_lo, exec_lo, s7
	s_and_saveexec_b32 s7, s21
	s_cbranch_execnz .LBB70_1067
.LBB70_433:                             ;   in Loop: Header=BB70_3 Depth=1
	s_or_b32 exec_lo, exec_lo, s7
	s_and_saveexec_b32 s7, s22
	s_cbranch_execnz .LBB70_1068
.LBB70_434:                             ;   in Loop: Header=BB70_3 Depth=1
	s_or_b32 exec_lo, exec_lo, s7
	s_and_saveexec_b32 s7, s2
	s_cbranch_execnz .LBB70_1069
.LBB70_435:                             ;   in Loop: Header=BB70_3 Depth=1
	s_or_b32 exec_lo, exec_lo, s7
	s_and_saveexec_b32 s7, s17
	s_cbranch_execz .LBB70_437
.LBB70_436:                             ;   in Loop: Header=BB70_3 Depth=1
	ds_load_b64 v[36:37], v44 offset:11968
	ds_load_b64 v[38:39], v1 offset:8376
	s_wait_dscnt 0x0
	v_pk_mul_f32 v[78:79], v[38:39], v[36:37] op_sel:[0,1]
	s_delay_alu instid0(VALU_DEP_1) | instskip(SKIP_1) | instid1(VALU_DEP_2)
	v_pk_fma_f32 v[80:81], v[38:39], v[36:37], v[78:79] op_sel:[1,0,0] op_sel_hi:[0,0,1] neg_lo:[0,0,1] neg_hi:[0,0,1]
	v_pk_fma_f32 v[36:37], v[38:39], v[36:37], v[78:79] op_sel:[1,0,0] op_sel_hi:[0,1,1]
	v_mov_b32_e32 v37, v81
	s_delay_alu instid0(VALU_DEP_1)
	v_pk_add_f32 v[34:35], v[34:35], v[36:37]
.LBB70_437:                             ;   in Loop: Header=BB70_3 Depth=1
	s_or_b32 exec_lo, exec_lo, s7
	s_delay_alu instid0(VALU_DEP_1) | instskip(NEXT) | instid1(VALU_DEP_1)
	v_pk_add_f32 v[36:37], v[34:35], 0 neg_lo:[1,1] neg_hi:[1,1]
	v_dual_mov_b32 v34, v37 :: v_dual_mov_b32 v35, v36
.LBB70_438:                             ;   in Loop: Header=BB70_3 Depth=1
	s_or_b32 exec_lo, exec_lo, s98
	s_and_saveexec_b32 s7, s53
	s_cbranch_execz .LBB70_440
; %bb.439:                              ;   in Loop: Header=BB70_3 Depth=1
	ds_load_b64 v[36:37], v1 offset:12480
	v_dual_mov_b32 v38, v35 :: v_dual_mov_b32 v39, v34
	s_wait_dscnt 0x0
	s_delay_alu instid0(VALU_DEP_1) | instskip(NEXT) | instid1(VALU_DEP_1)
	v_dual_mul_f32 v0, v38, v36 :: v_dual_mul_f32 v78, v35, v37
	v_pk_fma_f32 v[38:39], v[38:39], v[36:37], v[0:1] op_sel_hi:[1,1,0]
	s_delay_alu instid0(VALU_DEP_2) | instskip(NEXT) | instid1(VALU_DEP_2)
	v_pk_fma_f32 v[34:35], v[34:35], v[36:37], v[78:79] op_sel_hi:[1,1,0] neg_lo:[0,0,1] neg_hi:[0,0,1]
	v_mov_b32_e32 v35, v39
	ds_store_b64 v52, v[34:35]
.LBB70_440:                             ;   in Loop: Header=BB70_3 Depth=1
	s_or_b32 exec_lo, exec_lo, s7
	s_wait_dscnt 0x0
	s_barrier_signal -1
	s_barrier_wait -1
	s_and_saveexec_b32 s7, s54
	s_cbranch_execz .LBB70_442
; %bb.441:                              ;   in Loop: Header=BB70_3 Depth=1
	ds_load_b64 v[36:37], v51 offset:12480
	ds_load_b64 v[38:39], v52
	s_wait_dscnt 0x0
	v_dual_mul_f32 v0, v39, v37 :: v_dual_mul_f32 v79, v38, v37
	s_delay_alu instid0(VALU_DEP_1) | instskip(NEXT) | instid1(VALU_DEP_1)
	v_dual_fma_f32 v78, v38, v36, -v0 :: v_dual_fmac_f32 v79, v39, v36
	v_pk_add_f32 v[34:35], v[34:35], v[78:79]
.LBB70_442:                             ;   in Loop: Header=BB70_3 Depth=1
	s_or_b32 exec_lo, exec_lo, s7
	s_barrier_signal -1
	s_barrier_wait -1
	s_and_saveexec_b32 s7, s55
	s_cbranch_execz .LBB70_444
; %bb.443:                              ;   in Loop: Header=BB70_3 Depth=1
	ds_load_b64 v[36:37], v1 offset:13000
	s_wait_dscnt 0x0
	v_pk_mul_f32 v[38:39], v[34:35], v[36:37] op_sel:[1,1] op_sel_hi:[1,0]
	s_delay_alu instid0(VALU_DEP_1) | instskip(SKIP_1) | instid1(VALU_DEP_2)
	v_pk_fma_f32 v[78:79], v[34:35], v[36:37], v[38:39] op_sel_hi:[0,1,1]
	v_pk_fma_f32 v[34:35], v[34:35], v[36:37], v[38:39] op_sel_hi:[0,1,1] neg_lo:[0,0,1] neg_hi:[0,0,1]
	v_mov_b32_e32 v35, v79
	ds_store_b64 v52, v[34:35]
.LBB70_444:                             ;   in Loop: Header=BB70_3 Depth=1
	s_or_b32 exec_lo, exec_lo, s7
	s_wait_dscnt 0x0
	s_barrier_signal -1
	s_barrier_wait -1
	s_and_saveexec_b32 s7, s56
	s_cbranch_execz .LBB70_446
; %bb.445:                              ;   in Loop: Header=BB70_3 Depth=1
	ds_load_b64 v[36:37], v51 offset:12992
	ds_load_b64 v[38:39], v52
	s_wait_dscnt 0x0
	v_pk_mul_f32 v[78:79], v[38:39], v[36:37] op_sel:[1,1] op_sel_hi:[0,1]
	s_delay_alu instid0(VALU_DEP_1) | instskip(SKIP_1) | instid1(VALU_DEP_2)
	v_pk_fma_f32 v[80:81], v[38:39], v[36:37], v[78:79] op_sel_hi:[1,0,1]
	v_pk_fma_f32 v[36:37], v[38:39], v[36:37], v[78:79] op_sel_hi:[1,0,1] neg_lo:[0,0,1] neg_hi:[0,0,1]
	v_mov_b32_e32 v37, v81
	s_delay_alu instid0(VALU_DEP_1)
	v_pk_add_f32 v[34:35], v[34:35], v[36:37]
.LBB70_446:                             ;   in Loop: Header=BB70_3 Depth=1
	s_or_b32 exec_lo, exec_lo, s7
	s_barrier_signal -1
	s_barrier_wait -1
	s_and_saveexec_b32 s7, s57
	s_cbranch_execz .LBB70_448
; %bb.447:                              ;   in Loop: Header=BB70_3 Depth=1
	ds_load_b64 v[36:37], v1 offset:13520
	s_wait_dscnt 0x0
	v_pk_mul_f32 v[38:39], v[34:35], v[36:37] op_sel:[1,1] op_sel_hi:[1,0]
	s_delay_alu instid0(VALU_DEP_1) | instskip(SKIP_1) | instid1(VALU_DEP_2)
	v_pk_fma_f32 v[78:79], v[34:35], v[36:37], v[38:39] op_sel_hi:[0,1,1]
	v_pk_fma_f32 v[34:35], v[34:35], v[36:37], v[38:39] op_sel_hi:[0,1,1] neg_lo:[0,0,1] neg_hi:[0,0,1]
	v_mov_b32_e32 v35, v79
	ds_store_b64 v52, v[34:35]
.LBB70_448:                             ;   in Loop: Header=BB70_3 Depth=1
	s_or_b32 exec_lo, exec_lo, s7
	s_wait_dscnt 0x0
	s_barrier_signal -1
	s_barrier_wait -1
	s_and_saveexec_b32 s7, s58
	s_cbranch_execz .LBB70_450
; %bb.449:                              ;   in Loop: Header=BB70_3 Depth=1
	ds_load_b64 v[36:37], v51 offset:13504
	ds_load_b64 v[38:39], v52
	s_wait_dscnt 0x0
	v_pk_mul_f32 v[78:79], v[38:39], v[36:37] op_sel:[1,1] op_sel_hi:[0,1]
	s_delay_alu instid0(VALU_DEP_1) | instskip(SKIP_1) | instid1(VALU_DEP_2)
	v_pk_fma_f32 v[80:81], v[38:39], v[36:37], v[78:79] op_sel_hi:[1,0,1]
	v_pk_fma_f32 v[36:37], v[38:39], v[36:37], v[78:79] op_sel_hi:[1,0,1] neg_lo:[0,0,1] neg_hi:[0,0,1]
	v_mov_b32_e32 v37, v81
	s_delay_alu instid0(VALU_DEP_1)
	v_pk_add_f32 v[34:35], v[34:35], v[36:37]
.LBB70_450:                             ;   in Loop: Header=BB70_3 Depth=1
	;; [unrolled: 33-line block ×3, first 2 shown]
	s_or_b32 exec_lo, exec_lo, s7
	s_barrier_signal -1
	s_barrier_wait -1
	s_and_saveexec_b32 s7, s61
	s_cbranch_execz .LBB70_456
; %bb.455:                              ;   in Loop: Header=BB70_3 Depth=1
	ds_load_b64 v[36:37], v1 offset:14560
	s_wait_dscnt 0x0
	v_dual_mul_f32 v0, v34, v37 :: v_dual_mul_f32 v38, v35, v37
	s_delay_alu instid0(VALU_DEP_1) | instskip(NEXT) | instid1(VALU_DEP_2)
	v_pk_fma_f32 v[78:79], v[34:35], v[36:37], v[0:1] op_sel:[0,1,0] op_sel_hi:[1,0,0]
	v_pk_fma_f32 v[36:37], v[34:35], v[36:37], v[38:39] op_sel_hi:[1,1,0] neg_lo:[0,0,1] neg_hi:[0,0,1]
	s_delay_alu instid0(VALU_DEP_2) | instskip(NEXT) | instid1(VALU_DEP_1)
	v_mov_b32_e32 v37, v79
	v_mov_b64_e32 v[34:35], v[36:37]
	ds_store_b64 v52, v[36:37]
.LBB70_456:                             ;   in Loop: Header=BB70_3 Depth=1
	s_or_b32 exec_lo, exec_lo, s7
	s_wait_dscnt 0x0
	s_barrier_signal -1
	s_barrier_wait -1
	s_and_saveexec_b32 s7, s62
	s_cbranch_execz .LBB70_458
; %bb.457:                              ;   in Loop: Header=BB70_3 Depth=1
	ds_load_b64 v[36:37], v51 offset:14528
	ds_load_b64 v[38:39], v52
	s_wait_dscnt 0x0
	v_dual_mul_f32 v0, v39, v37 :: v_dual_mul_f32 v79, v38, v37
	s_delay_alu instid0(VALU_DEP_1) | instskip(NEXT) | instid1(VALU_DEP_1)
	v_dual_fma_f32 v78, v38, v36, -v0 :: v_dual_fmac_f32 v79, v39, v36
	v_pk_add_f32 v[34:35], v[34:35], v[78:79]
.LBB70_458:                             ;   in Loop: Header=BB70_3 Depth=1
	s_or_b32 exec_lo, exec_lo, s7
	s_barrier_signal -1
	s_barrier_wait -1
	s_and_saveexec_b32 s7, s63
	s_cbranch_execz .LBB70_460
; %bb.459:                              ;   in Loop: Header=BB70_3 Depth=1
	ds_load_b64 v[36:37], v1 offset:15080
	s_wait_dscnt 0x0
	v_pk_mul_f32 v[38:39], v[34:35], v[36:37] op_sel:[1,1] op_sel_hi:[1,0]
	s_delay_alu instid0(VALU_DEP_1) | instskip(SKIP_1) | instid1(VALU_DEP_2)
	v_pk_fma_f32 v[78:79], v[34:35], v[36:37], v[38:39] op_sel_hi:[0,1,1]
	v_pk_fma_f32 v[36:37], v[34:35], v[36:37], v[38:39] neg_lo:[0,0,1] neg_hi:[0,0,1]
	v_mov_b32_e32 v37, v79
	s_delay_alu instid0(VALU_DEP_1)
	v_mov_b64_e32 v[34:35], v[36:37]
	ds_store_b64 v52, v[36:37]
.LBB70_460:                             ;   in Loop: Header=BB70_3 Depth=1
	s_or_b32 exec_lo, exec_lo, s7
	s_wait_dscnt 0x0
	s_barrier_signal -1
	s_barrier_wait -1
	s_and_saveexec_b32 s7, s64
	s_cbranch_execz .LBB70_462
; %bb.461:                              ;   in Loop: Header=BB70_3 Depth=1
	ds_load_b64 v[36:37], v51 offset:15040
	ds_load_b64 v[38:39], v52
	s_wait_dscnt 0x0
	v_pk_mul_f32 v[78:79], v[38:39], v[36:37] op_sel:[1,1] op_sel_hi:[0,1]
	s_delay_alu instid0(VALU_DEP_1) | instskip(SKIP_1) | instid1(VALU_DEP_2)
	v_pk_fma_f32 v[80:81], v[38:39], v[36:37], v[78:79] op_sel_hi:[1,0,1]
	v_pk_fma_f32 v[36:37], v[38:39], v[36:37], v[78:79] neg_lo:[0,0,1] neg_hi:[0,0,1]
	v_mov_b32_e32 v37, v81
	s_delay_alu instid0(VALU_DEP_1)
	v_pk_add_f32 v[34:35], v[34:35], v[36:37]
.LBB70_462:                             ;   in Loop: Header=BB70_3 Depth=1
	s_or_b32 exec_lo, exec_lo, s7
	s_barrier_signal -1
	s_barrier_wait -1
	s_and_saveexec_b32 s7, s65
	s_cbranch_execz .LBB70_464
; %bb.463:                              ;   in Loop: Header=BB70_3 Depth=1
	ds_load_b64 v[36:37], v1 offset:15600
	s_wait_dscnt 0x0
	v_pk_mul_f32 v[38:39], v[34:35], v[36:37] op_sel:[1,1] op_sel_hi:[1,0]
	s_delay_alu instid0(VALU_DEP_1) | instskip(SKIP_1) | instid1(VALU_DEP_2)
	v_pk_fma_f32 v[78:79], v[34:35], v[36:37], v[38:39] op_sel_hi:[0,1,1]
	v_pk_fma_f32 v[36:37], v[34:35], v[36:37], v[38:39] neg_lo:[0,0,1] neg_hi:[0,0,1]
	v_mov_b32_e32 v37, v79
	s_delay_alu instid0(VALU_DEP_1)
	v_mov_b64_e32 v[34:35], v[36:37]
	ds_store_b64 v52, v[36:37]
.LBB70_464:                             ;   in Loop: Header=BB70_3 Depth=1
	s_or_b32 exec_lo, exec_lo, s7
	s_wait_dscnt 0x0
	s_barrier_signal -1
	s_barrier_wait -1
	s_and_saveexec_b32 s7, s66
	s_cbranch_execz .LBB70_466
; %bb.465:                              ;   in Loop: Header=BB70_3 Depth=1
	ds_load_b64 v[36:37], v1 offset:15608
	ds_load_b64 v[38:39], v52
	s_wait_dscnt 0x0
	v_pk_mul_f32 v[78:79], v[38:39], v[36:37] op_sel:[1,1] op_sel_hi:[0,1]
	s_delay_alu instid0(VALU_DEP_1) | instskip(SKIP_1) | instid1(VALU_DEP_2)
	v_pk_fma_f32 v[80:81], v[38:39], v[36:37], v[78:79] op_sel_hi:[1,0,1]
	v_pk_fma_f32 v[36:37], v[38:39], v[36:37], v[78:79] neg_lo:[0,0,1] neg_hi:[0,0,1]
	v_mov_b32_e32 v37, v81
	s_delay_alu instid0(VALU_DEP_1)
	v_pk_add_f32 v[34:35], v[34:35], v[36:37]
.LBB70_466:                             ;   in Loop: Header=BB70_3 Depth=1
	s_or_b32 exec_lo, exec_lo, s7
	s_barrier_signal -1
	s_barrier_wait -1
	s_and_saveexec_b32 s7, s66
	s_cbranch_execz .LBB70_468
; %bb.467:                              ;   in Loop: Header=BB70_3 Depth=1
	ds_load_b64 v[36:37], v1 offset:16120
	s_wait_dscnt 0x0
	v_pk_mul_f32 v[38:39], v[34:35], v[36:37] op_sel:[1,1] op_sel_hi:[1,0]
	s_delay_alu instid0(VALU_DEP_1) | instskip(SKIP_1) | instid1(VALU_DEP_2)
	v_pk_fma_f32 v[78:79], v[34:35], v[36:37], v[38:39] op_sel_hi:[0,1,1]
	v_pk_fma_f32 v[36:37], v[34:35], v[36:37], v[38:39] neg_lo:[0,0,1] neg_hi:[0,0,1]
	v_mov_b32_e32 v37, v79
	s_delay_alu instid0(VALU_DEP_1)
	v_mov_b64_e32 v[34:35], v[36:37]
	ds_store_b64 v52, v[36:37]
.LBB70_468:                             ;   in Loop: Header=BB70_3 Depth=1
	s_or_b32 exec_lo, exec_lo, s7
	s_wait_dscnt 0x0
	s_barrier_signal -1
	s_barrier_wait -1
	s_barrier_signal -1
	s_barrier_wait -1
	s_and_saveexec_b32 s7, s3
; %bb.469:                              ;   in Loop: Header=BB70_3 Depth=1
	v_pk_add_f32 v[34:35], v[34:35], 0 neg_lo:[1,1] neg_hi:[1,1]
	ds_store_b64 v53, v[34:35] offset:8384
; %bb.470:                              ;   in Loop: Header=BB70_3 Depth=1
	s_or_b32 exec_lo, exec_lo, s7
	s_wait_dscnt 0x0
	s_barrier_signal -1
	s_barrier_wait -1
	s_barrier_signal -1
	s_barrier_wait -1
	s_and_saveexec_b32 s98, s14
	s_cbranch_execz .LBB70_472
; %bb.471:                              ;   in Loop: Header=BB70_3 Depth=1
	ds_load_b128 v[34:37], v1 offset:12480
	ds_load_b64 v[38:39], v1 offset:13000
	s_wait_dscnt 0x1
	v_dual_mov_b32 v78, v37 :: v_dual_mov_b32 v79, v36
	s_wait_dscnt 0x0
	v_dual_mul_f32 v77, v39, v35 :: v_dual_mul_f32 v0, v38, v35
	s_delay_alu instid0(VALU_DEP_1) | instskip(NEXT) | instid1(VALU_DEP_2)
	v_xor_b32_e32 v80, 0x80000000, v77
	v_fmac_f32_e32 v0, v39, v34
	s_delay_alu instid0(VALU_DEP_2) | instskip(NEXT) | instid1(VALU_DEP_2)
	v_fmac_f32_e32 v80, v38, v34
	v_pk_mul_f32 v[34:35], v[0:1], v[78:79] op_sel_hi:[0,1]
	s_delay_alu instid0(VALU_DEP_1) | instskip(SKIP_1) | instid1(VALU_DEP_2)
	v_pk_fma_f32 v[38:39], v[80:81], v[36:37], v[34:35] op_sel_hi:[0,1,1]
	v_pk_fma_f32 v[34:35], v[80:81], v[36:37], v[34:35] neg_lo:[0,0,1] neg_hi:[0,0,1]
	v_mov_b32_e32 v35, v39
	ds_store_b64 v1, v[34:35] offset:12488
.LBB70_472:                             ;   in Loop: Header=BB70_3 Depth=1
	s_or_b32 exec_lo, exec_lo, s98
	v_mov_b32_e32 v35, 0
	s_wait_dscnt 0x0
	s_barrier_signal -1
	s_barrier_wait -1
	s_delay_alu instid0(VALU_DEP_1)
	v_mov_b32_e32 v34, v35
	s_and_saveexec_b32 s98, s1
	s_cbranch_execz .LBB70_476
; %bb.473:                              ;   in Loop: Header=BB70_3 Depth=1
	ds_load_b64 v[34:35], v42 offset:12496
	ds_load_b64 v[36:37], v43 offset:12480
	s_wait_dscnt 0x0
	v_dual_mul_f32 v0, v37, v35 :: v_dual_mul_f32 v39, v36, v35
	s_delay_alu instid0(VALU_DEP_1) | instskip(NEXT) | instid1(VALU_DEP_1)
	v_dual_fma_f32 v38, v36, v34, -v0 :: v_dual_fmac_f32 v39, v37, v34
	v_pk_add_f32 v[34:35], v[38:39], 0 op_sel_hi:[1,0]
	s_and_saveexec_b32 s7, s15
	s_cbranch_execz .LBB70_475
; %bb.474:                              ;   in Loop: Header=BB70_3 Depth=1
	ds_load_b64 v[36:37], v44 offset:13008
	ds_load_b64 v[38:39], v1 offset:12488
	s_wait_dscnt 0x0
	v_pk_mul_f32 v[78:79], v[38:39], v[36:37] op_sel:[1,1] op_sel_hi:[0,1]
	s_delay_alu instid0(VALU_DEP_1) | instskip(SKIP_1) | instid1(VALU_DEP_2)
	v_pk_fma_f32 v[80:81], v[38:39], v[36:37], v[78:79] op_sel_hi:[1,0,1]
	v_pk_fma_f32 v[36:37], v[38:39], v[36:37], v[78:79] neg_lo:[0,0,1] neg_hi:[0,0,1]
	v_mov_b32_e32 v37, v81
	s_delay_alu instid0(VALU_DEP_1)
	v_pk_add_f32 v[34:35], v[34:35], v[36:37]
.LBB70_475:                             ;   in Loop: Header=BB70_3 Depth=1
	s_or_b32 exec_lo, exec_lo, s7
	s_delay_alu instid0(VALU_DEP_1)
	v_pk_add_f32 v[34:35], v[34:35], 0 neg_lo:[1,1] neg_hi:[1,1]
.LBB70_476:                             ;   in Loop: Header=BB70_3 Depth=1
	s_or_b32 exec_lo, exec_lo, s98
	s_and_saveexec_b32 s7, s45
	s_cbranch_execz .LBB70_478
; %bb.477:                              ;   in Loop: Header=BB70_3 Depth=1
	ds_load_b64 v[36:37], v1 offset:13520
	s_wait_dscnt 0x0
	v_pk_mul_f32 v[38:39], v[34:35], v[36:37] op_sel:[1,1] op_sel_hi:[1,0]
	s_delay_alu instid0(VALU_DEP_1) | instskip(SKIP_1) | instid1(VALU_DEP_2)
	v_pk_fma_f32 v[78:79], v[34:35], v[36:37], v[38:39] op_sel_hi:[0,1,1]
	v_pk_fma_f32 v[36:37], v[34:35], v[36:37], v[38:39] neg_lo:[0,0,1] neg_hi:[0,0,1]
	v_mov_b32_e32 v37, v79
	s_delay_alu instid0(VALU_DEP_1)
	v_mov_b64_e32 v[34:35], v[36:37]
	ds_store_b64 v3, v[36:37]
.LBB70_478:                             ;   in Loop: Header=BB70_3 Depth=1
	s_or_b32 exec_lo, exec_lo, s7
	s_wait_dscnt 0x0
	s_barrier_signal -1
	s_barrier_wait -1
	s_and_saveexec_b32 s7, s46
	s_cbranch_execz .LBB70_480
; %bb.479:                              ;   in Loop: Header=BB70_3 Depth=1
	ds_load_b64 v[36:37], v1 offset:13528
	ds_load_b64 v[38:39], v3
	s_wait_dscnt 0x0
	v_pk_mul_f32 v[78:79], v[38:39], v[36:37] op_sel:[1,1] op_sel_hi:[0,1]
	s_delay_alu instid0(VALU_DEP_1) | instskip(SKIP_1) | instid1(VALU_DEP_2)
	v_pk_fma_f32 v[80:81], v[38:39], v[36:37], v[78:79] op_sel_hi:[1,0,1]
	v_pk_fma_f32 v[36:37], v[38:39], v[36:37], v[78:79] neg_lo:[0,0,1] neg_hi:[0,0,1]
	v_mov_b32_e32 v37, v81
	s_delay_alu instid0(VALU_DEP_1)
	v_pk_add_f32 v[34:35], v[34:35], v[36:37]
.LBB70_480:                             ;   in Loop: Header=BB70_3 Depth=1
	s_or_b32 exec_lo, exec_lo, s7
	s_barrier_signal -1
	s_barrier_wait -1
	s_and_saveexec_b32 s7, s46
	s_cbranch_execz .LBB70_482
; %bb.481:                              ;   in Loop: Header=BB70_3 Depth=1
	ds_load_b64 v[36:37], v1 offset:14040
	s_wait_dscnt 0x0
	v_pk_mul_f32 v[38:39], v[34:35], v[36:37] op_sel:[1,1] op_sel_hi:[1,0]
	s_delay_alu instid0(VALU_DEP_1) | instskip(SKIP_1) | instid1(VALU_DEP_2)
	v_pk_fma_f32 v[78:79], v[34:35], v[36:37], v[38:39] op_sel_hi:[0,1,1]
	v_pk_fma_f32 v[36:37], v[34:35], v[36:37], v[38:39] neg_lo:[0,0,1] neg_hi:[0,0,1]
	v_mov_b32_e32 v37, v79
	s_delay_alu instid0(VALU_DEP_1)
	v_mov_b64_e32 v[34:35], v[36:37]
	ds_store_b64 v3, v[36:37]
.LBB70_482:                             ;   in Loop: Header=BB70_3 Depth=1
	s_or_b32 exec_lo, exec_lo, s7
	s_wait_dscnt 0x0
	s_barrier_signal -1
	s_barrier_wait -1
	s_barrier_signal -1
	s_barrier_wait -1
	s_and_saveexec_b32 s7, s1
; %bb.483:                              ;   in Loop: Header=BB70_3 Depth=1
	v_pk_add_f32 v[34:35], v[34:35], 0 neg_lo:[1,1] neg_hi:[1,1]
	ds_store_b64 v42, v[34:35] offset:12496
; %bb.484:                              ;   in Loop: Header=BB70_3 Depth=1
	s_or_b32 exec_lo, exec_lo, s7
	s_wait_dscnt 0x0
	s_barrier_signal -1
	s_barrier_wait -1
	s_barrier_signal -1
	s_barrier_wait -1
	s_and_saveexec_b32 s98, s14
	s_cbranch_execz .LBB70_486
; %bb.485:                              ;   in Loop: Header=BB70_3 Depth=1
	ds_load_b128 v[34:37], v1 offset:13520
	ds_load_b64 v[38:39], v1 offset:14040
	s_wait_dscnt 0x1
	v_dual_mov_b32 v78, v37 :: v_dual_mov_b32 v79, v36
	s_wait_dscnt 0x0
	v_dual_mul_f32 v77, v39, v35 :: v_dual_mul_f32 v0, v38, v35
	s_delay_alu instid0(VALU_DEP_1) | instskip(NEXT) | instid1(VALU_DEP_2)
	v_xor_b32_e32 v80, 0x80000000, v77
	v_fmac_f32_e32 v0, v39, v34
	s_delay_alu instid0(VALU_DEP_2) | instskip(NEXT) | instid1(VALU_DEP_2)
	v_fmac_f32_e32 v80, v38, v34
	v_pk_mul_f32 v[34:35], v[0:1], v[78:79] op_sel_hi:[0,1]
	s_delay_alu instid0(VALU_DEP_1) | instskip(SKIP_1) | instid1(VALU_DEP_2)
	v_pk_fma_f32 v[38:39], v[80:81], v[36:37], v[34:35] op_sel_hi:[0,1,1]
	v_pk_fma_f32 v[34:35], v[80:81], v[36:37], v[34:35] neg_lo:[0,0,1] neg_hi:[0,0,1]
	v_mov_b32_e32 v35, v39
	ds_store_b64 v1, v[34:35] offset:13528
.LBB70_486:                             ;   in Loop: Header=BB70_3 Depth=1
	s_or_b32 exec_lo, exec_lo, s98
	v_mov_b32_e32 v34, 0
	s_wait_dscnt 0x0
	s_barrier_signal -1
	s_barrier_wait -1
	s_delay_alu instid0(VALU_DEP_1)
	v_mov_b32_e32 v35, v34
	s_and_saveexec_b32 s98, s2
	s_cbranch_execz .LBB70_492
; %bb.487:                              ;   in Loop: Header=BB70_3 Depth=1
	ds_load_b64 v[34:35], v48 offset:12512
	ds_load_b64 v[36:37], v46 offset:12480
	s_wait_dscnt 0x0
	v_pk_mul_f32 v[38:39], v[36:37], v[34:35] op_sel:[0,1]
	s_delay_alu instid0(VALU_DEP_1) | instskip(SKIP_1) | instid1(VALU_DEP_2)
	v_pk_fma_f32 v[78:79], v[36:37], v[34:35], v[38:39] op_sel:[1,0,0] op_sel_hi:[0,0,1] neg_lo:[0,0,1] neg_hi:[0,0,1]
	v_pk_fma_f32 v[34:35], v[36:37], v[34:35], v[38:39] op_sel:[1,0,0] op_sel_hi:[0,1,1]
	v_mov_b32_e32 v35, v79
	s_delay_alu instid0(VALU_DEP_1)
	v_pk_add_f32 v[34:35], v[34:35], 0 op_sel_hi:[1,0]
	s_and_saveexec_b32 s7, s16
	s_cbranch_execnz .LBB70_1070
; %bb.488:                              ;   in Loop: Header=BB70_3 Depth=1
	s_or_b32 exec_lo, exec_lo, s7
	s_and_saveexec_b32 s7, s17
	s_cbranch_execnz .LBB70_1071
.LBB70_489:                             ;   in Loop: Header=BB70_3 Depth=1
	s_or_b32 exec_lo, exec_lo, s7
	s_and_saveexec_b32 s7, s1
	s_cbranch_execz .LBB70_491
.LBB70_490:                             ;   in Loop: Header=BB70_3 Depth=1
	ds_load_b64 v[36:37], v44 offset:14048
	ds_load_b64 v[38:39], v1 offset:12504
	s_wait_dscnt 0x0
	v_pk_mul_f32 v[78:79], v[38:39], v[36:37] op_sel:[0,1]
	s_delay_alu instid0(VALU_DEP_1) | instskip(SKIP_1) | instid1(VALU_DEP_2)
	v_pk_fma_f32 v[80:81], v[38:39], v[36:37], v[78:79] op_sel:[1,0,0] op_sel_hi:[0,0,1] neg_lo:[0,0,1] neg_hi:[0,0,1]
	v_pk_fma_f32 v[36:37], v[38:39], v[36:37], v[78:79] op_sel:[1,0,0] op_sel_hi:[0,1,1]
	v_mov_b32_e32 v37, v81
	s_delay_alu instid0(VALU_DEP_1)
	v_pk_add_f32 v[34:35], v[34:35], v[36:37]
.LBB70_491:                             ;   in Loop: Header=BB70_3 Depth=1
	s_or_b32 exec_lo, exec_lo, s7
	s_delay_alu instid0(VALU_DEP_1) | instskip(NEXT) | instid1(VALU_DEP_1)
	v_pk_add_f32 v[36:37], v[34:35], 0 neg_lo:[1,1] neg_hi:[1,1]
	v_dual_mov_b32 v34, v37 :: v_dual_mov_b32 v35, v36
.LBB70_492:                             ;   in Loop: Header=BB70_3 Depth=1
	s_or_b32 exec_lo, exec_lo, s98
	s_and_saveexec_b32 s7, s47
	s_cbranch_execz .LBB70_494
; %bb.493:                              ;   in Loop: Header=BB70_3 Depth=1
	ds_load_b64 v[36:37], v1 offset:14560
	v_dual_mov_b32 v38, v35 :: v_dual_mov_b32 v39, v34
	s_wait_dscnt 0x0
	s_delay_alu instid0(VALU_DEP_1) | instskip(NEXT) | instid1(VALU_DEP_1)
	v_dual_mul_f32 v0, v38, v36 :: v_dual_mul_f32 v78, v35, v37
	v_pk_fma_f32 v[38:39], v[38:39], v[36:37], v[0:1] op_sel_hi:[1,1,0]
	s_delay_alu instid0(VALU_DEP_2) | instskip(NEXT) | instid1(VALU_DEP_2)
	v_pk_fma_f32 v[34:35], v[34:35], v[36:37], v[78:79] op_sel_hi:[1,1,0] neg_lo:[0,0,1] neg_hi:[0,0,1]
	v_mov_b32_e32 v35, v39
	ds_store_b64 v47, v[34:35]
.LBB70_494:                             ;   in Loop: Header=BB70_3 Depth=1
	s_or_b32 exec_lo, exec_lo, s7
	s_wait_dscnt 0x0
	s_barrier_signal -1
	s_barrier_wait -1
	s_and_saveexec_b32 s7, s48
	s_cbranch_execz .LBB70_496
; %bb.495:                              ;   in Loop: Header=BB70_3 Depth=1
	ds_load_b64 v[36:37], v45 offset:14560
	ds_load_b64 v[38:39], v47
	s_wait_dscnt 0x0
	v_dual_mul_f32 v0, v39, v37 :: v_dual_mul_f32 v79, v38, v37
	s_delay_alu instid0(VALU_DEP_1) | instskip(NEXT) | instid1(VALU_DEP_1)
	v_dual_fma_f32 v78, v38, v36, -v0 :: v_dual_fmac_f32 v79, v39, v36
	v_pk_add_f32 v[34:35], v[34:35], v[78:79]
.LBB70_496:                             ;   in Loop: Header=BB70_3 Depth=1
	s_or_b32 exec_lo, exec_lo, s7
	s_barrier_signal -1
	s_barrier_wait -1
	s_and_saveexec_b32 s7, s49
	s_cbranch_execz .LBB70_498
; %bb.497:                              ;   in Loop: Header=BB70_3 Depth=1
	ds_load_b64 v[36:37], v1 offset:15080
	s_wait_dscnt 0x0
	v_pk_mul_f32 v[38:39], v[34:35], v[36:37] op_sel:[1,1] op_sel_hi:[1,0]
	s_delay_alu instid0(VALU_DEP_1) | instskip(SKIP_1) | instid1(VALU_DEP_2)
	v_pk_fma_f32 v[78:79], v[34:35], v[36:37], v[38:39] op_sel_hi:[0,1,1]
	v_pk_fma_f32 v[36:37], v[34:35], v[36:37], v[38:39] neg_lo:[0,0,1] neg_hi:[0,0,1]
	v_mov_b32_e32 v37, v79
	s_delay_alu instid0(VALU_DEP_1)
	v_mov_b64_e32 v[34:35], v[36:37]
	ds_store_b64 v47, v[36:37]
.LBB70_498:                             ;   in Loop: Header=BB70_3 Depth=1
	s_or_b32 exec_lo, exec_lo, s7
	s_wait_dscnt 0x0
	s_barrier_signal -1
	s_barrier_wait -1
	s_and_saveexec_b32 s7, s50
	s_cbranch_execz .LBB70_500
; %bb.499:                              ;   in Loop: Header=BB70_3 Depth=1
	ds_load_b64 v[36:37], v45 offset:15072
	ds_load_b64 v[38:39], v47
	s_wait_dscnt 0x0
	v_pk_mul_f32 v[78:79], v[38:39], v[36:37] op_sel:[1,1] op_sel_hi:[0,1]
	s_delay_alu instid0(VALU_DEP_1) | instskip(SKIP_1) | instid1(VALU_DEP_2)
	v_pk_fma_f32 v[80:81], v[38:39], v[36:37], v[78:79] op_sel_hi:[1,0,1]
	v_pk_fma_f32 v[36:37], v[38:39], v[36:37], v[78:79] neg_lo:[0,0,1] neg_hi:[0,0,1]
	v_mov_b32_e32 v37, v81
	s_delay_alu instid0(VALU_DEP_1)
	v_pk_add_f32 v[34:35], v[34:35], v[36:37]
.LBB70_500:                             ;   in Loop: Header=BB70_3 Depth=1
	s_or_b32 exec_lo, exec_lo, s7
	s_barrier_signal -1
	s_barrier_wait -1
	s_and_saveexec_b32 s7, s51
	s_cbranch_execz .LBB70_502
; %bb.501:                              ;   in Loop: Header=BB70_3 Depth=1
	ds_load_b64 v[36:37], v1 offset:15600
	s_wait_dscnt 0x0
	v_pk_mul_f32 v[38:39], v[34:35], v[36:37] op_sel:[1,1] op_sel_hi:[1,0]
	s_delay_alu instid0(VALU_DEP_1) | instskip(SKIP_1) | instid1(VALU_DEP_2)
	v_pk_fma_f32 v[78:79], v[34:35], v[36:37], v[38:39] op_sel_hi:[0,1,1]
	v_pk_fma_f32 v[36:37], v[34:35], v[36:37], v[38:39] neg_lo:[0,0,1] neg_hi:[0,0,1]
	v_mov_b32_e32 v37, v79
	s_delay_alu instid0(VALU_DEP_1)
	v_mov_b64_e32 v[34:35], v[36:37]
	ds_store_b64 v47, v[36:37]
.LBB70_502:                             ;   in Loop: Header=BB70_3 Depth=1
	s_or_b32 exec_lo, exec_lo, s7
	s_wait_dscnt 0x0
	s_barrier_signal -1
	s_barrier_wait -1
	s_and_saveexec_b32 s7, s52
	s_cbranch_execz .LBB70_504
; %bb.503:                              ;   in Loop: Header=BB70_3 Depth=1
	ds_load_b64 v[36:37], v1 offset:15608
	ds_load_b64 v[38:39], v47
	s_wait_dscnt 0x0
	v_pk_mul_f32 v[78:79], v[38:39], v[36:37] op_sel:[1,1] op_sel_hi:[0,1]
	s_delay_alu instid0(VALU_DEP_1) | instskip(SKIP_1) | instid1(VALU_DEP_2)
	v_pk_fma_f32 v[80:81], v[38:39], v[36:37], v[78:79] op_sel_hi:[1,0,1]
	v_pk_fma_f32 v[36:37], v[38:39], v[36:37], v[78:79] neg_lo:[0,0,1] neg_hi:[0,0,1]
	v_mov_b32_e32 v37, v81
	s_delay_alu instid0(VALU_DEP_1)
	v_pk_add_f32 v[34:35], v[34:35], v[36:37]
.LBB70_504:                             ;   in Loop: Header=BB70_3 Depth=1
	s_or_b32 exec_lo, exec_lo, s7
	s_barrier_signal -1
	s_barrier_wait -1
	s_and_saveexec_b32 s7, s52
	s_cbranch_execz .LBB70_506
; %bb.505:                              ;   in Loop: Header=BB70_3 Depth=1
	ds_load_b64 v[36:37], v1 offset:16120
	s_wait_dscnt 0x0
	v_pk_mul_f32 v[38:39], v[34:35], v[36:37] op_sel:[1,1] op_sel_hi:[1,0]
	s_delay_alu instid0(VALU_DEP_1) | instskip(SKIP_1) | instid1(VALU_DEP_2)
	v_pk_fma_f32 v[78:79], v[34:35], v[36:37], v[38:39] op_sel_hi:[0,1,1]
	v_pk_fma_f32 v[36:37], v[34:35], v[36:37], v[38:39] neg_lo:[0,0,1] neg_hi:[0,0,1]
	v_mov_b32_e32 v37, v79
	s_delay_alu instid0(VALU_DEP_1)
	v_mov_b64_e32 v[34:35], v[36:37]
	ds_store_b64 v47, v[36:37]
.LBB70_506:                             ;   in Loop: Header=BB70_3 Depth=1
	s_or_b32 exec_lo, exec_lo, s7
	s_wait_dscnt 0x0
	s_barrier_signal -1
	s_barrier_wait -1
	s_barrier_signal -1
	s_barrier_wait -1
	s_and_saveexec_b32 s7, s2
; %bb.507:                              ;   in Loop: Header=BB70_3 Depth=1
	v_pk_add_f32 v[34:35], v[34:35], 0 neg_lo:[1,1] neg_hi:[1,1]
	ds_store_b64 v48, v[34:35] offset:12512
; %bb.508:                              ;   in Loop: Header=BB70_3 Depth=1
	s_or_b32 exec_lo, exec_lo, s7
	s_wait_dscnt 0x0
	s_barrier_signal -1
	s_barrier_wait -1
	s_barrier_signal -1
	s_barrier_wait -1
	s_and_saveexec_b32 s98, s14
	s_cbranch_execz .LBB70_510
; %bb.509:                              ;   in Loop: Header=BB70_3 Depth=1
	ds_load_b128 v[34:37], v1 offset:14560
	ds_load_b64 v[38:39], v1 offset:15080
	s_wait_dscnt 0x1
	v_dual_mov_b32 v78, v37 :: v_dual_mov_b32 v79, v36
	s_wait_dscnt 0x0
	v_dual_mul_f32 v77, v39, v35 :: v_dual_mul_f32 v0, v38, v35
	s_delay_alu instid0(VALU_DEP_1) | instskip(NEXT) | instid1(VALU_DEP_2)
	v_xor_b32_e32 v80, 0x80000000, v77
	v_fmac_f32_e32 v0, v39, v34
	s_delay_alu instid0(VALU_DEP_2) | instskip(NEXT) | instid1(VALU_DEP_2)
	v_fmac_f32_e32 v80, v38, v34
	v_pk_mul_f32 v[34:35], v[0:1], v[78:79] op_sel_hi:[0,1]
	s_delay_alu instid0(VALU_DEP_1) | instskip(SKIP_1) | instid1(VALU_DEP_2)
	v_pk_fma_f32 v[38:39], v[80:81], v[36:37], v[34:35] op_sel_hi:[0,1,1]
	v_pk_fma_f32 v[34:35], v[80:81], v[36:37], v[34:35] neg_lo:[0,0,1] neg_hi:[0,0,1]
	v_mov_b32_e32 v35, v39
	ds_store_b64 v1, v[34:35] offset:14568
.LBB70_510:                             ;   in Loop: Header=BB70_3 Depth=1
	s_or_b32 exec_lo, exec_lo, s98
	v_mov_b32_e32 v35, 0
	s_wait_dscnt 0x0
	s_barrier_signal -1
	s_barrier_wait -1
	s_delay_alu instid0(VALU_DEP_1)
	v_mov_b32_e32 v34, v35
	s_and_saveexec_b32 s98, s1
	s_cbranch_execz .LBB70_514
; %bb.511:                              ;   in Loop: Header=BB70_3 Depth=1
	ds_load_b64 v[34:35], v42 offset:14576
	ds_load_b64 v[36:37], v43 offset:14560
	s_wait_dscnt 0x0
	v_dual_mul_f32 v0, v37, v35 :: v_dual_mul_f32 v39, v36, v35
	s_delay_alu instid0(VALU_DEP_1) | instskip(NEXT) | instid1(VALU_DEP_1)
	v_dual_fma_f32 v38, v36, v34, -v0 :: v_dual_fmac_f32 v39, v37, v34
	v_pk_add_f32 v[34:35], v[38:39], 0 op_sel_hi:[1,0]
	s_and_saveexec_b32 s7, s15
	s_cbranch_execz .LBB70_513
; %bb.512:                              ;   in Loop: Header=BB70_3 Depth=1
	ds_load_b64 v[36:37], v44 offset:15088
	ds_load_b64 v[38:39], v1 offset:14568
	s_wait_dscnt 0x0
	v_pk_mul_f32 v[78:79], v[38:39], v[36:37] op_sel:[1,1] op_sel_hi:[0,1]
	s_delay_alu instid0(VALU_DEP_1) | instskip(SKIP_1) | instid1(VALU_DEP_2)
	v_pk_fma_f32 v[80:81], v[38:39], v[36:37], v[78:79] op_sel_hi:[1,0,1]
	v_pk_fma_f32 v[36:37], v[38:39], v[36:37], v[78:79] neg_lo:[0,0,1] neg_hi:[0,0,1]
	v_mov_b32_e32 v37, v81
	s_delay_alu instid0(VALU_DEP_1)
	v_pk_add_f32 v[34:35], v[34:35], v[36:37]
.LBB70_513:                             ;   in Loop: Header=BB70_3 Depth=1
	s_or_b32 exec_lo, exec_lo, s7
	s_delay_alu instid0(VALU_DEP_1)
	v_pk_add_f32 v[34:35], v[34:35], 0 neg_lo:[1,1] neg_hi:[1,1]
.LBB70_514:                             ;   in Loop: Header=BB70_3 Depth=1
	s_or_b32 exec_lo, exec_lo, s98
	s_and_saveexec_b32 s7, s45
	s_cbranch_execz .LBB70_516
; %bb.515:                              ;   in Loop: Header=BB70_3 Depth=1
	ds_load_b64 v[36:37], v1 offset:15600
	s_wait_dscnt 0x0
	v_pk_mul_f32 v[38:39], v[34:35], v[36:37] op_sel:[1,1] op_sel_hi:[1,0]
	s_delay_alu instid0(VALU_DEP_1) | instskip(SKIP_1) | instid1(VALU_DEP_2)
	v_pk_fma_f32 v[78:79], v[34:35], v[36:37], v[38:39] op_sel_hi:[0,1,1]
	v_pk_fma_f32 v[36:37], v[34:35], v[36:37], v[38:39] neg_lo:[0,0,1] neg_hi:[0,0,1]
	v_mov_b32_e32 v37, v79
	s_delay_alu instid0(VALU_DEP_1)
	v_mov_b64_e32 v[34:35], v[36:37]
	ds_store_b64 v3, v[36:37]
.LBB70_516:                             ;   in Loop: Header=BB70_3 Depth=1
	s_or_b32 exec_lo, exec_lo, s7
	s_wait_dscnt 0x0
	s_barrier_signal -1
	s_barrier_wait -1
	s_and_saveexec_b32 s7, s46
	s_cbranch_execz .LBB70_518
; %bb.517:                              ;   in Loop: Header=BB70_3 Depth=1
	ds_load_b64 v[36:37], v1 offset:15608
	ds_load_b64 v[38:39], v3
	s_wait_dscnt 0x0
	v_pk_mul_f32 v[78:79], v[38:39], v[36:37] op_sel:[1,1] op_sel_hi:[0,1]
	s_delay_alu instid0(VALU_DEP_1) | instskip(SKIP_1) | instid1(VALU_DEP_2)
	v_pk_fma_f32 v[80:81], v[38:39], v[36:37], v[78:79] op_sel_hi:[1,0,1]
	v_pk_fma_f32 v[36:37], v[38:39], v[36:37], v[78:79] neg_lo:[0,0,1] neg_hi:[0,0,1]
	v_mov_b32_e32 v37, v81
	s_delay_alu instid0(VALU_DEP_1)
	v_pk_add_f32 v[34:35], v[34:35], v[36:37]
.LBB70_518:                             ;   in Loop: Header=BB70_3 Depth=1
	s_or_b32 exec_lo, exec_lo, s7
	s_barrier_signal -1
	s_barrier_wait -1
	s_and_saveexec_b32 s7, s46
	s_cbranch_execz .LBB70_520
; %bb.519:                              ;   in Loop: Header=BB70_3 Depth=1
	ds_load_b64 v[36:37], v1 offset:16120
	s_wait_dscnt 0x0
	v_pk_mul_f32 v[38:39], v[34:35], v[36:37] op_sel:[1,1] op_sel_hi:[1,0]
	s_delay_alu instid0(VALU_DEP_1) | instskip(SKIP_1) | instid1(VALU_DEP_2)
	v_pk_fma_f32 v[78:79], v[34:35], v[36:37], v[38:39] op_sel_hi:[0,1,1]
	v_pk_fma_f32 v[36:37], v[34:35], v[36:37], v[38:39] neg_lo:[0,0,1] neg_hi:[0,0,1]
	v_mov_b32_e32 v37, v79
	s_delay_alu instid0(VALU_DEP_1)
	v_mov_b64_e32 v[34:35], v[36:37]
	ds_store_b64 v3, v[36:37]
.LBB70_520:                             ;   in Loop: Header=BB70_3 Depth=1
	s_or_b32 exec_lo, exec_lo, s7
	s_wait_dscnt 0x0
	s_barrier_signal -1
	s_barrier_wait -1
	s_barrier_signal -1
	s_barrier_wait -1
	s_and_saveexec_b32 s7, s1
; %bb.521:                              ;   in Loop: Header=BB70_3 Depth=1
	v_pk_add_f32 v[34:35], v[34:35], 0 neg_lo:[1,1] neg_hi:[1,1]
	ds_store_b64 v42, v[34:35] offset:14576
; %bb.522:                              ;   in Loop: Header=BB70_3 Depth=1
	s_or_b32 exec_lo, exec_lo, s7
	s_wait_dscnt 0x0
	s_barrier_signal -1
	s_barrier_wait -1
	s_barrier_signal -1
	s_barrier_wait -1
	s_and_saveexec_b32 s98, s14
	s_cbranch_execz .LBB70_524
; %bb.523:                              ;   in Loop: Header=BB70_3 Depth=1
	ds_load_b128 v[34:37], v1 offset:15600
	ds_load_b64 v[38:39], v1 offset:16120
	s_wait_dscnt 0x1
	v_dual_mov_b32 v78, v37 :: v_dual_mov_b32 v79, v36
	s_wait_dscnt 0x0
	v_dual_mul_f32 v77, v39, v35 :: v_dual_mul_f32 v0, v38, v35
	s_delay_alu instid0(VALU_DEP_1) | instskip(NEXT) | instid1(VALU_DEP_2)
	v_xor_b32_e32 v80, 0x80000000, v77
	v_fmac_f32_e32 v0, v39, v34
	s_delay_alu instid0(VALU_DEP_2) | instskip(NEXT) | instid1(VALU_DEP_2)
	v_fmac_f32_e32 v80, v38, v34
	v_pk_mul_f32 v[34:35], v[0:1], v[78:79] op_sel_hi:[0,1]
	s_delay_alu instid0(VALU_DEP_1) | instskip(SKIP_1) | instid1(VALU_DEP_2)
	v_pk_fma_f32 v[38:39], v[80:81], v[36:37], v[34:35] op_sel_hi:[0,1,1]
	v_pk_fma_f32 v[34:35], v[80:81], v[36:37], v[34:35] neg_lo:[0,0,1] neg_hi:[0,0,1]
	v_mov_b32_e32 v35, v39
	ds_store_b64 v1, v[34:35] offset:15608
.LBB70_524:                             ;   in Loop: Header=BB70_3 Depth=1
	s_or_b32 exec_lo, exec_lo, s98
	v_mov_b64_e32 v[34:35], 0
	s_wait_dscnt 0x0
	s_barrier_signal -1
	s_barrier_wait -1
	s_and_saveexec_b32 s98, s35
	s_cbranch_execz .LBB70_586
; %bb.525:                              ;   in Loop: Header=BB70_3 Depth=1
	v_dual_add_nc_u32 v36, v63, v62 :: v_dual_add_nc_u32 v0, v62, v61
	v_readlane_b32 s10, v91, 18
	ds_load_b64 v[34:35], v36 offset:256
	ds_load_b64 v[38:39], v0
	s_wait_dscnt 0x0
	v_pk_mul_f32 v[78:79], v[38:39], v[34:35] op_sel:[1,1] op_sel_hi:[0,1]
	s_delay_alu instid0(VALU_DEP_1) | instskip(SKIP_1) | instid1(VALU_DEP_2)
	v_pk_fma_f32 v[80:81], v[38:39], v[34:35], v[78:79] op_sel_hi:[1,0,1]
	v_pk_fma_f32 v[34:35], v[38:39], v[34:35], v[78:79] neg_lo:[0,0,1] neg_hi:[0,0,1]
	v_mov_b32_e32 v35, v81
	s_delay_alu instid0(VALU_DEP_1)
	v_pk_add_f32 v[34:35], v[34:35], 0 op_sel_hi:[1,0]
	s_and_saveexec_b32 s7, s10
	s_cbranch_execz .LBB70_527
; %bb.526:                              ;   in Loop: Header=BB70_3 Depth=1
	ds_load_b64 v[38:39], v36 offset:768
	ds_load_b64 v[78:79], v0 offset:8
	s_wait_dscnt 0x0
	v_pk_mul_f32 v[80:81], v[78:79], v[38:39] op_sel:[1,1] op_sel_hi:[0,1]
	s_delay_alu instid0(VALU_DEP_1) | instskip(SKIP_1) | instid1(VALU_DEP_2)
	v_pk_fma_f32 v[82:83], v[78:79], v[38:39], v[80:81] op_sel_hi:[1,0,1]
	v_pk_fma_f32 v[38:39], v[78:79], v[38:39], v[80:81] neg_lo:[0,0,1] neg_hi:[0,0,1]
	v_mov_b32_e32 v39, v83
	s_delay_alu instid0(VALU_DEP_1)
	v_pk_add_f32 v[34:35], v[34:35], v[38:39]
.LBB70_527:                             ;   in Loop: Header=BB70_3 Depth=1
	s_or_b32 exec_lo, exec_lo, s7
	v_readlane_b32 s10, v91, 19
	s_and_saveexec_b32 s7, s10
	s_cbranch_execz .LBB70_529
; %bb.528:                              ;   in Loop: Header=BB70_3 Depth=1
	ds_load_b64 v[38:39], v36 offset:1280
	ds_load_b64 v[78:79], v0 offset:16
	s_wait_dscnt 0x0
	v_pk_mul_f32 v[80:81], v[78:79], v[38:39] op_sel:[1,1] op_sel_hi:[0,1]
	s_delay_alu instid0(VALU_DEP_1) | instskip(SKIP_1) | instid1(VALU_DEP_2)
	v_pk_fma_f32 v[82:83], v[78:79], v[38:39], v[80:81] op_sel_hi:[1,0,1]
	v_pk_fma_f32 v[38:39], v[78:79], v[38:39], v[80:81] neg_lo:[0,0,1] neg_hi:[0,0,1]
	v_mov_b32_e32 v39, v83
	s_delay_alu instid0(VALU_DEP_1)
	v_pk_add_f32 v[34:35], v[34:35], v[38:39]
.LBB70_529:                             ;   in Loop: Header=BB70_3 Depth=1
	s_or_b32 exec_lo, exec_lo, s7
	v_readlane_b32 s10, v91, 20
	;; [unrolled: 16-line block ×22, first 2 shown]
	s_and_saveexec_b32 s7, s10
	s_cbranch_execz .LBB70_571
; %bb.570:                              ;   in Loop: Header=BB70_3 Depth=1
	ds_load_b64 v[38:39], v36 offset:12032
	ds_load_b64 v[78:79], v0 offset:184
	s_wait_dscnt 0x0
	v_pk_mul_f32 v[80:81], v[78:79], v[38:39] op_sel:[1,1] op_sel_hi:[0,1]
	s_delay_alu instid0(VALU_DEP_1) | instskip(SKIP_1) | instid1(VALU_DEP_2)
	v_pk_fma_f32 v[82:83], v[78:79], v[38:39], v[80:81] op_sel_hi:[1,0,1]
	v_pk_fma_f32 v[38:39], v[78:79], v[38:39], v[80:81] neg_lo:[0,0,1] neg_hi:[0,0,1]
	v_mov_b32_e32 v39, v83
	s_delay_alu instid0(VALU_DEP_1)
	v_pk_add_f32 v[34:35], v[34:35], v[38:39]
.LBB70_571:                             ;   in Loop: Header=BB70_3 Depth=1
	s_or_b32 exec_lo, exec_lo, s7
	s_and_saveexec_b32 s7, s4
	s_cbranch_execz .LBB70_573
; %bb.572:                              ;   in Loop: Header=BB70_3 Depth=1
	ds_load_b64 v[38:39], v36 offset:12544
	ds_load_b64 v[78:79], v0 offset:192
	s_wait_dscnt 0x0
	v_pk_mul_f32 v[80:81], v[78:79], v[38:39] op_sel:[1,1] op_sel_hi:[0,1]
	s_delay_alu instid0(VALU_DEP_1) | instskip(SKIP_1) | instid1(VALU_DEP_2)
	v_pk_fma_f32 v[82:83], v[78:79], v[38:39], v[80:81] op_sel_hi:[1,0,1]
	v_pk_fma_f32 v[38:39], v[78:79], v[38:39], v[80:81] neg_lo:[0,0,1] neg_hi:[0,0,1]
	v_mov_b32_e32 v39, v83
	s_delay_alu instid0(VALU_DEP_1)
	v_pk_add_f32 v[34:35], v[34:35], v[38:39]
.LBB70_573:                             ;   in Loop: Header=BB70_3 Depth=1
	s_or_b32 exec_lo, exec_lo, s7
	v_readlane_b32 s10, v92, 31
	s_and_saveexec_b32 s7, s10
	s_cbranch_execz .LBB70_575
; %bb.574:                              ;   in Loop: Header=BB70_3 Depth=1
	ds_load_b64 v[38:39], v36 offset:13056
	ds_load_b64 v[78:79], v0 offset:200
	s_wait_dscnt 0x0
	v_pk_mul_f32 v[80:81], v[78:79], v[38:39] op_sel:[1,1] op_sel_hi:[0,1]
	s_delay_alu instid0(VALU_DEP_1) | instskip(SKIP_1) | instid1(VALU_DEP_2)
	v_pk_fma_f32 v[82:83], v[78:79], v[38:39], v[80:81] op_sel_hi:[1,0,1]
	v_pk_fma_f32 v[38:39], v[78:79], v[38:39], v[80:81] neg_lo:[0,0,1] neg_hi:[0,0,1]
	v_mov_b32_e32 v39, v83
	s_delay_alu instid0(VALU_DEP_1)
	v_pk_add_f32 v[34:35], v[34:35], v[38:39]
.LBB70_575:                             ;   in Loop: Header=BB70_3 Depth=1
	s_or_b32 exec_lo, exec_lo, s7
	v_readlane_b32 s10, v91, 1
	;; [unrolled: 16-line block ×5, first 2 shown]
	s_and_saveexec_b32 s7, s10
	s_cbranch_execnz .LBB70_1072
; %bb.582:                              ;   in Loop: Header=BB70_3 Depth=1
	s_or_b32 exec_lo, exec_lo, s7
	s_and_saveexec_b32 s7, s3
	s_cbranch_execnz .LBB70_1073
.LBB70_583:                             ;   in Loop: Header=BB70_3 Depth=1
	s_or_b32 exec_lo, exec_lo, s7
	s_and_saveexec_b32 s7, s21
	s_cbranch_execz .LBB70_585
.LBB70_584:                             ;   in Loop: Header=BB70_3 Depth=1
	ds_load_b64 v[36:37], v63 offset:16128
	ds_load_b64 v[38:39], v0 offset:248
	s_wait_dscnt 0x0
	v_pk_mul_f32 v[78:79], v[38:39], v[36:37] op_sel:[1,1] op_sel_hi:[0,1]
	s_delay_alu instid0(VALU_DEP_1) | instskip(SKIP_1) | instid1(VALU_DEP_2)
	v_pk_fma_f32 v[80:81], v[38:39], v[36:37], v[78:79] op_sel_hi:[1,0,1]
	v_pk_fma_f32 v[36:37], v[38:39], v[36:37], v[78:79] neg_lo:[0,0,1] neg_hi:[0,0,1]
	v_mov_b32_e32 v37, v81
	s_delay_alu instid0(VALU_DEP_1)
	v_pk_add_f32 v[34:35], v[34:35], v[36:37]
.LBB70_585:                             ;   in Loop: Header=BB70_3 Depth=1
	s_or_b32 exec_lo, exec_lo, s7
	s_delay_alu instid0(VALU_DEP_1)
	v_pk_add_f32 v[34:35], v[34:35], 0 neg_lo:[1,1] neg_hi:[1,1]
.LBB70_586:                             ;   in Loop: Header=BB70_3 Depth=1
	s_or_b32 exec_lo, exec_lo, s98
	v_dual_mov_b32 v0, v60 :: v_dual_mov_b32 v36, v75
	s_mov_b32 s98, 0
	s_branch .LBB70_588
.LBB70_587:                             ;   in Loop: Header=BB70_588 Depth=2
	s_or_b32 exec_lo, exec_lo, s7
	v_add_nc_u32_e32 v36, 0x400, v36
	v_add_nc_u32_e32 v0, -2, v0
	s_add_co_i32 s98, s98, 2
	s_delay_alu instid0(SALU_CYCLE_1)
	s_cmp_eq_u32 s98, 32
	s_barrier_signal -1
	s_barrier_wait -1
	s_cbranch_scc1 .LBB70_596
.LBB70_588:                             ;   Parent Loop BB70_3 Depth=1
                                        ; =>  This Inner Loop Header: Depth=2
	s_delay_alu instid0(VALU_DEP_1) | instskip(SKIP_1) | instid1(SALU_CYCLE_1)
	v_cmp_eq_u32_e32 vcc_lo, 0, v0
	s_and_b32 s99, s6, vcc_lo
	s_and_saveexec_b32 s7, s99
	s_cbranch_execz .LBB70_590
; %bb.589:                              ;   in Loop: Header=BB70_588 Depth=2
	ds_load_b64 v[38:39], v76 offset:16640
	s_wait_dscnt 0x0
	v_pk_mul_f32 v[78:79], v[34:35], v[38:39] op_sel:[1,1] op_sel_hi:[1,0]
	s_delay_alu instid0(VALU_DEP_1) | instskip(SKIP_1) | instid1(VALU_DEP_2)
	v_pk_fma_f32 v[80:81], v[34:35], v[38:39], v[78:79] op_sel_hi:[0,1,1]
	v_pk_fma_f32 v[38:39], v[34:35], v[38:39], v[78:79] neg_lo:[0,0,1] neg_hi:[0,0,1]
	v_mov_b32_e32 v39, v81
	s_delay_alu instid0(VALU_DEP_1)
	v_mov_b64_e32 v[34:35], v[38:39]
	ds_store_b64 v64, v[38:39]
.LBB70_590:                             ;   in Loop: Header=BB70_588 Depth=2
	s_or_b32 exec_lo, exec_lo, s7
	v_cmp_lt_u32_e32 vcc_lo, s98, v60
	s_wait_dscnt 0x0
	s_barrier_signal -1
	s_barrier_wait -1
	s_and_b32 s99, s6, vcc_lo
	s_delay_alu instid0(SALU_CYCLE_1)
	s_and_saveexec_b32 s7, s99
	s_cbranch_execz .LBB70_592
; %bb.591:                              ;   in Loop: Header=BB70_588 Depth=2
	ds_load_b64 v[38:39], v36
	ds_load_b64 v[78:79], v64
	s_wait_dscnt 0x0
	v_pk_mul_f32 v[80:81], v[78:79], v[38:39] op_sel:[1,1] op_sel_hi:[0,1]
	s_delay_alu instid0(VALU_DEP_1) | instskip(SKIP_1) | instid1(VALU_DEP_2)
	v_pk_fma_f32 v[82:83], v[78:79], v[38:39], v[80:81] op_sel_hi:[1,0,1]
	v_pk_fma_f32 v[38:39], v[78:79], v[38:39], v[80:81] neg_lo:[0,0,1] neg_hi:[0,0,1]
	v_mov_b32_e32 v39, v83
	s_delay_alu instid0(VALU_DEP_1)
	v_pk_add_f32 v[34:35], v[34:35], v[38:39]
.LBB70_592:                             ;   in Loop: Header=BB70_588 Depth=2
	s_or_b32 exec_lo, exec_lo, s7
	s_or_b32 s7, s98, 1
	s_delay_alu instid0(SALU_CYCLE_1) | instskip(SKIP_3) | instid1(SALU_CYCLE_1)
	v_cmp_eq_u32_e32 vcc_lo, s7, v60
	s_barrier_signal -1
	s_barrier_wait -1
	s_and_b32 s100, s6, vcc_lo
	s_and_saveexec_b32 s99, s100
	s_cbranch_execz .LBB70_594
; %bb.593:                              ;   in Loop: Header=BB70_588 Depth=2
	ds_load_b64 v[38:39], v76 offset:16640
	s_wait_dscnt 0x0
	v_pk_mul_f32 v[78:79], v[34:35], v[38:39] op_sel:[1,1] op_sel_hi:[1,0]
	s_delay_alu instid0(VALU_DEP_1) | instskip(SKIP_1) | instid1(VALU_DEP_2)
	v_pk_fma_f32 v[80:81], v[34:35], v[38:39], v[78:79] op_sel_hi:[0,1,1]
	v_pk_fma_f32 v[38:39], v[34:35], v[38:39], v[78:79] neg_lo:[0,0,1] neg_hi:[0,0,1]
	v_mov_b32_e32 v39, v81
	s_delay_alu instid0(VALU_DEP_1)
	v_mov_b64_e32 v[34:35], v[38:39]
	ds_store_b64 v64, v[38:39]
.LBB70_594:                             ;   in Loop: Header=BB70_588 Depth=2
	s_or_b32 exec_lo, exec_lo, s99
	v_cmp_lt_u32_e32 vcc_lo, s7, v60
	s_wait_dscnt 0x0
	s_barrier_signal -1
	s_barrier_wait -1
	s_and_b32 s99, s6, vcc_lo
	s_delay_alu instid0(SALU_CYCLE_1)
	s_and_saveexec_b32 s7, s99
	s_cbranch_execz .LBB70_587
; %bb.595:                              ;   in Loop: Header=BB70_588 Depth=2
	ds_load_b64 v[38:39], v36 offset:512
	ds_load_b64 v[78:79], v64
	s_wait_dscnt 0x0
	v_pk_mul_f32 v[80:81], v[78:79], v[38:39] op_sel:[1,1] op_sel_hi:[0,1]
	s_delay_alu instid0(VALU_DEP_1) | instskip(SKIP_1) | instid1(VALU_DEP_2)
	v_pk_fma_f32 v[82:83], v[78:79], v[38:39], v[80:81] op_sel_hi:[1,0,1]
	v_pk_fma_f32 v[38:39], v[78:79], v[38:39], v[80:81] neg_lo:[0,0,1] neg_hi:[0,0,1]
	v_mov_b32_e32 v39, v83
	s_delay_alu instid0(VALU_DEP_1)
	v_pk_add_f32 v[34:35], v[34:35], v[38:39]
	s_branch .LBB70_587
.LBB70_596:                             ;   in Loop: Header=BB70_3 Depth=1
	s_and_saveexec_b32 s7, s35
; %bb.597:                              ;   in Loop: Header=BB70_3 Depth=1
	v_pk_add_f32 v[34:35], v[34:35], 0 neg_lo:[1,1] neg_hi:[1,1]
	ds_store_b64 v65, v[34:35] offset:256
; %bb.598:                              ;   in Loop: Header=BB70_3 Depth=1
	s_or_b32 exec_lo, exec_lo, s7
	s_wait_dscnt 0x0
	s_barrier_signal -1
	s_barrier_wait -1
	s_barrier_signal -1
	s_barrier_wait -1
	s_and_saveexec_b32 s98, s14
	s_cbranch_execz .LBB70_600
; %bb.599:                              ;   in Loop: Header=BB70_3 Depth=1
	ds_load_b128 v[34:37], v1 offset:16640
	ds_load_b64 v[38:39], v1 offset:17160
	s_wait_dscnt 0x1
	v_dual_mov_b32 v78, v37 :: v_dual_mov_b32 v79, v36
	s_wait_dscnt 0x0
	v_dual_mul_f32 v77, v39, v35 :: v_dual_mul_f32 v0, v38, v35
	s_delay_alu instid0(VALU_DEP_1) | instskip(NEXT) | instid1(VALU_DEP_2)
	v_xor_b32_e32 v80, 0x80000000, v77
	v_fmac_f32_e32 v0, v39, v34
	s_delay_alu instid0(VALU_DEP_2) | instskip(NEXT) | instid1(VALU_DEP_2)
	v_fmac_f32_e32 v80, v38, v34
	v_pk_mul_f32 v[34:35], v[0:1], v[78:79] op_sel_hi:[0,1]
	s_delay_alu instid0(VALU_DEP_1) | instskip(SKIP_1) | instid1(VALU_DEP_2)
	v_pk_fma_f32 v[38:39], v[80:81], v[36:37], v[34:35] op_sel_hi:[0,1,1]
	v_pk_fma_f32 v[34:35], v[80:81], v[36:37], v[34:35] neg_lo:[0,0,1] neg_hi:[0,0,1]
	v_mov_b32_e32 v35, v39
	ds_store_b64 v1, v[34:35] offset:16648
.LBB70_600:                             ;   in Loop: Header=BB70_3 Depth=1
	s_or_b32 exec_lo, exec_lo, s98
	v_mov_b32_e32 v35, 0
	s_wait_dscnt 0x0
	s_barrier_signal -1
	s_barrier_wait -1
	s_delay_alu instid0(VALU_DEP_1)
	v_mov_b32_e32 v34, v35
	s_and_saveexec_b32 s98, s1
	s_cbranch_execz .LBB70_604
; %bb.601:                              ;   in Loop: Header=BB70_3 Depth=1
	ds_load_b64 v[34:35], v42 offset:16656
	ds_load_b64 v[36:37], v43 offset:16640
	s_wait_dscnt 0x0
	v_dual_mul_f32 v0, v37, v35 :: v_dual_mul_f32 v39, v36, v35
	s_delay_alu instid0(VALU_DEP_1) | instskip(NEXT) | instid1(VALU_DEP_1)
	v_dual_fma_f32 v38, v36, v34, -v0 :: v_dual_fmac_f32 v39, v37, v34
	v_pk_add_f32 v[34:35], v[38:39], 0 op_sel_hi:[1,0]
	s_and_saveexec_b32 s7, s15
	s_cbranch_execz .LBB70_603
; %bb.602:                              ;   in Loop: Header=BB70_3 Depth=1
	ds_load_b64 v[36:37], v44 offset:17168
	ds_load_b64 v[38:39], v1 offset:16648
	s_wait_dscnt 0x0
	v_pk_mul_f32 v[78:79], v[38:39], v[36:37] op_sel:[1,1] op_sel_hi:[0,1]
	s_delay_alu instid0(VALU_DEP_1) | instskip(SKIP_1) | instid1(VALU_DEP_2)
	v_pk_fma_f32 v[80:81], v[38:39], v[36:37], v[78:79] op_sel_hi:[1,0,1]
	v_pk_fma_f32 v[36:37], v[38:39], v[36:37], v[78:79] neg_lo:[0,0,1] neg_hi:[0,0,1]
	v_mov_b32_e32 v37, v81
	s_delay_alu instid0(VALU_DEP_1)
	v_pk_add_f32 v[34:35], v[34:35], v[36:37]
.LBB70_603:                             ;   in Loop: Header=BB70_3 Depth=1
	s_or_b32 exec_lo, exec_lo, s7
	s_delay_alu instid0(VALU_DEP_1)
	v_pk_add_f32 v[34:35], v[34:35], 0 neg_lo:[1,1] neg_hi:[1,1]
.LBB70_604:                             ;   in Loop: Header=BB70_3 Depth=1
	s_or_b32 exec_lo, exec_lo, s98
	s_and_saveexec_b32 s7, s45
	s_cbranch_execz .LBB70_606
; %bb.605:                              ;   in Loop: Header=BB70_3 Depth=1
	ds_load_b64 v[36:37], v1 offset:17680
	s_wait_dscnt 0x0
	v_pk_mul_f32 v[38:39], v[34:35], v[36:37] op_sel:[1,1] op_sel_hi:[1,0]
	s_delay_alu instid0(VALU_DEP_1) | instskip(SKIP_1) | instid1(VALU_DEP_2)
	v_pk_fma_f32 v[78:79], v[34:35], v[36:37], v[38:39] op_sel_hi:[0,1,1]
	v_pk_fma_f32 v[36:37], v[34:35], v[36:37], v[38:39] neg_lo:[0,0,1] neg_hi:[0,0,1]
	v_mov_b32_e32 v37, v79
	s_delay_alu instid0(VALU_DEP_1)
	v_mov_b64_e32 v[34:35], v[36:37]
	ds_store_b64 v3, v[36:37]
.LBB70_606:                             ;   in Loop: Header=BB70_3 Depth=1
	s_or_b32 exec_lo, exec_lo, s7
	s_wait_dscnt 0x0
	s_barrier_signal -1
	s_barrier_wait -1
	s_and_saveexec_b32 s7, s46
	s_cbranch_execz .LBB70_608
; %bb.607:                              ;   in Loop: Header=BB70_3 Depth=1
	ds_load_b64 v[36:37], v1 offset:17688
	ds_load_b64 v[38:39], v3
	s_wait_dscnt 0x0
	v_pk_mul_f32 v[78:79], v[38:39], v[36:37] op_sel:[1,1] op_sel_hi:[0,1]
	s_delay_alu instid0(VALU_DEP_1) | instskip(SKIP_1) | instid1(VALU_DEP_2)
	v_pk_fma_f32 v[80:81], v[38:39], v[36:37], v[78:79] op_sel_hi:[1,0,1]
	v_pk_fma_f32 v[36:37], v[38:39], v[36:37], v[78:79] neg_lo:[0,0,1] neg_hi:[0,0,1]
	v_mov_b32_e32 v37, v81
	s_delay_alu instid0(VALU_DEP_1)
	v_pk_add_f32 v[34:35], v[34:35], v[36:37]
.LBB70_608:                             ;   in Loop: Header=BB70_3 Depth=1
	s_or_b32 exec_lo, exec_lo, s7
	s_barrier_signal -1
	s_barrier_wait -1
	s_and_saveexec_b32 s7, s46
	s_cbranch_execz .LBB70_610
; %bb.609:                              ;   in Loop: Header=BB70_3 Depth=1
	ds_load_b64 v[36:37], v1 offset:18200
	s_wait_dscnt 0x0
	v_pk_mul_f32 v[38:39], v[34:35], v[36:37] op_sel:[1,1] op_sel_hi:[1,0]
	s_delay_alu instid0(VALU_DEP_1) | instskip(SKIP_1) | instid1(VALU_DEP_2)
	v_pk_fma_f32 v[78:79], v[34:35], v[36:37], v[38:39] op_sel_hi:[0,1,1]
	v_pk_fma_f32 v[36:37], v[34:35], v[36:37], v[38:39] neg_lo:[0,0,1] neg_hi:[0,0,1]
	v_mov_b32_e32 v37, v79
	s_delay_alu instid0(VALU_DEP_1)
	v_mov_b64_e32 v[34:35], v[36:37]
	ds_store_b64 v3, v[36:37]
.LBB70_610:                             ;   in Loop: Header=BB70_3 Depth=1
	s_or_b32 exec_lo, exec_lo, s7
	s_wait_dscnt 0x0
	s_barrier_signal -1
	s_barrier_wait -1
	s_barrier_signal -1
	s_barrier_wait -1
	s_and_saveexec_b32 s7, s1
; %bb.611:                              ;   in Loop: Header=BB70_3 Depth=1
	v_pk_add_f32 v[34:35], v[34:35], 0 neg_lo:[1,1] neg_hi:[1,1]
	ds_store_b64 v42, v[34:35] offset:16656
; %bb.612:                              ;   in Loop: Header=BB70_3 Depth=1
	s_or_b32 exec_lo, exec_lo, s7
	s_wait_dscnt 0x0
	s_barrier_signal -1
	s_barrier_wait -1
	s_barrier_signal -1
	s_barrier_wait -1
	s_and_saveexec_b32 s98, s14
	s_cbranch_execz .LBB70_614
; %bb.613:                              ;   in Loop: Header=BB70_3 Depth=1
	ds_load_b128 v[34:37], v1 offset:17680
	ds_load_b64 v[38:39], v1 offset:18200
	s_wait_dscnt 0x1
	v_dual_mov_b32 v78, v37 :: v_dual_mov_b32 v79, v36
	s_wait_dscnt 0x0
	v_dual_mul_f32 v77, v39, v35 :: v_dual_mul_f32 v0, v38, v35
	s_delay_alu instid0(VALU_DEP_1) | instskip(NEXT) | instid1(VALU_DEP_2)
	v_xor_b32_e32 v80, 0x80000000, v77
	v_fmac_f32_e32 v0, v39, v34
	s_delay_alu instid0(VALU_DEP_2) | instskip(NEXT) | instid1(VALU_DEP_2)
	v_fmac_f32_e32 v80, v38, v34
	v_pk_mul_f32 v[34:35], v[0:1], v[78:79] op_sel_hi:[0,1]
	s_delay_alu instid0(VALU_DEP_1) | instskip(SKIP_1) | instid1(VALU_DEP_2)
	v_pk_fma_f32 v[38:39], v[80:81], v[36:37], v[34:35] op_sel_hi:[0,1,1]
	v_pk_fma_f32 v[34:35], v[80:81], v[36:37], v[34:35] neg_lo:[0,0,1] neg_hi:[0,0,1]
	v_mov_b32_e32 v35, v39
	ds_store_b64 v1, v[34:35] offset:17688
.LBB70_614:                             ;   in Loop: Header=BB70_3 Depth=1
	s_or_b32 exec_lo, exec_lo, s98
	v_mov_b32_e32 v34, 0
	s_wait_dscnt 0x0
	s_barrier_signal -1
	s_barrier_wait -1
	s_delay_alu instid0(VALU_DEP_1)
	v_mov_b32_e32 v35, v34
	s_and_saveexec_b32 s98, s2
	s_cbranch_execz .LBB70_620
; %bb.615:                              ;   in Loop: Header=BB70_3 Depth=1
	ds_load_b64 v[34:35], v48 offset:16672
	ds_load_b64 v[36:37], v46 offset:16640
	s_wait_dscnt 0x0
	v_pk_mul_f32 v[38:39], v[36:37], v[34:35] op_sel:[0,1]
	s_delay_alu instid0(VALU_DEP_1) | instskip(SKIP_1) | instid1(VALU_DEP_2)
	v_pk_fma_f32 v[78:79], v[36:37], v[34:35], v[38:39] op_sel:[1,0,0] op_sel_hi:[0,0,1] neg_lo:[0,0,1] neg_hi:[0,0,1]
	v_pk_fma_f32 v[34:35], v[36:37], v[34:35], v[38:39] op_sel:[1,0,0] op_sel_hi:[0,1,1]
	v_mov_b32_e32 v35, v79
	s_delay_alu instid0(VALU_DEP_1)
	v_pk_add_f32 v[34:35], v[34:35], 0 op_sel_hi:[1,0]
	s_and_saveexec_b32 s7, s16
	s_cbranch_execnz .LBB70_1074
; %bb.616:                              ;   in Loop: Header=BB70_3 Depth=1
	s_or_b32 exec_lo, exec_lo, s7
	s_and_saveexec_b32 s7, s17
	s_cbranch_execnz .LBB70_1075
.LBB70_617:                             ;   in Loop: Header=BB70_3 Depth=1
	s_or_b32 exec_lo, exec_lo, s7
	s_and_saveexec_b32 s7, s1
	s_cbranch_execz .LBB70_619
.LBB70_618:                             ;   in Loop: Header=BB70_3 Depth=1
	ds_load_b64 v[36:37], v44 offset:18208
	ds_load_b64 v[38:39], v1 offset:16664
	s_wait_dscnt 0x0
	v_pk_mul_f32 v[78:79], v[38:39], v[36:37] op_sel:[0,1]
	s_delay_alu instid0(VALU_DEP_1) | instskip(SKIP_1) | instid1(VALU_DEP_2)
	v_pk_fma_f32 v[80:81], v[38:39], v[36:37], v[78:79] op_sel:[1,0,0] op_sel_hi:[0,0,1] neg_lo:[0,0,1] neg_hi:[0,0,1]
	v_pk_fma_f32 v[36:37], v[38:39], v[36:37], v[78:79] op_sel:[1,0,0] op_sel_hi:[0,1,1]
	v_mov_b32_e32 v37, v81
	s_delay_alu instid0(VALU_DEP_1)
	v_pk_add_f32 v[34:35], v[34:35], v[36:37]
.LBB70_619:                             ;   in Loop: Header=BB70_3 Depth=1
	s_or_b32 exec_lo, exec_lo, s7
	s_delay_alu instid0(VALU_DEP_1) | instskip(NEXT) | instid1(VALU_DEP_1)
	v_pk_add_f32 v[36:37], v[34:35], 0 neg_lo:[1,1] neg_hi:[1,1]
	v_dual_mov_b32 v34, v37 :: v_dual_mov_b32 v35, v36
.LBB70_620:                             ;   in Loop: Header=BB70_3 Depth=1
	s_or_b32 exec_lo, exec_lo, s98
	s_and_saveexec_b32 s7, s47
	s_cbranch_execz .LBB70_622
; %bb.621:                              ;   in Loop: Header=BB70_3 Depth=1
	ds_load_b64 v[36:37], v1 offset:18720
	v_dual_mov_b32 v38, v35 :: v_dual_mov_b32 v39, v34
	s_wait_dscnt 0x0
	s_delay_alu instid0(VALU_DEP_1) | instskip(NEXT) | instid1(VALU_DEP_1)
	v_dual_mul_f32 v0, v38, v36 :: v_dual_mul_f32 v78, v35, v37
	v_pk_fma_f32 v[38:39], v[38:39], v[36:37], v[0:1] op_sel_hi:[1,1,0]
	s_delay_alu instid0(VALU_DEP_2) | instskip(NEXT) | instid1(VALU_DEP_2)
	v_pk_fma_f32 v[34:35], v[34:35], v[36:37], v[78:79] op_sel_hi:[1,1,0] neg_lo:[0,0,1] neg_hi:[0,0,1]
	v_mov_b32_e32 v35, v39
	ds_store_b64 v47, v[34:35]
.LBB70_622:                             ;   in Loop: Header=BB70_3 Depth=1
	s_or_b32 exec_lo, exec_lo, s7
	s_wait_dscnt 0x0
	s_barrier_signal -1
	s_barrier_wait -1
	s_and_saveexec_b32 s7, s48
	s_cbranch_execz .LBB70_624
; %bb.623:                              ;   in Loop: Header=BB70_3 Depth=1
	ds_load_b64 v[36:37], v45 offset:18720
	ds_load_b64 v[38:39], v47
	s_wait_dscnt 0x0
	v_dual_mul_f32 v0, v39, v37 :: v_dual_mul_f32 v79, v38, v37
	s_delay_alu instid0(VALU_DEP_1) | instskip(NEXT) | instid1(VALU_DEP_1)
	v_dual_fma_f32 v78, v38, v36, -v0 :: v_dual_fmac_f32 v79, v39, v36
	v_pk_add_f32 v[34:35], v[34:35], v[78:79]
.LBB70_624:                             ;   in Loop: Header=BB70_3 Depth=1
	s_or_b32 exec_lo, exec_lo, s7
	s_barrier_signal -1
	s_barrier_wait -1
	s_and_saveexec_b32 s7, s49
	s_cbranch_execz .LBB70_626
; %bb.625:                              ;   in Loop: Header=BB70_3 Depth=1
	ds_load_b64 v[36:37], v1 offset:19240
	s_wait_dscnt 0x0
	v_pk_mul_f32 v[38:39], v[34:35], v[36:37] op_sel:[1,1] op_sel_hi:[1,0]
	s_delay_alu instid0(VALU_DEP_1) | instskip(SKIP_1) | instid1(VALU_DEP_2)
	v_pk_fma_f32 v[78:79], v[34:35], v[36:37], v[38:39] op_sel_hi:[0,1,1]
	v_pk_fma_f32 v[36:37], v[34:35], v[36:37], v[38:39] neg_lo:[0,0,1] neg_hi:[0,0,1]
	v_mov_b32_e32 v37, v79
	s_delay_alu instid0(VALU_DEP_1)
	v_mov_b64_e32 v[34:35], v[36:37]
	ds_store_b64 v47, v[36:37]
.LBB70_626:                             ;   in Loop: Header=BB70_3 Depth=1
	s_or_b32 exec_lo, exec_lo, s7
	s_wait_dscnt 0x0
	s_barrier_signal -1
	s_barrier_wait -1
	s_and_saveexec_b32 s7, s50
	s_cbranch_execz .LBB70_628
; %bb.627:                              ;   in Loop: Header=BB70_3 Depth=1
	ds_load_b64 v[36:37], v45 offset:19232
	ds_load_b64 v[38:39], v47
	s_wait_dscnt 0x0
	v_pk_mul_f32 v[78:79], v[38:39], v[36:37] op_sel:[1,1] op_sel_hi:[0,1]
	s_delay_alu instid0(VALU_DEP_1) | instskip(SKIP_1) | instid1(VALU_DEP_2)
	v_pk_fma_f32 v[80:81], v[38:39], v[36:37], v[78:79] op_sel_hi:[1,0,1]
	v_pk_fma_f32 v[36:37], v[38:39], v[36:37], v[78:79] neg_lo:[0,0,1] neg_hi:[0,0,1]
	v_mov_b32_e32 v37, v81
	s_delay_alu instid0(VALU_DEP_1)
	v_pk_add_f32 v[34:35], v[34:35], v[36:37]
.LBB70_628:                             ;   in Loop: Header=BB70_3 Depth=1
	s_or_b32 exec_lo, exec_lo, s7
	s_barrier_signal -1
	s_barrier_wait -1
	s_and_saveexec_b32 s7, s51
	s_cbranch_execz .LBB70_630
; %bb.629:                              ;   in Loop: Header=BB70_3 Depth=1
	ds_load_b64 v[36:37], v1 offset:19760
	s_wait_dscnt 0x0
	v_pk_mul_f32 v[38:39], v[34:35], v[36:37] op_sel:[1,1] op_sel_hi:[1,0]
	s_delay_alu instid0(VALU_DEP_1) | instskip(SKIP_1) | instid1(VALU_DEP_2)
	v_pk_fma_f32 v[78:79], v[34:35], v[36:37], v[38:39] op_sel_hi:[0,1,1]
	v_pk_fma_f32 v[36:37], v[34:35], v[36:37], v[38:39] neg_lo:[0,0,1] neg_hi:[0,0,1]
	v_mov_b32_e32 v37, v79
	s_delay_alu instid0(VALU_DEP_1)
	v_mov_b64_e32 v[34:35], v[36:37]
	ds_store_b64 v47, v[36:37]
.LBB70_630:                             ;   in Loop: Header=BB70_3 Depth=1
	s_or_b32 exec_lo, exec_lo, s7
	s_wait_dscnt 0x0
	s_barrier_signal -1
	s_barrier_wait -1
	s_and_saveexec_b32 s7, s52
	s_cbranch_execz .LBB70_632
; %bb.631:                              ;   in Loop: Header=BB70_3 Depth=1
	ds_load_b64 v[36:37], v1 offset:19768
	ds_load_b64 v[38:39], v47
	s_wait_dscnt 0x0
	v_pk_mul_f32 v[78:79], v[38:39], v[36:37] op_sel:[1,1] op_sel_hi:[0,1]
	s_delay_alu instid0(VALU_DEP_1) | instskip(SKIP_1) | instid1(VALU_DEP_2)
	v_pk_fma_f32 v[80:81], v[38:39], v[36:37], v[78:79] op_sel_hi:[1,0,1]
	v_pk_fma_f32 v[36:37], v[38:39], v[36:37], v[78:79] neg_lo:[0,0,1] neg_hi:[0,0,1]
	v_mov_b32_e32 v37, v81
	s_delay_alu instid0(VALU_DEP_1)
	v_pk_add_f32 v[34:35], v[34:35], v[36:37]
.LBB70_632:                             ;   in Loop: Header=BB70_3 Depth=1
	s_or_b32 exec_lo, exec_lo, s7
	s_barrier_signal -1
	s_barrier_wait -1
	s_and_saveexec_b32 s7, s52
	s_cbranch_execz .LBB70_634
; %bb.633:                              ;   in Loop: Header=BB70_3 Depth=1
	ds_load_b64 v[36:37], v1 offset:20280
	s_wait_dscnt 0x0
	v_pk_mul_f32 v[38:39], v[34:35], v[36:37] op_sel:[1,1] op_sel_hi:[1,0]
	s_delay_alu instid0(VALU_DEP_1) | instskip(SKIP_1) | instid1(VALU_DEP_2)
	v_pk_fma_f32 v[78:79], v[34:35], v[36:37], v[38:39] op_sel_hi:[0,1,1]
	v_pk_fma_f32 v[36:37], v[34:35], v[36:37], v[38:39] neg_lo:[0,0,1] neg_hi:[0,0,1]
	v_mov_b32_e32 v37, v79
	s_delay_alu instid0(VALU_DEP_1)
	v_mov_b64_e32 v[34:35], v[36:37]
	ds_store_b64 v47, v[36:37]
.LBB70_634:                             ;   in Loop: Header=BB70_3 Depth=1
	s_or_b32 exec_lo, exec_lo, s7
	s_wait_dscnt 0x0
	s_barrier_signal -1
	s_barrier_wait -1
	s_barrier_signal -1
	s_barrier_wait -1
	s_and_saveexec_b32 s7, s2
; %bb.635:                              ;   in Loop: Header=BB70_3 Depth=1
	v_pk_add_f32 v[34:35], v[34:35], 0 neg_lo:[1,1] neg_hi:[1,1]
	ds_store_b64 v48, v[34:35] offset:16672
; %bb.636:                              ;   in Loop: Header=BB70_3 Depth=1
	s_or_b32 exec_lo, exec_lo, s7
	s_wait_dscnt 0x0
	s_barrier_signal -1
	s_barrier_wait -1
	s_barrier_signal -1
	s_barrier_wait -1
	s_and_saveexec_b32 s98, s14
	s_cbranch_execz .LBB70_638
; %bb.637:                              ;   in Loop: Header=BB70_3 Depth=1
	ds_load_b128 v[34:37], v1 offset:18720
	ds_load_b64 v[38:39], v1 offset:19240
	s_wait_dscnt 0x1
	v_dual_mov_b32 v78, v37 :: v_dual_mov_b32 v79, v36
	s_wait_dscnt 0x0
	v_dual_mul_f32 v77, v39, v35 :: v_dual_mul_f32 v0, v38, v35
	s_delay_alu instid0(VALU_DEP_1) | instskip(NEXT) | instid1(VALU_DEP_2)
	v_xor_b32_e32 v80, 0x80000000, v77
	v_fmac_f32_e32 v0, v39, v34
	s_delay_alu instid0(VALU_DEP_2) | instskip(NEXT) | instid1(VALU_DEP_2)
	v_fmac_f32_e32 v80, v38, v34
	v_pk_mul_f32 v[34:35], v[0:1], v[78:79] op_sel_hi:[0,1]
	s_delay_alu instid0(VALU_DEP_1) | instskip(SKIP_1) | instid1(VALU_DEP_2)
	v_pk_fma_f32 v[38:39], v[80:81], v[36:37], v[34:35] op_sel_hi:[0,1,1]
	v_pk_fma_f32 v[34:35], v[80:81], v[36:37], v[34:35] neg_lo:[0,0,1] neg_hi:[0,0,1]
	v_mov_b32_e32 v35, v39
	ds_store_b64 v1, v[34:35] offset:18728
.LBB70_638:                             ;   in Loop: Header=BB70_3 Depth=1
	s_or_b32 exec_lo, exec_lo, s98
	v_mov_b32_e32 v35, 0
	s_wait_dscnt 0x0
	s_barrier_signal -1
	s_barrier_wait -1
	s_delay_alu instid0(VALU_DEP_1)
	v_mov_b32_e32 v34, v35
	s_and_saveexec_b32 s98, s1
	s_cbranch_execz .LBB70_642
; %bb.639:                              ;   in Loop: Header=BB70_3 Depth=1
	ds_load_b64 v[34:35], v42 offset:18736
	ds_load_b64 v[36:37], v43 offset:18720
	s_wait_dscnt 0x0
	v_dual_mul_f32 v0, v37, v35 :: v_dual_mul_f32 v39, v36, v35
	s_delay_alu instid0(VALU_DEP_1) | instskip(NEXT) | instid1(VALU_DEP_1)
	v_dual_fma_f32 v38, v36, v34, -v0 :: v_dual_fmac_f32 v39, v37, v34
	v_pk_add_f32 v[34:35], v[38:39], 0 op_sel_hi:[1,0]
	s_and_saveexec_b32 s7, s15
	s_cbranch_execz .LBB70_641
; %bb.640:                              ;   in Loop: Header=BB70_3 Depth=1
	ds_load_b64 v[36:37], v44 offset:19248
	ds_load_b64 v[38:39], v1 offset:18728
	s_wait_dscnt 0x0
	v_pk_mul_f32 v[78:79], v[38:39], v[36:37] op_sel:[1,1] op_sel_hi:[0,1]
	s_delay_alu instid0(VALU_DEP_1) | instskip(SKIP_1) | instid1(VALU_DEP_2)
	v_pk_fma_f32 v[80:81], v[38:39], v[36:37], v[78:79] op_sel_hi:[1,0,1]
	v_pk_fma_f32 v[36:37], v[38:39], v[36:37], v[78:79] neg_lo:[0,0,1] neg_hi:[0,0,1]
	v_mov_b32_e32 v37, v81
	s_delay_alu instid0(VALU_DEP_1)
	v_pk_add_f32 v[34:35], v[34:35], v[36:37]
.LBB70_641:                             ;   in Loop: Header=BB70_3 Depth=1
	s_or_b32 exec_lo, exec_lo, s7
	s_delay_alu instid0(VALU_DEP_1)
	v_pk_add_f32 v[34:35], v[34:35], 0 neg_lo:[1,1] neg_hi:[1,1]
.LBB70_642:                             ;   in Loop: Header=BB70_3 Depth=1
	s_or_b32 exec_lo, exec_lo, s98
	s_and_saveexec_b32 s7, s45
	s_cbranch_execz .LBB70_644
; %bb.643:                              ;   in Loop: Header=BB70_3 Depth=1
	ds_load_b64 v[36:37], v1 offset:19760
	s_wait_dscnt 0x0
	v_pk_mul_f32 v[38:39], v[34:35], v[36:37] op_sel:[1,1] op_sel_hi:[1,0]
	s_delay_alu instid0(VALU_DEP_1) | instskip(SKIP_1) | instid1(VALU_DEP_2)
	v_pk_fma_f32 v[78:79], v[34:35], v[36:37], v[38:39] op_sel_hi:[0,1,1]
	v_pk_fma_f32 v[36:37], v[34:35], v[36:37], v[38:39] neg_lo:[0,0,1] neg_hi:[0,0,1]
	v_mov_b32_e32 v37, v79
	s_delay_alu instid0(VALU_DEP_1)
	v_mov_b64_e32 v[34:35], v[36:37]
	ds_store_b64 v3, v[36:37]
.LBB70_644:                             ;   in Loop: Header=BB70_3 Depth=1
	s_or_b32 exec_lo, exec_lo, s7
	s_wait_dscnt 0x0
	s_barrier_signal -1
	s_barrier_wait -1
	s_and_saveexec_b32 s7, s46
	s_cbranch_execz .LBB70_646
; %bb.645:                              ;   in Loop: Header=BB70_3 Depth=1
	ds_load_b64 v[36:37], v1 offset:19768
	ds_load_b64 v[38:39], v3
	s_wait_dscnt 0x0
	v_pk_mul_f32 v[78:79], v[38:39], v[36:37] op_sel:[1,1] op_sel_hi:[0,1]
	s_delay_alu instid0(VALU_DEP_1) | instskip(SKIP_1) | instid1(VALU_DEP_2)
	v_pk_fma_f32 v[80:81], v[38:39], v[36:37], v[78:79] op_sel_hi:[1,0,1]
	v_pk_fma_f32 v[36:37], v[38:39], v[36:37], v[78:79] neg_lo:[0,0,1] neg_hi:[0,0,1]
	v_mov_b32_e32 v37, v81
	s_delay_alu instid0(VALU_DEP_1)
	v_pk_add_f32 v[34:35], v[34:35], v[36:37]
.LBB70_646:                             ;   in Loop: Header=BB70_3 Depth=1
	s_or_b32 exec_lo, exec_lo, s7
	s_barrier_signal -1
	s_barrier_wait -1
	s_and_saveexec_b32 s7, s46
	s_cbranch_execz .LBB70_648
; %bb.647:                              ;   in Loop: Header=BB70_3 Depth=1
	ds_load_b64 v[36:37], v1 offset:20280
	s_wait_dscnt 0x0
	v_pk_mul_f32 v[38:39], v[34:35], v[36:37] op_sel:[1,1] op_sel_hi:[1,0]
	s_delay_alu instid0(VALU_DEP_1) | instskip(SKIP_1) | instid1(VALU_DEP_2)
	v_pk_fma_f32 v[78:79], v[34:35], v[36:37], v[38:39] op_sel_hi:[0,1,1]
	v_pk_fma_f32 v[36:37], v[34:35], v[36:37], v[38:39] neg_lo:[0,0,1] neg_hi:[0,0,1]
	v_mov_b32_e32 v37, v79
	s_delay_alu instid0(VALU_DEP_1)
	v_mov_b64_e32 v[34:35], v[36:37]
	ds_store_b64 v3, v[36:37]
.LBB70_648:                             ;   in Loop: Header=BB70_3 Depth=1
	s_or_b32 exec_lo, exec_lo, s7
	s_wait_dscnt 0x0
	s_barrier_signal -1
	s_barrier_wait -1
	s_barrier_signal -1
	s_barrier_wait -1
	s_and_saveexec_b32 s7, s1
; %bb.649:                              ;   in Loop: Header=BB70_3 Depth=1
	v_pk_add_f32 v[34:35], v[34:35], 0 neg_lo:[1,1] neg_hi:[1,1]
	ds_store_b64 v42, v[34:35] offset:18736
; %bb.650:                              ;   in Loop: Header=BB70_3 Depth=1
	s_or_b32 exec_lo, exec_lo, s7
	s_wait_dscnt 0x0
	s_barrier_signal -1
	s_barrier_wait -1
	s_barrier_signal -1
	s_barrier_wait -1
	s_and_saveexec_b32 s98, s14
	s_cbranch_execz .LBB70_652
; %bb.651:                              ;   in Loop: Header=BB70_3 Depth=1
	ds_load_b128 v[34:37], v1 offset:19760
	ds_load_b64 v[38:39], v1 offset:20280
	s_wait_dscnt 0x1
	v_dual_mov_b32 v78, v37 :: v_dual_mov_b32 v79, v36
	s_wait_dscnt 0x0
	v_dual_mul_f32 v77, v39, v35 :: v_dual_mul_f32 v0, v38, v35
	s_delay_alu instid0(VALU_DEP_1) | instskip(NEXT) | instid1(VALU_DEP_2)
	v_xor_b32_e32 v80, 0x80000000, v77
	v_fmac_f32_e32 v0, v39, v34
	s_delay_alu instid0(VALU_DEP_2) | instskip(NEXT) | instid1(VALU_DEP_2)
	v_fmac_f32_e32 v80, v38, v34
	v_pk_mul_f32 v[34:35], v[0:1], v[78:79] op_sel_hi:[0,1]
	s_delay_alu instid0(VALU_DEP_1) | instskip(SKIP_1) | instid1(VALU_DEP_2)
	v_pk_fma_f32 v[38:39], v[80:81], v[36:37], v[34:35] op_sel_hi:[0,1,1]
	v_pk_fma_f32 v[34:35], v[80:81], v[36:37], v[34:35] neg_lo:[0,0,1] neg_hi:[0,0,1]
	v_mov_b32_e32 v35, v39
	ds_store_b64 v1, v[34:35] offset:19768
.LBB70_652:                             ;   in Loop: Header=BB70_3 Depth=1
	s_or_b32 exec_lo, exec_lo, s98
	v_mov_b32_e32 v34, 0
	s_wait_dscnt 0x0
	s_barrier_signal -1
	s_barrier_wait -1
	s_delay_alu instid0(VALU_DEP_1)
	v_mov_b32_e32 v35, v34
	s_and_saveexec_b32 s98, s3
	s_cbranch_execz .LBB70_662
; %bb.653:                              ;   in Loop: Header=BB70_3 Depth=1
	ds_load_b64 v[34:35], v53 offset:16704
	ds_load_b64 v[36:37], v50 offset:16640
	s_wait_dscnt 0x0
	v_dual_mul_f32 v0, v37, v35 :: v_dual_mul_f32 v38, v36, v35
	s_delay_alu instid0(VALU_DEP_1) | instskip(NEXT) | instid1(VALU_DEP_1)
	v_dual_fma_f32 v0, v36, v34, -v0 :: v_dual_fmac_f32 v38, v37, v34
	v_dual_add_f32 v35, 0, v0 :: v_dual_add_f32 v34, 0, v38
	s_and_saveexec_b32 s7, s18
	s_cbranch_execnz .LBB70_1076
; %bb.654:                              ;   in Loop: Header=BB70_3 Depth=1
	s_or_b32 exec_lo, exec_lo, s7
	s_and_saveexec_b32 s7, s19
	s_cbranch_execnz .LBB70_1077
.LBB70_655:                             ;   in Loop: Header=BB70_3 Depth=1
	s_or_b32 exec_lo, exec_lo, s7
	s_and_saveexec_b32 s7, s20
	s_cbranch_execnz .LBB70_1078
.LBB70_656:                             ;   in Loop: Header=BB70_3 Depth=1
	s_or_b32 exec_lo, exec_lo, s7
	s_and_saveexec_b32 s7, s21
	s_cbranch_execnz .LBB70_1079
.LBB70_657:                             ;   in Loop: Header=BB70_3 Depth=1
	s_or_b32 exec_lo, exec_lo, s7
	s_and_saveexec_b32 s7, s22
	s_cbranch_execnz .LBB70_1080
.LBB70_658:                             ;   in Loop: Header=BB70_3 Depth=1
	s_or_b32 exec_lo, exec_lo, s7
	s_and_saveexec_b32 s7, s2
	s_cbranch_execnz .LBB70_1081
.LBB70_659:                             ;   in Loop: Header=BB70_3 Depth=1
	s_or_b32 exec_lo, exec_lo, s7
	s_and_saveexec_b32 s7, s17
	s_cbranch_execz .LBB70_661
.LBB70_660:                             ;   in Loop: Header=BB70_3 Depth=1
	ds_load_b64 v[36:37], v44 offset:20288
	ds_load_b64 v[38:39], v1 offset:16696
	s_wait_dscnt 0x0
	v_pk_mul_f32 v[78:79], v[38:39], v[36:37] op_sel:[0,1]
	s_delay_alu instid0(VALU_DEP_1) | instskip(SKIP_1) | instid1(VALU_DEP_2)
	v_pk_fma_f32 v[80:81], v[38:39], v[36:37], v[78:79] op_sel:[1,0,0] op_sel_hi:[0,0,1] neg_lo:[0,0,1] neg_hi:[0,0,1]
	v_pk_fma_f32 v[36:37], v[38:39], v[36:37], v[78:79] op_sel:[1,0,0] op_sel_hi:[0,1,1]
	v_mov_b32_e32 v37, v81
	s_delay_alu instid0(VALU_DEP_1)
	v_pk_add_f32 v[34:35], v[34:35], v[36:37]
.LBB70_661:                             ;   in Loop: Header=BB70_3 Depth=1
	s_or_b32 exec_lo, exec_lo, s7
	s_delay_alu instid0(VALU_DEP_1) | instskip(NEXT) | instid1(VALU_DEP_1)
	v_pk_add_f32 v[36:37], v[34:35], 0 neg_lo:[1,1] neg_hi:[1,1]
	v_dual_mov_b32 v34, v37 :: v_dual_mov_b32 v35, v36
.LBB70_662:                             ;   in Loop: Header=BB70_3 Depth=1
	s_or_b32 exec_lo, exec_lo, s98
	s_and_saveexec_b32 s7, s53
	s_cbranch_execz .LBB70_664
; %bb.663:                              ;   in Loop: Header=BB70_3 Depth=1
	ds_load_b64 v[36:37], v1 offset:20800
	v_dual_mov_b32 v38, v35 :: v_dual_mov_b32 v39, v34
	s_wait_dscnt 0x0
	s_delay_alu instid0(VALU_DEP_1) | instskip(NEXT) | instid1(VALU_DEP_1)
	v_dual_mul_f32 v0, v38, v36 :: v_dual_mul_f32 v78, v35, v37
	v_pk_fma_f32 v[38:39], v[38:39], v[36:37], v[0:1] op_sel_hi:[1,1,0]
	s_delay_alu instid0(VALU_DEP_2) | instskip(NEXT) | instid1(VALU_DEP_2)
	v_pk_fma_f32 v[34:35], v[34:35], v[36:37], v[78:79] op_sel_hi:[1,1,0] neg_lo:[0,0,1] neg_hi:[0,0,1]
	v_mov_b32_e32 v35, v39
	ds_store_b64 v52, v[34:35]
.LBB70_664:                             ;   in Loop: Header=BB70_3 Depth=1
	s_or_b32 exec_lo, exec_lo, s7
	s_wait_dscnt 0x0
	s_barrier_signal -1
	s_barrier_wait -1
	s_and_saveexec_b32 s7, s54
	s_cbranch_execz .LBB70_666
; %bb.665:                              ;   in Loop: Header=BB70_3 Depth=1
	ds_load_b64 v[36:37], v51 offset:20800
	ds_load_b64 v[38:39], v52
	s_wait_dscnt 0x0
	v_dual_mul_f32 v0, v39, v37 :: v_dual_mul_f32 v79, v38, v37
	s_delay_alu instid0(VALU_DEP_1) | instskip(NEXT) | instid1(VALU_DEP_1)
	v_dual_fma_f32 v78, v38, v36, -v0 :: v_dual_fmac_f32 v79, v39, v36
	v_pk_add_f32 v[34:35], v[34:35], v[78:79]
.LBB70_666:                             ;   in Loop: Header=BB70_3 Depth=1
	s_or_b32 exec_lo, exec_lo, s7
	s_barrier_signal -1
	s_barrier_wait -1
	s_and_saveexec_b32 s7, s55
	s_cbranch_execz .LBB70_668
; %bb.667:                              ;   in Loop: Header=BB70_3 Depth=1
	ds_load_b64 v[36:37], v1 offset:21320
	s_wait_dscnt 0x0
	v_pk_mul_f32 v[38:39], v[34:35], v[36:37] op_sel:[1,1] op_sel_hi:[1,0]
	s_delay_alu instid0(VALU_DEP_1) | instskip(SKIP_1) | instid1(VALU_DEP_2)
	v_pk_fma_f32 v[78:79], v[34:35], v[36:37], v[38:39] op_sel_hi:[0,1,1]
	v_pk_fma_f32 v[34:35], v[34:35], v[36:37], v[38:39] op_sel_hi:[0,1,1] neg_lo:[0,0,1] neg_hi:[0,0,1]
	v_mov_b32_e32 v35, v79
	ds_store_b64 v52, v[34:35]
.LBB70_668:                             ;   in Loop: Header=BB70_3 Depth=1
	s_or_b32 exec_lo, exec_lo, s7
	s_wait_dscnt 0x0
	s_barrier_signal -1
	s_barrier_wait -1
	s_and_saveexec_b32 s7, s56
	s_cbranch_execz .LBB70_670
; %bb.669:                              ;   in Loop: Header=BB70_3 Depth=1
	ds_load_b64 v[36:37], v51 offset:21312
	ds_load_b64 v[38:39], v52
	s_wait_dscnt 0x0
	v_pk_mul_f32 v[78:79], v[38:39], v[36:37] op_sel:[1,1] op_sel_hi:[0,1]
	s_delay_alu instid0(VALU_DEP_1) | instskip(SKIP_1) | instid1(VALU_DEP_2)
	v_pk_fma_f32 v[80:81], v[38:39], v[36:37], v[78:79] op_sel_hi:[1,0,1]
	v_pk_fma_f32 v[36:37], v[38:39], v[36:37], v[78:79] op_sel_hi:[1,0,1] neg_lo:[0,0,1] neg_hi:[0,0,1]
	v_mov_b32_e32 v37, v81
	s_delay_alu instid0(VALU_DEP_1)
	v_pk_add_f32 v[34:35], v[34:35], v[36:37]
.LBB70_670:                             ;   in Loop: Header=BB70_3 Depth=1
	s_or_b32 exec_lo, exec_lo, s7
	s_barrier_signal -1
	s_barrier_wait -1
	s_and_saveexec_b32 s7, s57
	s_cbranch_execz .LBB70_672
; %bb.671:                              ;   in Loop: Header=BB70_3 Depth=1
	ds_load_b64 v[36:37], v1 offset:21840
	s_wait_dscnt 0x0
	v_pk_mul_f32 v[38:39], v[34:35], v[36:37] op_sel:[1,1] op_sel_hi:[1,0]
	s_delay_alu instid0(VALU_DEP_1) | instskip(SKIP_1) | instid1(VALU_DEP_2)
	v_pk_fma_f32 v[78:79], v[34:35], v[36:37], v[38:39] op_sel_hi:[0,1,1]
	v_pk_fma_f32 v[34:35], v[34:35], v[36:37], v[38:39] op_sel_hi:[0,1,1] neg_lo:[0,0,1] neg_hi:[0,0,1]
	v_mov_b32_e32 v35, v79
	ds_store_b64 v52, v[34:35]
.LBB70_672:                             ;   in Loop: Header=BB70_3 Depth=1
	s_or_b32 exec_lo, exec_lo, s7
	s_wait_dscnt 0x0
	s_barrier_signal -1
	s_barrier_wait -1
	s_and_saveexec_b32 s7, s58
	s_cbranch_execz .LBB70_674
; %bb.673:                              ;   in Loop: Header=BB70_3 Depth=1
	ds_load_b64 v[36:37], v51 offset:21824
	ds_load_b64 v[38:39], v52
	s_wait_dscnt 0x0
	v_pk_mul_f32 v[78:79], v[38:39], v[36:37] op_sel:[1,1] op_sel_hi:[0,1]
	s_delay_alu instid0(VALU_DEP_1) | instskip(SKIP_1) | instid1(VALU_DEP_2)
	v_pk_fma_f32 v[80:81], v[38:39], v[36:37], v[78:79] op_sel_hi:[1,0,1]
	v_pk_fma_f32 v[36:37], v[38:39], v[36:37], v[78:79] op_sel_hi:[1,0,1] neg_lo:[0,0,1] neg_hi:[0,0,1]
	v_mov_b32_e32 v37, v81
	s_delay_alu instid0(VALU_DEP_1)
	v_pk_add_f32 v[34:35], v[34:35], v[36:37]
.LBB70_674:                             ;   in Loop: Header=BB70_3 Depth=1
	;; [unrolled: 33-line block ×3, first 2 shown]
	s_or_b32 exec_lo, exec_lo, s7
	s_barrier_signal -1
	s_barrier_wait -1
	s_and_saveexec_b32 s7, s61
	s_cbranch_execz .LBB70_680
; %bb.679:                              ;   in Loop: Header=BB70_3 Depth=1
	ds_load_b64 v[36:37], v1 offset:22880
	s_wait_dscnt 0x0
	v_dual_mul_f32 v0, v34, v37 :: v_dual_mul_f32 v38, v35, v37
	s_delay_alu instid0(VALU_DEP_1) | instskip(NEXT) | instid1(VALU_DEP_2)
	v_pk_fma_f32 v[78:79], v[34:35], v[36:37], v[0:1] op_sel:[0,1,0] op_sel_hi:[1,0,0]
	v_pk_fma_f32 v[36:37], v[34:35], v[36:37], v[38:39] op_sel_hi:[1,1,0] neg_lo:[0,0,1] neg_hi:[0,0,1]
	s_delay_alu instid0(VALU_DEP_2) | instskip(NEXT) | instid1(VALU_DEP_1)
	v_mov_b32_e32 v37, v79
	v_mov_b64_e32 v[34:35], v[36:37]
	ds_store_b64 v52, v[36:37]
.LBB70_680:                             ;   in Loop: Header=BB70_3 Depth=1
	s_or_b32 exec_lo, exec_lo, s7
	s_wait_dscnt 0x0
	s_barrier_signal -1
	s_barrier_wait -1
	s_and_saveexec_b32 s7, s62
	s_cbranch_execz .LBB70_682
; %bb.681:                              ;   in Loop: Header=BB70_3 Depth=1
	ds_load_b64 v[36:37], v51 offset:22848
	ds_load_b64 v[38:39], v52
	s_wait_dscnt 0x0
	v_dual_mul_f32 v0, v39, v37 :: v_dual_mul_f32 v79, v38, v37
	s_delay_alu instid0(VALU_DEP_1) | instskip(NEXT) | instid1(VALU_DEP_1)
	v_dual_fma_f32 v78, v38, v36, -v0 :: v_dual_fmac_f32 v79, v39, v36
	v_pk_add_f32 v[34:35], v[34:35], v[78:79]
.LBB70_682:                             ;   in Loop: Header=BB70_3 Depth=1
	s_or_b32 exec_lo, exec_lo, s7
	s_barrier_signal -1
	s_barrier_wait -1
	s_and_saveexec_b32 s7, s63
	s_cbranch_execz .LBB70_684
; %bb.683:                              ;   in Loop: Header=BB70_3 Depth=1
	ds_load_b64 v[36:37], v1 offset:23400
	s_wait_dscnt 0x0
	v_pk_mul_f32 v[38:39], v[34:35], v[36:37] op_sel:[1,1] op_sel_hi:[1,0]
	s_delay_alu instid0(VALU_DEP_1) | instskip(SKIP_1) | instid1(VALU_DEP_2)
	v_pk_fma_f32 v[78:79], v[34:35], v[36:37], v[38:39] op_sel_hi:[0,1,1]
	v_pk_fma_f32 v[36:37], v[34:35], v[36:37], v[38:39] neg_lo:[0,0,1] neg_hi:[0,0,1]
	v_mov_b32_e32 v37, v79
	s_delay_alu instid0(VALU_DEP_1)
	v_mov_b64_e32 v[34:35], v[36:37]
	ds_store_b64 v52, v[36:37]
.LBB70_684:                             ;   in Loop: Header=BB70_3 Depth=1
	s_or_b32 exec_lo, exec_lo, s7
	s_wait_dscnt 0x0
	s_barrier_signal -1
	s_barrier_wait -1
	s_and_saveexec_b32 s7, s64
	s_cbranch_execz .LBB70_686
; %bb.685:                              ;   in Loop: Header=BB70_3 Depth=1
	ds_load_b64 v[36:37], v51 offset:23360
	ds_load_b64 v[38:39], v52
	s_wait_dscnt 0x0
	v_pk_mul_f32 v[78:79], v[38:39], v[36:37] op_sel:[1,1] op_sel_hi:[0,1]
	s_delay_alu instid0(VALU_DEP_1) | instskip(SKIP_1) | instid1(VALU_DEP_2)
	v_pk_fma_f32 v[80:81], v[38:39], v[36:37], v[78:79] op_sel_hi:[1,0,1]
	v_pk_fma_f32 v[36:37], v[38:39], v[36:37], v[78:79] neg_lo:[0,0,1] neg_hi:[0,0,1]
	v_mov_b32_e32 v37, v81
	s_delay_alu instid0(VALU_DEP_1)
	v_pk_add_f32 v[34:35], v[34:35], v[36:37]
.LBB70_686:                             ;   in Loop: Header=BB70_3 Depth=1
	s_or_b32 exec_lo, exec_lo, s7
	s_barrier_signal -1
	s_barrier_wait -1
	s_and_saveexec_b32 s7, s65
	s_cbranch_execz .LBB70_688
; %bb.687:                              ;   in Loop: Header=BB70_3 Depth=1
	ds_load_b64 v[36:37], v1 offset:23920
	s_wait_dscnt 0x0
	v_pk_mul_f32 v[38:39], v[34:35], v[36:37] op_sel:[1,1] op_sel_hi:[1,0]
	s_delay_alu instid0(VALU_DEP_1) | instskip(SKIP_1) | instid1(VALU_DEP_2)
	v_pk_fma_f32 v[78:79], v[34:35], v[36:37], v[38:39] op_sel_hi:[0,1,1]
	v_pk_fma_f32 v[36:37], v[34:35], v[36:37], v[38:39] neg_lo:[0,0,1] neg_hi:[0,0,1]
	v_mov_b32_e32 v37, v79
	s_delay_alu instid0(VALU_DEP_1)
	v_mov_b64_e32 v[34:35], v[36:37]
	ds_store_b64 v52, v[36:37]
.LBB70_688:                             ;   in Loop: Header=BB70_3 Depth=1
	s_or_b32 exec_lo, exec_lo, s7
	s_wait_dscnt 0x0
	s_barrier_signal -1
	s_barrier_wait -1
	s_and_saveexec_b32 s7, s66
	s_cbranch_execz .LBB70_690
; %bb.689:                              ;   in Loop: Header=BB70_3 Depth=1
	ds_load_b64 v[36:37], v1 offset:23928
	ds_load_b64 v[38:39], v52
	s_wait_dscnt 0x0
	v_pk_mul_f32 v[78:79], v[38:39], v[36:37] op_sel:[1,1] op_sel_hi:[0,1]
	s_delay_alu instid0(VALU_DEP_1) | instskip(SKIP_1) | instid1(VALU_DEP_2)
	v_pk_fma_f32 v[80:81], v[38:39], v[36:37], v[78:79] op_sel_hi:[1,0,1]
	v_pk_fma_f32 v[36:37], v[38:39], v[36:37], v[78:79] neg_lo:[0,0,1] neg_hi:[0,0,1]
	v_mov_b32_e32 v37, v81
	s_delay_alu instid0(VALU_DEP_1)
	v_pk_add_f32 v[34:35], v[34:35], v[36:37]
.LBB70_690:                             ;   in Loop: Header=BB70_3 Depth=1
	s_or_b32 exec_lo, exec_lo, s7
	s_barrier_signal -1
	s_barrier_wait -1
	s_and_saveexec_b32 s7, s66
	s_cbranch_execz .LBB70_692
; %bb.691:                              ;   in Loop: Header=BB70_3 Depth=1
	ds_load_b64 v[36:37], v1 offset:24440
	s_wait_dscnt 0x0
	v_pk_mul_f32 v[38:39], v[34:35], v[36:37] op_sel:[1,1] op_sel_hi:[1,0]
	s_delay_alu instid0(VALU_DEP_1) | instskip(SKIP_1) | instid1(VALU_DEP_2)
	v_pk_fma_f32 v[78:79], v[34:35], v[36:37], v[38:39] op_sel_hi:[0,1,1]
	v_pk_fma_f32 v[36:37], v[34:35], v[36:37], v[38:39] neg_lo:[0,0,1] neg_hi:[0,0,1]
	v_mov_b32_e32 v37, v79
	s_delay_alu instid0(VALU_DEP_1)
	v_mov_b64_e32 v[34:35], v[36:37]
	ds_store_b64 v52, v[36:37]
.LBB70_692:                             ;   in Loop: Header=BB70_3 Depth=1
	s_or_b32 exec_lo, exec_lo, s7
	s_wait_dscnt 0x0
	s_barrier_signal -1
	s_barrier_wait -1
	s_barrier_signal -1
	s_barrier_wait -1
	s_and_saveexec_b32 s7, s3
; %bb.693:                              ;   in Loop: Header=BB70_3 Depth=1
	v_pk_add_f32 v[34:35], v[34:35], 0 neg_lo:[1,1] neg_hi:[1,1]
	ds_store_b64 v53, v[34:35] offset:16704
; %bb.694:                              ;   in Loop: Header=BB70_3 Depth=1
	s_or_b32 exec_lo, exec_lo, s7
	s_wait_dscnt 0x0
	s_barrier_signal -1
	s_barrier_wait -1
	s_barrier_signal -1
	s_barrier_wait -1
	s_and_saveexec_b32 s98, s14
	s_cbranch_execz .LBB70_696
; %bb.695:                              ;   in Loop: Header=BB70_3 Depth=1
	ds_load_b128 v[34:37], v1 offset:20800
	ds_load_b64 v[38:39], v1 offset:21320
	s_wait_dscnt 0x1
	v_dual_mov_b32 v78, v37 :: v_dual_mov_b32 v79, v36
	s_wait_dscnt 0x0
	v_dual_mul_f32 v77, v39, v35 :: v_dual_mul_f32 v0, v38, v35
	s_delay_alu instid0(VALU_DEP_1) | instskip(NEXT) | instid1(VALU_DEP_2)
	v_xor_b32_e32 v80, 0x80000000, v77
	v_fmac_f32_e32 v0, v39, v34
	s_delay_alu instid0(VALU_DEP_2) | instskip(NEXT) | instid1(VALU_DEP_2)
	v_fmac_f32_e32 v80, v38, v34
	v_pk_mul_f32 v[34:35], v[0:1], v[78:79] op_sel_hi:[0,1]
	s_delay_alu instid0(VALU_DEP_1) | instskip(SKIP_1) | instid1(VALU_DEP_2)
	v_pk_fma_f32 v[38:39], v[80:81], v[36:37], v[34:35] op_sel_hi:[0,1,1]
	v_pk_fma_f32 v[34:35], v[80:81], v[36:37], v[34:35] neg_lo:[0,0,1] neg_hi:[0,0,1]
	v_mov_b32_e32 v35, v39
	ds_store_b64 v1, v[34:35] offset:20808
.LBB70_696:                             ;   in Loop: Header=BB70_3 Depth=1
	s_or_b32 exec_lo, exec_lo, s98
	v_mov_b32_e32 v35, 0
	s_wait_dscnt 0x0
	s_barrier_signal -1
	s_barrier_wait -1
	s_delay_alu instid0(VALU_DEP_1)
	v_mov_b32_e32 v34, v35
	s_and_saveexec_b32 s98, s1
	s_cbranch_execz .LBB70_700
; %bb.697:                              ;   in Loop: Header=BB70_3 Depth=1
	ds_load_b64 v[34:35], v42 offset:20816
	ds_load_b64 v[36:37], v43 offset:20800
	s_wait_dscnt 0x0
	v_dual_mul_f32 v0, v37, v35 :: v_dual_mul_f32 v39, v36, v35
	s_delay_alu instid0(VALU_DEP_1) | instskip(NEXT) | instid1(VALU_DEP_1)
	v_dual_fma_f32 v38, v36, v34, -v0 :: v_dual_fmac_f32 v39, v37, v34
	v_pk_add_f32 v[34:35], v[38:39], 0 op_sel_hi:[1,0]
	s_and_saveexec_b32 s7, s15
	s_cbranch_execz .LBB70_699
; %bb.698:                              ;   in Loop: Header=BB70_3 Depth=1
	ds_load_b64 v[36:37], v44 offset:21328
	ds_load_b64 v[38:39], v1 offset:20808
	s_wait_dscnt 0x0
	v_pk_mul_f32 v[78:79], v[38:39], v[36:37] op_sel:[1,1] op_sel_hi:[0,1]
	s_delay_alu instid0(VALU_DEP_1) | instskip(SKIP_1) | instid1(VALU_DEP_2)
	v_pk_fma_f32 v[80:81], v[38:39], v[36:37], v[78:79] op_sel_hi:[1,0,1]
	v_pk_fma_f32 v[36:37], v[38:39], v[36:37], v[78:79] neg_lo:[0,0,1] neg_hi:[0,0,1]
	v_mov_b32_e32 v37, v81
	s_delay_alu instid0(VALU_DEP_1)
	v_pk_add_f32 v[34:35], v[34:35], v[36:37]
.LBB70_699:                             ;   in Loop: Header=BB70_3 Depth=1
	s_or_b32 exec_lo, exec_lo, s7
	s_delay_alu instid0(VALU_DEP_1)
	v_pk_add_f32 v[34:35], v[34:35], 0 neg_lo:[1,1] neg_hi:[1,1]
.LBB70_700:                             ;   in Loop: Header=BB70_3 Depth=1
	s_or_b32 exec_lo, exec_lo, s98
	s_and_saveexec_b32 s7, s45
	s_cbranch_execz .LBB70_702
; %bb.701:                              ;   in Loop: Header=BB70_3 Depth=1
	ds_load_b64 v[36:37], v1 offset:21840
	s_wait_dscnt 0x0
	v_pk_mul_f32 v[38:39], v[34:35], v[36:37] op_sel:[1,1] op_sel_hi:[1,0]
	s_delay_alu instid0(VALU_DEP_1) | instskip(SKIP_1) | instid1(VALU_DEP_2)
	v_pk_fma_f32 v[78:79], v[34:35], v[36:37], v[38:39] op_sel_hi:[0,1,1]
	v_pk_fma_f32 v[36:37], v[34:35], v[36:37], v[38:39] neg_lo:[0,0,1] neg_hi:[0,0,1]
	v_mov_b32_e32 v37, v79
	s_delay_alu instid0(VALU_DEP_1)
	v_mov_b64_e32 v[34:35], v[36:37]
	ds_store_b64 v3, v[36:37]
.LBB70_702:                             ;   in Loop: Header=BB70_3 Depth=1
	s_or_b32 exec_lo, exec_lo, s7
	s_wait_dscnt 0x0
	s_barrier_signal -1
	s_barrier_wait -1
	s_and_saveexec_b32 s7, s46
	s_cbranch_execz .LBB70_704
; %bb.703:                              ;   in Loop: Header=BB70_3 Depth=1
	ds_load_b64 v[36:37], v1 offset:21848
	ds_load_b64 v[38:39], v3
	s_wait_dscnt 0x0
	v_pk_mul_f32 v[78:79], v[38:39], v[36:37] op_sel:[1,1] op_sel_hi:[0,1]
	s_delay_alu instid0(VALU_DEP_1) | instskip(SKIP_1) | instid1(VALU_DEP_2)
	v_pk_fma_f32 v[80:81], v[38:39], v[36:37], v[78:79] op_sel_hi:[1,0,1]
	v_pk_fma_f32 v[36:37], v[38:39], v[36:37], v[78:79] neg_lo:[0,0,1] neg_hi:[0,0,1]
	v_mov_b32_e32 v37, v81
	s_delay_alu instid0(VALU_DEP_1)
	v_pk_add_f32 v[34:35], v[34:35], v[36:37]
.LBB70_704:                             ;   in Loop: Header=BB70_3 Depth=1
	s_or_b32 exec_lo, exec_lo, s7
	s_barrier_signal -1
	s_barrier_wait -1
	s_and_saveexec_b32 s7, s46
	s_cbranch_execz .LBB70_706
; %bb.705:                              ;   in Loop: Header=BB70_3 Depth=1
	ds_load_b64 v[36:37], v1 offset:22360
	s_wait_dscnt 0x0
	v_pk_mul_f32 v[38:39], v[34:35], v[36:37] op_sel:[1,1] op_sel_hi:[1,0]
	s_delay_alu instid0(VALU_DEP_1) | instskip(SKIP_1) | instid1(VALU_DEP_2)
	v_pk_fma_f32 v[78:79], v[34:35], v[36:37], v[38:39] op_sel_hi:[0,1,1]
	v_pk_fma_f32 v[36:37], v[34:35], v[36:37], v[38:39] neg_lo:[0,0,1] neg_hi:[0,0,1]
	v_mov_b32_e32 v37, v79
	s_delay_alu instid0(VALU_DEP_1)
	v_mov_b64_e32 v[34:35], v[36:37]
	ds_store_b64 v3, v[36:37]
.LBB70_706:                             ;   in Loop: Header=BB70_3 Depth=1
	s_or_b32 exec_lo, exec_lo, s7
	s_wait_dscnt 0x0
	s_barrier_signal -1
	s_barrier_wait -1
	s_barrier_signal -1
	s_barrier_wait -1
	s_and_saveexec_b32 s7, s1
; %bb.707:                              ;   in Loop: Header=BB70_3 Depth=1
	v_pk_add_f32 v[34:35], v[34:35], 0 neg_lo:[1,1] neg_hi:[1,1]
	ds_store_b64 v42, v[34:35] offset:20816
; %bb.708:                              ;   in Loop: Header=BB70_3 Depth=1
	s_or_b32 exec_lo, exec_lo, s7
	s_wait_dscnt 0x0
	s_barrier_signal -1
	s_barrier_wait -1
	s_barrier_signal -1
	s_barrier_wait -1
	s_and_saveexec_b32 s98, s14
	s_cbranch_execz .LBB70_710
; %bb.709:                              ;   in Loop: Header=BB70_3 Depth=1
	ds_load_b128 v[34:37], v1 offset:21840
	ds_load_b64 v[38:39], v1 offset:22360
	s_wait_dscnt 0x1
	v_dual_mov_b32 v78, v37 :: v_dual_mov_b32 v79, v36
	s_wait_dscnt 0x0
	v_dual_mul_f32 v77, v39, v35 :: v_dual_mul_f32 v0, v38, v35
	s_delay_alu instid0(VALU_DEP_1) | instskip(NEXT) | instid1(VALU_DEP_2)
	v_xor_b32_e32 v80, 0x80000000, v77
	v_fmac_f32_e32 v0, v39, v34
	s_delay_alu instid0(VALU_DEP_2) | instskip(NEXT) | instid1(VALU_DEP_2)
	v_fmac_f32_e32 v80, v38, v34
	v_pk_mul_f32 v[34:35], v[0:1], v[78:79] op_sel_hi:[0,1]
	s_delay_alu instid0(VALU_DEP_1) | instskip(SKIP_1) | instid1(VALU_DEP_2)
	v_pk_fma_f32 v[38:39], v[80:81], v[36:37], v[34:35] op_sel_hi:[0,1,1]
	v_pk_fma_f32 v[34:35], v[80:81], v[36:37], v[34:35] neg_lo:[0,0,1] neg_hi:[0,0,1]
	v_mov_b32_e32 v35, v39
	ds_store_b64 v1, v[34:35] offset:21848
.LBB70_710:                             ;   in Loop: Header=BB70_3 Depth=1
	s_or_b32 exec_lo, exec_lo, s98
	v_mov_b32_e32 v34, 0
	s_wait_dscnt 0x0
	s_barrier_signal -1
	s_barrier_wait -1
	s_delay_alu instid0(VALU_DEP_1)
	v_mov_b32_e32 v35, v34
	s_and_saveexec_b32 s98, s2
	s_cbranch_execz .LBB70_716
; %bb.711:                              ;   in Loop: Header=BB70_3 Depth=1
	ds_load_b64 v[34:35], v48 offset:20832
	ds_load_b64 v[36:37], v46 offset:20800
	s_wait_dscnt 0x0
	v_pk_mul_f32 v[38:39], v[36:37], v[34:35] op_sel:[0,1]
	s_delay_alu instid0(VALU_DEP_1) | instskip(SKIP_1) | instid1(VALU_DEP_2)
	v_pk_fma_f32 v[78:79], v[36:37], v[34:35], v[38:39] op_sel:[1,0,0] op_sel_hi:[0,0,1] neg_lo:[0,0,1] neg_hi:[0,0,1]
	v_pk_fma_f32 v[34:35], v[36:37], v[34:35], v[38:39] op_sel:[1,0,0] op_sel_hi:[0,1,1]
	v_mov_b32_e32 v35, v79
	s_delay_alu instid0(VALU_DEP_1)
	v_pk_add_f32 v[34:35], v[34:35], 0 op_sel_hi:[1,0]
	s_and_saveexec_b32 s7, s16
	s_cbranch_execnz .LBB70_1082
; %bb.712:                              ;   in Loop: Header=BB70_3 Depth=1
	s_or_b32 exec_lo, exec_lo, s7
	s_and_saveexec_b32 s7, s17
	s_cbranch_execnz .LBB70_1083
.LBB70_713:                             ;   in Loop: Header=BB70_3 Depth=1
	s_or_b32 exec_lo, exec_lo, s7
	s_and_saveexec_b32 s7, s1
	s_cbranch_execz .LBB70_715
.LBB70_714:                             ;   in Loop: Header=BB70_3 Depth=1
	ds_load_b64 v[36:37], v44 offset:22368
	ds_load_b64 v[38:39], v1 offset:20824
	s_wait_dscnt 0x0
	v_pk_mul_f32 v[78:79], v[38:39], v[36:37] op_sel:[0,1]
	s_delay_alu instid0(VALU_DEP_1) | instskip(SKIP_1) | instid1(VALU_DEP_2)
	v_pk_fma_f32 v[80:81], v[38:39], v[36:37], v[78:79] op_sel:[1,0,0] op_sel_hi:[0,0,1] neg_lo:[0,0,1] neg_hi:[0,0,1]
	v_pk_fma_f32 v[36:37], v[38:39], v[36:37], v[78:79] op_sel:[1,0,0] op_sel_hi:[0,1,1]
	v_mov_b32_e32 v37, v81
	s_delay_alu instid0(VALU_DEP_1)
	v_pk_add_f32 v[34:35], v[34:35], v[36:37]
.LBB70_715:                             ;   in Loop: Header=BB70_3 Depth=1
	s_or_b32 exec_lo, exec_lo, s7
	s_delay_alu instid0(VALU_DEP_1) | instskip(NEXT) | instid1(VALU_DEP_1)
	v_pk_add_f32 v[36:37], v[34:35], 0 neg_lo:[1,1] neg_hi:[1,1]
	v_dual_mov_b32 v34, v37 :: v_dual_mov_b32 v35, v36
.LBB70_716:                             ;   in Loop: Header=BB70_3 Depth=1
	s_or_b32 exec_lo, exec_lo, s98
	s_and_saveexec_b32 s7, s47
	s_cbranch_execz .LBB70_718
; %bb.717:                              ;   in Loop: Header=BB70_3 Depth=1
	ds_load_b64 v[36:37], v1 offset:22880
	v_dual_mov_b32 v38, v35 :: v_dual_mov_b32 v39, v34
	s_wait_dscnt 0x0
	s_delay_alu instid0(VALU_DEP_1) | instskip(NEXT) | instid1(VALU_DEP_1)
	v_dual_mul_f32 v0, v38, v36 :: v_dual_mul_f32 v78, v35, v37
	v_pk_fma_f32 v[38:39], v[38:39], v[36:37], v[0:1] op_sel_hi:[1,1,0]
	s_delay_alu instid0(VALU_DEP_2) | instskip(NEXT) | instid1(VALU_DEP_2)
	v_pk_fma_f32 v[34:35], v[34:35], v[36:37], v[78:79] op_sel_hi:[1,1,0] neg_lo:[0,0,1] neg_hi:[0,0,1]
	v_mov_b32_e32 v35, v39
	ds_store_b64 v47, v[34:35]
.LBB70_718:                             ;   in Loop: Header=BB70_3 Depth=1
	s_or_b32 exec_lo, exec_lo, s7
	s_wait_dscnt 0x0
	s_barrier_signal -1
	s_barrier_wait -1
	s_and_saveexec_b32 s7, s48
	s_cbranch_execz .LBB70_720
; %bb.719:                              ;   in Loop: Header=BB70_3 Depth=1
	ds_load_b64 v[36:37], v45 offset:22880
	ds_load_b64 v[38:39], v47
	s_wait_dscnt 0x0
	v_dual_mul_f32 v0, v39, v37 :: v_dual_mul_f32 v79, v38, v37
	s_delay_alu instid0(VALU_DEP_1) | instskip(NEXT) | instid1(VALU_DEP_1)
	v_dual_fma_f32 v78, v38, v36, -v0 :: v_dual_fmac_f32 v79, v39, v36
	v_pk_add_f32 v[34:35], v[34:35], v[78:79]
.LBB70_720:                             ;   in Loop: Header=BB70_3 Depth=1
	s_or_b32 exec_lo, exec_lo, s7
	s_barrier_signal -1
	s_barrier_wait -1
	s_and_saveexec_b32 s7, s49
	s_cbranch_execz .LBB70_722
; %bb.721:                              ;   in Loop: Header=BB70_3 Depth=1
	ds_load_b64 v[36:37], v1 offset:23400
	s_wait_dscnt 0x0
	v_pk_mul_f32 v[38:39], v[34:35], v[36:37] op_sel:[1,1] op_sel_hi:[1,0]
	s_delay_alu instid0(VALU_DEP_1) | instskip(SKIP_1) | instid1(VALU_DEP_2)
	v_pk_fma_f32 v[78:79], v[34:35], v[36:37], v[38:39] op_sel_hi:[0,1,1]
	v_pk_fma_f32 v[36:37], v[34:35], v[36:37], v[38:39] neg_lo:[0,0,1] neg_hi:[0,0,1]
	v_mov_b32_e32 v37, v79
	s_delay_alu instid0(VALU_DEP_1)
	v_mov_b64_e32 v[34:35], v[36:37]
	ds_store_b64 v47, v[36:37]
.LBB70_722:                             ;   in Loop: Header=BB70_3 Depth=1
	s_or_b32 exec_lo, exec_lo, s7
	s_wait_dscnt 0x0
	s_barrier_signal -1
	s_barrier_wait -1
	s_and_saveexec_b32 s7, s50
	s_cbranch_execz .LBB70_724
; %bb.723:                              ;   in Loop: Header=BB70_3 Depth=1
	ds_load_b64 v[36:37], v45 offset:23392
	ds_load_b64 v[38:39], v47
	s_wait_dscnt 0x0
	v_pk_mul_f32 v[78:79], v[38:39], v[36:37] op_sel:[1,1] op_sel_hi:[0,1]
	s_delay_alu instid0(VALU_DEP_1) | instskip(SKIP_1) | instid1(VALU_DEP_2)
	v_pk_fma_f32 v[80:81], v[38:39], v[36:37], v[78:79] op_sel_hi:[1,0,1]
	v_pk_fma_f32 v[36:37], v[38:39], v[36:37], v[78:79] neg_lo:[0,0,1] neg_hi:[0,0,1]
	v_mov_b32_e32 v37, v81
	s_delay_alu instid0(VALU_DEP_1)
	v_pk_add_f32 v[34:35], v[34:35], v[36:37]
.LBB70_724:                             ;   in Loop: Header=BB70_3 Depth=1
	s_or_b32 exec_lo, exec_lo, s7
	s_barrier_signal -1
	s_barrier_wait -1
	s_and_saveexec_b32 s7, s51
	s_cbranch_execz .LBB70_726
; %bb.725:                              ;   in Loop: Header=BB70_3 Depth=1
	ds_load_b64 v[36:37], v1 offset:23920
	s_wait_dscnt 0x0
	v_pk_mul_f32 v[38:39], v[34:35], v[36:37] op_sel:[1,1] op_sel_hi:[1,0]
	s_delay_alu instid0(VALU_DEP_1) | instskip(SKIP_1) | instid1(VALU_DEP_2)
	v_pk_fma_f32 v[78:79], v[34:35], v[36:37], v[38:39] op_sel_hi:[0,1,1]
	v_pk_fma_f32 v[36:37], v[34:35], v[36:37], v[38:39] neg_lo:[0,0,1] neg_hi:[0,0,1]
	v_mov_b32_e32 v37, v79
	s_delay_alu instid0(VALU_DEP_1)
	v_mov_b64_e32 v[34:35], v[36:37]
	ds_store_b64 v47, v[36:37]
.LBB70_726:                             ;   in Loop: Header=BB70_3 Depth=1
	s_or_b32 exec_lo, exec_lo, s7
	s_wait_dscnt 0x0
	s_barrier_signal -1
	s_barrier_wait -1
	s_and_saveexec_b32 s7, s52
	s_cbranch_execz .LBB70_728
; %bb.727:                              ;   in Loop: Header=BB70_3 Depth=1
	ds_load_b64 v[36:37], v1 offset:23928
	ds_load_b64 v[38:39], v47
	s_wait_dscnt 0x0
	v_pk_mul_f32 v[78:79], v[38:39], v[36:37] op_sel:[1,1] op_sel_hi:[0,1]
	s_delay_alu instid0(VALU_DEP_1) | instskip(SKIP_1) | instid1(VALU_DEP_2)
	v_pk_fma_f32 v[80:81], v[38:39], v[36:37], v[78:79] op_sel_hi:[1,0,1]
	v_pk_fma_f32 v[36:37], v[38:39], v[36:37], v[78:79] neg_lo:[0,0,1] neg_hi:[0,0,1]
	v_mov_b32_e32 v37, v81
	s_delay_alu instid0(VALU_DEP_1)
	v_pk_add_f32 v[34:35], v[34:35], v[36:37]
.LBB70_728:                             ;   in Loop: Header=BB70_3 Depth=1
	s_or_b32 exec_lo, exec_lo, s7
	s_barrier_signal -1
	s_barrier_wait -1
	s_and_saveexec_b32 s7, s52
	s_cbranch_execz .LBB70_730
; %bb.729:                              ;   in Loop: Header=BB70_3 Depth=1
	ds_load_b64 v[36:37], v1 offset:24440
	s_wait_dscnt 0x0
	v_pk_mul_f32 v[38:39], v[34:35], v[36:37] op_sel:[1,1] op_sel_hi:[1,0]
	s_delay_alu instid0(VALU_DEP_1) | instskip(SKIP_1) | instid1(VALU_DEP_2)
	v_pk_fma_f32 v[78:79], v[34:35], v[36:37], v[38:39] op_sel_hi:[0,1,1]
	v_pk_fma_f32 v[36:37], v[34:35], v[36:37], v[38:39] neg_lo:[0,0,1] neg_hi:[0,0,1]
	v_mov_b32_e32 v37, v79
	s_delay_alu instid0(VALU_DEP_1)
	v_mov_b64_e32 v[34:35], v[36:37]
	ds_store_b64 v47, v[36:37]
.LBB70_730:                             ;   in Loop: Header=BB70_3 Depth=1
	s_or_b32 exec_lo, exec_lo, s7
	s_wait_dscnt 0x0
	s_barrier_signal -1
	s_barrier_wait -1
	s_barrier_signal -1
	s_barrier_wait -1
	s_and_saveexec_b32 s7, s2
; %bb.731:                              ;   in Loop: Header=BB70_3 Depth=1
	v_pk_add_f32 v[34:35], v[34:35], 0 neg_lo:[1,1] neg_hi:[1,1]
	ds_store_b64 v48, v[34:35] offset:20832
; %bb.732:                              ;   in Loop: Header=BB70_3 Depth=1
	s_or_b32 exec_lo, exec_lo, s7
	s_wait_dscnt 0x0
	s_barrier_signal -1
	s_barrier_wait -1
	s_barrier_signal -1
	s_barrier_wait -1
	s_and_saveexec_b32 s98, s14
	s_cbranch_execz .LBB70_734
; %bb.733:                              ;   in Loop: Header=BB70_3 Depth=1
	ds_load_b128 v[34:37], v1 offset:22880
	ds_load_b64 v[38:39], v1 offset:23400
	s_wait_dscnt 0x1
	v_dual_mov_b32 v78, v37 :: v_dual_mov_b32 v79, v36
	s_wait_dscnt 0x0
	v_dual_mul_f32 v77, v39, v35 :: v_dual_mul_f32 v0, v38, v35
	s_delay_alu instid0(VALU_DEP_1) | instskip(NEXT) | instid1(VALU_DEP_2)
	v_xor_b32_e32 v80, 0x80000000, v77
	v_fmac_f32_e32 v0, v39, v34
	s_delay_alu instid0(VALU_DEP_2) | instskip(NEXT) | instid1(VALU_DEP_2)
	v_fmac_f32_e32 v80, v38, v34
	v_pk_mul_f32 v[34:35], v[0:1], v[78:79] op_sel_hi:[0,1]
	s_delay_alu instid0(VALU_DEP_1) | instskip(SKIP_1) | instid1(VALU_DEP_2)
	v_pk_fma_f32 v[38:39], v[80:81], v[36:37], v[34:35] op_sel_hi:[0,1,1]
	v_pk_fma_f32 v[34:35], v[80:81], v[36:37], v[34:35] neg_lo:[0,0,1] neg_hi:[0,0,1]
	v_mov_b32_e32 v35, v39
	ds_store_b64 v1, v[34:35] offset:22888
.LBB70_734:                             ;   in Loop: Header=BB70_3 Depth=1
	s_or_b32 exec_lo, exec_lo, s98
	v_mov_b32_e32 v35, 0
	s_wait_dscnt 0x0
	s_barrier_signal -1
	s_barrier_wait -1
	s_delay_alu instid0(VALU_DEP_1)
	v_mov_b32_e32 v34, v35
	s_and_saveexec_b32 s98, s1
	s_cbranch_execz .LBB70_738
; %bb.735:                              ;   in Loop: Header=BB70_3 Depth=1
	ds_load_b64 v[34:35], v42 offset:22896
	ds_load_b64 v[36:37], v43 offset:22880
	s_wait_dscnt 0x0
	v_dual_mul_f32 v0, v37, v35 :: v_dual_mul_f32 v39, v36, v35
	s_delay_alu instid0(VALU_DEP_1) | instskip(NEXT) | instid1(VALU_DEP_1)
	v_dual_fma_f32 v38, v36, v34, -v0 :: v_dual_fmac_f32 v39, v37, v34
	v_pk_add_f32 v[34:35], v[38:39], 0 op_sel_hi:[1,0]
	s_and_saveexec_b32 s7, s15
	s_cbranch_execz .LBB70_737
; %bb.736:                              ;   in Loop: Header=BB70_3 Depth=1
	ds_load_b64 v[36:37], v44 offset:23408
	ds_load_b64 v[38:39], v1 offset:22888
	s_wait_dscnt 0x0
	v_pk_mul_f32 v[78:79], v[38:39], v[36:37] op_sel:[1,1] op_sel_hi:[0,1]
	s_delay_alu instid0(VALU_DEP_1) | instskip(SKIP_1) | instid1(VALU_DEP_2)
	v_pk_fma_f32 v[80:81], v[38:39], v[36:37], v[78:79] op_sel_hi:[1,0,1]
	v_pk_fma_f32 v[36:37], v[38:39], v[36:37], v[78:79] neg_lo:[0,0,1] neg_hi:[0,0,1]
	v_mov_b32_e32 v37, v81
	s_delay_alu instid0(VALU_DEP_1)
	v_pk_add_f32 v[34:35], v[34:35], v[36:37]
.LBB70_737:                             ;   in Loop: Header=BB70_3 Depth=1
	s_or_b32 exec_lo, exec_lo, s7
	s_delay_alu instid0(VALU_DEP_1)
	v_pk_add_f32 v[34:35], v[34:35], 0 neg_lo:[1,1] neg_hi:[1,1]
.LBB70_738:                             ;   in Loop: Header=BB70_3 Depth=1
	s_or_b32 exec_lo, exec_lo, s98
	s_and_saveexec_b32 s7, s45
	s_cbranch_execz .LBB70_740
; %bb.739:                              ;   in Loop: Header=BB70_3 Depth=1
	ds_load_b64 v[36:37], v1 offset:23920
	s_wait_dscnt 0x0
	v_pk_mul_f32 v[38:39], v[34:35], v[36:37] op_sel:[1,1] op_sel_hi:[1,0]
	s_delay_alu instid0(VALU_DEP_1) | instskip(SKIP_1) | instid1(VALU_DEP_2)
	v_pk_fma_f32 v[78:79], v[34:35], v[36:37], v[38:39] op_sel_hi:[0,1,1]
	v_pk_fma_f32 v[36:37], v[34:35], v[36:37], v[38:39] neg_lo:[0,0,1] neg_hi:[0,0,1]
	v_mov_b32_e32 v37, v79
	s_delay_alu instid0(VALU_DEP_1)
	v_mov_b64_e32 v[34:35], v[36:37]
	ds_store_b64 v3, v[36:37]
.LBB70_740:                             ;   in Loop: Header=BB70_3 Depth=1
	s_or_b32 exec_lo, exec_lo, s7
	s_wait_dscnt 0x0
	s_barrier_signal -1
	s_barrier_wait -1
	s_and_saveexec_b32 s7, s46
	s_cbranch_execz .LBB70_742
; %bb.741:                              ;   in Loop: Header=BB70_3 Depth=1
	ds_load_b64 v[36:37], v1 offset:23928
	ds_load_b64 v[38:39], v3
	s_wait_dscnt 0x0
	v_pk_mul_f32 v[78:79], v[38:39], v[36:37] op_sel:[1,1] op_sel_hi:[0,1]
	s_delay_alu instid0(VALU_DEP_1) | instskip(SKIP_1) | instid1(VALU_DEP_2)
	v_pk_fma_f32 v[80:81], v[38:39], v[36:37], v[78:79] op_sel_hi:[1,0,1]
	v_pk_fma_f32 v[36:37], v[38:39], v[36:37], v[78:79] neg_lo:[0,0,1] neg_hi:[0,0,1]
	v_mov_b32_e32 v37, v81
	s_delay_alu instid0(VALU_DEP_1)
	v_pk_add_f32 v[34:35], v[34:35], v[36:37]
.LBB70_742:                             ;   in Loop: Header=BB70_3 Depth=1
	s_or_b32 exec_lo, exec_lo, s7
	s_barrier_signal -1
	s_barrier_wait -1
	s_and_saveexec_b32 s7, s46
	s_cbranch_execz .LBB70_744
; %bb.743:                              ;   in Loop: Header=BB70_3 Depth=1
	ds_load_b64 v[36:37], v1 offset:24440
	s_wait_dscnt 0x0
	v_pk_mul_f32 v[38:39], v[34:35], v[36:37] op_sel:[1,1] op_sel_hi:[1,0]
	s_delay_alu instid0(VALU_DEP_1) | instskip(SKIP_1) | instid1(VALU_DEP_2)
	v_pk_fma_f32 v[78:79], v[34:35], v[36:37], v[38:39] op_sel_hi:[0,1,1]
	v_pk_fma_f32 v[36:37], v[34:35], v[36:37], v[38:39] neg_lo:[0,0,1] neg_hi:[0,0,1]
	v_mov_b32_e32 v37, v79
	s_delay_alu instid0(VALU_DEP_1)
	v_mov_b64_e32 v[34:35], v[36:37]
	ds_store_b64 v3, v[36:37]
.LBB70_744:                             ;   in Loop: Header=BB70_3 Depth=1
	s_or_b32 exec_lo, exec_lo, s7
	s_wait_dscnt 0x0
	s_barrier_signal -1
	s_barrier_wait -1
	s_barrier_signal -1
	s_barrier_wait -1
	s_and_saveexec_b32 s7, s1
; %bb.745:                              ;   in Loop: Header=BB70_3 Depth=1
	v_pk_add_f32 v[34:35], v[34:35], 0 neg_lo:[1,1] neg_hi:[1,1]
	ds_store_b64 v42, v[34:35] offset:22896
; %bb.746:                              ;   in Loop: Header=BB70_3 Depth=1
	s_or_b32 exec_lo, exec_lo, s7
	s_wait_dscnt 0x0
	s_barrier_signal -1
	s_barrier_wait -1
	s_barrier_signal -1
	s_barrier_wait -1
	s_and_saveexec_b32 s98, s14
	s_cbranch_execz .LBB70_748
; %bb.747:                              ;   in Loop: Header=BB70_3 Depth=1
	ds_load_b128 v[34:37], v1 offset:23920
	ds_load_b64 v[38:39], v1 offset:24440
	s_wait_dscnt 0x1
	v_dual_mov_b32 v78, v37 :: v_dual_mov_b32 v79, v36
	s_wait_dscnt 0x0
	v_dual_mul_f32 v77, v39, v35 :: v_dual_mul_f32 v0, v38, v35
	s_delay_alu instid0(VALU_DEP_1) | instskip(NEXT) | instid1(VALU_DEP_2)
	v_xor_b32_e32 v80, 0x80000000, v77
	v_fmac_f32_e32 v0, v39, v34
	s_delay_alu instid0(VALU_DEP_2) | instskip(NEXT) | instid1(VALU_DEP_2)
	v_fmac_f32_e32 v80, v38, v34
	v_pk_mul_f32 v[34:35], v[0:1], v[78:79] op_sel_hi:[0,1]
	s_delay_alu instid0(VALU_DEP_1) | instskip(SKIP_1) | instid1(VALU_DEP_2)
	v_pk_fma_f32 v[38:39], v[80:81], v[36:37], v[34:35] op_sel_hi:[0,1,1]
	v_pk_fma_f32 v[34:35], v[80:81], v[36:37], v[34:35] neg_lo:[0,0,1] neg_hi:[0,0,1]
	v_mov_b32_e32 v35, v39
	ds_store_b64 v1, v[34:35] offset:23928
.LBB70_748:                             ;   in Loop: Header=BB70_3 Depth=1
	s_or_b32 exec_lo, exec_lo, s98
	v_mov_b32_e32 v34, 0
	s_wait_dscnt 0x0
	s_barrier_signal -1
	s_barrier_wait -1
	s_delay_alu instid0(VALU_DEP_1)
	v_mov_b32_e32 v35, v34
	s_and_saveexec_b32 s98, s4
	s_cbranch_execz .LBB70_776
; %bb.749:                              ;   in Loop: Header=BB70_3 Depth=1
	ds_load_b64 v[34:35], v58 offset:16768
	ds_load_b64 v[36:37], v55 offset:16640
	v_readlane_b32 s10, v92, 30
	s_wait_dscnt 0x0
	v_dual_mul_f32 v0, v37, v35 :: v_dual_mul_f32 v38, v36, v35
	s_delay_alu instid0(VALU_DEP_1) | instskip(NEXT) | instid1(VALU_DEP_1)
	v_dual_fma_f32 v0, v36, v34, -v0 :: v_dual_fmac_f32 v38, v37, v34
	v_dual_add_f32 v35, 0, v0 :: v_dual_add_f32 v34, 0, v38
	s_and_saveexec_b32 s7, s10
	s_cbranch_execz .LBB70_751
; %bb.750:                              ;   in Loop: Header=BB70_3 Depth=1
	ds_load_b64 v[36:37], v59 offset:17280
	ds_load_b64 v[38:39], v55 offset:16648
	s_wait_dscnt 0x0
	v_dual_mul_f32 v0, v39, v37 :: v_dual_mul_f32 v37, v38, v37
	s_delay_alu instid0(VALU_DEP_1) | instskip(NEXT) | instid1(VALU_DEP_1)
	v_dual_fma_f32 v0, v38, v36, -v0 :: v_dual_fmac_f32 v37, v39, v36
	v_dual_add_f32 v35, v35, v0 :: v_dual_add_f32 v34, v34, v37
.LBB70_751:                             ;   in Loop: Header=BB70_3 Depth=1
	s_or_b32 exec_lo, exec_lo, s7
	v_readlane_b32 s10, v92, 31
	s_and_saveexec_b32 s7, s10
	s_cbranch_execz .LBB70_753
; %bb.752:                              ;   in Loop: Header=BB70_3 Depth=1
	ds_load_b64 v[36:37], v59 offset:17792
	ds_load_b64 v[38:39], v55 offset:16656
	s_wait_dscnt 0x0
	v_dual_mul_f32 v0, v39, v37 :: v_dual_mul_f32 v37, v38, v37
	s_delay_alu instid0(VALU_DEP_1) | instskip(NEXT) | instid1(VALU_DEP_1)
	v_dual_fma_f32 v0, v38, v36, -v0 :: v_dual_fmac_f32 v37, v39, v36
	v_dual_add_f32 v35, v35, v0 :: v_dual_add_f32 v34, v34, v37
.LBB70_753:                             ;   in Loop: Header=BB70_3 Depth=1
	s_or_b32 exec_lo, exec_lo, s7
	v_readlane_b32 s10, v91, 0
	;; [unrolled: 13-line block ×10, first 2 shown]
	s_and_saveexec_b32 s7, s10
	s_cbranch_execnz .LBB70_1084
; %bb.770:                              ;   in Loop: Header=BB70_3 Depth=1
	s_or_b32 exec_lo, exec_lo, s7
	s_and_saveexec_b32 s7, s3
	s_cbranch_execnz .LBB70_1085
.LBB70_771:                             ;   in Loop: Header=BB70_3 Depth=1
	s_or_b32 exec_lo, exec_lo, s7
	s_and_saveexec_b32 s7, s19
	s_cbranch_execnz .LBB70_1086
.LBB70_772:                             ;   in Loop: Header=BB70_3 Depth=1
	s_or_b32 exec_lo, exec_lo, s7
	s_and_saveexec_b32 s7, s21
	s_cbranch_execnz .LBB70_1087
.LBB70_773:                             ;   in Loop: Header=BB70_3 Depth=1
	s_or_b32 exec_lo, exec_lo, s7
	s_and_saveexec_b32 s7, s2
	s_cbranch_execz .LBB70_775
.LBB70_774:                             ;   in Loop: Header=BB70_3 Depth=1
	ds_load_b64 v[36:37], v44 offset:24448
	ds_load_b64 v[38:39], v1 offset:16760
	s_wait_dscnt 0x0
	v_pk_mul_f32 v[78:79], v[38:39], v[36:37] op_sel:[0,1]
	s_delay_alu instid0(VALU_DEP_1) | instskip(SKIP_1) | instid1(VALU_DEP_2)
	v_pk_fma_f32 v[80:81], v[38:39], v[36:37], v[78:79] op_sel:[1,0,0] op_sel_hi:[0,0,1] neg_lo:[0,0,1] neg_hi:[0,0,1]
	v_pk_fma_f32 v[36:37], v[38:39], v[36:37], v[78:79] op_sel:[1,0,0] op_sel_hi:[0,1,1]
	v_mov_b32_e32 v37, v81
	s_delay_alu instid0(VALU_DEP_1)
	v_pk_add_f32 v[34:35], v[34:35], v[36:37]
.LBB70_775:                             ;   in Loop: Header=BB70_3 Depth=1
	s_or_b32 exec_lo, exec_lo, s7
	s_delay_alu instid0(VALU_DEP_1) | instskip(NEXT) | instid1(VALU_DEP_1)
	v_pk_add_f32 v[36:37], v[34:35], 0 neg_lo:[1,1] neg_hi:[1,1]
	v_dual_mov_b32 v34, v37 :: v_dual_mov_b32 v35, v36
.LBB70_776:                             ;   in Loop: Header=BB70_3 Depth=1
	s_or_b32 exec_lo, exec_lo, s98
	s_and_saveexec_b32 s7, s67
	s_cbranch_execz .LBB70_778
; %bb.777:                              ;   in Loop: Header=BB70_3 Depth=1
	ds_load_b64 v[36:37], v1 offset:24960
	v_dual_mov_b32 v38, v35 :: v_dual_mov_b32 v39, v34
	s_wait_dscnt 0x0
	s_delay_alu instid0(VALU_DEP_1) | instskip(NEXT) | instid1(VALU_DEP_1)
	v_dual_mul_f32 v0, v38, v36 :: v_dual_mul_f32 v78, v35, v37
	v_pk_fma_f32 v[38:39], v[38:39], v[36:37], v[0:1] op_sel_hi:[1,1,0]
	s_delay_alu instid0(VALU_DEP_2) | instskip(NEXT) | instid1(VALU_DEP_2)
	v_pk_fma_f32 v[34:35], v[34:35], v[36:37], v[78:79] op_sel_hi:[1,1,0] neg_lo:[0,0,1] neg_hi:[0,0,1]
	v_mov_b32_e32 v35, v39
	ds_store_b64 v57, v[34:35]
.LBB70_778:                             ;   in Loop: Header=BB70_3 Depth=1
	s_or_b32 exec_lo, exec_lo, s7
	s_wait_dscnt 0x0
	s_barrier_signal -1
	s_barrier_wait -1
	s_and_saveexec_b32 s7, s68
	s_cbranch_execz .LBB70_780
; %bb.779:                              ;   in Loop: Header=BB70_3 Depth=1
	ds_load_b64 v[36:37], v56 offset:24960
	ds_load_b64 v[38:39], v57
	s_wait_dscnt 0x0
	v_dual_mul_f32 v0, v39, v37 :: v_dual_mul_f32 v79, v38, v37
	s_delay_alu instid0(VALU_DEP_1) | instskip(NEXT) | instid1(VALU_DEP_1)
	v_dual_fma_f32 v78, v38, v36, -v0 :: v_dual_fmac_f32 v79, v39, v36
	v_pk_add_f32 v[34:35], v[34:35], v[78:79]
.LBB70_780:                             ;   in Loop: Header=BB70_3 Depth=1
	s_or_b32 exec_lo, exec_lo, s7
	s_barrier_signal -1
	s_barrier_wait -1
	s_and_saveexec_b32 s7, s69
	s_cbranch_execz .LBB70_782
; %bb.781:                              ;   in Loop: Header=BB70_3 Depth=1
	ds_load_b64 v[36:37], v1 offset:25480
	s_wait_dscnt 0x0
	v_pk_mul_f32 v[38:39], v[34:35], v[36:37] op_sel:[1,1] op_sel_hi:[1,0]
	s_delay_alu instid0(VALU_DEP_1) | instskip(SKIP_1) | instid1(VALU_DEP_2)
	v_pk_fma_f32 v[78:79], v[34:35], v[36:37], v[38:39] op_sel_hi:[0,1,1]
	v_pk_fma_f32 v[34:35], v[34:35], v[36:37], v[38:39] op_sel_hi:[0,1,1] neg_lo:[0,0,1] neg_hi:[0,0,1]
	v_mov_b32_e32 v35, v79
	ds_store_b64 v57, v[34:35]
.LBB70_782:                             ;   in Loop: Header=BB70_3 Depth=1
	s_or_b32 exec_lo, exec_lo, s7
	s_wait_dscnt 0x0
	s_barrier_signal -1
	s_barrier_wait -1
	s_and_saveexec_b32 s7, s12
	s_cbranch_execz .LBB70_784
; %bb.783:                              ;   in Loop: Header=BB70_3 Depth=1
	ds_load_b64 v[36:37], v56 offset:25472
	ds_load_b64 v[38:39], v57
	s_wait_dscnt 0x0
	v_pk_mul_f32 v[78:79], v[38:39], v[36:37] op_sel:[1,1] op_sel_hi:[0,1]
	s_delay_alu instid0(VALU_DEP_1) | instskip(SKIP_1) | instid1(VALU_DEP_2)
	v_pk_fma_f32 v[80:81], v[38:39], v[36:37], v[78:79] op_sel_hi:[1,0,1]
	v_pk_fma_f32 v[36:37], v[38:39], v[36:37], v[78:79] op_sel_hi:[1,0,1] neg_lo:[0,0,1] neg_hi:[0,0,1]
	v_mov_b32_e32 v37, v81
	s_delay_alu instid0(VALU_DEP_1)
	v_pk_add_f32 v[34:35], v[34:35], v[36:37]
.LBB70_784:                             ;   in Loop: Header=BB70_3 Depth=1
	s_or_b32 exec_lo, exec_lo, s7
	s_barrier_signal -1
	s_barrier_wait -1
	s_and_saveexec_b32 s7, s13
	s_cbranch_execz .LBB70_786
; %bb.785:                              ;   in Loop: Header=BB70_3 Depth=1
	ds_load_b64 v[36:37], v1 offset:26000
	s_wait_dscnt 0x0
	v_pk_mul_f32 v[38:39], v[34:35], v[36:37] op_sel:[1,1] op_sel_hi:[1,0]
	s_delay_alu instid0(VALU_DEP_1) | instskip(SKIP_1) | instid1(VALU_DEP_2)
	v_pk_fma_f32 v[78:79], v[34:35], v[36:37], v[38:39] op_sel_hi:[0,1,1]
	v_pk_fma_f32 v[34:35], v[34:35], v[36:37], v[38:39] op_sel_hi:[0,1,1] neg_lo:[0,0,1] neg_hi:[0,0,1]
	v_mov_b32_e32 v35, v79
	ds_store_b64 v57, v[34:35]
.LBB70_786:                             ;   in Loop: Header=BB70_3 Depth=1
	s_or_b32 exec_lo, exec_lo, s7
	s_wait_dscnt 0x0
	s_barrier_signal -1
	s_barrier_wait -1
	s_and_saveexec_b32 s7, s23
	s_cbranch_execz .LBB70_788
; %bb.787:                              ;   in Loop: Header=BB70_3 Depth=1
	ds_load_b64 v[36:37], v56 offset:25984
	ds_load_b64 v[38:39], v57
	s_wait_dscnt 0x0
	v_pk_mul_f32 v[78:79], v[38:39], v[36:37] op_sel:[1,1] op_sel_hi:[0,1]
	s_delay_alu instid0(VALU_DEP_1) | instskip(SKIP_1) | instid1(VALU_DEP_2)
	v_pk_fma_f32 v[80:81], v[38:39], v[36:37], v[78:79] op_sel_hi:[1,0,1]
	v_pk_fma_f32 v[36:37], v[38:39], v[36:37], v[78:79] op_sel_hi:[1,0,1] neg_lo:[0,0,1] neg_hi:[0,0,1]
	v_mov_b32_e32 v37, v81
	s_delay_alu instid0(VALU_DEP_1)
	v_pk_add_f32 v[34:35], v[34:35], v[36:37]
.LBB70_788:                             ;   in Loop: Header=BB70_3 Depth=1
	;; [unrolled: 33-line block ×3, first 2 shown]
	s_or_b32 exec_lo, exec_lo, s7
	s_barrier_signal -1
	s_barrier_wait -1
	s_and_saveexec_b32 s7, s29
	s_cbranch_execz .LBB70_794
; %bb.793:                              ;   in Loop: Header=BB70_3 Depth=1
	ds_load_b64 v[36:37], v1 offset:27040
	s_wait_dscnt 0x0
	v_dual_mul_f32 v0, v34, v37 :: v_dual_mul_f32 v38, v35, v37
	s_delay_alu instid0(VALU_DEP_1) | instskip(NEXT) | instid1(VALU_DEP_2)
	v_pk_fma_f32 v[78:79], v[34:35], v[36:37], v[0:1] op_sel:[0,1,0] op_sel_hi:[1,0,0]
	v_pk_fma_f32 v[36:37], v[34:35], v[36:37], v[38:39] op_sel_hi:[1,1,0] neg_lo:[0,0,1] neg_hi:[0,0,1]
	s_delay_alu instid0(VALU_DEP_2) | instskip(NEXT) | instid1(VALU_DEP_1)
	v_mov_b32_e32 v37, v79
	v_mov_b64_e32 v[34:35], v[36:37]
	ds_store_b64 v57, v[36:37]
.LBB70_794:                             ;   in Loop: Header=BB70_3 Depth=1
	s_or_b32 exec_lo, exec_lo, s7
	s_wait_dscnt 0x0
	s_barrier_signal -1
	s_barrier_wait -1
	s_and_saveexec_b32 s7, s31
	s_cbranch_execz .LBB70_796
; %bb.795:                              ;   in Loop: Header=BB70_3 Depth=1
	ds_load_b64 v[36:37], v56 offset:27008
	ds_load_b64 v[38:39], v57
	s_wait_dscnt 0x0
	v_dual_mul_f32 v0, v39, v37 :: v_dual_mul_f32 v79, v38, v37
	s_delay_alu instid0(VALU_DEP_1) | instskip(NEXT) | instid1(VALU_DEP_1)
	v_dual_fma_f32 v78, v38, v36, -v0 :: v_dual_fmac_f32 v79, v39, v36
	v_pk_add_f32 v[34:35], v[34:35], v[78:79]
.LBB70_796:                             ;   in Loop: Header=BB70_3 Depth=1
	s_or_b32 exec_lo, exec_lo, s7
	s_barrier_signal -1
	s_barrier_wait -1
	s_and_saveexec_b32 s7, s34
	s_cbranch_execz .LBB70_798
; %bb.797:                              ;   in Loop: Header=BB70_3 Depth=1
	ds_load_b64 v[36:37], v1 offset:27560
	s_wait_dscnt 0x0
	v_pk_mul_f32 v[38:39], v[34:35], v[36:37] op_sel:[1,1] op_sel_hi:[1,0]
	s_delay_alu instid0(VALU_DEP_1) | instskip(SKIP_1) | instid1(VALU_DEP_2)
	v_pk_fma_f32 v[78:79], v[34:35], v[36:37], v[38:39] op_sel_hi:[0,1,1]
	v_pk_fma_f32 v[34:35], v[34:35], v[36:37], v[38:39] op_sel_hi:[0,1,1] neg_lo:[0,0,1] neg_hi:[0,0,1]
	v_mov_b32_e32 v35, v79
	ds_store_b64 v57, v[34:35]
.LBB70_798:                             ;   in Loop: Header=BB70_3 Depth=1
	s_or_b32 exec_lo, exec_lo, s7
	s_wait_dscnt 0x0
	s_barrier_signal -1
	s_barrier_wait -1
	s_and_saveexec_b32 s7, s38
	s_cbranch_execz .LBB70_800
; %bb.799:                              ;   in Loop: Header=BB70_3 Depth=1
	ds_load_b64 v[36:37], v56 offset:27520
	ds_load_b64 v[38:39], v57
	s_wait_dscnt 0x0
	v_pk_mul_f32 v[78:79], v[38:39], v[36:37] op_sel:[1,1] op_sel_hi:[0,1]
	s_delay_alu instid0(VALU_DEP_1) | instskip(SKIP_1) | instid1(VALU_DEP_2)
	v_pk_fma_f32 v[80:81], v[38:39], v[36:37], v[78:79] op_sel_hi:[1,0,1]
	v_pk_fma_f32 v[36:37], v[38:39], v[36:37], v[78:79] op_sel_hi:[1,0,1] neg_lo:[0,0,1] neg_hi:[0,0,1]
	v_mov_b32_e32 v37, v81
	s_delay_alu instid0(VALU_DEP_1)
	v_pk_add_f32 v[34:35], v[34:35], v[36:37]
.LBB70_800:                             ;   in Loop: Header=BB70_3 Depth=1
	s_or_b32 exec_lo, exec_lo, s7
	s_barrier_signal -1
	s_barrier_wait -1
	s_and_saveexec_b32 s7, s39
	s_cbranch_execz .LBB70_802
; %bb.801:                              ;   in Loop: Header=BB70_3 Depth=1
	ds_load_b64 v[36:37], v1 offset:28080
	s_wait_dscnt 0x0
	v_pk_mul_f32 v[38:39], v[34:35], v[36:37] op_sel:[1,1] op_sel_hi:[1,0]
	s_delay_alu instid0(VALU_DEP_1) | instskip(SKIP_1) | instid1(VALU_DEP_2)
	v_pk_fma_f32 v[78:79], v[34:35], v[36:37], v[38:39] op_sel_hi:[0,1,1]
	v_pk_fma_f32 v[34:35], v[34:35], v[36:37], v[38:39] op_sel_hi:[0,1,1] neg_lo:[0,0,1] neg_hi:[0,0,1]
	v_mov_b32_e32 v35, v79
	ds_store_b64 v57, v[34:35]
.LBB70_802:                             ;   in Loop: Header=BB70_3 Depth=1
	s_or_b32 exec_lo, exec_lo, s7
	s_wait_dscnt 0x0
	s_barrier_signal -1
	s_barrier_wait -1
	s_and_saveexec_b32 s7, s40
	s_cbranch_execz .LBB70_804
; %bb.803:                              ;   in Loop: Header=BB70_3 Depth=1
	ds_load_b64 v[36:37], v56 offset:28032
	ds_load_b64 v[38:39], v57
	s_wait_dscnt 0x0
	v_pk_mul_f32 v[78:79], v[38:39], v[36:37] op_sel:[1,1] op_sel_hi:[0,1]
	s_delay_alu instid0(VALU_DEP_1) | instskip(SKIP_1) | instid1(VALU_DEP_2)
	v_pk_fma_f32 v[80:81], v[38:39], v[36:37], v[78:79] op_sel_hi:[1,0,1]
	v_pk_fma_f32 v[36:37], v[38:39], v[36:37], v[78:79] op_sel_hi:[1,0,1] neg_lo:[0,0,1] neg_hi:[0,0,1]
	v_mov_b32_e32 v37, v81
	s_delay_alu instid0(VALU_DEP_1)
	v_pk_add_f32 v[34:35], v[34:35], v[36:37]
.LBB70_804:                             ;   in Loop: Header=BB70_3 Depth=1
	;; [unrolled: 33-line block ×3, first 2 shown]
	s_or_b32 exec_lo, exec_lo, s7
	s_barrier_signal -1
	s_barrier_wait -1
	s_and_saveexec_b32 s7, s9
	s_cbranch_execz .LBB70_810
; %bb.809:                              ;   in Loop: Header=BB70_3 Depth=1
	ds_load_b64 v[36:37], v1 offset:29120
	s_wait_dscnt 0x0
	v_dual_mul_f32 v0, v34, v37 :: v_dual_mul_f32 v38, v35, v37
	s_delay_alu instid0(VALU_DEP_1) | instskip(NEXT) | instid1(VALU_DEP_2)
	v_pk_fma_f32 v[78:79], v[34:35], v[36:37], v[0:1] op_sel:[0,1,0] op_sel_hi:[1,0,0]
	v_pk_fma_f32 v[36:37], v[34:35], v[36:37], v[38:39] op_sel_hi:[1,1,0] neg_lo:[0,0,1] neg_hi:[0,0,1]
	s_delay_alu instid0(VALU_DEP_2) | instskip(NEXT) | instid1(VALU_DEP_1)
	v_mov_b32_e32 v37, v79
	v_mov_b64_e32 v[34:35], v[36:37]
	ds_store_b64 v57, v[36:37]
.LBB70_810:                             ;   in Loop: Header=BB70_3 Depth=1
	s_or_b32 exec_lo, exec_lo, s7
	s_wait_dscnt 0x0
	s_barrier_signal -1
	s_barrier_wait -1
	s_and_saveexec_b32 s7, s90
	s_cbranch_execz .LBB70_812
; %bb.811:                              ;   in Loop: Header=BB70_3 Depth=1
	ds_load_b64 v[36:37], v56 offset:29056
	ds_load_b64 v[38:39], v57
	s_wait_dscnt 0x0
	v_dual_mul_f32 v0, v39, v37 :: v_dual_mul_f32 v79, v38, v37
	s_delay_alu instid0(VALU_DEP_1) | instskip(NEXT) | instid1(VALU_DEP_1)
	v_dual_fma_f32 v78, v38, v36, -v0 :: v_dual_fmac_f32 v79, v39, v36
	v_pk_add_f32 v[34:35], v[34:35], v[78:79]
.LBB70_812:                             ;   in Loop: Header=BB70_3 Depth=1
	s_or_b32 exec_lo, exec_lo, s7
	s_barrier_signal -1
	s_barrier_wait -1
	s_and_saveexec_b32 s7, s91
	s_cbranch_execz .LBB70_814
; %bb.813:                              ;   in Loop: Header=BB70_3 Depth=1
	ds_load_b64 v[36:37], v1 offset:29640
	s_wait_dscnt 0x0
	v_pk_mul_f32 v[38:39], v[34:35], v[36:37] op_sel:[1,1] op_sel_hi:[1,0]
	s_delay_alu instid0(VALU_DEP_1) | instskip(SKIP_1) | instid1(VALU_DEP_2)
	v_pk_fma_f32 v[78:79], v[34:35], v[36:37], v[38:39] op_sel_hi:[0,1,1]
	v_pk_fma_f32 v[34:35], v[34:35], v[36:37], v[38:39] op_sel_hi:[0,1,1] neg_lo:[0,0,1] neg_hi:[0,0,1]
	v_mov_b32_e32 v35, v79
	ds_store_b64 v57, v[34:35]
.LBB70_814:                             ;   in Loop: Header=BB70_3 Depth=1
	s_or_b32 exec_lo, exec_lo, s7
	s_wait_dscnt 0x0
	s_barrier_signal -1
	s_barrier_wait -1
	s_and_saveexec_b32 s7, s88
	s_cbranch_execz .LBB70_816
; %bb.815:                              ;   in Loop: Header=BB70_3 Depth=1
	ds_load_b64 v[36:37], v56 offset:29568
	ds_load_b64 v[38:39], v57
	s_wait_dscnt 0x0
	v_pk_mul_f32 v[78:79], v[38:39], v[36:37] op_sel:[1,1] op_sel_hi:[0,1]
	s_delay_alu instid0(VALU_DEP_1) | instskip(SKIP_1) | instid1(VALU_DEP_2)
	v_pk_fma_f32 v[80:81], v[38:39], v[36:37], v[78:79] op_sel_hi:[1,0,1]
	v_pk_fma_f32 v[36:37], v[38:39], v[36:37], v[78:79] op_sel_hi:[1,0,1] neg_lo:[0,0,1] neg_hi:[0,0,1]
	v_mov_b32_e32 v37, v81
	s_delay_alu instid0(VALU_DEP_1)
	v_pk_add_f32 v[34:35], v[34:35], v[36:37]
.LBB70_816:                             ;   in Loop: Header=BB70_3 Depth=1
	s_or_b32 exec_lo, exec_lo, s7
	s_barrier_signal -1
	s_barrier_wait -1
	s_and_saveexec_b32 s7, s89
	s_cbranch_execz .LBB70_818
; %bb.817:                              ;   in Loop: Header=BB70_3 Depth=1
	ds_load_b64 v[36:37], v1 offset:30160
	s_wait_dscnt 0x0
	v_pk_mul_f32 v[38:39], v[34:35], v[36:37] op_sel:[1,1] op_sel_hi:[1,0]
	s_delay_alu instid0(VALU_DEP_1) | instskip(SKIP_1) | instid1(VALU_DEP_2)
	v_pk_fma_f32 v[78:79], v[34:35], v[36:37], v[38:39] op_sel_hi:[0,1,1]
	v_pk_fma_f32 v[34:35], v[34:35], v[36:37], v[38:39] op_sel_hi:[0,1,1] neg_lo:[0,0,1] neg_hi:[0,0,1]
	v_mov_b32_e32 v35, v79
	ds_store_b64 v57, v[34:35]
.LBB70_818:                             ;   in Loop: Header=BB70_3 Depth=1
	s_or_b32 exec_lo, exec_lo, s7
	s_wait_dscnt 0x0
	s_barrier_signal -1
	s_barrier_wait -1
	s_and_saveexec_b32 s7, s24
	s_cbranch_execz .LBB70_820
; %bb.819:                              ;   in Loop: Header=BB70_3 Depth=1
	ds_load_b64 v[36:37], v56 offset:30080
	ds_load_b64 v[38:39], v57
	s_wait_dscnt 0x0
	v_pk_mul_f32 v[78:79], v[38:39], v[36:37] op_sel:[1,1] op_sel_hi:[0,1]
	s_delay_alu instid0(VALU_DEP_1) | instskip(SKIP_1) | instid1(VALU_DEP_2)
	v_pk_fma_f32 v[80:81], v[38:39], v[36:37], v[78:79] op_sel_hi:[1,0,1]
	v_pk_fma_f32 v[36:37], v[38:39], v[36:37], v[78:79] op_sel_hi:[1,0,1] neg_lo:[0,0,1] neg_hi:[0,0,1]
	v_mov_b32_e32 v37, v81
	s_delay_alu instid0(VALU_DEP_1)
	v_pk_add_f32 v[34:35], v[34:35], v[36:37]
.LBB70_820:                             ;   in Loop: Header=BB70_3 Depth=1
	;; [unrolled: 33-line block ×3, first 2 shown]
	s_or_b32 exec_lo, exec_lo, s7
	s_barrier_signal -1
	s_barrier_wait -1
	s_and_saveexec_b32 s7, s30
	s_cbranch_execz .LBB70_826
; %bb.825:                              ;   in Loop: Header=BB70_3 Depth=1
	ds_load_b64 v[36:37], v1 offset:31200
	s_wait_dscnt 0x0
	v_dual_mul_f32 v0, v34, v37 :: v_dual_mul_f32 v38, v35, v37
	s_delay_alu instid0(VALU_DEP_1) | instskip(NEXT) | instid1(VALU_DEP_2)
	v_pk_fma_f32 v[78:79], v[34:35], v[36:37], v[0:1] op_sel:[0,1,0] op_sel_hi:[1,0,0]
	v_pk_fma_f32 v[36:37], v[34:35], v[36:37], v[38:39] op_sel_hi:[1,1,0] neg_lo:[0,0,1] neg_hi:[0,0,1]
	s_delay_alu instid0(VALU_DEP_2) | instskip(NEXT) | instid1(VALU_DEP_1)
	v_mov_b32_e32 v37, v79
	v_mov_b64_e32 v[34:35], v[36:37]
	ds_store_b64 v57, v[36:37]
.LBB70_826:                             ;   in Loop: Header=BB70_3 Depth=1
	s_or_b32 exec_lo, exec_lo, s7
	s_wait_dscnt 0x0
	s_barrier_signal -1
	s_barrier_wait -1
	s_and_saveexec_b32 s7, s33
	s_cbranch_execz .LBB70_828
; %bb.827:                              ;   in Loop: Header=BB70_3 Depth=1
	ds_load_b64 v[36:37], v56 offset:31104
	ds_load_b64 v[38:39], v57
	s_wait_dscnt 0x0
	v_dual_mul_f32 v0, v39, v37 :: v_dual_mul_f32 v79, v38, v37
	s_delay_alu instid0(VALU_DEP_1) | instskip(NEXT) | instid1(VALU_DEP_1)
	v_dual_fma_f32 v78, v38, v36, -v0 :: v_dual_fmac_f32 v79, v39, v36
	v_pk_add_f32 v[34:35], v[34:35], v[78:79]
.LBB70_828:                             ;   in Loop: Header=BB70_3 Depth=1
	s_or_b32 exec_lo, exec_lo, s7
	s_barrier_signal -1
	s_barrier_wait -1
	s_and_saveexec_b32 s7, s78
	s_cbranch_execz .LBB70_830
; %bb.829:                              ;   in Loop: Header=BB70_3 Depth=1
	ds_load_b64 v[36:37], v1 offset:31720
	s_wait_dscnt 0x0
	v_pk_mul_f32 v[38:39], v[34:35], v[36:37] op_sel:[1,1] op_sel_hi:[1,0]
	s_delay_alu instid0(VALU_DEP_1) | instskip(SKIP_1) | instid1(VALU_DEP_2)
	v_pk_fma_f32 v[78:79], v[34:35], v[36:37], v[38:39] op_sel_hi:[0,1,1]
	v_pk_fma_f32 v[36:37], v[34:35], v[36:37], v[38:39] neg_lo:[0,0,1] neg_hi:[0,0,1]
	v_mov_b32_e32 v37, v79
	s_delay_alu instid0(VALU_DEP_1)
	v_mov_b64_e32 v[34:35], v[36:37]
	ds_store_b64 v57, v[36:37]
.LBB70_830:                             ;   in Loop: Header=BB70_3 Depth=1
	s_or_b32 exec_lo, exec_lo, s7
	s_wait_dscnt 0x0
	s_barrier_signal -1
	s_barrier_wait -1
	s_and_saveexec_b32 s7, s79
	s_cbranch_execz .LBB70_832
; %bb.831:                              ;   in Loop: Header=BB70_3 Depth=1
	ds_load_b64 v[36:37], v56 offset:31616
	ds_load_b64 v[38:39], v57
	s_wait_dscnt 0x0
	v_pk_mul_f32 v[78:79], v[38:39], v[36:37] op_sel:[1,1] op_sel_hi:[0,1]
	s_delay_alu instid0(VALU_DEP_1) | instskip(SKIP_1) | instid1(VALU_DEP_2)
	v_pk_fma_f32 v[80:81], v[38:39], v[36:37], v[78:79] op_sel_hi:[1,0,1]
	v_pk_fma_f32 v[36:37], v[38:39], v[36:37], v[78:79] neg_lo:[0,0,1] neg_hi:[0,0,1]
	v_mov_b32_e32 v37, v81
	s_delay_alu instid0(VALU_DEP_1)
	v_pk_add_f32 v[34:35], v[34:35], v[36:37]
.LBB70_832:                             ;   in Loop: Header=BB70_3 Depth=1
	s_or_b32 exec_lo, exec_lo, s7
	s_barrier_signal -1
	s_barrier_wait -1
	s_and_saveexec_b32 s7, s8
	s_cbranch_execz .LBB70_834
; %bb.833:                              ;   in Loop: Header=BB70_3 Depth=1
	ds_load_b64 v[36:37], v1 offset:32240
	s_wait_dscnt 0x0
	v_pk_mul_f32 v[38:39], v[34:35], v[36:37] op_sel:[1,1] op_sel_hi:[1,0]
	s_delay_alu instid0(VALU_DEP_1) | instskip(SKIP_1) | instid1(VALU_DEP_2)
	v_pk_fma_f32 v[78:79], v[34:35], v[36:37], v[38:39] op_sel_hi:[0,1,1]
	v_pk_fma_f32 v[36:37], v[34:35], v[36:37], v[38:39] neg_lo:[0,0,1] neg_hi:[0,0,1]
	v_mov_b32_e32 v37, v79
	s_delay_alu instid0(VALU_DEP_1)
	v_mov_b64_e32 v[34:35], v[36:37]
	ds_store_b64 v57, v[36:37]
.LBB70_834:                             ;   in Loop: Header=BB70_3 Depth=1
	s_or_b32 exec_lo, exec_lo, s7
	s_wait_dscnt 0x0
	s_barrier_signal -1
	s_barrier_wait -1
	s_and_saveexec_b32 s7, s76
	s_cbranch_execz .LBB70_836
; %bb.835:                              ;   in Loop: Header=BB70_3 Depth=1
	ds_load_b64 v[36:37], v1 offset:32248
	ds_load_b64 v[38:39], v57
	s_wait_dscnt 0x0
	v_pk_mul_f32 v[78:79], v[38:39], v[36:37] op_sel:[1,1] op_sel_hi:[0,1]
	s_delay_alu instid0(VALU_DEP_1) | instskip(SKIP_1) | instid1(VALU_DEP_2)
	v_pk_fma_f32 v[80:81], v[38:39], v[36:37], v[78:79] op_sel_hi:[1,0,1]
	v_pk_fma_f32 v[36:37], v[38:39], v[36:37], v[78:79] neg_lo:[0,0,1] neg_hi:[0,0,1]
	v_mov_b32_e32 v37, v81
	s_delay_alu instid0(VALU_DEP_1)
	v_pk_add_f32 v[34:35], v[34:35], v[36:37]
.LBB70_836:                             ;   in Loop: Header=BB70_3 Depth=1
	s_or_b32 exec_lo, exec_lo, s7
	s_barrier_signal -1
	s_barrier_wait -1
	s_and_saveexec_b32 s7, s76
	s_cbranch_execz .LBB70_838
; %bb.837:                              ;   in Loop: Header=BB70_3 Depth=1
	ds_load_b64 v[36:37], v1 offset:32760
	s_wait_dscnt 0x0
	v_pk_mul_f32 v[38:39], v[34:35], v[36:37] op_sel:[1,1] op_sel_hi:[1,0]
	s_delay_alu instid0(VALU_DEP_1) | instskip(SKIP_1) | instid1(VALU_DEP_2)
	v_pk_fma_f32 v[78:79], v[34:35], v[36:37], v[38:39] op_sel_hi:[0,1,1]
	v_pk_fma_f32 v[36:37], v[34:35], v[36:37], v[38:39] neg_lo:[0,0,1] neg_hi:[0,0,1]
	v_mov_b32_e32 v37, v79
	s_delay_alu instid0(VALU_DEP_1)
	v_mov_b64_e32 v[34:35], v[36:37]
	ds_store_b64 v57, v[36:37]
.LBB70_838:                             ;   in Loop: Header=BB70_3 Depth=1
	s_or_b32 exec_lo, exec_lo, s7
	s_wait_dscnt 0x0
	s_barrier_signal -1
	s_barrier_wait -1
	s_barrier_signal -1
	s_barrier_wait -1
	s_and_saveexec_b32 s7, s4
; %bb.839:                              ;   in Loop: Header=BB70_3 Depth=1
	v_pk_add_f32 v[34:35], v[34:35], 0 neg_lo:[1,1] neg_hi:[1,1]
	ds_store_b64 v58, v[34:35] offset:16768
; %bb.840:                              ;   in Loop: Header=BB70_3 Depth=1
	s_or_b32 exec_lo, exec_lo, s7
	s_wait_dscnt 0x0
	s_barrier_signal -1
	s_barrier_wait -1
	s_barrier_signal -1
	s_barrier_wait -1
	s_and_saveexec_b32 s98, s14
	s_cbranch_execz .LBB70_842
; %bb.841:                              ;   in Loop: Header=BB70_3 Depth=1
	ds_load_b128 v[34:37], v1 offset:24960
	ds_load_b64 v[38:39], v1 offset:25480
	s_wait_dscnt 0x1
	v_dual_mov_b32 v78, v37 :: v_dual_mov_b32 v79, v36
	s_wait_dscnt 0x0
	v_dual_mul_f32 v77, v39, v35 :: v_dual_mul_f32 v0, v38, v35
	s_delay_alu instid0(VALU_DEP_1) | instskip(NEXT) | instid1(VALU_DEP_2)
	v_xor_b32_e32 v80, 0x80000000, v77
	v_fmac_f32_e32 v0, v39, v34
	s_delay_alu instid0(VALU_DEP_2) | instskip(NEXT) | instid1(VALU_DEP_2)
	v_fmac_f32_e32 v80, v38, v34
	v_pk_mul_f32 v[34:35], v[0:1], v[78:79] op_sel_hi:[0,1]
	s_delay_alu instid0(VALU_DEP_1) | instskip(SKIP_1) | instid1(VALU_DEP_2)
	v_pk_fma_f32 v[38:39], v[80:81], v[36:37], v[34:35] op_sel_hi:[0,1,1]
	v_pk_fma_f32 v[34:35], v[80:81], v[36:37], v[34:35] neg_lo:[0,0,1] neg_hi:[0,0,1]
	v_mov_b32_e32 v35, v39
	ds_store_b64 v1, v[34:35] offset:24968
.LBB70_842:                             ;   in Loop: Header=BB70_3 Depth=1
	s_or_b32 exec_lo, exec_lo, s98
	v_mov_b32_e32 v35, 0
	s_wait_dscnt 0x0
	s_barrier_signal -1
	s_barrier_wait -1
	s_delay_alu instid0(VALU_DEP_1)
	v_mov_b32_e32 v34, v35
	s_and_saveexec_b32 s98, s1
	s_cbranch_execz .LBB70_846
; %bb.843:                              ;   in Loop: Header=BB70_3 Depth=1
	ds_load_b64 v[34:35], v42 offset:24976
	ds_load_b64 v[36:37], v43 offset:24960
	s_wait_dscnt 0x0
	v_dual_mul_f32 v0, v37, v35 :: v_dual_mul_f32 v39, v36, v35
	s_delay_alu instid0(VALU_DEP_1) | instskip(NEXT) | instid1(VALU_DEP_1)
	v_dual_fma_f32 v38, v36, v34, -v0 :: v_dual_fmac_f32 v39, v37, v34
	v_pk_add_f32 v[34:35], v[38:39], 0 op_sel_hi:[1,0]
	s_and_saveexec_b32 s7, s15
	s_cbranch_execz .LBB70_845
; %bb.844:                              ;   in Loop: Header=BB70_3 Depth=1
	ds_load_b64 v[36:37], v44 offset:25488
	ds_load_b64 v[38:39], v1 offset:24968
	s_wait_dscnt 0x0
	v_pk_mul_f32 v[78:79], v[38:39], v[36:37] op_sel:[1,1] op_sel_hi:[0,1]
	s_delay_alu instid0(VALU_DEP_1) | instskip(SKIP_1) | instid1(VALU_DEP_2)
	v_pk_fma_f32 v[80:81], v[38:39], v[36:37], v[78:79] op_sel_hi:[1,0,1]
	v_pk_fma_f32 v[36:37], v[38:39], v[36:37], v[78:79] neg_lo:[0,0,1] neg_hi:[0,0,1]
	v_mov_b32_e32 v37, v81
	s_delay_alu instid0(VALU_DEP_1)
	v_pk_add_f32 v[34:35], v[34:35], v[36:37]
.LBB70_845:                             ;   in Loop: Header=BB70_3 Depth=1
	s_or_b32 exec_lo, exec_lo, s7
	s_delay_alu instid0(VALU_DEP_1)
	v_pk_add_f32 v[34:35], v[34:35], 0 neg_lo:[1,1] neg_hi:[1,1]
.LBB70_846:                             ;   in Loop: Header=BB70_3 Depth=1
	s_or_b32 exec_lo, exec_lo, s98
	s_and_saveexec_b32 s7, s45
	s_cbranch_execz .LBB70_848
; %bb.847:                              ;   in Loop: Header=BB70_3 Depth=1
	ds_load_b64 v[36:37], v1 offset:26000
	s_wait_dscnt 0x0
	v_pk_mul_f32 v[38:39], v[34:35], v[36:37] op_sel:[1,1] op_sel_hi:[1,0]
	s_delay_alu instid0(VALU_DEP_1) | instskip(SKIP_1) | instid1(VALU_DEP_2)
	v_pk_fma_f32 v[78:79], v[34:35], v[36:37], v[38:39] op_sel_hi:[0,1,1]
	v_pk_fma_f32 v[36:37], v[34:35], v[36:37], v[38:39] neg_lo:[0,0,1] neg_hi:[0,0,1]
	v_mov_b32_e32 v37, v79
	s_delay_alu instid0(VALU_DEP_1)
	v_mov_b64_e32 v[34:35], v[36:37]
	ds_store_b64 v3, v[36:37]
.LBB70_848:                             ;   in Loop: Header=BB70_3 Depth=1
	s_or_b32 exec_lo, exec_lo, s7
	s_wait_dscnt 0x0
	s_barrier_signal -1
	s_barrier_wait -1
	s_and_saveexec_b32 s7, s46
	s_cbranch_execz .LBB70_850
; %bb.849:                              ;   in Loop: Header=BB70_3 Depth=1
	ds_load_b64 v[36:37], v1 offset:26008
	ds_load_b64 v[38:39], v3
	s_wait_dscnt 0x0
	v_pk_mul_f32 v[78:79], v[38:39], v[36:37] op_sel:[1,1] op_sel_hi:[0,1]
	s_delay_alu instid0(VALU_DEP_1) | instskip(SKIP_1) | instid1(VALU_DEP_2)
	v_pk_fma_f32 v[80:81], v[38:39], v[36:37], v[78:79] op_sel_hi:[1,0,1]
	v_pk_fma_f32 v[36:37], v[38:39], v[36:37], v[78:79] neg_lo:[0,0,1] neg_hi:[0,0,1]
	v_mov_b32_e32 v37, v81
	s_delay_alu instid0(VALU_DEP_1)
	v_pk_add_f32 v[34:35], v[34:35], v[36:37]
.LBB70_850:                             ;   in Loop: Header=BB70_3 Depth=1
	s_or_b32 exec_lo, exec_lo, s7
	s_barrier_signal -1
	s_barrier_wait -1
	s_and_saveexec_b32 s7, s46
	s_cbranch_execz .LBB70_852
; %bb.851:                              ;   in Loop: Header=BB70_3 Depth=1
	ds_load_b64 v[36:37], v1 offset:26520
	s_wait_dscnt 0x0
	v_pk_mul_f32 v[38:39], v[34:35], v[36:37] op_sel:[1,1] op_sel_hi:[1,0]
	s_delay_alu instid0(VALU_DEP_1) | instskip(SKIP_1) | instid1(VALU_DEP_2)
	v_pk_fma_f32 v[78:79], v[34:35], v[36:37], v[38:39] op_sel_hi:[0,1,1]
	v_pk_fma_f32 v[36:37], v[34:35], v[36:37], v[38:39] neg_lo:[0,0,1] neg_hi:[0,0,1]
	v_mov_b32_e32 v37, v79
	s_delay_alu instid0(VALU_DEP_1)
	v_mov_b64_e32 v[34:35], v[36:37]
	ds_store_b64 v3, v[36:37]
.LBB70_852:                             ;   in Loop: Header=BB70_3 Depth=1
	s_or_b32 exec_lo, exec_lo, s7
	s_wait_dscnt 0x0
	s_barrier_signal -1
	s_barrier_wait -1
	s_barrier_signal -1
	s_barrier_wait -1
	s_and_saveexec_b32 s7, s1
; %bb.853:                              ;   in Loop: Header=BB70_3 Depth=1
	v_pk_add_f32 v[34:35], v[34:35], 0 neg_lo:[1,1] neg_hi:[1,1]
	ds_store_b64 v42, v[34:35] offset:24976
; %bb.854:                              ;   in Loop: Header=BB70_3 Depth=1
	s_or_b32 exec_lo, exec_lo, s7
	s_wait_dscnt 0x0
	s_barrier_signal -1
	s_barrier_wait -1
	s_barrier_signal -1
	s_barrier_wait -1
	s_and_saveexec_b32 s98, s14
	s_cbranch_execz .LBB70_856
; %bb.855:                              ;   in Loop: Header=BB70_3 Depth=1
	ds_load_b128 v[34:37], v1 offset:26000
	ds_load_b64 v[38:39], v1 offset:26520
	s_wait_dscnt 0x1
	v_dual_mov_b32 v78, v37 :: v_dual_mov_b32 v79, v36
	s_wait_dscnt 0x0
	v_dual_mul_f32 v77, v39, v35 :: v_dual_mul_f32 v0, v38, v35
	s_delay_alu instid0(VALU_DEP_1) | instskip(NEXT) | instid1(VALU_DEP_2)
	v_xor_b32_e32 v80, 0x80000000, v77
	v_fmac_f32_e32 v0, v39, v34
	s_delay_alu instid0(VALU_DEP_2) | instskip(NEXT) | instid1(VALU_DEP_2)
	v_fmac_f32_e32 v80, v38, v34
	v_pk_mul_f32 v[34:35], v[0:1], v[78:79] op_sel_hi:[0,1]
	s_delay_alu instid0(VALU_DEP_1) | instskip(SKIP_1) | instid1(VALU_DEP_2)
	v_pk_fma_f32 v[38:39], v[80:81], v[36:37], v[34:35] op_sel_hi:[0,1,1]
	v_pk_fma_f32 v[34:35], v[80:81], v[36:37], v[34:35] neg_lo:[0,0,1] neg_hi:[0,0,1]
	v_mov_b32_e32 v35, v39
	ds_store_b64 v1, v[34:35] offset:26008
.LBB70_856:                             ;   in Loop: Header=BB70_3 Depth=1
	s_or_b32 exec_lo, exec_lo, s98
	v_mov_b32_e32 v34, 0
	s_wait_dscnt 0x0
	s_barrier_signal -1
	s_barrier_wait -1
	s_delay_alu instid0(VALU_DEP_1)
	v_mov_b32_e32 v35, v34
	s_and_saveexec_b32 s98, s2
	s_cbranch_execz .LBB70_862
; %bb.857:                              ;   in Loop: Header=BB70_3 Depth=1
	ds_load_b64 v[34:35], v48 offset:24992
	ds_load_b64 v[36:37], v46 offset:24960
	s_wait_dscnt 0x0
	v_pk_mul_f32 v[38:39], v[36:37], v[34:35] op_sel:[0,1]
	s_delay_alu instid0(VALU_DEP_1) | instskip(SKIP_1) | instid1(VALU_DEP_2)
	v_pk_fma_f32 v[78:79], v[36:37], v[34:35], v[38:39] op_sel:[1,0,0] op_sel_hi:[0,0,1] neg_lo:[0,0,1] neg_hi:[0,0,1]
	v_pk_fma_f32 v[34:35], v[36:37], v[34:35], v[38:39] op_sel:[1,0,0] op_sel_hi:[0,1,1]
	v_mov_b32_e32 v35, v79
	s_delay_alu instid0(VALU_DEP_1)
	v_pk_add_f32 v[34:35], v[34:35], 0 op_sel_hi:[1,0]
	s_and_saveexec_b32 s7, s16
	s_cbranch_execnz .LBB70_1088
; %bb.858:                              ;   in Loop: Header=BB70_3 Depth=1
	s_or_b32 exec_lo, exec_lo, s7
	s_and_saveexec_b32 s7, s17
	s_cbranch_execnz .LBB70_1089
.LBB70_859:                             ;   in Loop: Header=BB70_3 Depth=1
	s_or_b32 exec_lo, exec_lo, s7
	s_and_saveexec_b32 s7, s1
	s_cbranch_execz .LBB70_861
.LBB70_860:                             ;   in Loop: Header=BB70_3 Depth=1
	ds_load_b64 v[36:37], v44 offset:26528
	ds_load_b64 v[38:39], v1 offset:24984
	s_wait_dscnt 0x0
	v_pk_mul_f32 v[78:79], v[38:39], v[36:37] op_sel:[0,1]
	s_delay_alu instid0(VALU_DEP_1) | instskip(SKIP_1) | instid1(VALU_DEP_2)
	v_pk_fma_f32 v[80:81], v[38:39], v[36:37], v[78:79] op_sel:[1,0,0] op_sel_hi:[0,0,1] neg_lo:[0,0,1] neg_hi:[0,0,1]
	v_pk_fma_f32 v[36:37], v[38:39], v[36:37], v[78:79] op_sel:[1,0,0] op_sel_hi:[0,1,1]
	v_mov_b32_e32 v37, v81
	s_delay_alu instid0(VALU_DEP_1)
	v_pk_add_f32 v[34:35], v[34:35], v[36:37]
.LBB70_861:                             ;   in Loop: Header=BB70_3 Depth=1
	s_or_b32 exec_lo, exec_lo, s7
	s_delay_alu instid0(VALU_DEP_1) | instskip(NEXT) | instid1(VALU_DEP_1)
	v_pk_add_f32 v[36:37], v[34:35], 0 neg_lo:[1,1] neg_hi:[1,1]
	v_dual_mov_b32 v34, v37 :: v_dual_mov_b32 v35, v36
.LBB70_862:                             ;   in Loop: Header=BB70_3 Depth=1
	s_or_b32 exec_lo, exec_lo, s98
	s_and_saveexec_b32 s7, s47
	s_cbranch_execz .LBB70_864
; %bb.863:                              ;   in Loop: Header=BB70_3 Depth=1
	ds_load_b64 v[36:37], v1 offset:27040
	v_dual_mov_b32 v38, v35 :: v_dual_mov_b32 v39, v34
	s_wait_dscnt 0x0
	s_delay_alu instid0(VALU_DEP_1) | instskip(NEXT) | instid1(VALU_DEP_1)
	v_dual_mul_f32 v0, v38, v36 :: v_dual_mul_f32 v78, v35, v37
	v_pk_fma_f32 v[38:39], v[38:39], v[36:37], v[0:1] op_sel_hi:[1,1,0]
	s_delay_alu instid0(VALU_DEP_2) | instskip(NEXT) | instid1(VALU_DEP_2)
	v_pk_fma_f32 v[34:35], v[34:35], v[36:37], v[78:79] op_sel_hi:[1,1,0] neg_lo:[0,0,1] neg_hi:[0,0,1]
	v_mov_b32_e32 v35, v39
	ds_store_b64 v47, v[34:35]
.LBB70_864:                             ;   in Loop: Header=BB70_3 Depth=1
	s_or_b32 exec_lo, exec_lo, s7
	s_wait_dscnt 0x0
	s_barrier_signal -1
	s_barrier_wait -1
	s_and_saveexec_b32 s7, s48
	s_cbranch_execz .LBB70_866
; %bb.865:                              ;   in Loop: Header=BB70_3 Depth=1
	ds_load_b64 v[36:37], v45 offset:27040
	ds_load_b64 v[38:39], v47
	s_wait_dscnt 0x0
	v_dual_mul_f32 v0, v39, v37 :: v_dual_mul_f32 v79, v38, v37
	s_delay_alu instid0(VALU_DEP_1) | instskip(NEXT) | instid1(VALU_DEP_1)
	v_dual_fma_f32 v78, v38, v36, -v0 :: v_dual_fmac_f32 v79, v39, v36
	v_pk_add_f32 v[34:35], v[34:35], v[78:79]
.LBB70_866:                             ;   in Loop: Header=BB70_3 Depth=1
	s_or_b32 exec_lo, exec_lo, s7
	s_barrier_signal -1
	s_barrier_wait -1
	s_and_saveexec_b32 s7, s49
	s_cbranch_execz .LBB70_868
; %bb.867:                              ;   in Loop: Header=BB70_3 Depth=1
	ds_load_b64 v[36:37], v1 offset:27560
	s_wait_dscnt 0x0
	v_pk_mul_f32 v[38:39], v[34:35], v[36:37] op_sel:[1,1] op_sel_hi:[1,0]
	s_delay_alu instid0(VALU_DEP_1) | instskip(SKIP_1) | instid1(VALU_DEP_2)
	v_pk_fma_f32 v[78:79], v[34:35], v[36:37], v[38:39] op_sel_hi:[0,1,1]
	v_pk_fma_f32 v[36:37], v[34:35], v[36:37], v[38:39] neg_lo:[0,0,1] neg_hi:[0,0,1]
	v_mov_b32_e32 v37, v79
	s_delay_alu instid0(VALU_DEP_1)
	v_mov_b64_e32 v[34:35], v[36:37]
	ds_store_b64 v47, v[36:37]
.LBB70_868:                             ;   in Loop: Header=BB70_3 Depth=1
	s_or_b32 exec_lo, exec_lo, s7
	s_wait_dscnt 0x0
	s_barrier_signal -1
	s_barrier_wait -1
	s_and_saveexec_b32 s7, s50
	s_cbranch_execz .LBB70_870
; %bb.869:                              ;   in Loop: Header=BB70_3 Depth=1
	ds_load_b64 v[36:37], v45 offset:27552
	ds_load_b64 v[38:39], v47
	s_wait_dscnt 0x0
	v_pk_mul_f32 v[78:79], v[38:39], v[36:37] op_sel:[1,1] op_sel_hi:[0,1]
	s_delay_alu instid0(VALU_DEP_1) | instskip(SKIP_1) | instid1(VALU_DEP_2)
	v_pk_fma_f32 v[80:81], v[38:39], v[36:37], v[78:79] op_sel_hi:[1,0,1]
	v_pk_fma_f32 v[36:37], v[38:39], v[36:37], v[78:79] neg_lo:[0,0,1] neg_hi:[0,0,1]
	v_mov_b32_e32 v37, v81
	s_delay_alu instid0(VALU_DEP_1)
	v_pk_add_f32 v[34:35], v[34:35], v[36:37]
.LBB70_870:                             ;   in Loop: Header=BB70_3 Depth=1
	s_or_b32 exec_lo, exec_lo, s7
	s_barrier_signal -1
	s_barrier_wait -1
	s_and_saveexec_b32 s7, s51
	s_cbranch_execz .LBB70_872
; %bb.871:                              ;   in Loop: Header=BB70_3 Depth=1
	ds_load_b64 v[36:37], v1 offset:28080
	s_wait_dscnt 0x0
	v_pk_mul_f32 v[38:39], v[34:35], v[36:37] op_sel:[1,1] op_sel_hi:[1,0]
	s_delay_alu instid0(VALU_DEP_1) | instskip(SKIP_1) | instid1(VALU_DEP_2)
	v_pk_fma_f32 v[78:79], v[34:35], v[36:37], v[38:39] op_sel_hi:[0,1,1]
	v_pk_fma_f32 v[36:37], v[34:35], v[36:37], v[38:39] neg_lo:[0,0,1] neg_hi:[0,0,1]
	v_mov_b32_e32 v37, v79
	s_delay_alu instid0(VALU_DEP_1)
	v_mov_b64_e32 v[34:35], v[36:37]
	ds_store_b64 v47, v[36:37]
.LBB70_872:                             ;   in Loop: Header=BB70_3 Depth=1
	s_or_b32 exec_lo, exec_lo, s7
	s_wait_dscnt 0x0
	s_barrier_signal -1
	s_barrier_wait -1
	s_and_saveexec_b32 s7, s52
	s_cbranch_execz .LBB70_874
; %bb.873:                              ;   in Loop: Header=BB70_3 Depth=1
	ds_load_b64 v[36:37], v1 offset:28088
	ds_load_b64 v[38:39], v47
	s_wait_dscnt 0x0
	v_pk_mul_f32 v[78:79], v[38:39], v[36:37] op_sel:[1,1] op_sel_hi:[0,1]
	s_delay_alu instid0(VALU_DEP_1) | instskip(SKIP_1) | instid1(VALU_DEP_2)
	v_pk_fma_f32 v[80:81], v[38:39], v[36:37], v[78:79] op_sel_hi:[1,0,1]
	v_pk_fma_f32 v[36:37], v[38:39], v[36:37], v[78:79] neg_lo:[0,0,1] neg_hi:[0,0,1]
	v_mov_b32_e32 v37, v81
	s_delay_alu instid0(VALU_DEP_1)
	v_pk_add_f32 v[34:35], v[34:35], v[36:37]
.LBB70_874:                             ;   in Loop: Header=BB70_3 Depth=1
	s_or_b32 exec_lo, exec_lo, s7
	s_barrier_signal -1
	s_barrier_wait -1
	s_and_saveexec_b32 s7, s52
	s_cbranch_execz .LBB70_876
; %bb.875:                              ;   in Loop: Header=BB70_3 Depth=1
	ds_load_b64 v[36:37], v1 offset:28600
	s_wait_dscnt 0x0
	v_pk_mul_f32 v[38:39], v[34:35], v[36:37] op_sel:[1,1] op_sel_hi:[1,0]
	s_delay_alu instid0(VALU_DEP_1) | instskip(SKIP_1) | instid1(VALU_DEP_2)
	v_pk_fma_f32 v[78:79], v[34:35], v[36:37], v[38:39] op_sel_hi:[0,1,1]
	v_pk_fma_f32 v[36:37], v[34:35], v[36:37], v[38:39] neg_lo:[0,0,1] neg_hi:[0,0,1]
	v_mov_b32_e32 v37, v79
	s_delay_alu instid0(VALU_DEP_1)
	v_mov_b64_e32 v[34:35], v[36:37]
	ds_store_b64 v47, v[36:37]
.LBB70_876:                             ;   in Loop: Header=BB70_3 Depth=1
	s_or_b32 exec_lo, exec_lo, s7
	s_wait_dscnt 0x0
	s_barrier_signal -1
	s_barrier_wait -1
	s_barrier_signal -1
	s_barrier_wait -1
	s_and_saveexec_b32 s7, s2
; %bb.877:                              ;   in Loop: Header=BB70_3 Depth=1
	v_pk_add_f32 v[34:35], v[34:35], 0 neg_lo:[1,1] neg_hi:[1,1]
	ds_store_b64 v48, v[34:35] offset:24992
; %bb.878:                              ;   in Loop: Header=BB70_3 Depth=1
	s_or_b32 exec_lo, exec_lo, s7
	s_wait_dscnt 0x0
	s_barrier_signal -1
	s_barrier_wait -1
	s_barrier_signal -1
	s_barrier_wait -1
	s_and_saveexec_b32 s98, s14
	s_cbranch_execz .LBB70_880
; %bb.879:                              ;   in Loop: Header=BB70_3 Depth=1
	ds_load_b128 v[34:37], v1 offset:27040
	ds_load_b64 v[38:39], v1 offset:27560
	s_wait_dscnt 0x1
	v_dual_mov_b32 v78, v37 :: v_dual_mov_b32 v79, v36
	s_wait_dscnt 0x0
	v_dual_mul_f32 v77, v39, v35 :: v_dual_mul_f32 v0, v38, v35
	s_delay_alu instid0(VALU_DEP_1) | instskip(NEXT) | instid1(VALU_DEP_2)
	v_xor_b32_e32 v80, 0x80000000, v77
	v_fmac_f32_e32 v0, v39, v34
	s_delay_alu instid0(VALU_DEP_2) | instskip(NEXT) | instid1(VALU_DEP_2)
	v_fmac_f32_e32 v80, v38, v34
	v_pk_mul_f32 v[34:35], v[0:1], v[78:79] op_sel_hi:[0,1]
	s_delay_alu instid0(VALU_DEP_1) | instskip(SKIP_1) | instid1(VALU_DEP_2)
	v_pk_fma_f32 v[38:39], v[80:81], v[36:37], v[34:35] op_sel_hi:[0,1,1]
	v_pk_fma_f32 v[34:35], v[80:81], v[36:37], v[34:35] neg_lo:[0,0,1] neg_hi:[0,0,1]
	v_mov_b32_e32 v35, v39
	ds_store_b64 v1, v[34:35] offset:27048
.LBB70_880:                             ;   in Loop: Header=BB70_3 Depth=1
	s_or_b32 exec_lo, exec_lo, s98
	v_mov_b32_e32 v35, 0
	s_wait_dscnt 0x0
	s_barrier_signal -1
	s_barrier_wait -1
	s_delay_alu instid0(VALU_DEP_1)
	v_mov_b32_e32 v34, v35
	s_and_saveexec_b32 s98, s1
	s_cbranch_execz .LBB70_884
; %bb.881:                              ;   in Loop: Header=BB70_3 Depth=1
	ds_load_b64 v[34:35], v42 offset:27056
	ds_load_b64 v[36:37], v43 offset:27040
	s_wait_dscnt 0x0
	v_dual_mul_f32 v0, v37, v35 :: v_dual_mul_f32 v39, v36, v35
	s_delay_alu instid0(VALU_DEP_1) | instskip(NEXT) | instid1(VALU_DEP_1)
	v_dual_fma_f32 v38, v36, v34, -v0 :: v_dual_fmac_f32 v39, v37, v34
	v_pk_add_f32 v[34:35], v[38:39], 0 op_sel_hi:[1,0]
	s_and_saveexec_b32 s7, s15
	s_cbranch_execz .LBB70_883
; %bb.882:                              ;   in Loop: Header=BB70_3 Depth=1
	ds_load_b64 v[36:37], v44 offset:27568
	ds_load_b64 v[38:39], v1 offset:27048
	s_wait_dscnt 0x0
	v_pk_mul_f32 v[78:79], v[38:39], v[36:37] op_sel:[1,1] op_sel_hi:[0,1]
	s_delay_alu instid0(VALU_DEP_1) | instskip(SKIP_1) | instid1(VALU_DEP_2)
	v_pk_fma_f32 v[80:81], v[38:39], v[36:37], v[78:79] op_sel_hi:[1,0,1]
	v_pk_fma_f32 v[36:37], v[38:39], v[36:37], v[78:79] neg_lo:[0,0,1] neg_hi:[0,0,1]
	v_mov_b32_e32 v37, v81
	s_delay_alu instid0(VALU_DEP_1)
	v_pk_add_f32 v[34:35], v[34:35], v[36:37]
.LBB70_883:                             ;   in Loop: Header=BB70_3 Depth=1
	s_or_b32 exec_lo, exec_lo, s7
	s_delay_alu instid0(VALU_DEP_1)
	v_pk_add_f32 v[34:35], v[34:35], 0 neg_lo:[1,1] neg_hi:[1,1]
.LBB70_884:                             ;   in Loop: Header=BB70_3 Depth=1
	s_or_b32 exec_lo, exec_lo, s98
	s_and_saveexec_b32 s7, s45
	s_cbranch_execz .LBB70_886
; %bb.885:                              ;   in Loop: Header=BB70_3 Depth=1
	ds_load_b64 v[36:37], v1 offset:28080
	s_wait_dscnt 0x0
	v_pk_mul_f32 v[38:39], v[34:35], v[36:37] op_sel:[1,1] op_sel_hi:[1,0]
	s_delay_alu instid0(VALU_DEP_1) | instskip(SKIP_1) | instid1(VALU_DEP_2)
	v_pk_fma_f32 v[78:79], v[34:35], v[36:37], v[38:39] op_sel_hi:[0,1,1]
	v_pk_fma_f32 v[36:37], v[34:35], v[36:37], v[38:39] neg_lo:[0,0,1] neg_hi:[0,0,1]
	v_mov_b32_e32 v37, v79
	s_delay_alu instid0(VALU_DEP_1)
	v_mov_b64_e32 v[34:35], v[36:37]
	ds_store_b64 v3, v[36:37]
.LBB70_886:                             ;   in Loop: Header=BB70_3 Depth=1
	s_or_b32 exec_lo, exec_lo, s7
	s_wait_dscnt 0x0
	s_barrier_signal -1
	s_barrier_wait -1
	s_and_saveexec_b32 s7, s46
	s_cbranch_execz .LBB70_888
; %bb.887:                              ;   in Loop: Header=BB70_3 Depth=1
	ds_load_b64 v[36:37], v1 offset:28088
	ds_load_b64 v[38:39], v3
	s_wait_dscnt 0x0
	v_pk_mul_f32 v[78:79], v[38:39], v[36:37] op_sel:[1,1] op_sel_hi:[0,1]
	s_delay_alu instid0(VALU_DEP_1) | instskip(SKIP_1) | instid1(VALU_DEP_2)
	v_pk_fma_f32 v[80:81], v[38:39], v[36:37], v[78:79] op_sel_hi:[1,0,1]
	v_pk_fma_f32 v[36:37], v[38:39], v[36:37], v[78:79] neg_lo:[0,0,1] neg_hi:[0,0,1]
	v_mov_b32_e32 v37, v81
	s_delay_alu instid0(VALU_DEP_1)
	v_pk_add_f32 v[34:35], v[34:35], v[36:37]
.LBB70_888:                             ;   in Loop: Header=BB70_3 Depth=1
	s_or_b32 exec_lo, exec_lo, s7
	s_barrier_signal -1
	s_barrier_wait -1
	s_and_saveexec_b32 s7, s46
	s_cbranch_execz .LBB70_890
; %bb.889:                              ;   in Loop: Header=BB70_3 Depth=1
	ds_load_b64 v[36:37], v1 offset:28600
	s_wait_dscnt 0x0
	v_pk_mul_f32 v[38:39], v[34:35], v[36:37] op_sel:[1,1] op_sel_hi:[1,0]
	s_delay_alu instid0(VALU_DEP_1) | instskip(SKIP_1) | instid1(VALU_DEP_2)
	v_pk_fma_f32 v[78:79], v[34:35], v[36:37], v[38:39] op_sel_hi:[0,1,1]
	v_pk_fma_f32 v[36:37], v[34:35], v[36:37], v[38:39] neg_lo:[0,0,1] neg_hi:[0,0,1]
	v_mov_b32_e32 v37, v79
	s_delay_alu instid0(VALU_DEP_1)
	v_mov_b64_e32 v[34:35], v[36:37]
	ds_store_b64 v3, v[36:37]
.LBB70_890:                             ;   in Loop: Header=BB70_3 Depth=1
	s_or_b32 exec_lo, exec_lo, s7
	s_wait_dscnt 0x0
	s_barrier_signal -1
	s_barrier_wait -1
	s_barrier_signal -1
	s_barrier_wait -1
	s_and_saveexec_b32 s7, s1
; %bb.891:                              ;   in Loop: Header=BB70_3 Depth=1
	v_pk_add_f32 v[34:35], v[34:35], 0 neg_lo:[1,1] neg_hi:[1,1]
	ds_store_b64 v42, v[34:35] offset:27056
; %bb.892:                              ;   in Loop: Header=BB70_3 Depth=1
	s_or_b32 exec_lo, exec_lo, s7
	s_wait_dscnt 0x0
	s_barrier_signal -1
	s_barrier_wait -1
	s_barrier_signal -1
	s_barrier_wait -1
	s_and_saveexec_b32 s98, s14
	s_cbranch_execz .LBB70_894
; %bb.893:                              ;   in Loop: Header=BB70_3 Depth=1
	ds_load_b128 v[34:37], v1 offset:28080
	ds_load_b64 v[38:39], v1 offset:28600
	s_wait_dscnt 0x1
	v_dual_mov_b32 v78, v37 :: v_dual_mov_b32 v79, v36
	s_wait_dscnt 0x0
	v_dual_mul_f32 v77, v39, v35 :: v_dual_mul_f32 v0, v38, v35
	s_delay_alu instid0(VALU_DEP_1) | instskip(NEXT) | instid1(VALU_DEP_2)
	v_xor_b32_e32 v80, 0x80000000, v77
	v_fmac_f32_e32 v0, v39, v34
	s_delay_alu instid0(VALU_DEP_2) | instskip(NEXT) | instid1(VALU_DEP_2)
	v_fmac_f32_e32 v80, v38, v34
	v_pk_mul_f32 v[34:35], v[0:1], v[78:79] op_sel_hi:[0,1]
	s_delay_alu instid0(VALU_DEP_1) | instskip(SKIP_1) | instid1(VALU_DEP_2)
	v_pk_fma_f32 v[38:39], v[80:81], v[36:37], v[34:35] op_sel_hi:[0,1,1]
	v_pk_fma_f32 v[34:35], v[80:81], v[36:37], v[34:35] neg_lo:[0,0,1] neg_hi:[0,0,1]
	v_mov_b32_e32 v35, v39
	ds_store_b64 v1, v[34:35] offset:28088
.LBB70_894:                             ;   in Loop: Header=BB70_3 Depth=1
	s_or_b32 exec_lo, exec_lo, s98
	v_mov_b32_e32 v34, 0
	s_wait_dscnt 0x0
	s_barrier_signal -1
	s_barrier_wait -1
	s_delay_alu instid0(VALU_DEP_1)
	v_mov_b32_e32 v35, v34
	s_and_saveexec_b32 s98, s3
	s_cbranch_execz .LBB70_904
; %bb.895:                              ;   in Loop: Header=BB70_3 Depth=1
	ds_load_b64 v[34:35], v53 offset:25024
	ds_load_b64 v[36:37], v50 offset:24960
	s_wait_dscnt 0x0
	v_dual_mul_f32 v0, v37, v35 :: v_dual_mul_f32 v38, v36, v35
	s_delay_alu instid0(VALU_DEP_1) | instskip(NEXT) | instid1(VALU_DEP_1)
	v_dual_fma_f32 v0, v36, v34, -v0 :: v_dual_fmac_f32 v38, v37, v34
	v_dual_add_f32 v35, 0, v0 :: v_dual_add_f32 v34, 0, v38
	s_and_saveexec_b32 s7, s18
	s_cbranch_execnz .LBB70_1090
; %bb.896:                              ;   in Loop: Header=BB70_3 Depth=1
	s_or_b32 exec_lo, exec_lo, s7
	s_and_saveexec_b32 s7, s19
	s_cbranch_execnz .LBB70_1091
.LBB70_897:                             ;   in Loop: Header=BB70_3 Depth=1
	s_or_b32 exec_lo, exec_lo, s7
	s_and_saveexec_b32 s7, s20
	s_cbranch_execnz .LBB70_1092
.LBB70_898:                             ;   in Loop: Header=BB70_3 Depth=1
	s_or_b32 exec_lo, exec_lo, s7
	s_and_saveexec_b32 s7, s21
	s_cbranch_execnz .LBB70_1093
.LBB70_899:                             ;   in Loop: Header=BB70_3 Depth=1
	s_or_b32 exec_lo, exec_lo, s7
	s_and_saveexec_b32 s7, s22
	s_cbranch_execnz .LBB70_1094
.LBB70_900:                             ;   in Loop: Header=BB70_3 Depth=1
	s_or_b32 exec_lo, exec_lo, s7
	s_and_saveexec_b32 s7, s2
	s_cbranch_execnz .LBB70_1095
.LBB70_901:                             ;   in Loop: Header=BB70_3 Depth=1
	s_or_b32 exec_lo, exec_lo, s7
	s_and_saveexec_b32 s7, s17
	s_cbranch_execz .LBB70_903
.LBB70_902:                             ;   in Loop: Header=BB70_3 Depth=1
	ds_load_b64 v[36:37], v44 offset:28608
	ds_load_b64 v[38:39], v1 offset:25016
	s_wait_dscnt 0x0
	v_pk_mul_f32 v[78:79], v[38:39], v[36:37] op_sel:[0,1]
	s_delay_alu instid0(VALU_DEP_1) | instskip(SKIP_1) | instid1(VALU_DEP_2)
	v_pk_fma_f32 v[80:81], v[38:39], v[36:37], v[78:79] op_sel:[1,0,0] op_sel_hi:[0,0,1] neg_lo:[0,0,1] neg_hi:[0,0,1]
	v_pk_fma_f32 v[36:37], v[38:39], v[36:37], v[78:79] op_sel:[1,0,0] op_sel_hi:[0,1,1]
	v_mov_b32_e32 v37, v81
	s_delay_alu instid0(VALU_DEP_1)
	v_pk_add_f32 v[34:35], v[34:35], v[36:37]
.LBB70_903:                             ;   in Loop: Header=BB70_3 Depth=1
	s_or_b32 exec_lo, exec_lo, s7
	s_delay_alu instid0(VALU_DEP_1) | instskip(NEXT) | instid1(VALU_DEP_1)
	v_pk_add_f32 v[36:37], v[34:35], 0 neg_lo:[1,1] neg_hi:[1,1]
	v_dual_mov_b32 v34, v37 :: v_dual_mov_b32 v35, v36
.LBB70_904:                             ;   in Loop: Header=BB70_3 Depth=1
	s_or_b32 exec_lo, exec_lo, s98
	s_and_saveexec_b32 s7, s53
	s_cbranch_execz .LBB70_906
; %bb.905:                              ;   in Loop: Header=BB70_3 Depth=1
	ds_load_b64 v[36:37], v1 offset:29120
	v_dual_mov_b32 v38, v35 :: v_dual_mov_b32 v39, v34
	s_wait_dscnt 0x0
	s_delay_alu instid0(VALU_DEP_1) | instskip(NEXT) | instid1(VALU_DEP_1)
	v_dual_mul_f32 v0, v38, v36 :: v_dual_mul_f32 v78, v35, v37
	v_pk_fma_f32 v[38:39], v[38:39], v[36:37], v[0:1] op_sel_hi:[1,1,0]
	s_delay_alu instid0(VALU_DEP_2) | instskip(NEXT) | instid1(VALU_DEP_2)
	v_pk_fma_f32 v[34:35], v[34:35], v[36:37], v[78:79] op_sel_hi:[1,1,0] neg_lo:[0,0,1] neg_hi:[0,0,1]
	v_mov_b32_e32 v35, v39
	ds_store_b64 v52, v[34:35]
.LBB70_906:                             ;   in Loop: Header=BB70_3 Depth=1
	s_or_b32 exec_lo, exec_lo, s7
	s_wait_dscnt 0x0
	s_barrier_signal -1
	s_barrier_wait -1
	s_and_saveexec_b32 s7, s54
	s_cbranch_execz .LBB70_908
; %bb.907:                              ;   in Loop: Header=BB70_3 Depth=1
	ds_load_b64 v[36:37], v51 offset:29120
	ds_load_b64 v[38:39], v52
	s_wait_dscnt 0x0
	v_dual_mul_f32 v0, v39, v37 :: v_dual_mul_f32 v79, v38, v37
	s_delay_alu instid0(VALU_DEP_1) | instskip(NEXT) | instid1(VALU_DEP_1)
	v_dual_fma_f32 v78, v38, v36, -v0 :: v_dual_fmac_f32 v79, v39, v36
	v_pk_add_f32 v[34:35], v[34:35], v[78:79]
.LBB70_908:                             ;   in Loop: Header=BB70_3 Depth=1
	s_or_b32 exec_lo, exec_lo, s7
	s_barrier_signal -1
	s_barrier_wait -1
	s_and_saveexec_b32 s7, s55
	s_cbranch_execz .LBB70_910
; %bb.909:                              ;   in Loop: Header=BB70_3 Depth=1
	ds_load_b64 v[36:37], v1 offset:29640
	s_wait_dscnt 0x0
	v_pk_mul_f32 v[38:39], v[34:35], v[36:37] op_sel:[1,1] op_sel_hi:[1,0]
	s_delay_alu instid0(VALU_DEP_1) | instskip(SKIP_1) | instid1(VALU_DEP_2)
	v_pk_fma_f32 v[78:79], v[34:35], v[36:37], v[38:39] op_sel_hi:[0,1,1]
	v_pk_fma_f32 v[34:35], v[34:35], v[36:37], v[38:39] op_sel_hi:[0,1,1] neg_lo:[0,0,1] neg_hi:[0,0,1]
	v_mov_b32_e32 v35, v79
	ds_store_b64 v52, v[34:35]
.LBB70_910:                             ;   in Loop: Header=BB70_3 Depth=1
	s_or_b32 exec_lo, exec_lo, s7
	s_wait_dscnt 0x0
	s_barrier_signal -1
	s_barrier_wait -1
	s_and_saveexec_b32 s7, s56
	s_cbranch_execz .LBB70_912
; %bb.911:                              ;   in Loop: Header=BB70_3 Depth=1
	ds_load_b64 v[36:37], v51 offset:29632
	ds_load_b64 v[38:39], v52
	s_wait_dscnt 0x0
	v_pk_mul_f32 v[78:79], v[38:39], v[36:37] op_sel:[1,1] op_sel_hi:[0,1]
	s_delay_alu instid0(VALU_DEP_1) | instskip(SKIP_1) | instid1(VALU_DEP_2)
	v_pk_fma_f32 v[80:81], v[38:39], v[36:37], v[78:79] op_sel_hi:[1,0,1]
	v_pk_fma_f32 v[36:37], v[38:39], v[36:37], v[78:79] op_sel_hi:[1,0,1] neg_lo:[0,0,1] neg_hi:[0,0,1]
	v_mov_b32_e32 v37, v81
	s_delay_alu instid0(VALU_DEP_1)
	v_pk_add_f32 v[34:35], v[34:35], v[36:37]
.LBB70_912:                             ;   in Loop: Header=BB70_3 Depth=1
	s_or_b32 exec_lo, exec_lo, s7
	s_barrier_signal -1
	s_barrier_wait -1
	s_and_saveexec_b32 s7, s57
	s_cbranch_execz .LBB70_914
; %bb.913:                              ;   in Loop: Header=BB70_3 Depth=1
	ds_load_b64 v[36:37], v1 offset:30160
	s_wait_dscnt 0x0
	v_pk_mul_f32 v[38:39], v[34:35], v[36:37] op_sel:[1,1] op_sel_hi:[1,0]
	s_delay_alu instid0(VALU_DEP_1) | instskip(SKIP_1) | instid1(VALU_DEP_2)
	v_pk_fma_f32 v[78:79], v[34:35], v[36:37], v[38:39] op_sel_hi:[0,1,1]
	v_pk_fma_f32 v[34:35], v[34:35], v[36:37], v[38:39] op_sel_hi:[0,1,1] neg_lo:[0,0,1] neg_hi:[0,0,1]
	v_mov_b32_e32 v35, v79
	ds_store_b64 v52, v[34:35]
.LBB70_914:                             ;   in Loop: Header=BB70_3 Depth=1
	s_or_b32 exec_lo, exec_lo, s7
	s_wait_dscnt 0x0
	s_barrier_signal -1
	s_barrier_wait -1
	s_and_saveexec_b32 s7, s58
	s_cbranch_execz .LBB70_916
; %bb.915:                              ;   in Loop: Header=BB70_3 Depth=1
	ds_load_b64 v[36:37], v51 offset:30144
	ds_load_b64 v[38:39], v52
	s_wait_dscnt 0x0
	v_pk_mul_f32 v[78:79], v[38:39], v[36:37] op_sel:[1,1] op_sel_hi:[0,1]
	s_delay_alu instid0(VALU_DEP_1) | instskip(SKIP_1) | instid1(VALU_DEP_2)
	v_pk_fma_f32 v[80:81], v[38:39], v[36:37], v[78:79] op_sel_hi:[1,0,1]
	v_pk_fma_f32 v[36:37], v[38:39], v[36:37], v[78:79] op_sel_hi:[1,0,1] neg_lo:[0,0,1] neg_hi:[0,0,1]
	v_mov_b32_e32 v37, v81
	s_delay_alu instid0(VALU_DEP_1)
	v_pk_add_f32 v[34:35], v[34:35], v[36:37]
.LBB70_916:                             ;   in Loop: Header=BB70_3 Depth=1
	;; [unrolled: 33-line block ×3, first 2 shown]
	s_or_b32 exec_lo, exec_lo, s7
	s_barrier_signal -1
	s_barrier_wait -1
	s_and_saveexec_b32 s7, s61
	s_cbranch_execz .LBB70_922
; %bb.921:                              ;   in Loop: Header=BB70_3 Depth=1
	ds_load_b64 v[36:37], v1 offset:31200
	s_wait_dscnt 0x0
	v_dual_mul_f32 v0, v34, v37 :: v_dual_mul_f32 v38, v35, v37
	s_delay_alu instid0(VALU_DEP_1) | instskip(NEXT) | instid1(VALU_DEP_2)
	v_pk_fma_f32 v[78:79], v[34:35], v[36:37], v[0:1] op_sel:[0,1,0] op_sel_hi:[1,0,0]
	v_pk_fma_f32 v[36:37], v[34:35], v[36:37], v[38:39] op_sel_hi:[1,1,0] neg_lo:[0,0,1] neg_hi:[0,0,1]
	s_delay_alu instid0(VALU_DEP_2) | instskip(NEXT) | instid1(VALU_DEP_1)
	v_mov_b32_e32 v37, v79
	v_mov_b64_e32 v[34:35], v[36:37]
	ds_store_b64 v52, v[36:37]
.LBB70_922:                             ;   in Loop: Header=BB70_3 Depth=1
	s_or_b32 exec_lo, exec_lo, s7
	s_wait_dscnt 0x0
	s_barrier_signal -1
	s_barrier_wait -1
	s_and_saveexec_b32 s7, s62
	s_cbranch_execz .LBB70_924
; %bb.923:                              ;   in Loop: Header=BB70_3 Depth=1
	ds_load_b64 v[36:37], v51 offset:31168
	ds_load_b64 v[38:39], v52
	s_wait_dscnt 0x0
	v_dual_mul_f32 v0, v39, v37 :: v_dual_mul_f32 v79, v38, v37
	s_delay_alu instid0(VALU_DEP_1) | instskip(NEXT) | instid1(VALU_DEP_1)
	v_dual_fma_f32 v78, v38, v36, -v0 :: v_dual_fmac_f32 v79, v39, v36
	v_pk_add_f32 v[34:35], v[34:35], v[78:79]
.LBB70_924:                             ;   in Loop: Header=BB70_3 Depth=1
	s_or_b32 exec_lo, exec_lo, s7
	s_barrier_signal -1
	s_barrier_wait -1
	s_and_saveexec_b32 s7, s63
	s_cbranch_execz .LBB70_926
; %bb.925:                              ;   in Loop: Header=BB70_3 Depth=1
	ds_load_b64 v[36:37], v1 offset:31720
	s_wait_dscnt 0x0
	v_pk_mul_f32 v[38:39], v[34:35], v[36:37] op_sel:[1,1] op_sel_hi:[1,0]
	s_delay_alu instid0(VALU_DEP_1) | instskip(SKIP_1) | instid1(VALU_DEP_2)
	v_pk_fma_f32 v[78:79], v[34:35], v[36:37], v[38:39] op_sel_hi:[0,1,1]
	v_pk_fma_f32 v[36:37], v[34:35], v[36:37], v[38:39] neg_lo:[0,0,1] neg_hi:[0,0,1]
	v_mov_b32_e32 v37, v79
	s_delay_alu instid0(VALU_DEP_1)
	v_mov_b64_e32 v[34:35], v[36:37]
	ds_store_b64 v52, v[36:37]
.LBB70_926:                             ;   in Loop: Header=BB70_3 Depth=1
	s_or_b32 exec_lo, exec_lo, s7
	s_wait_dscnt 0x0
	s_barrier_signal -1
	s_barrier_wait -1
	s_and_saveexec_b32 s7, s64
	s_cbranch_execz .LBB70_928
; %bb.927:                              ;   in Loop: Header=BB70_3 Depth=1
	ds_load_b64 v[36:37], v51 offset:31680
	ds_load_b64 v[38:39], v52
	s_wait_dscnt 0x0
	v_pk_mul_f32 v[78:79], v[38:39], v[36:37] op_sel:[1,1] op_sel_hi:[0,1]
	s_delay_alu instid0(VALU_DEP_1) | instskip(SKIP_1) | instid1(VALU_DEP_2)
	v_pk_fma_f32 v[80:81], v[38:39], v[36:37], v[78:79] op_sel_hi:[1,0,1]
	v_pk_fma_f32 v[36:37], v[38:39], v[36:37], v[78:79] neg_lo:[0,0,1] neg_hi:[0,0,1]
	v_mov_b32_e32 v37, v81
	s_delay_alu instid0(VALU_DEP_1)
	v_pk_add_f32 v[34:35], v[34:35], v[36:37]
.LBB70_928:                             ;   in Loop: Header=BB70_3 Depth=1
	s_or_b32 exec_lo, exec_lo, s7
	s_barrier_signal -1
	s_barrier_wait -1
	s_and_saveexec_b32 s7, s65
	s_cbranch_execz .LBB70_930
; %bb.929:                              ;   in Loop: Header=BB70_3 Depth=1
	ds_load_b64 v[36:37], v1 offset:32240
	s_wait_dscnt 0x0
	v_pk_mul_f32 v[38:39], v[34:35], v[36:37] op_sel:[1,1] op_sel_hi:[1,0]
	s_delay_alu instid0(VALU_DEP_1) | instskip(SKIP_1) | instid1(VALU_DEP_2)
	v_pk_fma_f32 v[78:79], v[34:35], v[36:37], v[38:39] op_sel_hi:[0,1,1]
	v_pk_fma_f32 v[36:37], v[34:35], v[36:37], v[38:39] neg_lo:[0,0,1] neg_hi:[0,0,1]
	v_mov_b32_e32 v37, v79
	s_delay_alu instid0(VALU_DEP_1)
	v_mov_b64_e32 v[34:35], v[36:37]
	ds_store_b64 v52, v[36:37]
.LBB70_930:                             ;   in Loop: Header=BB70_3 Depth=1
	s_or_b32 exec_lo, exec_lo, s7
	s_wait_dscnt 0x0
	s_barrier_signal -1
	s_barrier_wait -1
	s_and_saveexec_b32 s7, s66
	s_cbranch_execz .LBB70_932
; %bb.931:                              ;   in Loop: Header=BB70_3 Depth=1
	ds_load_b64 v[36:37], v1 offset:32248
	ds_load_b64 v[38:39], v52
	s_wait_dscnt 0x0
	v_pk_mul_f32 v[78:79], v[38:39], v[36:37] op_sel:[1,1] op_sel_hi:[0,1]
	s_delay_alu instid0(VALU_DEP_1) | instskip(SKIP_1) | instid1(VALU_DEP_2)
	v_pk_fma_f32 v[80:81], v[38:39], v[36:37], v[78:79] op_sel_hi:[1,0,1]
	v_pk_fma_f32 v[36:37], v[38:39], v[36:37], v[78:79] neg_lo:[0,0,1] neg_hi:[0,0,1]
	v_mov_b32_e32 v37, v81
	s_delay_alu instid0(VALU_DEP_1)
	v_pk_add_f32 v[34:35], v[34:35], v[36:37]
.LBB70_932:                             ;   in Loop: Header=BB70_3 Depth=1
	s_or_b32 exec_lo, exec_lo, s7
	s_barrier_signal -1
	s_barrier_wait -1
	s_and_saveexec_b32 s7, s66
	s_cbranch_execz .LBB70_934
; %bb.933:                              ;   in Loop: Header=BB70_3 Depth=1
	ds_load_b64 v[36:37], v1 offset:32760
	s_wait_dscnt 0x0
	v_pk_mul_f32 v[38:39], v[34:35], v[36:37] op_sel:[1,1] op_sel_hi:[1,0]
	s_delay_alu instid0(VALU_DEP_1) | instskip(SKIP_1) | instid1(VALU_DEP_2)
	v_pk_fma_f32 v[78:79], v[34:35], v[36:37], v[38:39] op_sel_hi:[0,1,1]
	v_pk_fma_f32 v[36:37], v[34:35], v[36:37], v[38:39] neg_lo:[0,0,1] neg_hi:[0,0,1]
	v_mov_b32_e32 v37, v79
	s_delay_alu instid0(VALU_DEP_1)
	v_mov_b64_e32 v[34:35], v[36:37]
	ds_store_b64 v52, v[36:37]
.LBB70_934:                             ;   in Loop: Header=BB70_3 Depth=1
	s_or_b32 exec_lo, exec_lo, s7
	s_wait_dscnt 0x0
	s_barrier_signal -1
	s_barrier_wait -1
	s_barrier_signal -1
	s_barrier_wait -1
	s_and_saveexec_b32 s7, s3
; %bb.935:                              ;   in Loop: Header=BB70_3 Depth=1
	v_pk_add_f32 v[34:35], v[34:35], 0 neg_lo:[1,1] neg_hi:[1,1]
	ds_store_b64 v53, v[34:35] offset:25024
; %bb.936:                              ;   in Loop: Header=BB70_3 Depth=1
	s_or_b32 exec_lo, exec_lo, s7
	s_wait_dscnt 0x0
	s_barrier_signal -1
	s_barrier_wait -1
	s_barrier_signal -1
	s_barrier_wait -1
	s_and_saveexec_b32 s98, s14
	s_cbranch_execz .LBB70_938
; %bb.937:                              ;   in Loop: Header=BB70_3 Depth=1
	ds_load_b128 v[34:37], v1 offset:29120
	ds_load_b64 v[38:39], v1 offset:29640
	s_wait_dscnt 0x1
	v_dual_mov_b32 v78, v37 :: v_dual_mov_b32 v79, v36
	s_wait_dscnt 0x0
	v_dual_mul_f32 v77, v39, v35 :: v_dual_mul_f32 v0, v38, v35
	s_delay_alu instid0(VALU_DEP_1) | instskip(NEXT) | instid1(VALU_DEP_2)
	v_xor_b32_e32 v80, 0x80000000, v77
	v_fmac_f32_e32 v0, v39, v34
	s_delay_alu instid0(VALU_DEP_2) | instskip(NEXT) | instid1(VALU_DEP_2)
	v_fmac_f32_e32 v80, v38, v34
	v_pk_mul_f32 v[34:35], v[0:1], v[78:79] op_sel_hi:[0,1]
	s_delay_alu instid0(VALU_DEP_1) | instskip(SKIP_1) | instid1(VALU_DEP_2)
	v_pk_fma_f32 v[38:39], v[80:81], v[36:37], v[34:35] op_sel_hi:[0,1,1]
	v_pk_fma_f32 v[34:35], v[80:81], v[36:37], v[34:35] neg_lo:[0,0,1] neg_hi:[0,0,1]
	v_mov_b32_e32 v35, v39
	ds_store_b64 v1, v[34:35] offset:29128
.LBB70_938:                             ;   in Loop: Header=BB70_3 Depth=1
	s_or_b32 exec_lo, exec_lo, s98
	v_mov_b32_e32 v35, 0
	s_wait_dscnt 0x0
	s_barrier_signal -1
	s_barrier_wait -1
	s_delay_alu instid0(VALU_DEP_1)
	v_mov_b32_e32 v34, v35
	s_and_saveexec_b32 s98, s1
	s_cbranch_execz .LBB70_942
; %bb.939:                              ;   in Loop: Header=BB70_3 Depth=1
	ds_load_b64 v[34:35], v42 offset:29136
	ds_load_b64 v[36:37], v43 offset:29120
	s_wait_dscnt 0x0
	v_dual_mul_f32 v0, v37, v35 :: v_dual_mul_f32 v39, v36, v35
	s_delay_alu instid0(VALU_DEP_1) | instskip(NEXT) | instid1(VALU_DEP_1)
	v_dual_fma_f32 v38, v36, v34, -v0 :: v_dual_fmac_f32 v39, v37, v34
	v_pk_add_f32 v[34:35], v[38:39], 0 op_sel_hi:[1,0]
	s_and_saveexec_b32 s7, s15
	s_cbranch_execz .LBB70_941
; %bb.940:                              ;   in Loop: Header=BB70_3 Depth=1
	ds_load_b64 v[36:37], v44 offset:29648
	ds_load_b64 v[38:39], v1 offset:29128
	s_wait_dscnt 0x0
	v_pk_mul_f32 v[78:79], v[38:39], v[36:37] op_sel:[1,1] op_sel_hi:[0,1]
	s_delay_alu instid0(VALU_DEP_1) | instskip(SKIP_1) | instid1(VALU_DEP_2)
	v_pk_fma_f32 v[80:81], v[38:39], v[36:37], v[78:79] op_sel_hi:[1,0,1]
	v_pk_fma_f32 v[36:37], v[38:39], v[36:37], v[78:79] neg_lo:[0,0,1] neg_hi:[0,0,1]
	v_mov_b32_e32 v37, v81
	s_delay_alu instid0(VALU_DEP_1)
	v_pk_add_f32 v[34:35], v[34:35], v[36:37]
.LBB70_941:                             ;   in Loop: Header=BB70_3 Depth=1
	s_or_b32 exec_lo, exec_lo, s7
	s_delay_alu instid0(VALU_DEP_1)
	v_pk_add_f32 v[34:35], v[34:35], 0 neg_lo:[1,1] neg_hi:[1,1]
.LBB70_942:                             ;   in Loop: Header=BB70_3 Depth=1
	s_or_b32 exec_lo, exec_lo, s98
	s_and_saveexec_b32 s7, s45
	s_cbranch_execz .LBB70_944
; %bb.943:                              ;   in Loop: Header=BB70_3 Depth=1
	ds_load_b64 v[36:37], v1 offset:30160
	s_wait_dscnt 0x0
	v_pk_mul_f32 v[38:39], v[34:35], v[36:37] op_sel:[1,1] op_sel_hi:[1,0]
	s_delay_alu instid0(VALU_DEP_1) | instskip(SKIP_1) | instid1(VALU_DEP_2)
	v_pk_fma_f32 v[78:79], v[34:35], v[36:37], v[38:39] op_sel_hi:[0,1,1]
	v_pk_fma_f32 v[36:37], v[34:35], v[36:37], v[38:39] neg_lo:[0,0,1] neg_hi:[0,0,1]
	v_mov_b32_e32 v37, v79
	s_delay_alu instid0(VALU_DEP_1)
	v_mov_b64_e32 v[34:35], v[36:37]
	ds_store_b64 v3, v[36:37]
.LBB70_944:                             ;   in Loop: Header=BB70_3 Depth=1
	s_or_b32 exec_lo, exec_lo, s7
	s_wait_dscnt 0x0
	s_barrier_signal -1
	s_barrier_wait -1
	s_and_saveexec_b32 s7, s46
	s_cbranch_execz .LBB70_946
; %bb.945:                              ;   in Loop: Header=BB70_3 Depth=1
	ds_load_b64 v[36:37], v1 offset:30168
	ds_load_b64 v[38:39], v3
	s_wait_dscnt 0x0
	v_pk_mul_f32 v[78:79], v[38:39], v[36:37] op_sel:[1,1] op_sel_hi:[0,1]
	s_delay_alu instid0(VALU_DEP_1) | instskip(SKIP_1) | instid1(VALU_DEP_2)
	v_pk_fma_f32 v[80:81], v[38:39], v[36:37], v[78:79] op_sel_hi:[1,0,1]
	v_pk_fma_f32 v[36:37], v[38:39], v[36:37], v[78:79] neg_lo:[0,0,1] neg_hi:[0,0,1]
	v_mov_b32_e32 v37, v81
	s_delay_alu instid0(VALU_DEP_1)
	v_pk_add_f32 v[34:35], v[34:35], v[36:37]
.LBB70_946:                             ;   in Loop: Header=BB70_3 Depth=1
	s_or_b32 exec_lo, exec_lo, s7
	s_barrier_signal -1
	s_barrier_wait -1
	s_and_saveexec_b32 s7, s46
	s_cbranch_execz .LBB70_948
; %bb.947:                              ;   in Loop: Header=BB70_3 Depth=1
	ds_load_b64 v[36:37], v1 offset:30680
	s_wait_dscnt 0x0
	v_pk_mul_f32 v[38:39], v[34:35], v[36:37] op_sel:[1,1] op_sel_hi:[1,0]
	s_delay_alu instid0(VALU_DEP_1) | instskip(SKIP_1) | instid1(VALU_DEP_2)
	v_pk_fma_f32 v[78:79], v[34:35], v[36:37], v[38:39] op_sel_hi:[0,1,1]
	v_pk_fma_f32 v[36:37], v[34:35], v[36:37], v[38:39] neg_lo:[0,0,1] neg_hi:[0,0,1]
	v_mov_b32_e32 v37, v79
	s_delay_alu instid0(VALU_DEP_1)
	v_mov_b64_e32 v[34:35], v[36:37]
	ds_store_b64 v3, v[36:37]
.LBB70_948:                             ;   in Loop: Header=BB70_3 Depth=1
	s_or_b32 exec_lo, exec_lo, s7
	s_wait_dscnt 0x0
	s_barrier_signal -1
	s_barrier_wait -1
	s_barrier_signal -1
	s_barrier_wait -1
	s_and_saveexec_b32 s7, s1
; %bb.949:                              ;   in Loop: Header=BB70_3 Depth=1
	v_pk_add_f32 v[34:35], v[34:35], 0 neg_lo:[1,1] neg_hi:[1,1]
	ds_store_b64 v42, v[34:35] offset:29136
; %bb.950:                              ;   in Loop: Header=BB70_3 Depth=1
	s_or_b32 exec_lo, exec_lo, s7
	s_wait_dscnt 0x0
	s_barrier_signal -1
	s_barrier_wait -1
	s_barrier_signal -1
	s_barrier_wait -1
	s_and_saveexec_b32 s98, s14
	s_cbranch_execz .LBB70_952
; %bb.951:                              ;   in Loop: Header=BB70_3 Depth=1
	ds_load_b128 v[34:37], v1 offset:30160
	ds_load_b64 v[38:39], v1 offset:30680
	s_wait_dscnt 0x1
	v_dual_mov_b32 v78, v37 :: v_dual_mov_b32 v79, v36
	s_wait_dscnt 0x0
	v_dual_mul_f32 v77, v39, v35 :: v_dual_mul_f32 v0, v38, v35
	s_delay_alu instid0(VALU_DEP_1) | instskip(NEXT) | instid1(VALU_DEP_2)
	v_xor_b32_e32 v80, 0x80000000, v77
	v_fmac_f32_e32 v0, v39, v34
	s_delay_alu instid0(VALU_DEP_2) | instskip(NEXT) | instid1(VALU_DEP_2)
	v_fmac_f32_e32 v80, v38, v34
	v_pk_mul_f32 v[34:35], v[0:1], v[78:79] op_sel_hi:[0,1]
	s_delay_alu instid0(VALU_DEP_1) | instskip(SKIP_1) | instid1(VALU_DEP_2)
	v_pk_fma_f32 v[38:39], v[80:81], v[36:37], v[34:35] op_sel_hi:[0,1,1]
	v_pk_fma_f32 v[34:35], v[80:81], v[36:37], v[34:35] neg_lo:[0,0,1] neg_hi:[0,0,1]
	v_mov_b32_e32 v35, v39
	ds_store_b64 v1, v[34:35] offset:30168
.LBB70_952:                             ;   in Loop: Header=BB70_3 Depth=1
	s_or_b32 exec_lo, exec_lo, s98
	v_mov_b32_e32 v34, 0
	s_wait_dscnt 0x0
	s_barrier_signal -1
	s_barrier_wait -1
	s_delay_alu instid0(VALU_DEP_1)
	v_mov_b32_e32 v35, v34
	s_and_saveexec_b32 s98, s2
	s_cbranch_execz .LBB70_958
; %bb.953:                              ;   in Loop: Header=BB70_3 Depth=1
	ds_load_b64 v[34:35], v48 offset:29152
	ds_load_b64 v[36:37], v46 offset:29120
	s_wait_dscnt 0x0
	v_pk_mul_f32 v[38:39], v[36:37], v[34:35] op_sel:[0,1]
	s_delay_alu instid0(VALU_DEP_1) | instskip(SKIP_1) | instid1(VALU_DEP_2)
	v_pk_fma_f32 v[78:79], v[36:37], v[34:35], v[38:39] op_sel:[1,0,0] op_sel_hi:[0,0,1] neg_lo:[0,0,1] neg_hi:[0,0,1]
	v_pk_fma_f32 v[34:35], v[36:37], v[34:35], v[38:39] op_sel:[1,0,0] op_sel_hi:[0,1,1]
	v_mov_b32_e32 v35, v79
	s_delay_alu instid0(VALU_DEP_1)
	v_pk_add_f32 v[34:35], v[34:35], 0 op_sel_hi:[1,0]
	s_and_saveexec_b32 s7, s16
	s_cbranch_execnz .LBB70_1096
; %bb.954:                              ;   in Loop: Header=BB70_3 Depth=1
	s_or_b32 exec_lo, exec_lo, s7
	s_and_saveexec_b32 s7, s17
	s_cbranch_execnz .LBB70_1097
.LBB70_955:                             ;   in Loop: Header=BB70_3 Depth=1
	s_or_b32 exec_lo, exec_lo, s7
	s_and_saveexec_b32 s7, s1
	s_cbranch_execz .LBB70_957
.LBB70_956:                             ;   in Loop: Header=BB70_3 Depth=1
	ds_load_b64 v[36:37], v44 offset:30688
	ds_load_b64 v[38:39], v1 offset:29144
	s_wait_dscnt 0x0
	v_pk_mul_f32 v[78:79], v[38:39], v[36:37] op_sel:[0,1]
	s_delay_alu instid0(VALU_DEP_1) | instskip(SKIP_1) | instid1(VALU_DEP_2)
	v_pk_fma_f32 v[80:81], v[38:39], v[36:37], v[78:79] op_sel:[1,0,0] op_sel_hi:[0,0,1] neg_lo:[0,0,1] neg_hi:[0,0,1]
	v_pk_fma_f32 v[36:37], v[38:39], v[36:37], v[78:79] op_sel:[1,0,0] op_sel_hi:[0,1,1]
	v_mov_b32_e32 v37, v81
	s_delay_alu instid0(VALU_DEP_1)
	v_pk_add_f32 v[34:35], v[34:35], v[36:37]
.LBB70_957:                             ;   in Loop: Header=BB70_3 Depth=1
	s_or_b32 exec_lo, exec_lo, s7
	s_delay_alu instid0(VALU_DEP_1) | instskip(NEXT) | instid1(VALU_DEP_1)
	v_pk_add_f32 v[36:37], v[34:35], 0 neg_lo:[1,1] neg_hi:[1,1]
	v_dual_mov_b32 v34, v37 :: v_dual_mov_b32 v35, v36
.LBB70_958:                             ;   in Loop: Header=BB70_3 Depth=1
	s_or_b32 exec_lo, exec_lo, s98
	s_and_saveexec_b32 s7, s47
	s_cbranch_execz .LBB70_960
; %bb.959:                              ;   in Loop: Header=BB70_3 Depth=1
	ds_load_b64 v[36:37], v1 offset:31200
	v_dual_mov_b32 v38, v35 :: v_dual_mov_b32 v39, v34
	s_wait_dscnt 0x0
	s_delay_alu instid0(VALU_DEP_1) | instskip(NEXT) | instid1(VALU_DEP_1)
	v_dual_mul_f32 v0, v38, v36 :: v_dual_mul_f32 v78, v35, v37
	v_pk_fma_f32 v[38:39], v[38:39], v[36:37], v[0:1] op_sel_hi:[1,1,0]
	s_delay_alu instid0(VALU_DEP_2) | instskip(NEXT) | instid1(VALU_DEP_2)
	v_pk_fma_f32 v[34:35], v[34:35], v[36:37], v[78:79] op_sel_hi:[1,1,0] neg_lo:[0,0,1] neg_hi:[0,0,1]
	v_mov_b32_e32 v35, v39
	ds_store_b64 v47, v[34:35]
.LBB70_960:                             ;   in Loop: Header=BB70_3 Depth=1
	s_or_b32 exec_lo, exec_lo, s7
	s_wait_dscnt 0x0
	s_barrier_signal -1
	s_barrier_wait -1
	s_and_saveexec_b32 s7, s48
	s_cbranch_execz .LBB70_962
; %bb.961:                              ;   in Loop: Header=BB70_3 Depth=1
	ds_load_b64 v[36:37], v45 offset:31200
	ds_load_b64 v[38:39], v47
	s_wait_dscnt 0x0
	v_dual_mul_f32 v0, v39, v37 :: v_dual_mul_f32 v79, v38, v37
	s_delay_alu instid0(VALU_DEP_1) | instskip(NEXT) | instid1(VALU_DEP_1)
	v_dual_fma_f32 v78, v38, v36, -v0 :: v_dual_fmac_f32 v79, v39, v36
	v_pk_add_f32 v[34:35], v[34:35], v[78:79]
.LBB70_962:                             ;   in Loop: Header=BB70_3 Depth=1
	s_or_b32 exec_lo, exec_lo, s7
	s_barrier_signal -1
	s_barrier_wait -1
	s_and_saveexec_b32 s7, s49
	s_cbranch_execz .LBB70_964
; %bb.963:                              ;   in Loop: Header=BB70_3 Depth=1
	ds_load_b64 v[36:37], v1 offset:31720
	s_wait_dscnt 0x0
	v_pk_mul_f32 v[38:39], v[34:35], v[36:37] op_sel:[1,1] op_sel_hi:[1,0]
	s_delay_alu instid0(VALU_DEP_1) | instskip(SKIP_1) | instid1(VALU_DEP_2)
	v_pk_fma_f32 v[78:79], v[34:35], v[36:37], v[38:39] op_sel_hi:[0,1,1]
	v_pk_fma_f32 v[36:37], v[34:35], v[36:37], v[38:39] neg_lo:[0,0,1] neg_hi:[0,0,1]
	v_mov_b32_e32 v37, v79
	s_delay_alu instid0(VALU_DEP_1)
	v_mov_b64_e32 v[34:35], v[36:37]
	ds_store_b64 v47, v[36:37]
.LBB70_964:                             ;   in Loop: Header=BB70_3 Depth=1
	s_or_b32 exec_lo, exec_lo, s7
	s_wait_dscnt 0x0
	s_barrier_signal -1
	s_barrier_wait -1
	s_and_saveexec_b32 s7, s50
	s_cbranch_execz .LBB70_966
; %bb.965:                              ;   in Loop: Header=BB70_3 Depth=1
	ds_load_b64 v[36:37], v45 offset:31712
	ds_load_b64 v[38:39], v47
	s_wait_dscnt 0x0
	v_pk_mul_f32 v[78:79], v[38:39], v[36:37] op_sel:[1,1] op_sel_hi:[0,1]
	s_delay_alu instid0(VALU_DEP_1) | instskip(SKIP_1) | instid1(VALU_DEP_2)
	v_pk_fma_f32 v[80:81], v[38:39], v[36:37], v[78:79] op_sel_hi:[1,0,1]
	v_pk_fma_f32 v[36:37], v[38:39], v[36:37], v[78:79] neg_lo:[0,0,1] neg_hi:[0,0,1]
	v_mov_b32_e32 v37, v81
	s_delay_alu instid0(VALU_DEP_1)
	v_pk_add_f32 v[34:35], v[34:35], v[36:37]
.LBB70_966:                             ;   in Loop: Header=BB70_3 Depth=1
	s_or_b32 exec_lo, exec_lo, s7
	s_barrier_signal -1
	s_barrier_wait -1
	s_and_saveexec_b32 s7, s51
	s_cbranch_execz .LBB70_968
; %bb.967:                              ;   in Loop: Header=BB70_3 Depth=1
	ds_load_b64 v[36:37], v1 offset:32240
	s_wait_dscnt 0x0
	v_pk_mul_f32 v[38:39], v[34:35], v[36:37] op_sel:[1,1] op_sel_hi:[1,0]
	s_delay_alu instid0(VALU_DEP_1) | instskip(SKIP_1) | instid1(VALU_DEP_2)
	v_pk_fma_f32 v[78:79], v[34:35], v[36:37], v[38:39] op_sel_hi:[0,1,1]
	v_pk_fma_f32 v[36:37], v[34:35], v[36:37], v[38:39] neg_lo:[0,0,1] neg_hi:[0,0,1]
	v_mov_b32_e32 v37, v79
	s_delay_alu instid0(VALU_DEP_1)
	v_mov_b64_e32 v[34:35], v[36:37]
	ds_store_b64 v47, v[36:37]
.LBB70_968:                             ;   in Loop: Header=BB70_3 Depth=1
	s_or_b32 exec_lo, exec_lo, s7
	s_wait_dscnt 0x0
	s_barrier_signal -1
	s_barrier_wait -1
	s_and_saveexec_b32 s7, s52
	s_cbranch_execz .LBB70_970
; %bb.969:                              ;   in Loop: Header=BB70_3 Depth=1
	ds_load_b64 v[36:37], v1 offset:32248
	ds_load_b64 v[38:39], v47
	s_wait_dscnt 0x0
	v_pk_mul_f32 v[78:79], v[38:39], v[36:37] op_sel:[1,1] op_sel_hi:[0,1]
	s_delay_alu instid0(VALU_DEP_1) | instskip(SKIP_1) | instid1(VALU_DEP_2)
	v_pk_fma_f32 v[80:81], v[38:39], v[36:37], v[78:79] op_sel_hi:[1,0,1]
	v_pk_fma_f32 v[36:37], v[38:39], v[36:37], v[78:79] neg_lo:[0,0,1] neg_hi:[0,0,1]
	v_mov_b32_e32 v37, v81
	s_delay_alu instid0(VALU_DEP_1)
	v_pk_add_f32 v[34:35], v[34:35], v[36:37]
.LBB70_970:                             ;   in Loop: Header=BB70_3 Depth=1
	s_or_b32 exec_lo, exec_lo, s7
	s_barrier_signal -1
	s_barrier_wait -1
	s_and_saveexec_b32 s7, s52
	s_cbranch_execz .LBB70_972
; %bb.971:                              ;   in Loop: Header=BB70_3 Depth=1
	ds_load_b64 v[36:37], v1 offset:32760
	s_wait_dscnt 0x0
	v_pk_mul_f32 v[38:39], v[34:35], v[36:37] op_sel:[1,1] op_sel_hi:[1,0]
	s_delay_alu instid0(VALU_DEP_1) | instskip(SKIP_1) | instid1(VALU_DEP_2)
	v_pk_fma_f32 v[78:79], v[34:35], v[36:37], v[38:39] op_sel_hi:[0,1,1]
	v_pk_fma_f32 v[36:37], v[34:35], v[36:37], v[38:39] neg_lo:[0,0,1] neg_hi:[0,0,1]
	v_mov_b32_e32 v37, v79
	s_delay_alu instid0(VALU_DEP_1)
	v_mov_b64_e32 v[34:35], v[36:37]
	ds_store_b64 v47, v[36:37]
.LBB70_972:                             ;   in Loop: Header=BB70_3 Depth=1
	s_or_b32 exec_lo, exec_lo, s7
	s_wait_dscnt 0x0
	s_barrier_signal -1
	s_barrier_wait -1
	s_barrier_signal -1
	s_barrier_wait -1
	s_and_saveexec_b32 s7, s2
; %bb.973:                              ;   in Loop: Header=BB70_3 Depth=1
	v_pk_add_f32 v[34:35], v[34:35], 0 neg_lo:[1,1] neg_hi:[1,1]
	ds_store_b64 v48, v[34:35] offset:29152
; %bb.974:                              ;   in Loop: Header=BB70_3 Depth=1
	s_or_b32 exec_lo, exec_lo, s7
	s_wait_dscnt 0x0
	s_barrier_signal -1
	s_barrier_wait -1
	s_barrier_signal -1
	s_barrier_wait -1
	s_and_saveexec_b32 s98, s14
	s_cbranch_execz .LBB70_976
; %bb.975:                              ;   in Loop: Header=BB70_3 Depth=1
	ds_load_b128 v[34:37], v1 offset:31200
	ds_load_b64 v[38:39], v1 offset:31720
	s_wait_dscnt 0x1
	v_dual_mov_b32 v78, v37 :: v_dual_mov_b32 v79, v36
	s_wait_dscnt 0x0
	v_dual_mul_f32 v77, v39, v35 :: v_dual_mul_f32 v0, v38, v35
	s_delay_alu instid0(VALU_DEP_1) | instskip(NEXT) | instid1(VALU_DEP_2)
	v_xor_b32_e32 v80, 0x80000000, v77
	v_fmac_f32_e32 v0, v39, v34
	s_delay_alu instid0(VALU_DEP_2) | instskip(NEXT) | instid1(VALU_DEP_2)
	v_fmac_f32_e32 v80, v38, v34
	v_pk_mul_f32 v[34:35], v[0:1], v[78:79] op_sel_hi:[0,1]
	s_delay_alu instid0(VALU_DEP_1) | instskip(SKIP_1) | instid1(VALU_DEP_2)
	v_pk_fma_f32 v[38:39], v[80:81], v[36:37], v[34:35] op_sel_hi:[0,1,1]
	v_pk_fma_f32 v[34:35], v[80:81], v[36:37], v[34:35] neg_lo:[0,0,1] neg_hi:[0,0,1]
	v_mov_b32_e32 v35, v39
	ds_store_b64 v1, v[34:35] offset:31208
.LBB70_976:                             ;   in Loop: Header=BB70_3 Depth=1
	s_or_b32 exec_lo, exec_lo, s98
	v_mov_b32_e32 v35, 0
	s_wait_dscnt 0x0
	s_barrier_signal -1
	s_barrier_wait -1
	s_delay_alu instid0(VALU_DEP_1)
	v_mov_b32_e32 v34, v35
	s_and_saveexec_b32 s98, s1
	s_cbranch_execz .LBB70_980
; %bb.977:                              ;   in Loop: Header=BB70_3 Depth=1
	ds_load_b64 v[34:35], v42 offset:31216
	ds_load_b64 v[36:37], v43 offset:31200
	s_wait_dscnt 0x0
	v_dual_mul_f32 v0, v37, v35 :: v_dual_mul_f32 v39, v36, v35
	s_delay_alu instid0(VALU_DEP_1) | instskip(NEXT) | instid1(VALU_DEP_1)
	v_dual_fma_f32 v38, v36, v34, -v0 :: v_dual_fmac_f32 v39, v37, v34
	v_pk_add_f32 v[34:35], v[38:39], 0 op_sel_hi:[1,0]
	s_and_saveexec_b32 s7, s15
	s_cbranch_execz .LBB70_979
; %bb.978:                              ;   in Loop: Header=BB70_3 Depth=1
	ds_load_b64 v[36:37], v44 offset:31728
	ds_load_b64 v[38:39], v1 offset:31208
	s_wait_dscnt 0x0
	v_pk_mul_f32 v[78:79], v[38:39], v[36:37] op_sel:[1,1] op_sel_hi:[0,1]
	s_delay_alu instid0(VALU_DEP_1) | instskip(SKIP_1) | instid1(VALU_DEP_2)
	v_pk_fma_f32 v[80:81], v[38:39], v[36:37], v[78:79] op_sel_hi:[1,0,1]
	v_pk_fma_f32 v[36:37], v[38:39], v[36:37], v[78:79] neg_lo:[0,0,1] neg_hi:[0,0,1]
	v_mov_b32_e32 v37, v81
	s_delay_alu instid0(VALU_DEP_1)
	v_pk_add_f32 v[34:35], v[34:35], v[36:37]
.LBB70_979:                             ;   in Loop: Header=BB70_3 Depth=1
	s_or_b32 exec_lo, exec_lo, s7
	s_delay_alu instid0(VALU_DEP_1)
	v_pk_add_f32 v[34:35], v[34:35], 0 neg_lo:[1,1] neg_hi:[1,1]
.LBB70_980:                             ;   in Loop: Header=BB70_3 Depth=1
	s_or_b32 exec_lo, exec_lo, s98
	s_and_saveexec_b32 s7, s45
	s_cbranch_execz .LBB70_982
; %bb.981:                              ;   in Loop: Header=BB70_3 Depth=1
	ds_load_b64 v[36:37], v1 offset:32240
	s_wait_dscnt 0x0
	v_pk_mul_f32 v[38:39], v[34:35], v[36:37] op_sel:[1,1] op_sel_hi:[1,0]
	s_delay_alu instid0(VALU_DEP_1) | instskip(SKIP_1) | instid1(VALU_DEP_2)
	v_pk_fma_f32 v[78:79], v[34:35], v[36:37], v[38:39] op_sel_hi:[0,1,1]
	v_pk_fma_f32 v[36:37], v[34:35], v[36:37], v[38:39] neg_lo:[0,0,1] neg_hi:[0,0,1]
	v_mov_b32_e32 v37, v79
	s_delay_alu instid0(VALU_DEP_1)
	v_mov_b64_e32 v[34:35], v[36:37]
	ds_store_b64 v3, v[36:37]
.LBB70_982:                             ;   in Loop: Header=BB70_3 Depth=1
	s_or_b32 exec_lo, exec_lo, s7
	s_wait_dscnt 0x0
	s_barrier_signal -1
	s_barrier_wait -1
	s_and_saveexec_b32 s7, s46
	s_cbranch_execz .LBB70_984
; %bb.983:                              ;   in Loop: Header=BB70_3 Depth=1
	ds_load_b64 v[36:37], v1 offset:32248
	ds_load_b64 v[38:39], v3
	s_wait_dscnt 0x0
	v_pk_mul_f32 v[78:79], v[38:39], v[36:37] op_sel:[1,1] op_sel_hi:[0,1]
	s_delay_alu instid0(VALU_DEP_1) | instskip(SKIP_1) | instid1(VALU_DEP_2)
	v_pk_fma_f32 v[80:81], v[38:39], v[36:37], v[78:79] op_sel_hi:[1,0,1]
	v_pk_fma_f32 v[36:37], v[38:39], v[36:37], v[78:79] neg_lo:[0,0,1] neg_hi:[0,0,1]
	v_mov_b32_e32 v37, v81
	s_delay_alu instid0(VALU_DEP_1)
	v_pk_add_f32 v[34:35], v[34:35], v[36:37]
.LBB70_984:                             ;   in Loop: Header=BB70_3 Depth=1
	s_or_b32 exec_lo, exec_lo, s7
	s_barrier_signal -1
	s_barrier_wait -1
	s_and_saveexec_b32 s7, s46
	s_cbranch_execz .LBB70_986
; %bb.985:                              ;   in Loop: Header=BB70_3 Depth=1
	ds_load_b64 v[36:37], v1 offset:32760
	s_wait_dscnt 0x0
	v_pk_mul_f32 v[38:39], v[34:35], v[36:37] op_sel:[1,1] op_sel_hi:[1,0]
	s_delay_alu instid0(VALU_DEP_1) | instskip(SKIP_1) | instid1(VALU_DEP_2)
	v_pk_fma_f32 v[78:79], v[34:35], v[36:37], v[38:39] op_sel_hi:[0,1,1]
	v_pk_fma_f32 v[36:37], v[34:35], v[36:37], v[38:39] neg_lo:[0,0,1] neg_hi:[0,0,1]
	v_mov_b32_e32 v37, v79
	s_delay_alu instid0(VALU_DEP_1)
	v_mov_b64_e32 v[34:35], v[36:37]
	ds_store_b64 v3, v[36:37]
.LBB70_986:                             ;   in Loop: Header=BB70_3 Depth=1
	s_or_b32 exec_lo, exec_lo, s7
	s_wait_dscnt 0x0
	s_barrier_signal -1
	s_barrier_wait -1
	s_barrier_signal -1
	s_barrier_wait -1
	s_and_saveexec_b32 s7, s1
; %bb.987:                              ;   in Loop: Header=BB70_3 Depth=1
	v_pk_add_f32 v[34:35], v[34:35], 0 neg_lo:[1,1] neg_hi:[1,1]
	ds_store_b64 v42, v[34:35] offset:31216
; %bb.988:                              ;   in Loop: Header=BB70_3 Depth=1
	s_or_b32 exec_lo, exec_lo, s7
	s_wait_dscnt 0x0
	s_barrier_signal -1
	s_barrier_wait -1
	s_barrier_signal -1
	s_barrier_wait -1
	s_and_saveexec_b32 s98, s14
	s_cbranch_execz .LBB70_990
; %bb.989:                              ;   in Loop: Header=BB70_3 Depth=1
	ds_load_b128 v[34:37], v1 offset:32240
	ds_load_b64 v[38:39], v1 offset:32760
	s_wait_dscnt 0x1
	v_dual_mov_b32 v78, v37 :: v_dual_mov_b32 v79, v36
	s_wait_dscnt 0x0
	v_dual_mul_f32 v77, v39, v35 :: v_dual_mul_f32 v0, v38, v35
	s_delay_alu instid0(VALU_DEP_1) | instskip(NEXT) | instid1(VALU_DEP_2)
	v_xor_b32_e32 v80, 0x80000000, v77
	v_fmac_f32_e32 v0, v39, v34
	s_delay_alu instid0(VALU_DEP_2) | instskip(NEXT) | instid1(VALU_DEP_2)
	v_fmac_f32_e32 v80, v38, v34
	v_pk_mul_f32 v[34:35], v[0:1], v[78:79] op_sel_hi:[0,1]
	s_delay_alu instid0(VALU_DEP_1) | instskip(SKIP_1) | instid1(VALU_DEP_2)
	v_pk_fma_f32 v[38:39], v[80:81], v[36:37], v[34:35] op_sel_hi:[0,1,1]
	v_pk_fma_f32 v[34:35], v[80:81], v[36:37], v[34:35] neg_lo:[0,0,1] neg_hi:[0,0,1]
	v_mov_b32_e32 v35, v39
	ds_store_b64 v1, v[34:35] offset:32248
.LBB70_990:                             ;   in Loop: Header=BB70_3 Depth=1
	s_or_b32 exec_lo, exec_lo, s98
.LBB70_991:                             ;   in Loop: Header=BB70_3 Depth=1
	v_readlane_b32 s10, v92, 3
	v_mov_b64_e32 v[34:35], 0
	v_readlane_b32 s11, v92, 4
	s_mul_u64 s[98:99], s[82:83], s[84:85]
	s_wait_dscnt 0x0
	s_lshl_b64 s[98:99], s[98:99], 3
	s_barrier_signal -1
	s_add_nc_u64 s[98:99], s[10:11], s[98:99]
	s_barrier_wait -1
	s_and_saveexec_b32 s7, vcc_hi
	s_cbranch_execz .LBB70_993
; %bb.992:                              ;   in Loop: Header=BB70_3 Depth=1
	v_lshl_add_u64 v[34:35], v[10:11], 3, s[98:99]
	v_readlane_b32 s10, v92, 26
	v_readlane_b32 s11, v92, 27
	global_load_b64 v[34:35], v[34:35], off
	v_mov_b64_e32 v[36:37], s[10:11]
	v_readlane_b32 s10, v92, 28
	v_readlane_b32 s11, v92, 29
	s_delay_alu instid0(VALU_DEP_1) | instskip(SKIP_1) | instid1(VALU_DEP_4)
	v_mov_b64_e32 v[38:39], s[10:11]
	s_wait_loadcnt 0x0
	v_pk_mul_f32 v[36:37], v[36:37], v[34:35]
	s_wait_xcnt 0x0
	s_delay_alu instid0(VALU_DEP_1)
	v_pk_fma_f32 v[34:35], v[38:39], v[34:35], v[36:37] op_sel:[0,0,1] op_sel_hi:[1,1,0] neg_lo:[1,0,0] neg_hi:[1,0,0]
.LBB70_993:                             ;   in Loop: Header=BB70_3 Depth=1
	s_or_b32 exec_lo, exec_lo, s7
	s_delay_alu instid0(SALU_CYCLE_1)
	s_and_not1_b32 vcc_lo, exec_lo, s102
	s_cbranch_vccnz .LBB70_1012
; %bb.994:                              ;   in Loop: Header=BB70_3 Depth=1
	v_lshl_add_u64 v[36:37], v[6:7], 3, s[70:71]
	v_mov_b32_e32 v77, -1
	s_lshl_b64 s[100:101], s[84:85], 2
	s_mov_b32 s71, 0
	s_add_nc_u64 s[100:101], s[86:87], s[100:101]
	s_branch .LBB70_996
.LBB70_995:                             ;   in Loop: Header=BB70_996 Depth=2
	s_or_b32 exec_lo, exec_lo, s7
	s_add_co_i32 s71, s71, 1
	s_delay_alu instid0(SALU_CYCLE_1)
	s_cmp_eq_u32 s71, s104
	s_cbranch_scc1 .LBB70_1012
.LBB70_996:                             ;   Parent Loop BB70_3 Depth=1
                                        ; =>  This Loop Header: Depth=2
                                        ;       Child Loop BB70_998 Depth 3
	v_cmp_gt_i32_e32 vcc_lo, s71, v77
	s_and_b32 s70, s36, vcc_lo
	s_delay_alu instid0(SALU_CYCLE_1)
	s_and_saveexec_b32 s7, s70
	s_cbranch_execz .LBB70_999
; %bb.997:                              ;   in Loop: Header=BB70_996 Depth=2
	global_load_b32 v77, v1, s[100:101]
	s_wait_loadcnt 0x0
	v_cmp_le_i32_e32 vcc_lo, s71, v77
	s_cbranch_vccnz .LBB70_999
.LBB70_998:                             ;   Parent Loop BB70_3 Depth=1
                                        ;     Parent Loop BB70_996 Depth=2
                                        ; =>    This Inner Loop Header: Depth=3
	global_wb scope:SCOPE_DEV
	s_wait_storecnt 0x0
	global_inv scope:SCOPE_DEV
	global_load_b32 v77, v1, s[100:101]
	s_wait_loadcnt 0x0
	v_cmp_gt_i32_e32 vcc_lo, s71, v77
	s_cbranch_vccnz .LBB70_998
.LBB70_999:                             ;   in Loop: Header=BB70_996 Depth=2
	s_wait_xcnt 0x0
	s_or_b32 exec_lo, exec_lo, s7
	s_lshl_b32 s70, s71, 6
	global_wb scope:SCOPE_DEV
	s_wait_storecnt 0x0
	global_inv scope:SCOPE_DEV
	s_wait_loadcnt 0x0
	s_barrier_signal -1
	s_barrier_wait -1
	s_and_saveexec_b32 s7, s37
	s_cbranch_execz .LBB70_1004
; %bb.1000:                             ;   in Loop: Header=BB70_996 Depth=2
	v_or_b32_e32 v0, s70, v4
	s_delay_alu instid0(VALU_DEP_1) | instskip(SKIP_1) | instid1(SALU_CYCLE_1)
	v_cmp_le_i32_e32 vcc_lo, s103, v0
	s_and_saveexec_b32 s10, vcc_lo
	s_xor_b32 vcc_lo, exec_lo, s10
; %bb.1001:                             ;   in Loop: Header=BB70_996 Depth=2
	ds_store_b64 v66, v[32:33]
; %bb.1002:                             ;   in Loop: Header=BB70_996 Depth=2
	s_and_not1_saveexec_b32 s10, vcc_lo
	s_cbranch_execz .LBB70_1004
; %bb.1003:                             ;   in Loop: Header=BB70_996 Depth=2
	v_mul_u64_e32 v[38:39], s[80:81], v[0:1]
	s_delay_alu instid0(VALU_DEP_1)
	v_lshl_add_u64 v[38:39], v[38:39], 3, s[98:99]
	global_load_b64 v[38:39], v[38:39], off
	s_wait_loadcnt 0x0
	ds_store_b64 v66, v[38:39]
.LBB70_1004:                            ;   in Loop: Header=BB70_996 Depth=2
	s_or_b32 exec_lo, exec_lo, s7
	v_add_nc_u32_e32 v0, s70, v40
	s_wait_dscnt 0x0
	v_cmp_eq_u32_e32 vcc_lo, s71, v41
	s_barrier_signal -1
	s_barrier_wait -1
	v_mul_u64_e32 v[38:39], s[72:73], v[0:1]
	v_cmp_gt_i32_e64 s70, s103, v0
	s_and_b32 s10, s0, s70
	v_lshl_add_u64 v[38:39], v[38:39], 3, v[36:37]
	s_and_saveexec_b32 s7, s10
	s_cbranch_execz .LBB70_1006
; %bb.1005:                             ;   in Loop: Header=BB70_996 Depth=2
	s_delay_alu instid0(VALU_DEP_1) | instskip(SKIP_4) | instid1(VALU_DEP_1)
	v_dual_cndmask_b32 v79, v39, v25 :: v_dual_cndmask_b32 v78, v38, v24
	ds_load_b64 v[80:81], v67
	flat_load_b64 v[78:79], v[78:79]
	s_wait_loadcnt_dscnt 0x0
	v_dual_mul_f32 v82, v81, v79 :: v_dual_mul_f32 v79, v80, v79
	v_dual_fma_f32 v80, v80, v78, -v82 :: v_dual_fmac_f32 v79, v81, v78
	s_delay_alu instid0(VALU_DEP_1)
	v_dual_add_f32 v34, v34, v80 :: v_dual_add_f32 v35, v35, v79
.LBB70_1006:                            ;   in Loop: Header=BB70_996 Depth=2
	s_or_b32 exec_lo, exec_lo, s7
	v_add_nc_u32_e32 v78, 16, v0
	s_delay_alu instid0(VALU_DEP_1) | instskip(SKIP_1) | instid1(SALU_CYCLE_1)
	v_cmp_gt_i32_e64 s70, s103, v78
	s_and_b32 s10, s0, s70
	s_and_saveexec_b32 s7, s10
	s_cbranch_execz .LBB70_1008
; %bb.1007:                             ;   in Loop: Header=BB70_996 Depth=2
	v_add_nc_u64_e32 v[78:79], s[92:93], v[38:39]
	ds_load_b64 v[80:81], v67 offset:128
	v_dual_cndmask_b32 v79, v79, v27 :: v_dual_cndmask_b32 v78, v78, v26
	flat_load_b64 v[78:79], v[78:79]
	s_wait_loadcnt_dscnt 0x0
	v_dual_mul_f32 v82, v81, v79 :: v_dual_mul_f32 v79, v80, v79
	s_delay_alu instid0(VALU_DEP_1) | instskip(NEXT) | instid1(VALU_DEP_1)
	v_dual_fma_f32 v80, v80, v78, -v82 :: v_dual_fmac_f32 v79, v81, v78
	v_dual_add_f32 v34, v34, v80 :: v_dual_add_f32 v35, v35, v79
.LBB70_1008:                            ;   in Loop: Header=BB70_996 Depth=2
	s_or_b32 exec_lo, exec_lo, s7
	v_add_nc_u32_e32 v78, 32, v0
	s_delay_alu instid0(VALU_DEP_1) | instskip(SKIP_1) | instid1(SALU_CYCLE_1)
	v_cmp_gt_i32_e64 s70, s103, v78
	s_and_b32 s10, s0, s70
	s_and_saveexec_b32 s7, s10
	s_cbranch_execz .LBB70_1010
; %bb.1009:                             ;   in Loop: Header=BB70_996 Depth=2
	v_add_nc_u64_e32 v[78:79], s[94:95], v[38:39]
	ds_load_b64 v[80:81], v67 offset:256
	v_dual_cndmask_b32 v79, v79, v29 :: v_dual_cndmask_b32 v78, v78, v28
	flat_load_b64 v[78:79], v[78:79]
	s_wait_loadcnt_dscnt 0x0
	v_dual_mul_f32 v82, v81, v79 :: v_dual_mul_f32 v83, v80, v79
	s_delay_alu instid0(VALU_DEP_1) | instskip(NEXT) | instid1(VALU_DEP_1)
	v_dual_fma_f32 v82, v80, v78, -v82 :: v_dual_fmac_f32 v83, v81, v78
	v_pk_add_f32 v[34:35], v[34:35], v[82:83]
.LBB70_1010:                            ;   in Loop: Header=BB70_996 Depth=2
	s_or_b32 exec_lo, exec_lo, s7
	v_add_nc_u32_e32 v0, 48, v0
	s_delay_alu instid0(VALU_DEP_1) | instskip(SKIP_1) | instid1(SALU_CYCLE_1)
	v_cmp_gt_i32_e64 s70, s103, v0
	s_and_b32 s10, s0, s70
	s_and_saveexec_b32 s7, s10
	s_cbranch_execz .LBB70_995
; %bb.1011:                             ;   in Loop: Header=BB70_996 Depth=2
	v_add_nc_u64_e32 v[38:39], s[96:97], v[38:39]
	ds_load_b64 v[78:79], v67 offset:384
	v_dual_cndmask_b32 v39, v39, v31 :: v_dual_cndmask_b32 v38, v38, v30
	flat_load_b64 v[38:39], v[38:39]
	s_wait_loadcnt_dscnt 0x0
	v_pk_mul_f32 v[80:81], v[78:79], v[38:39] op_sel:[1,1] op_sel_hi:[0,1]
	s_delay_alu instid0(VALU_DEP_1) | instskip(SKIP_1) | instid1(VALU_DEP_2)
	v_pk_fma_f32 v[82:83], v[78:79], v[38:39], v[80:81] op_sel_hi:[1,0,1]
	v_pk_fma_f32 v[38:39], v[78:79], v[38:39], v[80:81] neg_lo:[0,0,1] neg_hi:[0,0,1]
	v_mov_b32_e32 v39, v83
	s_delay_alu instid0(VALU_DEP_1)
	v_pk_add_f32 v[34:35], v[34:35], v[38:39]
	s_branch .LBB70_995
.LBB70_1012:                            ;   in Loop: Header=BB70_3 Depth=1
	ds_store_b64 v68, v[34:35]
	s_wait_dscnt 0x0
	s_barrier_signal -1
	s_barrier_wait -1
	s_and_saveexec_b32 s70, s5
	s_cbranch_execz .LBB70_1014
; %bb.1013:                             ;   in Loop: Header=BB70_3 Depth=1
	ds_load_2addr_stride64_b64 v[36:39], v69 offset0:1 offset1:2
	ds_load_2addr_stride64_b64 v[78:81], v69 offset0:3 offset1:4
	;; [unrolled: 1-line block ×3, first 2 shown]
	s_wait_dscnt 0x2
	v_pk_add_f32 v[34:35], v[34:35], v[36:37]
	s_delay_alu instid0(VALU_DEP_1) | instskip(SKIP_3) | instid1(VALU_DEP_1)
	v_pk_add_f32 v[38:39], v[34:35], v[38:39]
	ds_load_2addr_stride64_b64 v[34:37], v69 offset0:7 offset1:8
	s_wait_dscnt 0x2
	v_pk_add_f32 v[38:39], v[38:39], v[78:79]
	v_pk_add_f32 v[38:39], v[38:39], v[80:81]
	ds_load_2addr_stride64_b64 v[78:81], v69 offset0:9 offset1:10
	s_wait_dscnt 0x2
	v_pk_add_f32 v[38:39], v[38:39], v[82:83]
	s_delay_alu instid0(VALU_DEP_1) | instskip(SKIP_3) | instid1(VALU_DEP_1)
	v_pk_add_f32 v[38:39], v[38:39], v[84:85]
	ds_load_2addr_stride64_b64 v[82:85], v69 offset0:11 offset1:12
	s_wait_dscnt 0x2
	v_pk_add_f32 v[34:35], v[38:39], v[34:35]
	v_pk_add_f32 v[38:39], v[34:35], v[36:37]
	ds_load_2addr_stride64_b64 v[34:37], v69 offset0:13 offset1:14
	s_wait_dscnt 0x2
	v_pk_add_f32 v[38:39], v[38:39], v[78:79]
	ds_load_b64 v[78:79], v69 offset:7680
	v_pk_add_f32 v[38:39], v[38:39], v[80:81]
	s_wait_dscnt 0x2
	s_delay_alu instid0(VALU_DEP_1) | instskip(NEXT) | instid1(VALU_DEP_1)
	v_pk_add_f32 v[38:39], v[38:39], v[82:83]
	v_pk_add_f32 v[38:39], v[38:39], v[84:85]
	s_wait_dscnt 0x1
	s_delay_alu instid0(VALU_DEP_1) | instskip(NEXT) | instid1(VALU_DEP_1)
	v_pk_add_f32 v[34:35], v[38:39], v[34:35]
	;; [unrolled: 4-line block ×3, first 2 shown]
	v_cndmask_b32_e64 v35, -v35, 0, s77
	s_delay_alu instid0(VALU_DEP_2)
	v_cndmask_b32_e64 v34, -v34, 0, s77
.LBB70_1014:                            ;   in Loop: Header=BB70_3 Depth=1
	s_or_b32 exec_lo, exec_lo, s70
	s_delay_alu instid0(SALU_CYCLE_1)
	s_and_not1_b32 vcc_lo, exec_lo, s44
	s_cbranch_vccnz .LBB70_1027
; %bb.1015:                             ;   in Loop: Header=BB70_3 Depth=1
	s_and_saveexec_b32 s7, s5
; %bb.1016:                             ;   in Loop: Header=BB70_3 Depth=1
	ds_store_b64 v71, v[34:35]
; %bb.1017:                             ;   in Loop: Header=BB70_3 Depth=1
	s_or_b32 exec_lo, exec_lo, s7
	v_mov_b64_e32 v[36:37], 0
	s_wait_dscnt 0x0
	s_barrier_signal -1
	s_barrier_wait -1
	s_mov_b32 s7, exec_lo
	v_readlane_b32 s10, v91, 9
	s_and_b32 s10, s7, s10
	s_delay_alu instid0(SALU_CYCLE_1)
	s_mov_b32 exec_lo, s10
	s_cbranch_execz .LBB70_1019
; %bb.1018:                             ;   in Loop: Header=BB70_3 Depth=1
	ds_load_b64 v[36:37], v70
	ds_load_b64 v[38:39], v67
	s_wait_dscnt 0x0
	v_dual_mul_f32 v0, v39, v37 :: v_dual_mul_f32 v37, v38, v37
	s_delay_alu instid0(VALU_DEP_1) | instskip(NEXT) | instid1(VALU_DEP_1)
	v_dual_fma_f32 v0, v38, v36, -v0 :: v_dual_fmac_f32 v37, v39, v36
	v_dual_add_f32 v36, 0, v0 :: v_dual_add_f32 v37, 0, v37
.LBB70_1019:                            ;   in Loop: Header=BB70_3 Depth=1
	s_or_b32 exec_lo, exec_lo, s7
	s_delay_alu instid0(SALU_CYCLE_1) | instskip(SKIP_2) | instid1(SALU_CYCLE_1)
	s_mov_b32 s7, exec_lo
	v_readlane_b32 s10, v91, 10
	s_and_b32 s10, s7, s10
	s_mov_b32 exec_lo, s10
	s_cbranch_execz .LBB70_1021
; %bb.1020:                             ;   in Loop: Header=BB70_3 Depth=1
	ds_load_b64 v[38:39], v70 offset:8192
	ds_load_b64 v[78:79], v67 offset:128
	s_wait_dscnt 0x0
	v_dual_mul_f32 v0, v79, v39 :: v_dual_mul_f32 v81, v78, v39
	s_delay_alu instid0(VALU_DEP_1) | instskip(NEXT) | instid1(VALU_DEP_1)
	v_dual_fma_f32 v80, v78, v38, -v0 :: v_dual_fmac_f32 v81, v79, v38
	v_pk_add_f32 v[36:37], v[36:37], v[80:81]
.LBB70_1021:                            ;   in Loop: Header=BB70_3 Depth=1
	s_or_b32 exec_lo, exec_lo, s7
	s_delay_alu instid0(SALU_CYCLE_1) | instskip(SKIP_2) | instid1(SALU_CYCLE_1)
	s_mov_b32 s7, exec_lo
	v_readlane_b32 s10, v91, 11
	s_and_b32 s10, s7, s10
	s_mov_b32 exec_lo, s10
	s_cbranch_execz .LBB70_1023
; %bb.1022:                             ;   in Loop: Header=BB70_3 Depth=1
	ds_load_b64 v[38:39], v70 offset:16384
	ds_load_b64 v[78:79], v67 offset:256
	s_wait_dscnt 0x0
	v_pk_mul_f32 v[80:81], v[78:79], v[38:39] op_sel:[1,1] op_sel_hi:[0,1]
	s_delay_alu instid0(VALU_DEP_1) | instskip(SKIP_1) | instid1(VALU_DEP_2)
	v_pk_fma_f32 v[82:83], v[78:79], v[38:39], v[80:81] op_sel_hi:[1,0,1]
	v_pk_fma_f32 v[38:39], v[78:79], v[38:39], v[80:81] neg_lo:[0,0,1] neg_hi:[0,0,1]
	v_mov_b32_e32 v39, v83
	s_delay_alu instid0(VALU_DEP_1)
	v_pk_add_f32 v[36:37], v[36:37], v[38:39]
.LBB70_1023:                            ;   in Loop: Header=BB70_3 Depth=1
	s_or_b32 exec_lo, exec_lo, s7
	s_delay_alu instid0(SALU_CYCLE_1) | instskip(SKIP_2) | instid1(SALU_CYCLE_1)
	s_mov_b32 s7, exec_lo
	v_readlane_b32 s10, v91, 12
	s_and_b32 s10, s7, s10
	s_mov_b32 exec_lo, s10
	s_cbranch_execz .LBB70_1025
; %bb.1024:                             ;   in Loop: Header=BB70_3 Depth=1
	ds_load_b64 v[38:39], v70 offset:24576
	ds_load_b64 v[78:79], v67 offset:384
	s_wait_dscnt 0x0
	v_pk_mul_f32 v[80:81], v[78:79], v[38:39] op_sel:[1,1] op_sel_hi:[0,1]
	s_delay_alu instid0(VALU_DEP_1) | instskip(SKIP_1) | instid1(VALU_DEP_2)
	v_pk_fma_f32 v[82:83], v[78:79], v[38:39], v[80:81] op_sel_hi:[1,0,1]
	v_pk_fma_f32 v[38:39], v[78:79], v[38:39], v[80:81] neg_lo:[0,0,1] neg_hi:[0,0,1]
	v_mov_b32_e32 v39, v83
	s_delay_alu instid0(VALU_DEP_1)
	v_pk_add_f32 v[36:37], v[36:37], v[38:39]
.LBB70_1025:                            ;   in Loop: Header=BB70_3 Depth=1
	s_or_b32 exec_lo, exec_lo, s7
	s_mov_b32 s71, 0
	s_mov_b32 s70, 0
	ds_store_b64 v68, v[36:37]
	s_wait_dscnt 0x0
	s_barrier_signal -1
	s_barrier_wait -1
                                        ; implicit-def: $vgpr38_vgpr39
	s_and_saveexec_b32 s100, s5
	s_cbranch_execz .LBB70_1043
; %bb.1026:                             ;   in Loop: Header=BB70_3 Depth=1
	ds_load_2addr_stride64_b64 v[78:81], v69 offset0:1 offset1:2
	ds_load_2addr_stride64_b64 v[82:85], v69 offset0:3 offset1:4
	;; [unrolled: 1-line block ×3, first 2 shown]
	s_mov_b32 s70, exec_lo
	s_wait_dscnt 0x2
	v_pk_add_f32 v[36:37], v[36:37], v[78:79]
	s_delay_alu instid0(VALU_DEP_1) | instskip(SKIP_3) | instid1(VALU_DEP_1)
	v_pk_add_f32 v[78:79], v[36:37], v[80:81]
	ds_load_2addr_stride64_b64 v[36:39], v69 offset0:7 offset1:8
	s_wait_dscnt 0x2
	v_pk_add_f32 v[78:79], v[78:79], v[82:83]
	v_pk_add_f32 v[82:83], v[78:79], v[84:85]
	ds_load_2addr_stride64_b64 v[78:81], v69 offset0:9 offset1:10
	s_wait_dscnt 0x2
	v_pk_add_f32 v[82:83], v[82:83], v[86:87]
	s_delay_alu instid0(VALU_DEP_1) | instskip(SKIP_3) | instid1(VALU_DEP_1)
	v_pk_add_f32 v[86:87], v[82:83], v[88:89]
	ds_load_2addr_stride64_b64 v[82:85], v69 offset0:11 offset1:12
	s_wait_dscnt 0x2
	v_pk_add_f32 v[36:37], v[86:87], v[36:37]
	v_pk_add_f32 v[36:37], v[36:37], v[38:39]
	s_wait_dscnt 0x1
	s_delay_alu instid0(VALU_DEP_1)
	v_pk_add_f32 v[78:79], v[36:37], v[78:79]
	ds_load_2addr_stride64_b64 v[36:39], v69 offset0:13 offset1:14
	v_pk_add_f32 v[78:79], v[78:79], v[80:81]
	ds_load_b64 v[80:81], v69 offset:7680
	s_wait_dscnt 0x2
	v_pk_add_f32 v[78:79], v[78:79], v[82:83]
	s_delay_alu instid0(VALU_DEP_1) | instskip(SKIP_1) | instid1(VALU_DEP_1)
	v_pk_add_f32 v[78:79], v[78:79], v[84:85]
	s_wait_dscnt 0x1
	v_pk_add_f32 v[36:37], v[78:79], v[36:37]
	s_delay_alu instid0(VALU_DEP_1) | instskip(SKIP_1) | instid1(VALU_DEP_1)
	v_pk_add_f32 v[36:37], v[36:37], v[38:39]
	s_wait_dscnt 0x0
	v_pk_add_f32 v[38:39], v[36:37], v[80:81]
	s_or_b32 exec_lo, exec_lo, s100
	s_delay_alu instid0(SALU_CYCLE_1)
	s_and_b32 vcc_lo, exec_lo, s71
	s_cbranch_vccnz .LBB70_1028
	s_branch .LBB70_1044
.LBB70_1027:                            ;   in Loop: Header=BB70_3 Depth=1
	s_mov_b32 s70, 0
                                        ; implicit-def: $vgpr38_vgpr39
	s_cbranch_execz .LBB70_1044
.LBB70_1028:                            ;   in Loop: Header=BB70_3 Depth=1
	v_dual_mov_b32 v0, v2 :: v_dual_mov_b32 v36, v44
	s_mov_b32 s71, 0
	s_branch .LBB70_1030
.LBB70_1029:                            ;   in Loop: Header=BB70_1030 Depth=2
	s_or_b32 exec_lo, exec_lo, s7
	v_add_nc_u32_e32 v36, 0x400, v36
	v_add_nc_u32_e32 v0, -2, v0
	s_add_co_i32 s71, s71, 2
	s_delay_alu instid0(SALU_CYCLE_1)
	s_cmp_lg_u32 s71, 64
	s_barrier_signal -1
	s_barrier_wait -1
	s_cbranch_scc0 .LBB70_1038
.LBB70_1030:                            ;   Parent Loop BB70_3 Depth=1
                                        ; =>  This Inner Loop Header: Depth=2
	s_delay_alu instid0(VALU_DEP_1) | instskip(SKIP_1) | instid1(SALU_CYCLE_1)
	v_cmp_eq_u32_e32 vcc_lo, 0, v0
	s_and_b32 s10, s5, vcc_lo
	s_and_saveexec_b32 s7, s10
	s_cbranch_execz .LBB70_1032
; %bb.1031:                             ;   in Loop: Header=BB70_1030 Depth=2
	ds_load_b64 v[38:39], v72
	s_wait_dscnt 0x0
	v_pk_mul_f32 v[78:79], v[34:35], v[38:39] op_sel:[1,1] op_sel_hi:[1,0]
	s_delay_alu instid0(VALU_DEP_1) | instskip(SKIP_1) | instid1(VALU_DEP_2)
	v_pk_fma_f32 v[80:81], v[34:35], v[38:39], v[78:79] op_sel_hi:[0,1,1]
	v_pk_fma_f32 v[38:39], v[34:35], v[38:39], v[78:79] neg_lo:[0,0,1] neg_hi:[0,0,1]
	v_mov_b32_e32 v39, v81
	s_delay_alu instid0(VALU_DEP_1)
	v_mov_b64_e32 v[34:35], v[38:39]
	ds_store_b64 v1, v[38:39] offset:41472
.LBB70_1032:                            ;   in Loop: Header=BB70_1030 Depth=2
	s_or_b32 exec_lo, exec_lo, s7
	v_cmp_lt_u32_e32 vcc_lo, s71, v2
	s_wait_dscnt 0x0
	s_barrier_signal -1
	s_barrier_wait -1
	s_and_b32 s10, s5, vcc_lo
	s_delay_alu instid0(SALU_CYCLE_1)
	s_and_saveexec_b32 s7, s10
	s_cbranch_execz .LBB70_1034
; %bb.1033:                             ;   in Loop: Header=BB70_1030 Depth=2
	ds_load_b64 v[38:39], v36
	ds_load_b64 v[78:79], v1 offset:41472
	s_wait_dscnt 0x0
	v_pk_mul_f32 v[80:81], v[78:79], v[38:39] op_sel:[1,1] op_sel_hi:[0,1]
	s_delay_alu instid0(VALU_DEP_1) | instskip(SKIP_1) | instid1(VALU_DEP_2)
	v_pk_fma_f32 v[82:83], v[78:79], v[38:39], v[80:81] op_sel_hi:[1,0,1]
	v_pk_fma_f32 v[38:39], v[78:79], v[38:39], v[80:81] neg_lo:[0,0,1] neg_hi:[0,0,1]
	v_mov_b32_e32 v39, v83
	s_delay_alu instid0(VALU_DEP_1)
	v_pk_add_f32 v[34:35], v[34:35], v[38:39]
.LBB70_1034:                            ;   in Loop: Header=BB70_1030 Depth=2
	s_or_b32 exec_lo, exec_lo, s7
	s_or_b32 s7, s71, 1
	s_delay_alu instid0(SALU_CYCLE_1) | instskip(SKIP_3) | instid1(SALU_CYCLE_1)
	v_cmp_eq_u32_e32 vcc_lo, s7, v2
	s_barrier_signal -1
	s_barrier_wait -1
	s_and_b32 s10, s5, vcc_lo
	s_and_saveexec_b32 s100, s10
	s_cbranch_execz .LBB70_1036
; %bb.1035:                             ;   in Loop: Header=BB70_1030 Depth=2
	ds_load_b64 v[38:39], v72
	s_wait_dscnt 0x0
	v_pk_mul_f32 v[78:79], v[34:35], v[38:39] op_sel:[1,1] op_sel_hi:[1,0]
	s_delay_alu instid0(VALU_DEP_1) | instskip(SKIP_1) | instid1(VALU_DEP_2)
	v_pk_fma_f32 v[80:81], v[34:35], v[38:39], v[78:79] op_sel_hi:[0,1,1]
	v_pk_fma_f32 v[38:39], v[34:35], v[38:39], v[78:79] neg_lo:[0,0,1] neg_hi:[0,0,1]
	v_mov_b32_e32 v39, v81
	s_delay_alu instid0(VALU_DEP_1)
	v_mov_b64_e32 v[34:35], v[38:39]
	ds_store_b64 v1, v[38:39] offset:41472
.LBB70_1036:                            ;   in Loop: Header=BB70_1030 Depth=2
	s_or_b32 exec_lo, exec_lo, s100
	v_cmp_lt_u32_e32 vcc_lo, s7, v2
	s_wait_dscnt 0x0
	s_barrier_signal -1
	s_barrier_wait -1
	s_and_b32 s10, s5, vcc_lo
	s_delay_alu instid0(SALU_CYCLE_1)
	s_and_saveexec_b32 s7, s10
	s_cbranch_execz .LBB70_1029
; %bb.1037:                             ;   in Loop: Header=BB70_1030 Depth=2
	ds_load_b64 v[38:39], v36 offset:512
	ds_load_b64 v[78:79], v1 offset:41472
	s_wait_dscnt 0x0
	v_pk_mul_f32 v[80:81], v[78:79], v[38:39] op_sel:[1,1] op_sel_hi:[0,1]
	s_delay_alu instid0(VALU_DEP_1) | instskip(SKIP_1) | instid1(VALU_DEP_2)
	v_pk_fma_f32 v[82:83], v[78:79], v[38:39], v[80:81] op_sel_hi:[1,0,1]
	v_pk_fma_f32 v[38:39], v[78:79], v[38:39], v[80:81] neg_lo:[0,0,1] neg_hi:[0,0,1]
	v_mov_b32_e32 v39, v83
	s_delay_alu instid0(VALU_DEP_1)
	v_pk_add_f32 v[34:35], v[34:35], v[38:39]
	s_branch .LBB70_1029
.LBB70_1038:                            ;   in Loop: Header=BB70_3 Depth=1
	s_and_b32 vcc_lo, exec_lo, s43
	s_mov_b32 s7, -1
	s_cbranch_vccz .LBB70_1040
; %bb.1039:                             ;   in Loop: Header=BB70_3 Depth=1
	s_and_not1_b32 s10, s70, exec_lo
	s_and_b32 s11, s5, exec_lo
	s_mov_b32 s7, 0
	s_or_b32 s70, s10, s11
.LBB70_1040:                            ;   in Loop: Header=BB70_3 Depth=1
	s_and_not1_b32 vcc_lo, exec_lo, s7
	s_cbranch_vccnz .LBB70_1042
; %bb.1041:                             ;   in Loop: Header=BB70_3 Depth=1
	v_readlane_b32 s10, v92, 6
	s_and_not1_b32 s7, s70, exec_lo
	s_and_b32 s10, s10, exec_lo
	s_delay_alu instid0(SALU_CYCLE_1)
	s_or_b32 s70, s7, s10
.LBB70_1042:                            ;   in Loop: Header=BB70_3 Depth=1
	v_mov_b64_e32 v[36:37], v[18:19]
	s_and_saveexec_b32 s7, s70
	s_cbranch_execnz .LBB70_1045
	s_branch .LBB70_1046
.LBB70_1043:                            ;   in Loop: Header=BB70_3 Depth=1
	s_or_b32 exec_lo, exec_lo, s100
	s_delay_alu instid0(SALU_CYCLE_1)
	s_and_b32 vcc_lo, exec_lo, s71
	s_cbranch_vccnz .LBB70_1028
.LBB70_1044:                            ;   in Loop: Header=BB70_3 Depth=1
	v_mov_b64_e32 v[34:35], v[38:39]
	v_mov_b64_e32 v[36:37], v[12:13]
	s_and_saveexec_b32 s7, s70
	s_cbranch_execz .LBB70_1046
.LBB70_1045:                            ;   in Loop: Header=BB70_3 Depth=1
	s_delay_alu instid0(VALU_DEP_1)
	v_lshl_add_u64 v[36:37], v[36:37], 3, s[98:99]
	global_store_b64 v[36:37], v[34:35], off
.LBB70_1046:                            ;   in Loop: Header=BB70_3 Depth=1
	s_wait_xcnt 0x0
	s_or_b32 exec_lo, exec_lo, s7
	global_wb scope:SCOPE_DEV
	s_wait_storecnt 0x0
	global_inv scope:SCOPE_DEV
	s_wait_loadcnt 0x0
	s_barrier_signal -1
	s_barrier_wait -1
	s_and_saveexec_b32 s7, s36
	s_cbranch_execz .LBB70_2
; %bb.1047:                             ;   in Loop: Header=BB70_3 Depth=1
	s_lshl_b64 s[70:71], s[84:85], 2
	s_delay_alu instid0(SALU_CYCLE_1)
	s_add_nc_u64 s[70:71], s[86:87], s[70:71]
	global_load_b32 v0, v1, s[70:71]
	s_wait_loadcnt 0x0
	v_add_nc_u32_e32 v0, 1, v0
	global_store_b32 v1, v0, s[70:71]
	s_branch .LBB70_2
.LBB70_1048:                            ;   in Loop: Header=BB70_3 Depth=1
	ds_load_b64 v[36:37], v49 offset:544
	ds_load_b64 v[38:39], v46 offset:8
	s_wait_dscnt 0x0
	v_pk_mul_f32 v[78:79], v[38:39], v[36:37] op_sel:[0,1]
	s_delay_alu instid0(VALU_DEP_1) | instskip(SKIP_1) | instid1(VALU_DEP_2)
	v_pk_fma_f32 v[80:81], v[38:39], v[36:37], v[78:79] op_sel:[1,0,0] op_sel_hi:[0,0,1] neg_lo:[0,0,1] neg_hi:[0,0,1]
	v_pk_fma_f32 v[36:37], v[38:39], v[36:37], v[78:79] op_sel:[1,0,0] op_sel_hi:[0,1,1]
	v_mov_b32_e32 v37, v81
	s_delay_alu instid0(VALU_DEP_1)
	v_pk_add_f32 v[34:35], v[34:35], v[36:37]
	s_or_b32 exec_lo, exec_lo, s7
	s_and_saveexec_b32 s7, s17
	s_cbranch_execz .LBB70_151
.LBB70_1049:                            ;   in Loop: Header=BB70_3 Depth=1
	ds_load_b64 v[36:37], v48 offset:1056
	ds_load_b64 v[38:39], v46 offset:16
	s_wait_dscnt 0x0
	v_pk_mul_f32 v[78:79], v[38:39], v[36:37] op_sel:[0,1]
	s_delay_alu instid0(VALU_DEP_1) | instskip(SKIP_1) | instid1(VALU_DEP_2)
	v_pk_fma_f32 v[80:81], v[38:39], v[36:37], v[78:79] op_sel:[1,0,0] op_sel_hi:[0,0,1] neg_lo:[0,0,1] neg_hi:[0,0,1]
	v_pk_fma_f32 v[36:37], v[38:39], v[36:37], v[78:79] op_sel:[1,0,0] op_sel_hi:[0,1,1]
	v_mov_b32_e32 v37, v81
	s_delay_alu instid0(VALU_DEP_1)
	v_pk_add_f32 v[34:35], v[34:35], v[36:37]
	s_or_b32 exec_lo, exec_lo, s7
	s_and_saveexec_b32 s7, s1
	s_cbranch_execnz .LBB70_152
	s_branch .LBB70_153
.LBB70_1050:                            ;   in Loop: Header=BB70_3 Depth=1
	ds_load_b64 v[36:37], v54 offset:576
	ds_load_b64 v[38:39], v50 offset:8
	s_wait_dscnt 0x0
	v_dual_mul_f32 v0, v39, v37 :: v_dual_mul_f32 v37, v38, v37
	s_delay_alu instid0(VALU_DEP_1) | instskip(NEXT) | instid1(VALU_DEP_1)
	v_dual_fma_f32 v0, v38, v36, -v0 :: v_dual_fmac_f32 v37, v39, v36
	v_dual_add_f32 v35, v35, v0 :: v_dual_add_f32 v34, v34, v37
	s_or_b32 exec_lo, exec_lo, s7
	s_and_saveexec_b32 s7, s19
	s_cbranch_execz .LBB70_189
.LBB70_1051:                            ;   in Loop: Header=BB70_3 Depth=1
	ds_load_b64 v[36:37], v54 offset:1088
	ds_load_b64 v[38:39], v50 offset:16
	s_wait_dscnt 0x0
	v_dual_mul_f32 v0, v39, v37 :: v_dual_mul_f32 v37, v38, v37
	s_delay_alu instid0(VALU_DEP_1) | instskip(NEXT) | instid1(VALU_DEP_1)
	v_dual_fma_f32 v0, v38, v36, -v0 :: v_dual_fmac_f32 v37, v39, v36
	v_dual_add_f32 v35, v35, v0 :: v_dual_add_f32 v34, v34, v37
	s_or_b32 exec_lo, exec_lo, s7
	s_and_saveexec_b32 s7, s20
	s_cbranch_execz .LBB70_190
.LBB70_1052:                            ;   in Loop: Header=BB70_3 Depth=1
	ds_load_b64 v[36:37], v54 offset:1600
	ds_load_b64 v[38:39], v50 offset:24
	s_wait_dscnt 0x0
	v_dual_mul_f32 v0, v39, v37 :: v_dual_mul_f32 v37, v38, v37
	s_delay_alu instid0(VALU_DEP_1) | instskip(NEXT) | instid1(VALU_DEP_1)
	v_dual_fma_f32 v0, v38, v36, -v0 :: v_dual_fmac_f32 v37, v39, v36
	v_dual_add_f32 v35, v35, v0 :: v_dual_add_f32 v34, v34, v37
	s_or_b32 exec_lo, exec_lo, s7
	s_and_saveexec_b32 s7, s21
	s_cbranch_execz .LBB70_191
.LBB70_1053:                            ;   in Loop: Header=BB70_3 Depth=1
	ds_load_b64 v[36:37], v53 offset:2112
	ds_load_b64 v[38:39], v50 offset:32
	s_wait_dscnt 0x0
	v_dual_mul_f32 v0, v39, v37 :: v_dual_mul_f32 v78, v38, v37
	s_delay_alu instid0(VALU_DEP_1) | instskip(NEXT) | instid1(VALU_DEP_1)
	v_dual_fma_f32 v79, v38, v36, -v0 :: v_dual_fmac_f32 v78, v39, v36
	v_pk_add_f32 v[34:35], v[34:35], v[78:79]
	s_or_b32 exec_lo, exec_lo, s7
	s_and_saveexec_b32 s7, s22
	s_cbranch_execz .LBB70_192
.LBB70_1054:                            ;   in Loop: Header=BB70_3 Depth=1
	ds_load_b64 v[36:37], v54 offset:2624
	ds_load_b64 v[38:39], v50 offset:40
	s_wait_dscnt 0x0
	v_pk_mul_f32 v[78:79], v[38:39], v[36:37] op_sel:[0,1]
	s_delay_alu instid0(VALU_DEP_1) | instskip(SKIP_1) | instid1(VALU_DEP_2)
	v_pk_fma_f32 v[80:81], v[38:39], v[36:37], v[78:79] op_sel:[1,0,0] op_sel_hi:[0,0,1] neg_lo:[0,0,1] neg_hi:[0,0,1]
	v_pk_fma_f32 v[36:37], v[38:39], v[36:37], v[78:79] op_sel:[1,0,0] op_sel_hi:[0,1,1]
	v_mov_b32_e32 v37, v81
	s_delay_alu instid0(VALU_DEP_1)
	v_pk_add_f32 v[34:35], v[34:35], v[36:37]
	s_or_b32 exec_lo, exec_lo, s7
	s_and_saveexec_b32 s7, s2
	s_cbranch_execz .LBB70_193
.LBB70_1055:                            ;   in Loop: Header=BB70_3 Depth=1
	ds_load_b64 v[36:37], v53 offset:3136
	ds_load_b64 v[38:39], v50 offset:48
	s_wait_dscnt 0x0
	v_pk_mul_f32 v[78:79], v[38:39], v[36:37] op_sel:[0,1]
	s_delay_alu instid0(VALU_DEP_1) | instskip(SKIP_1) | instid1(VALU_DEP_2)
	v_pk_fma_f32 v[80:81], v[38:39], v[36:37], v[78:79] op_sel:[1,0,0] op_sel_hi:[0,0,1] neg_lo:[0,0,1] neg_hi:[0,0,1]
	v_pk_fma_f32 v[36:37], v[38:39], v[36:37], v[78:79] op_sel:[1,0,0] op_sel_hi:[0,1,1]
	v_mov_b32_e32 v37, v81
	s_delay_alu instid0(VALU_DEP_1)
	v_pk_add_f32 v[34:35], v[34:35], v[36:37]
	s_or_b32 exec_lo, exec_lo, s7
	s_and_saveexec_b32 s7, s17
	s_cbranch_execnz .LBB70_194
	s_branch .LBB70_195
.LBB70_1056:                            ;   in Loop: Header=BB70_3 Depth=1
	ds_load_b64 v[36:37], v49 offset:4704
	ds_load_b64 v[38:39], v46 offset:4168
	s_wait_dscnt 0x0
	v_pk_mul_f32 v[78:79], v[38:39], v[36:37] op_sel:[0,1]
	s_delay_alu instid0(VALU_DEP_1) | instskip(SKIP_1) | instid1(VALU_DEP_2)
	v_pk_fma_f32 v[80:81], v[38:39], v[36:37], v[78:79] op_sel:[1,0,0] op_sel_hi:[0,0,1] neg_lo:[0,0,1] neg_hi:[0,0,1]
	v_pk_fma_f32 v[36:37], v[38:39], v[36:37], v[78:79] op_sel:[1,0,0] op_sel_hi:[0,1,1]
	v_mov_b32_e32 v37, v81
	s_delay_alu instid0(VALU_DEP_1)
	v_pk_add_f32 v[34:35], v[34:35], v[36:37]
	s_or_b32 exec_lo, exec_lo, s7
	s_and_saveexec_b32 s7, s17
	s_cbranch_execz .LBB70_247
.LBB70_1057:                            ;   in Loop: Header=BB70_3 Depth=1
	ds_load_b64 v[36:37], v48 offset:5216
	ds_load_b64 v[38:39], v46 offset:4176
	s_wait_dscnt 0x0
	v_pk_mul_f32 v[78:79], v[38:39], v[36:37] op_sel:[0,1]
	s_delay_alu instid0(VALU_DEP_1) | instskip(SKIP_1) | instid1(VALU_DEP_2)
	v_pk_fma_f32 v[80:81], v[38:39], v[36:37], v[78:79] op_sel:[1,0,0] op_sel_hi:[0,0,1] neg_lo:[0,0,1] neg_hi:[0,0,1]
	v_pk_fma_f32 v[36:37], v[38:39], v[36:37], v[78:79] op_sel:[1,0,0] op_sel_hi:[0,1,1]
	v_mov_b32_e32 v37, v81
	s_delay_alu instid0(VALU_DEP_1)
	v_pk_add_f32 v[34:35], v[34:35], v[36:37]
	s_or_b32 exec_lo, exec_lo, s7
	s_and_saveexec_b32 s7, s1
	s_cbranch_execnz .LBB70_248
	s_branch .LBB70_249
.LBB70_1058:                            ;   in Loop: Header=BB70_3 Depth=1
	ds_load_b64 v[36:37], v59 offset:5760
	ds_load_b64 v[38:39], v55 offset:88
	s_wait_dscnt 0x0
	v_dual_mul_f32 v0, v39, v37 :: v_dual_mul_f32 v37, v38, v37
	s_delay_alu instid0(VALU_DEP_1) | instskip(NEXT) | instid1(VALU_DEP_1)
	v_dual_fma_f32 v0, v38, v36, -v0 :: v_dual_fmac_f32 v37, v39, v36
	v_dual_add_f32 v35, v35, v0 :: v_dual_add_f32 v34, v34, v37
	s_or_b32 exec_lo, exec_lo, s7
	s_and_saveexec_b32 s7, s3
	s_cbranch_execz .LBB70_305
.LBB70_1059:                            ;   in Loop: Header=BB70_3 Depth=1
	ds_load_b64 v[36:37], v58 offset:6272
	ds_load_b64 v[38:39], v55 offset:96
	s_wait_dscnt 0x0
	v_dual_mul_f32 v0, v39, v37 :: v_dual_mul_f32 v78, v38, v37
	s_delay_alu instid0(VALU_DEP_1) | instskip(NEXT) | instid1(VALU_DEP_1)
	v_dual_fma_f32 v79, v38, v36, -v0 :: v_dual_fmac_f32 v78, v39, v36
	v_pk_add_f32 v[34:35], v[34:35], v[78:79]
	s_or_b32 exec_lo, exec_lo, s7
	s_and_saveexec_b32 s7, s19
	s_cbranch_execz .LBB70_306
.LBB70_1060:                            ;   in Loop: Header=BB70_3 Depth=1
	ds_load_b64 v[36:37], v59 offset:6784
	ds_load_b64 v[38:39], v55 offset:104
	s_wait_dscnt 0x0
	v_pk_mul_f32 v[78:79], v[38:39], v[36:37] op_sel:[0,1]
	s_delay_alu instid0(VALU_DEP_1) | instskip(SKIP_1) | instid1(VALU_DEP_2)
	v_pk_fma_f32 v[80:81], v[38:39], v[36:37], v[78:79] op_sel:[1,0,0] op_sel_hi:[0,0,1] neg_lo:[0,0,1] neg_hi:[0,0,1]
	v_pk_fma_f32 v[36:37], v[38:39], v[36:37], v[78:79] op_sel:[1,0,0] op_sel_hi:[0,1,1]
	v_mov_b32_e32 v37, v81
	s_delay_alu instid0(VALU_DEP_1)
	v_pk_add_f32 v[34:35], v[34:35], v[36:37]
	s_or_b32 exec_lo, exec_lo, s7
	s_and_saveexec_b32 s7, s21
	s_cbranch_execz .LBB70_307
.LBB70_1061:                            ;   in Loop: Header=BB70_3 Depth=1
	ds_load_b64 v[36:37], v58 offset:7296
	ds_load_b64 v[38:39], v55 offset:112
	s_wait_dscnt 0x0
	v_pk_mul_f32 v[78:79], v[38:39], v[36:37] op_sel:[0,1]
	s_delay_alu instid0(VALU_DEP_1) | instskip(SKIP_1) | instid1(VALU_DEP_2)
	v_pk_fma_f32 v[80:81], v[38:39], v[36:37], v[78:79] op_sel:[1,0,0] op_sel_hi:[0,0,1] neg_lo:[0,0,1] neg_hi:[0,0,1]
	v_pk_fma_f32 v[36:37], v[38:39], v[36:37], v[78:79] op_sel:[1,0,0] op_sel_hi:[0,1,1]
	v_mov_b32_e32 v37, v81
	s_delay_alu instid0(VALU_DEP_1)
	v_pk_add_f32 v[34:35], v[34:35], v[36:37]
	s_or_b32 exec_lo, exec_lo, s7
	s_and_saveexec_b32 s7, s2
	s_cbranch_execnz .LBB70_308
	s_branch .LBB70_309
.LBB70_1062:                            ;   in Loop: Header=BB70_3 Depth=1
	ds_load_b64 v[36:37], v49 offset:8864
	ds_load_b64 v[38:39], v46 offset:8328
	s_wait_dscnt 0x0
	v_pk_mul_f32 v[78:79], v[38:39], v[36:37] op_sel:[0,1]
	s_delay_alu instid0(VALU_DEP_1) | instskip(SKIP_1) | instid1(VALU_DEP_2)
	v_pk_fma_f32 v[80:81], v[38:39], v[36:37], v[78:79] op_sel:[1,0,0] op_sel_hi:[0,0,1] neg_lo:[0,0,1] neg_hi:[0,0,1]
	v_pk_fma_f32 v[36:37], v[38:39], v[36:37], v[78:79] op_sel:[1,0,0] op_sel_hi:[0,1,1]
	v_mov_b32_e32 v37, v81
	s_delay_alu instid0(VALU_DEP_1)
	v_pk_add_f32 v[34:35], v[34:35], v[36:37]
	s_or_b32 exec_lo, exec_lo, s7
	s_and_saveexec_b32 s7, s17
	s_cbranch_execz .LBB70_393
.LBB70_1063:                            ;   in Loop: Header=BB70_3 Depth=1
	ds_load_b64 v[36:37], v48 offset:9376
	ds_load_b64 v[38:39], v46 offset:8336
	s_wait_dscnt 0x0
	v_pk_mul_f32 v[78:79], v[38:39], v[36:37] op_sel:[0,1]
	s_delay_alu instid0(VALU_DEP_1) | instskip(SKIP_1) | instid1(VALU_DEP_2)
	v_pk_fma_f32 v[80:81], v[38:39], v[36:37], v[78:79] op_sel:[1,0,0] op_sel_hi:[0,0,1] neg_lo:[0,0,1] neg_hi:[0,0,1]
	v_pk_fma_f32 v[36:37], v[38:39], v[36:37], v[78:79] op_sel:[1,0,0] op_sel_hi:[0,1,1]
	v_mov_b32_e32 v37, v81
	s_delay_alu instid0(VALU_DEP_1)
	v_pk_add_f32 v[34:35], v[34:35], v[36:37]
	s_or_b32 exec_lo, exec_lo, s7
	s_and_saveexec_b32 s7, s1
	s_cbranch_execnz .LBB70_394
	s_branch .LBB70_395
.LBB70_1064:                            ;   in Loop: Header=BB70_3 Depth=1
	ds_load_b64 v[36:37], v54 offset:8896
	ds_load_b64 v[38:39], v50 offset:8328
	s_wait_dscnt 0x0
	v_dual_mul_f32 v0, v39, v37 :: v_dual_mul_f32 v37, v38, v37
	s_delay_alu instid0(VALU_DEP_1) | instskip(NEXT) | instid1(VALU_DEP_1)
	v_dual_fma_f32 v0, v38, v36, -v0 :: v_dual_fmac_f32 v37, v39, v36
	v_dual_add_f32 v35, v35, v0 :: v_dual_add_f32 v34, v34, v37
	s_or_b32 exec_lo, exec_lo, s7
	s_and_saveexec_b32 s7, s19
	s_cbranch_execz .LBB70_431
.LBB70_1065:                            ;   in Loop: Header=BB70_3 Depth=1
	ds_load_b64 v[36:37], v54 offset:9408
	ds_load_b64 v[38:39], v50 offset:8336
	s_wait_dscnt 0x0
	v_dual_mul_f32 v0, v39, v37 :: v_dual_mul_f32 v37, v38, v37
	s_delay_alu instid0(VALU_DEP_1) | instskip(NEXT) | instid1(VALU_DEP_1)
	v_dual_fma_f32 v0, v38, v36, -v0 :: v_dual_fmac_f32 v37, v39, v36
	v_dual_add_f32 v35, v35, v0 :: v_dual_add_f32 v34, v34, v37
	s_or_b32 exec_lo, exec_lo, s7
	s_and_saveexec_b32 s7, s20
	s_cbranch_execz .LBB70_432
.LBB70_1066:                            ;   in Loop: Header=BB70_3 Depth=1
	ds_load_b64 v[36:37], v54 offset:9920
	ds_load_b64 v[38:39], v50 offset:8344
	s_wait_dscnt 0x0
	v_dual_mul_f32 v0, v39, v37 :: v_dual_mul_f32 v37, v38, v37
	s_delay_alu instid0(VALU_DEP_1) | instskip(NEXT) | instid1(VALU_DEP_1)
	v_dual_fma_f32 v0, v38, v36, -v0 :: v_dual_fmac_f32 v37, v39, v36
	v_dual_add_f32 v35, v35, v0 :: v_dual_add_f32 v34, v34, v37
	s_or_b32 exec_lo, exec_lo, s7
	s_and_saveexec_b32 s7, s21
	s_cbranch_execz .LBB70_433
.LBB70_1067:                            ;   in Loop: Header=BB70_3 Depth=1
	ds_load_b64 v[36:37], v53 offset:10432
	ds_load_b64 v[38:39], v50 offset:8352
	s_wait_dscnt 0x0
	v_dual_mul_f32 v0, v39, v37 :: v_dual_mul_f32 v78, v38, v37
	s_delay_alu instid0(VALU_DEP_1) | instskip(NEXT) | instid1(VALU_DEP_1)
	v_dual_fma_f32 v79, v38, v36, -v0 :: v_dual_fmac_f32 v78, v39, v36
	v_pk_add_f32 v[34:35], v[34:35], v[78:79]
	s_or_b32 exec_lo, exec_lo, s7
	s_and_saveexec_b32 s7, s22
	s_cbranch_execz .LBB70_434
.LBB70_1068:                            ;   in Loop: Header=BB70_3 Depth=1
	ds_load_b64 v[36:37], v54 offset:10944
	ds_load_b64 v[38:39], v50 offset:8360
	s_wait_dscnt 0x0
	v_pk_mul_f32 v[78:79], v[38:39], v[36:37] op_sel:[0,1]
	s_delay_alu instid0(VALU_DEP_1) | instskip(SKIP_1) | instid1(VALU_DEP_2)
	v_pk_fma_f32 v[80:81], v[38:39], v[36:37], v[78:79] op_sel:[1,0,0] op_sel_hi:[0,0,1] neg_lo:[0,0,1] neg_hi:[0,0,1]
	v_pk_fma_f32 v[36:37], v[38:39], v[36:37], v[78:79] op_sel:[1,0,0] op_sel_hi:[0,1,1]
	v_mov_b32_e32 v37, v81
	s_delay_alu instid0(VALU_DEP_1)
	v_pk_add_f32 v[34:35], v[34:35], v[36:37]
	s_or_b32 exec_lo, exec_lo, s7
	s_and_saveexec_b32 s7, s2
	s_cbranch_execz .LBB70_435
.LBB70_1069:                            ;   in Loop: Header=BB70_3 Depth=1
	ds_load_b64 v[36:37], v53 offset:11456
	ds_load_b64 v[38:39], v50 offset:8368
	s_wait_dscnt 0x0
	v_pk_mul_f32 v[78:79], v[38:39], v[36:37] op_sel:[0,1]
	s_delay_alu instid0(VALU_DEP_1) | instskip(SKIP_1) | instid1(VALU_DEP_2)
	v_pk_fma_f32 v[80:81], v[38:39], v[36:37], v[78:79] op_sel:[1,0,0] op_sel_hi:[0,0,1] neg_lo:[0,0,1] neg_hi:[0,0,1]
	v_pk_fma_f32 v[36:37], v[38:39], v[36:37], v[78:79] op_sel:[1,0,0] op_sel_hi:[0,1,1]
	v_mov_b32_e32 v37, v81
	s_delay_alu instid0(VALU_DEP_1)
	v_pk_add_f32 v[34:35], v[34:35], v[36:37]
	s_or_b32 exec_lo, exec_lo, s7
	s_and_saveexec_b32 s7, s17
	s_cbranch_execnz .LBB70_436
	s_branch .LBB70_437
.LBB70_1070:                            ;   in Loop: Header=BB70_3 Depth=1
	ds_load_b64 v[36:37], v49 offset:13024
	ds_load_b64 v[38:39], v46 offset:12488
	s_wait_dscnt 0x0
	v_pk_mul_f32 v[78:79], v[38:39], v[36:37] op_sel:[0,1]
	s_delay_alu instid0(VALU_DEP_1) | instskip(SKIP_1) | instid1(VALU_DEP_2)
	v_pk_fma_f32 v[80:81], v[38:39], v[36:37], v[78:79] op_sel:[1,0,0] op_sel_hi:[0,0,1] neg_lo:[0,0,1] neg_hi:[0,0,1]
	v_pk_fma_f32 v[36:37], v[38:39], v[36:37], v[78:79] op_sel:[1,0,0] op_sel_hi:[0,1,1]
	v_mov_b32_e32 v37, v81
	s_delay_alu instid0(VALU_DEP_1)
	v_pk_add_f32 v[34:35], v[34:35], v[36:37]
	s_or_b32 exec_lo, exec_lo, s7
	s_and_saveexec_b32 s7, s17
	s_cbranch_execz .LBB70_489
.LBB70_1071:                            ;   in Loop: Header=BB70_3 Depth=1
	ds_load_b64 v[36:37], v48 offset:13536
	ds_load_b64 v[38:39], v46 offset:12496
	s_wait_dscnt 0x0
	v_pk_mul_f32 v[78:79], v[38:39], v[36:37] op_sel:[0,1]
	s_delay_alu instid0(VALU_DEP_1) | instskip(SKIP_1) | instid1(VALU_DEP_2)
	v_pk_fma_f32 v[80:81], v[38:39], v[36:37], v[78:79] op_sel:[1,0,0] op_sel_hi:[0,0,1] neg_lo:[0,0,1] neg_hi:[0,0,1]
	v_pk_fma_f32 v[36:37], v[38:39], v[36:37], v[78:79] op_sel:[1,0,0] op_sel_hi:[0,1,1]
	v_mov_b32_e32 v37, v81
	s_delay_alu instid0(VALU_DEP_1)
	v_pk_add_f32 v[34:35], v[34:35], v[36:37]
	s_or_b32 exec_lo, exec_lo, s7
	s_and_saveexec_b32 s7, s1
	s_cbranch_execnz .LBB70_490
	s_branch .LBB70_491
.LBB70_1072:                            ;   in Loop: Header=BB70_3 Depth=1
	ds_load_b64 v[38:39], v36 offset:15104
	ds_load_b64 v[78:79], v0 offset:232
	s_wait_dscnt 0x0
	v_pk_mul_f32 v[80:81], v[78:79], v[38:39] op_sel:[1,1] op_sel_hi:[0,1]
	s_delay_alu instid0(VALU_DEP_1) | instskip(SKIP_1) | instid1(VALU_DEP_2)
	v_pk_fma_f32 v[82:83], v[78:79], v[38:39], v[80:81] op_sel_hi:[1,0,1]
	v_pk_fma_f32 v[38:39], v[78:79], v[38:39], v[80:81] neg_lo:[0,0,1] neg_hi:[0,0,1]
	v_mov_b32_e32 v39, v83
	s_delay_alu instid0(VALU_DEP_1)
	v_pk_add_f32 v[34:35], v[34:35], v[38:39]
	s_or_b32 exec_lo, exec_lo, s7
	s_and_saveexec_b32 s7, s3
	s_cbranch_execz .LBB70_583
.LBB70_1073:                            ;   in Loop: Header=BB70_3 Depth=1
	ds_load_b64 v[36:37], v36 offset:15616
	ds_load_b64 v[38:39], v0 offset:240
	s_wait_dscnt 0x0
	v_pk_mul_f32 v[78:79], v[38:39], v[36:37] op_sel:[1,1] op_sel_hi:[0,1]
	s_delay_alu instid0(VALU_DEP_1) | instskip(SKIP_1) | instid1(VALU_DEP_2)
	v_pk_fma_f32 v[80:81], v[38:39], v[36:37], v[78:79] op_sel_hi:[1,0,1]
	v_pk_fma_f32 v[36:37], v[38:39], v[36:37], v[78:79] neg_lo:[0,0,1] neg_hi:[0,0,1]
	v_mov_b32_e32 v37, v81
	s_delay_alu instid0(VALU_DEP_1)
	v_pk_add_f32 v[34:35], v[34:35], v[36:37]
	s_or_b32 exec_lo, exec_lo, s7
	s_and_saveexec_b32 s7, s21
	s_cbranch_execnz .LBB70_584
	s_branch .LBB70_585
.LBB70_1074:                            ;   in Loop: Header=BB70_3 Depth=1
	ds_load_b64 v[36:37], v49 offset:17184
	ds_load_b64 v[38:39], v46 offset:16648
	s_wait_dscnt 0x0
	v_pk_mul_f32 v[78:79], v[38:39], v[36:37] op_sel:[0,1]
	s_delay_alu instid0(VALU_DEP_1) | instskip(SKIP_1) | instid1(VALU_DEP_2)
	v_pk_fma_f32 v[80:81], v[38:39], v[36:37], v[78:79] op_sel:[1,0,0] op_sel_hi:[0,0,1] neg_lo:[0,0,1] neg_hi:[0,0,1]
	v_pk_fma_f32 v[36:37], v[38:39], v[36:37], v[78:79] op_sel:[1,0,0] op_sel_hi:[0,1,1]
	v_mov_b32_e32 v37, v81
	s_delay_alu instid0(VALU_DEP_1)
	v_pk_add_f32 v[34:35], v[34:35], v[36:37]
	s_or_b32 exec_lo, exec_lo, s7
	s_and_saveexec_b32 s7, s17
	s_cbranch_execz .LBB70_617
.LBB70_1075:                            ;   in Loop: Header=BB70_3 Depth=1
	ds_load_b64 v[36:37], v48 offset:17696
	ds_load_b64 v[38:39], v46 offset:16656
	s_wait_dscnt 0x0
	v_pk_mul_f32 v[78:79], v[38:39], v[36:37] op_sel:[0,1]
	s_delay_alu instid0(VALU_DEP_1) | instskip(SKIP_1) | instid1(VALU_DEP_2)
	v_pk_fma_f32 v[80:81], v[38:39], v[36:37], v[78:79] op_sel:[1,0,0] op_sel_hi:[0,0,1] neg_lo:[0,0,1] neg_hi:[0,0,1]
	v_pk_fma_f32 v[36:37], v[38:39], v[36:37], v[78:79] op_sel:[1,0,0] op_sel_hi:[0,1,1]
	v_mov_b32_e32 v37, v81
	s_delay_alu instid0(VALU_DEP_1)
	v_pk_add_f32 v[34:35], v[34:35], v[36:37]
	s_or_b32 exec_lo, exec_lo, s7
	s_and_saveexec_b32 s7, s1
	s_cbranch_execnz .LBB70_618
	s_branch .LBB70_619
.LBB70_1076:                            ;   in Loop: Header=BB70_3 Depth=1
	ds_load_b64 v[36:37], v54 offset:17216
	ds_load_b64 v[38:39], v50 offset:16648
	s_wait_dscnt 0x0
	v_dual_mul_f32 v0, v39, v37 :: v_dual_mul_f32 v37, v38, v37
	s_delay_alu instid0(VALU_DEP_1) | instskip(NEXT) | instid1(VALU_DEP_1)
	v_dual_fma_f32 v0, v38, v36, -v0 :: v_dual_fmac_f32 v37, v39, v36
	v_dual_add_f32 v35, v35, v0 :: v_dual_add_f32 v34, v34, v37
	s_or_b32 exec_lo, exec_lo, s7
	s_and_saveexec_b32 s7, s19
	s_cbranch_execz .LBB70_655
.LBB70_1077:                            ;   in Loop: Header=BB70_3 Depth=1
	ds_load_b64 v[36:37], v54 offset:17728
	ds_load_b64 v[38:39], v50 offset:16656
	s_wait_dscnt 0x0
	v_dual_mul_f32 v0, v39, v37 :: v_dual_mul_f32 v37, v38, v37
	s_delay_alu instid0(VALU_DEP_1) | instskip(NEXT) | instid1(VALU_DEP_1)
	v_dual_fma_f32 v0, v38, v36, -v0 :: v_dual_fmac_f32 v37, v39, v36
	v_dual_add_f32 v35, v35, v0 :: v_dual_add_f32 v34, v34, v37
	s_or_b32 exec_lo, exec_lo, s7
	s_and_saveexec_b32 s7, s20
	s_cbranch_execz .LBB70_656
.LBB70_1078:                            ;   in Loop: Header=BB70_3 Depth=1
	ds_load_b64 v[36:37], v54 offset:18240
	ds_load_b64 v[38:39], v50 offset:16664
	s_wait_dscnt 0x0
	v_dual_mul_f32 v0, v39, v37 :: v_dual_mul_f32 v37, v38, v37
	s_delay_alu instid0(VALU_DEP_1) | instskip(NEXT) | instid1(VALU_DEP_1)
	v_dual_fma_f32 v0, v38, v36, -v0 :: v_dual_fmac_f32 v37, v39, v36
	v_dual_add_f32 v35, v35, v0 :: v_dual_add_f32 v34, v34, v37
	s_or_b32 exec_lo, exec_lo, s7
	s_and_saveexec_b32 s7, s21
	s_cbranch_execz .LBB70_657
.LBB70_1079:                            ;   in Loop: Header=BB70_3 Depth=1
	ds_load_b64 v[36:37], v53 offset:18752
	ds_load_b64 v[38:39], v50 offset:16672
	s_wait_dscnt 0x0
	v_dual_mul_f32 v0, v39, v37 :: v_dual_mul_f32 v78, v38, v37
	s_delay_alu instid0(VALU_DEP_1) | instskip(NEXT) | instid1(VALU_DEP_1)
	v_dual_fma_f32 v79, v38, v36, -v0 :: v_dual_fmac_f32 v78, v39, v36
	v_pk_add_f32 v[34:35], v[34:35], v[78:79]
	s_or_b32 exec_lo, exec_lo, s7
	s_and_saveexec_b32 s7, s22
	s_cbranch_execz .LBB70_658
.LBB70_1080:                            ;   in Loop: Header=BB70_3 Depth=1
	ds_load_b64 v[36:37], v54 offset:19264
	ds_load_b64 v[38:39], v50 offset:16680
	s_wait_dscnt 0x0
	v_pk_mul_f32 v[78:79], v[38:39], v[36:37] op_sel:[0,1]
	s_delay_alu instid0(VALU_DEP_1) | instskip(SKIP_1) | instid1(VALU_DEP_2)
	v_pk_fma_f32 v[80:81], v[38:39], v[36:37], v[78:79] op_sel:[1,0,0] op_sel_hi:[0,0,1] neg_lo:[0,0,1] neg_hi:[0,0,1]
	v_pk_fma_f32 v[36:37], v[38:39], v[36:37], v[78:79] op_sel:[1,0,0] op_sel_hi:[0,1,1]
	v_mov_b32_e32 v37, v81
	s_delay_alu instid0(VALU_DEP_1)
	v_pk_add_f32 v[34:35], v[34:35], v[36:37]
	s_or_b32 exec_lo, exec_lo, s7
	s_and_saveexec_b32 s7, s2
	s_cbranch_execz .LBB70_659
.LBB70_1081:                            ;   in Loop: Header=BB70_3 Depth=1
	ds_load_b64 v[36:37], v53 offset:19776
	ds_load_b64 v[38:39], v50 offset:16688
	s_wait_dscnt 0x0
	v_pk_mul_f32 v[78:79], v[38:39], v[36:37] op_sel:[0,1]
	s_delay_alu instid0(VALU_DEP_1) | instskip(SKIP_1) | instid1(VALU_DEP_2)
	v_pk_fma_f32 v[80:81], v[38:39], v[36:37], v[78:79] op_sel:[1,0,0] op_sel_hi:[0,0,1] neg_lo:[0,0,1] neg_hi:[0,0,1]
	v_pk_fma_f32 v[36:37], v[38:39], v[36:37], v[78:79] op_sel:[1,0,0] op_sel_hi:[0,1,1]
	v_mov_b32_e32 v37, v81
	s_delay_alu instid0(VALU_DEP_1)
	v_pk_add_f32 v[34:35], v[34:35], v[36:37]
	s_or_b32 exec_lo, exec_lo, s7
	s_and_saveexec_b32 s7, s17
	s_cbranch_execnz .LBB70_660
	s_branch .LBB70_661
.LBB70_1082:                            ;   in Loop: Header=BB70_3 Depth=1
	ds_load_b64 v[36:37], v49 offset:21344
	ds_load_b64 v[38:39], v46 offset:20808
	s_wait_dscnt 0x0
	v_pk_mul_f32 v[78:79], v[38:39], v[36:37] op_sel:[0,1]
	s_delay_alu instid0(VALU_DEP_1) | instskip(SKIP_1) | instid1(VALU_DEP_2)
	v_pk_fma_f32 v[80:81], v[38:39], v[36:37], v[78:79] op_sel:[1,0,0] op_sel_hi:[0,0,1] neg_lo:[0,0,1] neg_hi:[0,0,1]
	v_pk_fma_f32 v[36:37], v[38:39], v[36:37], v[78:79] op_sel:[1,0,0] op_sel_hi:[0,1,1]
	v_mov_b32_e32 v37, v81
	s_delay_alu instid0(VALU_DEP_1)
	v_pk_add_f32 v[34:35], v[34:35], v[36:37]
	s_or_b32 exec_lo, exec_lo, s7
	s_and_saveexec_b32 s7, s17
	s_cbranch_execz .LBB70_713
.LBB70_1083:                            ;   in Loop: Header=BB70_3 Depth=1
	ds_load_b64 v[36:37], v48 offset:21856
	ds_load_b64 v[38:39], v46 offset:20816
	s_wait_dscnt 0x0
	v_pk_mul_f32 v[78:79], v[38:39], v[36:37] op_sel:[0,1]
	s_delay_alu instid0(VALU_DEP_1) | instskip(SKIP_1) | instid1(VALU_DEP_2)
	v_pk_fma_f32 v[80:81], v[38:39], v[36:37], v[78:79] op_sel:[1,0,0] op_sel_hi:[0,0,1] neg_lo:[0,0,1] neg_hi:[0,0,1]
	v_pk_fma_f32 v[36:37], v[38:39], v[36:37], v[78:79] op_sel:[1,0,0] op_sel_hi:[0,1,1]
	v_mov_b32_e32 v37, v81
	s_delay_alu instid0(VALU_DEP_1)
	v_pk_add_f32 v[34:35], v[34:35], v[36:37]
	s_or_b32 exec_lo, exec_lo, s7
	s_and_saveexec_b32 s7, s1
	s_cbranch_execnz .LBB70_714
	s_branch .LBB70_715
.LBB70_1084:                            ;   in Loop: Header=BB70_3 Depth=1
	ds_load_b64 v[36:37], v59 offset:22400
	ds_load_b64 v[38:39], v55 offset:16728
	s_wait_dscnt 0x0
	v_dual_mul_f32 v0, v39, v37 :: v_dual_mul_f32 v37, v38, v37
	s_delay_alu instid0(VALU_DEP_1) | instskip(NEXT) | instid1(VALU_DEP_1)
	v_dual_fma_f32 v0, v38, v36, -v0 :: v_dual_fmac_f32 v37, v39, v36
	v_dual_add_f32 v35, v35, v0 :: v_dual_add_f32 v34, v34, v37
	s_or_b32 exec_lo, exec_lo, s7
	s_and_saveexec_b32 s7, s3
	s_cbranch_execz .LBB70_771
.LBB70_1085:                            ;   in Loop: Header=BB70_3 Depth=1
	ds_load_b64 v[36:37], v58 offset:22912
	ds_load_b64 v[38:39], v55 offset:16736
	s_wait_dscnt 0x0
	v_dual_mul_f32 v0, v39, v37 :: v_dual_mul_f32 v78, v38, v37
	s_delay_alu instid0(VALU_DEP_1) | instskip(NEXT) | instid1(VALU_DEP_1)
	v_dual_fma_f32 v79, v38, v36, -v0 :: v_dual_fmac_f32 v78, v39, v36
	v_pk_add_f32 v[34:35], v[34:35], v[78:79]
	s_or_b32 exec_lo, exec_lo, s7
	s_and_saveexec_b32 s7, s19
	s_cbranch_execz .LBB70_772
.LBB70_1086:                            ;   in Loop: Header=BB70_3 Depth=1
	ds_load_b64 v[36:37], v59 offset:23424
	ds_load_b64 v[38:39], v55 offset:16744
	s_wait_dscnt 0x0
	v_pk_mul_f32 v[78:79], v[38:39], v[36:37] op_sel:[0,1]
	s_delay_alu instid0(VALU_DEP_1) | instskip(SKIP_1) | instid1(VALU_DEP_2)
	v_pk_fma_f32 v[80:81], v[38:39], v[36:37], v[78:79] op_sel:[1,0,0] op_sel_hi:[0,0,1] neg_lo:[0,0,1] neg_hi:[0,0,1]
	v_pk_fma_f32 v[36:37], v[38:39], v[36:37], v[78:79] op_sel:[1,0,0] op_sel_hi:[0,1,1]
	v_mov_b32_e32 v37, v81
	s_delay_alu instid0(VALU_DEP_1)
	v_pk_add_f32 v[34:35], v[34:35], v[36:37]
	s_or_b32 exec_lo, exec_lo, s7
	s_and_saveexec_b32 s7, s21
	s_cbranch_execz .LBB70_773
.LBB70_1087:                            ;   in Loop: Header=BB70_3 Depth=1
	ds_load_b64 v[36:37], v58 offset:23936
	ds_load_b64 v[38:39], v55 offset:16752
	s_wait_dscnt 0x0
	v_pk_mul_f32 v[78:79], v[38:39], v[36:37] op_sel:[0,1]
	s_delay_alu instid0(VALU_DEP_1) | instskip(SKIP_1) | instid1(VALU_DEP_2)
	v_pk_fma_f32 v[80:81], v[38:39], v[36:37], v[78:79] op_sel:[1,0,0] op_sel_hi:[0,0,1] neg_lo:[0,0,1] neg_hi:[0,0,1]
	v_pk_fma_f32 v[36:37], v[38:39], v[36:37], v[78:79] op_sel:[1,0,0] op_sel_hi:[0,1,1]
	v_mov_b32_e32 v37, v81
	s_delay_alu instid0(VALU_DEP_1)
	v_pk_add_f32 v[34:35], v[34:35], v[36:37]
	s_or_b32 exec_lo, exec_lo, s7
	s_and_saveexec_b32 s7, s2
	s_cbranch_execnz .LBB70_774
	s_branch .LBB70_775
.LBB70_1088:                            ;   in Loop: Header=BB70_3 Depth=1
	ds_load_b64 v[36:37], v49 offset:25504
	ds_load_b64 v[38:39], v46 offset:24968
	s_wait_dscnt 0x0
	v_pk_mul_f32 v[78:79], v[38:39], v[36:37] op_sel:[0,1]
	s_delay_alu instid0(VALU_DEP_1) | instskip(SKIP_1) | instid1(VALU_DEP_2)
	v_pk_fma_f32 v[80:81], v[38:39], v[36:37], v[78:79] op_sel:[1,0,0] op_sel_hi:[0,0,1] neg_lo:[0,0,1] neg_hi:[0,0,1]
	v_pk_fma_f32 v[36:37], v[38:39], v[36:37], v[78:79] op_sel:[1,0,0] op_sel_hi:[0,1,1]
	v_mov_b32_e32 v37, v81
	s_delay_alu instid0(VALU_DEP_1)
	v_pk_add_f32 v[34:35], v[34:35], v[36:37]
	s_or_b32 exec_lo, exec_lo, s7
	s_and_saveexec_b32 s7, s17
	s_cbranch_execz .LBB70_859
.LBB70_1089:                            ;   in Loop: Header=BB70_3 Depth=1
	ds_load_b64 v[36:37], v48 offset:26016
	ds_load_b64 v[38:39], v46 offset:24976
	s_wait_dscnt 0x0
	v_pk_mul_f32 v[78:79], v[38:39], v[36:37] op_sel:[0,1]
	s_delay_alu instid0(VALU_DEP_1) | instskip(SKIP_1) | instid1(VALU_DEP_2)
	v_pk_fma_f32 v[80:81], v[38:39], v[36:37], v[78:79] op_sel:[1,0,0] op_sel_hi:[0,0,1] neg_lo:[0,0,1] neg_hi:[0,0,1]
	v_pk_fma_f32 v[36:37], v[38:39], v[36:37], v[78:79] op_sel:[1,0,0] op_sel_hi:[0,1,1]
	v_mov_b32_e32 v37, v81
	s_delay_alu instid0(VALU_DEP_1)
	v_pk_add_f32 v[34:35], v[34:35], v[36:37]
	s_or_b32 exec_lo, exec_lo, s7
	s_and_saveexec_b32 s7, s1
	s_cbranch_execnz .LBB70_860
	s_branch .LBB70_861
.LBB70_1090:                            ;   in Loop: Header=BB70_3 Depth=1
	ds_load_b64 v[36:37], v54 offset:25536
	ds_load_b64 v[38:39], v50 offset:24968
	s_wait_dscnt 0x0
	v_dual_mul_f32 v0, v39, v37 :: v_dual_mul_f32 v37, v38, v37
	s_delay_alu instid0(VALU_DEP_1) | instskip(NEXT) | instid1(VALU_DEP_1)
	v_dual_fma_f32 v0, v38, v36, -v0 :: v_dual_fmac_f32 v37, v39, v36
	v_dual_add_f32 v35, v35, v0 :: v_dual_add_f32 v34, v34, v37
	s_or_b32 exec_lo, exec_lo, s7
	s_and_saveexec_b32 s7, s19
	s_cbranch_execz .LBB70_897
.LBB70_1091:                            ;   in Loop: Header=BB70_3 Depth=1
	ds_load_b64 v[36:37], v54 offset:26048
	ds_load_b64 v[38:39], v50 offset:24976
	s_wait_dscnt 0x0
	v_dual_mul_f32 v0, v39, v37 :: v_dual_mul_f32 v37, v38, v37
	s_delay_alu instid0(VALU_DEP_1) | instskip(NEXT) | instid1(VALU_DEP_1)
	v_dual_fma_f32 v0, v38, v36, -v0 :: v_dual_fmac_f32 v37, v39, v36
	v_dual_add_f32 v35, v35, v0 :: v_dual_add_f32 v34, v34, v37
	s_or_b32 exec_lo, exec_lo, s7
	s_and_saveexec_b32 s7, s20
	s_cbranch_execz .LBB70_898
.LBB70_1092:                            ;   in Loop: Header=BB70_3 Depth=1
	ds_load_b64 v[36:37], v54 offset:26560
	ds_load_b64 v[38:39], v50 offset:24984
	s_wait_dscnt 0x0
	v_dual_mul_f32 v0, v39, v37 :: v_dual_mul_f32 v37, v38, v37
	s_delay_alu instid0(VALU_DEP_1) | instskip(NEXT) | instid1(VALU_DEP_1)
	v_dual_fma_f32 v0, v38, v36, -v0 :: v_dual_fmac_f32 v37, v39, v36
	v_dual_add_f32 v35, v35, v0 :: v_dual_add_f32 v34, v34, v37
	s_or_b32 exec_lo, exec_lo, s7
	s_and_saveexec_b32 s7, s21
	s_cbranch_execz .LBB70_899
.LBB70_1093:                            ;   in Loop: Header=BB70_3 Depth=1
	ds_load_b64 v[36:37], v53 offset:27072
	ds_load_b64 v[38:39], v50 offset:24992
	s_wait_dscnt 0x0
	v_dual_mul_f32 v0, v39, v37 :: v_dual_mul_f32 v78, v38, v37
	s_delay_alu instid0(VALU_DEP_1) | instskip(NEXT) | instid1(VALU_DEP_1)
	v_dual_fma_f32 v79, v38, v36, -v0 :: v_dual_fmac_f32 v78, v39, v36
	v_pk_add_f32 v[34:35], v[34:35], v[78:79]
	s_or_b32 exec_lo, exec_lo, s7
	s_and_saveexec_b32 s7, s22
	s_cbranch_execz .LBB70_900
.LBB70_1094:                            ;   in Loop: Header=BB70_3 Depth=1
	ds_load_b64 v[36:37], v54 offset:27584
	ds_load_b64 v[38:39], v50 offset:25000
	s_wait_dscnt 0x0
	v_pk_mul_f32 v[78:79], v[38:39], v[36:37] op_sel:[0,1]
	s_delay_alu instid0(VALU_DEP_1) | instskip(SKIP_1) | instid1(VALU_DEP_2)
	v_pk_fma_f32 v[80:81], v[38:39], v[36:37], v[78:79] op_sel:[1,0,0] op_sel_hi:[0,0,1] neg_lo:[0,0,1] neg_hi:[0,0,1]
	v_pk_fma_f32 v[36:37], v[38:39], v[36:37], v[78:79] op_sel:[1,0,0] op_sel_hi:[0,1,1]
	v_mov_b32_e32 v37, v81
	s_delay_alu instid0(VALU_DEP_1)
	v_pk_add_f32 v[34:35], v[34:35], v[36:37]
	s_or_b32 exec_lo, exec_lo, s7
	s_and_saveexec_b32 s7, s2
	s_cbranch_execz .LBB70_901
.LBB70_1095:                            ;   in Loop: Header=BB70_3 Depth=1
	ds_load_b64 v[36:37], v53 offset:28096
	ds_load_b64 v[38:39], v50 offset:25008
	s_wait_dscnt 0x0
	v_pk_mul_f32 v[78:79], v[38:39], v[36:37] op_sel:[0,1]
	s_delay_alu instid0(VALU_DEP_1) | instskip(SKIP_1) | instid1(VALU_DEP_2)
	v_pk_fma_f32 v[80:81], v[38:39], v[36:37], v[78:79] op_sel:[1,0,0] op_sel_hi:[0,0,1] neg_lo:[0,0,1] neg_hi:[0,0,1]
	v_pk_fma_f32 v[36:37], v[38:39], v[36:37], v[78:79] op_sel:[1,0,0] op_sel_hi:[0,1,1]
	v_mov_b32_e32 v37, v81
	s_delay_alu instid0(VALU_DEP_1)
	v_pk_add_f32 v[34:35], v[34:35], v[36:37]
	s_or_b32 exec_lo, exec_lo, s7
	s_and_saveexec_b32 s7, s17
	s_cbranch_execnz .LBB70_902
	s_branch .LBB70_903
.LBB70_1096:                            ;   in Loop: Header=BB70_3 Depth=1
	ds_load_b64 v[36:37], v49 offset:29664
	ds_load_b64 v[38:39], v46 offset:29128
	s_wait_dscnt 0x0
	v_pk_mul_f32 v[78:79], v[38:39], v[36:37] op_sel:[0,1]
	s_delay_alu instid0(VALU_DEP_1) | instskip(SKIP_1) | instid1(VALU_DEP_2)
	v_pk_fma_f32 v[80:81], v[38:39], v[36:37], v[78:79] op_sel:[1,0,0] op_sel_hi:[0,0,1] neg_lo:[0,0,1] neg_hi:[0,0,1]
	v_pk_fma_f32 v[36:37], v[38:39], v[36:37], v[78:79] op_sel:[1,0,0] op_sel_hi:[0,1,1]
	v_mov_b32_e32 v37, v81
	s_delay_alu instid0(VALU_DEP_1)
	v_pk_add_f32 v[34:35], v[34:35], v[36:37]
	s_or_b32 exec_lo, exec_lo, s7
	s_and_saveexec_b32 s7, s17
	s_cbranch_execz .LBB70_955
.LBB70_1097:                            ;   in Loop: Header=BB70_3 Depth=1
	ds_load_b64 v[36:37], v48 offset:30176
	ds_load_b64 v[38:39], v46 offset:29136
	s_wait_dscnt 0x0
	v_pk_mul_f32 v[78:79], v[38:39], v[36:37] op_sel:[0,1]
	s_delay_alu instid0(VALU_DEP_1) | instskip(SKIP_1) | instid1(VALU_DEP_2)
	v_pk_fma_f32 v[80:81], v[38:39], v[36:37], v[78:79] op_sel:[1,0,0] op_sel_hi:[0,0,1] neg_lo:[0,0,1] neg_hi:[0,0,1]
	v_pk_fma_f32 v[36:37], v[38:39], v[36:37], v[78:79] op_sel:[1,0,0] op_sel_hi:[0,1,1]
	v_mov_b32_e32 v37, v81
	s_delay_alu instid0(VALU_DEP_1)
	v_pk_add_f32 v[34:35], v[34:35], v[36:37]
	s_or_b32 exec_lo, exec_lo, s7
	s_and_saveexec_b32 s7, s1
	s_cbranch_execnz .LBB70_956
	s_branch .LBB70_957
.LBB70_1098:
	s_endpgm
	.section	.rodata,"a",@progbits
	.p2align	6, 0x0
	.amdhsa_kernel _ZL19rocblas_trsv_deviceILi64ELi16ELb1ELb0ELb0ELb0E19rocblas_complex_numIfES1_PKS1_PS1_EviT7_lllT6_T8_lllPii
		.amdhsa_group_segment_fixed_size 41480
		.amdhsa_private_segment_fixed_size 48
		.amdhsa_kernarg_size 352
		.amdhsa_user_sgpr_count 2
		.amdhsa_user_sgpr_dispatch_ptr 0
		.amdhsa_user_sgpr_queue_ptr 0
		.amdhsa_user_sgpr_kernarg_segment_ptr 1
		.amdhsa_user_sgpr_dispatch_id 0
		.amdhsa_user_sgpr_kernarg_preload_length 0
		.amdhsa_user_sgpr_kernarg_preload_offset 0
		.amdhsa_user_sgpr_private_segment_size 0
		.amdhsa_wavefront_size32 1
		.amdhsa_uses_dynamic_stack 0
		.amdhsa_enable_private_segment 1
		.amdhsa_system_sgpr_workgroup_id_x 1
		.amdhsa_system_sgpr_workgroup_id_y 0
		.amdhsa_system_sgpr_workgroup_id_z 1
		.amdhsa_system_sgpr_workgroup_info 0
		.amdhsa_system_vgpr_workitem_id 1
		.amdhsa_next_free_vgpr 93
		.amdhsa_next_free_sgpr 105
		.amdhsa_named_barrier_count 0
		.amdhsa_reserve_vcc 1
		.amdhsa_float_round_mode_32 0
		.amdhsa_float_round_mode_16_64 0
		.amdhsa_float_denorm_mode_32 3
		.amdhsa_float_denorm_mode_16_64 3
		.amdhsa_fp16_overflow 0
		.amdhsa_memory_ordered 1
		.amdhsa_forward_progress 1
		.amdhsa_inst_pref_size 255
		.amdhsa_round_robin_scheduling 0
		.amdhsa_exception_fp_ieee_invalid_op 0
		.amdhsa_exception_fp_denorm_src 0
		.amdhsa_exception_fp_ieee_div_zero 0
		.amdhsa_exception_fp_ieee_overflow 0
		.amdhsa_exception_fp_ieee_underflow 0
		.amdhsa_exception_fp_ieee_inexact 0
		.amdhsa_exception_int_div_zero 0
	.end_amdhsa_kernel
	.section	.text._ZL19rocblas_trsv_deviceILi64ELi16ELb1ELb0ELb0ELb0E19rocblas_complex_numIfES1_PKS1_PS1_EviT7_lllT6_T8_lllPii,"axG",@progbits,_ZL19rocblas_trsv_deviceILi64ELi16ELb1ELb0ELb0ELb0E19rocblas_complex_numIfES1_PKS1_PS1_EviT7_lllT6_T8_lllPii,comdat
.Lfunc_end70:
	.size	_ZL19rocblas_trsv_deviceILi64ELi16ELb1ELb0ELb0ELb0E19rocblas_complex_numIfES1_PKS1_PS1_EviT7_lllT6_T8_lllPii, .Lfunc_end70-_ZL19rocblas_trsv_deviceILi64ELi16ELb1ELb0ELb0ELb0E19rocblas_complex_numIfES1_PKS1_PS1_EviT7_lllT6_T8_lllPii
                                        ; -- End function
	.set _ZL19rocblas_trsv_deviceILi64ELi16ELb1ELb0ELb0ELb0E19rocblas_complex_numIfES1_PKS1_PS1_EviT7_lllT6_T8_lllPii.num_vgpr, 93
	.set _ZL19rocblas_trsv_deviceILi64ELi16ELb1ELb0ELb0ELb0E19rocblas_complex_numIfES1_PKS1_PS1_EviT7_lllT6_T8_lllPii.num_agpr, 0
	.set _ZL19rocblas_trsv_deviceILi64ELi16ELb1ELb0ELb0ELb0E19rocblas_complex_numIfES1_PKS1_PS1_EviT7_lllT6_T8_lllPii.numbered_sgpr, 105
	.set _ZL19rocblas_trsv_deviceILi64ELi16ELb1ELb0ELb0ELb0E19rocblas_complex_numIfES1_PKS1_PS1_EviT7_lllT6_T8_lllPii.num_named_barrier, 0
	.set _ZL19rocblas_trsv_deviceILi64ELi16ELb1ELb0ELb0ELb0E19rocblas_complex_numIfES1_PKS1_PS1_EviT7_lllT6_T8_lllPii.private_seg_size, 48
	.set _ZL19rocblas_trsv_deviceILi64ELi16ELb1ELb0ELb0ELb0E19rocblas_complex_numIfES1_PKS1_PS1_EviT7_lllT6_T8_lllPii.uses_vcc, 1
	.set _ZL19rocblas_trsv_deviceILi64ELi16ELb1ELb0ELb0ELb0E19rocblas_complex_numIfES1_PKS1_PS1_EviT7_lllT6_T8_lllPii.uses_flat_scratch, 0
	.set _ZL19rocblas_trsv_deviceILi64ELi16ELb1ELb0ELb0ELb0E19rocblas_complex_numIfES1_PKS1_PS1_EviT7_lllT6_T8_lllPii.has_dyn_sized_stack, 0
	.set _ZL19rocblas_trsv_deviceILi64ELi16ELb1ELb0ELb0ELb0E19rocblas_complex_numIfES1_PKS1_PS1_EviT7_lllT6_T8_lllPii.has_recursion, 0
	.set _ZL19rocblas_trsv_deviceILi64ELi16ELb1ELb0ELb0ELb0E19rocblas_complex_numIfES1_PKS1_PS1_EviT7_lllT6_T8_lllPii.has_indirect_call, 0
	.section	.AMDGPU.csdata,"",@progbits
; Kernel info:
; codeLenInByte = 49396
; TotalNumSgprs: 107
; NumVgprs: 93
; ScratchSize: 48
; MemoryBound: 0
; FloatMode: 240
; IeeeMode: 1
; LDSByteSize: 41480 bytes/workgroup (compile time only)
; SGPRBlocks: 0
; VGPRBlocks: 5
; NumSGPRsForWavesPerEU: 107
; NumVGPRsForWavesPerEU: 93
; NamedBarCnt: 0
; Occupancy: 10
; WaveLimiterHint : 0
; COMPUTE_PGM_RSRC2:SCRATCH_EN: 1
; COMPUTE_PGM_RSRC2:USER_SGPR: 2
; COMPUTE_PGM_RSRC2:TRAP_HANDLER: 0
; COMPUTE_PGM_RSRC2:TGID_X_EN: 1
; COMPUTE_PGM_RSRC2:TGID_Y_EN: 0
; COMPUTE_PGM_RSRC2:TGID_Z_EN: 1
; COMPUTE_PGM_RSRC2:TIDIG_COMP_CNT: 1
	.section	.text._ZL19rocblas_trsv_deviceILi64ELi16ELb1ELb1ELb0ELb0E19rocblas_complex_numIfES1_PKS1_PS1_EviT7_lllT6_T8_lllPii,"axG",@progbits,_ZL19rocblas_trsv_deviceILi64ELi16ELb1ELb1ELb0ELb0E19rocblas_complex_numIfES1_PKS1_PS1_EviT7_lllT6_T8_lllPii,comdat
	.globl	_ZL19rocblas_trsv_deviceILi64ELi16ELb1ELb1ELb0ELb0E19rocblas_complex_numIfES1_PKS1_PS1_EviT7_lllT6_T8_lllPii ; -- Begin function _ZL19rocblas_trsv_deviceILi64ELi16ELb1ELb1ELb0ELb0E19rocblas_complex_numIfES1_PKS1_PS1_EviT7_lllT6_T8_lllPii
	.p2align	8
	.type	_ZL19rocblas_trsv_deviceILi64ELi16ELb1ELb1ELb0ELb0E19rocblas_complex_numIfES1_PKS1_PS1_EviT7_lllT6_T8_lllPii,@function
_ZL19rocblas_trsv_deviceILi64ELi16ELb1ELb1ELb0ELb0E19rocblas_complex_numIfES1_PKS1_PS1_EviT7_lllT6_T8_lllPii: ; @_ZL19rocblas_trsv_deviceILi64ELi16ELb1ELb1ELb0ELb0E19rocblas_complex_numIfES1_PKS1_PS1_EviT7_lllT6_T8_lllPii
; %bb.0:
	s_load_b32 s92, s[0:1], 0x58
	s_bfe_u32 s2, ttmp6, 0x40014
	s_lshr_b32 s3, ttmp7, 16
	s_add_co_i32 s2, s2, 1
	s_bfe_u32 s5, ttmp6, 0x40008
	s_mul_i32 s2, s3, s2
	s_getreg_b32 s4, hwreg(HW_REG_IB_STS2, 6, 4)
	s_add_co_i32 s5, s5, s2
	s_cmp_eq_u32 s4, 0
	s_mov_b32 s81, 0
	s_cselect_b32 s80, s3, s5
	s_wait_kmcnt 0x0
	s_cmp_ge_u32 s80, s92
	s_cbranch_scc1 .LBB71_1160
; %bb.1:
	s_clause 0x4
	s_load_b256 s[64:71], s[0:1], 0x8
	s_load_b256 s[72:79], s[0:1], 0x30
	s_load_b32 s5, s[0:1], 0x6c
	s_load_b32 s94, s[0:1], 0x60
	;; [unrolled: 1-line block ×3, first 2 shown]
	s_bfe_u32 s2, ttmp6, 0x4000c
	s_and_b32 s3, ttmp6, 15
	s_add_co_i32 s2, s2, 1
	s_clause 0x1
	s_load_b64 s[84:85], s[0:1], 0x50
	s_load_b64 s[18:19], s[0:1], 0x28
	s_mul_i32 s2, ttmp9, s2
                                        ; implicit-def: $vgpr102 : SGPR spill to VGPR lane
	v_and_b32_e32 v2, 0x3ff, v0
	s_add_co_i32 s6, s3, s2
	v_mov_b32_e32 v5, 0
	v_bfe_u32 v38, v0, 10, 10
	s_delay_alu instid0(VALU_DEP_3) | instskip(SKIP_1) | instid1(VALU_DEP_3)
	v_dual_lshrrev_b32 v12, 10, v0 :: v_dual_lshlrev_b32 v1, 6, v2
                                        ; implicit-def: $vgpr101 : SGPR spill to VGPR lane
	v_mul_i32_i24_e32 v48, 0xfffffe08, v2
	v_dual_mov_b32 v3, v5 :: v_dual_add_nc_u32 v26, 16, v38
	s_wait_kmcnt 0x0
	s_lshl_b64 s[0:1], s[66:67], 3
	s_lshl_b64 s[2:3], s[74:75], 3
	s_cmp_eq_u32 s4, 0
	s_add_nc_u64 s[0:1], s[64:65], s[0:1]
	s_cselect_b32 s93, ttmp9, s6
	s_and_b32 s4, s5, 0xffff
	s_add_co_i32 s5, s82, -1
	s_ashr_i32 s83, s82, 31
	s_ashr_i32 s6, s5, 31
	s_lshr_b32 s7, s83, 26
	s_lshr_b32 s6, s6, 26
	s_add_co_i32 s7, s82, s7
	s_add_co_i32 s94, s94, -1
	s_add_co_i32 s5, s5, s6
	s_and_not1_b32 s7, s7, 63
	s_sub_co_i32 s15, s94, s93
	s_ashr_i32 s5, s5, 6
	s_sub_co_i32 s9, s82, s7
	s_cmp_eq_u32 s5, s15
	v_add_nc_u32_e32 v10, v38, v1
	s_cselect_b32 s5, -1, 0
	s_cmp_lg_u32 s9, 0
	v_lshl_add_u32 v30, v38, 6, v2
	s_cselect_b32 s6, -1, 0
	v_lshl_add_u32 v11, v26, 6, v2
	s_and_b32 s16, s6, s5
	s_add_nc_u64 s[6:7], s[68:69], 1
	s_xor_b32 s95, s16, -1
	s_cmp_lg_u32 s93, 0
	v_bitop3_b32 v31, v0, v12, 0x3ff bitop3:0xa8
	s_cselect_b32 s5, -1, 0
	s_lshl_b32 s10, s15, 6
	v_writelane_b32 v102, s5, 0
	v_add_nc_u32_e32 v16, s10, v2
	v_add_nc_u32_e32 v20, s10, v38
	v_mad_nc_u64_u32 v[18:19], s6, s10, v[2:3]
	s_cmp_lt_i32 s93, 5
	v_writelane_b32 v102, s0, 1
	v_ashrrev_i32_e32 v17, 31, v16
	v_add_nc_u32_e32 v6, 64, v20
	s_cselect_b32 vcc_lo, -1, 0
	s_delay_alu instid0(SALU_CYCLE_1)
	v_dual_cndmask_b32 v21, v30, v10, vcc_lo :: v_dual_bitop2_b32 v13, 1, v0 bitop3:0x40
	v_writelane_b32 v102, s1, 2
	s_add_nc_u64 s[0:1], s[72:73], s[2:3]
	v_dual_ashrrev_i32 v7, 31, v6 :: v_dual_add_nc_u32 v3, v26, v1
	s_ashr_i32 s11, s10, 31
	v_writelane_b32 v102, s0, 3
	s_or_b32 vcc_lo, vcc_lo, s16
	v_cmp_eq_u32_e64 s2, 1, v13
	v_dual_cndmask_b32 v22, v11, v3, vcc_lo :: v_dual_lshrrev_b32 v10, 1, v30
	v_writelane_b32 v102, s1, 4
	s_mul_i32 s0, s6, s11
	s_mul_i32 s1, s7, s10
	v_dual_lshlrev_b32 v11, 3, v13 :: v_dual_lshlrev_b32 v41, 3, v2
	v_add3_u32 v19, s0, s1, v19
	v_cmp_gt_u32_e64 s0, 4, v30
	s_xor_b32 s1, s2, -1
	v_lshl_or_b32 v39, v10, 9, v11
	v_dual_lshrrev_b32 v11, 2, v30 :: v_dual_bitop2_b32 v12, 3, v0 bitop3:0x40
	s_and_b32 s98, s1, s0
	v_cmp_eq_u32_e64 s1, 0, v38
	v_cmp_gt_u32_e64 s3, 2, v2
	s_and_b32 s99, s2, s0
	v_dual_lshlrev_b32 v13, 3, v11 :: v_dual_lshlrev_b32 v43, 3, v12
	v_mul_u32_u24_e32 v42, 0x208, v11
	s_and_b32 s100, s1, s3
	v_cmp_gt_u32_e64 s2, 16, v30
	v_cmp_eq_u32_e64 s3, 0, v12
	v_mad_u32_u24 v4, v38, s4, v2
	v_sub_nc_u32_e32 v14, v42, v13
	v_cmp_ne_u32_e64 s4, 0, v12
	v_lshl_or_b32 v46, v11, 9, v43
	s_and_b32 s101, s3, s2
	v_cmp_eq_u32_e64 s3, 1, v12
	v_cmp_lt_u32_e64 s5, 1, v12
	v_cmp_eq_u32_e64 s6, 2, v12
	s_and_b32 s102, s4, s2
	v_cmp_eq_u32_e64 s4, 3, v12
	s_and_b32 s103, s3, s2
	v_dual_lshrrev_b32 v11, 3, v30 :: v_dual_add_nc_u32 v47, v14, v43
	v_and_b32_e32 v12, 7, v0
	v_cmp_gt_u32_e64 s3, 4, v2
	s_and_b32 s104, s5, s2
	s_and_b32 s39, s4, s2
	v_add_nc_u32_e32 v27, 32, v38
	v_cmp_eq_u32_e64 s4, 0, v12
	s_and_b32 s40, s1, s3
	v_cmp_gt_u32_e64 s3, 64, v30
	v_cmp_ne_u32_e64 s5, 0, v12
	v_mul_u32_u24_e32 v52, 0x208, v11
	v_lshl_add_u32 v15, v27, 6, v2
	v_add_nc_u32_e32 v45, 0x8000, v13
	s_and_b32 s41, s4, s3
	s_and_b32 s42, s5, s3
	v_cmp_lt_u32_e64 s4, 1, v12
	v_cmp_eq_u32_e64 s5, 2, v12
	v_dual_lshlrev_b32 v53, 3, v12 :: v_dual_bitop2_b32 v13, -8, v30 bitop3:0x40
	s_and_b32 vcc_hi, s6, s2
	s_and_b32 s44, s4, s3
	v_cmp_lt_u32_e64 s4, 3, v12
	s_and_b32 s45, s5, s3
	v_cmp_eq_u32_e64 s5, 4, v12
	v_sub_nc_u32_e32 v14, v52, v13
	v_cmp_eq_u32_e64 s6, 1, v12
	s_and_b32 s48, s4, s3
	v_cmp_lt_u32_e64 s4, 4, v12
	s_and_b32 s49, s5, s3
	v_cmp_eq_u32_e64 s5, 6, v12
	v_lshl_or_b32 v56, v11, 9, v53
	s_and_b32 s43, s6, s3
	v_cmp_lt_u32_e64 s6, 2, v12
	s_and_b32 s50, s4, s3
	s_and_b32 s53, s5, s3
	v_dual_lshrrev_b32 v11, 4, v30 :: v_dual_add_nc_u32 v57, v14, v53
	v_and_b32_e32 v14, 15, v0
	v_cmp_eq_u32_e64 s4, 7, v12
	v_cmp_gt_u32_e64 s5, 8, v2
	s_and_b32 s46, s6, s3
	v_cmp_eq_u32_e64 s6, 5, v12
	v_cmp_eq_u32_e64 s7, 3, v12
	s_and_b32 s54, s4, s3
	s_and_b32 s55, s1, s5
	v_cmp_gt_u32_e64 s4, 0x100, v30
	v_cmp_eq_u32_e64 s5, 0, v14
	s_and_b32 s51, s6, s3
	v_cmp_ne_u32_e64 s6, 0, v14
	s_and_b32 s47, s7, s3
	v_cmp_lt_u32_e64 s7, 5, v12
	s_and_b32 s5, s5, s4
	v_cmp_eq_u32_e64 s8, 2, v14
	v_writelane_b32 v102, s5, 5
	v_cmp_eq_u32_e64 s5, 1, v14
	s_and_b32 s6, s6, s4
	s_and_b32 s52, s7, s3
	v_cmp_lt_u32_e64 s7, 1, v14
	v_writelane_b32 v102, s6, 6
	s_and_b32 s5, s5, s4
	v_cmp_lt_u32_e64 s6, 2, v14
	v_dual_lshlrev_b32 v12, 3, v11 :: v_dual_lshlrev_b32 v63, 3, v14
	v_writelane_b32 v102, s5, 7
	s_and_b32 s5, s7, s4
	s_and_b32 s61, s6, s4
	v_cmp_lt_u32_e64 s6, 3, v14
	v_mul_u32_u24_e32 v61, 0x208, v11
	v_writelane_b32 v102, s5, 8
	s_and_b32 s5, s8, s4
	v_dual_mov_b32 v28, 0 :: v_dual_add_nc_u32 v55, 0x8000, v13
	s_and_b32 s63, s6, s4
	v_writelane_b32 v102, s5, 9
	v_cmp_eq_u32_e64 s5, 3, v14
	v_cmp_lt_u32_e64 s6, 5, v14
	v_dual_sub_nc_u32 v13, v61, v12 :: v_dual_add_nc_u32 v32, 48, v38
	v_cmp_eq_u32_e64 s7, 4, v14
	s_and_b32 s62, s5, s4
	v_cmp_eq_u32_e64 s5, 5, v14
	s_and_b32 s13, s6, s4
	v_cmp_lt_u32_e64 s6, 7, v14
	v_lshl_or_b32 v65, v11, 9, v63
	v_dual_add_nc_u32 v66, v13, v63 :: v_dual_add_nc_u32 v11, v27, v1
	s_and_b32 s12, s5, s4
	v_cmp_eq_u32_e64 s5, 6, v14
	s_and_b32 s29, s6, s4
	v_cmp_lt_u32_e64 s6, 8, v14
	v_add_nc_u32_e32 v1, v32, v1
	v_lshl_add_u32 v23, v32, 6, v2
	s_and_b32 s23, s5, s4
	v_cmp_eq_u32_e64 s5, 8, v14
	v_cmp_lt_u32_e64 s8, 4, v14
	s_and_b32 s64, s7, s4
	v_cmp_lt_u32_e64 s7, 6, v14
	s_xor_b32 s97, vcc_lo, -1
	v_dual_cndmask_b32 v23, v23, v1 :: v_dual_add_nc_u32 v64, 0x8000, v12
	s_and_b32 s31, s5, s4
	v_cmp_eq_u32_e64 s5, 10, v14
	s_and_b32 s34, s6, s4
	v_cmp_lt_u32_e64 s6, 10, v14
	v_cndmask_b32_e32 v24, v15, v11, vcc_lo
	v_cmp_eq_u32_e32 vcc_lo, 14, v14
	s_and_b32 s65, s8, s4
	v_cmp_eq_u32_e64 s8, 7, v14
	s_and_b32 s25, s7, s4
	v_cmp_eq_u32_e64 s7, 9, v14
	;; [unrolled: 2-line block ×3, first 2 shown]
	s_and_b32 s87, s6, s4
	v_cmp_lt_u32_e64 s6, 12, v14
	s_and_b32 s30, vcc_lo, s4
	v_cmp_gt_u32_e32 vcc_lo, 16, v2
	s_and_b32 s27, s8, s4
	v_cmp_lt_u32_e64 s8, 9, v14
	s_and_b32 s88, s7, s4
	v_cmp_lt_u32_e64 s7, 11, v14
	v_cmp_le_i32_e64 s14, s9, v2
	s_and_b32 s38, s5, s4
	v_add_nc_u64_e32 v[12:13], s[10:11], v[4:5]
	v_cmp_eq_u32_e64 s5, 13, v14
	s_and_b32 s11, s6, s4
	v_cmp_eq_u32_e64 s6, 15, v14
	s_and_b32 s96, s1, vcc_lo
	v_cmp_gt_u32_e32 vcc_lo, 32, v2
	s_and_b32 s89, s8, s4
	v_cmp_eq_u32_e64 s8, 12, v14
	s_and_b32 s24, s7, s4
	v_cmp_lt_u32_e64 s7, 13, v14
	s_and_b32 s74, s14, s16
	s_and_b32 s26, s5, s4
	;; [unrolled: 1-line block ×3, first 2 shown]
	s_xor_b32 s5, s74, -1
	s_and_b32 s6, s1, vcc_lo
	v_cmp_gt_i32_e32 vcc_lo, s9, v2
	s_and_b32 s10, s8, s4
	s_and_b32 s28, s7, s4
	v_writelane_b32 v102, s6, 10
	s_and_b32 s75, s1, s5
	s_xor_b32 s16, s19, 0x80000000
	s_cmp_gt_i32 s93, 0
	v_add_nc_u32_e32 v25, 0x50, v20
	s_cselect_b32 s72, -1, 0
	s_and_b32 s5, s1, vcc_lo
	v_cmp_gt_i32_e32 vcc_lo, s82, v6
	v_writelane_b32 v102, s5, 11
	v_cmp_gt_i32_e64 s5, s82, v16
	v_add_max_i32_e64 v34, 0x70, v20, v16
	v_add_nc_u32_e32 v20, 0x60, v20
	s_add_co_i32 s73, s15, 1
	v_cmp_ne_u32_e64 s17, v2, v26
	s_and_b32 s6, vcc_lo, s5
	v_cmp_gt_i32_e32 vcc_lo, s82, v25
	v_writelane_b32 v102, s6, 12
	v_cmp_ne_u32_e64 s20, v2, v27
	v_cmp_ne_u32_e64 s21, v2, v32
	v_mad_u32_u24 v44, 0x1f8, v2, v41
	s_and_b32 s6, vcc_lo, s5
	v_cmp_gt_i32_e32 vcc_lo, s82, v20
	v_writelane_b32 v102, s6, 13
	v_cmp_gt_u32_e64 s35, 0xf0, v30
	v_mad_i32_i24 v49, 0xfffffe08, v2, v44
	v_mul_lo_u32 v1, v48, 6
	s_and_b32 s6, vcc_lo, s5
	v_cmp_le_i32_e32 vcc_lo, s9, v38
	v_writelane_b32 v102, s6, 14
	v_cmp_le_u32_e64 s6, v2, v38
	v_mad_u32_u24 v50, 0x1f8, v2, v49
	v_lshl_add_u32 v3, v10, 3, 0x8000
	s_or_b32 s7, vcc_lo, s14
	v_cmp_le_i32_e32 vcc_lo, s9, v26
	s_or_b32 s7, s7, s6
	v_mad_i32_i24 v51, 0xfffffe08, v2, v50
	v_writelane_b32 v102, s7, 15
	v_cmp_le_u32_e64 s7, v2, v26
	s_or_b32 s8, vcc_lo, s14
	v_cmp_le_i32_e32 vcc_lo, s9, v27
	v_mad_u32_u24 v54, 0x1f8, v2, v51
	v_mul_u32_u24_e32 v40, 0x208, v10
	s_or_b32 s8, s8, s7
	v_mul_u32_u24_e32 v10, 0x1f8, v2
	v_writelane_b32 v102, s8, 16
	v_cmp_le_u32_e64 s8, v2, v27
	s_or_b32 s15, vcc_lo, s14
	v_cmp_le_i32_e32 vcc_lo, s9, v32
	v_mad_i32_i24 v58, 0xfffffe08, v2, v54
	v_dual_lshlrev_b32 v75, 3, v23 :: v_dual_lshlrev_b32 v20, 3, v38
	s_or_b32 s9, s15, s8
	s_or_b32 s15, vcc_lo, s14
	v_writelane_b32 v102, s9, 17
	v_cmp_le_u32_e64 s9, v2, v32
	v_mad_u32_u24 v59, 0x1f8, v2, v58
	v_mad_u32 v1, v10, 7, v1
	v_or_b32_e32 v78, 0xa000, v20
	v_dual_lshrrev_b32 v11, 5, v30 :: v_dual_bitop2_b32 v67, 31, v0 bitop3:0x40
	s_or_b32 s15, s15, s9
	v_mad_i32_i24 v60, 0xfffffe08, v2, v59
	v_writelane_b32 v102, s15, 18
	v_cmp_ne_u32_e64 s15, v2, v38
	v_mul_u32_u24_e32 v0, 0x1f0, v2
	v_lshlrev_b32_e32 v72, 3, v21
	v_mad_u32_u24 v62, 0x1f8, v2, v60
	v_dual_lshlrev_b32 v73, 3, v22 :: v_dual_lshlrev_b32 v74, 3, v24
	v_writelane_b32 v102, s15, 19
	s_or_b32 s15, s14, s15
	s_delay_alu instid0(VALU_DEP_3)
	v_mad_i32_i24 v70, 0xfffffe08, v2, v62
	v_sub_nc_u32_e32 v33, v1, v0
	v_cmp_le_i32_e64 s57, s82, v34
	v_writelane_b32 v102, s15, 20
	s_or_b32 s15, s14, s17
	v_mad_u32_u24 v71, 0x1f8, v2, v70
	v_mul_u64_e32 v[8:9], s[68:69], v[16:17]
	v_mul_u64_e32 v[0:1], s[76:77], v[16:17]
	v_writelane_b32 v102, s17, 21
	s_mov_b32 s17, s19
	s_mov_b32 s19, s18
	v_mad_i32_i24 v76, 0xfffffe08, v2, v71
	v_mad_nc_u64_u32 v[14:15], s68, v26, v[18:19]
	v_writelane_b32 v102, s15, 22
	s_or_b32 s15, s14, s20
	s_or_b32 s14, s14, s21
	v_mad_u32_u24 v77, 0x1f8, v2, v76
	v_mad_nc_u64_u32 v[16:17], s68, v27, v[18:19]
	v_writelane_b32 v102, s20, 23
	v_dual_lshlrev_b32 v81, 3, v67 :: v_dual_bitop2_b32 v35, v26, v2 bitop3:0x54
	s_delay_alu instid0(VALU_DEP_4)
	v_add_nc_u32_e32 v79, v77, v20
	v_mbcnt_lo_u32_b32 v20, -1, 0
	v_writelane_b32 v102, s15, 24
	v_or_b32_e32 v36, v27, v2
	v_mad_u32 v15, s69, v26, v15
	v_dual_lshlrev_b32 v68, 3, v11 :: v_dual_lshlrev_b32 v69, 9, v11
	v_writelane_b32 v102, s21, 25
	v_lshlrev_b32_e32 v29, 20, v20
	v_mad_u32 v17, s69, v27, v17
	v_mul_u64_e32 v[10:11], s[76:77], v[12:13]
                                        ; implicit-def: $vgpr100 : SGPR spill to VGPR lane
	v_mad_nc_u64_u32 v[12:13], s68, v38, v[18:19]
	v_writelane_b32 v102, s14, 26
	v_add_nc_u64_e32 v[20:21], src_flat_scratch_base_lo, v[28:29]
	v_mov_b32_e32 v28, 8
	v_mad_nc_u64_u32 v[18:19], s68, v32, v[18:19]
	v_cmp_lt_u32_e32 vcc_lo, 0x3ff, v30
	v_writelane_b32 v102, s16, 27
	v_add_nc_u32_e32 v80, 0x8000, v68
	v_add_nc_u64_e32 v[22:23], src_flat_scratch_base_lo, v[28:29]
	v_mov_b32_e32 v28, 16
	v_add_nc_u32_e32 v82, 0x7c00, v33
	v_writelane_b32 v102, s17, 28
	v_mad_u32 v13, s69, v38, v13
	v_or_b32_e32 v84, v69, v81
	v_add_nc_u64_e32 v[24:25], src_flat_scratch_base_lo, v[28:29]
	v_mov_b32_e32 v28, 24
	v_writelane_b32 v102, s18, 29
	v_mad_u32 v19, s69, v32, v19
	v_lshl_add_u32 v85, v4, 3, 0xa000
	v_lshl_add_u32 v86, v30, 3, 0x8000
	v_add_nc_u64_e32 v[26:27], src_flat_scratch_base_lo, v[28:29]
	v_writelane_b32 v102, s19, 30
	v_dual_lshlrev_b32 v28, 9, v67 :: v_dual_bitop2_b32 v37, v32, v2 bitop3:0x54
	v_add_nc_u32_e32 v87, 0x8000, v41
	v_lshl_add_u32 v88, v38, 9, v70
	v_writelane_b32 v102, s35, 31
	v_cmp_gt_u32_e64 s35, 0xe0, v30
	v_add_nc_u32_e32 v83, v81, v28
	v_mov_b64_e32 v[28:29], 0
	v_add_nc_u32_e32 v89, v78, v41
	v_or_b32_e32 v90, 0x4100, v81
	v_writelane_b32 v101, s35, 0
	v_cmp_gt_u32_e64 s35, 0xd0, v30
	v_subrev_nc_u32_e32 v91, 63, v2
	v_cmp_eq_u32_e64 s14, 0, v31
	v_cmp_gt_u32_e64 s15, 2, v30
	v_cmp_gt_u32_e64 s16, 12, v30
	v_writelane_b32 v101, s35, 1
	v_cmp_gt_u32_e64 s35, 0xc0, v30
	v_cmp_gt_u32_e64 s17, 8, v30
	;; [unrolled: 1-line block ×5, first 2 shown]
	v_writelane_b32 v101, s35, 2
	v_cmp_gt_u32_e64 s35, 0xb0, v30
	v_cmp_gt_u32_e64 s21, 32, v30
	;; [unrolled: 1-line block ×3, first 2 shown]
	v_cmp_eq_u32_e64 s36, 0, v4
	v_cmp_gt_u32_e64 s37, 64, v4
	v_writelane_b32 v101, s35, 3
	v_cmp_gt_u32_e64 s35, 0xa0, v30
	s_xor_b32 s56, vcc_lo, -1
	v_writelane_b32 v101, s35, 4
	v_cmp_gt_u32_e64 s35, 0x90, v30
	s_delay_alu instid0(VALU_DEP_1) | instskip(SKIP_1) | instid1(VALU_DEP_1)
	v_writelane_b32 v101, s35, 5
	v_cmp_gt_u32_e64 s35, 0x80, v30
	v_writelane_b32 v101, s35, 6
	v_cmp_gt_u32_e64 s35, 0x70, v30
	s_delay_alu instid0(VALU_DEP_1) | instskip(SKIP_1) | instid1(VALU_DEP_1)
	v_writelane_b32 v101, s35, 7
	v_cmp_gt_u32_e64 s35, 0x60, v30
	v_writelane_b32 v101, s35, 8
	v_cmp_gt_u32_e64 s35, 0x50, v30
	s_delay_alu instid0(VALU_DEP_1) | instskip(SKIP_3) | instid1(VALU_DEP_1)
	v_writelane_b32 v101, s35, 9
	v_cmp_gt_u32_e64 s35, 0x400, v30
	v_writelane_b32 v101, s57, 10
	v_cmp_gt_u32_e64 s57, 64, v31
	;; [unrolled: 2-line block ×3, first 2 shown]
	s_delay_alu instid0(VALU_DEP_1) | instskip(SKIP_1) | instid1(VALU_DEP_1)
	v_writelane_b32 v101, s57, 12
	v_cmp_gt_u32_e64 s57, 64, v36
	v_writelane_b32 v101, s57, 13
	v_cmp_gt_u32_e64 s57, 64, v37
	s_delay_alu instid0(VALU_DEP_1) | instskip(SKIP_1) | instid1(VALU_DEP_1)
	v_writelane_b32 v101, s57, 14
	v_cmp_gt_u32_e64 s57, 0x3e0, v30
	v_writelane_b32 v101, s57, 15
	v_cmp_gt_u32_e64 s57, 0x3c0, v30
	;; [unrolled: 5-line block ×12, first 2 shown]
	s_delay_alu instid0(VALU_DEP_1) | instskip(SKIP_1) | instid1(VALU_DEP_1)
	v_writelane_b32 v100, s57, 4
	v_cmp_gt_u32_e64 s57, 0x120, v30
	v_writelane_b32 v100, s57, 5
	s_branch .LBB71_3
.LBB71_2:                               ;   in Loop: Header=BB71_3 Depth=1
	s_wait_xcnt 0x0
	s_or_b32 exec_lo, exec_lo, s57
	s_add_co_i32 s80, s80, 0x10000
	global_wb scope:SCOPE_DEV
	s_wait_storecnt 0x0
	global_inv scope:SCOPE_DEV
	s_cmp_lt_u32 s80, s92
	s_cbranch_scc0 .LBB71_1160
.LBB71_3:                               ; =>This Loop Header: Depth=1
                                        ;     Child Loop BB71_571 Depth 2
                                        ;     Child Loop BB71_1011 Depth 2
                                        ;       Child Loop BB71_1013 Depth 3
                                        ;     Child Loop BB71_1042 Depth 2
	v_readlane_b32 s58, v102, 1
	v_readlane_b32 s59, v102, 2
	s_mul_u64 s[66:67], s[70:71], s[80:81]
	v_readlane_b32 s57, v102, 0
	s_lshl_b64 s[66:67], s[66:67], 3
	s_delay_alu instid0(SALU_CYCLE_1)
	s_add_nc_u64 s[66:67], s[58:59], s[66:67]
	s_and_not1_b32 vcc_lo, exec_lo, s57
	v_lshl_add_u64 v[30:31], v[8:9], 3, s[66:67]
	s_cbranch_vccnz .LBB71_15
; %bb.4:                                ;   in Loop: Header=BB71_3 Depth=1
	s_delay_alu instid0(VALU_DEP_1)
	v_lshl_add_u64 v[32:33], v[6:7], 3, v[30:31]
	v_dual_mov_b32 v34, 0 :: v_dual_mov_b32 v36, 0
	v_mov_b32_e32 v37, 0
	s_barrier_signal -1
	s_barrier_wait -1
	s_mov_b32 s57, exec_lo
	v_readlane_b32 s58, v102, 12
	s_and_b32 s58, s57, s58
	s_delay_alu instid0(SALU_CYCLE_1)
	s_mov_b32 exec_lo, s58
	s_cbranch_execz .LBB71_6
; %bb.5:                                ;   in Loop: Header=BB71_3 Depth=1
	global_load_b64 v[36:37], v[32:33], off
.LBB71_6:                               ;   in Loop: Header=BB71_3 Depth=1
	s_wait_xcnt 0x0
	s_or_b32 exec_lo, exec_lo, s57
	v_mov_b32_e32 v35, 0
	s_wait_loadcnt 0x0
	scratch_store_b64 off, v[36:37], off
	s_wait_storecnt 0x0
	s_barrier_signal -1
	s_barrier_wait -1
	s_wait_xcnt 0x0
	s_mov_b32 s57, exec_lo
	v_readlane_b32 s58, v102, 13
	s_and_b32 s58, s57, s58
	s_delay_alu instid0(SALU_CYCLE_1)
	s_mov_b32 exec_lo, s58
	s_cbranch_execz .LBB71_8
; %bb.7:                                ;   in Loop: Header=BB71_3 Depth=1
	global_load_b64 v[34:35], v[32:33], off offset:128
.LBB71_8:                               ;   in Loop: Header=BB71_3 Depth=1
	s_wait_xcnt 0x0
	s_or_b32 exec_lo, exec_lo, s57
	s_wait_loadcnt 0x0
	scratch_store_b64 off, v[34:35], off offset:8
	s_wait_xcnt 0x0
	v_dual_mov_b32 v34, 0 :: v_dual_mov_b32 v35, 0
	s_wait_storecnt 0x0
	s_barrier_signal -1
	s_barrier_wait -1
	s_mov_b32 s57, exec_lo
	v_readlane_b32 s58, v102, 14
	s_and_b32 s58, s57, s58
	s_delay_alu instid0(SALU_CYCLE_1)
	s_mov_b32 exec_lo, s58
	s_cbranch_execz .LBB71_10
; %bb.9:                                ;   in Loop: Header=BB71_3 Depth=1
	global_load_b64 v[34:35], v[32:33], off offset:256
.LBB71_10:                              ;   in Loop: Header=BB71_3 Depth=1
	s_wait_xcnt 0x0
	s_or_b32 exec_lo, exec_lo, s57
	s_wait_loadcnt 0x0
	scratch_store_b64 off, v[34:35], off offset:16
	s_wait_storecnt 0x0
	s_barrier_signal -1
	s_barrier_wait -1
	s_wait_xcnt 0x0
	s_mov_b32 s57, exec_lo
	v_readlane_b32 s58, v101, 10
	s_and_b32 s58, s57, s58
	s_delay_alu instid0(SALU_CYCLE_1)
	s_xor_b32 s57, s58, s57
	s_mov_b32 exec_lo, s58
	s_cbranch_execz .LBB71_12
; %bb.11:                               ;   in Loop: Header=BB71_3 Depth=1
	scratch_store_b64 off, v[28:29], off offset:24
                                        ; implicit-def: $vgpr32_vgpr33
.LBB71_12:                              ;   in Loop: Header=BB71_3 Depth=1
	s_wait_xcnt 0x0
	s_and_not1_saveexec_b32 s57, s57
	s_cbranch_execz .LBB71_14
; %bb.13:                               ;   in Loop: Header=BB71_3 Depth=1
	global_load_b64 v[32:33], v[32:33], off offset:384
	s_wait_loadcnt 0x0
	scratch_store_b64 off, v[32:33], off offset:24
.LBB71_14:                              ;   in Loop: Header=BB71_3 Depth=1
	s_wait_xcnt 0x0
	s_or_b32 exec_lo, exec_lo, s57
.LBB71_15:                              ;   in Loop: Header=BB71_3 Depth=1
	s_delay_alu instid0(SALU_CYCLE_1)
	s_and_not1_b32 vcc_lo, exec_lo, s95
	s_mov_b32 s57, -1
	s_cbranch_vccnz .LBB71_26
; %bb.16:                               ;   in Loop: Header=BB71_3 Depth=1
	s_and_saveexec_b32 s57, s6
	s_delay_alu instid0(SALU_CYCLE_1)
	s_xor_b32 s68, exec_lo, s57
	s_cbranch_execnz .LBB71_1056
; %bb.17:                               ;   in Loop: Header=BB71_3 Depth=1
	s_and_not1_saveexec_b32 s57, s68
	s_cbranch_execnz .LBB71_1067
.LBB71_18:                              ;   in Loop: Header=BB71_3 Depth=1
	s_or_b32 exec_lo, exec_lo, s57
	s_and_saveexec_b32 s57, s7
	s_delay_alu instid0(SALU_CYCLE_1)
	s_xor_b32 s68, exec_lo, s57
	s_cbranch_execnz .LBB71_1068
.LBB71_19:                              ;   in Loop: Header=BB71_3 Depth=1
	s_and_not1_saveexec_b32 s57, s68
	s_cbranch_execnz .LBB71_1079
.LBB71_20:                              ;   in Loop: Header=BB71_3 Depth=1
	s_or_b32 exec_lo, exec_lo, s57
	s_and_saveexec_b32 s57, s8
	s_delay_alu instid0(SALU_CYCLE_1)
	s_xor_b32 s68, exec_lo, s57
	s_cbranch_execnz .LBB71_1080
.LBB71_21:                              ;   in Loop: Header=BB71_3 Depth=1
	s_and_not1_saveexec_b32 s57, s68
	s_cbranch_execnz .LBB71_1091
.LBB71_22:                              ;   in Loop: Header=BB71_3 Depth=1
	s_or_b32 exec_lo, exec_lo, s57
	s_and_saveexec_b32 s57, s9
	s_delay_alu instid0(SALU_CYCLE_1)
	s_xor_b32 s68, exec_lo, s57
	s_cbranch_execnz .LBB71_1092
.LBB71_23:                              ;   in Loop: Header=BB71_3 Depth=1
	s_and_not1_saveexec_b32 s57, s68
	s_cbranch_execz .LBB71_25
.LBB71_24:                              ;   in Loop: Header=BB71_3 Depth=1
	v_lshl_add_u64 v[32:33], v[18:19], 3, s[66:67]
	global_load_b64 v[32:33], v[32:33], off
	s_wait_loadcnt 0x0
	s_wait_xcnt 0x0
	v_pk_add_f32 v[32:33], v[32:33], 0 neg_lo:[1,1] neg_hi:[1,1]
	ds_store_b64 v75, v[32:33]
.LBB71_25:                              ;   in Loop: Header=BB71_3 Depth=1
	s_or_b32 exec_lo, exec_lo, s57
	s_mov_b32 s57, 0
.LBB71_26:                              ;   in Loop: Header=BB71_3 Depth=1
	s_delay_alu instid0(SALU_CYCLE_1)
	s_and_b32 vcc_lo, exec_lo, s57
	s_cbranch_vccz .LBB71_84
; %bb.27:                               ;   in Loop: Header=BB71_3 Depth=1
	s_mov_b32 s57, exec_lo
	v_readlane_b32 s58, v102, 15
	s_and_b32 s58, s57, s58
	s_delay_alu instid0(SALU_CYCLE_1)
	s_xor_b32 s68, s58, s57
	s_mov_b32 exec_lo, s58
	s_cbranch_execz .LBB71_39
; %bb.28:                               ;   in Loop: Header=BB71_3 Depth=1
	s_mov_b32 s57, exec_lo
	v_readlane_b32 s58, v102, 20
	s_and_b32 s58, s57, s58
	s_delay_alu instid0(SALU_CYCLE_1)
	s_xor_b32 s57, s58, s57
	s_mov_b32 exec_lo, s58
	s_cbranch_execz .LBB71_32
; %bb.29:                               ;   in Loop: Header=BB71_3 Depth=1
	v_readlane_b32 s59, v101, 11
	s_and_saveexec_b32 s58, s59
; %bb.30:                               ;   in Loop: Header=BB71_3 Depth=1
	ds_store_b64 v79, v[28:29]
; %bb.31:                               ;   in Loop: Header=BB71_3 Depth=1
	s_or_b32 exec_lo, exec_lo, s58
.LBB71_32:                              ;   in Loop: Header=BB71_3 Depth=1
	s_and_not1_saveexec_b32 s69, s57
	s_cbranch_execz .LBB71_38
; %bb.33:                               ;   in Loop: Header=BB71_3 Depth=1
	v_lshl_add_u64 v[32:33], v[12:13], 3, s[66:67]
                                        ; implicit-def: $vgpr34_vgpr35
	global_load_b64 v[32:33], v[32:33], off
	s_wait_loadcnt 0x0
	v_cmp_ngt_f32_e64 s57, |v32|, |v33|
	s_wait_xcnt 0x0
	s_and_saveexec_b32 s58, s57
	s_delay_alu instid0(SALU_CYCLE_1)
	s_xor_b32 s57, exec_lo, s58
	s_cbranch_execz .LBB71_35
; %bb.34:                               ;   in Loop: Header=BB71_3 Depth=1
	v_div_scale_f32 v34, null, v33, v33, v32
	v_div_scale_f32 v37, vcc_lo, v32, v33, v32
	s_delay_alu instid0(VALU_DEP_2) | instskip(SKIP_1) | instid1(TRANS32_DEP_1)
	v_rcp_f32_e32 v35, v34
	v_nop
	v_fma_f32 v36, -v34, v35, 1.0
	s_delay_alu instid0(VALU_DEP_1) | instskip(NEXT) | instid1(VALU_DEP_1)
	v_fmac_f32_e32 v35, v36, v35
	v_mul_f32_e32 v36, v37, v35
	s_delay_alu instid0(VALU_DEP_1) | instskip(NEXT) | instid1(VALU_DEP_1)
	v_fma_f32 v92, -v34, v36, v37
	v_fmac_f32_e32 v36, v92, v35
	s_delay_alu instid0(VALU_DEP_1) | instskip(NEXT) | instid1(VALU_DEP_1)
	v_fma_f32 v34, -v34, v36, v37
	v_div_fmas_f32 v34, v34, v35, v36
	s_delay_alu instid0(VALU_DEP_1) | instskip(NEXT) | instid1(VALU_DEP_1)
	v_div_fixup_f32 v34, v34, v33, v32
	v_fmac_f32_e32 v33, v32, v34
	s_delay_alu instid0(VALU_DEP_1) | instskip(SKIP_1) | instid1(VALU_DEP_2)
	v_div_scale_f32 v32, null, v33, v33, 1.0
	v_div_scale_f32 v37, vcc_lo, 1.0, v33, 1.0
	v_rcp_f32_e32 v35, v32
	v_nop
	s_delay_alu instid0(TRANS32_DEP_1) | instskip(NEXT) | instid1(VALU_DEP_1)
	v_fma_f32 v36, -v32, v35, 1.0
	v_fmac_f32_e32 v35, v36, v35
	s_delay_alu instid0(VALU_DEP_1) | instskip(NEXT) | instid1(VALU_DEP_1)
	v_mul_f32_e32 v36, v37, v35
	v_fma_f32 v92, -v32, v36, v37
	s_delay_alu instid0(VALU_DEP_1) | instskip(NEXT) | instid1(VALU_DEP_1)
	v_fmac_f32_e32 v36, v92, v35
	v_fma_f32 v32, -v32, v36, v37
	s_delay_alu instid0(VALU_DEP_1) | instskip(NEXT) | instid1(VALU_DEP_1)
	v_div_fmas_f32 v32, v32, v35, v36
	v_div_fixup_f32 v32, v32, v33, 1.0
	s_delay_alu instid0(VALU_DEP_1)
	v_mul_f32_e32 v34, v34, v32
	v_xor_b32_e32 v35, 0x80000000, v32
                                        ; implicit-def: $vgpr32_vgpr33
.LBB71_35:                              ;   in Loop: Header=BB71_3 Depth=1
	s_and_not1_saveexec_b32 s57, s57
	s_cbranch_execz .LBB71_37
; %bb.36:                               ;   in Loop: Header=BB71_3 Depth=1
	v_div_scale_f32 v34, null, v32, v32, v33
	v_div_scale_f32 v37, vcc_lo, v33, v32, v33
	s_delay_alu instid0(VALU_DEP_2) | instskip(SKIP_1) | instid1(TRANS32_DEP_1)
	v_rcp_f32_e32 v35, v34
	v_nop
	v_fma_f32 v36, -v34, v35, 1.0
	s_delay_alu instid0(VALU_DEP_1) | instskip(NEXT) | instid1(VALU_DEP_1)
	v_fmac_f32_e32 v35, v36, v35
	v_mul_f32_e32 v36, v37, v35
	s_delay_alu instid0(VALU_DEP_1) | instskip(NEXT) | instid1(VALU_DEP_1)
	v_fma_f32 v92, -v34, v36, v37
	v_fmac_f32_e32 v36, v92, v35
	s_delay_alu instid0(VALU_DEP_1) | instskip(NEXT) | instid1(VALU_DEP_1)
	v_fma_f32 v34, -v34, v36, v37
	v_div_fmas_f32 v34, v34, v35, v36
	s_delay_alu instid0(VALU_DEP_1) | instskip(NEXT) | instid1(VALU_DEP_1)
	v_div_fixup_f32 v35, v34, v32, v33
	v_fmac_f32_e32 v32, v33, v35
	s_delay_alu instid0(VALU_DEP_1) | instskip(NEXT) | instid1(VALU_DEP_1)
	v_div_scale_f32 v33, null, v32, v32, 1.0
	v_rcp_f32_e32 v34, v33
	v_nop
	s_delay_alu instid0(TRANS32_DEP_1) | instskip(NEXT) | instid1(VALU_DEP_1)
	v_fma_f32 v36, -v33, v34, 1.0
	v_fmac_f32_e32 v34, v36, v34
	v_div_scale_f32 v36, vcc_lo, 1.0, v32, 1.0
	s_delay_alu instid0(VALU_DEP_1) | instskip(NEXT) | instid1(VALU_DEP_1)
	v_mul_f32_e32 v37, v36, v34
	v_fma_f32 v92, -v33, v37, v36
	s_delay_alu instid0(VALU_DEP_1) | instskip(NEXT) | instid1(VALU_DEP_1)
	v_fmac_f32_e32 v37, v92, v34
	v_fma_f32 v33, -v33, v37, v36
	s_delay_alu instid0(VALU_DEP_1) | instskip(NEXT) | instid1(VALU_DEP_1)
	v_div_fmas_f32 v33, v33, v34, v37
	v_div_fixup_f32 v34, v33, v32, 1.0
	s_delay_alu instid0(VALU_DEP_1)
	v_mul_f32_e64 v35, v35, -v34
.LBB71_37:                              ;   in Loop: Header=BB71_3 Depth=1
	s_or_b32 exec_lo, exec_lo, s57
	ds_store_b64 v79, v[34:35]
.LBB71_38:                              ;   in Loop: Header=BB71_3 Depth=1
	s_or_b32 exec_lo, exec_lo, s69
.LBB71_39:                              ;   in Loop: Header=BB71_3 Depth=1
	s_and_not1_saveexec_b32 s57, s68
	s_cbranch_execz .LBB71_41
; %bb.40:                               ;   in Loop: Header=BB71_3 Depth=1
	v_lshl_add_u64 v[32:33], v[12:13], 3, s[66:67]
	global_load_b64 v[32:33], v[32:33], off
	s_wait_loadcnt 0x0
	s_wait_xcnt 0x0
	v_pk_add_f32 v[32:33], v[32:33], 0 neg_lo:[1,1] neg_hi:[1,1]
	ds_store_b64 v79, v[32:33]
.LBB71_41:                              ;   in Loop: Header=BB71_3 Depth=1
	s_or_b32 exec_lo, exec_lo, s57
	s_delay_alu instid0(SALU_CYCLE_1) | instskip(SKIP_2) | instid1(SALU_CYCLE_1)
	s_mov_b32 s57, exec_lo
	v_readlane_b32 s58, v102, 16
	s_and_b32 s58, s57, s58
	s_xor_b32 s68, s58, s57
	s_mov_b32 exec_lo, s58
	s_cbranch_execz .LBB71_53
; %bb.42:                               ;   in Loop: Header=BB71_3 Depth=1
	s_mov_b32 s57, exec_lo
	v_readlane_b32 s58, v102, 22
	s_and_b32 s58, s57, s58
	s_delay_alu instid0(SALU_CYCLE_1)
	s_xor_b32 s57, s58, s57
	s_mov_b32 exec_lo, s58
	s_cbranch_execz .LBB71_46
; %bb.43:                               ;   in Loop: Header=BB71_3 Depth=1
	v_readlane_b32 s59, v101, 12
	s_and_saveexec_b32 s58, s59
; %bb.44:                               ;   in Loop: Header=BB71_3 Depth=1
	ds_store_b64 v73, v[28:29]
; %bb.45:                               ;   in Loop: Header=BB71_3 Depth=1
	s_or_b32 exec_lo, exec_lo, s58
.LBB71_46:                              ;   in Loop: Header=BB71_3 Depth=1
	s_and_not1_saveexec_b32 s69, s57
	s_cbranch_execz .LBB71_52
; %bb.47:                               ;   in Loop: Header=BB71_3 Depth=1
	v_lshl_add_u64 v[32:33], v[14:15], 3, s[66:67]
                                        ; implicit-def: $vgpr34_vgpr35
	global_load_b64 v[32:33], v[32:33], off
	s_wait_loadcnt 0x0
	v_cmp_ngt_f32_e64 s57, |v32|, |v33|
	s_wait_xcnt 0x0
	s_and_saveexec_b32 s58, s57
	s_delay_alu instid0(SALU_CYCLE_1)
	s_xor_b32 s57, exec_lo, s58
	s_cbranch_execz .LBB71_49
; %bb.48:                               ;   in Loop: Header=BB71_3 Depth=1
	v_div_scale_f32 v34, null, v33, v33, v32
	v_div_scale_f32 v37, vcc_lo, v32, v33, v32
	s_delay_alu instid0(VALU_DEP_2) | instskip(SKIP_1) | instid1(TRANS32_DEP_1)
	v_rcp_f32_e32 v35, v34
	v_nop
	v_fma_f32 v36, -v34, v35, 1.0
	s_delay_alu instid0(VALU_DEP_1) | instskip(NEXT) | instid1(VALU_DEP_1)
	v_fmac_f32_e32 v35, v36, v35
	v_mul_f32_e32 v36, v37, v35
	s_delay_alu instid0(VALU_DEP_1) | instskip(NEXT) | instid1(VALU_DEP_1)
	v_fma_f32 v92, -v34, v36, v37
	v_fmac_f32_e32 v36, v92, v35
	s_delay_alu instid0(VALU_DEP_1) | instskip(NEXT) | instid1(VALU_DEP_1)
	v_fma_f32 v34, -v34, v36, v37
	v_div_fmas_f32 v34, v34, v35, v36
	s_delay_alu instid0(VALU_DEP_1) | instskip(NEXT) | instid1(VALU_DEP_1)
	v_div_fixup_f32 v34, v34, v33, v32
	v_fmac_f32_e32 v33, v32, v34
	s_delay_alu instid0(VALU_DEP_1) | instskip(SKIP_1) | instid1(VALU_DEP_2)
	v_div_scale_f32 v32, null, v33, v33, 1.0
	v_div_scale_f32 v37, vcc_lo, 1.0, v33, 1.0
	v_rcp_f32_e32 v35, v32
	v_nop
	s_delay_alu instid0(TRANS32_DEP_1) | instskip(NEXT) | instid1(VALU_DEP_1)
	v_fma_f32 v36, -v32, v35, 1.0
	v_fmac_f32_e32 v35, v36, v35
	s_delay_alu instid0(VALU_DEP_1) | instskip(NEXT) | instid1(VALU_DEP_1)
	v_mul_f32_e32 v36, v37, v35
	v_fma_f32 v92, -v32, v36, v37
	s_delay_alu instid0(VALU_DEP_1) | instskip(NEXT) | instid1(VALU_DEP_1)
	v_fmac_f32_e32 v36, v92, v35
	v_fma_f32 v32, -v32, v36, v37
	s_delay_alu instid0(VALU_DEP_1) | instskip(NEXT) | instid1(VALU_DEP_1)
	v_div_fmas_f32 v32, v32, v35, v36
	v_div_fixup_f32 v32, v32, v33, 1.0
	s_delay_alu instid0(VALU_DEP_1)
	v_mul_f32_e32 v34, v34, v32
	v_xor_b32_e32 v35, 0x80000000, v32
                                        ; implicit-def: $vgpr32_vgpr33
.LBB71_49:                              ;   in Loop: Header=BB71_3 Depth=1
	s_and_not1_saveexec_b32 s57, s57
	s_cbranch_execz .LBB71_51
; %bb.50:                               ;   in Loop: Header=BB71_3 Depth=1
	v_div_scale_f32 v34, null, v32, v32, v33
	v_div_scale_f32 v37, vcc_lo, v33, v32, v33
	s_delay_alu instid0(VALU_DEP_2) | instskip(SKIP_1) | instid1(TRANS32_DEP_1)
	v_rcp_f32_e32 v35, v34
	v_nop
	v_fma_f32 v36, -v34, v35, 1.0
	s_delay_alu instid0(VALU_DEP_1) | instskip(NEXT) | instid1(VALU_DEP_1)
	v_fmac_f32_e32 v35, v36, v35
	v_mul_f32_e32 v36, v37, v35
	s_delay_alu instid0(VALU_DEP_1) | instskip(NEXT) | instid1(VALU_DEP_1)
	v_fma_f32 v92, -v34, v36, v37
	v_fmac_f32_e32 v36, v92, v35
	s_delay_alu instid0(VALU_DEP_1) | instskip(NEXT) | instid1(VALU_DEP_1)
	v_fma_f32 v34, -v34, v36, v37
	v_div_fmas_f32 v34, v34, v35, v36
	s_delay_alu instid0(VALU_DEP_1) | instskip(NEXT) | instid1(VALU_DEP_1)
	v_div_fixup_f32 v35, v34, v32, v33
	v_fmac_f32_e32 v32, v33, v35
	s_delay_alu instid0(VALU_DEP_1) | instskip(NEXT) | instid1(VALU_DEP_1)
	v_div_scale_f32 v33, null, v32, v32, 1.0
	v_rcp_f32_e32 v34, v33
	v_nop
	s_delay_alu instid0(TRANS32_DEP_1) | instskip(NEXT) | instid1(VALU_DEP_1)
	v_fma_f32 v36, -v33, v34, 1.0
	v_fmac_f32_e32 v34, v36, v34
	v_div_scale_f32 v36, vcc_lo, 1.0, v32, 1.0
	s_delay_alu instid0(VALU_DEP_1) | instskip(NEXT) | instid1(VALU_DEP_1)
	v_mul_f32_e32 v37, v36, v34
	v_fma_f32 v92, -v33, v37, v36
	s_delay_alu instid0(VALU_DEP_1) | instskip(NEXT) | instid1(VALU_DEP_1)
	v_fmac_f32_e32 v37, v92, v34
	v_fma_f32 v33, -v33, v37, v36
	s_delay_alu instid0(VALU_DEP_1) | instskip(NEXT) | instid1(VALU_DEP_1)
	v_div_fmas_f32 v33, v33, v34, v37
	v_div_fixup_f32 v34, v33, v32, 1.0
	s_delay_alu instid0(VALU_DEP_1)
	v_mul_f32_e64 v35, v35, -v34
.LBB71_51:                              ;   in Loop: Header=BB71_3 Depth=1
	s_or_b32 exec_lo, exec_lo, s57
	ds_store_b64 v73, v[34:35]
.LBB71_52:                              ;   in Loop: Header=BB71_3 Depth=1
	s_or_b32 exec_lo, exec_lo, s69
.LBB71_53:                              ;   in Loop: Header=BB71_3 Depth=1
	s_and_not1_saveexec_b32 s57, s68
	s_cbranch_execz .LBB71_55
; %bb.54:                               ;   in Loop: Header=BB71_3 Depth=1
	v_lshl_add_u64 v[32:33], v[14:15], 3, s[66:67]
	global_load_b64 v[32:33], v[32:33], off
	s_wait_loadcnt 0x0
	s_wait_xcnt 0x0
	v_pk_add_f32 v[32:33], v[32:33], 0 neg_lo:[1,1] neg_hi:[1,1]
	ds_store_b64 v73, v[32:33]
.LBB71_55:                              ;   in Loop: Header=BB71_3 Depth=1
	s_or_b32 exec_lo, exec_lo, s57
	s_delay_alu instid0(SALU_CYCLE_1) | instskip(SKIP_2) | instid1(SALU_CYCLE_1)
	s_mov_b32 s57, exec_lo
	v_readlane_b32 s58, v102, 17
	s_and_b32 s58, s57, s58
	s_xor_b32 s68, s58, s57
	s_mov_b32 exec_lo, s58
	s_cbranch_execz .LBB71_67
; %bb.56:                               ;   in Loop: Header=BB71_3 Depth=1
	s_mov_b32 s57, exec_lo
	v_readlane_b32 s58, v102, 24
	s_and_b32 s58, s57, s58
	s_delay_alu instid0(SALU_CYCLE_1)
	s_xor_b32 s57, s58, s57
	s_mov_b32 exec_lo, s58
	s_cbranch_execz .LBB71_60
; %bb.57:                               ;   in Loop: Header=BB71_3 Depth=1
	v_readlane_b32 s59, v101, 13
	s_and_saveexec_b32 s58, s59
; %bb.58:                               ;   in Loop: Header=BB71_3 Depth=1
	ds_store_b64 v74, v[28:29]
; %bb.59:                               ;   in Loop: Header=BB71_3 Depth=1
	s_or_b32 exec_lo, exec_lo, s58
.LBB71_60:                              ;   in Loop: Header=BB71_3 Depth=1
	s_and_not1_saveexec_b32 s69, s57
	s_cbranch_execz .LBB71_66
; %bb.61:                               ;   in Loop: Header=BB71_3 Depth=1
	v_lshl_add_u64 v[32:33], v[16:17], 3, s[66:67]
                                        ; implicit-def: $vgpr34_vgpr35
	global_load_b64 v[32:33], v[32:33], off
	s_wait_loadcnt 0x0
	v_cmp_ngt_f32_e64 s57, |v32|, |v33|
	s_wait_xcnt 0x0
	s_and_saveexec_b32 s58, s57
	s_delay_alu instid0(SALU_CYCLE_1)
	s_xor_b32 s57, exec_lo, s58
	s_cbranch_execz .LBB71_63
; %bb.62:                               ;   in Loop: Header=BB71_3 Depth=1
	v_div_scale_f32 v34, null, v33, v33, v32
	v_div_scale_f32 v37, vcc_lo, v32, v33, v32
	s_delay_alu instid0(VALU_DEP_2) | instskip(SKIP_1) | instid1(TRANS32_DEP_1)
	v_rcp_f32_e32 v35, v34
	v_nop
	v_fma_f32 v36, -v34, v35, 1.0
	s_delay_alu instid0(VALU_DEP_1) | instskip(NEXT) | instid1(VALU_DEP_1)
	v_fmac_f32_e32 v35, v36, v35
	v_mul_f32_e32 v36, v37, v35
	s_delay_alu instid0(VALU_DEP_1) | instskip(NEXT) | instid1(VALU_DEP_1)
	v_fma_f32 v92, -v34, v36, v37
	v_fmac_f32_e32 v36, v92, v35
	s_delay_alu instid0(VALU_DEP_1) | instskip(NEXT) | instid1(VALU_DEP_1)
	v_fma_f32 v34, -v34, v36, v37
	v_div_fmas_f32 v34, v34, v35, v36
	s_delay_alu instid0(VALU_DEP_1) | instskip(NEXT) | instid1(VALU_DEP_1)
	v_div_fixup_f32 v34, v34, v33, v32
	v_fmac_f32_e32 v33, v32, v34
	s_delay_alu instid0(VALU_DEP_1) | instskip(SKIP_1) | instid1(VALU_DEP_2)
	v_div_scale_f32 v32, null, v33, v33, 1.0
	v_div_scale_f32 v37, vcc_lo, 1.0, v33, 1.0
	v_rcp_f32_e32 v35, v32
	v_nop
	s_delay_alu instid0(TRANS32_DEP_1) | instskip(NEXT) | instid1(VALU_DEP_1)
	v_fma_f32 v36, -v32, v35, 1.0
	v_fmac_f32_e32 v35, v36, v35
	s_delay_alu instid0(VALU_DEP_1) | instskip(NEXT) | instid1(VALU_DEP_1)
	v_mul_f32_e32 v36, v37, v35
	v_fma_f32 v92, -v32, v36, v37
	s_delay_alu instid0(VALU_DEP_1) | instskip(NEXT) | instid1(VALU_DEP_1)
	v_fmac_f32_e32 v36, v92, v35
	v_fma_f32 v32, -v32, v36, v37
	s_delay_alu instid0(VALU_DEP_1) | instskip(NEXT) | instid1(VALU_DEP_1)
	v_div_fmas_f32 v32, v32, v35, v36
	v_div_fixup_f32 v32, v32, v33, 1.0
	s_delay_alu instid0(VALU_DEP_1)
	v_mul_f32_e32 v34, v34, v32
	v_xor_b32_e32 v35, 0x80000000, v32
                                        ; implicit-def: $vgpr32_vgpr33
.LBB71_63:                              ;   in Loop: Header=BB71_3 Depth=1
	s_and_not1_saveexec_b32 s57, s57
	s_cbranch_execz .LBB71_65
; %bb.64:                               ;   in Loop: Header=BB71_3 Depth=1
	v_div_scale_f32 v34, null, v32, v32, v33
	v_div_scale_f32 v37, vcc_lo, v33, v32, v33
	s_delay_alu instid0(VALU_DEP_2) | instskip(SKIP_1) | instid1(TRANS32_DEP_1)
	v_rcp_f32_e32 v35, v34
	v_nop
	v_fma_f32 v36, -v34, v35, 1.0
	s_delay_alu instid0(VALU_DEP_1) | instskip(NEXT) | instid1(VALU_DEP_1)
	v_fmac_f32_e32 v35, v36, v35
	v_mul_f32_e32 v36, v37, v35
	s_delay_alu instid0(VALU_DEP_1) | instskip(NEXT) | instid1(VALU_DEP_1)
	v_fma_f32 v92, -v34, v36, v37
	v_fmac_f32_e32 v36, v92, v35
	s_delay_alu instid0(VALU_DEP_1) | instskip(NEXT) | instid1(VALU_DEP_1)
	v_fma_f32 v34, -v34, v36, v37
	v_div_fmas_f32 v34, v34, v35, v36
	s_delay_alu instid0(VALU_DEP_1) | instskip(NEXT) | instid1(VALU_DEP_1)
	v_div_fixup_f32 v35, v34, v32, v33
	v_fmac_f32_e32 v32, v33, v35
	s_delay_alu instid0(VALU_DEP_1) | instskip(NEXT) | instid1(VALU_DEP_1)
	v_div_scale_f32 v33, null, v32, v32, 1.0
	v_rcp_f32_e32 v34, v33
	v_nop
	s_delay_alu instid0(TRANS32_DEP_1) | instskip(NEXT) | instid1(VALU_DEP_1)
	v_fma_f32 v36, -v33, v34, 1.0
	v_fmac_f32_e32 v34, v36, v34
	v_div_scale_f32 v36, vcc_lo, 1.0, v32, 1.0
	s_delay_alu instid0(VALU_DEP_1) | instskip(NEXT) | instid1(VALU_DEP_1)
	v_mul_f32_e32 v37, v36, v34
	v_fma_f32 v92, -v33, v37, v36
	s_delay_alu instid0(VALU_DEP_1) | instskip(NEXT) | instid1(VALU_DEP_1)
	v_fmac_f32_e32 v37, v92, v34
	v_fma_f32 v33, -v33, v37, v36
	s_delay_alu instid0(VALU_DEP_1) | instskip(NEXT) | instid1(VALU_DEP_1)
	v_div_fmas_f32 v33, v33, v34, v37
	v_div_fixup_f32 v34, v33, v32, 1.0
	s_delay_alu instid0(VALU_DEP_1)
	v_mul_f32_e64 v35, v35, -v34
.LBB71_65:                              ;   in Loop: Header=BB71_3 Depth=1
	s_or_b32 exec_lo, exec_lo, s57
	ds_store_b64 v74, v[34:35]
.LBB71_66:                              ;   in Loop: Header=BB71_3 Depth=1
	s_or_b32 exec_lo, exec_lo, s69
.LBB71_67:                              ;   in Loop: Header=BB71_3 Depth=1
	s_and_not1_saveexec_b32 s57, s68
	s_cbranch_execz .LBB71_69
; %bb.68:                               ;   in Loop: Header=BB71_3 Depth=1
	v_lshl_add_u64 v[32:33], v[16:17], 3, s[66:67]
	global_load_b64 v[32:33], v[32:33], off
	s_wait_loadcnt 0x0
	s_wait_xcnt 0x0
	v_pk_add_f32 v[32:33], v[32:33], 0 neg_lo:[1,1] neg_hi:[1,1]
	ds_store_b64 v74, v[32:33]
.LBB71_69:                              ;   in Loop: Header=BB71_3 Depth=1
	s_or_b32 exec_lo, exec_lo, s57
	s_delay_alu instid0(SALU_CYCLE_1) | instskip(SKIP_2) | instid1(SALU_CYCLE_1)
	s_mov_b32 s57, exec_lo
	v_readlane_b32 s58, v102, 18
	s_and_b32 s58, s57, s58
	s_xor_b32 s68, s58, s57
	s_mov_b32 exec_lo, s58
	s_cbranch_execz .LBB71_81
; %bb.70:                               ;   in Loop: Header=BB71_3 Depth=1
	s_mov_b32 s57, exec_lo
	v_readlane_b32 s58, v102, 26
	s_and_b32 s58, s57, s58
	s_delay_alu instid0(SALU_CYCLE_1)
	s_xor_b32 s57, s58, s57
	s_mov_b32 exec_lo, s58
	s_cbranch_execz .LBB71_74
; %bb.71:                               ;   in Loop: Header=BB71_3 Depth=1
	v_readlane_b32 s59, v101, 14
	s_and_saveexec_b32 s58, s59
; %bb.72:                               ;   in Loop: Header=BB71_3 Depth=1
	ds_store_b64 v75, v[28:29]
; %bb.73:                               ;   in Loop: Header=BB71_3 Depth=1
	s_or_b32 exec_lo, exec_lo, s58
.LBB71_74:                              ;   in Loop: Header=BB71_3 Depth=1
	s_and_not1_saveexec_b32 s69, s57
	s_cbranch_execz .LBB71_80
; %bb.75:                               ;   in Loop: Header=BB71_3 Depth=1
	v_lshl_add_u64 v[32:33], v[18:19], 3, s[66:67]
                                        ; implicit-def: $vgpr34_vgpr35
	global_load_b64 v[32:33], v[32:33], off
	s_wait_loadcnt 0x0
	v_cmp_ngt_f32_e64 s57, |v32|, |v33|
	s_wait_xcnt 0x0
	s_and_saveexec_b32 s58, s57
	s_delay_alu instid0(SALU_CYCLE_1)
	s_xor_b32 s57, exec_lo, s58
	s_cbranch_execz .LBB71_77
; %bb.76:                               ;   in Loop: Header=BB71_3 Depth=1
	v_div_scale_f32 v34, null, v33, v33, v32
	v_div_scale_f32 v37, vcc_lo, v32, v33, v32
	s_delay_alu instid0(VALU_DEP_2) | instskip(SKIP_1) | instid1(TRANS32_DEP_1)
	v_rcp_f32_e32 v35, v34
	v_nop
	v_fma_f32 v36, -v34, v35, 1.0
	s_delay_alu instid0(VALU_DEP_1) | instskip(NEXT) | instid1(VALU_DEP_1)
	v_fmac_f32_e32 v35, v36, v35
	v_mul_f32_e32 v36, v37, v35
	s_delay_alu instid0(VALU_DEP_1) | instskip(NEXT) | instid1(VALU_DEP_1)
	v_fma_f32 v92, -v34, v36, v37
	v_fmac_f32_e32 v36, v92, v35
	s_delay_alu instid0(VALU_DEP_1) | instskip(NEXT) | instid1(VALU_DEP_1)
	v_fma_f32 v34, -v34, v36, v37
	v_div_fmas_f32 v34, v34, v35, v36
	s_delay_alu instid0(VALU_DEP_1) | instskip(NEXT) | instid1(VALU_DEP_1)
	v_div_fixup_f32 v34, v34, v33, v32
	v_fmac_f32_e32 v33, v32, v34
	s_delay_alu instid0(VALU_DEP_1) | instskip(SKIP_1) | instid1(VALU_DEP_2)
	v_div_scale_f32 v32, null, v33, v33, 1.0
	v_div_scale_f32 v37, vcc_lo, 1.0, v33, 1.0
	v_rcp_f32_e32 v35, v32
	v_nop
	s_delay_alu instid0(TRANS32_DEP_1) | instskip(NEXT) | instid1(VALU_DEP_1)
	v_fma_f32 v36, -v32, v35, 1.0
	v_fmac_f32_e32 v35, v36, v35
	s_delay_alu instid0(VALU_DEP_1) | instskip(NEXT) | instid1(VALU_DEP_1)
	v_mul_f32_e32 v36, v37, v35
	v_fma_f32 v92, -v32, v36, v37
	s_delay_alu instid0(VALU_DEP_1) | instskip(NEXT) | instid1(VALU_DEP_1)
	v_fmac_f32_e32 v36, v92, v35
	v_fma_f32 v32, -v32, v36, v37
	s_delay_alu instid0(VALU_DEP_1) | instskip(NEXT) | instid1(VALU_DEP_1)
	v_div_fmas_f32 v32, v32, v35, v36
	v_div_fixup_f32 v32, v32, v33, 1.0
	s_delay_alu instid0(VALU_DEP_1)
	v_mul_f32_e32 v34, v34, v32
	v_xor_b32_e32 v35, 0x80000000, v32
                                        ; implicit-def: $vgpr32_vgpr33
.LBB71_77:                              ;   in Loop: Header=BB71_3 Depth=1
	s_and_not1_saveexec_b32 s57, s57
	s_cbranch_execz .LBB71_79
; %bb.78:                               ;   in Loop: Header=BB71_3 Depth=1
	v_div_scale_f32 v34, null, v32, v32, v33
	v_div_scale_f32 v37, vcc_lo, v33, v32, v33
	s_delay_alu instid0(VALU_DEP_2) | instskip(SKIP_1) | instid1(TRANS32_DEP_1)
	v_rcp_f32_e32 v35, v34
	v_nop
	v_fma_f32 v36, -v34, v35, 1.0
	s_delay_alu instid0(VALU_DEP_1) | instskip(NEXT) | instid1(VALU_DEP_1)
	v_fmac_f32_e32 v35, v36, v35
	v_mul_f32_e32 v36, v37, v35
	s_delay_alu instid0(VALU_DEP_1) | instskip(NEXT) | instid1(VALU_DEP_1)
	v_fma_f32 v92, -v34, v36, v37
	v_fmac_f32_e32 v36, v92, v35
	s_delay_alu instid0(VALU_DEP_1) | instskip(NEXT) | instid1(VALU_DEP_1)
	v_fma_f32 v34, -v34, v36, v37
	v_div_fmas_f32 v34, v34, v35, v36
	s_delay_alu instid0(VALU_DEP_1) | instskip(NEXT) | instid1(VALU_DEP_1)
	v_div_fixup_f32 v35, v34, v32, v33
	v_fmac_f32_e32 v32, v33, v35
	s_delay_alu instid0(VALU_DEP_1) | instskip(NEXT) | instid1(VALU_DEP_1)
	v_div_scale_f32 v33, null, v32, v32, 1.0
	v_rcp_f32_e32 v34, v33
	v_nop
	s_delay_alu instid0(TRANS32_DEP_1) | instskip(NEXT) | instid1(VALU_DEP_1)
	v_fma_f32 v36, -v33, v34, 1.0
	v_fmac_f32_e32 v34, v36, v34
	v_div_scale_f32 v36, vcc_lo, 1.0, v32, 1.0
	s_delay_alu instid0(VALU_DEP_1) | instskip(NEXT) | instid1(VALU_DEP_1)
	v_mul_f32_e32 v37, v36, v34
	v_fma_f32 v92, -v33, v37, v36
	s_delay_alu instid0(VALU_DEP_1) | instskip(NEXT) | instid1(VALU_DEP_1)
	v_fmac_f32_e32 v37, v92, v34
	v_fma_f32 v33, -v33, v37, v36
	s_delay_alu instid0(VALU_DEP_1) | instskip(NEXT) | instid1(VALU_DEP_1)
	v_div_fmas_f32 v33, v33, v34, v37
	v_div_fixup_f32 v34, v33, v32, 1.0
	s_delay_alu instid0(VALU_DEP_1)
	v_mul_f32_e64 v35, v35, -v34
.LBB71_79:                              ;   in Loop: Header=BB71_3 Depth=1
	s_or_b32 exec_lo, exec_lo, s57
	ds_store_b64 v75, v[34:35]
.LBB71_80:                              ;   in Loop: Header=BB71_3 Depth=1
	s_or_b32 exec_lo, exec_lo, s69
.LBB71_81:                              ;   in Loop: Header=BB71_3 Depth=1
	s_and_not1_saveexec_b32 s57, s68
	s_cbranch_execz .LBB71_83
; %bb.82:                               ;   in Loop: Header=BB71_3 Depth=1
	v_lshl_add_u64 v[32:33], v[18:19], 3, s[66:67]
	global_load_b64 v[32:33], v[32:33], off
	s_wait_loadcnt 0x0
	s_wait_xcnt 0x0
	v_pk_add_f32 v[32:33], v[32:33], 0 neg_lo:[1,1] neg_hi:[1,1]
	ds_store_b64 v75, v[32:33]
.LBB71_83:                              ;   in Loop: Header=BB71_3 Depth=1
	s_or_b32 exec_lo, exec_lo, s57
.LBB71_84:                              ;   in Loop: Header=BB71_3 Depth=1
	s_delay_alu instid0(SALU_CYCLE_1)
	s_and_not1_b32 vcc_lo, exec_lo, s97
	s_wait_storecnt_dscnt 0x0
	s_barrier_signal -1
	s_barrier_wait -1
	s_cbranch_vccnz .LBB71_1006
; %bb.85:                               ;   in Loop: Header=BB71_3 Depth=1
	s_and_saveexec_b32 s57, s14
	s_cbranch_execz .LBB71_87
; %bb.86:                               ;   in Loop: Header=BB71_3 Depth=1
	ds_load_b128 v[32:35], v5
	ds_load_b64 v[36:37], v5 offset:520
	s_wait_dscnt 0x1
	v_dual_mov_b32 v94, v35 :: v_dual_mov_b32 v95, v34
	s_wait_dscnt 0x0
	v_dual_mul_f32 v93, v37, v33 :: v_dual_mul_f32 v92, v36, v33
	s_delay_alu instid0(VALU_DEP_1) | instskip(NEXT) | instid1(VALU_DEP_2)
	v_xor_b32_e32 v96, 0x80000000, v93
	v_fmac_f32_e32 v92, v37, v32
	s_delay_alu instid0(VALU_DEP_2) | instskip(NEXT) | instid1(VALU_DEP_2)
	v_fmac_f32_e32 v96, v36, v32
	v_pk_mul_f32 v[32:33], v[92:93], v[94:95] op_sel_hi:[0,1]
	s_delay_alu instid0(VALU_DEP_1) | instskip(SKIP_1) | instid1(VALU_DEP_2)
	v_pk_fma_f32 v[36:37], v[96:97], v[34:35], v[32:33] op_sel_hi:[0,1,1]
	v_pk_fma_f32 v[32:33], v[96:97], v[34:35], v[32:33] neg_lo:[0,0,1] neg_hi:[0,0,1]
	v_mov_b32_e32 v33, v37
	ds_store_2addr_b64 v5, v[32:33], v[32:33] offset0:1 offset1:64
.LBB71_87:                              ;   in Loop: Header=BB71_3 Depth=1
	s_or_b32 exec_lo, exec_lo, s57
	v_mov_b32_e32 v33, 0
	s_wait_dscnt 0x0
	s_barrier_signal -1
	s_barrier_wait -1
	s_delay_alu instid0(VALU_DEP_1)
	v_mov_b32_e32 v32, v33
	s_and_saveexec_b32 s57, s0
	s_cbranch_execz .LBB71_91
; %bb.88:                               ;   in Loop: Header=BB71_3 Depth=1
	ds_load_b64 v[32:33], v39 offset:16
	ds_load_b64 v[34:35], v40
	s_wait_dscnt 0x0
	v_dual_mul_f32 v36, v35, v33 :: v_dual_mul_f32 v37, v34, v33
	s_delay_alu instid0(VALU_DEP_1) | instskip(NEXT) | instid1(VALU_DEP_1)
	v_dual_fma_f32 v36, v34, v32, -v36 :: v_dual_fmac_f32 v37, v35, v32
	v_pk_add_f32 v[32:33], v[36:37], 0 op_sel_hi:[1,0]
	s_and_saveexec_b32 s58, s15
	s_cbranch_execz .LBB71_90
; %bb.89:                               ;   in Loop: Header=BB71_3 Depth=1
	ds_load_b64 v[34:35], v41 offset:528
	ds_load_b64 v[36:37], v5 offset:8
	s_wait_dscnt 0x0
	v_pk_mul_f32 v[92:93], v[36:37], v[34:35] op_sel:[1,1] op_sel_hi:[0,1]
	s_delay_alu instid0(VALU_DEP_1) | instskip(SKIP_1) | instid1(VALU_DEP_2)
	v_pk_fma_f32 v[94:95], v[36:37], v[34:35], v[92:93] op_sel_hi:[1,0,1]
	v_pk_fma_f32 v[34:35], v[36:37], v[34:35], v[92:93] neg_lo:[0,0,1] neg_hi:[0,0,1]
	v_mov_b32_e32 v35, v95
	s_delay_alu instid0(VALU_DEP_1)
	v_pk_add_f32 v[32:33], v[32:33], v[34:35]
.LBB71_90:                              ;   in Loop: Header=BB71_3 Depth=1
	s_or_b32 exec_lo, exec_lo, s58
	s_delay_alu instid0(VALU_DEP_1)
	v_pk_add_f32 v[32:33], v[32:33], 0 neg_lo:[1,1] neg_hi:[1,1]
.LBB71_91:                              ;   in Loop: Header=BB71_3 Depth=1
	s_or_b32 exec_lo, exec_lo, s57
	s_and_saveexec_b32 s57, s98
	s_cbranch_execz .LBB71_93
; %bb.92:                               ;   in Loop: Header=BB71_3 Depth=1
	ds_load_b64 v[34:35], v5 offset:1040
	s_wait_dscnt 0x0
	v_pk_mul_f32 v[36:37], v[32:33], v[34:35] op_sel:[1,1] op_sel_hi:[1,0]
	s_delay_alu instid0(VALU_DEP_1) | instskip(SKIP_1) | instid1(VALU_DEP_2)
	v_pk_fma_f32 v[92:93], v[32:33], v[34:35], v[36:37] op_sel_hi:[0,1,1]
	v_pk_fma_f32 v[34:35], v[32:33], v[34:35], v[36:37] neg_lo:[0,0,1] neg_hi:[0,0,1]
	v_mov_b32_e32 v35, v93
	s_delay_alu instid0(VALU_DEP_1)
	v_mov_b64_e32 v[32:33], v[34:35]
	ds_store_b64 v3, v[34:35]
.LBB71_93:                              ;   in Loop: Header=BB71_3 Depth=1
	s_or_b32 exec_lo, exec_lo, s57
	s_wait_dscnt 0x0
	s_barrier_signal -1
	s_barrier_wait -1
	s_and_saveexec_b32 s57, s99
	s_cbranch_execz .LBB71_95
; %bb.94:                               ;   in Loop: Header=BB71_3 Depth=1
	ds_load_b64 v[34:35], v5 offset:1048
	ds_load_b64 v[36:37], v3
	s_wait_dscnt 0x0
	v_pk_mul_f32 v[92:93], v[36:37], v[34:35] op_sel:[1,1] op_sel_hi:[0,1]
	s_delay_alu instid0(VALU_DEP_1) | instskip(SKIP_1) | instid1(VALU_DEP_2)
	v_pk_fma_f32 v[94:95], v[36:37], v[34:35], v[92:93] op_sel_hi:[1,0,1]
	v_pk_fma_f32 v[34:35], v[36:37], v[34:35], v[92:93] neg_lo:[0,0,1] neg_hi:[0,0,1]
	v_mov_b32_e32 v35, v95
	s_delay_alu instid0(VALU_DEP_1)
	v_pk_add_f32 v[32:33], v[32:33], v[34:35]
.LBB71_95:                              ;   in Loop: Header=BB71_3 Depth=1
	s_or_b32 exec_lo, exec_lo, s57
	s_barrier_signal -1
	s_barrier_wait -1
	s_and_saveexec_b32 s57, s99
	s_cbranch_execz .LBB71_97
; %bb.96:                               ;   in Loop: Header=BB71_3 Depth=1
	ds_load_b64 v[34:35], v5 offset:1560
	s_wait_dscnt 0x0
	v_pk_mul_f32 v[36:37], v[32:33], v[34:35] op_sel:[1,1] op_sel_hi:[1,0]
	s_delay_alu instid0(VALU_DEP_1) | instskip(SKIP_1) | instid1(VALU_DEP_2)
	v_pk_fma_f32 v[92:93], v[32:33], v[34:35], v[36:37] op_sel_hi:[0,1,1]
	v_pk_fma_f32 v[34:35], v[32:33], v[34:35], v[36:37] neg_lo:[0,0,1] neg_hi:[0,0,1]
	v_mov_b32_e32 v35, v93
	s_delay_alu instid0(VALU_DEP_1)
	v_mov_b64_e32 v[32:33], v[34:35]
	ds_store_b64 v3, v[34:35]
.LBB71_97:                              ;   in Loop: Header=BB71_3 Depth=1
	s_or_b32 exec_lo, exec_lo, s57
	s_wait_dscnt 0x0
	s_barrier_signal -1
	s_barrier_wait -1
	s_barrier_signal -1
	s_barrier_wait -1
	s_and_saveexec_b32 s57, s0
; %bb.98:                               ;   in Loop: Header=BB71_3 Depth=1
	v_pk_add_f32 v[32:33], v[32:33], 0 neg_lo:[1,1] neg_hi:[1,1]
	ds_store_b64 v39, v[32:33] offset:16
; %bb.99:                               ;   in Loop: Header=BB71_3 Depth=1
	s_or_b32 exec_lo, exec_lo, s57
	s_wait_dscnt 0x0
	s_barrier_signal -1
	s_barrier_wait -1
	s_barrier_signal -1
	s_barrier_wait -1
	s_and_saveexec_b32 s57, s100
	s_cbranch_execz .LBB71_101
; %bb.100:                              ;   in Loop: Header=BB71_3 Depth=1
	ds_load_b64 v[32:33], v44 offset:16
	s_wait_dscnt 0x0
	ds_store_b64 v41, v[32:33] offset:1024
	ds_load_b64 v[32:33], v44 offset:24
	s_wait_dscnt 0x0
	ds_store_b64 v41, v[32:33] offset:1536
.LBB71_101:                             ;   in Loop: Header=BB71_3 Depth=1
	s_or_b32 exec_lo, exec_lo, s57
	s_wait_dscnt 0x0
	s_barrier_signal -1
	s_barrier_wait -1
	s_and_saveexec_b32 s57, s14
	s_cbranch_execz .LBB71_103
; %bb.102:                              ;   in Loop: Header=BB71_3 Depth=1
	ds_load_b128 v[32:35], v5 offset:1040
	ds_load_b64 v[36:37], v5 offset:1560
	s_wait_dscnt 0x1
	v_dual_mov_b32 v94, v35 :: v_dual_mov_b32 v95, v34
	s_wait_dscnt 0x0
	v_dual_mul_f32 v93, v37, v33 :: v_dual_mul_f32 v92, v36, v33
	s_delay_alu instid0(VALU_DEP_1) | instskip(NEXT) | instid1(VALU_DEP_2)
	v_xor_b32_e32 v96, 0x80000000, v93
	v_fmac_f32_e32 v92, v37, v32
	s_delay_alu instid0(VALU_DEP_2) | instskip(NEXT) | instid1(VALU_DEP_2)
	v_fmac_f32_e32 v96, v36, v32
	v_pk_mul_f32 v[32:33], v[92:93], v[94:95] op_sel_hi:[0,1]
	s_delay_alu instid0(VALU_DEP_1) | instskip(SKIP_1) | instid1(VALU_DEP_2)
	v_pk_fma_f32 v[36:37], v[96:97], v[34:35], v[32:33] op_sel_hi:[0,1,1]
	v_pk_fma_f32 v[32:33], v[96:97], v[34:35], v[32:33] neg_lo:[0,0,1] neg_hi:[0,0,1]
	v_mov_b32_e32 v33, v37
	ds_store_2addr_b64 v5, v[32:33], v[32:33] offset0:131 offset1:194
.LBB71_103:                             ;   in Loop: Header=BB71_3 Depth=1
	s_or_b32 exec_lo, exec_lo, s57
	v_mov_b32_e32 v32, 0
	s_wait_dscnt 0x0
	s_barrier_signal -1
	s_barrier_wait -1
	s_delay_alu instid0(VALU_DEP_1)
	v_mov_b32_e32 v33, v32
	s_and_saveexec_b32 s66, s2
	s_cbranch_execz .LBB71_109
; %bb.104:                              ;   in Loop: Header=BB71_3 Depth=1
	ds_load_b64 v[32:33], v46 offset:32
	ds_load_b64 v[34:35], v42
	s_wait_dscnt 0x0
	v_pk_mul_f32 v[36:37], v[34:35], v[32:33] op_sel:[0,1]
	s_delay_alu instid0(VALU_DEP_1) | instskip(SKIP_1) | instid1(VALU_DEP_2)
	v_pk_fma_f32 v[92:93], v[34:35], v[32:33], v[36:37] op_sel:[1,0,0] op_sel_hi:[0,0,1] neg_lo:[0,0,1] neg_hi:[0,0,1]
	v_pk_fma_f32 v[32:33], v[34:35], v[32:33], v[36:37] op_sel:[1,0,0] op_sel_hi:[0,1,1]
	v_mov_b32_e32 v33, v93
	s_delay_alu instid0(VALU_DEP_1)
	v_pk_add_f32 v[32:33], v[32:33], 0 op_sel_hi:[1,0]
	s_and_saveexec_b32 s57, s16
	s_cbranch_execnz .LBB71_1110
; %bb.105:                              ;   in Loop: Header=BB71_3 Depth=1
	s_or_b32 exec_lo, exec_lo, s57
	s_and_saveexec_b32 s57, s17
	s_cbranch_execnz .LBB71_1111
.LBB71_106:                             ;   in Loop: Header=BB71_3 Depth=1
	s_or_b32 exec_lo, exec_lo, s57
	s_and_saveexec_b32 s57, s0
	s_cbranch_execz .LBB71_108
.LBB71_107:                             ;   in Loop: Header=BB71_3 Depth=1
	ds_load_b64 v[34:35], v49 offset:1568
	ds_load_b64 v[36:37], v5 offset:24
	s_wait_dscnt 0x0
	v_pk_mul_f32 v[92:93], v[36:37], v[34:35] op_sel:[0,1]
	s_delay_alu instid0(VALU_DEP_1) | instskip(SKIP_1) | instid1(VALU_DEP_2)
	v_pk_fma_f32 v[94:95], v[36:37], v[34:35], v[92:93] op_sel:[1,0,0] op_sel_hi:[0,0,1] neg_lo:[0,0,1] neg_hi:[0,0,1]
	v_pk_fma_f32 v[34:35], v[36:37], v[34:35], v[92:93] op_sel:[1,0,0] op_sel_hi:[0,1,1]
	v_mov_b32_e32 v35, v95
	s_delay_alu instid0(VALU_DEP_1)
	v_pk_add_f32 v[32:33], v[32:33], v[34:35]
.LBB71_108:                             ;   in Loop: Header=BB71_3 Depth=1
	s_or_b32 exec_lo, exec_lo, s57
	s_delay_alu instid0(VALU_DEP_1) | instskip(NEXT) | instid1(VALU_DEP_1)
	v_pk_add_f32 v[34:35], v[32:33], 0 neg_lo:[1,1] neg_hi:[1,1]
	v_dual_mov_b32 v32, v35 :: v_dual_mov_b32 v33, v34
.LBB71_109:                             ;   in Loop: Header=BB71_3 Depth=1
	s_or_b32 exec_lo, exec_lo, s66
	s_and_saveexec_b32 s57, s101
	s_cbranch_execz .LBB71_111
; %bb.110:                              ;   in Loop: Header=BB71_3 Depth=1
	ds_load_b64 v[34:35], v5 offset:2080
	v_dual_mov_b32 v36, v33 :: v_dual_mov_b32 v37, v32
	s_wait_dscnt 0x0
	s_delay_alu instid0(VALU_DEP_1) | instskip(NEXT) | instid1(VALU_DEP_1)
	v_dual_mul_f32 v92, v36, v34 :: v_dual_mul_f32 v94, v33, v35
	v_pk_fma_f32 v[36:37], v[36:37], v[34:35], v[92:93] op_sel_hi:[1,1,0]
	s_delay_alu instid0(VALU_DEP_2) | instskip(NEXT) | instid1(VALU_DEP_2)
	v_pk_fma_f32 v[32:33], v[32:33], v[34:35], v[94:95] op_sel_hi:[1,1,0] neg_lo:[0,0,1] neg_hi:[0,0,1]
	v_mov_b32_e32 v33, v37
	ds_store_b64 v45, v[32:33]
.LBB71_111:                             ;   in Loop: Header=BB71_3 Depth=1
	s_or_b32 exec_lo, exec_lo, s57
	s_wait_dscnt 0x0
	s_barrier_signal -1
	s_barrier_wait -1
	s_and_saveexec_b32 s57, s102
	s_cbranch_execz .LBB71_113
; %bb.112:                              ;   in Loop: Header=BB71_3 Depth=1
	ds_load_b64 v[34:35], v43 offset:2080
	ds_load_b64 v[36:37], v45
	s_wait_dscnt 0x0
	v_dual_mul_f32 v92, v37, v35 :: v_dual_mul_f32 v93, v36, v35
	s_delay_alu instid0(VALU_DEP_1) | instskip(NEXT) | instid1(VALU_DEP_1)
	v_dual_fma_f32 v92, v36, v34, -v92 :: v_dual_fmac_f32 v93, v37, v34
	v_pk_add_f32 v[32:33], v[32:33], v[92:93]
.LBB71_113:                             ;   in Loop: Header=BB71_3 Depth=1
	s_or_b32 exec_lo, exec_lo, s57
	s_barrier_signal -1
	s_barrier_wait -1
	s_and_saveexec_b32 s57, s103
	s_cbranch_execz .LBB71_115
; %bb.114:                              ;   in Loop: Header=BB71_3 Depth=1
	ds_load_b64 v[34:35], v5 offset:2600
	s_wait_dscnt 0x0
	v_pk_mul_f32 v[36:37], v[32:33], v[34:35] op_sel:[1,1] op_sel_hi:[1,0]
	s_delay_alu instid0(VALU_DEP_1) | instskip(SKIP_1) | instid1(VALU_DEP_2)
	v_pk_fma_f32 v[92:93], v[32:33], v[34:35], v[36:37] op_sel_hi:[0,1,1]
	v_pk_fma_f32 v[34:35], v[32:33], v[34:35], v[36:37] neg_lo:[0,0,1] neg_hi:[0,0,1]
	v_mov_b32_e32 v35, v93
	s_delay_alu instid0(VALU_DEP_1)
	v_mov_b64_e32 v[32:33], v[34:35]
	ds_store_b64 v45, v[34:35]
.LBB71_115:                             ;   in Loop: Header=BB71_3 Depth=1
	s_or_b32 exec_lo, exec_lo, s57
	s_wait_dscnt 0x0
	s_barrier_signal -1
	s_barrier_wait -1
	s_and_saveexec_b32 s57, s104
	s_cbranch_execz .LBB71_117
; %bb.116:                              ;   in Loop: Header=BB71_3 Depth=1
	ds_load_b64 v[34:35], v43 offset:2592
	ds_load_b64 v[36:37], v45
	s_wait_dscnt 0x0
	v_pk_mul_f32 v[92:93], v[36:37], v[34:35] op_sel:[1,1] op_sel_hi:[0,1]
	s_delay_alu instid0(VALU_DEP_1) | instskip(SKIP_1) | instid1(VALU_DEP_2)
	v_pk_fma_f32 v[94:95], v[36:37], v[34:35], v[92:93] op_sel_hi:[1,0,1]
	v_pk_fma_f32 v[34:35], v[36:37], v[34:35], v[92:93] neg_lo:[0,0,1] neg_hi:[0,0,1]
	v_mov_b32_e32 v35, v95
	s_delay_alu instid0(VALU_DEP_1)
	v_pk_add_f32 v[32:33], v[32:33], v[34:35]
.LBB71_117:                             ;   in Loop: Header=BB71_3 Depth=1
	s_or_b32 exec_lo, exec_lo, s57
	s_barrier_signal -1
	s_barrier_wait -1
	s_and_saveexec_b32 s57, vcc_hi
	s_cbranch_execz .LBB71_119
; %bb.118:                              ;   in Loop: Header=BB71_3 Depth=1
	ds_load_b64 v[34:35], v5 offset:3120
	s_wait_dscnt 0x0
	v_pk_mul_f32 v[36:37], v[32:33], v[34:35] op_sel:[1,1] op_sel_hi:[1,0]
	s_delay_alu instid0(VALU_DEP_1) | instskip(SKIP_1) | instid1(VALU_DEP_2)
	v_pk_fma_f32 v[92:93], v[32:33], v[34:35], v[36:37] op_sel_hi:[0,1,1]
	v_pk_fma_f32 v[34:35], v[32:33], v[34:35], v[36:37] neg_lo:[0,0,1] neg_hi:[0,0,1]
	v_mov_b32_e32 v35, v93
	s_delay_alu instid0(VALU_DEP_1)
	v_mov_b64_e32 v[32:33], v[34:35]
	ds_store_b64 v45, v[34:35]
.LBB71_119:                             ;   in Loop: Header=BB71_3 Depth=1
	s_or_b32 exec_lo, exec_lo, s57
	s_wait_dscnt 0x0
	s_barrier_signal -1
	s_barrier_wait -1
	s_and_saveexec_b32 s57, s39
	s_cbranch_execz .LBB71_121
; %bb.120:                              ;   in Loop: Header=BB71_3 Depth=1
	ds_load_b64 v[34:35], v5 offset:3128
	ds_load_b64 v[36:37], v45
	s_wait_dscnt 0x0
	v_pk_mul_f32 v[92:93], v[36:37], v[34:35] op_sel:[1,1] op_sel_hi:[0,1]
	s_delay_alu instid0(VALU_DEP_1) | instskip(SKIP_1) | instid1(VALU_DEP_2)
	v_pk_fma_f32 v[94:95], v[36:37], v[34:35], v[92:93] op_sel_hi:[1,0,1]
	v_pk_fma_f32 v[34:35], v[36:37], v[34:35], v[92:93] neg_lo:[0,0,1] neg_hi:[0,0,1]
	v_mov_b32_e32 v35, v95
	s_delay_alu instid0(VALU_DEP_1)
	v_pk_add_f32 v[32:33], v[32:33], v[34:35]
.LBB71_121:                             ;   in Loop: Header=BB71_3 Depth=1
	s_or_b32 exec_lo, exec_lo, s57
	s_barrier_signal -1
	s_barrier_wait -1
	s_and_saveexec_b32 s57, s39
	s_cbranch_execz .LBB71_123
; %bb.122:                              ;   in Loop: Header=BB71_3 Depth=1
	ds_load_b64 v[34:35], v5 offset:3640
	s_wait_dscnt 0x0
	v_pk_mul_f32 v[36:37], v[32:33], v[34:35] op_sel:[1,1] op_sel_hi:[1,0]
	s_delay_alu instid0(VALU_DEP_1) | instskip(SKIP_1) | instid1(VALU_DEP_2)
	v_pk_fma_f32 v[92:93], v[32:33], v[34:35], v[36:37] op_sel_hi:[0,1,1]
	v_pk_fma_f32 v[34:35], v[32:33], v[34:35], v[36:37] neg_lo:[0,0,1] neg_hi:[0,0,1]
	v_mov_b32_e32 v35, v93
	s_delay_alu instid0(VALU_DEP_1)
	v_mov_b64_e32 v[32:33], v[34:35]
	ds_store_b64 v45, v[34:35]
.LBB71_123:                             ;   in Loop: Header=BB71_3 Depth=1
	s_or_b32 exec_lo, exec_lo, s57
	s_wait_dscnt 0x0
	s_barrier_signal -1
	s_barrier_wait -1
	s_barrier_signal -1
	s_barrier_wait -1
	s_and_saveexec_b32 s57, s2
; %bb.124:                              ;   in Loop: Header=BB71_3 Depth=1
	v_pk_add_f32 v[32:33], v[32:33], 0 neg_lo:[1,1] neg_hi:[1,1]
	ds_store_b64 v46, v[32:33] offset:32
; %bb.125:                              ;   in Loop: Header=BB71_3 Depth=1
	s_or_b32 exec_lo, exec_lo, s57
	s_wait_dscnt 0x0
	s_barrier_signal -1
	s_barrier_wait -1
	s_barrier_signal -1
	s_barrier_wait -1
	s_and_saveexec_b32 s57, s40
	s_cbranch_execz .LBB71_127
; %bb.126:                              ;   in Loop: Header=BB71_3 Depth=1
	ds_load_b64 v[32:33], v50 offset:32
	s_wait_dscnt 0x0
	ds_store_b64 v51, v[32:33] offset:2048
	ds_load_b64 v[32:33], v50 offset:40
	s_wait_dscnt 0x0
	ds_store_b64 v51, v[32:33] offset:2560
	ds_load_b64 v[32:33], v50 offset:48
	s_wait_dscnt 0x0
	ds_store_b64 v51, v[32:33] offset:3072
	ds_load_b64 v[32:33], v50 offset:56
	s_wait_dscnt 0x0
	ds_store_b64 v51, v[32:33] offset:3584
.LBB71_127:                             ;   in Loop: Header=BB71_3 Depth=1
	s_or_b32 exec_lo, exec_lo, s57
	s_wait_dscnt 0x0
	s_barrier_signal -1
	s_barrier_wait -1
	s_and_saveexec_b32 s57, s14
	s_cbranch_execz .LBB71_129
; %bb.128:                              ;   in Loop: Header=BB71_3 Depth=1
	ds_load_b128 v[32:35], v5 offset:2080
	ds_load_b64 v[36:37], v5 offset:2600
	s_wait_dscnt 0x1
	v_dual_mov_b32 v94, v35 :: v_dual_mov_b32 v95, v34
	s_wait_dscnt 0x0
	v_dual_mul_f32 v93, v37, v33 :: v_dual_mul_f32 v92, v36, v33
	s_delay_alu instid0(VALU_DEP_1) | instskip(NEXT) | instid1(VALU_DEP_2)
	v_xor_b32_e32 v96, 0x80000000, v93
	v_fmac_f32_e32 v92, v37, v32
	s_delay_alu instid0(VALU_DEP_2) | instskip(NEXT) | instid1(VALU_DEP_2)
	v_fmac_f32_e32 v96, v36, v32
	v_pk_mul_f32 v[32:33], v[92:93], v[94:95] op_sel_hi:[0,1]
	s_delay_alu instid0(VALU_DEP_1) | instskip(SKIP_2) | instid1(VALU_DEP_3)
	v_pk_fma_f32 v[36:37], v[96:97], v[34:35], v[32:33] op_sel_hi:[0,1,1]
	v_pk_fma_f32 v[32:33], v[96:97], v[34:35], v[32:33] neg_lo:[0,0,1] neg_hi:[0,0,1]
	v_add_nc_u32_e64 v34, 0x800, 0
	v_mov_b32_e32 v33, v37
	ds_store_2addr_b64 v34, v[32:33], v[32:33] offset0:5 offset1:68
.LBB71_129:                             ;   in Loop: Header=BB71_3 Depth=1
	s_or_b32 exec_lo, exec_lo, s57
	v_mov_b32_e32 v33, 0
	s_wait_dscnt 0x0
	s_barrier_signal -1
	s_barrier_wait -1
	s_delay_alu instid0(VALU_DEP_1)
	v_mov_b32_e32 v32, v33
	s_and_saveexec_b32 s57, s0
	s_cbranch_execz .LBB71_133
; %bb.130:                              ;   in Loop: Header=BB71_3 Depth=1
	ds_load_b64 v[32:33], v39 offset:2096
	ds_load_b64 v[34:35], v40 offset:2080
	s_wait_dscnt 0x0
	v_dual_mul_f32 v36, v35, v33 :: v_dual_mul_f32 v37, v34, v33
	s_delay_alu instid0(VALU_DEP_1) | instskip(NEXT) | instid1(VALU_DEP_1)
	v_dual_fma_f32 v36, v34, v32, -v36 :: v_dual_fmac_f32 v37, v35, v32
	v_pk_add_f32 v[32:33], v[36:37], 0 op_sel_hi:[1,0]
	s_and_saveexec_b32 s58, s15
	s_cbranch_execz .LBB71_132
; %bb.131:                              ;   in Loop: Header=BB71_3 Depth=1
	ds_load_b64 v[34:35], v51 offset:2608
	ds_load_b64 v[36:37], v5 offset:2088
	s_wait_dscnt 0x0
	v_pk_mul_f32 v[92:93], v[36:37], v[34:35] op_sel:[1,1] op_sel_hi:[0,1]
	s_delay_alu instid0(VALU_DEP_1) | instskip(SKIP_1) | instid1(VALU_DEP_2)
	v_pk_fma_f32 v[94:95], v[36:37], v[34:35], v[92:93] op_sel_hi:[1,0,1]
	v_pk_fma_f32 v[34:35], v[36:37], v[34:35], v[92:93] neg_lo:[0,0,1] neg_hi:[0,0,1]
	v_mov_b32_e32 v35, v95
	s_delay_alu instid0(VALU_DEP_1)
	v_pk_add_f32 v[32:33], v[32:33], v[34:35]
.LBB71_132:                             ;   in Loop: Header=BB71_3 Depth=1
	s_or_b32 exec_lo, exec_lo, s58
	s_delay_alu instid0(VALU_DEP_1)
	v_pk_add_f32 v[32:33], v[32:33], 0 neg_lo:[1,1] neg_hi:[1,1]
.LBB71_133:                             ;   in Loop: Header=BB71_3 Depth=1
	s_or_b32 exec_lo, exec_lo, s57
	s_and_saveexec_b32 s57, s98
	s_cbranch_execz .LBB71_135
; %bb.134:                              ;   in Loop: Header=BB71_3 Depth=1
	ds_load_b64 v[34:35], v5 offset:3120
	s_wait_dscnt 0x0
	v_pk_mul_f32 v[36:37], v[32:33], v[34:35] op_sel:[1,1] op_sel_hi:[1,0]
	s_delay_alu instid0(VALU_DEP_1) | instskip(SKIP_1) | instid1(VALU_DEP_2)
	v_pk_fma_f32 v[92:93], v[32:33], v[34:35], v[36:37] op_sel_hi:[0,1,1]
	v_pk_fma_f32 v[34:35], v[32:33], v[34:35], v[36:37] neg_lo:[0,0,1] neg_hi:[0,0,1]
	v_mov_b32_e32 v35, v93
	s_delay_alu instid0(VALU_DEP_1)
	v_mov_b64_e32 v[32:33], v[34:35]
	ds_store_b64 v3, v[34:35]
.LBB71_135:                             ;   in Loop: Header=BB71_3 Depth=1
	s_or_b32 exec_lo, exec_lo, s57
	s_wait_dscnt 0x0
	s_barrier_signal -1
	s_barrier_wait -1
	s_and_saveexec_b32 s57, s99
	s_cbranch_execz .LBB71_137
; %bb.136:                              ;   in Loop: Header=BB71_3 Depth=1
	ds_load_b64 v[34:35], v5 offset:3128
	ds_load_b64 v[36:37], v3
	s_wait_dscnt 0x0
	v_pk_mul_f32 v[92:93], v[36:37], v[34:35] op_sel:[1,1] op_sel_hi:[0,1]
	s_delay_alu instid0(VALU_DEP_1) | instskip(SKIP_1) | instid1(VALU_DEP_2)
	v_pk_fma_f32 v[94:95], v[36:37], v[34:35], v[92:93] op_sel_hi:[1,0,1]
	v_pk_fma_f32 v[34:35], v[36:37], v[34:35], v[92:93] neg_lo:[0,0,1] neg_hi:[0,0,1]
	v_mov_b32_e32 v35, v95
	s_delay_alu instid0(VALU_DEP_1)
	v_pk_add_f32 v[32:33], v[32:33], v[34:35]
.LBB71_137:                             ;   in Loop: Header=BB71_3 Depth=1
	s_or_b32 exec_lo, exec_lo, s57
	s_barrier_signal -1
	s_barrier_wait -1
	s_and_saveexec_b32 s57, s99
	s_cbranch_execz .LBB71_139
; %bb.138:                              ;   in Loop: Header=BB71_3 Depth=1
	ds_load_b64 v[34:35], v5 offset:3640
	s_wait_dscnt 0x0
	v_pk_mul_f32 v[36:37], v[32:33], v[34:35] op_sel:[1,1] op_sel_hi:[1,0]
	s_delay_alu instid0(VALU_DEP_1) | instskip(SKIP_1) | instid1(VALU_DEP_2)
	v_pk_fma_f32 v[92:93], v[32:33], v[34:35], v[36:37] op_sel_hi:[0,1,1]
	v_pk_fma_f32 v[34:35], v[32:33], v[34:35], v[36:37] neg_lo:[0,0,1] neg_hi:[0,0,1]
	v_mov_b32_e32 v35, v93
	s_delay_alu instid0(VALU_DEP_1)
	v_mov_b64_e32 v[32:33], v[34:35]
	ds_store_b64 v3, v[34:35]
.LBB71_139:                             ;   in Loop: Header=BB71_3 Depth=1
	s_or_b32 exec_lo, exec_lo, s57
	s_wait_dscnt 0x0
	s_barrier_signal -1
	s_barrier_wait -1
	s_barrier_signal -1
	s_barrier_wait -1
	s_and_saveexec_b32 s57, s0
; %bb.140:                              ;   in Loop: Header=BB71_3 Depth=1
	v_pk_add_f32 v[32:33], v[32:33], 0 neg_lo:[1,1] neg_hi:[1,1]
	ds_store_b64 v39, v[32:33] offset:2096
; %bb.141:                              ;   in Loop: Header=BB71_3 Depth=1
	s_or_b32 exec_lo, exec_lo, s57
	s_wait_dscnt 0x0
	s_barrier_signal -1
	s_barrier_wait -1
	s_barrier_signal -1
	s_barrier_wait -1
	s_and_saveexec_b32 s57, s100
	s_cbranch_execz .LBB71_143
; %bb.142:                              ;   in Loop: Header=BB71_3 Depth=1
	ds_load_b64 v[32:33], v54 offset:2096
	s_wait_dscnt 0x0
	ds_store_b64 v51, v[32:33] offset:3104
	ds_load_b64 v[32:33], v54 offset:2104
	s_wait_dscnt 0x0
	ds_store_b64 v51, v[32:33] offset:3616
.LBB71_143:                             ;   in Loop: Header=BB71_3 Depth=1
	s_or_b32 exec_lo, exec_lo, s57
	s_wait_dscnt 0x0
	s_barrier_signal -1
	s_barrier_wait -1
	s_and_saveexec_b32 s57, s14
	s_cbranch_execz .LBB71_145
; %bb.144:                              ;   in Loop: Header=BB71_3 Depth=1
	ds_load_b128 v[32:35], v5 offset:3120
	ds_load_b64 v[36:37], v5 offset:3640
	s_wait_dscnt 0x1
	v_dual_mov_b32 v94, v35 :: v_dual_mov_b32 v95, v34
	s_wait_dscnt 0x0
	v_dual_mul_f32 v93, v37, v33 :: v_dual_mul_f32 v92, v36, v33
	s_delay_alu instid0(VALU_DEP_1) | instskip(NEXT) | instid1(VALU_DEP_2)
	v_xor_b32_e32 v96, 0x80000000, v93
	v_fmac_f32_e32 v92, v37, v32
	s_delay_alu instid0(VALU_DEP_2) | instskip(NEXT) | instid1(VALU_DEP_2)
	v_fmac_f32_e32 v96, v36, v32
	v_pk_mul_f32 v[32:33], v[92:93], v[94:95] op_sel_hi:[0,1]
	s_delay_alu instid0(VALU_DEP_1) | instskip(SKIP_2) | instid1(VALU_DEP_3)
	v_pk_fma_f32 v[36:37], v[96:97], v[34:35], v[32:33] op_sel_hi:[0,1,1]
	v_pk_fma_f32 v[32:33], v[96:97], v[34:35], v[32:33] neg_lo:[0,0,1] neg_hi:[0,0,1]
	v_add_nc_u32_e64 v34, 0x800, 0
	v_mov_b32_e32 v33, v37
	ds_store_2addr_b64 v34, v[32:33], v[32:33] offset0:135 offset1:198
.LBB71_145:                             ;   in Loop: Header=BB71_3 Depth=1
	s_or_b32 exec_lo, exec_lo, s57
	v_mov_b32_e32 v32, 0
	s_wait_dscnt 0x0
	s_barrier_signal -1
	s_barrier_wait -1
	s_delay_alu instid0(VALU_DEP_1)
	v_mov_b32_e32 v33, v32
	s_and_saveexec_b32 s66, s3
	s_cbranch_execz .LBB71_155
; %bb.146:                              ;   in Loop: Header=BB71_3 Depth=1
	ds_load_b64 v[32:33], v56 offset:64
	ds_load_b64 v[34:35], v52
	s_wait_dscnt 0x0
	v_dual_mul_f32 v36, v35, v33 :: v_dual_mul_f32 v37, v34, v33
	s_delay_alu instid0(VALU_DEP_1) | instskip(NEXT) | instid1(VALU_DEP_1)
	v_dual_fma_f32 v33, v34, v32, -v36 :: v_dual_fmac_f32 v37, v35, v32
	v_add_f32_e32 v33, 0, v33
	s_delay_alu instid0(VALU_DEP_2)
	v_add_f32_e32 v32, 0, v37
	s_and_saveexec_b32 s57, s18
	s_cbranch_execnz .LBB71_1112
; %bb.147:                              ;   in Loop: Header=BB71_3 Depth=1
	s_or_b32 exec_lo, exec_lo, s57
	s_and_saveexec_b32 s57, s19
	s_cbranch_execnz .LBB71_1113
.LBB71_148:                             ;   in Loop: Header=BB71_3 Depth=1
	s_or_b32 exec_lo, exec_lo, s57
	s_and_saveexec_b32 s57, s20
	s_cbranch_execnz .LBB71_1114
.LBB71_149:                             ;   in Loop: Header=BB71_3 Depth=1
	s_or_b32 exec_lo, exec_lo, s57
	s_and_saveexec_b32 s57, s21
	s_cbranch_execnz .LBB71_1115
.LBB71_150:                             ;   in Loop: Header=BB71_3 Depth=1
	s_or_b32 exec_lo, exec_lo, s57
	s_and_saveexec_b32 s57, s22
	s_cbranch_execnz .LBB71_1116
.LBB71_151:                             ;   in Loop: Header=BB71_3 Depth=1
	s_or_b32 exec_lo, exec_lo, s57
	s_and_saveexec_b32 s57, s2
	s_cbranch_execnz .LBB71_1117
.LBB71_152:                             ;   in Loop: Header=BB71_3 Depth=1
	s_or_b32 exec_lo, exec_lo, s57
	s_and_saveexec_b32 s57, s17
	s_cbranch_execz .LBB71_154
.LBB71_153:                             ;   in Loop: Header=BB71_3 Depth=1
	ds_load_b64 v[34:35], v58 offset:3648
	ds_load_b64 v[36:37], v5 offset:56
	s_wait_dscnt 0x0
	v_pk_mul_f32 v[92:93], v[36:37], v[34:35] op_sel:[0,1]
	s_delay_alu instid0(VALU_DEP_1) | instskip(SKIP_1) | instid1(VALU_DEP_2)
	v_pk_fma_f32 v[94:95], v[36:37], v[34:35], v[92:93] op_sel:[1,0,0] op_sel_hi:[0,0,1] neg_lo:[0,0,1] neg_hi:[0,0,1]
	v_pk_fma_f32 v[34:35], v[36:37], v[34:35], v[92:93] op_sel:[1,0,0] op_sel_hi:[0,1,1]
	v_mov_b32_e32 v35, v95
	s_delay_alu instid0(VALU_DEP_1)
	v_pk_add_f32 v[32:33], v[32:33], v[34:35]
.LBB71_154:                             ;   in Loop: Header=BB71_3 Depth=1
	s_or_b32 exec_lo, exec_lo, s57
	s_delay_alu instid0(VALU_DEP_1) | instskip(NEXT) | instid1(VALU_DEP_1)
	v_pk_add_f32 v[34:35], v[32:33], 0 neg_lo:[1,1] neg_hi:[1,1]
	v_dual_mov_b32 v32, v35 :: v_dual_mov_b32 v33, v34
.LBB71_155:                             ;   in Loop: Header=BB71_3 Depth=1
	s_or_b32 exec_lo, exec_lo, s66
	s_and_saveexec_b32 s57, s41
	s_cbranch_execz .LBB71_157
; %bb.156:                              ;   in Loop: Header=BB71_3 Depth=1
	ds_load_b64 v[34:35], v5 offset:4160
	v_dual_mov_b32 v36, v33 :: v_dual_mov_b32 v37, v32
	s_wait_dscnt 0x0
	s_delay_alu instid0(VALU_DEP_1) | instskip(NEXT) | instid1(VALU_DEP_1)
	v_dual_mul_f32 v92, v36, v34 :: v_dual_mul_f32 v94, v33, v35
	v_pk_fma_f32 v[36:37], v[36:37], v[34:35], v[92:93] op_sel_hi:[1,1,0]
	s_delay_alu instid0(VALU_DEP_2) | instskip(NEXT) | instid1(VALU_DEP_2)
	v_pk_fma_f32 v[32:33], v[32:33], v[34:35], v[94:95] op_sel_hi:[1,1,0] neg_lo:[0,0,1] neg_hi:[0,0,1]
	v_mov_b32_e32 v33, v37
	ds_store_b64 v55, v[32:33]
.LBB71_157:                             ;   in Loop: Header=BB71_3 Depth=1
	s_or_b32 exec_lo, exec_lo, s57
	s_wait_dscnt 0x0
	s_barrier_signal -1
	s_barrier_wait -1
	s_and_saveexec_b32 s57, s42
	s_cbranch_execz .LBB71_159
; %bb.158:                              ;   in Loop: Header=BB71_3 Depth=1
	ds_load_b64 v[34:35], v53 offset:4160
	ds_load_b64 v[36:37], v55
	s_wait_dscnt 0x0
	v_dual_mul_f32 v92, v37, v35 :: v_dual_mul_f32 v93, v36, v35
	s_delay_alu instid0(VALU_DEP_1) | instskip(NEXT) | instid1(VALU_DEP_1)
	v_dual_fma_f32 v92, v36, v34, -v92 :: v_dual_fmac_f32 v93, v37, v34
	v_pk_add_f32 v[32:33], v[32:33], v[92:93]
.LBB71_159:                             ;   in Loop: Header=BB71_3 Depth=1
	s_or_b32 exec_lo, exec_lo, s57
	s_barrier_signal -1
	s_barrier_wait -1
	s_and_saveexec_b32 s57, s43
	s_cbranch_execz .LBB71_161
; %bb.160:                              ;   in Loop: Header=BB71_3 Depth=1
	ds_load_b64 v[34:35], v5 offset:4680
	s_wait_dscnt 0x0
	v_pk_mul_f32 v[36:37], v[32:33], v[34:35] op_sel:[1,1] op_sel_hi:[1,0]
	s_delay_alu instid0(VALU_DEP_1) | instskip(SKIP_1) | instid1(VALU_DEP_2)
	v_pk_fma_f32 v[92:93], v[32:33], v[34:35], v[36:37] op_sel_hi:[0,1,1]
	v_pk_fma_f32 v[32:33], v[32:33], v[34:35], v[36:37] op_sel_hi:[0,1,1] neg_lo:[0,0,1] neg_hi:[0,0,1]
	v_mov_b32_e32 v33, v93
	ds_store_b64 v55, v[32:33]
.LBB71_161:                             ;   in Loop: Header=BB71_3 Depth=1
	s_or_b32 exec_lo, exec_lo, s57
	s_wait_dscnt 0x0
	s_barrier_signal -1
	s_barrier_wait -1
	s_and_saveexec_b32 s57, s44
	s_cbranch_execz .LBB71_163
; %bb.162:                              ;   in Loop: Header=BB71_3 Depth=1
	ds_load_b64 v[34:35], v53 offset:4672
	ds_load_b64 v[36:37], v55
	s_wait_dscnt 0x0
	v_pk_mul_f32 v[92:93], v[36:37], v[34:35] op_sel:[1,1] op_sel_hi:[0,1]
	s_delay_alu instid0(VALU_DEP_1) | instskip(SKIP_1) | instid1(VALU_DEP_2)
	v_pk_fma_f32 v[94:95], v[36:37], v[34:35], v[92:93] op_sel_hi:[1,0,1]
	v_pk_fma_f32 v[34:35], v[36:37], v[34:35], v[92:93] op_sel_hi:[1,0,1] neg_lo:[0,0,1] neg_hi:[0,0,1]
	v_mov_b32_e32 v35, v95
	s_delay_alu instid0(VALU_DEP_1)
	v_pk_add_f32 v[32:33], v[32:33], v[34:35]
.LBB71_163:                             ;   in Loop: Header=BB71_3 Depth=1
	s_or_b32 exec_lo, exec_lo, s57
	s_barrier_signal -1
	s_barrier_wait -1
	s_and_saveexec_b32 s57, s45
	s_cbranch_execz .LBB71_165
; %bb.164:                              ;   in Loop: Header=BB71_3 Depth=1
	ds_load_b64 v[34:35], v5 offset:5200
	s_wait_dscnt 0x0
	v_pk_mul_f32 v[36:37], v[32:33], v[34:35] op_sel:[1,1] op_sel_hi:[1,0]
	s_delay_alu instid0(VALU_DEP_1) | instskip(SKIP_1) | instid1(VALU_DEP_2)
	v_pk_fma_f32 v[92:93], v[32:33], v[34:35], v[36:37] op_sel_hi:[0,1,1]
	v_pk_fma_f32 v[32:33], v[32:33], v[34:35], v[36:37] op_sel_hi:[0,1,1] neg_lo:[0,0,1] neg_hi:[0,0,1]
	v_mov_b32_e32 v33, v93
	ds_store_b64 v55, v[32:33]
.LBB71_165:                             ;   in Loop: Header=BB71_3 Depth=1
	s_or_b32 exec_lo, exec_lo, s57
	s_wait_dscnt 0x0
	s_barrier_signal -1
	s_barrier_wait -1
	s_and_saveexec_b32 s57, s46
	s_cbranch_execz .LBB71_167
; %bb.166:                              ;   in Loop: Header=BB71_3 Depth=1
	ds_load_b64 v[34:35], v53 offset:5184
	ds_load_b64 v[36:37], v55
	s_wait_dscnt 0x0
	v_pk_mul_f32 v[92:93], v[36:37], v[34:35] op_sel:[1,1] op_sel_hi:[0,1]
	s_delay_alu instid0(VALU_DEP_1) | instskip(SKIP_1) | instid1(VALU_DEP_2)
	v_pk_fma_f32 v[94:95], v[36:37], v[34:35], v[92:93] op_sel_hi:[1,0,1]
	v_pk_fma_f32 v[34:35], v[36:37], v[34:35], v[92:93] op_sel_hi:[1,0,1] neg_lo:[0,0,1] neg_hi:[0,0,1]
	v_mov_b32_e32 v35, v95
	s_delay_alu instid0(VALU_DEP_1)
	v_pk_add_f32 v[32:33], v[32:33], v[34:35]
.LBB71_167:                             ;   in Loop: Header=BB71_3 Depth=1
	;; [unrolled: 33-line block ×3, first 2 shown]
	s_or_b32 exec_lo, exec_lo, s57
	s_barrier_signal -1
	s_barrier_wait -1
	s_and_saveexec_b32 s57, s49
	s_cbranch_execz .LBB71_173
; %bb.172:                              ;   in Loop: Header=BB71_3 Depth=1
	ds_load_b64 v[34:35], v5 offset:6240
	s_wait_dscnt 0x0
	v_dual_mul_f32 v36, v32, v35 :: v_dual_mul_f32 v92, v33, v35
	s_delay_alu instid0(VALU_DEP_1) | instskip(NEXT) | instid1(VALU_DEP_2)
	v_pk_fma_f32 v[36:37], v[32:33], v[34:35], v[36:37] op_sel:[0,1,0] op_sel_hi:[1,0,0]
	v_pk_fma_f32 v[34:35], v[32:33], v[34:35], v[92:93] op_sel_hi:[1,1,0] neg_lo:[0,0,1] neg_hi:[0,0,1]
	s_delay_alu instid0(VALU_DEP_2) | instskip(NEXT) | instid1(VALU_DEP_1)
	v_mov_b32_e32 v35, v37
	v_mov_b64_e32 v[32:33], v[34:35]
	ds_store_b64 v55, v[34:35]
.LBB71_173:                             ;   in Loop: Header=BB71_3 Depth=1
	s_or_b32 exec_lo, exec_lo, s57
	s_wait_dscnt 0x0
	s_barrier_signal -1
	s_barrier_wait -1
	s_and_saveexec_b32 s57, s50
	s_cbranch_execz .LBB71_175
; %bb.174:                              ;   in Loop: Header=BB71_3 Depth=1
	ds_load_b64 v[34:35], v53 offset:6208
	ds_load_b64 v[36:37], v55
	s_wait_dscnt 0x0
	v_dual_mul_f32 v92, v37, v35 :: v_dual_mul_f32 v93, v36, v35
	s_delay_alu instid0(VALU_DEP_1) | instskip(NEXT) | instid1(VALU_DEP_1)
	v_dual_fma_f32 v92, v36, v34, -v92 :: v_dual_fmac_f32 v93, v37, v34
	v_pk_add_f32 v[32:33], v[32:33], v[92:93]
.LBB71_175:                             ;   in Loop: Header=BB71_3 Depth=1
	s_or_b32 exec_lo, exec_lo, s57
	s_barrier_signal -1
	s_barrier_wait -1
	s_and_saveexec_b32 s57, s51
	s_cbranch_execz .LBB71_177
; %bb.176:                              ;   in Loop: Header=BB71_3 Depth=1
	ds_load_b64 v[34:35], v5 offset:6760
	s_wait_dscnt 0x0
	v_pk_mul_f32 v[36:37], v[32:33], v[34:35] op_sel:[1,1] op_sel_hi:[1,0]
	s_delay_alu instid0(VALU_DEP_1) | instskip(SKIP_1) | instid1(VALU_DEP_2)
	v_pk_fma_f32 v[92:93], v[32:33], v[34:35], v[36:37] op_sel_hi:[0,1,1]
	v_pk_fma_f32 v[34:35], v[32:33], v[34:35], v[36:37] neg_lo:[0,0,1] neg_hi:[0,0,1]
	v_mov_b32_e32 v35, v93
	s_delay_alu instid0(VALU_DEP_1)
	v_mov_b64_e32 v[32:33], v[34:35]
	ds_store_b64 v55, v[34:35]
.LBB71_177:                             ;   in Loop: Header=BB71_3 Depth=1
	s_or_b32 exec_lo, exec_lo, s57
	s_wait_dscnt 0x0
	s_barrier_signal -1
	s_barrier_wait -1
	s_and_saveexec_b32 s57, s52
	s_cbranch_execz .LBB71_179
; %bb.178:                              ;   in Loop: Header=BB71_3 Depth=1
	ds_load_b64 v[34:35], v53 offset:6720
	ds_load_b64 v[36:37], v55
	s_wait_dscnt 0x0
	v_pk_mul_f32 v[92:93], v[36:37], v[34:35] op_sel:[1,1] op_sel_hi:[0,1]
	s_delay_alu instid0(VALU_DEP_1) | instskip(SKIP_1) | instid1(VALU_DEP_2)
	v_pk_fma_f32 v[94:95], v[36:37], v[34:35], v[92:93] op_sel_hi:[1,0,1]
	v_pk_fma_f32 v[34:35], v[36:37], v[34:35], v[92:93] neg_lo:[0,0,1] neg_hi:[0,0,1]
	v_mov_b32_e32 v35, v95
	s_delay_alu instid0(VALU_DEP_1)
	v_pk_add_f32 v[32:33], v[32:33], v[34:35]
.LBB71_179:                             ;   in Loop: Header=BB71_3 Depth=1
	s_or_b32 exec_lo, exec_lo, s57
	s_barrier_signal -1
	s_barrier_wait -1
	s_and_saveexec_b32 s57, s53
	s_cbranch_execz .LBB71_181
; %bb.180:                              ;   in Loop: Header=BB71_3 Depth=1
	ds_load_b64 v[34:35], v5 offset:7280
	s_wait_dscnt 0x0
	v_pk_mul_f32 v[36:37], v[32:33], v[34:35] op_sel:[1,1] op_sel_hi:[1,0]
	s_delay_alu instid0(VALU_DEP_1) | instskip(SKIP_1) | instid1(VALU_DEP_2)
	v_pk_fma_f32 v[92:93], v[32:33], v[34:35], v[36:37] op_sel_hi:[0,1,1]
	v_pk_fma_f32 v[34:35], v[32:33], v[34:35], v[36:37] neg_lo:[0,0,1] neg_hi:[0,0,1]
	v_mov_b32_e32 v35, v93
	s_delay_alu instid0(VALU_DEP_1)
	v_mov_b64_e32 v[32:33], v[34:35]
	ds_store_b64 v55, v[34:35]
.LBB71_181:                             ;   in Loop: Header=BB71_3 Depth=1
	s_or_b32 exec_lo, exec_lo, s57
	s_wait_dscnt 0x0
	s_barrier_signal -1
	s_barrier_wait -1
	s_and_saveexec_b32 s57, s54
	s_cbranch_execz .LBB71_183
; %bb.182:                              ;   in Loop: Header=BB71_3 Depth=1
	ds_load_b64 v[34:35], v5 offset:7288
	ds_load_b64 v[36:37], v55
	s_wait_dscnt 0x0
	v_pk_mul_f32 v[92:93], v[36:37], v[34:35] op_sel:[1,1] op_sel_hi:[0,1]
	s_delay_alu instid0(VALU_DEP_1) | instskip(SKIP_1) | instid1(VALU_DEP_2)
	v_pk_fma_f32 v[94:95], v[36:37], v[34:35], v[92:93] op_sel_hi:[1,0,1]
	v_pk_fma_f32 v[34:35], v[36:37], v[34:35], v[92:93] neg_lo:[0,0,1] neg_hi:[0,0,1]
	v_mov_b32_e32 v35, v95
	s_delay_alu instid0(VALU_DEP_1)
	v_pk_add_f32 v[32:33], v[32:33], v[34:35]
.LBB71_183:                             ;   in Loop: Header=BB71_3 Depth=1
	s_or_b32 exec_lo, exec_lo, s57
	s_barrier_signal -1
	s_barrier_wait -1
	s_and_saveexec_b32 s57, s54
	s_cbranch_execz .LBB71_185
; %bb.184:                              ;   in Loop: Header=BB71_3 Depth=1
	ds_load_b64 v[34:35], v5 offset:7800
	s_wait_dscnt 0x0
	v_pk_mul_f32 v[36:37], v[32:33], v[34:35] op_sel:[1,1] op_sel_hi:[1,0]
	s_delay_alu instid0(VALU_DEP_1) | instskip(SKIP_1) | instid1(VALU_DEP_2)
	v_pk_fma_f32 v[92:93], v[32:33], v[34:35], v[36:37] op_sel_hi:[0,1,1]
	v_pk_fma_f32 v[34:35], v[32:33], v[34:35], v[36:37] neg_lo:[0,0,1] neg_hi:[0,0,1]
	v_mov_b32_e32 v35, v93
	s_delay_alu instid0(VALU_DEP_1)
	v_mov_b64_e32 v[32:33], v[34:35]
	ds_store_b64 v55, v[34:35]
.LBB71_185:                             ;   in Loop: Header=BB71_3 Depth=1
	s_or_b32 exec_lo, exec_lo, s57
	s_wait_dscnt 0x0
	s_barrier_signal -1
	s_barrier_wait -1
	s_barrier_signal -1
	s_barrier_wait -1
	s_and_saveexec_b32 s57, s3
; %bb.186:                              ;   in Loop: Header=BB71_3 Depth=1
	v_pk_add_f32 v[32:33], v[32:33], 0 neg_lo:[1,1] neg_hi:[1,1]
	ds_store_b64 v56, v[32:33] offset:64
; %bb.187:                              ;   in Loop: Header=BB71_3 Depth=1
	s_or_b32 exec_lo, exec_lo, s57
	s_wait_dscnt 0x0
	s_barrier_signal -1
	s_barrier_wait -1
	s_barrier_signal -1
	s_barrier_wait -1
	s_and_saveexec_b32 s57, s55
	s_cbranch_execz .LBB71_189
; %bb.188:                              ;   in Loop: Header=BB71_3 Depth=1
	ds_load_b64 v[32:33], v59 offset:64
	s_wait_dscnt 0x0
	ds_store_b64 v60, v[32:33] offset:4096
	ds_load_b64 v[32:33], v59 offset:72
	s_wait_dscnt 0x0
	ds_store_b64 v60, v[32:33] offset:4608
	;; [unrolled: 3-line block ×8, first 2 shown]
.LBB71_189:                             ;   in Loop: Header=BB71_3 Depth=1
	s_or_b32 exec_lo, exec_lo, s57
	s_wait_dscnt 0x0
	s_barrier_signal -1
	s_barrier_wait -1
	s_and_saveexec_b32 s57, s14
	s_cbranch_execz .LBB71_191
; %bb.190:                              ;   in Loop: Header=BB71_3 Depth=1
	ds_load_b128 v[32:35], v5 offset:4160
	ds_load_b64 v[36:37], v5 offset:4680
	s_wait_dscnt 0x1
	v_dual_mov_b32 v94, v35 :: v_dual_mov_b32 v95, v34
	s_wait_dscnt 0x0
	v_dual_mul_f32 v93, v37, v33 :: v_dual_mul_f32 v92, v36, v33
	s_delay_alu instid0(VALU_DEP_1) | instskip(NEXT) | instid1(VALU_DEP_2)
	v_xor_b32_e32 v96, 0x80000000, v93
	v_fmac_f32_e32 v92, v37, v32
	s_delay_alu instid0(VALU_DEP_2) | instskip(NEXT) | instid1(VALU_DEP_2)
	v_fmac_f32_e32 v96, v36, v32
	v_pk_mul_f32 v[32:33], v[92:93], v[94:95] op_sel_hi:[0,1]
	s_delay_alu instid0(VALU_DEP_1) | instskip(SKIP_2) | instid1(VALU_DEP_3)
	v_pk_fma_f32 v[36:37], v[96:97], v[34:35], v[32:33] op_sel_hi:[0,1,1]
	v_pk_fma_f32 v[32:33], v[96:97], v[34:35], v[32:33] neg_lo:[0,0,1] neg_hi:[0,0,1]
	v_add_nc_u32_e64 v34, 0x1000, 0
	v_mov_b32_e32 v33, v37
	ds_store_2addr_b64 v34, v[32:33], v[32:33] offset0:9 offset1:72
.LBB71_191:                             ;   in Loop: Header=BB71_3 Depth=1
	s_or_b32 exec_lo, exec_lo, s57
	v_mov_b32_e32 v33, 0
	s_wait_dscnt 0x0
	s_barrier_signal -1
	s_barrier_wait -1
	s_delay_alu instid0(VALU_DEP_1)
	v_mov_b32_e32 v32, v33
	s_and_saveexec_b32 s57, s0
	s_cbranch_execz .LBB71_195
; %bb.192:                              ;   in Loop: Header=BB71_3 Depth=1
	ds_load_b64 v[32:33], v39 offset:4176
	ds_load_b64 v[34:35], v40 offset:4160
	s_wait_dscnt 0x0
	v_dual_mul_f32 v36, v35, v33 :: v_dual_mul_f32 v37, v34, v33
	s_delay_alu instid0(VALU_DEP_1) | instskip(NEXT) | instid1(VALU_DEP_1)
	v_dual_fma_f32 v36, v34, v32, -v36 :: v_dual_fmac_f32 v37, v35, v32
	v_pk_add_f32 v[32:33], v[36:37], 0 op_sel_hi:[1,0]
	s_and_saveexec_b32 s58, s15
	s_cbranch_execz .LBB71_194
; %bb.193:                              ;   in Loop: Header=BB71_3 Depth=1
	ds_load_b64 v[34:35], v60 offset:4688
	ds_load_b64 v[36:37], v5 offset:4168
	s_wait_dscnt 0x0
	v_pk_mul_f32 v[92:93], v[36:37], v[34:35] op_sel:[1,1] op_sel_hi:[0,1]
	s_delay_alu instid0(VALU_DEP_1) | instskip(SKIP_1) | instid1(VALU_DEP_2)
	v_pk_fma_f32 v[94:95], v[36:37], v[34:35], v[92:93] op_sel_hi:[1,0,1]
	v_pk_fma_f32 v[34:35], v[36:37], v[34:35], v[92:93] neg_lo:[0,0,1] neg_hi:[0,0,1]
	v_mov_b32_e32 v35, v95
	s_delay_alu instid0(VALU_DEP_1)
	v_pk_add_f32 v[32:33], v[32:33], v[34:35]
.LBB71_194:                             ;   in Loop: Header=BB71_3 Depth=1
	s_or_b32 exec_lo, exec_lo, s58
	s_delay_alu instid0(VALU_DEP_1)
	v_pk_add_f32 v[32:33], v[32:33], 0 neg_lo:[1,1] neg_hi:[1,1]
.LBB71_195:                             ;   in Loop: Header=BB71_3 Depth=1
	s_or_b32 exec_lo, exec_lo, s57
	s_and_saveexec_b32 s57, s98
	s_cbranch_execz .LBB71_197
; %bb.196:                              ;   in Loop: Header=BB71_3 Depth=1
	ds_load_b64 v[34:35], v5 offset:5200
	s_wait_dscnt 0x0
	v_pk_mul_f32 v[36:37], v[32:33], v[34:35] op_sel:[1,1] op_sel_hi:[1,0]
	s_delay_alu instid0(VALU_DEP_1) | instskip(SKIP_1) | instid1(VALU_DEP_2)
	v_pk_fma_f32 v[92:93], v[32:33], v[34:35], v[36:37] op_sel_hi:[0,1,1]
	v_pk_fma_f32 v[34:35], v[32:33], v[34:35], v[36:37] neg_lo:[0,0,1] neg_hi:[0,0,1]
	v_mov_b32_e32 v35, v93
	s_delay_alu instid0(VALU_DEP_1)
	v_mov_b64_e32 v[32:33], v[34:35]
	ds_store_b64 v3, v[34:35]
.LBB71_197:                             ;   in Loop: Header=BB71_3 Depth=1
	s_or_b32 exec_lo, exec_lo, s57
	s_wait_dscnt 0x0
	s_barrier_signal -1
	s_barrier_wait -1
	s_and_saveexec_b32 s57, s99
	s_cbranch_execz .LBB71_199
; %bb.198:                              ;   in Loop: Header=BB71_3 Depth=1
	ds_load_b64 v[34:35], v5 offset:5208
	ds_load_b64 v[36:37], v3
	s_wait_dscnt 0x0
	v_pk_mul_f32 v[92:93], v[36:37], v[34:35] op_sel:[1,1] op_sel_hi:[0,1]
	s_delay_alu instid0(VALU_DEP_1) | instskip(SKIP_1) | instid1(VALU_DEP_2)
	v_pk_fma_f32 v[94:95], v[36:37], v[34:35], v[92:93] op_sel_hi:[1,0,1]
	v_pk_fma_f32 v[34:35], v[36:37], v[34:35], v[92:93] neg_lo:[0,0,1] neg_hi:[0,0,1]
	v_mov_b32_e32 v35, v95
	s_delay_alu instid0(VALU_DEP_1)
	v_pk_add_f32 v[32:33], v[32:33], v[34:35]
.LBB71_199:                             ;   in Loop: Header=BB71_3 Depth=1
	s_or_b32 exec_lo, exec_lo, s57
	s_barrier_signal -1
	s_barrier_wait -1
	s_and_saveexec_b32 s57, s99
	s_cbranch_execz .LBB71_201
; %bb.200:                              ;   in Loop: Header=BB71_3 Depth=1
	ds_load_b64 v[34:35], v5 offset:5720
	s_wait_dscnt 0x0
	v_pk_mul_f32 v[36:37], v[32:33], v[34:35] op_sel:[1,1] op_sel_hi:[1,0]
	s_delay_alu instid0(VALU_DEP_1) | instskip(SKIP_1) | instid1(VALU_DEP_2)
	v_pk_fma_f32 v[92:93], v[32:33], v[34:35], v[36:37] op_sel_hi:[0,1,1]
	v_pk_fma_f32 v[34:35], v[32:33], v[34:35], v[36:37] neg_lo:[0,0,1] neg_hi:[0,0,1]
	v_mov_b32_e32 v35, v93
	s_delay_alu instid0(VALU_DEP_1)
	v_mov_b64_e32 v[32:33], v[34:35]
	ds_store_b64 v3, v[34:35]
.LBB71_201:                             ;   in Loop: Header=BB71_3 Depth=1
	s_or_b32 exec_lo, exec_lo, s57
	s_wait_dscnt 0x0
	s_barrier_signal -1
	s_barrier_wait -1
	s_barrier_signal -1
	s_barrier_wait -1
	s_and_saveexec_b32 s57, s0
; %bb.202:                              ;   in Loop: Header=BB71_3 Depth=1
	v_pk_add_f32 v[32:33], v[32:33], 0 neg_lo:[1,1] neg_hi:[1,1]
	ds_store_b64 v39, v[32:33] offset:4176
; %bb.203:                              ;   in Loop: Header=BB71_3 Depth=1
	s_or_b32 exec_lo, exec_lo, s57
	s_wait_dscnt 0x0
	s_barrier_signal -1
	s_barrier_wait -1
	s_barrier_signal -1
	s_barrier_wait -1
	s_and_saveexec_b32 s57, s100
	s_cbranch_execz .LBB71_205
; %bb.204:                              ;   in Loop: Header=BB71_3 Depth=1
	ds_load_b64 v[32:33], v62 offset:4176
	s_wait_dscnt 0x0
	ds_store_b64 v60, v[32:33] offset:5184
	ds_load_b64 v[32:33], v62 offset:4184
	s_wait_dscnt 0x0
	ds_store_b64 v60, v[32:33] offset:5696
.LBB71_205:                             ;   in Loop: Header=BB71_3 Depth=1
	s_or_b32 exec_lo, exec_lo, s57
	s_wait_dscnt 0x0
	s_barrier_signal -1
	s_barrier_wait -1
	s_and_saveexec_b32 s57, s14
	s_cbranch_execz .LBB71_207
; %bb.206:                              ;   in Loop: Header=BB71_3 Depth=1
	ds_load_b128 v[32:35], v5 offset:5200
	ds_load_b64 v[36:37], v5 offset:5720
	s_wait_dscnt 0x1
	v_dual_mov_b32 v94, v35 :: v_dual_mov_b32 v95, v34
	s_wait_dscnt 0x0
	v_dual_mul_f32 v93, v37, v33 :: v_dual_mul_f32 v92, v36, v33
	s_delay_alu instid0(VALU_DEP_1) | instskip(NEXT) | instid1(VALU_DEP_2)
	v_xor_b32_e32 v96, 0x80000000, v93
	v_fmac_f32_e32 v92, v37, v32
	s_delay_alu instid0(VALU_DEP_2) | instskip(NEXT) | instid1(VALU_DEP_2)
	v_fmac_f32_e32 v96, v36, v32
	v_pk_mul_f32 v[32:33], v[92:93], v[94:95] op_sel_hi:[0,1]
	s_delay_alu instid0(VALU_DEP_1) | instskip(SKIP_2) | instid1(VALU_DEP_3)
	v_pk_fma_f32 v[36:37], v[96:97], v[34:35], v[32:33] op_sel_hi:[0,1,1]
	v_pk_fma_f32 v[32:33], v[96:97], v[34:35], v[32:33] neg_lo:[0,0,1] neg_hi:[0,0,1]
	v_add_nc_u32_e64 v34, 0x1000, 0
	v_mov_b32_e32 v33, v37
	ds_store_2addr_b64 v34, v[32:33], v[32:33] offset0:139 offset1:202
.LBB71_207:                             ;   in Loop: Header=BB71_3 Depth=1
	s_or_b32 exec_lo, exec_lo, s57
	v_mov_b32_e32 v32, 0
	s_wait_dscnt 0x0
	s_barrier_signal -1
	s_barrier_wait -1
	s_delay_alu instid0(VALU_DEP_1)
	v_mov_b32_e32 v33, v32
	s_and_saveexec_b32 s66, s2
	s_cbranch_execz .LBB71_213
; %bb.208:                              ;   in Loop: Header=BB71_3 Depth=1
	ds_load_b64 v[32:33], v46 offset:4192
	ds_load_b64 v[34:35], v42 offset:4160
	s_wait_dscnt 0x0
	v_pk_mul_f32 v[36:37], v[34:35], v[32:33] op_sel:[0,1]
	s_delay_alu instid0(VALU_DEP_1) | instskip(SKIP_1) | instid1(VALU_DEP_2)
	v_pk_fma_f32 v[92:93], v[34:35], v[32:33], v[36:37] op_sel:[1,0,0] op_sel_hi:[0,0,1] neg_lo:[0,0,1] neg_hi:[0,0,1]
	v_pk_fma_f32 v[32:33], v[34:35], v[32:33], v[36:37] op_sel:[1,0,0] op_sel_hi:[0,1,1]
	v_mov_b32_e32 v33, v93
	s_delay_alu instid0(VALU_DEP_1)
	v_pk_add_f32 v[32:33], v[32:33], 0 op_sel_hi:[1,0]
	s_and_saveexec_b32 s57, s16
	s_cbranch_execnz .LBB71_1118
; %bb.209:                              ;   in Loop: Header=BB71_3 Depth=1
	s_or_b32 exec_lo, exec_lo, s57
	s_and_saveexec_b32 s57, s17
	s_cbranch_execnz .LBB71_1119
.LBB71_210:                             ;   in Loop: Header=BB71_3 Depth=1
	s_or_b32 exec_lo, exec_lo, s57
	s_and_saveexec_b32 s57, s0
	s_cbranch_execz .LBB71_212
.LBB71_211:                             ;   in Loop: Header=BB71_3 Depth=1
	ds_load_b64 v[34:35], v70 offset:5728
	ds_load_b64 v[36:37], v5 offset:4184
	s_wait_dscnt 0x0
	v_pk_mul_f32 v[92:93], v[36:37], v[34:35] op_sel:[0,1]
	s_delay_alu instid0(VALU_DEP_1) | instskip(SKIP_1) | instid1(VALU_DEP_2)
	v_pk_fma_f32 v[94:95], v[36:37], v[34:35], v[92:93] op_sel:[1,0,0] op_sel_hi:[0,0,1] neg_lo:[0,0,1] neg_hi:[0,0,1]
	v_pk_fma_f32 v[34:35], v[36:37], v[34:35], v[92:93] op_sel:[1,0,0] op_sel_hi:[0,1,1]
	v_mov_b32_e32 v35, v95
	s_delay_alu instid0(VALU_DEP_1)
	v_pk_add_f32 v[32:33], v[32:33], v[34:35]
.LBB71_212:                             ;   in Loop: Header=BB71_3 Depth=1
	s_or_b32 exec_lo, exec_lo, s57
	s_delay_alu instid0(VALU_DEP_1) | instskip(NEXT) | instid1(VALU_DEP_1)
	v_pk_add_f32 v[34:35], v[32:33], 0 neg_lo:[1,1] neg_hi:[1,1]
	v_dual_mov_b32 v32, v35 :: v_dual_mov_b32 v33, v34
.LBB71_213:                             ;   in Loop: Header=BB71_3 Depth=1
	s_or_b32 exec_lo, exec_lo, s66
	s_and_saveexec_b32 s57, s101
	s_cbranch_execz .LBB71_215
; %bb.214:                              ;   in Loop: Header=BB71_3 Depth=1
	ds_load_b64 v[34:35], v5 offset:6240
	v_dual_mov_b32 v36, v33 :: v_dual_mov_b32 v37, v32
	s_wait_dscnt 0x0
	s_delay_alu instid0(VALU_DEP_1) | instskip(NEXT) | instid1(VALU_DEP_1)
	v_dual_mul_f32 v92, v36, v34 :: v_dual_mul_f32 v94, v33, v35
	v_pk_fma_f32 v[36:37], v[36:37], v[34:35], v[92:93] op_sel_hi:[1,1,0]
	s_delay_alu instid0(VALU_DEP_2) | instskip(NEXT) | instid1(VALU_DEP_2)
	v_pk_fma_f32 v[32:33], v[32:33], v[34:35], v[94:95] op_sel_hi:[1,1,0] neg_lo:[0,0,1] neg_hi:[0,0,1]
	v_mov_b32_e32 v33, v37
	ds_store_b64 v45, v[32:33]
.LBB71_215:                             ;   in Loop: Header=BB71_3 Depth=1
	s_or_b32 exec_lo, exec_lo, s57
	s_wait_dscnt 0x0
	s_barrier_signal -1
	s_barrier_wait -1
	s_and_saveexec_b32 s57, s102
	s_cbranch_execz .LBB71_217
; %bb.216:                              ;   in Loop: Header=BB71_3 Depth=1
	ds_load_b64 v[34:35], v43 offset:6240
	ds_load_b64 v[36:37], v45
	s_wait_dscnt 0x0
	v_dual_mul_f32 v92, v37, v35 :: v_dual_mul_f32 v93, v36, v35
	s_delay_alu instid0(VALU_DEP_1) | instskip(NEXT) | instid1(VALU_DEP_1)
	v_dual_fma_f32 v92, v36, v34, -v92 :: v_dual_fmac_f32 v93, v37, v34
	v_pk_add_f32 v[32:33], v[32:33], v[92:93]
.LBB71_217:                             ;   in Loop: Header=BB71_3 Depth=1
	s_or_b32 exec_lo, exec_lo, s57
	s_barrier_signal -1
	s_barrier_wait -1
	s_and_saveexec_b32 s57, s103
	s_cbranch_execz .LBB71_219
; %bb.218:                              ;   in Loop: Header=BB71_3 Depth=1
	ds_load_b64 v[34:35], v5 offset:6760
	s_wait_dscnt 0x0
	v_pk_mul_f32 v[36:37], v[32:33], v[34:35] op_sel:[1,1] op_sel_hi:[1,0]
	s_delay_alu instid0(VALU_DEP_1) | instskip(SKIP_1) | instid1(VALU_DEP_2)
	v_pk_fma_f32 v[92:93], v[32:33], v[34:35], v[36:37] op_sel_hi:[0,1,1]
	v_pk_fma_f32 v[34:35], v[32:33], v[34:35], v[36:37] neg_lo:[0,0,1] neg_hi:[0,0,1]
	v_mov_b32_e32 v35, v93
	s_delay_alu instid0(VALU_DEP_1)
	v_mov_b64_e32 v[32:33], v[34:35]
	ds_store_b64 v45, v[34:35]
.LBB71_219:                             ;   in Loop: Header=BB71_3 Depth=1
	s_or_b32 exec_lo, exec_lo, s57
	s_wait_dscnt 0x0
	s_barrier_signal -1
	s_barrier_wait -1
	s_and_saveexec_b32 s57, s104
	s_cbranch_execz .LBB71_221
; %bb.220:                              ;   in Loop: Header=BB71_3 Depth=1
	ds_load_b64 v[34:35], v43 offset:6752
	ds_load_b64 v[36:37], v45
	s_wait_dscnt 0x0
	v_pk_mul_f32 v[92:93], v[36:37], v[34:35] op_sel:[1,1] op_sel_hi:[0,1]
	s_delay_alu instid0(VALU_DEP_1) | instskip(SKIP_1) | instid1(VALU_DEP_2)
	v_pk_fma_f32 v[94:95], v[36:37], v[34:35], v[92:93] op_sel_hi:[1,0,1]
	v_pk_fma_f32 v[34:35], v[36:37], v[34:35], v[92:93] neg_lo:[0,0,1] neg_hi:[0,0,1]
	v_mov_b32_e32 v35, v95
	s_delay_alu instid0(VALU_DEP_1)
	v_pk_add_f32 v[32:33], v[32:33], v[34:35]
.LBB71_221:                             ;   in Loop: Header=BB71_3 Depth=1
	s_or_b32 exec_lo, exec_lo, s57
	s_barrier_signal -1
	s_barrier_wait -1
	s_and_saveexec_b32 s57, vcc_hi
	s_cbranch_execz .LBB71_223
; %bb.222:                              ;   in Loop: Header=BB71_3 Depth=1
	ds_load_b64 v[34:35], v5 offset:7280
	s_wait_dscnt 0x0
	v_pk_mul_f32 v[36:37], v[32:33], v[34:35] op_sel:[1,1] op_sel_hi:[1,0]
	s_delay_alu instid0(VALU_DEP_1) | instskip(SKIP_1) | instid1(VALU_DEP_2)
	v_pk_fma_f32 v[92:93], v[32:33], v[34:35], v[36:37] op_sel_hi:[0,1,1]
	v_pk_fma_f32 v[34:35], v[32:33], v[34:35], v[36:37] neg_lo:[0,0,1] neg_hi:[0,0,1]
	v_mov_b32_e32 v35, v93
	s_delay_alu instid0(VALU_DEP_1)
	v_mov_b64_e32 v[32:33], v[34:35]
	ds_store_b64 v45, v[34:35]
.LBB71_223:                             ;   in Loop: Header=BB71_3 Depth=1
	s_or_b32 exec_lo, exec_lo, s57
	s_wait_dscnt 0x0
	s_barrier_signal -1
	s_barrier_wait -1
	s_and_saveexec_b32 s57, s39
	s_cbranch_execz .LBB71_225
; %bb.224:                              ;   in Loop: Header=BB71_3 Depth=1
	ds_load_b64 v[34:35], v5 offset:7288
	ds_load_b64 v[36:37], v45
	s_wait_dscnt 0x0
	v_pk_mul_f32 v[92:93], v[36:37], v[34:35] op_sel:[1,1] op_sel_hi:[0,1]
	s_delay_alu instid0(VALU_DEP_1) | instskip(SKIP_1) | instid1(VALU_DEP_2)
	v_pk_fma_f32 v[94:95], v[36:37], v[34:35], v[92:93] op_sel_hi:[1,0,1]
	v_pk_fma_f32 v[34:35], v[36:37], v[34:35], v[92:93] neg_lo:[0,0,1] neg_hi:[0,0,1]
	v_mov_b32_e32 v35, v95
	s_delay_alu instid0(VALU_DEP_1)
	v_pk_add_f32 v[32:33], v[32:33], v[34:35]
.LBB71_225:                             ;   in Loop: Header=BB71_3 Depth=1
	s_or_b32 exec_lo, exec_lo, s57
	s_barrier_signal -1
	s_barrier_wait -1
	s_and_saveexec_b32 s57, s39
	s_cbranch_execz .LBB71_227
; %bb.226:                              ;   in Loop: Header=BB71_3 Depth=1
	ds_load_b64 v[34:35], v5 offset:7800
	s_wait_dscnt 0x0
	v_pk_mul_f32 v[36:37], v[32:33], v[34:35] op_sel:[1,1] op_sel_hi:[1,0]
	s_delay_alu instid0(VALU_DEP_1) | instskip(SKIP_1) | instid1(VALU_DEP_2)
	v_pk_fma_f32 v[92:93], v[32:33], v[34:35], v[36:37] op_sel_hi:[0,1,1]
	v_pk_fma_f32 v[34:35], v[32:33], v[34:35], v[36:37] neg_lo:[0,0,1] neg_hi:[0,0,1]
	v_mov_b32_e32 v35, v93
	s_delay_alu instid0(VALU_DEP_1)
	v_mov_b64_e32 v[32:33], v[34:35]
	ds_store_b64 v45, v[34:35]
.LBB71_227:                             ;   in Loop: Header=BB71_3 Depth=1
	s_or_b32 exec_lo, exec_lo, s57
	s_wait_dscnt 0x0
	s_barrier_signal -1
	s_barrier_wait -1
	s_barrier_signal -1
	s_barrier_wait -1
	s_and_saveexec_b32 s57, s2
; %bb.228:                              ;   in Loop: Header=BB71_3 Depth=1
	v_pk_add_f32 v[32:33], v[32:33], 0 neg_lo:[1,1] neg_hi:[1,1]
	ds_store_b64 v46, v[32:33] offset:4192
; %bb.229:                              ;   in Loop: Header=BB71_3 Depth=1
	s_or_b32 exec_lo, exec_lo, s57
	s_wait_dscnt 0x0
	s_barrier_signal -1
	s_barrier_wait -1
	s_barrier_signal -1
	s_barrier_wait -1
	s_and_saveexec_b32 s57, s40
	s_cbranch_execz .LBB71_231
; %bb.230:                              ;   in Loop: Header=BB71_3 Depth=1
	ds_load_b64 v[32:33], v71 offset:4192
	s_wait_dscnt 0x0
	ds_store_b64 v76, v[32:33] offset:6208
	ds_load_b64 v[32:33], v71 offset:4200
	s_wait_dscnt 0x0
	ds_store_b64 v76, v[32:33] offset:6720
	;; [unrolled: 3-line block ×4, first 2 shown]
.LBB71_231:                             ;   in Loop: Header=BB71_3 Depth=1
	s_or_b32 exec_lo, exec_lo, s57
	s_wait_dscnt 0x0
	s_barrier_signal -1
	s_barrier_wait -1
	s_and_saveexec_b32 s57, s14
	s_cbranch_execz .LBB71_233
; %bb.232:                              ;   in Loop: Header=BB71_3 Depth=1
	ds_load_b128 v[32:35], v5 offset:6240
	ds_load_b64 v[36:37], v5 offset:6760
	s_wait_dscnt 0x1
	v_dual_mov_b32 v94, v35 :: v_dual_mov_b32 v95, v34
	s_wait_dscnt 0x0
	v_dual_mul_f32 v93, v37, v33 :: v_dual_mul_f32 v92, v36, v33
	s_delay_alu instid0(VALU_DEP_1) | instskip(NEXT) | instid1(VALU_DEP_2)
	v_xor_b32_e32 v96, 0x80000000, v93
	v_fmac_f32_e32 v92, v37, v32
	s_delay_alu instid0(VALU_DEP_2) | instskip(NEXT) | instid1(VALU_DEP_2)
	v_fmac_f32_e32 v96, v36, v32
	v_pk_mul_f32 v[32:33], v[92:93], v[94:95] op_sel_hi:[0,1]
	s_delay_alu instid0(VALU_DEP_1) | instskip(SKIP_2) | instid1(VALU_DEP_3)
	v_pk_fma_f32 v[36:37], v[96:97], v[34:35], v[32:33] op_sel_hi:[0,1,1]
	v_pk_fma_f32 v[32:33], v[96:97], v[34:35], v[32:33] neg_lo:[0,0,1] neg_hi:[0,0,1]
	v_add_nc_u32_e64 v34, 0x1800, 0
	v_mov_b32_e32 v33, v37
	ds_store_2addr_b64 v34, v[32:33], v[32:33] offset0:13 offset1:76
.LBB71_233:                             ;   in Loop: Header=BB71_3 Depth=1
	s_or_b32 exec_lo, exec_lo, s57
	v_mov_b32_e32 v33, 0
	s_wait_dscnt 0x0
	s_barrier_signal -1
	s_barrier_wait -1
	s_delay_alu instid0(VALU_DEP_1)
	v_mov_b32_e32 v32, v33
	s_and_saveexec_b32 s57, s0
	s_cbranch_execz .LBB71_237
; %bb.234:                              ;   in Loop: Header=BB71_3 Depth=1
	ds_load_b64 v[32:33], v39 offset:6256
	ds_load_b64 v[34:35], v40 offset:6240
	s_wait_dscnt 0x0
	v_dual_mul_f32 v36, v35, v33 :: v_dual_mul_f32 v37, v34, v33
	s_delay_alu instid0(VALU_DEP_1) | instskip(NEXT) | instid1(VALU_DEP_1)
	v_dual_fma_f32 v36, v34, v32, -v36 :: v_dual_fmac_f32 v37, v35, v32
	v_pk_add_f32 v[32:33], v[36:37], 0 op_sel_hi:[1,0]
	s_and_saveexec_b32 s58, s15
	s_cbranch_execz .LBB71_236
; %bb.235:                              ;   in Loop: Header=BB71_3 Depth=1
	ds_load_b64 v[34:35], v76 offset:6768
	ds_load_b64 v[36:37], v5 offset:6248
	s_wait_dscnt 0x0
	v_pk_mul_f32 v[92:93], v[36:37], v[34:35] op_sel:[1,1] op_sel_hi:[0,1]
	s_delay_alu instid0(VALU_DEP_1) | instskip(SKIP_1) | instid1(VALU_DEP_2)
	v_pk_fma_f32 v[94:95], v[36:37], v[34:35], v[92:93] op_sel_hi:[1,0,1]
	v_pk_fma_f32 v[34:35], v[36:37], v[34:35], v[92:93] neg_lo:[0,0,1] neg_hi:[0,0,1]
	v_mov_b32_e32 v35, v95
	s_delay_alu instid0(VALU_DEP_1)
	v_pk_add_f32 v[32:33], v[32:33], v[34:35]
.LBB71_236:                             ;   in Loop: Header=BB71_3 Depth=1
	s_or_b32 exec_lo, exec_lo, s58
	s_delay_alu instid0(VALU_DEP_1)
	v_pk_add_f32 v[32:33], v[32:33], 0 neg_lo:[1,1] neg_hi:[1,1]
.LBB71_237:                             ;   in Loop: Header=BB71_3 Depth=1
	s_or_b32 exec_lo, exec_lo, s57
	s_and_saveexec_b32 s57, s98
	s_cbranch_execz .LBB71_239
; %bb.238:                              ;   in Loop: Header=BB71_3 Depth=1
	ds_load_b64 v[34:35], v5 offset:7280
	s_wait_dscnt 0x0
	v_pk_mul_f32 v[36:37], v[32:33], v[34:35] op_sel:[1,1] op_sel_hi:[1,0]
	s_delay_alu instid0(VALU_DEP_1) | instskip(SKIP_1) | instid1(VALU_DEP_2)
	v_pk_fma_f32 v[92:93], v[32:33], v[34:35], v[36:37] op_sel_hi:[0,1,1]
	v_pk_fma_f32 v[34:35], v[32:33], v[34:35], v[36:37] neg_lo:[0,0,1] neg_hi:[0,0,1]
	v_mov_b32_e32 v35, v93
	s_delay_alu instid0(VALU_DEP_1)
	v_mov_b64_e32 v[32:33], v[34:35]
	ds_store_b64 v3, v[34:35]
.LBB71_239:                             ;   in Loop: Header=BB71_3 Depth=1
	s_or_b32 exec_lo, exec_lo, s57
	s_wait_dscnt 0x0
	s_barrier_signal -1
	s_barrier_wait -1
	s_and_saveexec_b32 s57, s99
	s_cbranch_execz .LBB71_241
; %bb.240:                              ;   in Loop: Header=BB71_3 Depth=1
	ds_load_b64 v[34:35], v5 offset:7288
	ds_load_b64 v[36:37], v3
	s_wait_dscnt 0x0
	v_pk_mul_f32 v[92:93], v[36:37], v[34:35] op_sel:[1,1] op_sel_hi:[0,1]
	s_delay_alu instid0(VALU_DEP_1) | instskip(SKIP_1) | instid1(VALU_DEP_2)
	v_pk_fma_f32 v[94:95], v[36:37], v[34:35], v[92:93] op_sel_hi:[1,0,1]
	v_pk_fma_f32 v[34:35], v[36:37], v[34:35], v[92:93] neg_lo:[0,0,1] neg_hi:[0,0,1]
	v_mov_b32_e32 v35, v95
	s_delay_alu instid0(VALU_DEP_1)
	v_pk_add_f32 v[32:33], v[32:33], v[34:35]
.LBB71_241:                             ;   in Loop: Header=BB71_3 Depth=1
	s_or_b32 exec_lo, exec_lo, s57
	s_barrier_signal -1
	s_barrier_wait -1
	s_and_saveexec_b32 s57, s99
	s_cbranch_execz .LBB71_243
; %bb.242:                              ;   in Loop: Header=BB71_3 Depth=1
	ds_load_b64 v[34:35], v5 offset:7800
	s_wait_dscnt 0x0
	v_pk_mul_f32 v[36:37], v[32:33], v[34:35] op_sel:[1,1] op_sel_hi:[1,0]
	s_delay_alu instid0(VALU_DEP_1) | instskip(SKIP_1) | instid1(VALU_DEP_2)
	v_pk_fma_f32 v[92:93], v[32:33], v[34:35], v[36:37] op_sel_hi:[0,1,1]
	v_pk_fma_f32 v[34:35], v[32:33], v[34:35], v[36:37] neg_lo:[0,0,1] neg_hi:[0,0,1]
	v_mov_b32_e32 v35, v93
	s_delay_alu instid0(VALU_DEP_1)
	v_mov_b64_e32 v[32:33], v[34:35]
	ds_store_b64 v3, v[34:35]
.LBB71_243:                             ;   in Loop: Header=BB71_3 Depth=1
	s_or_b32 exec_lo, exec_lo, s57
	s_wait_dscnt 0x0
	s_barrier_signal -1
	s_barrier_wait -1
	s_barrier_signal -1
	s_barrier_wait -1
	s_and_saveexec_b32 s57, s0
; %bb.244:                              ;   in Loop: Header=BB71_3 Depth=1
	v_pk_add_f32 v[32:33], v[32:33], 0 neg_lo:[1,1] neg_hi:[1,1]
	ds_store_b64 v39, v[32:33] offset:6256
; %bb.245:                              ;   in Loop: Header=BB71_3 Depth=1
	s_or_b32 exec_lo, exec_lo, s57
	s_wait_dscnt 0x0
	s_barrier_signal -1
	s_barrier_wait -1
	s_barrier_signal -1
	s_barrier_wait -1
	s_and_saveexec_b32 s57, s100
	s_cbranch_execz .LBB71_247
; %bb.246:                              ;   in Loop: Header=BB71_3 Depth=1
	ds_load_b64 v[32:33], v77 offset:6256
	s_wait_dscnt 0x0
	ds_store_b64 v76, v[32:33] offset:7264
	ds_load_b64 v[32:33], v77 offset:6264
	s_wait_dscnt 0x0
	ds_store_b64 v76, v[32:33] offset:7776
.LBB71_247:                             ;   in Loop: Header=BB71_3 Depth=1
	s_or_b32 exec_lo, exec_lo, s57
	s_wait_dscnt 0x0
	s_barrier_signal -1
	s_barrier_wait -1
	s_and_saveexec_b32 s57, s14
	s_cbranch_execz .LBB71_249
; %bb.248:                              ;   in Loop: Header=BB71_3 Depth=1
	ds_load_b128 v[32:35], v5 offset:7280
	ds_load_b64 v[36:37], v5 offset:7800
	s_wait_dscnt 0x1
	v_dual_mov_b32 v94, v35 :: v_dual_mov_b32 v95, v34
	s_wait_dscnt 0x0
	v_dual_mul_f32 v93, v37, v33 :: v_dual_mul_f32 v92, v36, v33
	s_delay_alu instid0(VALU_DEP_1) | instskip(NEXT) | instid1(VALU_DEP_2)
	v_xor_b32_e32 v96, 0x80000000, v93
	v_fmac_f32_e32 v92, v37, v32
	s_delay_alu instid0(VALU_DEP_2) | instskip(NEXT) | instid1(VALU_DEP_2)
	v_fmac_f32_e32 v96, v36, v32
	v_pk_mul_f32 v[32:33], v[92:93], v[94:95] op_sel_hi:[0,1]
	s_delay_alu instid0(VALU_DEP_1) | instskip(SKIP_2) | instid1(VALU_DEP_3)
	v_pk_fma_f32 v[36:37], v[96:97], v[34:35], v[32:33] op_sel_hi:[0,1,1]
	v_pk_fma_f32 v[32:33], v[96:97], v[34:35], v[32:33] neg_lo:[0,0,1] neg_hi:[0,0,1]
	v_add_nc_u32_e64 v34, 0x1800, 0
	v_mov_b32_e32 v33, v37
	ds_store_2addr_b64 v34, v[32:33], v[32:33] offset0:143 offset1:206
.LBB71_249:                             ;   in Loop: Header=BB71_3 Depth=1
	s_or_b32 exec_lo, exec_lo, s57
	v_mov_b32_e32 v32, 0
	s_wait_dscnt 0x0
	s_barrier_signal -1
	s_barrier_wait -1
	s_delay_alu instid0(VALU_DEP_1)
	v_mov_b32_e32 v33, v32
	s_and_saveexec_b32 s66, s4
	s_cbranch_execz .LBB71_277
; %bb.250:                              ;   in Loop: Header=BB71_3 Depth=1
	ds_load_b64 v[32:33], v65 offset:128
	ds_load_b64 v[34:35], v61
	s_wait_dscnt 0x0
	v_dual_mul_f32 v36, v35, v33 :: v_dual_mul_f32 v37, v34, v33
	s_delay_alu instid0(VALU_DEP_1) | instskip(NEXT) | instid1(VALU_DEP_1)
	v_dual_fma_f32 v33, v34, v32, -v36 :: v_dual_fmac_f32 v37, v35, v32
	v_add_f32_e32 v33, 0, v33
	s_delay_alu instid0(VALU_DEP_2) | instskip(SKIP_3) | instid1(SALU_CYCLE_1)
	v_add_f32_e32 v32, 0, v37
	s_mov_b32 s57, exec_lo
	v_readlane_b32 s58, v102, 31
	s_and_b32 s58, s57, s58
	s_mov_b32 exec_lo, s58
	s_cbranch_execz .LBB71_252
; %bb.251:                              ;   in Loop: Header=BB71_3 Depth=1
	ds_load_b64 v[34:35], v66 offset:640
	ds_load_b64 v[36:37], v61 offset:8
	s_wait_dscnt 0x0
	v_dual_mul_f32 v92, v37, v35 :: v_dual_mul_f32 v35, v36, v35
	s_delay_alu instid0(VALU_DEP_1) | instskip(NEXT) | instid1(VALU_DEP_1)
	v_dual_fma_f32 v36, v36, v34, -v92 :: v_dual_fmac_f32 v35, v37, v34
	v_dual_add_f32 v33, v33, v36 :: v_dual_add_f32 v32, v32, v35
.LBB71_252:                             ;   in Loop: Header=BB71_3 Depth=1
	s_or_b32 exec_lo, exec_lo, s57
	s_delay_alu instid0(SALU_CYCLE_1) | instskip(SKIP_2) | instid1(SALU_CYCLE_1)
	s_mov_b32 s57, exec_lo
	v_readlane_b32 s58, v101, 0
	s_and_b32 s58, s57, s58
	s_mov_b32 exec_lo, s58
	s_cbranch_execz .LBB71_254
; %bb.253:                              ;   in Loop: Header=BB71_3 Depth=1
	ds_load_b64 v[34:35], v66 offset:1152
	ds_load_b64 v[36:37], v61 offset:16
	s_wait_dscnt 0x0
	v_dual_mul_f32 v92, v37, v35 :: v_dual_mul_f32 v35, v36, v35
	s_delay_alu instid0(VALU_DEP_1) | instskip(NEXT) | instid1(VALU_DEP_1)
	v_dual_fma_f32 v36, v36, v34, -v92 :: v_dual_fmac_f32 v35, v37, v34
	v_dual_add_f32 v33, v33, v36 :: v_dual_add_f32 v32, v32, v35
.LBB71_254:                             ;   in Loop: Header=BB71_3 Depth=1
	s_or_b32 exec_lo, exec_lo, s57
	s_delay_alu instid0(SALU_CYCLE_1) | instskip(SKIP_2) | instid1(SALU_CYCLE_1)
	;; [unrolled: 16-line block ×10, first 2 shown]
	s_mov_b32 s57, exec_lo
	v_readlane_b32 s58, v101, 9
	s_and_b32 s58, s57, s58
	s_mov_b32 exec_lo, s58
	s_cbranch_execnz .LBB71_1120
; %bb.271:                              ;   in Loop: Header=BB71_3 Depth=1
	s_or_b32 exec_lo, exec_lo, s57
	s_and_saveexec_b32 s57, s3
	s_cbranch_execnz .LBB71_1121
.LBB71_272:                             ;   in Loop: Header=BB71_3 Depth=1
	s_or_b32 exec_lo, exec_lo, s57
	s_and_saveexec_b32 s57, s19
	s_cbranch_execnz .LBB71_1122
.LBB71_273:                             ;   in Loop: Header=BB71_3 Depth=1
	s_or_b32 exec_lo, exec_lo, s57
	s_and_saveexec_b32 s57, s21
	s_cbranch_execnz .LBB71_1123
.LBB71_274:                             ;   in Loop: Header=BB71_3 Depth=1
	s_or_b32 exec_lo, exec_lo, s57
	s_and_saveexec_b32 s57, s2
	s_cbranch_execz .LBB71_276
.LBB71_275:                             ;   in Loop: Header=BB71_3 Depth=1
	ds_load_b64 v[34:35], v41 offset:7808
	ds_load_b64 v[36:37], v5 offset:120
	s_wait_dscnt 0x0
	v_pk_mul_f32 v[92:93], v[36:37], v[34:35] op_sel:[0,1]
	s_delay_alu instid0(VALU_DEP_1) | instskip(SKIP_1) | instid1(VALU_DEP_2)
	v_pk_fma_f32 v[94:95], v[36:37], v[34:35], v[92:93] op_sel:[1,0,0] op_sel_hi:[0,0,1] neg_lo:[0,0,1] neg_hi:[0,0,1]
	v_pk_fma_f32 v[34:35], v[36:37], v[34:35], v[92:93] op_sel:[1,0,0] op_sel_hi:[0,1,1]
	v_mov_b32_e32 v35, v95
	s_delay_alu instid0(VALU_DEP_1)
	v_pk_add_f32 v[32:33], v[32:33], v[34:35]
.LBB71_276:                             ;   in Loop: Header=BB71_3 Depth=1
	s_or_b32 exec_lo, exec_lo, s57
	s_delay_alu instid0(VALU_DEP_1) | instskip(NEXT) | instid1(VALU_DEP_1)
	v_pk_add_f32 v[34:35], v[32:33], 0 neg_lo:[1,1] neg_hi:[1,1]
	v_dual_mov_b32 v32, v35 :: v_dual_mov_b32 v33, v34
.LBB71_277:                             ;   in Loop: Header=BB71_3 Depth=1
	s_or_b32 exec_lo, exec_lo, s66
	s_delay_alu instid0(SALU_CYCLE_1) | instskip(SKIP_2) | instid1(SALU_CYCLE_1)
	s_mov_b32 s57, exec_lo
	v_readlane_b32 s58, v102, 5
	s_and_b32 s58, s57, s58
	s_mov_b32 exec_lo, s58
	s_cbranch_execz .LBB71_279
; %bb.278:                              ;   in Loop: Header=BB71_3 Depth=1
	ds_load_b64 v[34:35], v5 offset:8320
	v_dual_mov_b32 v36, v33 :: v_dual_mov_b32 v37, v32
	s_wait_dscnt 0x0
	s_delay_alu instid0(VALU_DEP_1) | instskip(NEXT) | instid1(VALU_DEP_1)
	v_dual_mul_f32 v92, v36, v34 :: v_dual_mul_f32 v94, v33, v35
	v_pk_fma_f32 v[36:37], v[36:37], v[34:35], v[92:93] op_sel_hi:[1,1,0]
	s_delay_alu instid0(VALU_DEP_2) | instskip(NEXT) | instid1(VALU_DEP_2)
	v_pk_fma_f32 v[32:33], v[32:33], v[34:35], v[94:95] op_sel_hi:[1,1,0] neg_lo:[0,0,1] neg_hi:[0,0,1]
	v_mov_b32_e32 v33, v37
	ds_store_b64 v64, v[32:33]
.LBB71_279:                             ;   in Loop: Header=BB71_3 Depth=1
	s_or_b32 exec_lo, exec_lo, s57
	s_wait_dscnt 0x0
	s_barrier_signal -1
	s_barrier_wait -1
	s_mov_b32 s57, exec_lo
	v_readlane_b32 s58, v102, 6
	s_and_b32 s58, s57, s58
	s_delay_alu instid0(SALU_CYCLE_1)
	s_mov_b32 exec_lo, s58
	s_cbranch_execz .LBB71_281
; %bb.280:                              ;   in Loop: Header=BB71_3 Depth=1
	ds_load_b64 v[34:35], v63 offset:8320
	ds_load_b64 v[36:37], v64
	s_wait_dscnt 0x0
	v_dual_mul_f32 v92, v37, v35 :: v_dual_mul_f32 v93, v36, v35
	s_delay_alu instid0(VALU_DEP_1) | instskip(NEXT) | instid1(VALU_DEP_1)
	v_dual_fma_f32 v92, v36, v34, -v92 :: v_dual_fmac_f32 v93, v37, v34
	v_pk_add_f32 v[32:33], v[32:33], v[92:93]
.LBB71_281:                             ;   in Loop: Header=BB71_3 Depth=1
	s_or_b32 exec_lo, exec_lo, s57
	s_barrier_signal -1
	s_barrier_wait -1
	s_mov_b32 s57, exec_lo
	v_readlane_b32 s58, v102, 7
	s_and_b32 s58, s57, s58
	s_delay_alu instid0(SALU_CYCLE_1)
	s_mov_b32 exec_lo, s58
	s_cbranch_execz .LBB71_283
; %bb.282:                              ;   in Loop: Header=BB71_3 Depth=1
	ds_load_b64 v[34:35], v5 offset:8840
	s_wait_dscnt 0x0
	v_pk_mul_f32 v[36:37], v[32:33], v[34:35] op_sel:[1,1] op_sel_hi:[1,0]
	s_delay_alu instid0(VALU_DEP_1) | instskip(SKIP_1) | instid1(VALU_DEP_2)
	v_pk_fma_f32 v[92:93], v[32:33], v[34:35], v[36:37] op_sel_hi:[0,1,1]
	v_pk_fma_f32 v[32:33], v[32:33], v[34:35], v[36:37] op_sel_hi:[0,1,1] neg_lo:[0,0,1] neg_hi:[0,0,1]
	v_mov_b32_e32 v33, v93
	ds_store_b64 v64, v[32:33]
.LBB71_283:                             ;   in Loop: Header=BB71_3 Depth=1
	s_or_b32 exec_lo, exec_lo, s57
	s_wait_dscnt 0x0
	s_barrier_signal -1
	s_barrier_wait -1
	s_mov_b32 s57, exec_lo
	v_readlane_b32 s58, v102, 8
	s_and_b32 s58, s57, s58
	s_delay_alu instid0(SALU_CYCLE_1)
	s_mov_b32 exec_lo, s58
	s_cbranch_execz .LBB71_285
; %bb.284:                              ;   in Loop: Header=BB71_3 Depth=1
	ds_load_b64 v[34:35], v63 offset:8832
	ds_load_b64 v[36:37], v64
	s_wait_dscnt 0x0
	v_pk_mul_f32 v[92:93], v[36:37], v[34:35] op_sel:[1,1] op_sel_hi:[0,1]
	s_delay_alu instid0(VALU_DEP_1) | instskip(SKIP_1) | instid1(VALU_DEP_2)
	v_pk_fma_f32 v[94:95], v[36:37], v[34:35], v[92:93] op_sel_hi:[1,0,1]
	v_pk_fma_f32 v[34:35], v[36:37], v[34:35], v[92:93] op_sel_hi:[1,0,1] neg_lo:[0,0,1] neg_hi:[0,0,1]
	v_mov_b32_e32 v35, v95
	s_delay_alu instid0(VALU_DEP_1)
	v_pk_add_f32 v[32:33], v[32:33], v[34:35]
.LBB71_285:                             ;   in Loop: Header=BB71_3 Depth=1
	s_or_b32 exec_lo, exec_lo, s57
	s_barrier_signal -1
	s_barrier_wait -1
	s_mov_b32 s57, exec_lo
	v_readlane_b32 s58, v102, 9
	s_and_b32 s58, s57, s58
	s_delay_alu instid0(SALU_CYCLE_1)
	s_mov_b32 exec_lo, s58
	s_cbranch_execz .LBB71_287
; %bb.286:                              ;   in Loop: Header=BB71_3 Depth=1
	ds_load_b64 v[34:35], v5 offset:9360
	s_wait_dscnt 0x0
	v_pk_mul_f32 v[36:37], v[32:33], v[34:35] op_sel:[1,1] op_sel_hi:[1,0]
	s_delay_alu instid0(VALU_DEP_1) | instskip(SKIP_1) | instid1(VALU_DEP_2)
	v_pk_fma_f32 v[92:93], v[32:33], v[34:35], v[36:37] op_sel_hi:[0,1,1]
	v_pk_fma_f32 v[32:33], v[32:33], v[34:35], v[36:37] op_sel_hi:[0,1,1] neg_lo:[0,0,1] neg_hi:[0,0,1]
	v_mov_b32_e32 v33, v93
	ds_store_b64 v64, v[32:33]
.LBB71_287:                             ;   in Loop: Header=BB71_3 Depth=1
	s_or_b32 exec_lo, exec_lo, s57
	s_wait_dscnt 0x0
	s_barrier_signal -1
	s_barrier_wait -1
	s_and_saveexec_b32 s57, s61
	s_cbranch_execz .LBB71_289
; %bb.288:                              ;   in Loop: Header=BB71_3 Depth=1
	ds_load_b64 v[34:35], v63 offset:9344
	ds_load_b64 v[36:37], v64
	s_wait_dscnt 0x0
	v_pk_mul_f32 v[92:93], v[36:37], v[34:35] op_sel:[1,1] op_sel_hi:[0,1]
	s_delay_alu instid0(VALU_DEP_1) | instskip(SKIP_1) | instid1(VALU_DEP_2)
	v_pk_fma_f32 v[94:95], v[36:37], v[34:35], v[92:93] op_sel_hi:[1,0,1]
	v_pk_fma_f32 v[34:35], v[36:37], v[34:35], v[92:93] op_sel_hi:[1,0,1] neg_lo:[0,0,1] neg_hi:[0,0,1]
	v_mov_b32_e32 v35, v95
	s_delay_alu instid0(VALU_DEP_1)
	v_pk_add_f32 v[32:33], v[32:33], v[34:35]
.LBB71_289:                             ;   in Loop: Header=BB71_3 Depth=1
	s_or_b32 exec_lo, exec_lo, s57
	s_barrier_signal -1
	s_barrier_wait -1
	s_and_saveexec_b32 s57, s62
	s_cbranch_execz .LBB71_291
; %bb.290:                              ;   in Loop: Header=BB71_3 Depth=1
	ds_load_b64 v[34:35], v5 offset:9880
	s_wait_dscnt 0x0
	v_pk_mul_f32 v[36:37], v[32:33], v[34:35] op_sel:[1,1] op_sel_hi:[1,0]
	s_delay_alu instid0(VALU_DEP_1) | instskip(SKIP_1) | instid1(VALU_DEP_2)
	v_pk_fma_f32 v[92:93], v[32:33], v[34:35], v[36:37] op_sel_hi:[0,1,1]
	v_pk_fma_f32 v[32:33], v[32:33], v[34:35], v[36:37] op_sel_hi:[0,1,1] neg_lo:[0,0,1] neg_hi:[0,0,1]
	v_mov_b32_e32 v33, v93
	ds_store_b64 v64, v[32:33]
.LBB71_291:                             ;   in Loop: Header=BB71_3 Depth=1
	s_or_b32 exec_lo, exec_lo, s57
	s_wait_dscnt 0x0
	s_barrier_signal -1
	s_barrier_wait -1
	s_and_saveexec_b32 s57, s63
	s_cbranch_execz .LBB71_293
; %bb.292:                              ;   in Loop: Header=BB71_3 Depth=1
	ds_load_b64 v[34:35], v63 offset:9856
	ds_load_b64 v[36:37], v64
	s_wait_dscnt 0x0
	v_pk_mul_f32 v[92:93], v[36:37], v[34:35] op_sel:[1,1] op_sel_hi:[0,1]
	s_delay_alu instid0(VALU_DEP_1) | instskip(SKIP_1) | instid1(VALU_DEP_2)
	v_pk_fma_f32 v[94:95], v[36:37], v[34:35], v[92:93] op_sel_hi:[1,0,1]
	v_pk_fma_f32 v[34:35], v[36:37], v[34:35], v[92:93] op_sel_hi:[1,0,1] neg_lo:[0,0,1] neg_hi:[0,0,1]
	v_mov_b32_e32 v35, v95
	s_delay_alu instid0(VALU_DEP_1)
	v_pk_add_f32 v[32:33], v[32:33], v[34:35]
.LBB71_293:                             ;   in Loop: Header=BB71_3 Depth=1
	s_or_b32 exec_lo, exec_lo, s57
	s_barrier_signal -1
	s_barrier_wait -1
	s_and_saveexec_b32 s57, s64
	s_cbranch_execz .LBB71_295
; %bb.294:                              ;   in Loop: Header=BB71_3 Depth=1
	ds_load_b64 v[34:35], v5 offset:10400
	s_wait_dscnt 0x0
	v_dual_mul_f32 v36, v32, v35 :: v_dual_mul_f32 v92, v33, v35
	s_delay_alu instid0(VALU_DEP_1) | instskip(NEXT) | instid1(VALU_DEP_2)
	v_pk_fma_f32 v[36:37], v[32:33], v[34:35], v[36:37] op_sel:[0,1,0] op_sel_hi:[1,0,0]
	v_pk_fma_f32 v[34:35], v[32:33], v[34:35], v[92:93] op_sel_hi:[1,1,0] neg_lo:[0,0,1] neg_hi:[0,0,1]
	s_delay_alu instid0(VALU_DEP_2) | instskip(NEXT) | instid1(VALU_DEP_1)
	v_mov_b32_e32 v35, v37
	v_mov_b64_e32 v[32:33], v[34:35]
	ds_store_b64 v64, v[34:35]
.LBB71_295:                             ;   in Loop: Header=BB71_3 Depth=1
	s_or_b32 exec_lo, exec_lo, s57
	s_wait_dscnt 0x0
	s_barrier_signal -1
	s_barrier_wait -1
	s_and_saveexec_b32 s57, s65
	s_cbranch_execz .LBB71_297
; %bb.296:                              ;   in Loop: Header=BB71_3 Depth=1
	ds_load_b64 v[34:35], v63 offset:10368
	ds_load_b64 v[36:37], v64
	s_wait_dscnt 0x0
	v_dual_mul_f32 v92, v37, v35 :: v_dual_mul_f32 v93, v36, v35
	s_delay_alu instid0(VALU_DEP_1) | instskip(NEXT) | instid1(VALU_DEP_1)
	v_dual_fma_f32 v92, v36, v34, -v92 :: v_dual_fmac_f32 v93, v37, v34
	v_pk_add_f32 v[32:33], v[32:33], v[92:93]
.LBB71_297:                             ;   in Loop: Header=BB71_3 Depth=1
	s_or_b32 exec_lo, exec_lo, s57
	s_barrier_signal -1
	s_barrier_wait -1
	s_and_saveexec_b32 s57, s12
	s_cbranch_execz .LBB71_299
; %bb.298:                              ;   in Loop: Header=BB71_3 Depth=1
	ds_load_b64 v[34:35], v5 offset:10920
	s_wait_dscnt 0x0
	v_pk_mul_f32 v[36:37], v[32:33], v[34:35] op_sel:[1,1] op_sel_hi:[1,0]
	s_delay_alu instid0(VALU_DEP_1) | instskip(SKIP_1) | instid1(VALU_DEP_2)
	v_pk_fma_f32 v[92:93], v[32:33], v[34:35], v[36:37] op_sel_hi:[0,1,1]
	v_pk_fma_f32 v[32:33], v[32:33], v[34:35], v[36:37] op_sel_hi:[0,1,1] neg_lo:[0,0,1] neg_hi:[0,0,1]
	v_mov_b32_e32 v33, v93
	ds_store_b64 v64, v[32:33]
.LBB71_299:                             ;   in Loop: Header=BB71_3 Depth=1
	s_or_b32 exec_lo, exec_lo, s57
	s_wait_dscnt 0x0
	s_barrier_signal -1
	s_barrier_wait -1
	s_and_saveexec_b32 s57, s13
	s_cbranch_execz .LBB71_301
; %bb.300:                              ;   in Loop: Header=BB71_3 Depth=1
	ds_load_b64 v[34:35], v63 offset:10880
	ds_load_b64 v[36:37], v64
	s_wait_dscnt 0x0
	v_pk_mul_f32 v[92:93], v[36:37], v[34:35] op_sel:[1,1] op_sel_hi:[0,1]
	s_delay_alu instid0(VALU_DEP_1) | instskip(SKIP_1) | instid1(VALU_DEP_2)
	v_pk_fma_f32 v[94:95], v[36:37], v[34:35], v[92:93] op_sel_hi:[1,0,1]
	v_pk_fma_f32 v[34:35], v[36:37], v[34:35], v[92:93] op_sel_hi:[1,0,1] neg_lo:[0,0,1] neg_hi:[0,0,1]
	v_mov_b32_e32 v35, v95
	s_delay_alu instid0(VALU_DEP_1)
	v_pk_add_f32 v[32:33], v[32:33], v[34:35]
.LBB71_301:                             ;   in Loop: Header=BB71_3 Depth=1
	s_or_b32 exec_lo, exec_lo, s57
	s_barrier_signal -1
	s_barrier_wait -1
	s_and_saveexec_b32 s57, s23
	s_cbranch_execz .LBB71_303
; %bb.302:                              ;   in Loop: Header=BB71_3 Depth=1
	ds_load_b64 v[34:35], v5 offset:11440
	s_wait_dscnt 0x0
	v_pk_mul_f32 v[36:37], v[32:33], v[34:35] op_sel:[1,1] op_sel_hi:[1,0]
	s_delay_alu instid0(VALU_DEP_1) | instskip(SKIP_1) | instid1(VALU_DEP_2)
	v_pk_fma_f32 v[92:93], v[32:33], v[34:35], v[36:37] op_sel_hi:[0,1,1]
	v_pk_fma_f32 v[32:33], v[32:33], v[34:35], v[36:37] op_sel_hi:[0,1,1] neg_lo:[0,0,1] neg_hi:[0,0,1]
	v_mov_b32_e32 v33, v93
	ds_store_b64 v64, v[32:33]
.LBB71_303:                             ;   in Loop: Header=BB71_3 Depth=1
	s_or_b32 exec_lo, exec_lo, s57
	s_wait_dscnt 0x0
	s_barrier_signal -1
	s_barrier_wait -1
	s_and_saveexec_b32 s57, s25
	s_cbranch_execz .LBB71_305
; %bb.304:                              ;   in Loop: Header=BB71_3 Depth=1
	ds_load_b64 v[34:35], v63 offset:11392
	ds_load_b64 v[36:37], v64
	s_wait_dscnt 0x0
	v_pk_mul_f32 v[92:93], v[36:37], v[34:35] op_sel:[1,1] op_sel_hi:[0,1]
	s_delay_alu instid0(VALU_DEP_1) | instskip(SKIP_1) | instid1(VALU_DEP_2)
	v_pk_fma_f32 v[94:95], v[36:37], v[34:35], v[92:93] op_sel_hi:[1,0,1]
	v_pk_fma_f32 v[34:35], v[36:37], v[34:35], v[92:93] op_sel_hi:[1,0,1] neg_lo:[0,0,1] neg_hi:[0,0,1]
	v_mov_b32_e32 v35, v95
	s_delay_alu instid0(VALU_DEP_1)
	v_pk_add_f32 v[32:33], v[32:33], v[34:35]
.LBB71_305:                             ;   in Loop: Header=BB71_3 Depth=1
	s_or_b32 exec_lo, exec_lo, s57
	s_barrier_signal -1
	s_barrier_wait -1
	s_and_saveexec_b32 s57, s27
	s_cbranch_execz .LBB71_307
; %bb.306:                              ;   in Loop: Header=BB71_3 Depth=1
	ds_load_b64 v[34:35], v5 offset:11960
	s_wait_dscnt 0x0
	v_pk_mul_f32 v[36:37], v[32:33], v[34:35] op_sel:[1,1] op_sel_hi:[1,0]
	s_delay_alu instid0(VALU_DEP_1) | instskip(SKIP_1) | instid1(VALU_DEP_2)
	v_pk_fma_f32 v[92:93], v[32:33], v[34:35], v[36:37] op_sel_hi:[0,1,1]
	v_pk_fma_f32 v[32:33], v[32:33], v[34:35], v[36:37] op_sel_hi:[0,1,1] neg_lo:[0,0,1] neg_hi:[0,0,1]
	v_mov_b32_e32 v33, v93
	ds_store_b64 v64, v[32:33]
.LBB71_307:                             ;   in Loop: Header=BB71_3 Depth=1
	s_or_b32 exec_lo, exec_lo, s57
	s_wait_dscnt 0x0
	s_barrier_signal -1
	s_barrier_wait -1
	s_and_saveexec_b32 s57, s29
	s_cbranch_execz .LBB71_309
; %bb.308:                              ;   in Loop: Header=BB71_3 Depth=1
	ds_load_b64 v[34:35], v63 offset:11904
	ds_load_b64 v[36:37], v64
	s_wait_dscnt 0x0
	v_pk_mul_f32 v[92:93], v[36:37], v[34:35] op_sel:[1,1] op_sel_hi:[0,1]
	s_delay_alu instid0(VALU_DEP_1) | instskip(SKIP_1) | instid1(VALU_DEP_2)
	v_pk_fma_f32 v[94:95], v[36:37], v[34:35], v[92:93] op_sel_hi:[1,0,1]
	v_pk_fma_f32 v[34:35], v[36:37], v[34:35], v[92:93] op_sel_hi:[1,0,1] neg_lo:[0,0,1] neg_hi:[0,0,1]
	v_mov_b32_e32 v35, v95
	s_delay_alu instid0(VALU_DEP_1)
	v_pk_add_f32 v[32:33], v[32:33], v[34:35]
.LBB71_309:                             ;   in Loop: Header=BB71_3 Depth=1
	s_or_b32 exec_lo, exec_lo, s57
	s_barrier_signal -1
	s_barrier_wait -1
	s_and_saveexec_b32 s57, s31
	s_cbranch_execz .LBB71_311
; %bb.310:                              ;   in Loop: Header=BB71_3 Depth=1
	ds_load_b64 v[34:35], v5 offset:12480
	s_wait_dscnt 0x0
	v_dual_mul_f32 v36, v32, v35 :: v_dual_mul_f32 v92, v33, v35
	s_delay_alu instid0(VALU_DEP_1) | instskip(NEXT) | instid1(VALU_DEP_2)
	v_pk_fma_f32 v[36:37], v[32:33], v[34:35], v[36:37] op_sel:[0,1,0] op_sel_hi:[1,0,0]
	v_pk_fma_f32 v[34:35], v[32:33], v[34:35], v[92:93] op_sel_hi:[1,1,0] neg_lo:[0,0,1] neg_hi:[0,0,1]
	s_delay_alu instid0(VALU_DEP_2) | instskip(NEXT) | instid1(VALU_DEP_1)
	v_mov_b32_e32 v35, v37
	v_mov_b64_e32 v[32:33], v[34:35]
	ds_store_b64 v64, v[34:35]
.LBB71_311:                             ;   in Loop: Header=BB71_3 Depth=1
	s_or_b32 exec_lo, exec_lo, s57
	s_wait_dscnt 0x0
	s_barrier_signal -1
	s_barrier_wait -1
	s_and_saveexec_b32 s57, s34
	s_cbranch_execz .LBB71_313
; %bb.312:                              ;   in Loop: Header=BB71_3 Depth=1
	ds_load_b64 v[34:35], v63 offset:12416
	ds_load_b64 v[36:37], v64
	s_wait_dscnt 0x0
	v_dual_mul_f32 v92, v37, v35 :: v_dual_mul_f32 v93, v36, v35
	s_delay_alu instid0(VALU_DEP_1) | instskip(NEXT) | instid1(VALU_DEP_1)
	v_dual_fma_f32 v92, v36, v34, -v92 :: v_dual_fmac_f32 v93, v37, v34
	v_pk_add_f32 v[32:33], v[32:33], v[92:93]
.LBB71_313:                             ;   in Loop: Header=BB71_3 Depth=1
	s_or_b32 exec_lo, exec_lo, s57
	s_barrier_signal -1
	s_barrier_wait -1
	s_and_saveexec_b32 s57, s88
	s_cbranch_execz .LBB71_315
; %bb.314:                              ;   in Loop: Header=BB71_3 Depth=1
	ds_load_b64 v[34:35], v5 offset:13000
	s_wait_dscnt 0x0
	v_pk_mul_f32 v[36:37], v[32:33], v[34:35] op_sel:[1,1] op_sel_hi:[1,0]
	s_delay_alu instid0(VALU_DEP_1) | instskip(SKIP_1) | instid1(VALU_DEP_2)
	v_pk_fma_f32 v[92:93], v[32:33], v[34:35], v[36:37] op_sel_hi:[0,1,1]
	v_pk_fma_f32 v[32:33], v[32:33], v[34:35], v[36:37] op_sel_hi:[0,1,1] neg_lo:[0,0,1] neg_hi:[0,0,1]
	v_mov_b32_e32 v33, v93
	ds_store_b64 v64, v[32:33]
.LBB71_315:                             ;   in Loop: Header=BB71_3 Depth=1
	s_or_b32 exec_lo, exec_lo, s57
	s_wait_dscnt 0x0
	s_barrier_signal -1
	s_barrier_wait -1
	s_and_saveexec_b32 s57, s89
	s_cbranch_execz .LBB71_317
; %bb.316:                              ;   in Loop: Header=BB71_3 Depth=1
	ds_load_b64 v[34:35], v63 offset:12928
	ds_load_b64 v[36:37], v64
	s_wait_dscnt 0x0
	v_pk_mul_f32 v[92:93], v[36:37], v[34:35] op_sel:[1,1] op_sel_hi:[0,1]
	s_delay_alu instid0(VALU_DEP_1) | instskip(SKIP_1) | instid1(VALU_DEP_2)
	v_pk_fma_f32 v[94:95], v[36:37], v[34:35], v[92:93] op_sel_hi:[1,0,1]
	v_pk_fma_f32 v[34:35], v[36:37], v[34:35], v[92:93] op_sel_hi:[1,0,1] neg_lo:[0,0,1] neg_hi:[0,0,1]
	v_mov_b32_e32 v35, v95
	s_delay_alu instid0(VALU_DEP_1)
	v_pk_add_f32 v[32:33], v[32:33], v[34:35]
.LBB71_317:                             ;   in Loop: Header=BB71_3 Depth=1
	s_or_b32 exec_lo, exec_lo, s57
	s_barrier_signal -1
	s_barrier_wait -1
	s_and_saveexec_b32 s57, s86
	s_cbranch_execz .LBB71_319
; %bb.318:                              ;   in Loop: Header=BB71_3 Depth=1
	ds_load_b64 v[34:35], v5 offset:13520
	s_wait_dscnt 0x0
	v_pk_mul_f32 v[36:37], v[32:33], v[34:35] op_sel:[1,1] op_sel_hi:[1,0]
	s_delay_alu instid0(VALU_DEP_1) | instskip(SKIP_1) | instid1(VALU_DEP_2)
	v_pk_fma_f32 v[92:93], v[32:33], v[34:35], v[36:37] op_sel_hi:[0,1,1]
	v_pk_fma_f32 v[32:33], v[32:33], v[34:35], v[36:37] op_sel_hi:[0,1,1] neg_lo:[0,0,1] neg_hi:[0,0,1]
	v_mov_b32_e32 v33, v93
	ds_store_b64 v64, v[32:33]
.LBB71_319:                             ;   in Loop: Header=BB71_3 Depth=1
	s_or_b32 exec_lo, exec_lo, s57
	s_wait_dscnt 0x0
	s_barrier_signal -1
	s_barrier_wait -1
	s_and_saveexec_b32 s57, s87
	s_cbranch_execz .LBB71_321
; %bb.320:                              ;   in Loop: Header=BB71_3 Depth=1
	ds_load_b64 v[34:35], v63 offset:13440
	ds_load_b64 v[36:37], v64
	s_wait_dscnt 0x0
	v_pk_mul_f32 v[92:93], v[36:37], v[34:35] op_sel:[1,1] op_sel_hi:[0,1]
	s_delay_alu instid0(VALU_DEP_1) | instskip(SKIP_1) | instid1(VALU_DEP_2)
	v_pk_fma_f32 v[94:95], v[36:37], v[34:35], v[92:93] op_sel_hi:[1,0,1]
	v_pk_fma_f32 v[34:35], v[36:37], v[34:35], v[92:93] op_sel_hi:[1,0,1] neg_lo:[0,0,1] neg_hi:[0,0,1]
	v_mov_b32_e32 v35, v95
	s_delay_alu instid0(VALU_DEP_1)
	v_pk_add_f32 v[32:33], v[32:33], v[34:35]
.LBB71_321:                             ;   in Loop: Header=BB71_3 Depth=1
	;; [unrolled: 33-line block ×3, first 2 shown]
	s_or_b32 exec_lo, exec_lo, s57
	s_barrier_signal -1
	s_barrier_wait -1
	s_and_saveexec_b32 s57, s10
	s_cbranch_execz .LBB71_327
; %bb.326:                              ;   in Loop: Header=BB71_3 Depth=1
	ds_load_b64 v[34:35], v5 offset:14560
	s_wait_dscnt 0x0
	v_dual_mul_f32 v36, v32, v35 :: v_dual_mul_f32 v92, v33, v35
	s_delay_alu instid0(VALU_DEP_1) | instskip(NEXT) | instid1(VALU_DEP_2)
	v_pk_fma_f32 v[36:37], v[32:33], v[34:35], v[36:37] op_sel:[0,1,0] op_sel_hi:[1,0,0]
	v_pk_fma_f32 v[34:35], v[32:33], v[34:35], v[92:93] op_sel_hi:[1,1,0] neg_lo:[0,0,1] neg_hi:[0,0,1]
	s_delay_alu instid0(VALU_DEP_2) | instskip(NEXT) | instid1(VALU_DEP_1)
	v_mov_b32_e32 v35, v37
	v_mov_b64_e32 v[32:33], v[34:35]
	ds_store_b64 v64, v[34:35]
.LBB71_327:                             ;   in Loop: Header=BB71_3 Depth=1
	s_or_b32 exec_lo, exec_lo, s57
	s_wait_dscnt 0x0
	s_barrier_signal -1
	s_barrier_wait -1
	s_and_saveexec_b32 s57, s11
	s_cbranch_execz .LBB71_329
; %bb.328:                              ;   in Loop: Header=BB71_3 Depth=1
	ds_load_b64 v[34:35], v63 offset:14464
	ds_load_b64 v[36:37], v64
	s_wait_dscnt 0x0
	v_dual_mul_f32 v92, v37, v35 :: v_dual_mul_f32 v93, v36, v35
	s_delay_alu instid0(VALU_DEP_1) | instskip(NEXT) | instid1(VALU_DEP_1)
	v_dual_fma_f32 v92, v36, v34, -v92 :: v_dual_fmac_f32 v93, v37, v34
	v_pk_add_f32 v[32:33], v[32:33], v[92:93]
.LBB71_329:                             ;   in Loop: Header=BB71_3 Depth=1
	s_or_b32 exec_lo, exec_lo, s57
	s_barrier_signal -1
	s_barrier_wait -1
	s_and_saveexec_b32 s57, s26
	s_cbranch_execz .LBB71_331
; %bb.330:                              ;   in Loop: Header=BB71_3 Depth=1
	ds_load_b64 v[34:35], v5 offset:15080
	s_wait_dscnt 0x0
	v_pk_mul_f32 v[36:37], v[32:33], v[34:35] op_sel:[1,1] op_sel_hi:[1,0]
	s_delay_alu instid0(VALU_DEP_1) | instskip(SKIP_1) | instid1(VALU_DEP_2)
	v_pk_fma_f32 v[92:93], v[32:33], v[34:35], v[36:37] op_sel_hi:[0,1,1]
	v_pk_fma_f32 v[34:35], v[32:33], v[34:35], v[36:37] neg_lo:[0,0,1] neg_hi:[0,0,1]
	v_mov_b32_e32 v35, v93
	s_delay_alu instid0(VALU_DEP_1)
	v_mov_b64_e32 v[32:33], v[34:35]
	ds_store_b64 v64, v[34:35]
.LBB71_331:                             ;   in Loop: Header=BB71_3 Depth=1
	s_or_b32 exec_lo, exec_lo, s57
	s_wait_dscnt 0x0
	s_barrier_signal -1
	s_barrier_wait -1
	s_and_saveexec_b32 s57, s28
	s_cbranch_execz .LBB71_333
; %bb.332:                              ;   in Loop: Header=BB71_3 Depth=1
	ds_load_b64 v[34:35], v63 offset:14976
	ds_load_b64 v[36:37], v64
	s_wait_dscnt 0x0
	v_pk_mul_f32 v[92:93], v[36:37], v[34:35] op_sel:[1,1] op_sel_hi:[0,1]
	s_delay_alu instid0(VALU_DEP_1) | instskip(SKIP_1) | instid1(VALU_DEP_2)
	v_pk_fma_f32 v[94:95], v[36:37], v[34:35], v[92:93] op_sel_hi:[1,0,1]
	v_pk_fma_f32 v[34:35], v[36:37], v[34:35], v[92:93] neg_lo:[0,0,1] neg_hi:[0,0,1]
	v_mov_b32_e32 v35, v95
	s_delay_alu instid0(VALU_DEP_1)
	v_pk_add_f32 v[32:33], v[32:33], v[34:35]
.LBB71_333:                             ;   in Loop: Header=BB71_3 Depth=1
	s_or_b32 exec_lo, exec_lo, s57
	s_barrier_signal -1
	s_barrier_wait -1
	s_and_saveexec_b32 s57, s30
	s_cbranch_execz .LBB71_335
; %bb.334:                              ;   in Loop: Header=BB71_3 Depth=1
	ds_load_b64 v[34:35], v5 offset:15600
	s_wait_dscnt 0x0
	v_pk_mul_f32 v[36:37], v[32:33], v[34:35] op_sel:[1,1] op_sel_hi:[1,0]
	s_delay_alu instid0(VALU_DEP_1) | instskip(SKIP_1) | instid1(VALU_DEP_2)
	v_pk_fma_f32 v[92:93], v[32:33], v[34:35], v[36:37] op_sel_hi:[0,1,1]
	v_pk_fma_f32 v[34:35], v[32:33], v[34:35], v[36:37] neg_lo:[0,0,1] neg_hi:[0,0,1]
	v_mov_b32_e32 v35, v93
	s_delay_alu instid0(VALU_DEP_1)
	v_mov_b64_e32 v[32:33], v[34:35]
	ds_store_b64 v64, v[34:35]
.LBB71_335:                             ;   in Loop: Header=BB71_3 Depth=1
	s_or_b32 exec_lo, exec_lo, s57
	s_wait_dscnt 0x0
	s_barrier_signal -1
	s_barrier_wait -1
	s_and_saveexec_b32 s57, s33
	s_cbranch_execz .LBB71_337
; %bb.336:                              ;   in Loop: Header=BB71_3 Depth=1
	ds_load_b64 v[34:35], v5 offset:15608
	ds_load_b64 v[36:37], v64
	s_wait_dscnt 0x0
	v_pk_mul_f32 v[92:93], v[36:37], v[34:35] op_sel:[1,1] op_sel_hi:[0,1]
	s_delay_alu instid0(VALU_DEP_1) | instskip(SKIP_1) | instid1(VALU_DEP_2)
	v_pk_fma_f32 v[94:95], v[36:37], v[34:35], v[92:93] op_sel_hi:[1,0,1]
	v_pk_fma_f32 v[34:35], v[36:37], v[34:35], v[92:93] neg_lo:[0,0,1] neg_hi:[0,0,1]
	v_mov_b32_e32 v35, v95
	s_delay_alu instid0(VALU_DEP_1)
	v_pk_add_f32 v[32:33], v[32:33], v[34:35]
.LBB71_337:                             ;   in Loop: Header=BB71_3 Depth=1
	s_or_b32 exec_lo, exec_lo, s57
	s_barrier_signal -1
	s_barrier_wait -1
	s_and_saveexec_b32 s57, s33
	s_cbranch_execz .LBB71_339
; %bb.338:                              ;   in Loop: Header=BB71_3 Depth=1
	ds_load_b64 v[34:35], v5 offset:16120
	s_wait_dscnt 0x0
	v_pk_mul_f32 v[36:37], v[32:33], v[34:35] op_sel:[1,1] op_sel_hi:[1,0]
	s_delay_alu instid0(VALU_DEP_1) | instskip(SKIP_1) | instid1(VALU_DEP_2)
	v_pk_fma_f32 v[92:93], v[32:33], v[34:35], v[36:37] op_sel_hi:[0,1,1]
	v_pk_fma_f32 v[34:35], v[32:33], v[34:35], v[36:37] neg_lo:[0,0,1] neg_hi:[0,0,1]
	v_mov_b32_e32 v35, v93
	s_delay_alu instid0(VALU_DEP_1)
	v_mov_b64_e32 v[32:33], v[34:35]
	ds_store_b64 v64, v[34:35]
.LBB71_339:                             ;   in Loop: Header=BB71_3 Depth=1
	s_or_b32 exec_lo, exec_lo, s57
	s_wait_dscnt 0x0
	s_barrier_signal -1
	s_barrier_wait -1
	s_barrier_signal -1
	s_barrier_wait -1
	s_and_saveexec_b32 s57, s4
; %bb.340:                              ;   in Loop: Header=BB71_3 Depth=1
	v_pk_add_f32 v[32:33], v[32:33], 0 neg_lo:[1,1] neg_hi:[1,1]
	ds_store_b64 v65, v[32:33] offset:128
; %bb.341:                              ;   in Loop: Header=BB71_3 Depth=1
	s_or_b32 exec_lo, exec_lo, s57
	s_wait_dscnt 0x0
	s_barrier_signal -1
	s_barrier_wait -1
	s_barrier_signal -1
	s_barrier_wait -1
	s_and_saveexec_b32 s57, s96
	s_cbranch_execz .LBB71_343
; %bb.342:                              ;   in Loop: Header=BB71_3 Depth=1
	ds_load_b64 v[32:33], v44 offset:128
	s_wait_dscnt 0x0
	ds_store_b64 v49, v[32:33] offset:8192
	ds_load_b64 v[32:33], v44 offset:136
	s_wait_dscnt 0x0
	ds_store_b64 v49, v[32:33] offset:8704
	;; [unrolled: 3-line block ×16, first 2 shown]
.LBB71_343:                             ;   in Loop: Header=BB71_3 Depth=1
	s_or_b32 exec_lo, exec_lo, s57
	s_wait_dscnt 0x0
	s_barrier_signal -1
	s_barrier_wait -1
	s_and_saveexec_b32 s57, s14
	s_cbranch_execz .LBB71_345
; %bb.344:                              ;   in Loop: Header=BB71_3 Depth=1
	ds_load_b128 v[32:35], v5 offset:8320
	ds_load_b64 v[36:37], v5 offset:8840
	s_wait_dscnt 0x1
	v_dual_mov_b32 v94, v35 :: v_dual_mov_b32 v95, v34
	s_wait_dscnt 0x0
	v_dual_mul_f32 v93, v37, v33 :: v_dual_mul_f32 v92, v36, v33
	s_delay_alu instid0(VALU_DEP_1) | instskip(NEXT) | instid1(VALU_DEP_2)
	v_xor_b32_e32 v96, 0x80000000, v93
	v_fmac_f32_e32 v92, v37, v32
	s_delay_alu instid0(VALU_DEP_2) | instskip(NEXT) | instid1(VALU_DEP_2)
	v_fmac_f32_e32 v96, v36, v32
	v_pk_mul_f32 v[32:33], v[92:93], v[94:95] op_sel_hi:[0,1]
	s_delay_alu instid0(VALU_DEP_1) | instskip(SKIP_2) | instid1(VALU_DEP_3)
	v_pk_fma_f32 v[36:37], v[96:97], v[34:35], v[32:33] op_sel_hi:[0,1,1]
	v_pk_fma_f32 v[32:33], v[96:97], v[34:35], v[32:33] neg_lo:[0,0,1] neg_hi:[0,0,1]
	v_add_nc_u32_e64 v34, 0x2000, 0
	v_mov_b32_e32 v33, v37
	ds_store_2addr_b64 v34, v[32:33], v[32:33] offset0:17 offset1:80
.LBB71_345:                             ;   in Loop: Header=BB71_3 Depth=1
	s_or_b32 exec_lo, exec_lo, s57
	v_mov_b32_e32 v33, 0
	s_wait_dscnt 0x0
	s_barrier_signal -1
	s_barrier_wait -1
	s_delay_alu instid0(VALU_DEP_1)
	v_mov_b32_e32 v32, v33
	s_and_saveexec_b32 s57, s0
	s_cbranch_execz .LBB71_349
; %bb.346:                              ;   in Loop: Header=BB71_3 Depth=1
	ds_load_b64 v[32:33], v39 offset:8336
	ds_load_b64 v[34:35], v40 offset:8320
	s_wait_dscnt 0x0
	v_dual_mul_f32 v36, v35, v33 :: v_dual_mul_f32 v37, v34, v33
	s_delay_alu instid0(VALU_DEP_1) | instskip(NEXT) | instid1(VALU_DEP_1)
	v_dual_fma_f32 v36, v34, v32, -v36 :: v_dual_fmac_f32 v37, v35, v32
	v_pk_add_f32 v[32:33], v[36:37], 0 op_sel_hi:[1,0]
	s_and_saveexec_b32 s58, s15
	s_cbranch_execz .LBB71_348
; %bb.347:                              ;   in Loop: Header=BB71_3 Depth=1
	ds_load_b64 v[34:35], v41 offset:8848
	ds_load_b64 v[36:37], v5 offset:8328
	s_wait_dscnt 0x0
	v_pk_mul_f32 v[92:93], v[36:37], v[34:35] op_sel:[1,1] op_sel_hi:[0,1]
	s_delay_alu instid0(VALU_DEP_1) | instskip(SKIP_1) | instid1(VALU_DEP_2)
	v_pk_fma_f32 v[94:95], v[36:37], v[34:35], v[92:93] op_sel_hi:[1,0,1]
	v_pk_fma_f32 v[34:35], v[36:37], v[34:35], v[92:93] neg_lo:[0,0,1] neg_hi:[0,0,1]
	v_mov_b32_e32 v35, v95
	s_delay_alu instid0(VALU_DEP_1)
	v_pk_add_f32 v[32:33], v[32:33], v[34:35]
.LBB71_348:                             ;   in Loop: Header=BB71_3 Depth=1
	s_or_b32 exec_lo, exec_lo, s58
	s_delay_alu instid0(VALU_DEP_1)
	v_pk_add_f32 v[32:33], v[32:33], 0 neg_lo:[1,1] neg_hi:[1,1]
.LBB71_349:                             ;   in Loop: Header=BB71_3 Depth=1
	s_or_b32 exec_lo, exec_lo, s57
	s_and_saveexec_b32 s57, s98
	s_cbranch_execz .LBB71_351
; %bb.350:                              ;   in Loop: Header=BB71_3 Depth=1
	ds_load_b64 v[34:35], v5 offset:9360
	s_wait_dscnt 0x0
	v_pk_mul_f32 v[36:37], v[32:33], v[34:35] op_sel:[1,1] op_sel_hi:[1,0]
	s_delay_alu instid0(VALU_DEP_1) | instskip(SKIP_1) | instid1(VALU_DEP_2)
	v_pk_fma_f32 v[92:93], v[32:33], v[34:35], v[36:37] op_sel_hi:[0,1,1]
	v_pk_fma_f32 v[34:35], v[32:33], v[34:35], v[36:37] neg_lo:[0,0,1] neg_hi:[0,0,1]
	v_mov_b32_e32 v35, v93
	s_delay_alu instid0(VALU_DEP_1)
	v_mov_b64_e32 v[32:33], v[34:35]
	ds_store_b64 v3, v[34:35]
.LBB71_351:                             ;   in Loop: Header=BB71_3 Depth=1
	s_or_b32 exec_lo, exec_lo, s57
	s_wait_dscnt 0x0
	s_barrier_signal -1
	s_barrier_wait -1
	s_and_saveexec_b32 s57, s99
	s_cbranch_execz .LBB71_353
; %bb.352:                              ;   in Loop: Header=BB71_3 Depth=1
	ds_load_b64 v[34:35], v5 offset:9368
	ds_load_b64 v[36:37], v3
	s_wait_dscnt 0x0
	v_pk_mul_f32 v[92:93], v[36:37], v[34:35] op_sel:[1,1] op_sel_hi:[0,1]
	s_delay_alu instid0(VALU_DEP_1) | instskip(SKIP_1) | instid1(VALU_DEP_2)
	v_pk_fma_f32 v[94:95], v[36:37], v[34:35], v[92:93] op_sel_hi:[1,0,1]
	v_pk_fma_f32 v[34:35], v[36:37], v[34:35], v[92:93] neg_lo:[0,0,1] neg_hi:[0,0,1]
	v_mov_b32_e32 v35, v95
	s_delay_alu instid0(VALU_DEP_1)
	v_pk_add_f32 v[32:33], v[32:33], v[34:35]
.LBB71_353:                             ;   in Loop: Header=BB71_3 Depth=1
	s_or_b32 exec_lo, exec_lo, s57
	s_barrier_signal -1
	s_barrier_wait -1
	s_and_saveexec_b32 s57, s99
	s_cbranch_execz .LBB71_355
; %bb.354:                              ;   in Loop: Header=BB71_3 Depth=1
	ds_load_b64 v[34:35], v5 offset:9880
	s_wait_dscnt 0x0
	v_pk_mul_f32 v[36:37], v[32:33], v[34:35] op_sel:[1,1] op_sel_hi:[1,0]
	s_delay_alu instid0(VALU_DEP_1) | instskip(SKIP_1) | instid1(VALU_DEP_2)
	v_pk_fma_f32 v[92:93], v[32:33], v[34:35], v[36:37] op_sel_hi:[0,1,1]
	v_pk_fma_f32 v[34:35], v[32:33], v[34:35], v[36:37] neg_lo:[0,0,1] neg_hi:[0,0,1]
	v_mov_b32_e32 v35, v93
	s_delay_alu instid0(VALU_DEP_1)
	v_mov_b64_e32 v[32:33], v[34:35]
	ds_store_b64 v3, v[34:35]
.LBB71_355:                             ;   in Loop: Header=BB71_3 Depth=1
	s_or_b32 exec_lo, exec_lo, s57
	s_wait_dscnt 0x0
	s_barrier_signal -1
	s_barrier_wait -1
	s_barrier_signal -1
	s_barrier_wait -1
	s_and_saveexec_b32 s57, s0
; %bb.356:                              ;   in Loop: Header=BB71_3 Depth=1
	v_pk_add_f32 v[32:33], v[32:33], 0 neg_lo:[1,1] neg_hi:[1,1]
	ds_store_b64 v39, v[32:33] offset:8336
; %bb.357:                              ;   in Loop: Header=BB71_3 Depth=1
	s_or_b32 exec_lo, exec_lo, s57
	s_wait_dscnt 0x0
	s_barrier_signal -1
	s_barrier_wait -1
	s_barrier_signal -1
	s_barrier_wait -1
	s_and_saveexec_b32 s57, s100
	s_cbranch_execz .LBB71_359
; %bb.358:                              ;   in Loop: Header=BB71_3 Depth=1
	ds_load_b64 v[32:33], v44 offset:8336
	s_wait_dscnt 0x0
	ds_store_b64 v41, v[32:33] offset:9344
	ds_load_b64 v[32:33], v44 offset:8344
	s_wait_dscnt 0x0
	ds_store_b64 v41, v[32:33] offset:9856
.LBB71_359:                             ;   in Loop: Header=BB71_3 Depth=1
	s_or_b32 exec_lo, exec_lo, s57
	s_wait_dscnt 0x0
	s_barrier_signal -1
	s_barrier_wait -1
	s_and_saveexec_b32 s57, s14
	s_cbranch_execz .LBB71_361
; %bb.360:                              ;   in Loop: Header=BB71_3 Depth=1
	ds_load_b128 v[32:35], v5 offset:9360
	ds_load_b64 v[36:37], v5 offset:9880
	s_wait_dscnt 0x1
	v_dual_mov_b32 v94, v35 :: v_dual_mov_b32 v95, v34
	s_wait_dscnt 0x0
	v_dual_mul_f32 v93, v37, v33 :: v_dual_mul_f32 v92, v36, v33
	s_delay_alu instid0(VALU_DEP_1) | instskip(NEXT) | instid1(VALU_DEP_2)
	v_xor_b32_e32 v96, 0x80000000, v93
	v_fmac_f32_e32 v92, v37, v32
	s_delay_alu instid0(VALU_DEP_2) | instskip(NEXT) | instid1(VALU_DEP_2)
	v_fmac_f32_e32 v96, v36, v32
	v_pk_mul_f32 v[32:33], v[92:93], v[94:95] op_sel_hi:[0,1]
	s_delay_alu instid0(VALU_DEP_1) | instskip(SKIP_2) | instid1(VALU_DEP_3)
	v_pk_fma_f32 v[36:37], v[96:97], v[34:35], v[32:33] op_sel_hi:[0,1,1]
	v_pk_fma_f32 v[32:33], v[96:97], v[34:35], v[32:33] neg_lo:[0,0,1] neg_hi:[0,0,1]
	v_add_nc_u32_e64 v34, 0x2000, 0
	v_mov_b32_e32 v33, v37
	ds_store_2addr_b64 v34, v[32:33], v[32:33] offset0:147 offset1:210
.LBB71_361:                             ;   in Loop: Header=BB71_3 Depth=1
	s_or_b32 exec_lo, exec_lo, s57
	v_mov_b32_e32 v32, 0
	s_wait_dscnt 0x0
	s_barrier_signal -1
	s_barrier_wait -1
	s_delay_alu instid0(VALU_DEP_1)
	v_mov_b32_e32 v33, v32
	s_and_saveexec_b32 s66, s2
	s_cbranch_execz .LBB71_367
; %bb.362:                              ;   in Loop: Header=BB71_3 Depth=1
	ds_load_b64 v[32:33], v46 offset:8352
	ds_load_b64 v[34:35], v42 offset:8320
	s_wait_dscnt 0x0
	v_pk_mul_f32 v[36:37], v[34:35], v[32:33] op_sel:[0,1]
	s_delay_alu instid0(VALU_DEP_1) | instskip(SKIP_1) | instid1(VALU_DEP_2)
	v_pk_fma_f32 v[92:93], v[34:35], v[32:33], v[36:37] op_sel:[1,0,0] op_sel_hi:[0,0,1] neg_lo:[0,0,1] neg_hi:[0,0,1]
	v_pk_fma_f32 v[32:33], v[34:35], v[32:33], v[36:37] op_sel:[1,0,0] op_sel_hi:[0,1,1]
	v_mov_b32_e32 v33, v93
	s_delay_alu instid0(VALU_DEP_1)
	v_pk_add_f32 v[32:33], v[32:33], 0 op_sel_hi:[1,0]
	s_and_saveexec_b32 s57, s16
	s_cbranch_execnz .LBB71_1124
; %bb.363:                              ;   in Loop: Header=BB71_3 Depth=1
	s_or_b32 exec_lo, exec_lo, s57
	s_and_saveexec_b32 s57, s17
	s_cbranch_execnz .LBB71_1125
.LBB71_364:                             ;   in Loop: Header=BB71_3 Depth=1
	s_or_b32 exec_lo, exec_lo, s57
	s_and_saveexec_b32 s57, s0
	s_cbranch_execz .LBB71_366
.LBB71_365:                             ;   in Loop: Header=BB71_3 Depth=1
	ds_load_b64 v[34:35], v49 offset:9888
	ds_load_b64 v[36:37], v5 offset:8344
	s_wait_dscnt 0x0
	v_pk_mul_f32 v[92:93], v[36:37], v[34:35] op_sel:[0,1]
	s_delay_alu instid0(VALU_DEP_1) | instskip(SKIP_1) | instid1(VALU_DEP_2)
	v_pk_fma_f32 v[94:95], v[36:37], v[34:35], v[92:93] op_sel:[1,0,0] op_sel_hi:[0,0,1] neg_lo:[0,0,1] neg_hi:[0,0,1]
	v_pk_fma_f32 v[34:35], v[36:37], v[34:35], v[92:93] op_sel:[1,0,0] op_sel_hi:[0,1,1]
	v_mov_b32_e32 v35, v95
	s_delay_alu instid0(VALU_DEP_1)
	v_pk_add_f32 v[32:33], v[32:33], v[34:35]
.LBB71_366:                             ;   in Loop: Header=BB71_3 Depth=1
	s_or_b32 exec_lo, exec_lo, s57
	s_delay_alu instid0(VALU_DEP_1) | instskip(NEXT) | instid1(VALU_DEP_1)
	v_pk_add_f32 v[34:35], v[32:33], 0 neg_lo:[1,1] neg_hi:[1,1]
	v_dual_mov_b32 v32, v35 :: v_dual_mov_b32 v33, v34
.LBB71_367:                             ;   in Loop: Header=BB71_3 Depth=1
	s_or_b32 exec_lo, exec_lo, s66
	s_and_saveexec_b32 s57, s101
	s_cbranch_execz .LBB71_369
; %bb.368:                              ;   in Loop: Header=BB71_3 Depth=1
	ds_load_b64 v[34:35], v5 offset:10400
	v_dual_mov_b32 v36, v33 :: v_dual_mov_b32 v37, v32
	s_wait_dscnt 0x0
	s_delay_alu instid0(VALU_DEP_1) | instskip(NEXT) | instid1(VALU_DEP_1)
	v_dual_mul_f32 v92, v36, v34 :: v_dual_mul_f32 v94, v33, v35
	v_pk_fma_f32 v[36:37], v[36:37], v[34:35], v[92:93] op_sel_hi:[1,1,0]
	s_delay_alu instid0(VALU_DEP_2) | instskip(NEXT) | instid1(VALU_DEP_2)
	v_pk_fma_f32 v[32:33], v[32:33], v[34:35], v[94:95] op_sel_hi:[1,1,0] neg_lo:[0,0,1] neg_hi:[0,0,1]
	v_mov_b32_e32 v33, v37
	ds_store_b64 v45, v[32:33]
.LBB71_369:                             ;   in Loop: Header=BB71_3 Depth=1
	s_or_b32 exec_lo, exec_lo, s57
	s_wait_dscnt 0x0
	s_barrier_signal -1
	s_barrier_wait -1
	s_and_saveexec_b32 s57, s102
	s_cbranch_execz .LBB71_371
; %bb.370:                              ;   in Loop: Header=BB71_3 Depth=1
	ds_load_b64 v[34:35], v43 offset:10400
	ds_load_b64 v[36:37], v45
	s_wait_dscnt 0x0
	v_dual_mul_f32 v92, v37, v35 :: v_dual_mul_f32 v93, v36, v35
	s_delay_alu instid0(VALU_DEP_1) | instskip(NEXT) | instid1(VALU_DEP_1)
	v_dual_fma_f32 v92, v36, v34, -v92 :: v_dual_fmac_f32 v93, v37, v34
	v_pk_add_f32 v[32:33], v[32:33], v[92:93]
.LBB71_371:                             ;   in Loop: Header=BB71_3 Depth=1
	s_or_b32 exec_lo, exec_lo, s57
	s_barrier_signal -1
	s_barrier_wait -1
	s_and_saveexec_b32 s57, s103
	s_cbranch_execz .LBB71_373
; %bb.372:                              ;   in Loop: Header=BB71_3 Depth=1
	ds_load_b64 v[34:35], v5 offset:10920
	s_wait_dscnt 0x0
	v_pk_mul_f32 v[36:37], v[32:33], v[34:35] op_sel:[1,1] op_sel_hi:[1,0]
	s_delay_alu instid0(VALU_DEP_1) | instskip(SKIP_1) | instid1(VALU_DEP_2)
	v_pk_fma_f32 v[92:93], v[32:33], v[34:35], v[36:37] op_sel_hi:[0,1,1]
	v_pk_fma_f32 v[34:35], v[32:33], v[34:35], v[36:37] neg_lo:[0,0,1] neg_hi:[0,0,1]
	v_mov_b32_e32 v35, v93
	s_delay_alu instid0(VALU_DEP_1)
	v_mov_b64_e32 v[32:33], v[34:35]
	ds_store_b64 v45, v[34:35]
.LBB71_373:                             ;   in Loop: Header=BB71_3 Depth=1
	s_or_b32 exec_lo, exec_lo, s57
	s_wait_dscnt 0x0
	s_barrier_signal -1
	s_barrier_wait -1
	s_and_saveexec_b32 s57, s104
	s_cbranch_execz .LBB71_375
; %bb.374:                              ;   in Loop: Header=BB71_3 Depth=1
	ds_load_b64 v[34:35], v43 offset:10912
	ds_load_b64 v[36:37], v45
	s_wait_dscnt 0x0
	v_pk_mul_f32 v[92:93], v[36:37], v[34:35] op_sel:[1,1] op_sel_hi:[0,1]
	s_delay_alu instid0(VALU_DEP_1) | instskip(SKIP_1) | instid1(VALU_DEP_2)
	v_pk_fma_f32 v[94:95], v[36:37], v[34:35], v[92:93] op_sel_hi:[1,0,1]
	v_pk_fma_f32 v[34:35], v[36:37], v[34:35], v[92:93] neg_lo:[0,0,1] neg_hi:[0,0,1]
	v_mov_b32_e32 v35, v95
	s_delay_alu instid0(VALU_DEP_1)
	v_pk_add_f32 v[32:33], v[32:33], v[34:35]
.LBB71_375:                             ;   in Loop: Header=BB71_3 Depth=1
	s_or_b32 exec_lo, exec_lo, s57
	s_barrier_signal -1
	s_barrier_wait -1
	s_and_saveexec_b32 s57, vcc_hi
	s_cbranch_execz .LBB71_377
; %bb.376:                              ;   in Loop: Header=BB71_3 Depth=1
	ds_load_b64 v[34:35], v5 offset:11440
	s_wait_dscnt 0x0
	v_pk_mul_f32 v[36:37], v[32:33], v[34:35] op_sel:[1,1] op_sel_hi:[1,0]
	s_delay_alu instid0(VALU_DEP_1) | instskip(SKIP_1) | instid1(VALU_DEP_2)
	v_pk_fma_f32 v[92:93], v[32:33], v[34:35], v[36:37] op_sel_hi:[0,1,1]
	v_pk_fma_f32 v[34:35], v[32:33], v[34:35], v[36:37] neg_lo:[0,0,1] neg_hi:[0,0,1]
	v_mov_b32_e32 v35, v93
	s_delay_alu instid0(VALU_DEP_1)
	v_mov_b64_e32 v[32:33], v[34:35]
	ds_store_b64 v45, v[34:35]
.LBB71_377:                             ;   in Loop: Header=BB71_3 Depth=1
	s_or_b32 exec_lo, exec_lo, s57
	s_wait_dscnt 0x0
	s_barrier_signal -1
	s_barrier_wait -1
	s_and_saveexec_b32 s57, s39
	s_cbranch_execz .LBB71_379
; %bb.378:                              ;   in Loop: Header=BB71_3 Depth=1
	ds_load_b64 v[34:35], v5 offset:11448
	ds_load_b64 v[36:37], v45
	s_wait_dscnt 0x0
	v_pk_mul_f32 v[92:93], v[36:37], v[34:35] op_sel:[1,1] op_sel_hi:[0,1]
	s_delay_alu instid0(VALU_DEP_1) | instskip(SKIP_1) | instid1(VALU_DEP_2)
	v_pk_fma_f32 v[94:95], v[36:37], v[34:35], v[92:93] op_sel_hi:[1,0,1]
	v_pk_fma_f32 v[34:35], v[36:37], v[34:35], v[92:93] neg_lo:[0,0,1] neg_hi:[0,0,1]
	v_mov_b32_e32 v35, v95
	s_delay_alu instid0(VALU_DEP_1)
	v_pk_add_f32 v[32:33], v[32:33], v[34:35]
.LBB71_379:                             ;   in Loop: Header=BB71_3 Depth=1
	s_or_b32 exec_lo, exec_lo, s57
	s_barrier_signal -1
	s_barrier_wait -1
	s_and_saveexec_b32 s57, s39
	s_cbranch_execz .LBB71_381
; %bb.380:                              ;   in Loop: Header=BB71_3 Depth=1
	ds_load_b64 v[34:35], v5 offset:11960
	s_wait_dscnt 0x0
	v_pk_mul_f32 v[36:37], v[32:33], v[34:35] op_sel:[1,1] op_sel_hi:[1,0]
	s_delay_alu instid0(VALU_DEP_1) | instskip(SKIP_1) | instid1(VALU_DEP_2)
	v_pk_fma_f32 v[92:93], v[32:33], v[34:35], v[36:37] op_sel_hi:[0,1,1]
	v_pk_fma_f32 v[34:35], v[32:33], v[34:35], v[36:37] neg_lo:[0,0,1] neg_hi:[0,0,1]
	v_mov_b32_e32 v35, v93
	s_delay_alu instid0(VALU_DEP_1)
	v_mov_b64_e32 v[32:33], v[34:35]
	ds_store_b64 v45, v[34:35]
.LBB71_381:                             ;   in Loop: Header=BB71_3 Depth=1
	s_or_b32 exec_lo, exec_lo, s57
	s_wait_dscnt 0x0
	s_barrier_signal -1
	s_barrier_wait -1
	s_barrier_signal -1
	s_barrier_wait -1
	s_and_saveexec_b32 s57, s2
; %bb.382:                              ;   in Loop: Header=BB71_3 Depth=1
	v_pk_add_f32 v[32:33], v[32:33], 0 neg_lo:[1,1] neg_hi:[1,1]
	ds_store_b64 v46, v[32:33] offset:8352
; %bb.383:                              ;   in Loop: Header=BB71_3 Depth=1
	s_or_b32 exec_lo, exec_lo, s57
	s_wait_dscnt 0x0
	s_barrier_signal -1
	s_barrier_wait -1
	s_barrier_signal -1
	s_barrier_wait -1
	s_and_saveexec_b32 s57, s40
	s_cbranch_execz .LBB71_385
; %bb.384:                              ;   in Loop: Header=BB71_3 Depth=1
	ds_load_b64 v[32:33], v50 offset:8352
	s_wait_dscnt 0x0
	ds_store_b64 v51, v[32:33] offset:10368
	ds_load_b64 v[32:33], v50 offset:8360
	s_wait_dscnt 0x0
	ds_store_b64 v51, v[32:33] offset:10880
	ds_load_b64 v[32:33], v50 offset:8368
	s_wait_dscnt 0x0
	ds_store_b64 v51, v[32:33] offset:11392
	ds_load_b64 v[32:33], v50 offset:8376
	s_wait_dscnt 0x0
	ds_store_b64 v51, v[32:33] offset:11904
.LBB71_385:                             ;   in Loop: Header=BB71_3 Depth=1
	s_or_b32 exec_lo, exec_lo, s57
	s_wait_dscnt 0x0
	s_barrier_signal -1
	s_barrier_wait -1
	s_and_saveexec_b32 s57, s14
	s_cbranch_execz .LBB71_387
; %bb.386:                              ;   in Loop: Header=BB71_3 Depth=1
	ds_load_b128 v[32:35], v5 offset:10400
	ds_load_b64 v[36:37], v5 offset:10920
	s_wait_dscnt 0x1
	v_dual_mov_b32 v94, v35 :: v_dual_mov_b32 v95, v34
	s_wait_dscnt 0x0
	v_dual_mul_f32 v93, v37, v33 :: v_dual_mul_f32 v92, v36, v33
	s_delay_alu instid0(VALU_DEP_1) | instskip(NEXT) | instid1(VALU_DEP_2)
	v_xor_b32_e32 v96, 0x80000000, v93
	v_fmac_f32_e32 v92, v37, v32
	s_delay_alu instid0(VALU_DEP_2) | instskip(NEXT) | instid1(VALU_DEP_2)
	v_fmac_f32_e32 v96, v36, v32
	v_pk_mul_f32 v[32:33], v[92:93], v[94:95] op_sel_hi:[0,1]
	s_delay_alu instid0(VALU_DEP_1) | instskip(SKIP_2) | instid1(VALU_DEP_3)
	v_pk_fma_f32 v[36:37], v[96:97], v[34:35], v[32:33] op_sel_hi:[0,1,1]
	v_pk_fma_f32 v[32:33], v[96:97], v[34:35], v[32:33] neg_lo:[0,0,1] neg_hi:[0,0,1]
	v_add_nc_u32_e64 v34, 0x2800, 0
	v_mov_b32_e32 v33, v37
	ds_store_2addr_b64 v34, v[32:33], v[32:33] offset0:21 offset1:84
.LBB71_387:                             ;   in Loop: Header=BB71_3 Depth=1
	s_or_b32 exec_lo, exec_lo, s57
	v_mov_b32_e32 v33, 0
	s_wait_dscnt 0x0
	s_barrier_signal -1
	s_barrier_wait -1
	s_delay_alu instid0(VALU_DEP_1)
	v_mov_b32_e32 v32, v33
	s_and_saveexec_b32 s57, s0
	s_cbranch_execz .LBB71_391
; %bb.388:                              ;   in Loop: Header=BB71_3 Depth=1
	ds_load_b64 v[32:33], v39 offset:10416
	ds_load_b64 v[34:35], v40 offset:10400
	s_wait_dscnt 0x0
	v_dual_mul_f32 v36, v35, v33 :: v_dual_mul_f32 v37, v34, v33
	s_delay_alu instid0(VALU_DEP_1) | instskip(NEXT) | instid1(VALU_DEP_1)
	v_dual_fma_f32 v36, v34, v32, -v36 :: v_dual_fmac_f32 v37, v35, v32
	v_pk_add_f32 v[32:33], v[36:37], 0 op_sel_hi:[1,0]
	s_and_saveexec_b32 s58, s15
	s_cbranch_execz .LBB71_390
; %bb.389:                              ;   in Loop: Header=BB71_3 Depth=1
	ds_load_b64 v[34:35], v51 offset:10928
	ds_load_b64 v[36:37], v5 offset:10408
	s_wait_dscnt 0x0
	v_pk_mul_f32 v[92:93], v[36:37], v[34:35] op_sel:[1,1] op_sel_hi:[0,1]
	s_delay_alu instid0(VALU_DEP_1) | instskip(SKIP_1) | instid1(VALU_DEP_2)
	v_pk_fma_f32 v[94:95], v[36:37], v[34:35], v[92:93] op_sel_hi:[1,0,1]
	v_pk_fma_f32 v[34:35], v[36:37], v[34:35], v[92:93] neg_lo:[0,0,1] neg_hi:[0,0,1]
	v_mov_b32_e32 v35, v95
	s_delay_alu instid0(VALU_DEP_1)
	v_pk_add_f32 v[32:33], v[32:33], v[34:35]
.LBB71_390:                             ;   in Loop: Header=BB71_3 Depth=1
	s_or_b32 exec_lo, exec_lo, s58
	s_delay_alu instid0(VALU_DEP_1)
	v_pk_add_f32 v[32:33], v[32:33], 0 neg_lo:[1,1] neg_hi:[1,1]
.LBB71_391:                             ;   in Loop: Header=BB71_3 Depth=1
	s_or_b32 exec_lo, exec_lo, s57
	s_and_saveexec_b32 s57, s98
	s_cbranch_execz .LBB71_393
; %bb.392:                              ;   in Loop: Header=BB71_3 Depth=1
	ds_load_b64 v[34:35], v5 offset:11440
	s_wait_dscnt 0x0
	v_pk_mul_f32 v[36:37], v[32:33], v[34:35] op_sel:[1,1] op_sel_hi:[1,0]
	s_delay_alu instid0(VALU_DEP_1) | instskip(SKIP_1) | instid1(VALU_DEP_2)
	v_pk_fma_f32 v[92:93], v[32:33], v[34:35], v[36:37] op_sel_hi:[0,1,1]
	v_pk_fma_f32 v[34:35], v[32:33], v[34:35], v[36:37] neg_lo:[0,0,1] neg_hi:[0,0,1]
	v_mov_b32_e32 v35, v93
	s_delay_alu instid0(VALU_DEP_1)
	v_mov_b64_e32 v[32:33], v[34:35]
	ds_store_b64 v3, v[34:35]
.LBB71_393:                             ;   in Loop: Header=BB71_3 Depth=1
	s_or_b32 exec_lo, exec_lo, s57
	s_wait_dscnt 0x0
	s_barrier_signal -1
	s_barrier_wait -1
	s_and_saveexec_b32 s57, s99
	s_cbranch_execz .LBB71_395
; %bb.394:                              ;   in Loop: Header=BB71_3 Depth=1
	ds_load_b64 v[34:35], v5 offset:11448
	ds_load_b64 v[36:37], v3
	s_wait_dscnt 0x0
	v_pk_mul_f32 v[92:93], v[36:37], v[34:35] op_sel:[1,1] op_sel_hi:[0,1]
	s_delay_alu instid0(VALU_DEP_1) | instskip(SKIP_1) | instid1(VALU_DEP_2)
	v_pk_fma_f32 v[94:95], v[36:37], v[34:35], v[92:93] op_sel_hi:[1,0,1]
	v_pk_fma_f32 v[34:35], v[36:37], v[34:35], v[92:93] neg_lo:[0,0,1] neg_hi:[0,0,1]
	v_mov_b32_e32 v35, v95
	s_delay_alu instid0(VALU_DEP_1)
	v_pk_add_f32 v[32:33], v[32:33], v[34:35]
.LBB71_395:                             ;   in Loop: Header=BB71_3 Depth=1
	s_or_b32 exec_lo, exec_lo, s57
	s_barrier_signal -1
	s_barrier_wait -1
	s_and_saveexec_b32 s57, s99
	s_cbranch_execz .LBB71_397
; %bb.396:                              ;   in Loop: Header=BB71_3 Depth=1
	ds_load_b64 v[34:35], v5 offset:11960
	s_wait_dscnt 0x0
	v_pk_mul_f32 v[36:37], v[32:33], v[34:35] op_sel:[1,1] op_sel_hi:[1,0]
	s_delay_alu instid0(VALU_DEP_1) | instskip(SKIP_1) | instid1(VALU_DEP_2)
	v_pk_fma_f32 v[92:93], v[32:33], v[34:35], v[36:37] op_sel_hi:[0,1,1]
	v_pk_fma_f32 v[34:35], v[32:33], v[34:35], v[36:37] neg_lo:[0,0,1] neg_hi:[0,0,1]
	v_mov_b32_e32 v35, v93
	s_delay_alu instid0(VALU_DEP_1)
	v_mov_b64_e32 v[32:33], v[34:35]
	ds_store_b64 v3, v[34:35]
.LBB71_397:                             ;   in Loop: Header=BB71_3 Depth=1
	s_or_b32 exec_lo, exec_lo, s57
	s_wait_dscnt 0x0
	s_barrier_signal -1
	s_barrier_wait -1
	s_barrier_signal -1
	s_barrier_wait -1
	s_and_saveexec_b32 s57, s0
; %bb.398:                              ;   in Loop: Header=BB71_3 Depth=1
	v_pk_add_f32 v[32:33], v[32:33], 0 neg_lo:[1,1] neg_hi:[1,1]
	ds_store_b64 v39, v[32:33] offset:10416
; %bb.399:                              ;   in Loop: Header=BB71_3 Depth=1
	s_or_b32 exec_lo, exec_lo, s57
	s_wait_dscnt 0x0
	s_barrier_signal -1
	s_barrier_wait -1
	s_barrier_signal -1
	s_barrier_wait -1
	s_and_saveexec_b32 s57, s100
	s_cbranch_execz .LBB71_401
; %bb.400:                              ;   in Loop: Header=BB71_3 Depth=1
	ds_load_b64 v[32:33], v54 offset:10416
	s_wait_dscnt 0x0
	ds_store_b64 v51, v[32:33] offset:11424
	ds_load_b64 v[32:33], v54 offset:10424
	s_wait_dscnt 0x0
	ds_store_b64 v51, v[32:33] offset:11936
.LBB71_401:                             ;   in Loop: Header=BB71_3 Depth=1
	s_or_b32 exec_lo, exec_lo, s57
	s_wait_dscnt 0x0
	s_barrier_signal -1
	s_barrier_wait -1
	s_and_saveexec_b32 s57, s14
	s_cbranch_execz .LBB71_403
; %bb.402:                              ;   in Loop: Header=BB71_3 Depth=1
	ds_load_b128 v[32:35], v5 offset:11440
	ds_load_b64 v[36:37], v5 offset:11960
	s_wait_dscnt 0x1
	v_dual_mov_b32 v94, v35 :: v_dual_mov_b32 v95, v34
	s_wait_dscnt 0x0
	v_dual_mul_f32 v93, v37, v33 :: v_dual_mul_f32 v92, v36, v33
	s_delay_alu instid0(VALU_DEP_1) | instskip(NEXT) | instid1(VALU_DEP_2)
	v_xor_b32_e32 v96, 0x80000000, v93
	v_fmac_f32_e32 v92, v37, v32
	s_delay_alu instid0(VALU_DEP_2) | instskip(NEXT) | instid1(VALU_DEP_2)
	v_fmac_f32_e32 v96, v36, v32
	v_pk_mul_f32 v[32:33], v[92:93], v[94:95] op_sel_hi:[0,1]
	s_delay_alu instid0(VALU_DEP_1) | instskip(SKIP_2) | instid1(VALU_DEP_3)
	v_pk_fma_f32 v[36:37], v[96:97], v[34:35], v[32:33] op_sel_hi:[0,1,1]
	v_pk_fma_f32 v[32:33], v[96:97], v[34:35], v[32:33] neg_lo:[0,0,1] neg_hi:[0,0,1]
	v_add_nc_u32_e64 v34, 0x2800, 0
	v_mov_b32_e32 v33, v37
	ds_store_2addr_b64 v34, v[32:33], v[32:33] offset0:151 offset1:214
.LBB71_403:                             ;   in Loop: Header=BB71_3 Depth=1
	s_or_b32 exec_lo, exec_lo, s57
	v_mov_b32_e32 v32, 0
	s_wait_dscnt 0x0
	s_barrier_signal -1
	s_barrier_wait -1
	s_delay_alu instid0(VALU_DEP_1)
	v_mov_b32_e32 v33, v32
	s_and_saveexec_b32 s66, s3
	s_cbranch_execz .LBB71_413
; %bb.404:                              ;   in Loop: Header=BB71_3 Depth=1
	ds_load_b64 v[32:33], v56 offset:8384
	ds_load_b64 v[34:35], v52 offset:8320
	s_wait_dscnt 0x0
	v_dual_mul_f32 v36, v35, v33 :: v_dual_mul_f32 v37, v34, v33
	s_delay_alu instid0(VALU_DEP_1) | instskip(NEXT) | instid1(VALU_DEP_1)
	v_dual_fma_f32 v33, v34, v32, -v36 :: v_dual_fmac_f32 v37, v35, v32
	v_add_f32_e32 v33, 0, v33
	s_delay_alu instid0(VALU_DEP_2)
	v_add_f32_e32 v32, 0, v37
	s_and_saveexec_b32 s57, s18
	s_cbranch_execnz .LBB71_1126
; %bb.405:                              ;   in Loop: Header=BB71_3 Depth=1
	s_or_b32 exec_lo, exec_lo, s57
	s_and_saveexec_b32 s57, s19
	s_cbranch_execnz .LBB71_1127
.LBB71_406:                             ;   in Loop: Header=BB71_3 Depth=1
	s_or_b32 exec_lo, exec_lo, s57
	s_and_saveexec_b32 s57, s20
	s_cbranch_execnz .LBB71_1128
.LBB71_407:                             ;   in Loop: Header=BB71_3 Depth=1
	s_or_b32 exec_lo, exec_lo, s57
	s_and_saveexec_b32 s57, s21
	s_cbranch_execnz .LBB71_1129
.LBB71_408:                             ;   in Loop: Header=BB71_3 Depth=1
	s_or_b32 exec_lo, exec_lo, s57
	s_and_saveexec_b32 s57, s22
	s_cbranch_execnz .LBB71_1130
.LBB71_409:                             ;   in Loop: Header=BB71_3 Depth=1
	s_or_b32 exec_lo, exec_lo, s57
	s_and_saveexec_b32 s57, s2
	s_cbranch_execnz .LBB71_1131
.LBB71_410:                             ;   in Loop: Header=BB71_3 Depth=1
	s_or_b32 exec_lo, exec_lo, s57
	s_and_saveexec_b32 s57, s17
	s_cbranch_execz .LBB71_412
.LBB71_411:                             ;   in Loop: Header=BB71_3 Depth=1
	ds_load_b64 v[34:35], v58 offset:11968
	ds_load_b64 v[36:37], v5 offset:8376
	s_wait_dscnt 0x0
	v_pk_mul_f32 v[92:93], v[36:37], v[34:35] op_sel:[0,1]
	s_delay_alu instid0(VALU_DEP_1) | instskip(SKIP_1) | instid1(VALU_DEP_2)
	v_pk_fma_f32 v[94:95], v[36:37], v[34:35], v[92:93] op_sel:[1,0,0] op_sel_hi:[0,0,1] neg_lo:[0,0,1] neg_hi:[0,0,1]
	v_pk_fma_f32 v[34:35], v[36:37], v[34:35], v[92:93] op_sel:[1,0,0] op_sel_hi:[0,1,1]
	v_mov_b32_e32 v35, v95
	s_delay_alu instid0(VALU_DEP_1)
	v_pk_add_f32 v[32:33], v[32:33], v[34:35]
.LBB71_412:                             ;   in Loop: Header=BB71_3 Depth=1
	s_or_b32 exec_lo, exec_lo, s57
	s_delay_alu instid0(VALU_DEP_1) | instskip(NEXT) | instid1(VALU_DEP_1)
	v_pk_add_f32 v[34:35], v[32:33], 0 neg_lo:[1,1] neg_hi:[1,1]
	v_dual_mov_b32 v32, v35 :: v_dual_mov_b32 v33, v34
.LBB71_413:                             ;   in Loop: Header=BB71_3 Depth=1
	s_or_b32 exec_lo, exec_lo, s66
	s_and_saveexec_b32 s57, s41
	s_cbranch_execz .LBB71_415
; %bb.414:                              ;   in Loop: Header=BB71_3 Depth=1
	ds_load_b64 v[34:35], v5 offset:12480
	v_dual_mov_b32 v36, v33 :: v_dual_mov_b32 v37, v32
	s_wait_dscnt 0x0
	s_delay_alu instid0(VALU_DEP_1) | instskip(NEXT) | instid1(VALU_DEP_1)
	v_dual_mul_f32 v92, v36, v34 :: v_dual_mul_f32 v94, v33, v35
	v_pk_fma_f32 v[36:37], v[36:37], v[34:35], v[92:93] op_sel_hi:[1,1,0]
	s_delay_alu instid0(VALU_DEP_2) | instskip(NEXT) | instid1(VALU_DEP_2)
	v_pk_fma_f32 v[32:33], v[32:33], v[34:35], v[94:95] op_sel_hi:[1,1,0] neg_lo:[0,0,1] neg_hi:[0,0,1]
	v_mov_b32_e32 v33, v37
	ds_store_b64 v55, v[32:33]
.LBB71_415:                             ;   in Loop: Header=BB71_3 Depth=1
	s_or_b32 exec_lo, exec_lo, s57
	s_wait_dscnt 0x0
	s_barrier_signal -1
	s_barrier_wait -1
	s_and_saveexec_b32 s57, s42
	s_cbranch_execz .LBB71_417
; %bb.416:                              ;   in Loop: Header=BB71_3 Depth=1
	ds_load_b64 v[34:35], v53 offset:12480
	ds_load_b64 v[36:37], v55
	s_wait_dscnt 0x0
	v_dual_mul_f32 v92, v37, v35 :: v_dual_mul_f32 v93, v36, v35
	s_delay_alu instid0(VALU_DEP_1) | instskip(NEXT) | instid1(VALU_DEP_1)
	v_dual_fma_f32 v92, v36, v34, -v92 :: v_dual_fmac_f32 v93, v37, v34
	v_pk_add_f32 v[32:33], v[32:33], v[92:93]
.LBB71_417:                             ;   in Loop: Header=BB71_3 Depth=1
	s_or_b32 exec_lo, exec_lo, s57
	s_barrier_signal -1
	s_barrier_wait -1
	s_and_saveexec_b32 s57, s43
	s_cbranch_execz .LBB71_419
; %bb.418:                              ;   in Loop: Header=BB71_3 Depth=1
	ds_load_b64 v[34:35], v5 offset:13000
	s_wait_dscnt 0x0
	v_pk_mul_f32 v[36:37], v[32:33], v[34:35] op_sel:[1,1] op_sel_hi:[1,0]
	s_delay_alu instid0(VALU_DEP_1) | instskip(SKIP_1) | instid1(VALU_DEP_2)
	v_pk_fma_f32 v[92:93], v[32:33], v[34:35], v[36:37] op_sel_hi:[0,1,1]
	v_pk_fma_f32 v[32:33], v[32:33], v[34:35], v[36:37] op_sel_hi:[0,1,1] neg_lo:[0,0,1] neg_hi:[0,0,1]
	v_mov_b32_e32 v33, v93
	ds_store_b64 v55, v[32:33]
.LBB71_419:                             ;   in Loop: Header=BB71_3 Depth=1
	s_or_b32 exec_lo, exec_lo, s57
	s_wait_dscnt 0x0
	s_barrier_signal -1
	s_barrier_wait -1
	s_and_saveexec_b32 s57, s44
	s_cbranch_execz .LBB71_421
; %bb.420:                              ;   in Loop: Header=BB71_3 Depth=1
	ds_load_b64 v[34:35], v53 offset:12992
	ds_load_b64 v[36:37], v55
	s_wait_dscnt 0x0
	v_pk_mul_f32 v[92:93], v[36:37], v[34:35] op_sel:[1,1] op_sel_hi:[0,1]
	s_delay_alu instid0(VALU_DEP_1) | instskip(SKIP_1) | instid1(VALU_DEP_2)
	v_pk_fma_f32 v[94:95], v[36:37], v[34:35], v[92:93] op_sel_hi:[1,0,1]
	v_pk_fma_f32 v[34:35], v[36:37], v[34:35], v[92:93] op_sel_hi:[1,0,1] neg_lo:[0,0,1] neg_hi:[0,0,1]
	v_mov_b32_e32 v35, v95
	s_delay_alu instid0(VALU_DEP_1)
	v_pk_add_f32 v[32:33], v[32:33], v[34:35]
.LBB71_421:                             ;   in Loop: Header=BB71_3 Depth=1
	s_or_b32 exec_lo, exec_lo, s57
	s_barrier_signal -1
	s_barrier_wait -1
	s_and_saveexec_b32 s57, s45
	s_cbranch_execz .LBB71_423
; %bb.422:                              ;   in Loop: Header=BB71_3 Depth=1
	ds_load_b64 v[34:35], v5 offset:13520
	s_wait_dscnt 0x0
	v_pk_mul_f32 v[36:37], v[32:33], v[34:35] op_sel:[1,1] op_sel_hi:[1,0]
	s_delay_alu instid0(VALU_DEP_1) | instskip(SKIP_1) | instid1(VALU_DEP_2)
	v_pk_fma_f32 v[92:93], v[32:33], v[34:35], v[36:37] op_sel_hi:[0,1,1]
	v_pk_fma_f32 v[32:33], v[32:33], v[34:35], v[36:37] op_sel_hi:[0,1,1] neg_lo:[0,0,1] neg_hi:[0,0,1]
	v_mov_b32_e32 v33, v93
	ds_store_b64 v55, v[32:33]
.LBB71_423:                             ;   in Loop: Header=BB71_3 Depth=1
	s_or_b32 exec_lo, exec_lo, s57
	s_wait_dscnt 0x0
	s_barrier_signal -1
	s_barrier_wait -1
	s_and_saveexec_b32 s57, s46
	s_cbranch_execz .LBB71_425
; %bb.424:                              ;   in Loop: Header=BB71_3 Depth=1
	ds_load_b64 v[34:35], v53 offset:13504
	ds_load_b64 v[36:37], v55
	s_wait_dscnt 0x0
	v_pk_mul_f32 v[92:93], v[36:37], v[34:35] op_sel:[1,1] op_sel_hi:[0,1]
	s_delay_alu instid0(VALU_DEP_1) | instskip(SKIP_1) | instid1(VALU_DEP_2)
	v_pk_fma_f32 v[94:95], v[36:37], v[34:35], v[92:93] op_sel_hi:[1,0,1]
	v_pk_fma_f32 v[34:35], v[36:37], v[34:35], v[92:93] op_sel_hi:[1,0,1] neg_lo:[0,0,1] neg_hi:[0,0,1]
	v_mov_b32_e32 v35, v95
	s_delay_alu instid0(VALU_DEP_1)
	v_pk_add_f32 v[32:33], v[32:33], v[34:35]
.LBB71_425:                             ;   in Loop: Header=BB71_3 Depth=1
	;; [unrolled: 33-line block ×3, first 2 shown]
	s_or_b32 exec_lo, exec_lo, s57
	s_barrier_signal -1
	s_barrier_wait -1
	s_and_saveexec_b32 s57, s49
	s_cbranch_execz .LBB71_431
; %bb.430:                              ;   in Loop: Header=BB71_3 Depth=1
	ds_load_b64 v[34:35], v5 offset:14560
	s_wait_dscnt 0x0
	v_dual_mul_f32 v36, v32, v35 :: v_dual_mul_f32 v92, v33, v35
	s_delay_alu instid0(VALU_DEP_1) | instskip(NEXT) | instid1(VALU_DEP_2)
	v_pk_fma_f32 v[36:37], v[32:33], v[34:35], v[36:37] op_sel:[0,1,0] op_sel_hi:[1,0,0]
	v_pk_fma_f32 v[34:35], v[32:33], v[34:35], v[92:93] op_sel_hi:[1,1,0] neg_lo:[0,0,1] neg_hi:[0,0,1]
	s_delay_alu instid0(VALU_DEP_2) | instskip(NEXT) | instid1(VALU_DEP_1)
	v_mov_b32_e32 v35, v37
	v_mov_b64_e32 v[32:33], v[34:35]
	ds_store_b64 v55, v[34:35]
.LBB71_431:                             ;   in Loop: Header=BB71_3 Depth=1
	s_or_b32 exec_lo, exec_lo, s57
	s_wait_dscnt 0x0
	s_barrier_signal -1
	s_barrier_wait -1
	s_and_saveexec_b32 s57, s50
	s_cbranch_execz .LBB71_433
; %bb.432:                              ;   in Loop: Header=BB71_3 Depth=1
	ds_load_b64 v[34:35], v53 offset:14528
	ds_load_b64 v[36:37], v55
	s_wait_dscnt 0x0
	v_dual_mul_f32 v92, v37, v35 :: v_dual_mul_f32 v93, v36, v35
	s_delay_alu instid0(VALU_DEP_1) | instskip(NEXT) | instid1(VALU_DEP_1)
	v_dual_fma_f32 v92, v36, v34, -v92 :: v_dual_fmac_f32 v93, v37, v34
	v_pk_add_f32 v[32:33], v[32:33], v[92:93]
.LBB71_433:                             ;   in Loop: Header=BB71_3 Depth=1
	s_or_b32 exec_lo, exec_lo, s57
	s_barrier_signal -1
	s_barrier_wait -1
	s_and_saveexec_b32 s57, s51
	s_cbranch_execz .LBB71_435
; %bb.434:                              ;   in Loop: Header=BB71_3 Depth=1
	ds_load_b64 v[34:35], v5 offset:15080
	s_wait_dscnt 0x0
	v_pk_mul_f32 v[36:37], v[32:33], v[34:35] op_sel:[1,1] op_sel_hi:[1,0]
	s_delay_alu instid0(VALU_DEP_1) | instskip(SKIP_1) | instid1(VALU_DEP_2)
	v_pk_fma_f32 v[92:93], v[32:33], v[34:35], v[36:37] op_sel_hi:[0,1,1]
	v_pk_fma_f32 v[34:35], v[32:33], v[34:35], v[36:37] neg_lo:[0,0,1] neg_hi:[0,0,1]
	v_mov_b32_e32 v35, v93
	s_delay_alu instid0(VALU_DEP_1)
	v_mov_b64_e32 v[32:33], v[34:35]
	ds_store_b64 v55, v[34:35]
.LBB71_435:                             ;   in Loop: Header=BB71_3 Depth=1
	s_or_b32 exec_lo, exec_lo, s57
	s_wait_dscnt 0x0
	s_barrier_signal -1
	s_barrier_wait -1
	s_and_saveexec_b32 s57, s52
	s_cbranch_execz .LBB71_437
; %bb.436:                              ;   in Loop: Header=BB71_3 Depth=1
	ds_load_b64 v[34:35], v53 offset:15040
	ds_load_b64 v[36:37], v55
	s_wait_dscnt 0x0
	v_pk_mul_f32 v[92:93], v[36:37], v[34:35] op_sel:[1,1] op_sel_hi:[0,1]
	s_delay_alu instid0(VALU_DEP_1) | instskip(SKIP_1) | instid1(VALU_DEP_2)
	v_pk_fma_f32 v[94:95], v[36:37], v[34:35], v[92:93] op_sel_hi:[1,0,1]
	v_pk_fma_f32 v[34:35], v[36:37], v[34:35], v[92:93] neg_lo:[0,0,1] neg_hi:[0,0,1]
	v_mov_b32_e32 v35, v95
	s_delay_alu instid0(VALU_DEP_1)
	v_pk_add_f32 v[32:33], v[32:33], v[34:35]
.LBB71_437:                             ;   in Loop: Header=BB71_3 Depth=1
	s_or_b32 exec_lo, exec_lo, s57
	s_barrier_signal -1
	s_barrier_wait -1
	s_and_saveexec_b32 s57, s53
	s_cbranch_execz .LBB71_439
; %bb.438:                              ;   in Loop: Header=BB71_3 Depth=1
	ds_load_b64 v[34:35], v5 offset:15600
	s_wait_dscnt 0x0
	v_pk_mul_f32 v[36:37], v[32:33], v[34:35] op_sel:[1,1] op_sel_hi:[1,0]
	s_delay_alu instid0(VALU_DEP_1) | instskip(SKIP_1) | instid1(VALU_DEP_2)
	v_pk_fma_f32 v[92:93], v[32:33], v[34:35], v[36:37] op_sel_hi:[0,1,1]
	v_pk_fma_f32 v[34:35], v[32:33], v[34:35], v[36:37] neg_lo:[0,0,1] neg_hi:[0,0,1]
	v_mov_b32_e32 v35, v93
	s_delay_alu instid0(VALU_DEP_1)
	v_mov_b64_e32 v[32:33], v[34:35]
	ds_store_b64 v55, v[34:35]
.LBB71_439:                             ;   in Loop: Header=BB71_3 Depth=1
	s_or_b32 exec_lo, exec_lo, s57
	s_wait_dscnt 0x0
	s_barrier_signal -1
	s_barrier_wait -1
	s_and_saveexec_b32 s57, s54
	s_cbranch_execz .LBB71_441
; %bb.440:                              ;   in Loop: Header=BB71_3 Depth=1
	ds_load_b64 v[34:35], v5 offset:15608
	ds_load_b64 v[36:37], v55
	s_wait_dscnt 0x0
	v_pk_mul_f32 v[92:93], v[36:37], v[34:35] op_sel:[1,1] op_sel_hi:[0,1]
	s_delay_alu instid0(VALU_DEP_1) | instskip(SKIP_1) | instid1(VALU_DEP_2)
	v_pk_fma_f32 v[94:95], v[36:37], v[34:35], v[92:93] op_sel_hi:[1,0,1]
	v_pk_fma_f32 v[34:35], v[36:37], v[34:35], v[92:93] neg_lo:[0,0,1] neg_hi:[0,0,1]
	v_mov_b32_e32 v35, v95
	s_delay_alu instid0(VALU_DEP_1)
	v_pk_add_f32 v[32:33], v[32:33], v[34:35]
.LBB71_441:                             ;   in Loop: Header=BB71_3 Depth=1
	s_or_b32 exec_lo, exec_lo, s57
	s_barrier_signal -1
	s_barrier_wait -1
	s_and_saveexec_b32 s57, s54
	s_cbranch_execz .LBB71_443
; %bb.442:                              ;   in Loop: Header=BB71_3 Depth=1
	ds_load_b64 v[34:35], v5 offset:16120
	s_wait_dscnt 0x0
	v_pk_mul_f32 v[36:37], v[32:33], v[34:35] op_sel:[1,1] op_sel_hi:[1,0]
	s_delay_alu instid0(VALU_DEP_1) | instskip(SKIP_1) | instid1(VALU_DEP_2)
	v_pk_fma_f32 v[92:93], v[32:33], v[34:35], v[36:37] op_sel_hi:[0,1,1]
	v_pk_fma_f32 v[34:35], v[32:33], v[34:35], v[36:37] neg_lo:[0,0,1] neg_hi:[0,0,1]
	v_mov_b32_e32 v35, v93
	s_delay_alu instid0(VALU_DEP_1)
	v_mov_b64_e32 v[32:33], v[34:35]
	ds_store_b64 v55, v[34:35]
.LBB71_443:                             ;   in Loop: Header=BB71_3 Depth=1
	s_or_b32 exec_lo, exec_lo, s57
	s_wait_dscnt 0x0
	s_barrier_signal -1
	s_barrier_wait -1
	s_barrier_signal -1
	s_barrier_wait -1
	s_and_saveexec_b32 s57, s3
; %bb.444:                              ;   in Loop: Header=BB71_3 Depth=1
	v_pk_add_f32 v[32:33], v[32:33], 0 neg_lo:[1,1] neg_hi:[1,1]
	ds_store_b64 v56, v[32:33] offset:8384
; %bb.445:                              ;   in Loop: Header=BB71_3 Depth=1
	s_or_b32 exec_lo, exec_lo, s57
	s_wait_dscnt 0x0
	s_barrier_signal -1
	s_barrier_wait -1
	s_barrier_signal -1
	s_barrier_wait -1
	s_and_saveexec_b32 s57, s55
	s_cbranch_execz .LBB71_447
; %bb.446:                              ;   in Loop: Header=BB71_3 Depth=1
	ds_load_b64 v[32:33], v59 offset:8384
	s_wait_dscnt 0x0
	ds_store_b64 v60, v[32:33] offset:12416
	ds_load_b64 v[32:33], v59 offset:8392
	s_wait_dscnt 0x0
	ds_store_b64 v60, v[32:33] offset:12928
	;; [unrolled: 3-line block ×8, first 2 shown]
.LBB71_447:                             ;   in Loop: Header=BB71_3 Depth=1
	s_or_b32 exec_lo, exec_lo, s57
	s_wait_dscnt 0x0
	s_barrier_signal -1
	s_barrier_wait -1
	s_and_saveexec_b32 s57, s14
	s_cbranch_execz .LBB71_449
; %bb.448:                              ;   in Loop: Header=BB71_3 Depth=1
	ds_load_b128 v[32:35], v5 offset:12480
	ds_load_b64 v[36:37], v5 offset:13000
	s_wait_dscnt 0x1
	v_dual_mov_b32 v94, v35 :: v_dual_mov_b32 v95, v34
	s_wait_dscnt 0x0
	v_dual_mul_f32 v93, v37, v33 :: v_dual_mul_f32 v92, v36, v33
	s_delay_alu instid0(VALU_DEP_1) | instskip(NEXT) | instid1(VALU_DEP_2)
	v_xor_b32_e32 v96, 0x80000000, v93
	v_fmac_f32_e32 v92, v37, v32
	s_delay_alu instid0(VALU_DEP_2) | instskip(NEXT) | instid1(VALU_DEP_2)
	v_fmac_f32_e32 v96, v36, v32
	v_pk_mul_f32 v[32:33], v[92:93], v[94:95] op_sel_hi:[0,1]
	s_delay_alu instid0(VALU_DEP_1) | instskip(SKIP_2) | instid1(VALU_DEP_3)
	v_pk_fma_f32 v[36:37], v[96:97], v[34:35], v[32:33] op_sel_hi:[0,1,1]
	v_pk_fma_f32 v[32:33], v[96:97], v[34:35], v[32:33] neg_lo:[0,0,1] neg_hi:[0,0,1]
	v_add_nc_u32_e64 v34, 0x3000, 0
	v_mov_b32_e32 v33, v37
	ds_store_2addr_b64 v34, v[32:33], v[32:33] offset0:25 offset1:88
.LBB71_449:                             ;   in Loop: Header=BB71_3 Depth=1
	s_or_b32 exec_lo, exec_lo, s57
	v_mov_b32_e32 v33, 0
	s_wait_dscnt 0x0
	s_barrier_signal -1
	s_barrier_wait -1
	s_delay_alu instid0(VALU_DEP_1)
	v_mov_b32_e32 v32, v33
	s_and_saveexec_b32 s57, s0
	s_cbranch_execz .LBB71_453
; %bb.450:                              ;   in Loop: Header=BB71_3 Depth=1
	ds_load_b64 v[32:33], v39 offset:12496
	ds_load_b64 v[34:35], v40 offset:12480
	s_wait_dscnt 0x0
	v_dual_mul_f32 v36, v35, v33 :: v_dual_mul_f32 v37, v34, v33
	s_delay_alu instid0(VALU_DEP_1) | instskip(NEXT) | instid1(VALU_DEP_1)
	v_dual_fma_f32 v36, v34, v32, -v36 :: v_dual_fmac_f32 v37, v35, v32
	v_pk_add_f32 v[32:33], v[36:37], 0 op_sel_hi:[1,0]
	s_and_saveexec_b32 s58, s15
	s_cbranch_execz .LBB71_452
; %bb.451:                              ;   in Loop: Header=BB71_3 Depth=1
	ds_load_b64 v[34:35], v60 offset:13008
	ds_load_b64 v[36:37], v5 offset:12488
	s_wait_dscnt 0x0
	v_pk_mul_f32 v[92:93], v[36:37], v[34:35] op_sel:[1,1] op_sel_hi:[0,1]
	s_delay_alu instid0(VALU_DEP_1) | instskip(SKIP_1) | instid1(VALU_DEP_2)
	v_pk_fma_f32 v[94:95], v[36:37], v[34:35], v[92:93] op_sel_hi:[1,0,1]
	v_pk_fma_f32 v[34:35], v[36:37], v[34:35], v[92:93] neg_lo:[0,0,1] neg_hi:[0,0,1]
	v_mov_b32_e32 v35, v95
	s_delay_alu instid0(VALU_DEP_1)
	v_pk_add_f32 v[32:33], v[32:33], v[34:35]
.LBB71_452:                             ;   in Loop: Header=BB71_3 Depth=1
	s_or_b32 exec_lo, exec_lo, s58
	s_delay_alu instid0(VALU_DEP_1)
	v_pk_add_f32 v[32:33], v[32:33], 0 neg_lo:[1,1] neg_hi:[1,1]
.LBB71_453:                             ;   in Loop: Header=BB71_3 Depth=1
	s_or_b32 exec_lo, exec_lo, s57
	s_and_saveexec_b32 s57, s98
	s_cbranch_execz .LBB71_455
; %bb.454:                              ;   in Loop: Header=BB71_3 Depth=1
	ds_load_b64 v[34:35], v5 offset:13520
	s_wait_dscnt 0x0
	v_pk_mul_f32 v[36:37], v[32:33], v[34:35] op_sel:[1,1] op_sel_hi:[1,0]
	s_delay_alu instid0(VALU_DEP_1) | instskip(SKIP_1) | instid1(VALU_DEP_2)
	v_pk_fma_f32 v[92:93], v[32:33], v[34:35], v[36:37] op_sel_hi:[0,1,1]
	v_pk_fma_f32 v[34:35], v[32:33], v[34:35], v[36:37] neg_lo:[0,0,1] neg_hi:[0,0,1]
	v_mov_b32_e32 v35, v93
	s_delay_alu instid0(VALU_DEP_1)
	v_mov_b64_e32 v[32:33], v[34:35]
	ds_store_b64 v3, v[34:35]
.LBB71_455:                             ;   in Loop: Header=BB71_3 Depth=1
	s_or_b32 exec_lo, exec_lo, s57
	s_wait_dscnt 0x0
	s_barrier_signal -1
	s_barrier_wait -1
	s_and_saveexec_b32 s57, s99
	s_cbranch_execz .LBB71_457
; %bb.456:                              ;   in Loop: Header=BB71_3 Depth=1
	ds_load_b64 v[34:35], v5 offset:13528
	ds_load_b64 v[36:37], v3
	s_wait_dscnt 0x0
	v_pk_mul_f32 v[92:93], v[36:37], v[34:35] op_sel:[1,1] op_sel_hi:[0,1]
	s_delay_alu instid0(VALU_DEP_1) | instskip(SKIP_1) | instid1(VALU_DEP_2)
	v_pk_fma_f32 v[94:95], v[36:37], v[34:35], v[92:93] op_sel_hi:[1,0,1]
	v_pk_fma_f32 v[34:35], v[36:37], v[34:35], v[92:93] neg_lo:[0,0,1] neg_hi:[0,0,1]
	v_mov_b32_e32 v35, v95
	s_delay_alu instid0(VALU_DEP_1)
	v_pk_add_f32 v[32:33], v[32:33], v[34:35]
.LBB71_457:                             ;   in Loop: Header=BB71_3 Depth=1
	s_or_b32 exec_lo, exec_lo, s57
	s_barrier_signal -1
	s_barrier_wait -1
	s_and_saveexec_b32 s57, s99
	s_cbranch_execz .LBB71_459
; %bb.458:                              ;   in Loop: Header=BB71_3 Depth=1
	ds_load_b64 v[34:35], v5 offset:14040
	s_wait_dscnt 0x0
	v_pk_mul_f32 v[36:37], v[32:33], v[34:35] op_sel:[1,1] op_sel_hi:[1,0]
	s_delay_alu instid0(VALU_DEP_1) | instskip(SKIP_1) | instid1(VALU_DEP_2)
	v_pk_fma_f32 v[92:93], v[32:33], v[34:35], v[36:37] op_sel_hi:[0,1,1]
	v_pk_fma_f32 v[34:35], v[32:33], v[34:35], v[36:37] neg_lo:[0,0,1] neg_hi:[0,0,1]
	v_mov_b32_e32 v35, v93
	s_delay_alu instid0(VALU_DEP_1)
	v_mov_b64_e32 v[32:33], v[34:35]
	ds_store_b64 v3, v[34:35]
.LBB71_459:                             ;   in Loop: Header=BB71_3 Depth=1
	s_or_b32 exec_lo, exec_lo, s57
	s_wait_dscnt 0x0
	s_barrier_signal -1
	s_barrier_wait -1
	s_barrier_signal -1
	s_barrier_wait -1
	s_and_saveexec_b32 s57, s0
; %bb.460:                              ;   in Loop: Header=BB71_3 Depth=1
	v_pk_add_f32 v[32:33], v[32:33], 0 neg_lo:[1,1] neg_hi:[1,1]
	ds_store_b64 v39, v[32:33] offset:12496
; %bb.461:                              ;   in Loop: Header=BB71_3 Depth=1
	s_or_b32 exec_lo, exec_lo, s57
	s_wait_dscnt 0x0
	s_barrier_signal -1
	s_barrier_wait -1
	s_barrier_signal -1
	s_barrier_wait -1
	s_and_saveexec_b32 s57, s100
	s_cbranch_execz .LBB71_463
; %bb.462:                              ;   in Loop: Header=BB71_3 Depth=1
	ds_load_b64 v[32:33], v62 offset:12496
	s_wait_dscnt 0x0
	ds_store_b64 v60, v[32:33] offset:13504
	ds_load_b64 v[32:33], v62 offset:12504
	s_wait_dscnt 0x0
	ds_store_b64 v60, v[32:33] offset:14016
.LBB71_463:                             ;   in Loop: Header=BB71_3 Depth=1
	s_or_b32 exec_lo, exec_lo, s57
	s_wait_dscnt 0x0
	s_barrier_signal -1
	s_barrier_wait -1
	s_and_saveexec_b32 s57, s14
	s_cbranch_execz .LBB71_465
; %bb.464:                              ;   in Loop: Header=BB71_3 Depth=1
	ds_load_b128 v[32:35], v5 offset:13520
	ds_load_b64 v[36:37], v5 offset:14040
	s_wait_dscnt 0x1
	v_dual_mov_b32 v94, v35 :: v_dual_mov_b32 v95, v34
	s_wait_dscnt 0x0
	v_dual_mul_f32 v93, v37, v33 :: v_dual_mul_f32 v92, v36, v33
	s_delay_alu instid0(VALU_DEP_1) | instskip(NEXT) | instid1(VALU_DEP_2)
	v_xor_b32_e32 v96, 0x80000000, v93
	v_fmac_f32_e32 v92, v37, v32
	s_delay_alu instid0(VALU_DEP_2) | instskip(NEXT) | instid1(VALU_DEP_2)
	v_fmac_f32_e32 v96, v36, v32
	v_pk_mul_f32 v[32:33], v[92:93], v[94:95] op_sel_hi:[0,1]
	s_delay_alu instid0(VALU_DEP_1) | instskip(SKIP_2) | instid1(VALU_DEP_3)
	v_pk_fma_f32 v[36:37], v[96:97], v[34:35], v[32:33] op_sel_hi:[0,1,1]
	v_pk_fma_f32 v[32:33], v[96:97], v[34:35], v[32:33] neg_lo:[0,0,1] neg_hi:[0,0,1]
	v_add_nc_u32_e64 v34, 0x3000, 0
	v_mov_b32_e32 v33, v37
	ds_store_2addr_b64 v34, v[32:33], v[32:33] offset0:155 offset1:218
.LBB71_465:                             ;   in Loop: Header=BB71_3 Depth=1
	s_or_b32 exec_lo, exec_lo, s57
	v_mov_b32_e32 v32, 0
	s_wait_dscnt 0x0
	s_barrier_signal -1
	s_barrier_wait -1
	s_delay_alu instid0(VALU_DEP_1)
	v_mov_b32_e32 v33, v32
	s_and_saveexec_b32 s66, s2
	s_cbranch_execz .LBB71_471
; %bb.466:                              ;   in Loop: Header=BB71_3 Depth=1
	ds_load_b64 v[32:33], v46 offset:12512
	ds_load_b64 v[34:35], v42 offset:12480
	s_wait_dscnt 0x0
	v_pk_mul_f32 v[36:37], v[34:35], v[32:33] op_sel:[0,1]
	s_delay_alu instid0(VALU_DEP_1) | instskip(SKIP_1) | instid1(VALU_DEP_2)
	v_pk_fma_f32 v[92:93], v[34:35], v[32:33], v[36:37] op_sel:[1,0,0] op_sel_hi:[0,0,1] neg_lo:[0,0,1] neg_hi:[0,0,1]
	v_pk_fma_f32 v[32:33], v[34:35], v[32:33], v[36:37] op_sel:[1,0,0] op_sel_hi:[0,1,1]
	v_mov_b32_e32 v33, v93
	s_delay_alu instid0(VALU_DEP_1)
	v_pk_add_f32 v[32:33], v[32:33], 0 op_sel_hi:[1,0]
	s_and_saveexec_b32 s57, s16
	s_cbranch_execnz .LBB71_1132
; %bb.467:                              ;   in Loop: Header=BB71_3 Depth=1
	s_or_b32 exec_lo, exec_lo, s57
	s_and_saveexec_b32 s57, s17
	s_cbranch_execnz .LBB71_1133
.LBB71_468:                             ;   in Loop: Header=BB71_3 Depth=1
	s_or_b32 exec_lo, exec_lo, s57
	s_and_saveexec_b32 s57, s0
	s_cbranch_execz .LBB71_470
.LBB71_469:                             ;   in Loop: Header=BB71_3 Depth=1
	ds_load_b64 v[34:35], v70 offset:14048
	ds_load_b64 v[36:37], v5 offset:12504
	s_wait_dscnt 0x0
	v_pk_mul_f32 v[92:93], v[36:37], v[34:35] op_sel:[0,1]
	s_delay_alu instid0(VALU_DEP_1) | instskip(SKIP_1) | instid1(VALU_DEP_2)
	v_pk_fma_f32 v[94:95], v[36:37], v[34:35], v[92:93] op_sel:[1,0,0] op_sel_hi:[0,0,1] neg_lo:[0,0,1] neg_hi:[0,0,1]
	v_pk_fma_f32 v[34:35], v[36:37], v[34:35], v[92:93] op_sel:[1,0,0] op_sel_hi:[0,1,1]
	v_mov_b32_e32 v35, v95
	s_delay_alu instid0(VALU_DEP_1)
	v_pk_add_f32 v[32:33], v[32:33], v[34:35]
.LBB71_470:                             ;   in Loop: Header=BB71_3 Depth=1
	s_or_b32 exec_lo, exec_lo, s57
	s_delay_alu instid0(VALU_DEP_1) | instskip(NEXT) | instid1(VALU_DEP_1)
	v_pk_add_f32 v[34:35], v[32:33], 0 neg_lo:[1,1] neg_hi:[1,1]
	v_dual_mov_b32 v32, v35 :: v_dual_mov_b32 v33, v34
.LBB71_471:                             ;   in Loop: Header=BB71_3 Depth=1
	s_or_b32 exec_lo, exec_lo, s66
	s_and_saveexec_b32 s57, s101
	s_cbranch_execz .LBB71_473
; %bb.472:                              ;   in Loop: Header=BB71_3 Depth=1
	ds_load_b64 v[34:35], v5 offset:14560
	v_dual_mov_b32 v36, v33 :: v_dual_mov_b32 v37, v32
	s_wait_dscnt 0x0
	s_delay_alu instid0(VALU_DEP_1) | instskip(NEXT) | instid1(VALU_DEP_1)
	v_dual_mul_f32 v92, v36, v34 :: v_dual_mul_f32 v94, v33, v35
	v_pk_fma_f32 v[36:37], v[36:37], v[34:35], v[92:93] op_sel_hi:[1,1,0]
	s_delay_alu instid0(VALU_DEP_2) | instskip(NEXT) | instid1(VALU_DEP_2)
	v_pk_fma_f32 v[32:33], v[32:33], v[34:35], v[94:95] op_sel_hi:[1,1,0] neg_lo:[0,0,1] neg_hi:[0,0,1]
	v_mov_b32_e32 v33, v37
	ds_store_b64 v45, v[32:33]
.LBB71_473:                             ;   in Loop: Header=BB71_3 Depth=1
	s_or_b32 exec_lo, exec_lo, s57
	s_wait_dscnt 0x0
	s_barrier_signal -1
	s_barrier_wait -1
	s_and_saveexec_b32 s57, s102
	s_cbranch_execz .LBB71_475
; %bb.474:                              ;   in Loop: Header=BB71_3 Depth=1
	ds_load_b64 v[34:35], v43 offset:14560
	ds_load_b64 v[36:37], v45
	s_wait_dscnt 0x0
	v_dual_mul_f32 v92, v37, v35 :: v_dual_mul_f32 v93, v36, v35
	s_delay_alu instid0(VALU_DEP_1) | instskip(NEXT) | instid1(VALU_DEP_1)
	v_dual_fma_f32 v92, v36, v34, -v92 :: v_dual_fmac_f32 v93, v37, v34
	v_pk_add_f32 v[32:33], v[32:33], v[92:93]
.LBB71_475:                             ;   in Loop: Header=BB71_3 Depth=1
	s_or_b32 exec_lo, exec_lo, s57
	s_barrier_signal -1
	s_barrier_wait -1
	s_and_saveexec_b32 s57, s103
	s_cbranch_execz .LBB71_477
; %bb.476:                              ;   in Loop: Header=BB71_3 Depth=1
	ds_load_b64 v[34:35], v5 offset:15080
	s_wait_dscnt 0x0
	v_pk_mul_f32 v[36:37], v[32:33], v[34:35] op_sel:[1,1] op_sel_hi:[1,0]
	s_delay_alu instid0(VALU_DEP_1) | instskip(SKIP_1) | instid1(VALU_DEP_2)
	v_pk_fma_f32 v[92:93], v[32:33], v[34:35], v[36:37] op_sel_hi:[0,1,1]
	v_pk_fma_f32 v[34:35], v[32:33], v[34:35], v[36:37] neg_lo:[0,0,1] neg_hi:[0,0,1]
	v_mov_b32_e32 v35, v93
	s_delay_alu instid0(VALU_DEP_1)
	v_mov_b64_e32 v[32:33], v[34:35]
	ds_store_b64 v45, v[34:35]
.LBB71_477:                             ;   in Loop: Header=BB71_3 Depth=1
	s_or_b32 exec_lo, exec_lo, s57
	s_wait_dscnt 0x0
	s_barrier_signal -1
	s_barrier_wait -1
	s_and_saveexec_b32 s57, s104
	s_cbranch_execz .LBB71_479
; %bb.478:                              ;   in Loop: Header=BB71_3 Depth=1
	ds_load_b64 v[34:35], v43 offset:15072
	ds_load_b64 v[36:37], v45
	s_wait_dscnt 0x0
	v_pk_mul_f32 v[92:93], v[36:37], v[34:35] op_sel:[1,1] op_sel_hi:[0,1]
	s_delay_alu instid0(VALU_DEP_1) | instskip(SKIP_1) | instid1(VALU_DEP_2)
	v_pk_fma_f32 v[94:95], v[36:37], v[34:35], v[92:93] op_sel_hi:[1,0,1]
	v_pk_fma_f32 v[34:35], v[36:37], v[34:35], v[92:93] neg_lo:[0,0,1] neg_hi:[0,0,1]
	v_mov_b32_e32 v35, v95
	s_delay_alu instid0(VALU_DEP_1)
	v_pk_add_f32 v[32:33], v[32:33], v[34:35]
.LBB71_479:                             ;   in Loop: Header=BB71_3 Depth=1
	s_or_b32 exec_lo, exec_lo, s57
	s_barrier_signal -1
	s_barrier_wait -1
	s_and_saveexec_b32 s57, vcc_hi
	s_cbranch_execz .LBB71_481
; %bb.480:                              ;   in Loop: Header=BB71_3 Depth=1
	ds_load_b64 v[34:35], v5 offset:15600
	s_wait_dscnt 0x0
	v_pk_mul_f32 v[36:37], v[32:33], v[34:35] op_sel:[1,1] op_sel_hi:[1,0]
	s_delay_alu instid0(VALU_DEP_1) | instskip(SKIP_1) | instid1(VALU_DEP_2)
	v_pk_fma_f32 v[92:93], v[32:33], v[34:35], v[36:37] op_sel_hi:[0,1,1]
	v_pk_fma_f32 v[34:35], v[32:33], v[34:35], v[36:37] neg_lo:[0,0,1] neg_hi:[0,0,1]
	v_mov_b32_e32 v35, v93
	s_delay_alu instid0(VALU_DEP_1)
	v_mov_b64_e32 v[32:33], v[34:35]
	ds_store_b64 v45, v[34:35]
.LBB71_481:                             ;   in Loop: Header=BB71_3 Depth=1
	s_or_b32 exec_lo, exec_lo, s57
	s_wait_dscnt 0x0
	s_barrier_signal -1
	s_barrier_wait -1
	s_and_saveexec_b32 s57, s39
	s_cbranch_execz .LBB71_483
; %bb.482:                              ;   in Loop: Header=BB71_3 Depth=1
	ds_load_b64 v[34:35], v5 offset:15608
	ds_load_b64 v[36:37], v45
	s_wait_dscnt 0x0
	v_pk_mul_f32 v[92:93], v[36:37], v[34:35] op_sel:[1,1] op_sel_hi:[0,1]
	s_delay_alu instid0(VALU_DEP_1) | instskip(SKIP_1) | instid1(VALU_DEP_2)
	v_pk_fma_f32 v[94:95], v[36:37], v[34:35], v[92:93] op_sel_hi:[1,0,1]
	v_pk_fma_f32 v[34:35], v[36:37], v[34:35], v[92:93] neg_lo:[0,0,1] neg_hi:[0,0,1]
	v_mov_b32_e32 v35, v95
	s_delay_alu instid0(VALU_DEP_1)
	v_pk_add_f32 v[32:33], v[32:33], v[34:35]
.LBB71_483:                             ;   in Loop: Header=BB71_3 Depth=1
	s_or_b32 exec_lo, exec_lo, s57
	s_barrier_signal -1
	s_barrier_wait -1
	s_and_saveexec_b32 s57, s39
	s_cbranch_execz .LBB71_485
; %bb.484:                              ;   in Loop: Header=BB71_3 Depth=1
	ds_load_b64 v[34:35], v5 offset:16120
	s_wait_dscnt 0x0
	v_pk_mul_f32 v[36:37], v[32:33], v[34:35] op_sel:[1,1] op_sel_hi:[1,0]
	s_delay_alu instid0(VALU_DEP_1) | instskip(SKIP_1) | instid1(VALU_DEP_2)
	v_pk_fma_f32 v[92:93], v[32:33], v[34:35], v[36:37] op_sel_hi:[0,1,1]
	v_pk_fma_f32 v[34:35], v[32:33], v[34:35], v[36:37] neg_lo:[0,0,1] neg_hi:[0,0,1]
	v_mov_b32_e32 v35, v93
	s_delay_alu instid0(VALU_DEP_1)
	v_mov_b64_e32 v[32:33], v[34:35]
	ds_store_b64 v45, v[34:35]
.LBB71_485:                             ;   in Loop: Header=BB71_3 Depth=1
	s_or_b32 exec_lo, exec_lo, s57
	s_wait_dscnt 0x0
	s_barrier_signal -1
	s_barrier_wait -1
	s_barrier_signal -1
	s_barrier_wait -1
	s_and_saveexec_b32 s57, s2
; %bb.486:                              ;   in Loop: Header=BB71_3 Depth=1
	v_pk_add_f32 v[32:33], v[32:33], 0 neg_lo:[1,1] neg_hi:[1,1]
	ds_store_b64 v46, v[32:33] offset:12512
; %bb.487:                              ;   in Loop: Header=BB71_3 Depth=1
	s_or_b32 exec_lo, exec_lo, s57
	s_wait_dscnt 0x0
	s_barrier_signal -1
	s_barrier_wait -1
	s_barrier_signal -1
	s_barrier_wait -1
	s_and_saveexec_b32 s57, s40
	s_cbranch_execz .LBB71_489
; %bb.488:                              ;   in Loop: Header=BB71_3 Depth=1
	ds_load_b64 v[32:33], v71 offset:12512
	s_wait_dscnt 0x0
	ds_store_b64 v76, v[32:33] offset:14528
	ds_load_b64 v[32:33], v71 offset:12520
	s_wait_dscnt 0x0
	ds_store_b64 v76, v[32:33] offset:15040
	;; [unrolled: 3-line block ×4, first 2 shown]
.LBB71_489:                             ;   in Loop: Header=BB71_3 Depth=1
	s_or_b32 exec_lo, exec_lo, s57
	s_wait_dscnt 0x0
	s_barrier_signal -1
	s_barrier_wait -1
	s_and_saveexec_b32 s57, s14
	s_cbranch_execz .LBB71_491
; %bb.490:                              ;   in Loop: Header=BB71_3 Depth=1
	ds_load_b128 v[32:35], v5 offset:14560
	ds_load_b64 v[36:37], v5 offset:15080
	s_wait_dscnt 0x1
	v_dual_mov_b32 v94, v35 :: v_dual_mov_b32 v95, v34
	s_wait_dscnt 0x0
	v_dual_mul_f32 v93, v37, v33 :: v_dual_mul_f32 v92, v36, v33
	s_delay_alu instid0(VALU_DEP_1) | instskip(NEXT) | instid1(VALU_DEP_2)
	v_xor_b32_e32 v96, 0x80000000, v93
	v_fmac_f32_e32 v92, v37, v32
	s_delay_alu instid0(VALU_DEP_2) | instskip(NEXT) | instid1(VALU_DEP_2)
	v_fmac_f32_e32 v96, v36, v32
	v_pk_mul_f32 v[32:33], v[92:93], v[94:95] op_sel_hi:[0,1]
	s_delay_alu instid0(VALU_DEP_1) | instskip(SKIP_2) | instid1(VALU_DEP_3)
	v_pk_fma_f32 v[36:37], v[96:97], v[34:35], v[32:33] op_sel_hi:[0,1,1]
	v_pk_fma_f32 v[32:33], v[96:97], v[34:35], v[32:33] neg_lo:[0,0,1] neg_hi:[0,0,1]
	v_add_nc_u32_e64 v34, 0x3800, 0
	v_mov_b32_e32 v33, v37
	ds_store_2addr_b64 v34, v[32:33], v[32:33] offset0:29 offset1:92
.LBB71_491:                             ;   in Loop: Header=BB71_3 Depth=1
	s_or_b32 exec_lo, exec_lo, s57
	v_mov_b32_e32 v33, 0
	s_wait_dscnt 0x0
	s_barrier_signal -1
	s_barrier_wait -1
	s_delay_alu instid0(VALU_DEP_1)
	v_mov_b32_e32 v32, v33
	s_and_saveexec_b32 s57, s0
	s_cbranch_execz .LBB71_495
; %bb.492:                              ;   in Loop: Header=BB71_3 Depth=1
	ds_load_b64 v[32:33], v39 offset:14576
	ds_load_b64 v[34:35], v40 offset:14560
	s_wait_dscnt 0x0
	v_dual_mul_f32 v36, v35, v33 :: v_dual_mul_f32 v37, v34, v33
	s_delay_alu instid0(VALU_DEP_1) | instskip(NEXT) | instid1(VALU_DEP_1)
	v_dual_fma_f32 v36, v34, v32, -v36 :: v_dual_fmac_f32 v37, v35, v32
	v_pk_add_f32 v[32:33], v[36:37], 0 op_sel_hi:[1,0]
	s_and_saveexec_b32 s58, s15
	s_cbranch_execz .LBB71_494
; %bb.493:                              ;   in Loop: Header=BB71_3 Depth=1
	ds_load_b64 v[34:35], v76 offset:15088
	ds_load_b64 v[36:37], v5 offset:14568
	s_wait_dscnt 0x0
	v_pk_mul_f32 v[92:93], v[36:37], v[34:35] op_sel:[1,1] op_sel_hi:[0,1]
	s_delay_alu instid0(VALU_DEP_1) | instskip(SKIP_1) | instid1(VALU_DEP_2)
	v_pk_fma_f32 v[94:95], v[36:37], v[34:35], v[92:93] op_sel_hi:[1,0,1]
	v_pk_fma_f32 v[34:35], v[36:37], v[34:35], v[92:93] neg_lo:[0,0,1] neg_hi:[0,0,1]
	v_mov_b32_e32 v35, v95
	s_delay_alu instid0(VALU_DEP_1)
	v_pk_add_f32 v[32:33], v[32:33], v[34:35]
.LBB71_494:                             ;   in Loop: Header=BB71_3 Depth=1
	s_or_b32 exec_lo, exec_lo, s58
	s_delay_alu instid0(VALU_DEP_1)
	v_pk_add_f32 v[32:33], v[32:33], 0 neg_lo:[1,1] neg_hi:[1,1]
.LBB71_495:                             ;   in Loop: Header=BB71_3 Depth=1
	s_or_b32 exec_lo, exec_lo, s57
	s_and_saveexec_b32 s57, s98
	s_cbranch_execz .LBB71_497
; %bb.496:                              ;   in Loop: Header=BB71_3 Depth=1
	ds_load_b64 v[34:35], v5 offset:15600
	s_wait_dscnt 0x0
	v_pk_mul_f32 v[36:37], v[32:33], v[34:35] op_sel:[1,1] op_sel_hi:[1,0]
	s_delay_alu instid0(VALU_DEP_1) | instskip(SKIP_1) | instid1(VALU_DEP_2)
	v_pk_fma_f32 v[92:93], v[32:33], v[34:35], v[36:37] op_sel_hi:[0,1,1]
	v_pk_fma_f32 v[34:35], v[32:33], v[34:35], v[36:37] neg_lo:[0,0,1] neg_hi:[0,0,1]
	v_mov_b32_e32 v35, v93
	s_delay_alu instid0(VALU_DEP_1)
	v_mov_b64_e32 v[32:33], v[34:35]
	ds_store_b64 v3, v[34:35]
.LBB71_497:                             ;   in Loop: Header=BB71_3 Depth=1
	s_or_b32 exec_lo, exec_lo, s57
	s_wait_dscnt 0x0
	s_barrier_signal -1
	s_barrier_wait -1
	s_and_saveexec_b32 s57, s99
	s_cbranch_execz .LBB71_499
; %bb.498:                              ;   in Loop: Header=BB71_3 Depth=1
	ds_load_b64 v[34:35], v5 offset:15608
	ds_load_b64 v[36:37], v3
	s_wait_dscnt 0x0
	v_pk_mul_f32 v[92:93], v[36:37], v[34:35] op_sel:[1,1] op_sel_hi:[0,1]
	s_delay_alu instid0(VALU_DEP_1) | instskip(SKIP_1) | instid1(VALU_DEP_2)
	v_pk_fma_f32 v[94:95], v[36:37], v[34:35], v[92:93] op_sel_hi:[1,0,1]
	v_pk_fma_f32 v[34:35], v[36:37], v[34:35], v[92:93] neg_lo:[0,0,1] neg_hi:[0,0,1]
	v_mov_b32_e32 v35, v95
	s_delay_alu instid0(VALU_DEP_1)
	v_pk_add_f32 v[32:33], v[32:33], v[34:35]
.LBB71_499:                             ;   in Loop: Header=BB71_3 Depth=1
	s_or_b32 exec_lo, exec_lo, s57
	s_barrier_signal -1
	s_barrier_wait -1
	s_and_saveexec_b32 s57, s99
	s_cbranch_execz .LBB71_501
; %bb.500:                              ;   in Loop: Header=BB71_3 Depth=1
	ds_load_b64 v[34:35], v5 offset:16120
	s_wait_dscnt 0x0
	v_pk_mul_f32 v[36:37], v[32:33], v[34:35] op_sel:[1,1] op_sel_hi:[1,0]
	s_delay_alu instid0(VALU_DEP_1) | instskip(SKIP_1) | instid1(VALU_DEP_2)
	v_pk_fma_f32 v[92:93], v[32:33], v[34:35], v[36:37] op_sel_hi:[0,1,1]
	v_pk_fma_f32 v[34:35], v[32:33], v[34:35], v[36:37] neg_lo:[0,0,1] neg_hi:[0,0,1]
	v_mov_b32_e32 v35, v93
	s_delay_alu instid0(VALU_DEP_1)
	v_mov_b64_e32 v[32:33], v[34:35]
	ds_store_b64 v3, v[34:35]
.LBB71_501:                             ;   in Loop: Header=BB71_3 Depth=1
	s_or_b32 exec_lo, exec_lo, s57
	s_wait_dscnt 0x0
	s_barrier_signal -1
	s_barrier_wait -1
	s_barrier_signal -1
	s_barrier_wait -1
	s_and_saveexec_b32 s57, s0
; %bb.502:                              ;   in Loop: Header=BB71_3 Depth=1
	v_pk_add_f32 v[32:33], v[32:33], 0 neg_lo:[1,1] neg_hi:[1,1]
	ds_store_b64 v39, v[32:33] offset:14576
; %bb.503:                              ;   in Loop: Header=BB71_3 Depth=1
	s_or_b32 exec_lo, exec_lo, s57
	s_wait_dscnt 0x0
	s_barrier_signal -1
	s_barrier_wait -1
	s_barrier_signal -1
	s_barrier_wait -1
	s_and_saveexec_b32 s57, s100
	s_cbranch_execz .LBB71_505
; %bb.504:                              ;   in Loop: Header=BB71_3 Depth=1
	ds_load_b64 v[32:33], v77 offset:14576
	s_wait_dscnt 0x0
	ds_store_b64 v76, v[32:33] offset:15584
	ds_load_b64 v[32:33], v77 offset:14584
	s_wait_dscnt 0x0
	ds_store_b64 v76, v[32:33] offset:16096
.LBB71_505:                             ;   in Loop: Header=BB71_3 Depth=1
	s_or_b32 exec_lo, exec_lo, s57
	s_wait_dscnt 0x0
	s_barrier_signal -1
	s_barrier_wait -1
	s_and_saveexec_b32 s57, s14
	s_cbranch_execz .LBB71_507
; %bb.506:                              ;   in Loop: Header=BB71_3 Depth=1
	ds_load_b128 v[32:35], v5 offset:15600
	ds_load_b64 v[36:37], v5 offset:16120
	s_wait_dscnt 0x1
	v_dual_mov_b32 v94, v35 :: v_dual_mov_b32 v95, v34
	s_wait_dscnt 0x0
	v_dual_mul_f32 v93, v37, v33 :: v_dual_mul_f32 v92, v36, v33
	s_delay_alu instid0(VALU_DEP_1) | instskip(NEXT) | instid1(VALU_DEP_2)
	v_xor_b32_e32 v96, 0x80000000, v93
	v_fmac_f32_e32 v92, v37, v32
	s_delay_alu instid0(VALU_DEP_2) | instskip(NEXT) | instid1(VALU_DEP_2)
	v_fmac_f32_e32 v96, v36, v32
	v_pk_mul_f32 v[32:33], v[92:93], v[94:95] op_sel_hi:[0,1]
	s_delay_alu instid0(VALU_DEP_1) | instskip(SKIP_2) | instid1(VALU_DEP_3)
	v_pk_fma_f32 v[36:37], v[96:97], v[34:35], v[32:33] op_sel_hi:[0,1,1]
	v_pk_fma_f32 v[32:33], v[96:97], v[34:35], v[32:33] neg_lo:[0,0,1] neg_hi:[0,0,1]
	v_add_nc_u32_e64 v34, 0x3800, 0
	v_mov_b32_e32 v33, v37
	ds_store_2addr_b64 v34, v[32:33], v[32:33] offset0:159 offset1:222
.LBB71_507:                             ;   in Loop: Header=BB71_3 Depth=1
	s_or_b32 exec_lo, exec_lo, s57
	v_mov_b64_e32 v[32:33], 0
	s_wait_dscnt 0x0
	s_barrier_signal -1
	s_barrier_wait -1
	s_and_saveexec_b32 s66, s35
	s_cbranch_execz .LBB71_569
; %bb.508:                              ;   in Loop: Header=BB71_3 Depth=1
	v_add_nc_u32_e32 v35, v81, v69
	v_add_nc_u32_e32 v34, v69, v68
	ds_load_b64 v[32:33], v35 offset:256
	ds_load_b64 v[36:37], v34
	s_wait_dscnt 0x0
	v_pk_mul_f32 v[92:93], v[36:37], v[32:33] op_sel:[1,1] op_sel_hi:[0,1]
	s_delay_alu instid0(VALU_DEP_1) | instskip(SKIP_1) | instid1(VALU_DEP_2)
	v_pk_fma_f32 v[94:95], v[36:37], v[32:33], v[92:93] op_sel_hi:[1,0,1]
	v_pk_fma_f32 v[32:33], v[36:37], v[32:33], v[92:93] neg_lo:[0,0,1] neg_hi:[0,0,1]
	v_mov_b32_e32 v33, v95
	s_delay_alu instid0(VALU_DEP_1) | instskip(SKIP_3) | instid1(SALU_CYCLE_1)
	v_pk_add_f32 v[32:33], v[32:33], 0 op_sel_hi:[1,0]
	s_mov_b32 s57, exec_lo
	v_readlane_b32 s58, v101, 15
	s_and_b32 s58, s57, s58
	s_mov_b32 exec_lo, s58
	s_cbranch_execz .LBB71_510
; %bb.509:                              ;   in Loop: Header=BB71_3 Depth=1
	ds_load_b64 v[36:37], v35 offset:768
	ds_load_b64 v[92:93], v34 offset:8
	s_wait_dscnt 0x0
	v_pk_mul_f32 v[94:95], v[92:93], v[36:37] op_sel:[1,1] op_sel_hi:[0,1]
	s_delay_alu instid0(VALU_DEP_1) | instskip(SKIP_1) | instid1(VALU_DEP_2)
	v_pk_fma_f32 v[96:97], v[92:93], v[36:37], v[94:95] op_sel_hi:[1,0,1]
	v_pk_fma_f32 v[36:37], v[92:93], v[36:37], v[94:95] neg_lo:[0,0,1] neg_hi:[0,0,1]
	v_mov_b32_e32 v37, v97
	s_delay_alu instid0(VALU_DEP_1)
	v_pk_add_f32 v[32:33], v[32:33], v[36:37]
.LBB71_510:                             ;   in Loop: Header=BB71_3 Depth=1
	s_or_b32 exec_lo, exec_lo, s57
	s_delay_alu instid0(SALU_CYCLE_1) | instskip(SKIP_2) | instid1(SALU_CYCLE_1)
	s_mov_b32 s57, exec_lo
	v_readlane_b32 s58, v101, 16
	s_and_b32 s58, s57, s58
	s_mov_b32 exec_lo, s58
	s_cbranch_execz .LBB71_512
; %bb.511:                              ;   in Loop: Header=BB71_3 Depth=1
	ds_load_b64 v[36:37], v35 offset:1280
	ds_load_b64 v[92:93], v34 offset:16
	s_wait_dscnt 0x0
	v_pk_mul_f32 v[94:95], v[92:93], v[36:37] op_sel:[1,1] op_sel_hi:[0,1]
	s_delay_alu instid0(VALU_DEP_1) | instskip(SKIP_1) | instid1(VALU_DEP_2)
	v_pk_fma_f32 v[96:97], v[92:93], v[36:37], v[94:95] op_sel_hi:[1,0,1]
	v_pk_fma_f32 v[36:37], v[92:93], v[36:37], v[94:95] neg_lo:[0,0,1] neg_hi:[0,0,1]
	v_mov_b32_e32 v37, v97
	s_delay_alu instid0(VALU_DEP_1)
	v_pk_add_f32 v[32:33], v[32:33], v[36:37]
.LBB71_512:                             ;   in Loop: Header=BB71_3 Depth=1
	s_or_b32 exec_lo, exec_lo, s57
	s_delay_alu instid0(SALU_CYCLE_1) | instskip(SKIP_2) | instid1(SALU_CYCLE_1)
	;; [unrolled: 19-line block ×22, first 2 shown]
	s_mov_b32 s57, exec_lo
	v_readlane_b32 s58, v100, 5
	s_and_b32 s58, s57, s58
	s_mov_b32 exec_lo, s58
	s_cbranch_execz .LBB71_554
; %bb.553:                              ;   in Loop: Header=BB71_3 Depth=1
	ds_load_b64 v[36:37], v35 offset:12032
	ds_load_b64 v[92:93], v34 offset:184
	s_wait_dscnt 0x0
	v_pk_mul_f32 v[94:95], v[92:93], v[36:37] op_sel:[1,1] op_sel_hi:[0,1]
	s_delay_alu instid0(VALU_DEP_1) | instskip(SKIP_1) | instid1(VALU_DEP_2)
	v_pk_fma_f32 v[96:97], v[92:93], v[36:37], v[94:95] op_sel_hi:[1,0,1]
	v_pk_fma_f32 v[36:37], v[92:93], v[36:37], v[94:95] neg_lo:[0,0,1] neg_hi:[0,0,1]
	v_mov_b32_e32 v37, v97
	s_delay_alu instid0(VALU_DEP_1)
	v_pk_add_f32 v[32:33], v[32:33], v[36:37]
.LBB71_554:                             ;   in Loop: Header=BB71_3 Depth=1
	s_or_b32 exec_lo, exec_lo, s57
	s_and_saveexec_b32 s57, s4
	s_cbranch_execz .LBB71_556
; %bb.555:                              ;   in Loop: Header=BB71_3 Depth=1
	ds_load_b64 v[36:37], v35 offset:12544
	ds_load_b64 v[92:93], v34 offset:192
	s_wait_dscnt 0x0
	v_pk_mul_f32 v[94:95], v[92:93], v[36:37] op_sel:[1,1] op_sel_hi:[0,1]
	s_delay_alu instid0(VALU_DEP_1) | instskip(SKIP_1) | instid1(VALU_DEP_2)
	v_pk_fma_f32 v[96:97], v[92:93], v[36:37], v[94:95] op_sel_hi:[1,0,1]
	v_pk_fma_f32 v[36:37], v[92:93], v[36:37], v[94:95] neg_lo:[0,0,1] neg_hi:[0,0,1]
	v_mov_b32_e32 v37, v97
	s_delay_alu instid0(VALU_DEP_1)
	v_pk_add_f32 v[32:33], v[32:33], v[36:37]
.LBB71_556:                             ;   in Loop: Header=BB71_3 Depth=1
	s_or_b32 exec_lo, exec_lo, s57
	s_delay_alu instid0(SALU_CYCLE_1) | instskip(SKIP_2) | instid1(SALU_CYCLE_1)
	s_mov_b32 s57, exec_lo
	v_readlane_b32 s58, v101, 0
	s_and_b32 s58, s57, s58
	s_mov_b32 exec_lo, s58
	s_cbranch_execz .LBB71_558
; %bb.557:                              ;   in Loop: Header=BB71_3 Depth=1
	ds_load_b64 v[36:37], v35 offset:13056
	ds_load_b64 v[92:93], v34 offset:200
	s_wait_dscnt 0x0
	v_pk_mul_f32 v[94:95], v[92:93], v[36:37] op_sel:[1,1] op_sel_hi:[0,1]
	s_delay_alu instid0(VALU_DEP_1) | instskip(SKIP_1) | instid1(VALU_DEP_2)
	v_pk_fma_f32 v[96:97], v[92:93], v[36:37], v[94:95] op_sel_hi:[1,0,1]
	v_pk_fma_f32 v[36:37], v[92:93], v[36:37], v[94:95] neg_lo:[0,0,1] neg_hi:[0,0,1]
	v_mov_b32_e32 v37, v97
	s_delay_alu instid0(VALU_DEP_1)
	v_pk_add_f32 v[32:33], v[32:33], v[36:37]
.LBB71_558:                             ;   in Loop: Header=BB71_3 Depth=1
	s_or_b32 exec_lo, exec_lo, s57
	s_delay_alu instid0(SALU_CYCLE_1) | instskip(SKIP_2) | instid1(SALU_CYCLE_1)
	s_mov_b32 s57, exec_lo
	v_readlane_b32 s58, v101, 2
	s_and_b32 s58, s57, s58
	s_mov_b32 exec_lo, s58
	;; [unrolled: 19-line block ×5, first 2 shown]
	s_cbranch_execnz .LBB71_1134
; %bb.565:                              ;   in Loop: Header=BB71_3 Depth=1
	s_or_b32 exec_lo, exec_lo, s57
	s_and_saveexec_b32 s57, s3
	s_cbranch_execnz .LBB71_1135
.LBB71_566:                             ;   in Loop: Header=BB71_3 Depth=1
	s_or_b32 exec_lo, exec_lo, s57
	s_and_saveexec_b32 s57, s21
	s_cbranch_execz .LBB71_568
.LBB71_567:                             ;   in Loop: Header=BB71_3 Depth=1
	ds_load_b64 v[36:37], v81 offset:16128
	ds_load_b64 v[34:35], v34 offset:248
	s_wait_dscnt 0x0
	v_pk_mul_f32 v[92:93], v[34:35], v[36:37] op_sel:[1,1] op_sel_hi:[0,1]
	s_delay_alu instid0(VALU_DEP_1) | instskip(SKIP_1) | instid1(VALU_DEP_2)
	v_pk_fma_f32 v[94:95], v[34:35], v[36:37], v[92:93] op_sel_hi:[1,0,1]
	v_pk_fma_f32 v[34:35], v[34:35], v[36:37], v[92:93] neg_lo:[0,0,1] neg_hi:[0,0,1]
	v_mov_b32_e32 v35, v95
	s_delay_alu instid0(VALU_DEP_1)
	v_pk_add_f32 v[32:33], v[32:33], v[34:35]
.LBB71_568:                             ;   in Loop: Header=BB71_3 Depth=1
	s_or_b32 exec_lo, exec_lo, s57
	s_delay_alu instid0(VALU_DEP_1)
	v_pk_add_f32 v[32:33], v[32:33], 0 neg_lo:[1,1] neg_hi:[1,1]
.LBB71_569:                             ;   in Loop: Header=BB71_3 Depth=1
	s_or_b32 exec_lo, exec_lo, s66
	v_dual_mov_b32 v34, v67 :: v_dual_mov_b32 v35, v90
	s_mov_b32 s66, 0
	s_branch .LBB71_571
.LBB71_570:                             ;   in Loop: Header=BB71_571 Depth=2
	s_or_b32 exec_lo, exec_lo, s57
	v_add_nc_u32_e32 v35, 0x400, v35
	v_add_nc_u32_e32 v34, -2, v34
	s_add_co_i32 s66, s66, 2
	s_delay_alu instid0(SALU_CYCLE_1)
	s_cmp_eq_u32 s66, 32
	s_barrier_signal -1
	s_barrier_wait -1
	s_cbranch_scc1 .LBB71_579
.LBB71_571:                             ;   Parent Loop BB71_3 Depth=1
                                        ; =>  This Inner Loop Header: Depth=2
	s_delay_alu instid0(VALU_DEP_1) | instskip(SKIP_1) | instid1(SALU_CYCLE_1)
	v_cmp_eq_u32_e32 vcc_lo, 0, v34
	s_and_b32 s58, s56, vcc_lo
	s_and_saveexec_b32 s57, s58
	s_cbranch_execz .LBB71_573
; %bb.572:                              ;   in Loop: Header=BB71_571 Depth=2
	ds_load_b64 v[36:37], v83 offset:16640
	s_wait_dscnt 0x0
	v_pk_mul_f32 v[92:93], v[32:33], v[36:37] op_sel:[1,1] op_sel_hi:[1,0]
	s_delay_alu instid0(VALU_DEP_1) | instskip(SKIP_1) | instid1(VALU_DEP_2)
	v_pk_fma_f32 v[94:95], v[32:33], v[36:37], v[92:93] op_sel_hi:[0,1,1]
	v_pk_fma_f32 v[36:37], v[32:33], v[36:37], v[92:93] neg_lo:[0,0,1] neg_hi:[0,0,1]
	v_mov_b32_e32 v37, v95
	s_delay_alu instid0(VALU_DEP_1)
	v_mov_b64_e32 v[32:33], v[36:37]
	ds_store_b64 v80, v[36:37]
.LBB71_573:                             ;   in Loop: Header=BB71_571 Depth=2
	s_or_b32 exec_lo, exec_lo, s57
	v_cmp_lt_u32_e32 vcc_lo, s66, v67
	s_wait_dscnt 0x0
	s_barrier_signal -1
	s_barrier_wait -1
	s_and_b32 s58, s56, vcc_lo
	s_delay_alu instid0(SALU_CYCLE_1)
	s_and_saveexec_b32 s57, s58
	s_cbranch_execz .LBB71_575
; %bb.574:                              ;   in Loop: Header=BB71_571 Depth=2
	ds_load_b64 v[36:37], v35
	ds_load_b64 v[92:93], v80
	s_wait_dscnt 0x0
	v_pk_mul_f32 v[94:95], v[92:93], v[36:37] op_sel:[1,1] op_sel_hi:[0,1]
	s_delay_alu instid0(VALU_DEP_1) | instskip(SKIP_1) | instid1(VALU_DEP_2)
	v_pk_fma_f32 v[96:97], v[92:93], v[36:37], v[94:95] op_sel_hi:[1,0,1]
	v_pk_fma_f32 v[36:37], v[92:93], v[36:37], v[94:95] neg_lo:[0,0,1] neg_hi:[0,0,1]
	v_mov_b32_e32 v37, v97
	s_delay_alu instid0(VALU_DEP_1)
	v_pk_add_f32 v[32:33], v[32:33], v[36:37]
.LBB71_575:                             ;   in Loop: Header=BB71_571 Depth=2
	s_or_b32 exec_lo, exec_lo, s57
	s_or_b32 s57, s66, 1
	s_delay_alu instid0(SALU_CYCLE_1) | instskip(SKIP_3) | instid1(SALU_CYCLE_1)
	v_cmp_eq_u32_e32 vcc_lo, s57, v67
	s_barrier_signal -1
	s_barrier_wait -1
	s_and_b32 s67, s56, vcc_lo
	s_and_saveexec_b32 s58, s67
	s_cbranch_execz .LBB71_577
; %bb.576:                              ;   in Loop: Header=BB71_571 Depth=2
	ds_load_b64 v[36:37], v83 offset:16640
	s_wait_dscnt 0x0
	v_pk_mul_f32 v[92:93], v[32:33], v[36:37] op_sel:[1,1] op_sel_hi:[1,0]
	s_delay_alu instid0(VALU_DEP_1) | instskip(SKIP_1) | instid1(VALU_DEP_2)
	v_pk_fma_f32 v[94:95], v[32:33], v[36:37], v[92:93] op_sel_hi:[0,1,1]
	v_pk_fma_f32 v[36:37], v[32:33], v[36:37], v[92:93] neg_lo:[0,0,1] neg_hi:[0,0,1]
	v_mov_b32_e32 v37, v95
	s_delay_alu instid0(VALU_DEP_1)
	v_mov_b64_e32 v[32:33], v[36:37]
	ds_store_b64 v80, v[36:37]
.LBB71_577:                             ;   in Loop: Header=BB71_571 Depth=2
	s_or_b32 exec_lo, exec_lo, s58
	v_cmp_lt_u32_e32 vcc_lo, s57, v67
	s_wait_dscnt 0x0
	s_barrier_signal -1
	s_barrier_wait -1
	s_and_b32 s58, s56, vcc_lo
	s_delay_alu instid0(SALU_CYCLE_1)
	s_and_saveexec_b32 s57, s58
	s_cbranch_execz .LBB71_570
; %bb.578:                              ;   in Loop: Header=BB71_571 Depth=2
	ds_load_b64 v[36:37], v35 offset:512
	ds_load_b64 v[92:93], v80
	s_wait_dscnt 0x0
	v_pk_mul_f32 v[94:95], v[92:93], v[36:37] op_sel:[1,1] op_sel_hi:[0,1]
	s_delay_alu instid0(VALU_DEP_1) | instskip(SKIP_1) | instid1(VALU_DEP_2)
	v_pk_fma_f32 v[96:97], v[92:93], v[36:37], v[94:95] op_sel_hi:[1,0,1]
	v_pk_fma_f32 v[36:37], v[92:93], v[36:37], v[94:95] neg_lo:[0,0,1] neg_hi:[0,0,1]
	v_mov_b32_e32 v37, v97
	s_delay_alu instid0(VALU_DEP_1)
	v_pk_add_f32 v[32:33], v[32:33], v[36:37]
	s_branch .LBB71_570
.LBB71_579:                             ;   in Loop: Header=BB71_3 Depth=1
	s_and_saveexec_b32 s57, s35
; %bb.580:                              ;   in Loop: Header=BB71_3 Depth=1
	v_pk_add_f32 v[32:33], v[32:33], 0 neg_lo:[1,1] neg_hi:[1,1]
	ds_store_b64 v84, v[32:33] offset:256
; %bb.581:                              ;   in Loop: Header=BB71_3 Depth=1
	s_or_b32 exec_lo, exec_lo, s57
	s_wait_dscnt 0x0
	s_barrier_signal -1
	s_barrier_wait -1
	s_barrier_signal -1
	s_barrier_wait -1
	s_mov_b32 s66, exec_lo
	v_readlane_b32 s57, v102, 10
	s_and_b32 s57, s66, s57
	s_delay_alu instid0(SALU_CYCLE_1)
	s_mov_b32 exec_lo, s57
	s_cbranch_execz .LBB71_583
; %bb.582:                              ;   in Loop: Header=BB71_3 Depth=1
	ds_load_b64 v[32:33], v77 offset:256
	v_add_nc_u32_e32 v34, v77, v48
	s_wait_dscnt 0x0
	ds_store_b64 v34, v[32:33] offset:16384
	ds_load_b64 v[32:33], v77 offset:264
	s_wait_dscnt 0x0
	ds_store_b64 v34, v[32:33] offset:16896
	ds_load_b64 v[32:33], v77 offset:272
	s_wait_dscnt 0x0
	ds_store_b64 v34, v[32:33] offset:17408
	ds_load_b64 v[32:33], v77 offset:280
	s_wait_dscnt 0x0
	ds_store_b64 v34, v[32:33] offset:17920
	ds_load_b64 v[32:33], v77 offset:288
	s_wait_dscnt 0x0
	ds_store_b64 v34, v[32:33] offset:18432
	ds_load_b64 v[32:33], v77 offset:296
	s_wait_dscnt 0x0
	ds_store_b64 v34, v[32:33] offset:18944
	ds_load_b64 v[32:33], v77 offset:304
	s_wait_dscnt 0x0
	ds_store_b64 v34, v[32:33] offset:19456
	ds_load_b64 v[32:33], v77 offset:312
	s_wait_dscnt 0x0
	ds_store_b64 v34, v[32:33] offset:19968
	ds_load_b64 v[32:33], v77 offset:320
	s_wait_dscnt 0x0
	ds_store_b64 v34, v[32:33] offset:20480
	ds_load_b64 v[32:33], v77 offset:328
	s_wait_dscnt 0x0
	ds_store_b64 v34, v[32:33] offset:20992
	ds_load_b64 v[32:33], v77 offset:336
	s_wait_dscnt 0x0
	ds_store_b64 v34, v[32:33] offset:21504
	ds_load_b64 v[32:33], v77 offset:344
	s_wait_dscnt 0x0
	ds_store_b64 v34, v[32:33] offset:22016
	ds_load_b64 v[32:33], v77 offset:352
	s_wait_dscnt 0x0
	ds_store_b64 v34, v[32:33] offset:22528
	ds_load_b64 v[32:33], v77 offset:360
	s_wait_dscnt 0x0
	ds_store_b64 v34, v[32:33] offset:23040
	ds_load_b64 v[32:33], v77 offset:368
	s_wait_dscnt 0x0
	ds_store_b64 v34, v[32:33] offset:23552
	ds_load_b64 v[32:33], v77 offset:376
	s_wait_dscnt 0x0
	ds_store_b64 v34, v[32:33] offset:24064
	ds_load_b64 v[32:33], v77 offset:384
	s_wait_dscnt 0x0
	ds_store_b64 v34, v[32:33] offset:24576
	ds_load_b64 v[32:33], v77 offset:392
	s_wait_dscnt 0x0
	ds_store_b64 v34, v[32:33] offset:25088
	ds_load_b64 v[32:33], v77 offset:400
	s_wait_dscnt 0x0
	ds_store_b64 v34, v[32:33] offset:25600
	ds_load_b64 v[32:33], v77 offset:408
	s_wait_dscnt 0x0
	ds_store_b64 v34, v[32:33] offset:26112
	ds_load_b64 v[32:33], v77 offset:416
	s_wait_dscnt 0x0
	ds_store_b64 v34, v[32:33] offset:26624
	ds_load_b64 v[32:33], v77 offset:424
	s_wait_dscnt 0x0
	ds_store_b64 v34, v[32:33] offset:27136
	ds_load_b64 v[32:33], v77 offset:432
	s_wait_dscnt 0x0
	ds_store_b64 v34, v[32:33] offset:27648
	ds_load_b64 v[32:33], v77 offset:440
	s_wait_dscnt 0x0
	ds_store_b64 v34, v[32:33] offset:28160
	ds_load_b64 v[32:33], v77 offset:448
	s_wait_dscnt 0x0
	ds_store_b64 v34, v[32:33] offset:28672
	ds_load_b64 v[32:33], v77 offset:456
	s_wait_dscnt 0x0
	ds_store_b64 v34, v[32:33] offset:29184
	ds_load_b64 v[32:33], v77 offset:464
	s_wait_dscnt 0x0
	ds_store_b64 v34, v[32:33] offset:29696
	ds_load_b64 v[32:33], v77 offset:472
	s_wait_dscnt 0x0
	ds_store_b64 v34, v[32:33] offset:30208
	ds_load_b64 v[32:33], v77 offset:480
	s_wait_dscnt 0x0
	ds_store_b64 v34, v[32:33] offset:30720
	ds_load_b64 v[32:33], v77 offset:488
	s_wait_dscnt 0x0
	ds_store_b64 v34, v[32:33] offset:31232
	ds_load_b64 v[32:33], v77 offset:496
	s_wait_dscnt 0x0
	ds_store_b64 v34, v[32:33] offset:31744
	ds_load_b64 v[32:33], v77 offset:504
	s_wait_dscnt 0x0
	ds_store_b64 v34, v[32:33] offset:32256
.LBB71_583:                             ;   in Loop: Header=BB71_3 Depth=1
	s_or_b32 exec_lo, exec_lo, s66
	s_wait_dscnt 0x0
	s_barrier_signal -1
	s_barrier_wait -1
	s_and_saveexec_b32 s57, s14
	s_cbranch_execz .LBB71_585
; %bb.584:                              ;   in Loop: Header=BB71_3 Depth=1
	ds_load_b128 v[32:35], v5 offset:16640
	ds_load_b64 v[36:37], v5 offset:17160
	s_wait_dscnt 0x1
	v_dual_mov_b32 v94, v35 :: v_dual_mov_b32 v95, v34
	s_wait_dscnt 0x0
	v_dual_mul_f32 v93, v37, v33 :: v_dual_mul_f32 v92, v36, v33
	s_delay_alu instid0(VALU_DEP_1) | instskip(NEXT) | instid1(VALU_DEP_2)
	v_xor_b32_e32 v96, 0x80000000, v93
	v_fmac_f32_e32 v92, v37, v32
	s_delay_alu instid0(VALU_DEP_2) | instskip(NEXT) | instid1(VALU_DEP_2)
	v_fmac_f32_e32 v96, v36, v32
	v_pk_mul_f32 v[32:33], v[92:93], v[94:95] op_sel_hi:[0,1]
	s_delay_alu instid0(VALU_DEP_1) | instskip(SKIP_2) | instid1(VALU_DEP_3)
	v_pk_fma_f32 v[36:37], v[96:97], v[34:35], v[32:33] op_sel_hi:[0,1,1]
	v_pk_fma_f32 v[32:33], v[96:97], v[34:35], v[32:33] neg_lo:[0,0,1] neg_hi:[0,0,1]
	v_add_nc_u32_e64 v34, 0x4000, 0
	v_mov_b32_e32 v33, v37
	ds_store_2addr_b64 v34, v[32:33], v[32:33] offset0:33 offset1:96
.LBB71_585:                             ;   in Loop: Header=BB71_3 Depth=1
	s_or_b32 exec_lo, exec_lo, s57
	v_mov_b32_e32 v33, 0
	s_wait_dscnt 0x0
	s_barrier_signal -1
	s_barrier_wait -1
	s_delay_alu instid0(VALU_DEP_1)
	v_mov_b32_e32 v32, v33
	s_and_saveexec_b32 s57, s0
	s_cbranch_execz .LBB71_589
; %bb.586:                              ;   in Loop: Header=BB71_3 Depth=1
	ds_load_b64 v[32:33], v39 offset:16656
	ds_load_b64 v[34:35], v40 offset:16640
	s_wait_dscnt 0x0
	v_dual_mul_f32 v36, v35, v33 :: v_dual_mul_f32 v37, v34, v33
	s_delay_alu instid0(VALU_DEP_1) | instskip(NEXT) | instid1(VALU_DEP_1)
	v_dual_fma_f32 v36, v34, v32, -v36 :: v_dual_fmac_f32 v37, v35, v32
	v_pk_add_f32 v[32:33], v[36:37], 0 op_sel_hi:[1,0]
	s_and_saveexec_b32 s58, s15
	s_cbranch_execz .LBB71_588
; %bb.587:                              ;   in Loop: Header=BB71_3 Depth=1
	ds_load_b64 v[34:35], v41 offset:17168
	ds_load_b64 v[36:37], v5 offset:16648
	s_wait_dscnt 0x0
	v_pk_mul_f32 v[92:93], v[36:37], v[34:35] op_sel:[1,1] op_sel_hi:[0,1]
	s_delay_alu instid0(VALU_DEP_1) | instskip(SKIP_1) | instid1(VALU_DEP_2)
	v_pk_fma_f32 v[94:95], v[36:37], v[34:35], v[92:93] op_sel_hi:[1,0,1]
	v_pk_fma_f32 v[34:35], v[36:37], v[34:35], v[92:93] neg_lo:[0,0,1] neg_hi:[0,0,1]
	v_mov_b32_e32 v35, v95
	s_delay_alu instid0(VALU_DEP_1)
	v_pk_add_f32 v[32:33], v[32:33], v[34:35]
.LBB71_588:                             ;   in Loop: Header=BB71_3 Depth=1
	s_or_b32 exec_lo, exec_lo, s58
	s_delay_alu instid0(VALU_DEP_1)
	v_pk_add_f32 v[32:33], v[32:33], 0 neg_lo:[1,1] neg_hi:[1,1]
.LBB71_589:                             ;   in Loop: Header=BB71_3 Depth=1
	s_or_b32 exec_lo, exec_lo, s57
	s_and_saveexec_b32 s57, s98
	s_cbranch_execz .LBB71_591
; %bb.590:                              ;   in Loop: Header=BB71_3 Depth=1
	ds_load_b64 v[34:35], v5 offset:17680
	s_wait_dscnt 0x0
	v_pk_mul_f32 v[36:37], v[32:33], v[34:35] op_sel:[1,1] op_sel_hi:[1,0]
	s_delay_alu instid0(VALU_DEP_1) | instskip(SKIP_1) | instid1(VALU_DEP_2)
	v_pk_fma_f32 v[92:93], v[32:33], v[34:35], v[36:37] op_sel_hi:[0,1,1]
	v_pk_fma_f32 v[34:35], v[32:33], v[34:35], v[36:37] neg_lo:[0,0,1] neg_hi:[0,0,1]
	v_mov_b32_e32 v35, v93
	s_delay_alu instid0(VALU_DEP_1)
	v_mov_b64_e32 v[32:33], v[34:35]
	ds_store_b64 v3, v[34:35]
.LBB71_591:                             ;   in Loop: Header=BB71_3 Depth=1
	s_or_b32 exec_lo, exec_lo, s57
	s_wait_dscnt 0x0
	s_barrier_signal -1
	s_barrier_wait -1
	s_and_saveexec_b32 s57, s99
	s_cbranch_execz .LBB71_593
; %bb.592:                              ;   in Loop: Header=BB71_3 Depth=1
	ds_load_b64 v[34:35], v5 offset:17688
	ds_load_b64 v[36:37], v3
	s_wait_dscnt 0x0
	v_pk_mul_f32 v[92:93], v[36:37], v[34:35] op_sel:[1,1] op_sel_hi:[0,1]
	s_delay_alu instid0(VALU_DEP_1) | instskip(SKIP_1) | instid1(VALU_DEP_2)
	v_pk_fma_f32 v[94:95], v[36:37], v[34:35], v[92:93] op_sel_hi:[1,0,1]
	v_pk_fma_f32 v[34:35], v[36:37], v[34:35], v[92:93] neg_lo:[0,0,1] neg_hi:[0,0,1]
	v_mov_b32_e32 v35, v95
	s_delay_alu instid0(VALU_DEP_1)
	v_pk_add_f32 v[32:33], v[32:33], v[34:35]
.LBB71_593:                             ;   in Loop: Header=BB71_3 Depth=1
	s_or_b32 exec_lo, exec_lo, s57
	s_barrier_signal -1
	s_barrier_wait -1
	s_and_saveexec_b32 s57, s99
	s_cbranch_execz .LBB71_595
; %bb.594:                              ;   in Loop: Header=BB71_3 Depth=1
	ds_load_b64 v[34:35], v5 offset:18200
	s_wait_dscnt 0x0
	v_pk_mul_f32 v[36:37], v[32:33], v[34:35] op_sel:[1,1] op_sel_hi:[1,0]
	s_delay_alu instid0(VALU_DEP_1) | instskip(SKIP_1) | instid1(VALU_DEP_2)
	v_pk_fma_f32 v[92:93], v[32:33], v[34:35], v[36:37] op_sel_hi:[0,1,1]
	v_pk_fma_f32 v[34:35], v[32:33], v[34:35], v[36:37] neg_lo:[0,0,1] neg_hi:[0,0,1]
	v_mov_b32_e32 v35, v93
	s_delay_alu instid0(VALU_DEP_1)
	v_mov_b64_e32 v[32:33], v[34:35]
	ds_store_b64 v3, v[34:35]
.LBB71_595:                             ;   in Loop: Header=BB71_3 Depth=1
	s_or_b32 exec_lo, exec_lo, s57
	s_wait_dscnt 0x0
	s_barrier_signal -1
	s_barrier_wait -1
	s_barrier_signal -1
	s_barrier_wait -1
	s_and_saveexec_b32 s57, s0
; %bb.596:                              ;   in Loop: Header=BB71_3 Depth=1
	v_pk_add_f32 v[32:33], v[32:33], 0 neg_lo:[1,1] neg_hi:[1,1]
	ds_store_b64 v39, v[32:33] offset:16656
; %bb.597:                              ;   in Loop: Header=BB71_3 Depth=1
	s_or_b32 exec_lo, exec_lo, s57
	s_wait_dscnt 0x0
	s_barrier_signal -1
	s_barrier_wait -1
	s_barrier_signal -1
	s_barrier_wait -1
	s_and_saveexec_b32 s57, s100
	s_cbranch_execz .LBB71_599
; %bb.598:                              ;   in Loop: Header=BB71_3 Depth=1
	ds_load_b64 v[32:33], v44 offset:16656
	s_wait_dscnt 0x0
	ds_store_b64 v41, v[32:33] offset:17664
	ds_load_b64 v[32:33], v44 offset:16664
	s_wait_dscnt 0x0
	ds_store_b64 v41, v[32:33] offset:18176
.LBB71_599:                             ;   in Loop: Header=BB71_3 Depth=1
	s_or_b32 exec_lo, exec_lo, s57
	s_wait_dscnt 0x0
	s_barrier_signal -1
	s_barrier_wait -1
	s_and_saveexec_b32 s57, s14
	s_cbranch_execz .LBB71_601
; %bb.600:                              ;   in Loop: Header=BB71_3 Depth=1
	ds_load_b128 v[32:35], v5 offset:17680
	ds_load_b64 v[36:37], v5 offset:18200
	s_wait_dscnt 0x1
	v_dual_mov_b32 v94, v35 :: v_dual_mov_b32 v95, v34
	s_wait_dscnt 0x0
	v_dual_mul_f32 v93, v37, v33 :: v_dual_mul_f32 v92, v36, v33
	s_delay_alu instid0(VALU_DEP_1) | instskip(NEXT) | instid1(VALU_DEP_2)
	v_xor_b32_e32 v96, 0x80000000, v93
	v_fmac_f32_e32 v92, v37, v32
	s_delay_alu instid0(VALU_DEP_2) | instskip(NEXT) | instid1(VALU_DEP_2)
	v_fmac_f32_e32 v96, v36, v32
	v_pk_mul_f32 v[32:33], v[92:93], v[94:95] op_sel_hi:[0,1]
	s_delay_alu instid0(VALU_DEP_1) | instskip(SKIP_2) | instid1(VALU_DEP_3)
	v_pk_fma_f32 v[36:37], v[96:97], v[34:35], v[32:33] op_sel_hi:[0,1,1]
	v_pk_fma_f32 v[32:33], v[96:97], v[34:35], v[32:33] neg_lo:[0,0,1] neg_hi:[0,0,1]
	v_add_nc_u32_e64 v34, 0x4000, 0
	v_mov_b32_e32 v33, v37
	ds_store_2addr_b64 v34, v[32:33], v[32:33] offset0:163 offset1:226
.LBB71_601:                             ;   in Loop: Header=BB71_3 Depth=1
	s_or_b32 exec_lo, exec_lo, s57
	v_mov_b32_e32 v32, 0
	s_wait_dscnt 0x0
	s_barrier_signal -1
	s_barrier_wait -1
	s_delay_alu instid0(VALU_DEP_1)
	v_mov_b32_e32 v33, v32
	s_and_saveexec_b32 s66, s2
	s_cbranch_execz .LBB71_607
; %bb.602:                              ;   in Loop: Header=BB71_3 Depth=1
	ds_load_b64 v[32:33], v46 offset:16672
	ds_load_b64 v[34:35], v42 offset:16640
	s_wait_dscnt 0x0
	v_pk_mul_f32 v[36:37], v[34:35], v[32:33] op_sel:[0,1]
	s_delay_alu instid0(VALU_DEP_1) | instskip(SKIP_1) | instid1(VALU_DEP_2)
	v_pk_fma_f32 v[92:93], v[34:35], v[32:33], v[36:37] op_sel:[1,0,0] op_sel_hi:[0,0,1] neg_lo:[0,0,1] neg_hi:[0,0,1]
	v_pk_fma_f32 v[32:33], v[34:35], v[32:33], v[36:37] op_sel:[1,0,0] op_sel_hi:[0,1,1]
	v_mov_b32_e32 v33, v93
	s_delay_alu instid0(VALU_DEP_1)
	v_pk_add_f32 v[32:33], v[32:33], 0 op_sel_hi:[1,0]
	s_and_saveexec_b32 s57, s16
	s_cbranch_execnz .LBB71_1136
; %bb.603:                              ;   in Loop: Header=BB71_3 Depth=1
	s_or_b32 exec_lo, exec_lo, s57
	s_and_saveexec_b32 s57, s17
	s_cbranch_execnz .LBB71_1137
.LBB71_604:                             ;   in Loop: Header=BB71_3 Depth=1
	s_or_b32 exec_lo, exec_lo, s57
	s_and_saveexec_b32 s57, s0
	s_cbranch_execz .LBB71_606
.LBB71_605:                             ;   in Loop: Header=BB71_3 Depth=1
	ds_load_b64 v[34:35], v49 offset:18208
	ds_load_b64 v[36:37], v5 offset:16664
	s_wait_dscnt 0x0
	v_pk_mul_f32 v[92:93], v[36:37], v[34:35] op_sel:[0,1]
	s_delay_alu instid0(VALU_DEP_1) | instskip(SKIP_1) | instid1(VALU_DEP_2)
	v_pk_fma_f32 v[94:95], v[36:37], v[34:35], v[92:93] op_sel:[1,0,0] op_sel_hi:[0,0,1] neg_lo:[0,0,1] neg_hi:[0,0,1]
	v_pk_fma_f32 v[34:35], v[36:37], v[34:35], v[92:93] op_sel:[1,0,0] op_sel_hi:[0,1,1]
	v_mov_b32_e32 v35, v95
	s_delay_alu instid0(VALU_DEP_1)
	v_pk_add_f32 v[32:33], v[32:33], v[34:35]
.LBB71_606:                             ;   in Loop: Header=BB71_3 Depth=1
	s_or_b32 exec_lo, exec_lo, s57
	s_delay_alu instid0(VALU_DEP_1) | instskip(NEXT) | instid1(VALU_DEP_1)
	v_pk_add_f32 v[34:35], v[32:33], 0 neg_lo:[1,1] neg_hi:[1,1]
	v_dual_mov_b32 v32, v35 :: v_dual_mov_b32 v33, v34
.LBB71_607:                             ;   in Loop: Header=BB71_3 Depth=1
	s_or_b32 exec_lo, exec_lo, s66
	s_and_saveexec_b32 s57, s101
	s_cbranch_execz .LBB71_609
; %bb.608:                              ;   in Loop: Header=BB71_3 Depth=1
	ds_load_b64 v[34:35], v5 offset:18720
	v_dual_mov_b32 v36, v33 :: v_dual_mov_b32 v37, v32
	s_wait_dscnt 0x0
	s_delay_alu instid0(VALU_DEP_1) | instskip(NEXT) | instid1(VALU_DEP_1)
	v_dual_mul_f32 v92, v36, v34 :: v_dual_mul_f32 v94, v33, v35
	v_pk_fma_f32 v[36:37], v[36:37], v[34:35], v[92:93] op_sel_hi:[1,1,0]
	s_delay_alu instid0(VALU_DEP_2) | instskip(NEXT) | instid1(VALU_DEP_2)
	v_pk_fma_f32 v[32:33], v[32:33], v[34:35], v[94:95] op_sel_hi:[1,1,0] neg_lo:[0,0,1] neg_hi:[0,0,1]
	v_mov_b32_e32 v33, v37
	ds_store_b64 v45, v[32:33]
.LBB71_609:                             ;   in Loop: Header=BB71_3 Depth=1
	s_or_b32 exec_lo, exec_lo, s57
	s_wait_dscnt 0x0
	s_barrier_signal -1
	s_barrier_wait -1
	s_and_saveexec_b32 s57, s102
	s_cbranch_execz .LBB71_611
; %bb.610:                              ;   in Loop: Header=BB71_3 Depth=1
	ds_load_b64 v[34:35], v43 offset:18720
	ds_load_b64 v[36:37], v45
	s_wait_dscnt 0x0
	v_dual_mul_f32 v92, v37, v35 :: v_dual_mul_f32 v93, v36, v35
	s_delay_alu instid0(VALU_DEP_1) | instskip(NEXT) | instid1(VALU_DEP_1)
	v_dual_fma_f32 v92, v36, v34, -v92 :: v_dual_fmac_f32 v93, v37, v34
	v_pk_add_f32 v[32:33], v[32:33], v[92:93]
.LBB71_611:                             ;   in Loop: Header=BB71_3 Depth=1
	s_or_b32 exec_lo, exec_lo, s57
	s_barrier_signal -1
	s_barrier_wait -1
	s_and_saveexec_b32 s57, s103
	s_cbranch_execz .LBB71_613
; %bb.612:                              ;   in Loop: Header=BB71_3 Depth=1
	ds_load_b64 v[34:35], v5 offset:19240
	s_wait_dscnt 0x0
	v_pk_mul_f32 v[36:37], v[32:33], v[34:35] op_sel:[1,1] op_sel_hi:[1,0]
	s_delay_alu instid0(VALU_DEP_1) | instskip(SKIP_1) | instid1(VALU_DEP_2)
	v_pk_fma_f32 v[92:93], v[32:33], v[34:35], v[36:37] op_sel_hi:[0,1,1]
	v_pk_fma_f32 v[34:35], v[32:33], v[34:35], v[36:37] neg_lo:[0,0,1] neg_hi:[0,0,1]
	v_mov_b32_e32 v35, v93
	s_delay_alu instid0(VALU_DEP_1)
	v_mov_b64_e32 v[32:33], v[34:35]
	ds_store_b64 v45, v[34:35]
.LBB71_613:                             ;   in Loop: Header=BB71_3 Depth=1
	s_or_b32 exec_lo, exec_lo, s57
	s_wait_dscnt 0x0
	s_barrier_signal -1
	s_barrier_wait -1
	s_and_saveexec_b32 s57, s104
	s_cbranch_execz .LBB71_615
; %bb.614:                              ;   in Loop: Header=BB71_3 Depth=1
	ds_load_b64 v[34:35], v43 offset:19232
	ds_load_b64 v[36:37], v45
	s_wait_dscnt 0x0
	v_pk_mul_f32 v[92:93], v[36:37], v[34:35] op_sel:[1,1] op_sel_hi:[0,1]
	s_delay_alu instid0(VALU_DEP_1) | instskip(SKIP_1) | instid1(VALU_DEP_2)
	v_pk_fma_f32 v[94:95], v[36:37], v[34:35], v[92:93] op_sel_hi:[1,0,1]
	v_pk_fma_f32 v[34:35], v[36:37], v[34:35], v[92:93] neg_lo:[0,0,1] neg_hi:[0,0,1]
	v_mov_b32_e32 v35, v95
	s_delay_alu instid0(VALU_DEP_1)
	v_pk_add_f32 v[32:33], v[32:33], v[34:35]
.LBB71_615:                             ;   in Loop: Header=BB71_3 Depth=1
	s_or_b32 exec_lo, exec_lo, s57
	s_barrier_signal -1
	s_barrier_wait -1
	s_and_saveexec_b32 s57, vcc_hi
	s_cbranch_execz .LBB71_617
; %bb.616:                              ;   in Loop: Header=BB71_3 Depth=1
	ds_load_b64 v[34:35], v5 offset:19760
	s_wait_dscnt 0x0
	v_pk_mul_f32 v[36:37], v[32:33], v[34:35] op_sel:[1,1] op_sel_hi:[1,0]
	s_delay_alu instid0(VALU_DEP_1) | instskip(SKIP_1) | instid1(VALU_DEP_2)
	v_pk_fma_f32 v[92:93], v[32:33], v[34:35], v[36:37] op_sel_hi:[0,1,1]
	v_pk_fma_f32 v[34:35], v[32:33], v[34:35], v[36:37] neg_lo:[0,0,1] neg_hi:[0,0,1]
	v_mov_b32_e32 v35, v93
	s_delay_alu instid0(VALU_DEP_1)
	v_mov_b64_e32 v[32:33], v[34:35]
	ds_store_b64 v45, v[34:35]
.LBB71_617:                             ;   in Loop: Header=BB71_3 Depth=1
	s_or_b32 exec_lo, exec_lo, s57
	s_wait_dscnt 0x0
	s_barrier_signal -1
	s_barrier_wait -1
	s_and_saveexec_b32 s57, s39
	s_cbranch_execz .LBB71_619
; %bb.618:                              ;   in Loop: Header=BB71_3 Depth=1
	ds_load_b64 v[34:35], v5 offset:19768
	ds_load_b64 v[36:37], v45
	s_wait_dscnt 0x0
	v_pk_mul_f32 v[92:93], v[36:37], v[34:35] op_sel:[1,1] op_sel_hi:[0,1]
	s_delay_alu instid0(VALU_DEP_1) | instskip(SKIP_1) | instid1(VALU_DEP_2)
	v_pk_fma_f32 v[94:95], v[36:37], v[34:35], v[92:93] op_sel_hi:[1,0,1]
	v_pk_fma_f32 v[34:35], v[36:37], v[34:35], v[92:93] neg_lo:[0,0,1] neg_hi:[0,0,1]
	v_mov_b32_e32 v35, v95
	s_delay_alu instid0(VALU_DEP_1)
	v_pk_add_f32 v[32:33], v[32:33], v[34:35]
.LBB71_619:                             ;   in Loop: Header=BB71_3 Depth=1
	s_or_b32 exec_lo, exec_lo, s57
	s_barrier_signal -1
	s_barrier_wait -1
	s_and_saveexec_b32 s57, s39
	s_cbranch_execz .LBB71_621
; %bb.620:                              ;   in Loop: Header=BB71_3 Depth=1
	ds_load_b64 v[34:35], v5 offset:20280
	s_wait_dscnt 0x0
	v_pk_mul_f32 v[36:37], v[32:33], v[34:35] op_sel:[1,1] op_sel_hi:[1,0]
	s_delay_alu instid0(VALU_DEP_1) | instskip(SKIP_1) | instid1(VALU_DEP_2)
	v_pk_fma_f32 v[92:93], v[32:33], v[34:35], v[36:37] op_sel_hi:[0,1,1]
	v_pk_fma_f32 v[34:35], v[32:33], v[34:35], v[36:37] neg_lo:[0,0,1] neg_hi:[0,0,1]
	v_mov_b32_e32 v35, v93
	s_delay_alu instid0(VALU_DEP_1)
	v_mov_b64_e32 v[32:33], v[34:35]
	ds_store_b64 v45, v[34:35]
.LBB71_621:                             ;   in Loop: Header=BB71_3 Depth=1
	s_or_b32 exec_lo, exec_lo, s57
	s_wait_dscnt 0x0
	s_barrier_signal -1
	s_barrier_wait -1
	s_barrier_signal -1
	s_barrier_wait -1
	s_and_saveexec_b32 s57, s2
; %bb.622:                              ;   in Loop: Header=BB71_3 Depth=1
	v_pk_add_f32 v[32:33], v[32:33], 0 neg_lo:[1,1] neg_hi:[1,1]
	ds_store_b64 v46, v[32:33] offset:16672
; %bb.623:                              ;   in Loop: Header=BB71_3 Depth=1
	s_or_b32 exec_lo, exec_lo, s57
	s_wait_dscnt 0x0
	s_barrier_signal -1
	s_barrier_wait -1
	s_barrier_signal -1
	s_barrier_wait -1
	s_and_saveexec_b32 s57, s40
	s_cbranch_execz .LBB71_625
; %bb.624:                              ;   in Loop: Header=BB71_3 Depth=1
	ds_load_b64 v[32:33], v50 offset:16672
	s_wait_dscnt 0x0
	ds_store_b64 v51, v[32:33] offset:18688
	ds_load_b64 v[32:33], v50 offset:16680
	s_wait_dscnt 0x0
	ds_store_b64 v51, v[32:33] offset:19200
	;; [unrolled: 3-line block ×4, first 2 shown]
.LBB71_625:                             ;   in Loop: Header=BB71_3 Depth=1
	s_or_b32 exec_lo, exec_lo, s57
	s_wait_dscnt 0x0
	s_barrier_signal -1
	s_barrier_wait -1
	s_and_saveexec_b32 s57, s14
	s_cbranch_execz .LBB71_627
; %bb.626:                              ;   in Loop: Header=BB71_3 Depth=1
	ds_load_b128 v[32:35], v5 offset:18720
	ds_load_b64 v[36:37], v5 offset:19240
	s_wait_dscnt 0x1
	v_dual_mov_b32 v94, v35 :: v_dual_mov_b32 v95, v34
	s_wait_dscnt 0x0
	v_dual_mul_f32 v93, v37, v33 :: v_dual_mul_f32 v92, v36, v33
	s_delay_alu instid0(VALU_DEP_1) | instskip(NEXT) | instid1(VALU_DEP_2)
	v_xor_b32_e32 v96, 0x80000000, v93
	v_fmac_f32_e32 v92, v37, v32
	s_delay_alu instid0(VALU_DEP_2) | instskip(NEXT) | instid1(VALU_DEP_2)
	v_fmac_f32_e32 v96, v36, v32
	v_pk_mul_f32 v[32:33], v[92:93], v[94:95] op_sel_hi:[0,1]
	s_delay_alu instid0(VALU_DEP_1) | instskip(SKIP_2) | instid1(VALU_DEP_3)
	v_pk_fma_f32 v[36:37], v[96:97], v[34:35], v[32:33] op_sel_hi:[0,1,1]
	v_pk_fma_f32 v[32:33], v[96:97], v[34:35], v[32:33] neg_lo:[0,0,1] neg_hi:[0,0,1]
	v_add_nc_u32_e64 v34, 0x4800, 0
	v_mov_b32_e32 v33, v37
	ds_store_2addr_b64 v34, v[32:33], v[32:33] offset0:37 offset1:100
.LBB71_627:                             ;   in Loop: Header=BB71_3 Depth=1
	s_or_b32 exec_lo, exec_lo, s57
	v_mov_b32_e32 v33, 0
	s_wait_dscnt 0x0
	s_barrier_signal -1
	s_barrier_wait -1
	s_delay_alu instid0(VALU_DEP_1)
	v_mov_b32_e32 v32, v33
	s_and_saveexec_b32 s57, s0
	s_cbranch_execz .LBB71_631
; %bb.628:                              ;   in Loop: Header=BB71_3 Depth=1
	ds_load_b64 v[32:33], v39 offset:18736
	ds_load_b64 v[34:35], v40 offset:18720
	s_wait_dscnt 0x0
	v_dual_mul_f32 v36, v35, v33 :: v_dual_mul_f32 v37, v34, v33
	s_delay_alu instid0(VALU_DEP_1) | instskip(NEXT) | instid1(VALU_DEP_1)
	v_dual_fma_f32 v36, v34, v32, -v36 :: v_dual_fmac_f32 v37, v35, v32
	v_pk_add_f32 v[32:33], v[36:37], 0 op_sel_hi:[1,0]
	s_and_saveexec_b32 s58, s15
	s_cbranch_execz .LBB71_630
; %bb.629:                              ;   in Loop: Header=BB71_3 Depth=1
	ds_load_b64 v[34:35], v51 offset:19248
	ds_load_b64 v[36:37], v5 offset:18728
	s_wait_dscnt 0x0
	v_pk_mul_f32 v[92:93], v[36:37], v[34:35] op_sel:[1,1] op_sel_hi:[0,1]
	s_delay_alu instid0(VALU_DEP_1) | instskip(SKIP_1) | instid1(VALU_DEP_2)
	v_pk_fma_f32 v[94:95], v[36:37], v[34:35], v[92:93] op_sel_hi:[1,0,1]
	v_pk_fma_f32 v[34:35], v[36:37], v[34:35], v[92:93] neg_lo:[0,0,1] neg_hi:[0,0,1]
	v_mov_b32_e32 v35, v95
	s_delay_alu instid0(VALU_DEP_1)
	v_pk_add_f32 v[32:33], v[32:33], v[34:35]
.LBB71_630:                             ;   in Loop: Header=BB71_3 Depth=1
	s_or_b32 exec_lo, exec_lo, s58
	s_delay_alu instid0(VALU_DEP_1)
	v_pk_add_f32 v[32:33], v[32:33], 0 neg_lo:[1,1] neg_hi:[1,1]
.LBB71_631:                             ;   in Loop: Header=BB71_3 Depth=1
	s_or_b32 exec_lo, exec_lo, s57
	s_and_saveexec_b32 s57, s98
	s_cbranch_execz .LBB71_633
; %bb.632:                              ;   in Loop: Header=BB71_3 Depth=1
	ds_load_b64 v[34:35], v5 offset:19760
	s_wait_dscnt 0x0
	v_pk_mul_f32 v[36:37], v[32:33], v[34:35] op_sel:[1,1] op_sel_hi:[1,0]
	s_delay_alu instid0(VALU_DEP_1) | instskip(SKIP_1) | instid1(VALU_DEP_2)
	v_pk_fma_f32 v[92:93], v[32:33], v[34:35], v[36:37] op_sel_hi:[0,1,1]
	v_pk_fma_f32 v[34:35], v[32:33], v[34:35], v[36:37] neg_lo:[0,0,1] neg_hi:[0,0,1]
	v_mov_b32_e32 v35, v93
	s_delay_alu instid0(VALU_DEP_1)
	v_mov_b64_e32 v[32:33], v[34:35]
	ds_store_b64 v3, v[34:35]
.LBB71_633:                             ;   in Loop: Header=BB71_3 Depth=1
	s_or_b32 exec_lo, exec_lo, s57
	s_wait_dscnt 0x0
	s_barrier_signal -1
	s_barrier_wait -1
	s_and_saveexec_b32 s57, s99
	s_cbranch_execz .LBB71_635
; %bb.634:                              ;   in Loop: Header=BB71_3 Depth=1
	ds_load_b64 v[34:35], v5 offset:19768
	ds_load_b64 v[36:37], v3
	s_wait_dscnt 0x0
	v_pk_mul_f32 v[92:93], v[36:37], v[34:35] op_sel:[1,1] op_sel_hi:[0,1]
	s_delay_alu instid0(VALU_DEP_1) | instskip(SKIP_1) | instid1(VALU_DEP_2)
	v_pk_fma_f32 v[94:95], v[36:37], v[34:35], v[92:93] op_sel_hi:[1,0,1]
	v_pk_fma_f32 v[34:35], v[36:37], v[34:35], v[92:93] neg_lo:[0,0,1] neg_hi:[0,0,1]
	v_mov_b32_e32 v35, v95
	s_delay_alu instid0(VALU_DEP_1)
	v_pk_add_f32 v[32:33], v[32:33], v[34:35]
.LBB71_635:                             ;   in Loop: Header=BB71_3 Depth=1
	s_or_b32 exec_lo, exec_lo, s57
	s_barrier_signal -1
	s_barrier_wait -1
	s_and_saveexec_b32 s57, s99
	s_cbranch_execz .LBB71_637
; %bb.636:                              ;   in Loop: Header=BB71_3 Depth=1
	ds_load_b64 v[34:35], v5 offset:20280
	s_wait_dscnt 0x0
	v_pk_mul_f32 v[36:37], v[32:33], v[34:35] op_sel:[1,1] op_sel_hi:[1,0]
	s_delay_alu instid0(VALU_DEP_1) | instskip(SKIP_1) | instid1(VALU_DEP_2)
	v_pk_fma_f32 v[92:93], v[32:33], v[34:35], v[36:37] op_sel_hi:[0,1,1]
	v_pk_fma_f32 v[34:35], v[32:33], v[34:35], v[36:37] neg_lo:[0,0,1] neg_hi:[0,0,1]
	v_mov_b32_e32 v35, v93
	s_delay_alu instid0(VALU_DEP_1)
	v_mov_b64_e32 v[32:33], v[34:35]
	ds_store_b64 v3, v[34:35]
.LBB71_637:                             ;   in Loop: Header=BB71_3 Depth=1
	s_or_b32 exec_lo, exec_lo, s57
	s_wait_dscnt 0x0
	s_barrier_signal -1
	s_barrier_wait -1
	s_barrier_signal -1
	s_barrier_wait -1
	s_and_saveexec_b32 s57, s0
; %bb.638:                              ;   in Loop: Header=BB71_3 Depth=1
	v_pk_add_f32 v[32:33], v[32:33], 0 neg_lo:[1,1] neg_hi:[1,1]
	ds_store_b64 v39, v[32:33] offset:18736
; %bb.639:                              ;   in Loop: Header=BB71_3 Depth=1
	s_or_b32 exec_lo, exec_lo, s57
	s_wait_dscnt 0x0
	s_barrier_signal -1
	s_barrier_wait -1
	s_barrier_signal -1
	s_barrier_wait -1
	s_and_saveexec_b32 s57, s100
	s_cbranch_execz .LBB71_641
; %bb.640:                              ;   in Loop: Header=BB71_3 Depth=1
	ds_load_b64 v[32:33], v54 offset:18736
	s_wait_dscnt 0x0
	ds_store_b64 v51, v[32:33] offset:19744
	ds_load_b64 v[32:33], v54 offset:18744
	s_wait_dscnt 0x0
	ds_store_b64 v51, v[32:33] offset:20256
.LBB71_641:                             ;   in Loop: Header=BB71_3 Depth=1
	s_or_b32 exec_lo, exec_lo, s57
	s_wait_dscnt 0x0
	s_barrier_signal -1
	s_barrier_wait -1
	s_and_saveexec_b32 s57, s14
	s_cbranch_execz .LBB71_643
; %bb.642:                              ;   in Loop: Header=BB71_3 Depth=1
	ds_load_b128 v[32:35], v5 offset:19760
	ds_load_b64 v[36:37], v5 offset:20280
	s_wait_dscnt 0x1
	v_dual_mov_b32 v94, v35 :: v_dual_mov_b32 v95, v34
	s_wait_dscnt 0x0
	v_dual_mul_f32 v93, v37, v33 :: v_dual_mul_f32 v92, v36, v33
	s_delay_alu instid0(VALU_DEP_1) | instskip(NEXT) | instid1(VALU_DEP_2)
	v_xor_b32_e32 v96, 0x80000000, v93
	v_fmac_f32_e32 v92, v37, v32
	s_delay_alu instid0(VALU_DEP_2) | instskip(NEXT) | instid1(VALU_DEP_2)
	v_fmac_f32_e32 v96, v36, v32
	v_pk_mul_f32 v[32:33], v[92:93], v[94:95] op_sel_hi:[0,1]
	s_delay_alu instid0(VALU_DEP_1) | instskip(SKIP_2) | instid1(VALU_DEP_3)
	v_pk_fma_f32 v[36:37], v[96:97], v[34:35], v[32:33] op_sel_hi:[0,1,1]
	v_pk_fma_f32 v[32:33], v[96:97], v[34:35], v[32:33] neg_lo:[0,0,1] neg_hi:[0,0,1]
	v_add_nc_u32_e64 v34, 0x4800, 0
	v_mov_b32_e32 v33, v37
	ds_store_2addr_b64 v34, v[32:33], v[32:33] offset0:167 offset1:230
.LBB71_643:                             ;   in Loop: Header=BB71_3 Depth=1
	s_or_b32 exec_lo, exec_lo, s57
	v_mov_b32_e32 v32, 0
	s_wait_dscnt 0x0
	s_barrier_signal -1
	s_barrier_wait -1
	s_delay_alu instid0(VALU_DEP_1)
	v_mov_b32_e32 v33, v32
	s_and_saveexec_b32 s66, s3
	s_cbranch_execz .LBB71_653
; %bb.644:                              ;   in Loop: Header=BB71_3 Depth=1
	ds_load_b64 v[32:33], v56 offset:16704
	ds_load_b64 v[34:35], v52 offset:16640
	s_wait_dscnt 0x0
	v_dual_mul_f32 v36, v35, v33 :: v_dual_mul_f32 v37, v34, v33
	s_delay_alu instid0(VALU_DEP_1) | instskip(NEXT) | instid1(VALU_DEP_1)
	v_dual_fma_f32 v33, v34, v32, -v36 :: v_dual_fmac_f32 v37, v35, v32
	v_add_f32_e32 v33, 0, v33
	s_delay_alu instid0(VALU_DEP_2)
	v_add_f32_e32 v32, 0, v37
	s_and_saveexec_b32 s57, s18
	s_cbranch_execnz .LBB71_1138
; %bb.645:                              ;   in Loop: Header=BB71_3 Depth=1
	s_or_b32 exec_lo, exec_lo, s57
	s_and_saveexec_b32 s57, s19
	s_cbranch_execnz .LBB71_1139
.LBB71_646:                             ;   in Loop: Header=BB71_3 Depth=1
	s_or_b32 exec_lo, exec_lo, s57
	s_and_saveexec_b32 s57, s20
	s_cbranch_execnz .LBB71_1140
.LBB71_647:                             ;   in Loop: Header=BB71_3 Depth=1
	s_or_b32 exec_lo, exec_lo, s57
	s_and_saveexec_b32 s57, s21
	s_cbranch_execnz .LBB71_1141
.LBB71_648:                             ;   in Loop: Header=BB71_3 Depth=1
	s_or_b32 exec_lo, exec_lo, s57
	s_and_saveexec_b32 s57, s22
	s_cbranch_execnz .LBB71_1142
.LBB71_649:                             ;   in Loop: Header=BB71_3 Depth=1
	s_or_b32 exec_lo, exec_lo, s57
	s_and_saveexec_b32 s57, s2
	s_cbranch_execnz .LBB71_1143
.LBB71_650:                             ;   in Loop: Header=BB71_3 Depth=1
	s_or_b32 exec_lo, exec_lo, s57
	s_and_saveexec_b32 s57, s17
	s_cbranch_execz .LBB71_652
.LBB71_651:                             ;   in Loop: Header=BB71_3 Depth=1
	ds_load_b64 v[34:35], v58 offset:20288
	ds_load_b64 v[36:37], v5 offset:16696
	s_wait_dscnt 0x0
	v_pk_mul_f32 v[92:93], v[36:37], v[34:35] op_sel:[0,1]
	s_delay_alu instid0(VALU_DEP_1) | instskip(SKIP_1) | instid1(VALU_DEP_2)
	v_pk_fma_f32 v[94:95], v[36:37], v[34:35], v[92:93] op_sel:[1,0,0] op_sel_hi:[0,0,1] neg_lo:[0,0,1] neg_hi:[0,0,1]
	v_pk_fma_f32 v[34:35], v[36:37], v[34:35], v[92:93] op_sel:[1,0,0] op_sel_hi:[0,1,1]
	v_mov_b32_e32 v35, v95
	s_delay_alu instid0(VALU_DEP_1)
	v_pk_add_f32 v[32:33], v[32:33], v[34:35]
.LBB71_652:                             ;   in Loop: Header=BB71_3 Depth=1
	s_or_b32 exec_lo, exec_lo, s57
	s_delay_alu instid0(VALU_DEP_1) | instskip(NEXT) | instid1(VALU_DEP_1)
	v_pk_add_f32 v[34:35], v[32:33], 0 neg_lo:[1,1] neg_hi:[1,1]
	v_dual_mov_b32 v32, v35 :: v_dual_mov_b32 v33, v34
.LBB71_653:                             ;   in Loop: Header=BB71_3 Depth=1
	s_or_b32 exec_lo, exec_lo, s66
	s_and_saveexec_b32 s57, s41
	s_cbranch_execz .LBB71_655
; %bb.654:                              ;   in Loop: Header=BB71_3 Depth=1
	ds_load_b64 v[34:35], v5 offset:20800
	v_dual_mov_b32 v36, v33 :: v_dual_mov_b32 v37, v32
	s_wait_dscnt 0x0
	s_delay_alu instid0(VALU_DEP_1) | instskip(NEXT) | instid1(VALU_DEP_1)
	v_dual_mul_f32 v92, v36, v34 :: v_dual_mul_f32 v94, v33, v35
	v_pk_fma_f32 v[36:37], v[36:37], v[34:35], v[92:93] op_sel_hi:[1,1,0]
	s_delay_alu instid0(VALU_DEP_2) | instskip(NEXT) | instid1(VALU_DEP_2)
	v_pk_fma_f32 v[32:33], v[32:33], v[34:35], v[94:95] op_sel_hi:[1,1,0] neg_lo:[0,0,1] neg_hi:[0,0,1]
	v_mov_b32_e32 v33, v37
	ds_store_b64 v55, v[32:33]
.LBB71_655:                             ;   in Loop: Header=BB71_3 Depth=1
	s_or_b32 exec_lo, exec_lo, s57
	s_wait_dscnt 0x0
	s_barrier_signal -1
	s_barrier_wait -1
	s_and_saveexec_b32 s57, s42
	s_cbranch_execz .LBB71_657
; %bb.656:                              ;   in Loop: Header=BB71_3 Depth=1
	ds_load_b64 v[34:35], v53 offset:20800
	ds_load_b64 v[36:37], v55
	s_wait_dscnt 0x0
	v_dual_mul_f32 v92, v37, v35 :: v_dual_mul_f32 v93, v36, v35
	s_delay_alu instid0(VALU_DEP_1) | instskip(NEXT) | instid1(VALU_DEP_1)
	v_dual_fma_f32 v92, v36, v34, -v92 :: v_dual_fmac_f32 v93, v37, v34
	v_pk_add_f32 v[32:33], v[32:33], v[92:93]
.LBB71_657:                             ;   in Loop: Header=BB71_3 Depth=1
	s_or_b32 exec_lo, exec_lo, s57
	s_barrier_signal -1
	s_barrier_wait -1
	s_and_saveexec_b32 s57, s43
	s_cbranch_execz .LBB71_659
; %bb.658:                              ;   in Loop: Header=BB71_3 Depth=1
	ds_load_b64 v[34:35], v5 offset:21320
	s_wait_dscnt 0x0
	v_pk_mul_f32 v[36:37], v[32:33], v[34:35] op_sel:[1,1] op_sel_hi:[1,0]
	s_delay_alu instid0(VALU_DEP_1) | instskip(SKIP_1) | instid1(VALU_DEP_2)
	v_pk_fma_f32 v[92:93], v[32:33], v[34:35], v[36:37] op_sel_hi:[0,1,1]
	v_pk_fma_f32 v[32:33], v[32:33], v[34:35], v[36:37] op_sel_hi:[0,1,1] neg_lo:[0,0,1] neg_hi:[0,0,1]
	v_mov_b32_e32 v33, v93
	ds_store_b64 v55, v[32:33]
.LBB71_659:                             ;   in Loop: Header=BB71_3 Depth=1
	s_or_b32 exec_lo, exec_lo, s57
	s_wait_dscnt 0x0
	s_barrier_signal -1
	s_barrier_wait -1
	s_and_saveexec_b32 s57, s44
	s_cbranch_execz .LBB71_661
; %bb.660:                              ;   in Loop: Header=BB71_3 Depth=1
	ds_load_b64 v[34:35], v53 offset:21312
	ds_load_b64 v[36:37], v55
	s_wait_dscnt 0x0
	v_pk_mul_f32 v[92:93], v[36:37], v[34:35] op_sel:[1,1] op_sel_hi:[0,1]
	s_delay_alu instid0(VALU_DEP_1) | instskip(SKIP_1) | instid1(VALU_DEP_2)
	v_pk_fma_f32 v[94:95], v[36:37], v[34:35], v[92:93] op_sel_hi:[1,0,1]
	v_pk_fma_f32 v[34:35], v[36:37], v[34:35], v[92:93] op_sel_hi:[1,0,1] neg_lo:[0,0,1] neg_hi:[0,0,1]
	v_mov_b32_e32 v35, v95
	s_delay_alu instid0(VALU_DEP_1)
	v_pk_add_f32 v[32:33], v[32:33], v[34:35]
.LBB71_661:                             ;   in Loop: Header=BB71_3 Depth=1
	s_or_b32 exec_lo, exec_lo, s57
	s_barrier_signal -1
	s_barrier_wait -1
	s_and_saveexec_b32 s57, s45
	s_cbranch_execz .LBB71_663
; %bb.662:                              ;   in Loop: Header=BB71_3 Depth=1
	ds_load_b64 v[34:35], v5 offset:21840
	s_wait_dscnt 0x0
	v_pk_mul_f32 v[36:37], v[32:33], v[34:35] op_sel:[1,1] op_sel_hi:[1,0]
	s_delay_alu instid0(VALU_DEP_1) | instskip(SKIP_1) | instid1(VALU_DEP_2)
	v_pk_fma_f32 v[92:93], v[32:33], v[34:35], v[36:37] op_sel_hi:[0,1,1]
	v_pk_fma_f32 v[32:33], v[32:33], v[34:35], v[36:37] op_sel_hi:[0,1,1] neg_lo:[0,0,1] neg_hi:[0,0,1]
	v_mov_b32_e32 v33, v93
	ds_store_b64 v55, v[32:33]
.LBB71_663:                             ;   in Loop: Header=BB71_3 Depth=1
	s_or_b32 exec_lo, exec_lo, s57
	s_wait_dscnt 0x0
	s_barrier_signal -1
	s_barrier_wait -1
	s_and_saveexec_b32 s57, s46
	s_cbranch_execz .LBB71_665
; %bb.664:                              ;   in Loop: Header=BB71_3 Depth=1
	ds_load_b64 v[34:35], v53 offset:21824
	ds_load_b64 v[36:37], v55
	s_wait_dscnt 0x0
	v_pk_mul_f32 v[92:93], v[36:37], v[34:35] op_sel:[1,1] op_sel_hi:[0,1]
	s_delay_alu instid0(VALU_DEP_1) | instskip(SKIP_1) | instid1(VALU_DEP_2)
	v_pk_fma_f32 v[94:95], v[36:37], v[34:35], v[92:93] op_sel_hi:[1,0,1]
	v_pk_fma_f32 v[34:35], v[36:37], v[34:35], v[92:93] op_sel_hi:[1,0,1] neg_lo:[0,0,1] neg_hi:[0,0,1]
	v_mov_b32_e32 v35, v95
	s_delay_alu instid0(VALU_DEP_1)
	v_pk_add_f32 v[32:33], v[32:33], v[34:35]
.LBB71_665:                             ;   in Loop: Header=BB71_3 Depth=1
	;; [unrolled: 33-line block ×3, first 2 shown]
	s_or_b32 exec_lo, exec_lo, s57
	s_barrier_signal -1
	s_barrier_wait -1
	s_and_saveexec_b32 s57, s49
	s_cbranch_execz .LBB71_671
; %bb.670:                              ;   in Loop: Header=BB71_3 Depth=1
	ds_load_b64 v[34:35], v5 offset:22880
	s_wait_dscnt 0x0
	v_dual_mul_f32 v36, v32, v35 :: v_dual_mul_f32 v92, v33, v35
	s_delay_alu instid0(VALU_DEP_1) | instskip(NEXT) | instid1(VALU_DEP_2)
	v_pk_fma_f32 v[36:37], v[32:33], v[34:35], v[36:37] op_sel:[0,1,0] op_sel_hi:[1,0,0]
	v_pk_fma_f32 v[34:35], v[32:33], v[34:35], v[92:93] op_sel_hi:[1,1,0] neg_lo:[0,0,1] neg_hi:[0,0,1]
	s_delay_alu instid0(VALU_DEP_2) | instskip(NEXT) | instid1(VALU_DEP_1)
	v_mov_b32_e32 v35, v37
	v_mov_b64_e32 v[32:33], v[34:35]
	ds_store_b64 v55, v[34:35]
.LBB71_671:                             ;   in Loop: Header=BB71_3 Depth=1
	s_or_b32 exec_lo, exec_lo, s57
	s_wait_dscnt 0x0
	s_barrier_signal -1
	s_barrier_wait -1
	s_and_saveexec_b32 s57, s50
	s_cbranch_execz .LBB71_673
; %bb.672:                              ;   in Loop: Header=BB71_3 Depth=1
	ds_load_b64 v[34:35], v53 offset:22848
	ds_load_b64 v[36:37], v55
	s_wait_dscnt 0x0
	v_dual_mul_f32 v92, v37, v35 :: v_dual_mul_f32 v93, v36, v35
	s_delay_alu instid0(VALU_DEP_1) | instskip(NEXT) | instid1(VALU_DEP_1)
	v_dual_fma_f32 v92, v36, v34, -v92 :: v_dual_fmac_f32 v93, v37, v34
	v_pk_add_f32 v[32:33], v[32:33], v[92:93]
.LBB71_673:                             ;   in Loop: Header=BB71_3 Depth=1
	s_or_b32 exec_lo, exec_lo, s57
	s_barrier_signal -1
	s_barrier_wait -1
	s_and_saveexec_b32 s57, s51
	s_cbranch_execz .LBB71_675
; %bb.674:                              ;   in Loop: Header=BB71_3 Depth=1
	ds_load_b64 v[34:35], v5 offset:23400
	s_wait_dscnt 0x0
	v_pk_mul_f32 v[36:37], v[32:33], v[34:35] op_sel:[1,1] op_sel_hi:[1,0]
	s_delay_alu instid0(VALU_DEP_1) | instskip(SKIP_1) | instid1(VALU_DEP_2)
	v_pk_fma_f32 v[92:93], v[32:33], v[34:35], v[36:37] op_sel_hi:[0,1,1]
	v_pk_fma_f32 v[34:35], v[32:33], v[34:35], v[36:37] neg_lo:[0,0,1] neg_hi:[0,0,1]
	v_mov_b32_e32 v35, v93
	s_delay_alu instid0(VALU_DEP_1)
	v_mov_b64_e32 v[32:33], v[34:35]
	ds_store_b64 v55, v[34:35]
.LBB71_675:                             ;   in Loop: Header=BB71_3 Depth=1
	s_or_b32 exec_lo, exec_lo, s57
	s_wait_dscnt 0x0
	s_barrier_signal -1
	s_barrier_wait -1
	s_and_saveexec_b32 s57, s52
	s_cbranch_execz .LBB71_677
; %bb.676:                              ;   in Loop: Header=BB71_3 Depth=1
	ds_load_b64 v[34:35], v53 offset:23360
	ds_load_b64 v[36:37], v55
	s_wait_dscnt 0x0
	v_pk_mul_f32 v[92:93], v[36:37], v[34:35] op_sel:[1,1] op_sel_hi:[0,1]
	s_delay_alu instid0(VALU_DEP_1) | instskip(SKIP_1) | instid1(VALU_DEP_2)
	v_pk_fma_f32 v[94:95], v[36:37], v[34:35], v[92:93] op_sel_hi:[1,0,1]
	v_pk_fma_f32 v[34:35], v[36:37], v[34:35], v[92:93] neg_lo:[0,0,1] neg_hi:[0,0,1]
	v_mov_b32_e32 v35, v95
	s_delay_alu instid0(VALU_DEP_1)
	v_pk_add_f32 v[32:33], v[32:33], v[34:35]
.LBB71_677:                             ;   in Loop: Header=BB71_3 Depth=1
	s_or_b32 exec_lo, exec_lo, s57
	s_barrier_signal -1
	s_barrier_wait -1
	s_and_saveexec_b32 s57, s53
	s_cbranch_execz .LBB71_679
; %bb.678:                              ;   in Loop: Header=BB71_3 Depth=1
	ds_load_b64 v[34:35], v5 offset:23920
	s_wait_dscnt 0x0
	v_pk_mul_f32 v[36:37], v[32:33], v[34:35] op_sel:[1,1] op_sel_hi:[1,0]
	s_delay_alu instid0(VALU_DEP_1) | instskip(SKIP_1) | instid1(VALU_DEP_2)
	v_pk_fma_f32 v[92:93], v[32:33], v[34:35], v[36:37] op_sel_hi:[0,1,1]
	v_pk_fma_f32 v[34:35], v[32:33], v[34:35], v[36:37] neg_lo:[0,0,1] neg_hi:[0,0,1]
	v_mov_b32_e32 v35, v93
	s_delay_alu instid0(VALU_DEP_1)
	v_mov_b64_e32 v[32:33], v[34:35]
	ds_store_b64 v55, v[34:35]
.LBB71_679:                             ;   in Loop: Header=BB71_3 Depth=1
	s_or_b32 exec_lo, exec_lo, s57
	s_wait_dscnt 0x0
	s_barrier_signal -1
	s_barrier_wait -1
	s_and_saveexec_b32 s57, s54
	s_cbranch_execz .LBB71_681
; %bb.680:                              ;   in Loop: Header=BB71_3 Depth=1
	ds_load_b64 v[34:35], v5 offset:23928
	ds_load_b64 v[36:37], v55
	s_wait_dscnt 0x0
	v_pk_mul_f32 v[92:93], v[36:37], v[34:35] op_sel:[1,1] op_sel_hi:[0,1]
	s_delay_alu instid0(VALU_DEP_1) | instskip(SKIP_1) | instid1(VALU_DEP_2)
	v_pk_fma_f32 v[94:95], v[36:37], v[34:35], v[92:93] op_sel_hi:[1,0,1]
	v_pk_fma_f32 v[34:35], v[36:37], v[34:35], v[92:93] neg_lo:[0,0,1] neg_hi:[0,0,1]
	v_mov_b32_e32 v35, v95
	s_delay_alu instid0(VALU_DEP_1)
	v_pk_add_f32 v[32:33], v[32:33], v[34:35]
.LBB71_681:                             ;   in Loop: Header=BB71_3 Depth=1
	s_or_b32 exec_lo, exec_lo, s57
	s_barrier_signal -1
	s_barrier_wait -1
	s_and_saveexec_b32 s57, s54
	s_cbranch_execz .LBB71_683
; %bb.682:                              ;   in Loop: Header=BB71_3 Depth=1
	ds_load_b64 v[34:35], v5 offset:24440
	s_wait_dscnt 0x0
	v_pk_mul_f32 v[36:37], v[32:33], v[34:35] op_sel:[1,1] op_sel_hi:[1,0]
	s_delay_alu instid0(VALU_DEP_1) | instskip(SKIP_1) | instid1(VALU_DEP_2)
	v_pk_fma_f32 v[92:93], v[32:33], v[34:35], v[36:37] op_sel_hi:[0,1,1]
	v_pk_fma_f32 v[34:35], v[32:33], v[34:35], v[36:37] neg_lo:[0,0,1] neg_hi:[0,0,1]
	v_mov_b32_e32 v35, v93
	s_delay_alu instid0(VALU_DEP_1)
	v_mov_b64_e32 v[32:33], v[34:35]
	ds_store_b64 v55, v[34:35]
.LBB71_683:                             ;   in Loop: Header=BB71_3 Depth=1
	s_or_b32 exec_lo, exec_lo, s57
	s_wait_dscnt 0x0
	s_barrier_signal -1
	s_barrier_wait -1
	s_barrier_signal -1
	s_barrier_wait -1
	s_and_saveexec_b32 s57, s3
; %bb.684:                              ;   in Loop: Header=BB71_3 Depth=1
	v_pk_add_f32 v[32:33], v[32:33], 0 neg_lo:[1,1] neg_hi:[1,1]
	ds_store_b64 v56, v[32:33] offset:16704
; %bb.685:                              ;   in Loop: Header=BB71_3 Depth=1
	s_or_b32 exec_lo, exec_lo, s57
	s_wait_dscnt 0x0
	s_barrier_signal -1
	s_barrier_wait -1
	s_barrier_signal -1
	s_barrier_wait -1
	s_and_saveexec_b32 s57, s55
	s_cbranch_execz .LBB71_687
; %bb.686:                              ;   in Loop: Header=BB71_3 Depth=1
	ds_load_b64 v[32:33], v59 offset:16704
	s_wait_dscnt 0x0
	ds_store_b64 v60, v[32:33] offset:20736
	ds_load_b64 v[32:33], v59 offset:16712
	s_wait_dscnt 0x0
	ds_store_b64 v60, v[32:33] offset:21248
	;; [unrolled: 3-line block ×8, first 2 shown]
.LBB71_687:                             ;   in Loop: Header=BB71_3 Depth=1
	s_or_b32 exec_lo, exec_lo, s57
	s_wait_dscnt 0x0
	s_barrier_signal -1
	s_barrier_wait -1
	s_and_saveexec_b32 s57, s14
	s_cbranch_execz .LBB71_689
; %bb.688:                              ;   in Loop: Header=BB71_3 Depth=1
	ds_load_b128 v[32:35], v5 offset:20800
	ds_load_b64 v[36:37], v5 offset:21320
	s_wait_dscnt 0x1
	v_dual_mov_b32 v94, v35 :: v_dual_mov_b32 v95, v34
	s_wait_dscnt 0x0
	v_dual_mul_f32 v93, v37, v33 :: v_dual_mul_f32 v92, v36, v33
	s_delay_alu instid0(VALU_DEP_1) | instskip(NEXT) | instid1(VALU_DEP_2)
	v_xor_b32_e32 v96, 0x80000000, v93
	v_fmac_f32_e32 v92, v37, v32
	s_delay_alu instid0(VALU_DEP_2) | instskip(NEXT) | instid1(VALU_DEP_2)
	v_fmac_f32_e32 v96, v36, v32
	v_pk_mul_f32 v[32:33], v[92:93], v[94:95] op_sel_hi:[0,1]
	s_delay_alu instid0(VALU_DEP_1) | instskip(SKIP_2) | instid1(VALU_DEP_3)
	v_pk_fma_f32 v[36:37], v[96:97], v[34:35], v[32:33] op_sel_hi:[0,1,1]
	v_pk_fma_f32 v[32:33], v[96:97], v[34:35], v[32:33] neg_lo:[0,0,1] neg_hi:[0,0,1]
	v_add_nc_u32_e64 v34, 0x5000, 0
	v_mov_b32_e32 v33, v37
	ds_store_2addr_b64 v34, v[32:33], v[32:33] offset0:41 offset1:104
.LBB71_689:                             ;   in Loop: Header=BB71_3 Depth=1
	s_or_b32 exec_lo, exec_lo, s57
	v_mov_b32_e32 v33, 0
	s_wait_dscnt 0x0
	s_barrier_signal -1
	s_barrier_wait -1
	s_delay_alu instid0(VALU_DEP_1)
	v_mov_b32_e32 v32, v33
	s_and_saveexec_b32 s57, s0
	s_cbranch_execz .LBB71_693
; %bb.690:                              ;   in Loop: Header=BB71_3 Depth=1
	ds_load_b64 v[32:33], v39 offset:20816
	ds_load_b64 v[34:35], v40 offset:20800
	s_wait_dscnt 0x0
	v_dual_mul_f32 v36, v35, v33 :: v_dual_mul_f32 v37, v34, v33
	s_delay_alu instid0(VALU_DEP_1) | instskip(NEXT) | instid1(VALU_DEP_1)
	v_dual_fma_f32 v36, v34, v32, -v36 :: v_dual_fmac_f32 v37, v35, v32
	v_pk_add_f32 v[32:33], v[36:37], 0 op_sel_hi:[1,0]
	s_and_saveexec_b32 s58, s15
	s_cbranch_execz .LBB71_692
; %bb.691:                              ;   in Loop: Header=BB71_3 Depth=1
	ds_load_b64 v[34:35], v60 offset:21328
	ds_load_b64 v[36:37], v5 offset:20808
	s_wait_dscnt 0x0
	v_pk_mul_f32 v[92:93], v[36:37], v[34:35] op_sel:[1,1] op_sel_hi:[0,1]
	s_delay_alu instid0(VALU_DEP_1) | instskip(SKIP_1) | instid1(VALU_DEP_2)
	v_pk_fma_f32 v[94:95], v[36:37], v[34:35], v[92:93] op_sel_hi:[1,0,1]
	v_pk_fma_f32 v[34:35], v[36:37], v[34:35], v[92:93] neg_lo:[0,0,1] neg_hi:[0,0,1]
	v_mov_b32_e32 v35, v95
	s_delay_alu instid0(VALU_DEP_1)
	v_pk_add_f32 v[32:33], v[32:33], v[34:35]
.LBB71_692:                             ;   in Loop: Header=BB71_3 Depth=1
	s_or_b32 exec_lo, exec_lo, s58
	s_delay_alu instid0(VALU_DEP_1)
	v_pk_add_f32 v[32:33], v[32:33], 0 neg_lo:[1,1] neg_hi:[1,1]
.LBB71_693:                             ;   in Loop: Header=BB71_3 Depth=1
	s_or_b32 exec_lo, exec_lo, s57
	s_and_saveexec_b32 s57, s98
	s_cbranch_execz .LBB71_695
; %bb.694:                              ;   in Loop: Header=BB71_3 Depth=1
	ds_load_b64 v[34:35], v5 offset:21840
	s_wait_dscnt 0x0
	v_pk_mul_f32 v[36:37], v[32:33], v[34:35] op_sel:[1,1] op_sel_hi:[1,0]
	s_delay_alu instid0(VALU_DEP_1) | instskip(SKIP_1) | instid1(VALU_DEP_2)
	v_pk_fma_f32 v[92:93], v[32:33], v[34:35], v[36:37] op_sel_hi:[0,1,1]
	v_pk_fma_f32 v[34:35], v[32:33], v[34:35], v[36:37] neg_lo:[0,0,1] neg_hi:[0,0,1]
	v_mov_b32_e32 v35, v93
	s_delay_alu instid0(VALU_DEP_1)
	v_mov_b64_e32 v[32:33], v[34:35]
	ds_store_b64 v3, v[34:35]
.LBB71_695:                             ;   in Loop: Header=BB71_3 Depth=1
	s_or_b32 exec_lo, exec_lo, s57
	s_wait_dscnt 0x0
	s_barrier_signal -1
	s_barrier_wait -1
	s_and_saveexec_b32 s57, s99
	s_cbranch_execz .LBB71_697
; %bb.696:                              ;   in Loop: Header=BB71_3 Depth=1
	ds_load_b64 v[34:35], v5 offset:21848
	ds_load_b64 v[36:37], v3
	s_wait_dscnt 0x0
	v_pk_mul_f32 v[92:93], v[36:37], v[34:35] op_sel:[1,1] op_sel_hi:[0,1]
	s_delay_alu instid0(VALU_DEP_1) | instskip(SKIP_1) | instid1(VALU_DEP_2)
	v_pk_fma_f32 v[94:95], v[36:37], v[34:35], v[92:93] op_sel_hi:[1,0,1]
	v_pk_fma_f32 v[34:35], v[36:37], v[34:35], v[92:93] neg_lo:[0,0,1] neg_hi:[0,0,1]
	v_mov_b32_e32 v35, v95
	s_delay_alu instid0(VALU_DEP_1)
	v_pk_add_f32 v[32:33], v[32:33], v[34:35]
.LBB71_697:                             ;   in Loop: Header=BB71_3 Depth=1
	s_or_b32 exec_lo, exec_lo, s57
	s_barrier_signal -1
	s_barrier_wait -1
	s_and_saveexec_b32 s57, s99
	s_cbranch_execz .LBB71_699
; %bb.698:                              ;   in Loop: Header=BB71_3 Depth=1
	ds_load_b64 v[34:35], v5 offset:22360
	s_wait_dscnt 0x0
	v_pk_mul_f32 v[36:37], v[32:33], v[34:35] op_sel:[1,1] op_sel_hi:[1,0]
	s_delay_alu instid0(VALU_DEP_1) | instskip(SKIP_1) | instid1(VALU_DEP_2)
	v_pk_fma_f32 v[92:93], v[32:33], v[34:35], v[36:37] op_sel_hi:[0,1,1]
	v_pk_fma_f32 v[34:35], v[32:33], v[34:35], v[36:37] neg_lo:[0,0,1] neg_hi:[0,0,1]
	v_mov_b32_e32 v35, v93
	s_delay_alu instid0(VALU_DEP_1)
	v_mov_b64_e32 v[32:33], v[34:35]
	ds_store_b64 v3, v[34:35]
.LBB71_699:                             ;   in Loop: Header=BB71_3 Depth=1
	s_or_b32 exec_lo, exec_lo, s57
	s_wait_dscnt 0x0
	s_barrier_signal -1
	s_barrier_wait -1
	s_barrier_signal -1
	s_barrier_wait -1
	s_and_saveexec_b32 s57, s0
; %bb.700:                              ;   in Loop: Header=BB71_3 Depth=1
	v_pk_add_f32 v[32:33], v[32:33], 0 neg_lo:[1,1] neg_hi:[1,1]
	ds_store_b64 v39, v[32:33] offset:20816
; %bb.701:                              ;   in Loop: Header=BB71_3 Depth=1
	s_or_b32 exec_lo, exec_lo, s57
	s_wait_dscnt 0x0
	s_barrier_signal -1
	s_barrier_wait -1
	s_barrier_signal -1
	s_barrier_wait -1
	s_and_saveexec_b32 s57, s100
	s_cbranch_execz .LBB71_703
; %bb.702:                              ;   in Loop: Header=BB71_3 Depth=1
	ds_load_b64 v[32:33], v62 offset:20816
	s_wait_dscnt 0x0
	ds_store_b64 v60, v[32:33] offset:21824
	ds_load_b64 v[32:33], v62 offset:20824
	s_wait_dscnt 0x0
	ds_store_b64 v60, v[32:33] offset:22336
.LBB71_703:                             ;   in Loop: Header=BB71_3 Depth=1
	s_or_b32 exec_lo, exec_lo, s57
	s_wait_dscnt 0x0
	s_barrier_signal -1
	s_barrier_wait -1
	s_and_saveexec_b32 s57, s14
	s_cbranch_execz .LBB71_705
; %bb.704:                              ;   in Loop: Header=BB71_3 Depth=1
	ds_load_b128 v[32:35], v5 offset:21840
	ds_load_b64 v[36:37], v5 offset:22360
	s_wait_dscnt 0x1
	v_dual_mov_b32 v94, v35 :: v_dual_mov_b32 v95, v34
	s_wait_dscnt 0x0
	v_dual_mul_f32 v93, v37, v33 :: v_dual_mul_f32 v92, v36, v33
	s_delay_alu instid0(VALU_DEP_1) | instskip(NEXT) | instid1(VALU_DEP_2)
	v_xor_b32_e32 v96, 0x80000000, v93
	v_fmac_f32_e32 v92, v37, v32
	s_delay_alu instid0(VALU_DEP_2) | instskip(NEXT) | instid1(VALU_DEP_2)
	v_fmac_f32_e32 v96, v36, v32
	v_pk_mul_f32 v[32:33], v[92:93], v[94:95] op_sel_hi:[0,1]
	s_delay_alu instid0(VALU_DEP_1) | instskip(SKIP_2) | instid1(VALU_DEP_3)
	v_pk_fma_f32 v[36:37], v[96:97], v[34:35], v[32:33] op_sel_hi:[0,1,1]
	v_pk_fma_f32 v[32:33], v[96:97], v[34:35], v[32:33] neg_lo:[0,0,1] neg_hi:[0,0,1]
	v_add_nc_u32_e64 v34, 0x5000, 0
	v_mov_b32_e32 v33, v37
	ds_store_2addr_b64 v34, v[32:33], v[32:33] offset0:171 offset1:234
.LBB71_705:                             ;   in Loop: Header=BB71_3 Depth=1
	s_or_b32 exec_lo, exec_lo, s57
	v_mov_b32_e32 v32, 0
	s_wait_dscnt 0x0
	s_barrier_signal -1
	s_barrier_wait -1
	s_delay_alu instid0(VALU_DEP_1)
	v_mov_b32_e32 v33, v32
	s_and_saveexec_b32 s66, s2
	s_cbranch_execz .LBB71_711
; %bb.706:                              ;   in Loop: Header=BB71_3 Depth=1
	ds_load_b64 v[32:33], v46 offset:20832
	ds_load_b64 v[34:35], v42 offset:20800
	s_wait_dscnt 0x0
	v_pk_mul_f32 v[36:37], v[34:35], v[32:33] op_sel:[0,1]
	s_delay_alu instid0(VALU_DEP_1) | instskip(SKIP_1) | instid1(VALU_DEP_2)
	v_pk_fma_f32 v[92:93], v[34:35], v[32:33], v[36:37] op_sel:[1,0,0] op_sel_hi:[0,0,1] neg_lo:[0,0,1] neg_hi:[0,0,1]
	v_pk_fma_f32 v[32:33], v[34:35], v[32:33], v[36:37] op_sel:[1,0,0] op_sel_hi:[0,1,1]
	v_mov_b32_e32 v33, v93
	s_delay_alu instid0(VALU_DEP_1)
	v_pk_add_f32 v[32:33], v[32:33], 0 op_sel_hi:[1,0]
	s_and_saveexec_b32 s57, s16
	s_cbranch_execnz .LBB71_1144
; %bb.707:                              ;   in Loop: Header=BB71_3 Depth=1
	s_or_b32 exec_lo, exec_lo, s57
	s_and_saveexec_b32 s57, s17
	s_cbranch_execnz .LBB71_1145
.LBB71_708:                             ;   in Loop: Header=BB71_3 Depth=1
	s_or_b32 exec_lo, exec_lo, s57
	s_and_saveexec_b32 s57, s0
	s_cbranch_execz .LBB71_710
.LBB71_709:                             ;   in Loop: Header=BB71_3 Depth=1
	ds_load_b64 v[34:35], v70 offset:22368
	ds_load_b64 v[36:37], v5 offset:20824
	s_wait_dscnt 0x0
	v_pk_mul_f32 v[92:93], v[36:37], v[34:35] op_sel:[0,1]
	s_delay_alu instid0(VALU_DEP_1) | instskip(SKIP_1) | instid1(VALU_DEP_2)
	v_pk_fma_f32 v[94:95], v[36:37], v[34:35], v[92:93] op_sel:[1,0,0] op_sel_hi:[0,0,1] neg_lo:[0,0,1] neg_hi:[0,0,1]
	v_pk_fma_f32 v[34:35], v[36:37], v[34:35], v[92:93] op_sel:[1,0,0] op_sel_hi:[0,1,1]
	v_mov_b32_e32 v35, v95
	s_delay_alu instid0(VALU_DEP_1)
	v_pk_add_f32 v[32:33], v[32:33], v[34:35]
.LBB71_710:                             ;   in Loop: Header=BB71_3 Depth=1
	s_or_b32 exec_lo, exec_lo, s57
	s_delay_alu instid0(VALU_DEP_1) | instskip(NEXT) | instid1(VALU_DEP_1)
	v_pk_add_f32 v[34:35], v[32:33], 0 neg_lo:[1,1] neg_hi:[1,1]
	v_dual_mov_b32 v32, v35 :: v_dual_mov_b32 v33, v34
.LBB71_711:                             ;   in Loop: Header=BB71_3 Depth=1
	s_or_b32 exec_lo, exec_lo, s66
	s_and_saveexec_b32 s57, s101
	s_cbranch_execz .LBB71_713
; %bb.712:                              ;   in Loop: Header=BB71_3 Depth=1
	ds_load_b64 v[34:35], v5 offset:22880
	v_dual_mov_b32 v36, v33 :: v_dual_mov_b32 v37, v32
	s_wait_dscnt 0x0
	s_delay_alu instid0(VALU_DEP_1) | instskip(NEXT) | instid1(VALU_DEP_1)
	v_dual_mul_f32 v92, v36, v34 :: v_dual_mul_f32 v94, v33, v35
	v_pk_fma_f32 v[36:37], v[36:37], v[34:35], v[92:93] op_sel_hi:[1,1,0]
	s_delay_alu instid0(VALU_DEP_2) | instskip(NEXT) | instid1(VALU_DEP_2)
	v_pk_fma_f32 v[32:33], v[32:33], v[34:35], v[94:95] op_sel_hi:[1,1,0] neg_lo:[0,0,1] neg_hi:[0,0,1]
	v_mov_b32_e32 v33, v37
	ds_store_b64 v45, v[32:33]
.LBB71_713:                             ;   in Loop: Header=BB71_3 Depth=1
	s_or_b32 exec_lo, exec_lo, s57
	s_wait_dscnt 0x0
	s_barrier_signal -1
	s_barrier_wait -1
	s_and_saveexec_b32 s57, s102
	s_cbranch_execz .LBB71_715
; %bb.714:                              ;   in Loop: Header=BB71_3 Depth=1
	ds_load_b64 v[34:35], v43 offset:22880
	ds_load_b64 v[36:37], v45
	s_wait_dscnt 0x0
	v_dual_mul_f32 v92, v37, v35 :: v_dual_mul_f32 v93, v36, v35
	s_delay_alu instid0(VALU_DEP_1) | instskip(NEXT) | instid1(VALU_DEP_1)
	v_dual_fma_f32 v92, v36, v34, -v92 :: v_dual_fmac_f32 v93, v37, v34
	v_pk_add_f32 v[32:33], v[32:33], v[92:93]
.LBB71_715:                             ;   in Loop: Header=BB71_3 Depth=1
	s_or_b32 exec_lo, exec_lo, s57
	s_barrier_signal -1
	s_barrier_wait -1
	s_and_saveexec_b32 s57, s103
	s_cbranch_execz .LBB71_717
; %bb.716:                              ;   in Loop: Header=BB71_3 Depth=1
	ds_load_b64 v[34:35], v5 offset:23400
	s_wait_dscnt 0x0
	v_pk_mul_f32 v[36:37], v[32:33], v[34:35] op_sel:[1,1] op_sel_hi:[1,0]
	s_delay_alu instid0(VALU_DEP_1) | instskip(SKIP_1) | instid1(VALU_DEP_2)
	v_pk_fma_f32 v[92:93], v[32:33], v[34:35], v[36:37] op_sel_hi:[0,1,1]
	v_pk_fma_f32 v[34:35], v[32:33], v[34:35], v[36:37] neg_lo:[0,0,1] neg_hi:[0,0,1]
	v_mov_b32_e32 v35, v93
	s_delay_alu instid0(VALU_DEP_1)
	v_mov_b64_e32 v[32:33], v[34:35]
	ds_store_b64 v45, v[34:35]
.LBB71_717:                             ;   in Loop: Header=BB71_3 Depth=1
	s_or_b32 exec_lo, exec_lo, s57
	s_wait_dscnt 0x0
	s_barrier_signal -1
	s_barrier_wait -1
	s_and_saveexec_b32 s57, s104
	s_cbranch_execz .LBB71_719
; %bb.718:                              ;   in Loop: Header=BB71_3 Depth=1
	ds_load_b64 v[34:35], v43 offset:23392
	ds_load_b64 v[36:37], v45
	s_wait_dscnt 0x0
	v_pk_mul_f32 v[92:93], v[36:37], v[34:35] op_sel:[1,1] op_sel_hi:[0,1]
	s_delay_alu instid0(VALU_DEP_1) | instskip(SKIP_1) | instid1(VALU_DEP_2)
	v_pk_fma_f32 v[94:95], v[36:37], v[34:35], v[92:93] op_sel_hi:[1,0,1]
	v_pk_fma_f32 v[34:35], v[36:37], v[34:35], v[92:93] neg_lo:[0,0,1] neg_hi:[0,0,1]
	v_mov_b32_e32 v35, v95
	s_delay_alu instid0(VALU_DEP_1)
	v_pk_add_f32 v[32:33], v[32:33], v[34:35]
.LBB71_719:                             ;   in Loop: Header=BB71_3 Depth=1
	s_or_b32 exec_lo, exec_lo, s57
	s_barrier_signal -1
	s_barrier_wait -1
	s_and_saveexec_b32 s57, vcc_hi
	s_cbranch_execz .LBB71_721
; %bb.720:                              ;   in Loop: Header=BB71_3 Depth=1
	ds_load_b64 v[34:35], v5 offset:23920
	s_wait_dscnt 0x0
	v_pk_mul_f32 v[36:37], v[32:33], v[34:35] op_sel:[1,1] op_sel_hi:[1,0]
	s_delay_alu instid0(VALU_DEP_1) | instskip(SKIP_1) | instid1(VALU_DEP_2)
	v_pk_fma_f32 v[92:93], v[32:33], v[34:35], v[36:37] op_sel_hi:[0,1,1]
	v_pk_fma_f32 v[34:35], v[32:33], v[34:35], v[36:37] neg_lo:[0,0,1] neg_hi:[0,0,1]
	v_mov_b32_e32 v35, v93
	s_delay_alu instid0(VALU_DEP_1)
	v_mov_b64_e32 v[32:33], v[34:35]
	ds_store_b64 v45, v[34:35]
.LBB71_721:                             ;   in Loop: Header=BB71_3 Depth=1
	s_or_b32 exec_lo, exec_lo, s57
	s_wait_dscnt 0x0
	s_barrier_signal -1
	s_barrier_wait -1
	s_and_saveexec_b32 s57, s39
	s_cbranch_execz .LBB71_723
; %bb.722:                              ;   in Loop: Header=BB71_3 Depth=1
	ds_load_b64 v[34:35], v5 offset:23928
	ds_load_b64 v[36:37], v45
	s_wait_dscnt 0x0
	v_pk_mul_f32 v[92:93], v[36:37], v[34:35] op_sel:[1,1] op_sel_hi:[0,1]
	s_delay_alu instid0(VALU_DEP_1) | instskip(SKIP_1) | instid1(VALU_DEP_2)
	v_pk_fma_f32 v[94:95], v[36:37], v[34:35], v[92:93] op_sel_hi:[1,0,1]
	v_pk_fma_f32 v[34:35], v[36:37], v[34:35], v[92:93] neg_lo:[0,0,1] neg_hi:[0,0,1]
	v_mov_b32_e32 v35, v95
	s_delay_alu instid0(VALU_DEP_1)
	v_pk_add_f32 v[32:33], v[32:33], v[34:35]
.LBB71_723:                             ;   in Loop: Header=BB71_3 Depth=1
	s_or_b32 exec_lo, exec_lo, s57
	s_barrier_signal -1
	s_barrier_wait -1
	s_and_saveexec_b32 s57, s39
	s_cbranch_execz .LBB71_725
; %bb.724:                              ;   in Loop: Header=BB71_3 Depth=1
	ds_load_b64 v[34:35], v5 offset:24440
	s_wait_dscnt 0x0
	v_pk_mul_f32 v[36:37], v[32:33], v[34:35] op_sel:[1,1] op_sel_hi:[1,0]
	s_delay_alu instid0(VALU_DEP_1) | instskip(SKIP_1) | instid1(VALU_DEP_2)
	v_pk_fma_f32 v[92:93], v[32:33], v[34:35], v[36:37] op_sel_hi:[0,1,1]
	v_pk_fma_f32 v[34:35], v[32:33], v[34:35], v[36:37] neg_lo:[0,0,1] neg_hi:[0,0,1]
	v_mov_b32_e32 v35, v93
	s_delay_alu instid0(VALU_DEP_1)
	v_mov_b64_e32 v[32:33], v[34:35]
	ds_store_b64 v45, v[34:35]
.LBB71_725:                             ;   in Loop: Header=BB71_3 Depth=1
	s_or_b32 exec_lo, exec_lo, s57
	s_wait_dscnt 0x0
	s_barrier_signal -1
	s_barrier_wait -1
	s_barrier_signal -1
	s_barrier_wait -1
	s_and_saveexec_b32 s57, s2
; %bb.726:                              ;   in Loop: Header=BB71_3 Depth=1
	v_pk_add_f32 v[32:33], v[32:33], 0 neg_lo:[1,1] neg_hi:[1,1]
	ds_store_b64 v46, v[32:33] offset:20832
; %bb.727:                              ;   in Loop: Header=BB71_3 Depth=1
	s_or_b32 exec_lo, exec_lo, s57
	s_wait_dscnt 0x0
	s_barrier_signal -1
	s_barrier_wait -1
	s_barrier_signal -1
	s_barrier_wait -1
	s_and_saveexec_b32 s57, s40
	s_cbranch_execz .LBB71_729
; %bb.728:                              ;   in Loop: Header=BB71_3 Depth=1
	ds_load_b64 v[32:33], v71 offset:20832
	s_wait_dscnt 0x0
	ds_store_b64 v76, v[32:33] offset:22848
	ds_load_b64 v[32:33], v71 offset:20840
	s_wait_dscnt 0x0
	ds_store_b64 v76, v[32:33] offset:23360
	;; [unrolled: 3-line block ×4, first 2 shown]
.LBB71_729:                             ;   in Loop: Header=BB71_3 Depth=1
	s_or_b32 exec_lo, exec_lo, s57
	s_wait_dscnt 0x0
	s_barrier_signal -1
	s_barrier_wait -1
	s_and_saveexec_b32 s57, s14
	s_cbranch_execz .LBB71_731
; %bb.730:                              ;   in Loop: Header=BB71_3 Depth=1
	ds_load_b128 v[32:35], v5 offset:22880
	ds_load_b64 v[36:37], v5 offset:23400
	s_wait_dscnt 0x1
	v_dual_mov_b32 v94, v35 :: v_dual_mov_b32 v95, v34
	s_wait_dscnt 0x0
	v_dual_mul_f32 v93, v37, v33 :: v_dual_mul_f32 v92, v36, v33
	s_delay_alu instid0(VALU_DEP_1) | instskip(NEXT) | instid1(VALU_DEP_2)
	v_xor_b32_e32 v96, 0x80000000, v93
	v_fmac_f32_e32 v92, v37, v32
	s_delay_alu instid0(VALU_DEP_2) | instskip(NEXT) | instid1(VALU_DEP_2)
	v_fmac_f32_e32 v96, v36, v32
	v_pk_mul_f32 v[32:33], v[92:93], v[94:95] op_sel_hi:[0,1]
	s_delay_alu instid0(VALU_DEP_1) | instskip(SKIP_2) | instid1(VALU_DEP_3)
	v_pk_fma_f32 v[36:37], v[96:97], v[34:35], v[32:33] op_sel_hi:[0,1,1]
	v_pk_fma_f32 v[32:33], v[96:97], v[34:35], v[32:33] neg_lo:[0,0,1] neg_hi:[0,0,1]
	v_add_nc_u32_e64 v34, 0x5800, 0
	v_mov_b32_e32 v33, v37
	ds_store_2addr_b64 v34, v[32:33], v[32:33] offset0:45 offset1:108
.LBB71_731:                             ;   in Loop: Header=BB71_3 Depth=1
	s_or_b32 exec_lo, exec_lo, s57
	v_mov_b32_e32 v33, 0
	s_wait_dscnt 0x0
	s_barrier_signal -1
	s_barrier_wait -1
	s_delay_alu instid0(VALU_DEP_1)
	v_mov_b32_e32 v32, v33
	s_and_saveexec_b32 s57, s0
	s_cbranch_execz .LBB71_735
; %bb.732:                              ;   in Loop: Header=BB71_3 Depth=1
	ds_load_b64 v[32:33], v39 offset:22896
	ds_load_b64 v[34:35], v40 offset:22880
	s_wait_dscnt 0x0
	v_dual_mul_f32 v36, v35, v33 :: v_dual_mul_f32 v37, v34, v33
	s_delay_alu instid0(VALU_DEP_1) | instskip(NEXT) | instid1(VALU_DEP_1)
	v_dual_fma_f32 v36, v34, v32, -v36 :: v_dual_fmac_f32 v37, v35, v32
	v_pk_add_f32 v[32:33], v[36:37], 0 op_sel_hi:[1,0]
	s_and_saveexec_b32 s58, s15
	s_cbranch_execz .LBB71_734
; %bb.733:                              ;   in Loop: Header=BB71_3 Depth=1
	ds_load_b64 v[34:35], v76 offset:23408
	ds_load_b64 v[36:37], v5 offset:22888
	s_wait_dscnt 0x0
	v_pk_mul_f32 v[92:93], v[36:37], v[34:35] op_sel:[1,1] op_sel_hi:[0,1]
	s_delay_alu instid0(VALU_DEP_1) | instskip(SKIP_1) | instid1(VALU_DEP_2)
	v_pk_fma_f32 v[94:95], v[36:37], v[34:35], v[92:93] op_sel_hi:[1,0,1]
	v_pk_fma_f32 v[34:35], v[36:37], v[34:35], v[92:93] neg_lo:[0,0,1] neg_hi:[0,0,1]
	v_mov_b32_e32 v35, v95
	s_delay_alu instid0(VALU_DEP_1)
	v_pk_add_f32 v[32:33], v[32:33], v[34:35]
.LBB71_734:                             ;   in Loop: Header=BB71_3 Depth=1
	s_or_b32 exec_lo, exec_lo, s58
	s_delay_alu instid0(VALU_DEP_1)
	v_pk_add_f32 v[32:33], v[32:33], 0 neg_lo:[1,1] neg_hi:[1,1]
.LBB71_735:                             ;   in Loop: Header=BB71_3 Depth=1
	s_or_b32 exec_lo, exec_lo, s57
	s_and_saveexec_b32 s57, s98
	s_cbranch_execz .LBB71_737
; %bb.736:                              ;   in Loop: Header=BB71_3 Depth=1
	ds_load_b64 v[34:35], v5 offset:23920
	s_wait_dscnt 0x0
	v_pk_mul_f32 v[36:37], v[32:33], v[34:35] op_sel:[1,1] op_sel_hi:[1,0]
	s_delay_alu instid0(VALU_DEP_1) | instskip(SKIP_1) | instid1(VALU_DEP_2)
	v_pk_fma_f32 v[92:93], v[32:33], v[34:35], v[36:37] op_sel_hi:[0,1,1]
	v_pk_fma_f32 v[34:35], v[32:33], v[34:35], v[36:37] neg_lo:[0,0,1] neg_hi:[0,0,1]
	v_mov_b32_e32 v35, v93
	s_delay_alu instid0(VALU_DEP_1)
	v_mov_b64_e32 v[32:33], v[34:35]
	ds_store_b64 v3, v[34:35]
.LBB71_737:                             ;   in Loop: Header=BB71_3 Depth=1
	s_or_b32 exec_lo, exec_lo, s57
	s_wait_dscnt 0x0
	s_barrier_signal -1
	s_barrier_wait -1
	s_and_saveexec_b32 s57, s99
	s_cbranch_execz .LBB71_739
; %bb.738:                              ;   in Loop: Header=BB71_3 Depth=1
	ds_load_b64 v[34:35], v5 offset:23928
	ds_load_b64 v[36:37], v3
	s_wait_dscnt 0x0
	v_pk_mul_f32 v[92:93], v[36:37], v[34:35] op_sel:[1,1] op_sel_hi:[0,1]
	s_delay_alu instid0(VALU_DEP_1) | instskip(SKIP_1) | instid1(VALU_DEP_2)
	v_pk_fma_f32 v[94:95], v[36:37], v[34:35], v[92:93] op_sel_hi:[1,0,1]
	v_pk_fma_f32 v[34:35], v[36:37], v[34:35], v[92:93] neg_lo:[0,0,1] neg_hi:[0,0,1]
	v_mov_b32_e32 v35, v95
	s_delay_alu instid0(VALU_DEP_1)
	v_pk_add_f32 v[32:33], v[32:33], v[34:35]
.LBB71_739:                             ;   in Loop: Header=BB71_3 Depth=1
	s_or_b32 exec_lo, exec_lo, s57
	s_barrier_signal -1
	s_barrier_wait -1
	s_and_saveexec_b32 s57, s99
	s_cbranch_execz .LBB71_741
; %bb.740:                              ;   in Loop: Header=BB71_3 Depth=1
	ds_load_b64 v[34:35], v5 offset:24440
	s_wait_dscnt 0x0
	v_pk_mul_f32 v[36:37], v[32:33], v[34:35] op_sel:[1,1] op_sel_hi:[1,0]
	s_delay_alu instid0(VALU_DEP_1) | instskip(SKIP_1) | instid1(VALU_DEP_2)
	v_pk_fma_f32 v[92:93], v[32:33], v[34:35], v[36:37] op_sel_hi:[0,1,1]
	v_pk_fma_f32 v[34:35], v[32:33], v[34:35], v[36:37] neg_lo:[0,0,1] neg_hi:[0,0,1]
	v_mov_b32_e32 v35, v93
	s_delay_alu instid0(VALU_DEP_1)
	v_mov_b64_e32 v[32:33], v[34:35]
	ds_store_b64 v3, v[34:35]
.LBB71_741:                             ;   in Loop: Header=BB71_3 Depth=1
	s_or_b32 exec_lo, exec_lo, s57
	s_wait_dscnt 0x0
	s_barrier_signal -1
	s_barrier_wait -1
	s_barrier_signal -1
	s_barrier_wait -1
	s_and_saveexec_b32 s57, s0
; %bb.742:                              ;   in Loop: Header=BB71_3 Depth=1
	v_pk_add_f32 v[32:33], v[32:33], 0 neg_lo:[1,1] neg_hi:[1,1]
	ds_store_b64 v39, v[32:33] offset:22896
; %bb.743:                              ;   in Loop: Header=BB71_3 Depth=1
	s_or_b32 exec_lo, exec_lo, s57
	s_wait_dscnt 0x0
	s_barrier_signal -1
	s_barrier_wait -1
	s_barrier_signal -1
	s_barrier_wait -1
	s_and_saveexec_b32 s57, s100
	s_cbranch_execz .LBB71_745
; %bb.744:                              ;   in Loop: Header=BB71_3 Depth=1
	ds_load_b64 v[32:33], v77 offset:22896
	s_wait_dscnt 0x0
	ds_store_b64 v76, v[32:33] offset:23904
	ds_load_b64 v[32:33], v77 offset:22904
	s_wait_dscnt 0x0
	ds_store_b64 v76, v[32:33] offset:24416
.LBB71_745:                             ;   in Loop: Header=BB71_3 Depth=1
	s_or_b32 exec_lo, exec_lo, s57
	s_wait_dscnt 0x0
	s_barrier_signal -1
	s_barrier_wait -1
	s_and_saveexec_b32 s57, s14
	s_cbranch_execz .LBB71_747
; %bb.746:                              ;   in Loop: Header=BB71_3 Depth=1
	ds_load_b128 v[32:35], v5 offset:23920
	ds_load_b64 v[36:37], v5 offset:24440
	s_wait_dscnt 0x1
	v_dual_mov_b32 v94, v35 :: v_dual_mov_b32 v95, v34
	s_wait_dscnt 0x0
	v_dual_mul_f32 v93, v37, v33 :: v_dual_mul_f32 v92, v36, v33
	s_delay_alu instid0(VALU_DEP_1) | instskip(NEXT) | instid1(VALU_DEP_2)
	v_xor_b32_e32 v96, 0x80000000, v93
	v_fmac_f32_e32 v92, v37, v32
	s_delay_alu instid0(VALU_DEP_2) | instskip(NEXT) | instid1(VALU_DEP_2)
	v_fmac_f32_e32 v96, v36, v32
	v_pk_mul_f32 v[32:33], v[92:93], v[94:95] op_sel_hi:[0,1]
	s_delay_alu instid0(VALU_DEP_1) | instskip(SKIP_2) | instid1(VALU_DEP_3)
	v_pk_fma_f32 v[36:37], v[96:97], v[34:35], v[32:33] op_sel_hi:[0,1,1]
	v_pk_fma_f32 v[32:33], v[96:97], v[34:35], v[32:33] neg_lo:[0,0,1] neg_hi:[0,0,1]
	v_add_nc_u32_e64 v34, 0x5800, 0
	v_mov_b32_e32 v33, v37
	ds_store_2addr_b64 v34, v[32:33], v[32:33] offset0:175 offset1:238
.LBB71_747:                             ;   in Loop: Header=BB71_3 Depth=1
	s_or_b32 exec_lo, exec_lo, s57
	v_mov_b32_e32 v32, 0
	s_wait_dscnt 0x0
	s_barrier_signal -1
	s_barrier_wait -1
	s_delay_alu instid0(VALU_DEP_1)
	v_mov_b32_e32 v33, v32
	s_and_saveexec_b32 s66, s4
	s_cbranch_execz .LBB71_775
; %bb.748:                              ;   in Loop: Header=BB71_3 Depth=1
	ds_load_b64 v[32:33], v65 offset:16768
	ds_load_b64 v[34:35], v61 offset:16640
	s_wait_dscnt 0x0
	v_dual_mul_f32 v36, v35, v33 :: v_dual_mul_f32 v37, v34, v33
	s_delay_alu instid0(VALU_DEP_1) | instskip(NEXT) | instid1(VALU_DEP_1)
	v_dual_fma_f32 v33, v34, v32, -v36 :: v_dual_fmac_f32 v37, v35, v32
	v_add_f32_e32 v33, 0, v33
	s_delay_alu instid0(VALU_DEP_2) | instskip(SKIP_3) | instid1(SALU_CYCLE_1)
	v_add_f32_e32 v32, 0, v37
	s_mov_b32 s57, exec_lo
	v_readlane_b32 s58, v102, 31
	s_and_b32 s58, s57, s58
	s_mov_b32 exec_lo, s58
	s_cbranch_execz .LBB71_750
; %bb.749:                              ;   in Loop: Header=BB71_3 Depth=1
	ds_load_b64 v[34:35], v66 offset:17280
	ds_load_b64 v[36:37], v61 offset:16648
	s_wait_dscnt 0x0
	v_dual_mul_f32 v92, v37, v35 :: v_dual_mul_f32 v35, v36, v35
	s_delay_alu instid0(VALU_DEP_1) | instskip(NEXT) | instid1(VALU_DEP_1)
	v_dual_fma_f32 v36, v36, v34, -v92 :: v_dual_fmac_f32 v35, v37, v34
	v_dual_add_f32 v33, v33, v36 :: v_dual_add_f32 v32, v32, v35
.LBB71_750:                             ;   in Loop: Header=BB71_3 Depth=1
	s_or_b32 exec_lo, exec_lo, s57
	s_delay_alu instid0(SALU_CYCLE_1) | instskip(SKIP_2) | instid1(SALU_CYCLE_1)
	s_mov_b32 s57, exec_lo
	v_readlane_b32 s58, v101, 0
	s_and_b32 s58, s57, s58
	s_mov_b32 exec_lo, s58
	s_cbranch_execz .LBB71_752
; %bb.751:                              ;   in Loop: Header=BB71_3 Depth=1
	ds_load_b64 v[34:35], v66 offset:17792
	ds_load_b64 v[36:37], v61 offset:16656
	s_wait_dscnt 0x0
	v_dual_mul_f32 v92, v37, v35 :: v_dual_mul_f32 v35, v36, v35
	s_delay_alu instid0(VALU_DEP_1) | instskip(NEXT) | instid1(VALU_DEP_1)
	v_dual_fma_f32 v36, v36, v34, -v92 :: v_dual_fmac_f32 v35, v37, v34
	v_dual_add_f32 v33, v33, v36 :: v_dual_add_f32 v32, v32, v35
.LBB71_752:                             ;   in Loop: Header=BB71_3 Depth=1
	s_or_b32 exec_lo, exec_lo, s57
	s_delay_alu instid0(SALU_CYCLE_1) | instskip(SKIP_2) | instid1(SALU_CYCLE_1)
	;; [unrolled: 16-line block ×10, first 2 shown]
	s_mov_b32 s57, exec_lo
	v_readlane_b32 s58, v101, 9
	s_and_b32 s58, s57, s58
	s_mov_b32 exec_lo, s58
	s_cbranch_execnz .LBB71_1146
; %bb.769:                              ;   in Loop: Header=BB71_3 Depth=1
	s_or_b32 exec_lo, exec_lo, s57
	s_and_saveexec_b32 s57, s3
	s_cbranch_execnz .LBB71_1147
.LBB71_770:                             ;   in Loop: Header=BB71_3 Depth=1
	s_or_b32 exec_lo, exec_lo, s57
	s_and_saveexec_b32 s57, s19
	s_cbranch_execnz .LBB71_1148
.LBB71_771:                             ;   in Loop: Header=BB71_3 Depth=1
	s_or_b32 exec_lo, exec_lo, s57
	s_and_saveexec_b32 s57, s21
	s_cbranch_execnz .LBB71_1149
.LBB71_772:                             ;   in Loop: Header=BB71_3 Depth=1
	s_or_b32 exec_lo, exec_lo, s57
	s_and_saveexec_b32 s57, s2
	s_cbranch_execz .LBB71_774
.LBB71_773:                             ;   in Loop: Header=BB71_3 Depth=1
	ds_load_b64 v[34:35], v41 offset:24448
	ds_load_b64 v[36:37], v5 offset:16760
	s_wait_dscnt 0x0
	v_pk_mul_f32 v[92:93], v[36:37], v[34:35] op_sel:[0,1]
	s_delay_alu instid0(VALU_DEP_1) | instskip(SKIP_1) | instid1(VALU_DEP_2)
	v_pk_fma_f32 v[94:95], v[36:37], v[34:35], v[92:93] op_sel:[1,0,0] op_sel_hi:[0,0,1] neg_lo:[0,0,1] neg_hi:[0,0,1]
	v_pk_fma_f32 v[34:35], v[36:37], v[34:35], v[92:93] op_sel:[1,0,0] op_sel_hi:[0,1,1]
	v_mov_b32_e32 v35, v95
	s_delay_alu instid0(VALU_DEP_1)
	v_pk_add_f32 v[32:33], v[32:33], v[34:35]
.LBB71_774:                             ;   in Loop: Header=BB71_3 Depth=1
	s_or_b32 exec_lo, exec_lo, s57
	s_delay_alu instid0(VALU_DEP_1) | instskip(NEXT) | instid1(VALU_DEP_1)
	v_pk_add_f32 v[34:35], v[32:33], 0 neg_lo:[1,1] neg_hi:[1,1]
	v_dual_mov_b32 v32, v35 :: v_dual_mov_b32 v33, v34
.LBB71_775:                             ;   in Loop: Header=BB71_3 Depth=1
	s_or_b32 exec_lo, exec_lo, s66
	s_delay_alu instid0(SALU_CYCLE_1) | instskip(SKIP_2) | instid1(SALU_CYCLE_1)
	s_mov_b32 s57, exec_lo
	v_readlane_b32 s58, v102, 5
	s_and_b32 s58, s57, s58
	s_mov_b32 exec_lo, s58
	s_cbranch_execz .LBB71_777
; %bb.776:                              ;   in Loop: Header=BB71_3 Depth=1
	ds_load_b64 v[34:35], v5 offset:24960
	v_dual_mov_b32 v36, v33 :: v_dual_mov_b32 v37, v32
	s_wait_dscnt 0x0
	s_delay_alu instid0(VALU_DEP_1) | instskip(NEXT) | instid1(VALU_DEP_1)
	v_dual_mul_f32 v92, v36, v34 :: v_dual_mul_f32 v94, v33, v35
	v_pk_fma_f32 v[36:37], v[36:37], v[34:35], v[92:93] op_sel_hi:[1,1,0]
	s_delay_alu instid0(VALU_DEP_2) | instskip(NEXT) | instid1(VALU_DEP_2)
	v_pk_fma_f32 v[32:33], v[32:33], v[34:35], v[94:95] op_sel_hi:[1,1,0] neg_lo:[0,0,1] neg_hi:[0,0,1]
	v_mov_b32_e32 v33, v37
	ds_store_b64 v64, v[32:33]
.LBB71_777:                             ;   in Loop: Header=BB71_3 Depth=1
	s_or_b32 exec_lo, exec_lo, s57
	s_wait_dscnt 0x0
	s_barrier_signal -1
	s_barrier_wait -1
	s_mov_b32 s57, exec_lo
	v_readlane_b32 s58, v102, 6
	s_and_b32 s58, s57, s58
	s_delay_alu instid0(SALU_CYCLE_1)
	s_mov_b32 exec_lo, s58
	s_cbranch_execz .LBB71_779
; %bb.778:                              ;   in Loop: Header=BB71_3 Depth=1
	ds_load_b64 v[34:35], v63 offset:24960
	ds_load_b64 v[36:37], v64
	s_wait_dscnt 0x0
	v_dual_mul_f32 v92, v37, v35 :: v_dual_mul_f32 v93, v36, v35
	s_delay_alu instid0(VALU_DEP_1) | instskip(NEXT) | instid1(VALU_DEP_1)
	v_dual_fma_f32 v92, v36, v34, -v92 :: v_dual_fmac_f32 v93, v37, v34
	v_pk_add_f32 v[32:33], v[32:33], v[92:93]
.LBB71_779:                             ;   in Loop: Header=BB71_3 Depth=1
	s_or_b32 exec_lo, exec_lo, s57
	s_barrier_signal -1
	s_barrier_wait -1
	s_mov_b32 s57, exec_lo
	v_readlane_b32 s58, v102, 7
	s_and_b32 s58, s57, s58
	s_delay_alu instid0(SALU_CYCLE_1)
	s_mov_b32 exec_lo, s58
	s_cbranch_execz .LBB71_781
; %bb.780:                              ;   in Loop: Header=BB71_3 Depth=1
	ds_load_b64 v[34:35], v5 offset:25480
	s_wait_dscnt 0x0
	v_pk_mul_f32 v[36:37], v[32:33], v[34:35] op_sel:[1,1] op_sel_hi:[1,0]
	s_delay_alu instid0(VALU_DEP_1) | instskip(SKIP_1) | instid1(VALU_DEP_2)
	v_pk_fma_f32 v[92:93], v[32:33], v[34:35], v[36:37] op_sel_hi:[0,1,1]
	v_pk_fma_f32 v[32:33], v[32:33], v[34:35], v[36:37] op_sel_hi:[0,1,1] neg_lo:[0,0,1] neg_hi:[0,0,1]
	v_mov_b32_e32 v33, v93
	ds_store_b64 v64, v[32:33]
.LBB71_781:                             ;   in Loop: Header=BB71_3 Depth=1
	s_or_b32 exec_lo, exec_lo, s57
	s_wait_dscnt 0x0
	s_barrier_signal -1
	s_barrier_wait -1
	s_mov_b32 s57, exec_lo
	v_readlane_b32 s58, v102, 8
	s_and_b32 s58, s57, s58
	s_delay_alu instid0(SALU_CYCLE_1)
	s_mov_b32 exec_lo, s58
	s_cbranch_execz .LBB71_783
; %bb.782:                              ;   in Loop: Header=BB71_3 Depth=1
	ds_load_b64 v[34:35], v63 offset:25472
	ds_load_b64 v[36:37], v64
	s_wait_dscnt 0x0
	v_pk_mul_f32 v[92:93], v[36:37], v[34:35] op_sel:[1,1] op_sel_hi:[0,1]
	s_delay_alu instid0(VALU_DEP_1) | instskip(SKIP_1) | instid1(VALU_DEP_2)
	v_pk_fma_f32 v[94:95], v[36:37], v[34:35], v[92:93] op_sel_hi:[1,0,1]
	v_pk_fma_f32 v[34:35], v[36:37], v[34:35], v[92:93] op_sel_hi:[1,0,1] neg_lo:[0,0,1] neg_hi:[0,0,1]
	v_mov_b32_e32 v35, v95
	s_delay_alu instid0(VALU_DEP_1)
	v_pk_add_f32 v[32:33], v[32:33], v[34:35]
.LBB71_783:                             ;   in Loop: Header=BB71_3 Depth=1
	s_or_b32 exec_lo, exec_lo, s57
	s_barrier_signal -1
	s_barrier_wait -1
	s_mov_b32 s57, exec_lo
	v_readlane_b32 s58, v102, 9
	s_and_b32 s58, s57, s58
	s_delay_alu instid0(SALU_CYCLE_1)
	s_mov_b32 exec_lo, s58
	s_cbranch_execz .LBB71_785
; %bb.784:                              ;   in Loop: Header=BB71_3 Depth=1
	ds_load_b64 v[34:35], v5 offset:26000
	s_wait_dscnt 0x0
	v_pk_mul_f32 v[36:37], v[32:33], v[34:35] op_sel:[1,1] op_sel_hi:[1,0]
	s_delay_alu instid0(VALU_DEP_1) | instskip(SKIP_1) | instid1(VALU_DEP_2)
	v_pk_fma_f32 v[92:93], v[32:33], v[34:35], v[36:37] op_sel_hi:[0,1,1]
	v_pk_fma_f32 v[32:33], v[32:33], v[34:35], v[36:37] op_sel_hi:[0,1,1] neg_lo:[0,0,1] neg_hi:[0,0,1]
	v_mov_b32_e32 v33, v93
	ds_store_b64 v64, v[32:33]
.LBB71_785:                             ;   in Loop: Header=BB71_3 Depth=1
	s_or_b32 exec_lo, exec_lo, s57
	s_wait_dscnt 0x0
	s_barrier_signal -1
	s_barrier_wait -1
	s_and_saveexec_b32 s57, s61
	s_cbranch_execz .LBB71_787
; %bb.786:                              ;   in Loop: Header=BB71_3 Depth=1
	ds_load_b64 v[34:35], v63 offset:25984
	ds_load_b64 v[36:37], v64
	s_wait_dscnt 0x0
	v_pk_mul_f32 v[92:93], v[36:37], v[34:35] op_sel:[1,1] op_sel_hi:[0,1]
	s_delay_alu instid0(VALU_DEP_1) | instskip(SKIP_1) | instid1(VALU_DEP_2)
	v_pk_fma_f32 v[94:95], v[36:37], v[34:35], v[92:93] op_sel_hi:[1,0,1]
	v_pk_fma_f32 v[34:35], v[36:37], v[34:35], v[92:93] op_sel_hi:[1,0,1] neg_lo:[0,0,1] neg_hi:[0,0,1]
	v_mov_b32_e32 v35, v95
	s_delay_alu instid0(VALU_DEP_1)
	v_pk_add_f32 v[32:33], v[32:33], v[34:35]
.LBB71_787:                             ;   in Loop: Header=BB71_3 Depth=1
	s_or_b32 exec_lo, exec_lo, s57
	s_barrier_signal -1
	s_barrier_wait -1
	s_and_saveexec_b32 s57, s62
	s_cbranch_execz .LBB71_789
; %bb.788:                              ;   in Loop: Header=BB71_3 Depth=1
	ds_load_b64 v[34:35], v5 offset:26520
	s_wait_dscnt 0x0
	v_pk_mul_f32 v[36:37], v[32:33], v[34:35] op_sel:[1,1] op_sel_hi:[1,0]
	s_delay_alu instid0(VALU_DEP_1) | instskip(SKIP_1) | instid1(VALU_DEP_2)
	v_pk_fma_f32 v[92:93], v[32:33], v[34:35], v[36:37] op_sel_hi:[0,1,1]
	v_pk_fma_f32 v[32:33], v[32:33], v[34:35], v[36:37] op_sel_hi:[0,1,1] neg_lo:[0,0,1] neg_hi:[0,0,1]
	v_mov_b32_e32 v33, v93
	ds_store_b64 v64, v[32:33]
.LBB71_789:                             ;   in Loop: Header=BB71_3 Depth=1
	s_or_b32 exec_lo, exec_lo, s57
	s_wait_dscnt 0x0
	s_barrier_signal -1
	s_barrier_wait -1
	s_and_saveexec_b32 s57, s63
	s_cbranch_execz .LBB71_791
; %bb.790:                              ;   in Loop: Header=BB71_3 Depth=1
	ds_load_b64 v[34:35], v63 offset:26496
	ds_load_b64 v[36:37], v64
	s_wait_dscnt 0x0
	v_pk_mul_f32 v[92:93], v[36:37], v[34:35] op_sel:[1,1] op_sel_hi:[0,1]
	s_delay_alu instid0(VALU_DEP_1) | instskip(SKIP_1) | instid1(VALU_DEP_2)
	v_pk_fma_f32 v[94:95], v[36:37], v[34:35], v[92:93] op_sel_hi:[1,0,1]
	v_pk_fma_f32 v[34:35], v[36:37], v[34:35], v[92:93] op_sel_hi:[1,0,1] neg_lo:[0,0,1] neg_hi:[0,0,1]
	v_mov_b32_e32 v35, v95
	s_delay_alu instid0(VALU_DEP_1)
	v_pk_add_f32 v[32:33], v[32:33], v[34:35]
.LBB71_791:                             ;   in Loop: Header=BB71_3 Depth=1
	s_or_b32 exec_lo, exec_lo, s57
	s_barrier_signal -1
	s_barrier_wait -1
	s_and_saveexec_b32 s57, s64
	s_cbranch_execz .LBB71_793
; %bb.792:                              ;   in Loop: Header=BB71_3 Depth=1
	ds_load_b64 v[34:35], v5 offset:27040
	s_wait_dscnt 0x0
	v_dual_mul_f32 v36, v32, v35 :: v_dual_mul_f32 v92, v33, v35
	s_delay_alu instid0(VALU_DEP_1) | instskip(NEXT) | instid1(VALU_DEP_2)
	v_pk_fma_f32 v[36:37], v[32:33], v[34:35], v[36:37] op_sel:[0,1,0] op_sel_hi:[1,0,0]
	v_pk_fma_f32 v[34:35], v[32:33], v[34:35], v[92:93] op_sel_hi:[1,1,0] neg_lo:[0,0,1] neg_hi:[0,0,1]
	s_delay_alu instid0(VALU_DEP_2) | instskip(NEXT) | instid1(VALU_DEP_1)
	v_mov_b32_e32 v35, v37
	v_mov_b64_e32 v[32:33], v[34:35]
	ds_store_b64 v64, v[34:35]
.LBB71_793:                             ;   in Loop: Header=BB71_3 Depth=1
	s_or_b32 exec_lo, exec_lo, s57
	s_wait_dscnt 0x0
	s_barrier_signal -1
	s_barrier_wait -1
	s_and_saveexec_b32 s57, s65
	s_cbranch_execz .LBB71_795
; %bb.794:                              ;   in Loop: Header=BB71_3 Depth=1
	ds_load_b64 v[34:35], v63 offset:27008
	ds_load_b64 v[36:37], v64
	s_wait_dscnt 0x0
	v_dual_mul_f32 v92, v37, v35 :: v_dual_mul_f32 v93, v36, v35
	s_delay_alu instid0(VALU_DEP_1) | instskip(NEXT) | instid1(VALU_DEP_1)
	v_dual_fma_f32 v92, v36, v34, -v92 :: v_dual_fmac_f32 v93, v37, v34
	v_pk_add_f32 v[32:33], v[32:33], v[92:93]
.LBB71_795:                             ;   in Loop: Header=BB71_3 Depth=1
	s_or_b32 exec_lo, exec_lo, s57
	s_barrier_signal -1
	s_barrier_wait -1
	s_and_saveexec_b32 s57, s12
	s_cbranch_execz .LBB71_797
; %bb.796:                              ;   in Loop: Header=BB71_3 Depth=1
	ds_load_b64 v[34:35], v5 offset:27560
	s_wait_dscnt 0x0
	v_pk_mul_f32 v[36:37], v[32:33], v[34:35] op_sel:[1,1] op_sel_hi:[1,0]
	s_delay_alu instid0(VALU_DEP_1) | instskip(SKIP_1) | instid1(VALU_DEP_2)
	v_pk_fma_f32 v[92:93], v[32:33], v[34:35], v[36:37] op_sel_hi:[0,1,1]
	v_pk_fma_f32 v[32:33], v[32:33], v[34:35], v[36:37] op_sel_hi:[0,1,1] neg_lo:[0,0,1] neg_hi:[0,0,1]
	v_mov_b32_e32 v33, v93
	ds_store_b64 v64, v[32:33]
.LBB71_797:                             ;   in Loop: Header=BB71_3 Depth=1
	s_or_b32 exec_lo, exec_lo, s57
	s_wait_dscnt 0x0
	s_barrier_signal -1
	s_barrier_wait -1
	s_and_saveexec_b32 s57, s13
	s_cbranch_execz .LBB71_799
; %bb.798:                              ;   in Loop: Header=BB71_3 Depth=1
	ds_load_b64 v[34:35], v63 offset:27520
	ds_load_b64 v[36:37], v64
	s_wait_dscnt 0x0
	v_pk_mul_f32 v[92:93], v[36:37], v[34:35] op_sel:[1,1] op_sel_hi:[0,1]
	s_delay_alu instid0(VALU_DEP_1) | instskip(SKIP_1) | instid1(VALU_DEP_2)
	v_pk_fma_f32 v[94:95], v[36:37], v[34:35], v[92:93] op_sel_hi:[1,0,1]
	v_pk_fma_f32 v[34:35], v[36:37], v[34:35], v[92:93] op_sel_hi:[1,0,1] neg_lo:[0,0,1] neg_hi:[0,0,1]
	v_mov_b32_e32 v35, v95
	s_delay_alu instid0(VALU_DEP_1)
	v_pk_add_f32 v[32:33], v[32:33], v[34:35]
.LBB71_799:                             ;   in Loop: Header=BB71_3 Depth=1
	s_or_b32 exec_lo, exec_lo, s57
	s_barrier_signal -1
	s_barrier_wait -1
	s_and_saveexec_b32 s57, s23
	s_cbranch_execz .LBB71_801
; %bb.800:                              ;   in Loop: Header=BB71_3 Depth=1
	ds_load_b64 v[34:35], v5 offset:28080
	s_wait_dscnt 0x0
	v_pk_mul_f32 v[36:37], v[32:33], v[34:35] op_sel:[1,1] op_sel_hi:[1,0]
	s_delay_alu instid0(VALU_DEP_1) | instskip(SKIP_1) | instid1(VALU_DEP_2)
	v_pk_fma_f32 v[92:93], v[32:33], v[34:35], v[36:37] op_sel_hi:[0,1,1]
	v_pk_fma_f32 v[32:33], v[32:33], v[34:35], v[36:37] op_sel_hi:[0,1,1] neg_lo:[0,0,1] neg_hi:[0,0,1]
	v_mov_b32_e32 v33, v93
	ds_store_b64 v64, v[32:33]
.LBB71_801:                             ;   in Loop: Header=BB71_3 Depth=1
	s_or_b32 exec_lo, exec_lo, s57
	s_wait_dscnt 0x0
	s_barrier_signal -1
	s_barrier_wait -1
	s_and_saveexec_b32 s57, s25
	s_cbranch_execz .LBB71_803
; %bb.802:                              ;   in Loop: Header=BB71_3 Depth=1
	ds_load_b64 v[34:35], v63 offset:28032
	ds_load_b64 v[36:37], v64
	s_wait_dscnt 0x0
	v_pk_mul_f32 v[92:93], v[36:37], v[34:35] op_sel:[1,1] op_sel_hi:[0,1]
	s_delay_alu instid0(VALU_DEP_1) | instskip(SKIP_1) | instid1(VALU_DEP_2)
	v_pk_fma_f32 v[94:95], v[36:37], v[34:35], v[92:93] op_sel_hi:[1,0,1]
	v_pk_fma_f32 v[34:35], v[36:37], v[34:35], v[92:93] op_sel_hi:[1,0,1] neg_lo:[0,0,1] neg_hi:[0,0,1]
	v_mov_b32_e32 v35, v95
	s_delay_alu instid0(VALU_DEP_1)
	v_pk_add_f32 v[32:33], v[32:33], v[34:35]
.LBB71_803:                             ;   in Loop: Header=BB71_3 Depth=1
	;; [unrolled: 33-line block ×3, first 2 shown]
	s_or_b32 exec_lo, exec_lo, s57
	s_barrier_signal -1
	s_barrier_wait -1
	s_and_saveexec_b32 s57, s31
	s_cbranch_execz .LBB71_809
; %bb.808:                              ;   in Loop: Header=BB71_3 Depth=1
	ds_load_b64 v[34:35], v5 offset:29120
	s_wait_dscnt 0x0
	v_dual_mul_f32 v36, v32, v35 :: v_dual_mul_f32 v92, v33, v35
	s_delay_alu instid0(VALU_DEP_1) | instskip(NEXT) | instid1(VALU_DEP_2)
	v_pk_fma_f32 v[36:37], v[32:33], v[34:35], v[36:37] op_sel:[0,1,0] op_sel_hi:[1,0,0]
	v_pk_fma_f32 v[34:35], v[32:33], v[34:35], v[92:93] op_sel_hi:[1,1,0] neg_lo:[0,0,1] neg_hi:[0,0,1]
	s_delay_alu instid0(VALU_DEP_2) | instskip(NEXT) | instid1(VALU_DEP_1)
	v_mov_b32_e32 v35, v37
	v_mov_b64_e32 v[32:33], v[34:35]
	ds_store_b64 v64, v[34:35]
.LBB71_809:                             ;   in Loop: Header=BB71_3 Depth=1
	s_or_b32 exec_lo, exec_lo, s57
	s_wait_dscnt 0x0
	s_barrier_signal -1
	s_barrier_wait -1
	s_and_saveexec_b32 s57, s34
	s_cbranch_execz .LBB71_811
; %bb.810:                              ;   in Loop: Header=BB71_3 Depth=1
	ds_load_b64 v[34:35], v63 offset:29056
	ds_load_b64 v[36:37], v64
	s_wait_dscnt 0x0
	v_dual_mul_f32 v92, v37, v35 :: v_dual_mul_f32 v93, v36, v35
	s_delay_alu instid0(VALU_DEP_1) | instskip(NEXT) | instid1(VALU_DEP_1)
	v_dual_fma_f32 v92, v36, v34, -v92 :: v_dual_fmac_f32 v93, v37, v34
	v_pk_add_f32 v[32:33], v[32:33], v[92:93]
.LBB71_811:                             ;   in Loop: Header=BB71_3 Depth=1
	s_or_b32 exec_lo, exec_lo, s57
	s_barrier_signal -1
	s_barrier_wait -1
	s_and_saveexec_b32 s57, s88
	s_cbranch_execz .LBB71_813
; %bb.812:                              ;   in Loop: Header=BB71_3 Depth=1
	ds_load_b64 v[34:35], v5 offset:29640
	s_wait_dscnt 0x0
	v_pk_mul_f32 v[36:37], v[32:33], v[34:35] op_sel:[1,1] op_sel_hi:[1,0]
	s_delay_alu instid0(VALU_DEP_1) | instskip(SKIP_1) | instid1(VALU_DEP_2)
	v_pk_fma_f32 v[92:93], v[32:33], v[34:35], v[36:37] op_sel_hi:[0,1,1]
	v_pk_fma_f32 v[32:33], v[32:33], v[34:35], v[36:37] op_sel_hi:[0,1,1] neg_lo:[0,0,1] neg_hi:[0,0,1]
	v_mov_b32_e32 v33, v93
	ds_store_b64 v64, v[32:33]
.LBB71_813:                             ;   in Loop: Header=BB71_3 Depth=1
	s_or_b32 exec_lo, exec_lo, s57
	s_wait_dscnt 0x0
	s_barrier_signal -1
	s_barrier_wait -1
	s_and_saveexec_b32 s57, s89
	s_cbranch_execz .LBB71_815
; %bb.814:                              ;   in Loop: Header=BB71_3 Depth=1
	ds_load_b64 v[34:35], v63 offset:29568
	ds_load_b64 v[36:37], v64
	s_wait_dscnt 0x0
	v_pk_mul_f32 v[92:93], v[36:37], v[34:35] op_sel:[1,1] op_sel_hi:[0,1]
	s_delay_alu instid0(VALU_DEP_1) | instskip(SKIP_1) | instid1(VALU_DEP_2)
	v_pk_fma_f32 v[94:95], v[36:37], v[34:35], v[92:93] op_sel_hi:[1,0,1]
	v_pk_fma_f32 v[34:35], v[36:37], v[34:35], v[92:93] op_sel_hi:[1,0,1] neg_lo:[0,0,1] neg_hi:[0,0,1]
	v_mov_b32_e32 v35, v95
	s_delay_alu instid0(VALU_DEP_1)
	v_pk_add_f32 v[32:33], v[32:33], v[34:35]
.LBB71_815:                             ;   in Loop: Header=BB71_3 Depth=1
	s_or_b32 exec_lo, exec_lo, s57
	s_barrier_signal -1
	s_barrier_wait -1
	s_and_saveexec_b32 s57, s86
	s_cbranch_execz .LBB71_817
; %bb.816:                              ;   in Loop: Header=BB71_3 Depth=1
	ds_load_b64 v[34:35], v5 offset:30160
	s_wait_dscnt 0x0
	v_pk_mul_f32 v[36:37], v[32:33], v[34:35] op_sel:[1,1] op_sel_hi:[1,0]
	s_delay_alu instid0(VALU_DEP_1) | instskip(SKIP_1) | instid1(VALU_DEP_2)
	v_pk_fma_f32 v[92:93], v[32:33], v[34:35], v[36:37] op_sel_hi:[0,1,1]
	v_pk_fma_f32 v[32:33], v[32:33], v[34:35], v[36:37] op_sel_hi:[0,1,1] neg_lo:[0,0,1] neg_hi:[0,0,1]
	v_mov_b32_e32 v33, v93
	ds_store_b64 v64, v[32:33]
.LBB71_817:                             ;   in Loop: Header=BB71_3 Depth=1
	s_or_b32 exec_lo, exec_lo, s57
	s_wait_dscnt 0x0
	s_barrier_signal -1
	s_barrier_wait -1
	s_and_saveexec_b32 s57, s87
	s_cbranch_execz .LBB71_819
; %bb.818:                              ;   in Loop: Header=BB71_3 Depth=1
	ds_load_b64 v[34:35], v63 offset:30080
	ds_load_b64 v[36:37], v64
	s_wait_dscnt 0x0
	v_pk_mul_f32 v[92:93], v[36:37], v[34:35] op_sel:[1,1] op_sel_hi:[0,1]
	s_delay_alu instid0(VALU_DEP_1) | instskip(SKIP_1) | instid1(VALU_DEP_2)
	v_pk_fma_f32 v[94:95], v[36:37], v[34:35], v[92:93] op_sel_hi:[1,0,1]
	v_pk_fma_f32 v[34:35], v[36:37], v[34:35], v[92:93] op_sel_hi:[1,0,1] neg_lo:[0,0,1] neg_hi:[0,0,1]
	v_mov_b32_e32 v35, v95
	s_delay_alu instid0(VALU_DEP_1)
	v_pk_add_f32 v[32:33], v[32:33], v[34:35]
.LBB71_819:                             ;   in Loop: Header=BB71_3 Depth=1
	;; [unrolled: 33-line block ×3, first 2 shown]
	s_or_b32 exec_lo, exec_lo, s57
	s_barrier_signal -1
	s_barrier_wait -1
	s_and_saveexec_b32 s57, s10
	s_cbranch_execz .LBB71_825
; %bb.824:                              ;   in Loop: Header=BB71_3 Depth=1
	ds_load_b64 v[34:35], v5 offset:31200
	s_wait_dscnt 0x0
	v_dual_mul_f32 v36, v32, v35 :: v_dual_mul_f32 v92, v33, v35
	s_delay_alu instid0(VALU_DEP_1) | instskip(NEXT) | instid1(VALU_DEP_2)
	v_pk_fma_f32 v[36:37], v[32:33], v[34:35], v[36:37] op_sel:[0,1,0] op_sel_hi:[1,0,0]
	v_pk_fma_f32 v[34:35], v[32:33], v[34:35], v[92:93] op_sel_hi:[1,1,0] neg_lo:[0,0,1] neg_hi:[0,0,1]
	s_delay_alu instid0(VALU_DEP_2) | instskip(NEXT) | instid1(VALU_DEP_1)
	v_mov_b32_e32 v35, v37
	v_mov_b64_e32 v[32:33], v[34:35]
	ds_store_b64 v64, v[34:35]
.LBB71_825:                             ;   in Loop: Header=BB71_3 Depth=1
	s_or_b32 exec_lo, exec_lo, s57
	s_wait_dscnt 0x0
	s_barrier_signal -1
	s_barrier_wait -1
	s_and_saveexec_b32 s57, s11
	s_cbranch_execz .LBB71_827
; %bb.826:                              ;   in Loop: Header=BB71_3 Depth=1
	ds_load_b64 v[34:35], v63 offset:31104
	ds_load_b64 v[36:37], v64
	s_wait_dscnt 0x0
	v_dual_mul_f32 v92, v37, v35 :: v_dual_mul_f32 v93, v36, v35
	s_delay_alu instid0(VALU_DEP_1) | instskip(NEXT) | instid1(VALU_DEP_1)
	v_dual_fma_f32 v92, v36, v34, -v92 :: v_dual_fmac_f32 v93, v37, v34
	v_pk_add_f32 v[32:33], v[32:33], v[92:93]
.LBB71_827:                             ;   in Loop: Header=BB71_3 Depth=1
	s_or_b32 exec_lo, exec_lo, s57
	s_barrier_signal -1
	s_barrier_wait -1
	s_and_saveexec_b32 s57, s26
	s_cbranch_execz .LBB71_829
; %bb.828:                              ;   in Loop: Header=BB71_3 Depth=1
	ds_load_b64 v[34:35], v5 offset:31720
	s_wait_dscnt 0x0
	v_pk_mul_f32 v[36:37], v[32:33], v[34:35] op_sel:[1,1] op_sel_hi:[1,0]
	s_delay_alu instid0(VALU_DEP_1) | instskip(SKIP_1) | instid1(VALU_DEP_2)
	v_pk_fma_f32 v[92:93], v[32:33], v[34:35], v[36:37] op_sel_hi:[0,1,1]
	v_pk_fma_f32 v[34:35], v[32:33], v[34:35], v[36:37] neg_lo:[0,0,1] neg_hi:[0,0,1]
	v_mov_b32_e32 v35, v93
	s_delay_alu instid0(VALU_DEP_1)
	v_mov_b64_e32 v[32:33], v[34:35]
	ds_store_b64 v64, v[34:35]
.LBB71_829:                             ;   in Loop: Header=BB71_3 Depth=1
	s_or_b32 exec_lo, exec_lo, s57
	s_wait_dscnt 0x0
	s_barrier_signal -1
	s_barrier_wait -1
	s_and_saveexec_b32 s57, s28
	s_cbranch_execz .LBB71_831
; %bb.830:                              ;   in Loop: Header=BB71_3 Depth=1
	ds_load_b64 v[34:35], v63 offset:31616
	ds_load_b64 v[36:37], v64
	s_wait_dscnt 0x0
	v_pk_mul_f32 v[92:93], v[36:37], v[34:35] op_sel:[1,1] op_sel_hi:[0,1]
	s_delay_alu instid0(VALU_DEP_1) | instskip(SKIP_1) | instid1(VALU_DEP_2)
	v_pk_fma_f32 v[94:95], v[36:37], v[34:35], v[92:93] op_sel_hi:[1,0,1]
	v_pk_fma_f32 v[34:35], v[36:37], v[34:35], v[92:93] neg_lo:[0,0,1] neg_hi:[0,0,1]
	v_mov_b32_e32 v35, v95
	s_delay_alu instid0(VALU_DEP_1)
	v_pk_add_f32 v[32:33], v[32:33], v[34:35]
.LBB71_831:                             ;   in Loop: Header=BB71_3 Depth=1
	s_or_b32 exec_lo, exec_lo, s57
	s_barrier_signal -1
	s_barrier_wait -1
	s_and_saveexec_b32 s57, s30
	s_cbranch_execz .LBB71_833
; %bb.832:                              ;   in Loop: Header=BB71_3 Depth=1
	ds_load_b64 v[34:35], v5 offset:32240
	s_wait_dscnt 0x0
	v_pk_mul_f32 v[36:37], v[32:33], v[34:35] op_sel:[1,1] op_sel_hi:[1,0]
	s_delay_alu instid0(VALU_DEP_1) | instskip(SKIP_1) | instid1(VALU_DEP_2)
	v_pk_fma_f32 v[92:93], v[32:33], v[34:35], v[36:37] op_sel_hi:[0,1,1]
	v_pk_fma_f32 v[34:35], v[32:33], v[34:35], v[36:37] neg_lo:[0,0,1] neg_hi:[0,0,1]
	v_mov_b32_e32 v35, v93
	s_delay_alu instid0(VALU_DEP_1)
	v_mov_b64_e32 v[32:33], v[34:35]
	ds_store_b64 v64, v[34:35]
.LBB71_833:                             ;   in Loop: Header=BB71_3 Depth=1
	s_or_b32 exec_lo, exec_lo, s57
	s_wait_dscnt 0x0
	s_barrier_signal -1
	s_barrier_wait -1
	s_and_saveexec_b32 s57, s33
	s_cbranch_execz .LBB71_835
; %bb.834:                              ;   in Loop: Header=BB71_3 Depth=1
	ds_load_b64 v[34:35], v5 offset:32248
	ds_load_b64 v[36:37], v64
	s_wait_dscnt 0x0
	v_pk_mul_f32 v[92:93], v[36:37], v[34:35] op_sel:[1,1] op_sel_hi:[0,1]
	s_delay_alu instid0(VALU_DEP_1) | instskip(SKIP_1) | instid1(VALU_DEP_2)
	v_pk_fma_f32 v[94:95], v[36:37], v[34:35], v[92:93] op_sel_hi:[1,0,1]
	v_pk_fma_f32 v[34:35], v[36:37], v[34:35], v[92:93] neg_lo:[0,0,1] neg_hi:[0,0,1]
	v_mov_b32_e32 v35, v95
	s_delay_alu instid0(VALU_DEP_1)
	v_pk_add_f32 v[32:33], v[32:33], v[34:35]
.LBB71_835:                             ;   in Loop: Header=BB71_3 Depth=1
	s_or_b32 exec_lo, exec_lo, s57
	s_barrier_signal -1
	s_barrier_wait -1
	s_and_saveexec_b32 s57, s33
	s_cbranch_execz .LBB71_837
; %bb.836:                              ;   in Loop: Header=BB71_3 Depth=1
	ds_load_b64 v[34:35], v5 offset:32760
	s_wait_dscnt 0x0
	v_pk_mul_f32 v[36:37], v[32:33], v[34:35] op_sel:[1,1] op_sel_hi:[1,0]
	s_delay_alu instid0(VALU_DEP_1) | instskip(SKIP_1) | instid1(VALU_DEP_2)
	v_pk_fma_f32 v[92:93], v[32:33], v[34:35], v[36:37] op_sel_hi:[0,1,1]
	v_pk_fma_f32 v[34:35], v[32:33], v[34:35], v[36:37] neg_lo:[0,0,1] neg_hi:[0,0,1]
	v_mov_b32_e32 v35, v93
	s_delay_alu instid0(VALU_DEP_1)
	v_mov_b64_e32 v[32:33], v[34:35]
	ds_store_b64 v64, v[34:35]
.LBB71_837:                             ;   in Loop: Header=BB71_3 Depth=1
	s_or_b32 exec_lo, exec_lo, s57
	s_wait_dscnt 0x0
	s_barrier_signal -1
	s_barrier_wait -1
	s_barrier_signal -1
	s_barrier_wait -1
	s_and_saveexec_b32 s57, s4
; %bb.838:                              ;   in Loop: Header=BB71_3 Depth=1
	v_pk_add_f32 v[32:33], v[32:33], 0 neg_lo:[1,1] neg_hi:[1,1]
	ds_store_b64 v65, v[32:33] offset:16768
; %bb.839:                              ;   in Loop: Header=BB71_3 Depth=1
	s_or_b32 exec_lo, exec_lo, s57
	s_wait_dscnt 0x0
	s_barrier_signal -1
	s_barrier_wait -1
	s_barrier_signal -1
	s_barrier_wait -1
	s_and_saveexec_b32 s57, s96
	s_cbranch_execz .LBB71_841
; %bb.840:                              ;   in Loop: Header=BB71_3 Depth=1
	ds_load_b64 v[32:33], v44 offset:16768
	s_wait_dscnt 0x0
	ds_store_b64 v49, v[32:33] offset:24832
	ds_load_b64 v[32:33], v44 offset:16776
	s_wait_dscnt 0x0
	ds_store_b64 v49, v[32:33] offset:25344
	;; [unrolled: 3-line block ×16, first 2 shown]
.LBB71_841:                             ;   in Loop: Header=BB71_3 Depth=1
	s_or_b32 exec_lo, exec_lo, s57
	s_wait_dscnt 0x0
	s_barrier_signal -1
	s_barrier_wait -1
	s_and_saveexec_b32 s57, s14
	s_cbranch_execz .LBB71_843
; %bb.842:                              ;   in Loop: Header=BB71_3 Depth=1
	ds_load_b128 v[32:35], v5 offset:24960
	ds_load_b64 v[36:37], v5 offset:25480
	s_wait_dscnt 0x1
	v_dual_mov_b32 v94, v35 :: v_dual_mov_b32 v95, v34
	s_wait_dscnt 0x0
	v_dual_mul_f32 v93, v37, v33 :: v_dual_mul_f32 v92, v36, v33
	s_delay_alu instid0(VALU_DEP_1) | instskip(NEXT) | instid1(VALU_DEP_2)
	v_xor_b32_e32 v96, 0x80000000, v93
	v_fmac_f32_e32 v92, v37, v32
	s_delay_alu instid0(VALU_DEP_2) | instskip(NEXT) | instid1(VALU_DEP_2)
	v_fmac_f32_e32 v96, v36, v32
	v_pk_mul_f32 v[32:33], v[92:93], v[94:95] op_sel_hi:[0,1]
	s_delay_alu instid0(VALU_DEP_1) | instskip(SKIP_2) | instid1(VALU_DEP_3)
	v_pk_fma_f32 v[36:37], v[96:97], v[34:35], v[32:33] op_sel_hi:[0,1,1]
	v_pk_fma_f32 v[32:33], v[96:97], v[34:35], v[32:33] neg_lo:[0,0,1] neg_hi:[0,0,1]
	v_add_nc_u32_e64 v34, 0x6000, 0
	v_mov_b32_e32 v33, v37
	ds_store_2addr_b64 v34, v[32:33], v[32:33] offset0:49 offset1:112
.LBB71_843:                             ;   in Loop: Header=BB71_3 Depth=1
	s_or_b32 exec_lo, exec_lo, s57
	v_mov_b32_e32 v33, 0
	s_wait_dscnt 0x0
	s_barrier_signal -1
	s_barrier_wait -1
	s_delay_alu instid0(VALU_DEP_1)
	v_mov_b32_e32 v32, v33
	s_and_saveexec_b32 s57, s0
	s_cbranch_execz .LBB71_847
; %bb.844:                              ;   in Loop: Header=BB71_3 Depth=1
	ds_load_b64 v[32:33], v39 offset:24976
	ds_load_b64 v[34:35], v40 offset:24960
	s_wait_dscnt 0x0
	v_dual_mul_f32 v36, v35, v33 :: v_dual_mul_f32 v37, v34, v33
	s_delay_alu instid0(VALU_DEP_1) | instskip(NEXT) | instid1(VALU_DEP_1)
	v_dual_fma_f32 v36, v34, v32, -v36 :: v_dual_fmac_f32 v37, v35, v32
	v_pk_add_f32 v[32:33], v[36:37], 0 op_sel_hi:[1,0]
	s_and_saveexec_b32 s58, s15
	s_cbranch_execz .LBB71_846
; %bb.845:                              ;   in Loop: Header=BB71_3 Depth=1
	ds_load_b64 v[34:35], v41 offset:25488
	ds_load_b64 v[36:37], v5 offset:24968
	s_wait_dscnt 0x0
	v_pk_mul_f32 v[92:93], v[36:37], v[34:35] op_sel:[1,1] op_sel_hi:[0,1]
	s_delay_alu instid0(VALU_DEP_1) | instskip(SKIP_1) | instid1(VALU_DEP_2)
	v_pk_fma_f32 v[94:95], v[36:37], v[34:35], v[92:93] op_sel_hi:[1,0,1]
	v_pk_fma_f32 v[34:35], v[36:37], v[34:35], v[92:93] neg_lo:[0,0,1] neg_hi:[0,0,1]
	v_mov_b32_e32 v35, v95
	s_delay_alu instid0(VALU_DEP_1)
	v_pk_add_f32 v[32:33], v[32:33], v[34:35]
.LBB71_846:                             ;   in Loop: Header=BB71_3 Depth=1
	s_or_b32 exec_lo, exec_lo, s58
	s_delay_alu instid0(VALU_DEP_1)
	v_pk_add_f32 v[32:33], v[32:33], 0 neg_lo:[1,1] neg_hi:[1,1]
.LBB71_847:                             ;   in Loop: Header=BB71_3 Depth=1
	s_or_b32 exec_lo, exec_lo, s57
	s_and_saveexec_b32 s57, s98
	s_cbranch_execz .LBB71_849
; %bb.848:                              ;   in Loop: Header=BB71_3 Depth=1
	ds_load_b64 v[34:35], v5 offset:26000
	s_wait_dscnt 0x0
	v_pk_mul_f32 v[36:37], v[32:33], v[34:35] op_sel:[1,1] op_sel_hi:[1,0]
	s_delay_alu instid0(VALU_DEP_1) | instskip(SKIP_1) | instid1(VALU_DEP_2)
	v_pk_fma_f32 v[92:93], v[32:33], v[34:35], v[36:37] op_sel_hi:[0,1,1]
	v_pk_fma_f32 v[34:35], v[32:33], v[34:35], v[36:37] neg_lo:[0,0,1] neg_hi:[0,0,1]
	v_mov_b32_e32 v35, v93
	s_delay_alu instid0(VALU_DEP_1)
	v_mov_b64_e32 v[32:33], v[34:35]
	ds_store_b64 v3, v[34:35]
.LBB71_849:                             ;   in Loop: Header=BB71_3 Depth=1
	s_or_b32 exec_lo, exec_lo, s57
	s_wait_dscnt 0x0
	s_barrier_signal -1
	s_barrier_wait -1
	s_and_saveexec_b32 s57, s99
	s_cbranch_execz .LBB71_851
; %bb.850:                              ;   in Loop: Header=BB71_3 Depth=1
	ds_load_b64 v[34:35], v5 offset:26008
	ds_load_b64 v[36:37], v3
	s_wait_dscnt 0x0
	v_pk_mul_f32 v[92:93], v[36:37], v[34:35] op_sel:[1,1] op_sel_hi:[0,1]
	s_delay_alu instid0(VALU_DEP_1) | instskip(SKIP_1) | instid1(VALU_DEP_2)
	v_pk_fma_f32 v[94:95], v[36:37], v[34:35], v[92:93] op_sel_hi:[1,0,1]
	v_pk_fma_f32 v[34:35], v[36:37], v[34:35], v[92:93] neg_lo:[0,0,1] neg_hi:[0,0,1]
	v_mov_b32_e32 v35, v95
	s_delay_alu instid0(VALU_DEP_1)
	v_pk_add_f32 v[32:33], v[32:33], v[34:35]
.LBB71_851:                             ;   in Loop: Header=BB71_3 Depth=1
	s_or_b32 exec_lo, exec_lo, s57
	s_barrier_signal -1
	s_barrier_wait -1
	s_and_saveexec_b32 s57, s99
	s_cbranch_execz .LBB71_853
; %bb.852:                              ;   in Loop: Header=BB71_3 Depth=1
	ds_load_b64 v[34:35], v5 offset:26520
	s_wait_dscnt 0x0
	v_pk_mul_f32 v[36:37], v[32:33], v[34:35] op_sel:[1,1] op_sel_hi:[1,0]
	s_delay_alu instid0(VALU_DEP_1) | instskip(SKIP_1) | instid1(VALU_DEP_2)
	v_pk_fma_f32 v[92:93], v[32:33], v[34:35], v[36:37] op_sel_hi:[0,1,1]
	v_pk_fma_f32 v[34:35], v[32:33], v[34:35], v[36:37] neg_lo:[0,0,1] neg_hi:[0,0,1]
	v_mov_b32_e32 v35, v93
	s_delay_alu instid0(VALU_DEP_1)
	v_mov_b64_e32 v[32:33], v[34:35]
	ds_store_b64 v3, v[34:35]
.LBB71_853:                             ;   in Loop: Header=BB71_3 Depth=1
	s_or_b32 exec_lo, exec_lo, s57
	s_wait_dscnt 0x0
	s_barrier_signal -1
	s_barrier_wait -1
	s_barrier_signal -1
	s_barrier_wait -1
	s_and_saveexec_b32 s57, s0
; %bb.854:                              ;   in Loop: Header=BB71_3 Depth=1
	v_pk_add_f32 v[32:33], v[32:33], 0 neg_lo:[1,1] neg_hi:[1,1]
	ds_store_b64 v39, v[32:33] offset:24976
; %bb.855:                              ;   in Loop: Header=BB71_3 Depth=1
	s_or_b32 exec_lo, exec_lo, s57
	s_wait_dscnt 0x0
	s_barrier_signal -1
	s_barrier_wait -1
	s_barrier_signal -1
	s_barrier_wait -1
	s_and_saveexec_b32 s57, s100
	s_cbranch_execz .LBB71_857
; %bb.856:                              ;   in Loop: Header=BB71_3 Depth=1
	ds_load_b64 v[32:33], v44 offset:24976
	s_wait_dscnt 0x0
	ds_store_b64 v41, v[32:33] offset:25984
	ds_load_b64 v[32:33], v44 offset:24984
	s_wait_dscnt 0x0
	ds_store_b64 v41, v[32:33] offset:26496
.LBB71_857:                             ;   in Loop: Header=BB71_3 Depth=1
	s_or_b32 exec_lo, exec_lo, s57
	s_wait_dscnt 0x0
	s_barrier_signal -1
	s_barrier_wait -1
	s_and_saveexec_b32 s57, s14
	s_cbranch_execz .LBB71_859
; %bb.858:                              ;   in Loop: Header=BB71_3 Depth=1
	ds_load_b128 v[32:35], v5 offset:26000
	ds_load_b64 v[36:37], v5 offset:26520
	s_wait_dscnt 0x1
	v_dual_mov_b32 v94, v35 :: v_dual_mov_b32 v95, v34
	s_wait_dscnt 0x0
	v_dual_mul_f32 v93, v37, v33 :: v_dual_mul_f32 v92, v36, v33
	s_delay_alu instid0(VALU_DEP_1) | instskip(NEXT) | instid1(VALU_DEP_2)
	v_xor_b32_e32 v96, 0x80000000, v93
	v_fmac_f32_e32 v92, v37, v32
	s_delay_alu instid0(VALU_DEP_2) | instskip(NEXT) | instid1(VALU_DEP_2)
	v_fmac_f32_e32 v96, v36, v32
	v_pk_mul_f32 v[32:33], v[92:93], v[94:95] op_sel_hi:[0,1]
	s_delay_alu instid0(VALU_DEP_1) | instskip(SKIP_2) | instid1(VALU_DEP_3)
	v_pk_fma_f32 v[36:37], v[96:97], v[34:35], v[32:33] op_sel_hi:[0,1,1]
	v_pk_fma_f32 v[32:33], v[96:97], v[34:35], v[32:33] neg_lo:[0,0,1] neg_hi:[0,0,1]
	v_add_nc_u32_e64 v34, 0x6000, 0
	v_mov_b32_e32 v33, v37
	ds_store_2addr_b64 v34, v[32:33], v[32:33] offset0:179 offset1:242
.LBB71_859:                             ;   in Loop: Header=BB71_3 Depth=1
	s_or_b32 exec_lo, exec_lo, s57
	v_mov_b32_e32 v32, 0
	s_wait_dscnt 0x0
	s_barrier_signal -1
	s_barrier_wait -1
	s_delay_alu instid0(VALU_DEP_1)
	v_mov_b32_e32 v33, v32
	s_and_saveexec_b32 s66, s2
	s_cbranch_execz .LBB71_865
; %bb.860:                              ;   in Loop: Header=BB71_3 Depth=1
	ds_load_b64 v[32:33], v46 offset:24992
	ds_load_b64 v[34:35], v42 offset:24960
	s_wait_dscnt 0x0
	v_pk_mul_f32 v[36:37], v[34:35], v[32:33] op_sel:[0,1]
	s_delay_alu instid0(VALU_DEP_1) | instskip(SKIP_1) | instid1(VALU_DEP_2)
	v_pk_fma_f32 v[92:93], v[34:35], v[32:33], v[36:37] op_sel:[1,0,0] op_sel_hi:[0,0,1] neg_lo:[0,0,1] neg_hi:[0,0,1]
	v_pk_fma_f32 v[32:33], v[34:35], v[32:33], v[36:37] op_sel:[1,0,0] op_sel_hi:[0,1,1]
	v_mov_b32_e32 v33, v93
	s_delay_alu instid0(VALU_DEP_1)
	v_pk_add_f32 v[32:33], v[32:33], 0 op_sel_hi:[1,0]
	s_and_saveexec_b32 s57, s16
	s_cbranch_execnz .LBB71_1150
; %bb.861:                              ;   in Loop: Header=BB71_3 Depth=1
	s_or_b32 exec_lo, exec_lo, s57
	s_and_saveexec_b32 s57, s17
	s_cbranch_execnz .LBB71_1151
.LBB71_862:                             ;   in Loop: Header=BB71_3 Depth=1
	s_or_b32 exec_lo, exec_lo, s57
	s_and_saveexec_b32 s57, s0
	s_cbranch_execz .LBB71_864
.LBB71_863:                             ;   in Loop: Header=BB71_3 Depth=1
	ds_load_b64 v[34:35], v49 offset:26528
	ds_load_b64 v[36:37], v5 offset:24984
	s_wait_dscnt 0x0
	v_pk_mul_f32 v[92:93], v[36:37], v[34:35] op_sel:[0,1]
	s_delay_alu instid0(VALU_DEP_1) | instskip(SKIP_1) | instid1(VALU_DEP_2)
	v_pk_fma_f32 v[94:95], v[36:37], v[34:35], v[92:93] op_sel:[1,0,0] op_sel_hi:[0,0,1] neg_lo:[0,0,1] neg_hi:[0,0,1]
	v_pk_fma_f32 v[34:35], v[36:37], v[34:35], v[92:93] op_sel:[1,0,0] op_sel_hi:[0,1,1]
	v_mov_b32_e32 v35, v95
	s_delay_alu instid0(VALU_DEP_1)
	v_pk_add_f32 v[32:33], v[32:33], v[34:35]
.LBB71_864:                             ;   in Loop: Header=BB71_3 Depth=1
	s_or_b32 exec_lo, exec_lo, s57
	s_delay_alu instid0(VALU_DEP_1) | instskip(NEXT) | instid1(VALU_DEP_1)
	v_pk_add_f32 v[34:35], v[32:33], 0 neg_lo:[1,1] neg_hi:[1,1]
	v_dual_mov_b32 v32, v35 :: v_dual_mov_b32 v33, v34
.LBB71_865:                             ;   in Loop: Header=BB71_3 Depth=1
	s_or_b32 exec_lo, exec_lo, s66
	s_and_saveexec_b32 s57, s101
	s_cbranch_execz .LBB71_867
; %bb.866:                              ;   in Loop: Header=BB71_3 Depth=1
	ds_load_b64 v[34:35], v5 offset:27040
	v_dual_mov_b32 v36, v33 :: v_dual_mov_b32 v37, v32
	s_wait_dscnt 0x0
	s_delay_alu instid0(VALU_DEP_1) | instskip(NEXT) | instid1(VALU_DEP_1)
	v_dual_mul_f32 v92, v36, v34 :: v_dual_mul_f32 v94, v33, v35
	v_pk_fma_f32 v[36:37], v[36:37], v[34:35], v[92:93] op_sel_hi:[1,1,0]
	s_delay_alu instid0(VALU_DEP_2) | instskip(NEXT) | instid1(VALU_DEP_2)
	v_pk_fma_f32 v[32:33], v[32:33], v[34:35], v[94:95] op_sel_hi:[1,1,0] neg_lo:[0,0,1] neg_hi:[0,0,1]
	v_mov_b32_e32 v33, v37
	ds_store_b64 v45, v[32:33]
.LBB71_867:                             ;   in Loop: Header=BB71_3 Depth=1
	s_or_b32 exec_lo, exec_lo, s57
	s_wait_dscnt 0x0
	s_barrier_signal -1
	s_barrier_wait -1
	s_and_saveexec_b32 s57, s102
	s_cbranch_execz .LBB71_869
; %bb.868:                              ;   in Loop: Header=BB71_3 Depth=1
	ds_load_b64 v[34:35], v43 offset:27040
	ds_load_b64 v[36:37], v45
	s_wait_dscnt 0x0
	v_dual_mul_f32 v92, v37, v35 :: v_dual_mul_f32 v93, v36, v35
	s_delay_alu instid0(VALU_DEP_1) | instskip(NEXT) | instid1(VALU_DEP_1)
	v_dual_fma_f32 v92, v36, v34, -v92 :: v_dual_fmac_f32 v93, v37, v34
	v_pk_add_f32 v[32:33], v[32:33], v[92:93]
.LBB71_869:                             ;   in Loop: Header=BB71_3 Depth=1
	s_or_b32 exec_lo, exec_lo, s57
	s_barrier_signal -1
	s_barrier_wait -1
	s_and_saveexec_b32 s57, s103
	s_cbranch_execz .LBB71_871
; %bb.870:                              ;   in Loop: Header=BB71_3 Depth=1
	ds_load_b64 v[34:35], v5 offset:27560
	s_wait_dscnt 0x0
	v_pk_mul_f32 v[36:37], v[32:33], v[34:35] op_sel:[1,1] op_sel_hi:[1,0]
	s_delay_alu instid0(VALU_DEP_1) | instskip(SKIP_1) | instid1(VALU_DEP_2)
	v_pk_fma_f32 v[92:93], v[32:33], v[34:35], v[36:37] op_sel_hi:[0,1,1]
	v_pk_fma_f32 v[34:35], v[32:33], v[34:35], v[36:37] neg_lo:[0,0,1] neg_hi:[0,0,1]
	v_mov_b32_e32 v35, v93
	s_delay_alu instid0(VALU_DEP_1)
	v_mov_b64_e32 v[32:33], v[34:35]
	ds_store_b64 v45, v[34:35]
.LBB71_871:                             ;   in Loop: Header=BB71_3 Depth=1
	s_or_b32 exec_lo, exec_lo, s57
	s_wait_dscnt 0x0
	s_barrier_signal -1
	s_barrier_wait -1
	s_and_saveexec_b32 s57, s104
	s_cbranch_execz .LBB71_873
; %bb.872:                              ;   in Loop: Header=BB71_3 Depth=1
	ds_load_b64 v[34:35], v43 offset:27552
	ds_load_b64 v[36:37], v45
	s_wait_dscnt 0x0
	v_pk_mul_f32 v[92:93], v[36:37], v[34:35] op_sel:[1,1] op_sel_hi:[0,1]
	s_delay_alu instid0(VALU_DEP_1) | instskip(SKIP_1) | instid1(VALU_DEP_2)
	v_pk_fma_f32 v[94:95], v[36:37], v[34:35], v[92:93] op_sel_hi:[1,0,1]
	v_pk_fma_f32 v[34:35], v[36:37], v[34:35], v[92:93] neg_lo:[0,0,1] neg_hi:[0,0,1]
	v_mov_b32_e32 v35, v95
	s_delay_alu instid0(VALU_DEP_1)
	v_pk_add_f32 v[32:33], v[32:33], v[34:35]
.LBB71_873:                             ;   in Loop: Header=BB71_3 Depth=1
	s_or_b32 exec_lo, exec_lo, s57
	s_barrier_signal -1
	s_barrier_wait -1
	s_and_saveexec_b32 s57, vcc_hi
	s_cbranch_execz .LBB71_875
; %bb.874:                              ;   in Loop: Header=BB71_3 Depth=1
	ds_load_b64 v[34:35], v5 offset:28080
	s_wait_dscnt 0x0
	v_pk_mul_f32 v[36:37], v[32:33], v[34:35] op_sel:[1,1] op_sel_hi:[1,0]
	s_delay_alu instid0(VALU_DEP_1) | instskip(SKIP_1) | instid1(VALU_DEP_2)
	v_pk_fma_f32 v[92:93], v[32:33], v[34:35], v[36:37] op_sel_hi:[0,1,1]
	v_pk_fma_f32 v[34:35], v[32:33], v[34:35], v[36:37] neg_lo:[0,0,1] neg_hi:[0,0,1]
	v_mov_b32_e32 v35, v93
	s_delay_alu instid0(VALU_DEP_1)
	v_mov_b64_e32 v[32:33], v[34:35]
	ds_store_b64 v45, v[34:35]
.LBB71_875:                             ;   in Loop: Header=BB71_3 Depth=1
	s_or_b32 exec_lo, exec_lo, s57
	s_wait_dscnt 0x0
	s_barrier_signal -1
	s_barrier_wait -1
	s_and_saveexec_b32 s57, s39
	s_cbranch_execz .LBB71_877
; %bb.876:                              ;   in Loop: Header=BB71_3 Depth=1
	ds_load_b64 v[34:35], v5 offset:28088
	ds_load_b64 v[36:37], v45
	s_wait_dscnt 0x0
	v_pk_mul_f32 v[92:93], v[36:37], v[34:35] op_sel:[1,1] op_sel_hi:[0,1]
	s_delay_alu instid0(VALU_DEP_1) | instskip(SKIP_1) | instid1(VALU_DEP_2)
	v_pk_fma_f32 v[94:95], v[36:37], v[34:35], v[92:93] op_sel_hi:[1,0,1]
	v_pk_fma_f32 v[34:35], v[36:37], v[34:35], v[92:93] neg_lo:[0,0,1] neg_hi:[0,0,1]
	v_mov_b32_e32 v35, v95
	s_delay_alu instid0(VALU_DEP_1)
	v_pk_add_f32 v[32:33], v[32:33], v[34:35]
.LBB71_877:                             ;   in Loop: Header=BB71_3 Depth=1
	s_or_b32 exec_lo, exec_lo, s57
	s_barrier_signal -1
	s_barrier_wait -1
	s_and_saveexec_b32 s57, s39
	s_cbranch_execz .LBB71_879
; %bb.878:                              ;   in Loop: Header=BB71_3 Depth=1
	ds_load_b64 v[34:35], v5 offset:28600
	s_wait_dscnt 0x0
	v_pk_mul_f32 v[36:37], v[32:33], v[34:35] op_sel:[1,1] op_sel_hi:[1,0]
	s_delay_alu instid0(VALU_DEP_1) | instskip(SKIP_1) | instid1(VALU_DEP_2)
	v_pk_fma_f32 v[92:93], v[32:33], v[34:35], v[36:37] op_sel_hi:[0,1,1]
	v_pk_fma_f32 v[34:35], v[32:33], v[34:35], v[36:37] neg_lo:[0,0,1] neg_hi:[0,0,1]
	v_mov_b32_e32 v35, v93
	s_delay_alu instid0(VALU_DEP_1)
	v_mov_b64_e32 v[32:33], v[34:35]
	ds_store_b64 v45, v[34:35]
.LBB71_879:                             ;   in Loop: Header=BB71_3 Depth=1
	s_or_b32 exec_lo, exec_lo, s57
	s_wait_dscnt 0x0
	s_barrier_signal -1
	s_barrier_wait -1
	s_barrier_signal -1
	s_barrier_wait -1
	s_and_saveexec_b32 s57, s2
; %bb.880:                              ;   in Loop: Header=BB71_3 Depth=1
	v_pk_add_f32 v[32:33], v[32:33], 0 neg_lo:[1,1] neg_hi:[1,1]
	ds_store_b64 v46, v[32:33] offset:24992
; %bb.881:                              ;   in Loop: Header=BB71_3 Depth=1
	s_or_b32 exec_lo, exec_lo, s57
	s_wait_dscnt 0x0
	s_barrier_signal -1
	s_barrier_wait -1
	s_barrier_signal -1
	s_barrier_wait -1
	s_and_saveexec_b32 s57, s40
	s_cbranch_execz .LBB71_883
; %bb.882:                              ;   in Loop: Header=BB71_3 Depth=1
	ds_load_b64 v[32:33], v50 offset:24992
	s_wait_dscnt 0x0
	ds_store_b64 v51, v[32:33] offset:27008
	ds_load_b64 v[32:33], v50 offset:25000
	s_wait_dscnt 0x0
	ds_store_b64 v51, v[32:33] offset:27520
	;; [unrolled: 3-line block ×4, first 2 shown]
.LBB71_883:                             ;   in Loop: Header=BB71_3 Depth=1
	s_or_b32 exec_lo, exec_lo, s57
	s_wait_dscnt 0x0
	s_barrier_signal -1
	s_barrier_wait -1
	s_and_saveexec_b32 s57, s14
	s_cbranch_execz .LBB71_885
; %bb.884:                              ;   in Loop: Header=BB71_3 Depth=1
	ds_load_b128 v[32:35], v5 offset:27040
	ds_load_b64 v[36:37], v5 offset:27560
	s_wait_dscnt 0x1
	v_dual_mov_b32 v94, v35 :: v_dual_mov_b32 v95, v34
	s_wait_dscnt 0x0
	v_dual_mul_f32 v93, v37, v33 :: v_dual_mul_f32 v92, v36, v33
	s_delay_alu instid0(VALU_DEP_1) | instskip(NEXT) | instid1(VALU_DEP_2)
	v_xor_b32_e32 v96, 0x80000000, v93
	v_fmac_f32_e32 v92, v37, v32
	s_delay_alu instid0(VALU_DEP_2) | instskip(NEXT) | instid1(VALU_DEP_2)
	v_fmac_f32_e32 v96, v36, v32
	v_pk_mul_f32 v[32:33], v[92:93], v[94:95] op_sel_hi:[0,1]
	s_delay_alu instid0(VALU_DEP_1) | instskip(SKIP_2) | instid1(VALU_DEP_3)
	v_pk_fma_f32 v[36:37], v[96:97], v[34:35], v[32:33] op_sel_hi:[0,1,1]
	v_pk_fma_f32 v[32:33], v[96:97], v[34:35], v[32:33] neg_lo:[0,0,1] neg_hi:[0,0,1]
	v_add_nc_u32_e64 v34, 0x6800, 0
	v_mov_b32_e32 v33, v37
	ds_store_2addr_b64 v34, v[32:33], v[32:33] offset0:53 offset1:116
.LBB71_885:                             ;   in Loop: Header=BB71_3 Depth=1
	s_or_b32 exec_lo, exec_lo, s57
	v_mov_b32_e32 v33, 0
	s_wait_dscnt 0x0
	s_barrier_signal -1
	s_barrier_wait -1
	s_delay_alu instid0(VALU_DEP_1)
	v_mov_b32_e32 v32, v33
	s_and_saveexec_b32 s57, s0
	s_cbranch_execz .LBB71_889
; %bb.886:                              ;   in Loop: Header=BB71_3 Depth=1
	ds_load_b64 v[32:33], v39 offset:27056
	ds_load_b64 v[34:35], v40 offset:27040
	s_wait_dscnt 0x0
	v_dual_mul_f32 v36, v35, v33 :: v_dual_mul_f32 v37, v34, v33
	s_delay_alu instid0(VALU_DEP_1) | instskip(NEXT) | instid1(VALU_DEP_1)
	v_dual_fma_f32 v36, v34, v32, -v36 :: v_dual_fmac_f32 v37, v35, v32
	v_pk_add_f32 v[32:33], v[36:37], 0 op_sel_hi:[1,0]
	s_and_saveexec_b32 s58, s15
	s_cbranch_execz .LBB71_888
; %bb.887:                              ;   in Loop: Header=BB71_3 Depth=1
	ds_load_b64 v[34:35], v51 offset:27568
	ds_load_b64 v[36:37], v5 offset:27048
	s_wait_dscnt 0x0
	v_pk_mul_f32 v[92:93], v[36:37], v[34:35] op_sel:[1,1] op_sel_hi:[0,1]
	s_delay_alu instid0(VALU_DEP_1) | instskip(SKIP_1) | instid1(VALU_DEP_2)
	v_pk_fma_f32 v[94:95], v[36:37], v[34:35], v[92:93] op_sel_hi:[1,0,1]
	v_pk_fma_f32 v[34:35], v[36:37], v[34:35], v[92:93] neg_lo:[0,0,1] neg_hi:[0,0,1]
	v_mov_b32_e32 v35, v95
	s_delay_alu instid0(VALU_DEP_1)
	v_pk_add_f32 v[32:33], v[32:33], v[34:35]
.LBB71_888:                             ;   in Loop: Header=BB71_3 Depth=1
	s_or_b32 exec_lo, exec_lo, s58
	s_delay_alu instid0(VALU_DEP_1)
	v_pk_add_f32 v[32:33], v[32:33], 0 neg_lo:[1,1] neg_hi:[1,1]
.LBB71_889:                             ;   in Loop: Header=BB71_3 Depth=1
	s_or_b32 exec_lo, exec_lo, s57
	s_and_saveexec_b32 s57, s98
	s_cbranch_execz .LBB71_891
; %bb.890:                              ;   in Loop: Header=BB71_3 Depth=1
	ds_load_b64 v[34:35], v5 offset:28080
	s_wait_dscnt 0x0
	v_pk_mul_f32 v[36:37], v[32:33], v[34:35] op_sel:[1,1] op_sel_hi:[1,0]
	s_delay_alu instid0(VALU_DEP_1) | instskip(SKIP_1) | instid1(VALU_DEP_2)
	v_pk_fma_f32 v[92:93], v[32:33], v[34:35], v[36:37] op_sel_hi:[0,1,1]
	v_pk_fma_f32 v[34:35], v[32:33], v[34:35], v[36:37] neg_lo:[0,0,1] neg_hi:[0,0,1]
	v_mov_b32_e32 v35, v93
	s_delay_alu instid0(VALU_DEP_1)
	v_mov_b64_e32 v[32:33], v[34:35]
	ds_store_b64 v3, v[34:35]
.LBB71_891:                             ;   in Loop: Header=BB71_3 Depth=1
	s_or_b32 exec_lo, exec_lo, s57
	s_wait_dscnt 0x0
	s_barrier_signal -1
	s_barrier_wait -1
	s_and_saveexec_b32 s57, s99
	s_cbranch_execz .LBB71_893
; %bb.892:                              ;   in Loop: Header=BB71_3 Depth=1
	ds_load_b64 v[34:35], v5 offset:28088
	ds_load_b64 v[36:37], v3
	s_wait_dscnt 0x0
	v_pk_mul_f32 v[92:93], v[36:37], v[34:35] op_sel:[1,1] op_sel_hi:[0,1]
	s_delay_alu instid0(VALU_DEP_1) | instskip(SKIP_1) | instid1(VALU_DEP_2)
	v_pk_fma_f32 v[94:95], v[36:37], v[34:35], v[92:93] op_sel_hi:[1,0,1]
	v_pk_fma_f32 v[34:35], v[36:37], v[34:35], v[92:93] neg_lo:[0,0,1] neg_hi:[0,0,1]
	v_mov_b32_e32 v35, v95
	s_delay_alu instid0(VALU_DEP_1)
	v_pk_add_f32 v[32:33], v[32:33], v[34:35]
.LBB71_893:                             ;   in Loop: Header=BB71_3 Depth=1
	s_or_b32 exec_lo, exec_lo, s57
	s_barrier_signal -1
	s_barrier_wait -1
	s_and_saveexec_b32 s57, s99
	s_cbranch_execz .LBB71_895
; %bb.894:                              ;   in Loop: Header=BB71_3 Depth=1
	ds_load_b64 v[34:35], v5 offset:28600
	s_wait_dscnt 0x0
	v_pk_mul_f32 v[36:37], v[32:33], v[34:35] op_sel:[1,1] op_sel_hi:[1,0]
	s_delay_alu instid0(VALU_DEP_1) | instskip(SKIP_1) | instid1(VALU_DEP_2)
	v_pk_fma_f32 v[92:93], v[32:33], v[34:35], v[36:37] op_sel_hi:[0,1,1]
	v_pk_fma_f32 v[34:35], v[32:33], v[34:35], v[36:37] neg_lo:[0,0,1] neg_hi:[0,0,1]
	v_mov_b32_e32 v35, v93
	s_delay_alu instid0(VALU_DEP_1)
	v_mov_b64_e32 v[32:33], v[34:35]
	ds_store_b64 v3, v[34:35]
.LBB71_895:                             ;   in Loop: Header=BB71_3 Depth=1
	s_or_b32 exec_lo, exec_lo, s57
	s_wait_dscnt 0x0
	s_barrier_signal -1
	s_barrier_wait -1
	s_barrier_signal -1
	s_barrier_wait -1
	s_and_saveexec_b32 s57, s0
; %bb.896:                              ;   in Loop: Header=BB71_3 Depth=1
	v_pk_add_f32 v[32:33], v[32:33], 0 neg_lo:[1,1] neg_hi:[1,1]
	ds_store_b64 v39, v[32:33] offset:27056
; %bb.897:                              ;   in Loop: Header=BB71_3 Depth=1
	s_or_b32 exec_lo, exec_lo, s57
	s_wait_dscnt 0x0
	s_barrier_signal -1
	s_barrier_wait -1
	s_barrier_signal -1
	s_barrier_wait -1
	s_and_saveexec_b32 s57, s100
	s_cbranch_execz .LBB71_899
; %bb.898:                              ;   in Loop: Header=BB71_3 Depth=1
	ds_load_b64 v[32:33], v54 offset:27056
	s_wait_dscnt 0x0
	ds_store_b64 v51, v[32:33] offset:28064
	ds_load_b64 v[32:33], v54 offset:27064
	s_wait_dscnt 0x0
	ds_store_b64 v51, v[32:33] offset:28576
.LBB71_899:                             ;   in Loop: Header=BB71_3 Depth=1
	s_or_b32 exec_lo, exec_lo, s57
	s_wait_dscnt 0x0
	s_barrier_signal -1
	s_barrier_wait -1
	s_and_saveexec_b32 s57, s14
	s_cbranch_execz .LBB71_901
; %bb.900:                              ;   in Loop: Header=BB71_3 Depth=1
	ds_load_b128 v[32:35], v5 offset:28080
	ds_load_b64 v[36:37], v5 offset:28600
	s_wait_dscnt 0x1
	v_dual_mov_b32 v94, v35 :: v_dual_mov_b32 v95, v34
	s_wait_dscnt 0x0
	v_dual_mul_f32 v93, v37, v33 :: v_dual_mul_f32 v92, v36, v33
	s_delay_alu instid0(VALU_DEP_1) | instskip(NEXT) | instid1(VALU_DEP_2)
	v_xor_b32_e32 v96, 0x80000000, v93
	v_fmac_f32_e32 v92, v37, v32
	s_delay_alu instid0(VALU_DEP_2) | instskip(NEXT) | instid1(VALU_DEP_2)
	v_fmac_f32_e32 v96, v36, v32
	v_pk_mul_f32 v[32:33], v[92:93], v[94:95] op_sel_hi:[0,1]
	s_delay_alu instid0(VALU_DEP_1) | instskip(SKIP_2) | instid1(VALU_DEP_3)
	v_pk_fma_f32 v[36:37], v[96:97], v[34:35], v[32:33] op_sel_hi:[0,1,1]
	v_pk_fma_f32 v[32:33], v[96:97], v[34:35], v[32:33] neg_lo:[0,0,1] neg_hi:[0,0,1]
	v_add_nc_u32_e64 v34, 0x6800, 0
	v_mov_b32_e32 v33, v37
	ds_store_2addr_b64 v34, v[32:33], v[32:33] offset0:183 offset1:246
.LBB71_901:                             ;   in Loop: Header=BB71_3 Depth=1
	s_or_b32 exec_lo, exec_lo, s57
	v_mov_b32_e32 v32, 0
	s_wait_dscnt 0x0
	s_barrier_signal -1
	s_barrier_wait -1
	s_delay_alu instid0(VALU_DEP_1)
	v_mov_b32_e32 v33, v32
	s_and_saveexec_b32 s66, s3
	s_cbranch_execz .LBB71_911
; %bb.902:                              ;   in Loop: Header=BB71_3 Depth=1
	ds_load_b64 v[32:33], v56 offset:25024
	ds_load_b64 v[34:35], v52 offset:24960
	s_wait_dscnt 0x0
	v_dual_mul_f32 v36, v35, v33 :: v_dual_mul_f32 v37, v34, v33
	s_delay_alu instid0(VALU_DEP_1) | instskip(NEXT) | instid1(VALU_DEP_1)
	v_dual_fma_f32 v33, v34, v32, -v36 :: v_dual_fmac_f32 v37, v35, v32
	v_add_f32_e32 v33, 0, v33
	s_delay_alu instid0(VALU_DEP_2)
	v_add_f32_e32 v32, 0, v37
	s_and_saveexec_b32 s57, s18
	s_cbranch_execnz .LBB71_1152
; %bb.903:                              ;   in Loop: Header=BB71_3 Depth=1
	s_or_b32 exec_lo, exec_lo, s57
	s_and_saveexec_b32 s57, s19
	s_cbranch_execnz .LBB71_1153
.LBB71_904:                             ;   in Loop: Header=BB71_3 Depth=1
	s_or_b32 exec_lo, exec_lo, s57
	s_and_saveexec_b32 s57, s20
	s_cbranch_execnz .LBB71_1154
.LBB71_905:                             ;   in Loop: Header=BB71_3 Depth=1
	s_or_b32 exec_lo, exec_lo, s57
	s_and_saveexec_b32 s57, s21
	s_cbranch_execnz .LBB71_1155
.LBB71_906:                             ;   in Loop: Header=BB71_3 Depth=1
	s_or_b32 exec_lo, exec_lo, s57
	s_and_saveexec_b32 s57, s22
	s_cbranch_execnz .LBB71_1156
.LBB71_907:                             ;   in Loop: Header=BB71_3 Depth=1
	s_or_b32 exec_lo, exec_lo, s57
	s_and_saveexec_b32 s57, s2
	s_cbranch_execnz .LBB71_1157
.LBB71_908:                             ;   in Loop: Header=BB71_3 Depth=1
	s_or_b32 exec_lo, exec_lo, s57
	s_and_saveexec_b32 s57, s17
	s_cbranch_execz .LBB71_910
.LBB71_909:                             ;   in Loop: Header=BB71_3 Depth=1
	ds_load_b64 v[34:35], v58 offset:28608
	ds_load_b64 v[36:37], v5 offset:25016
	s_wait_dscnt 0x0
	v_pk_mul_f32 v[92:93], v[36:37], v[34:35] op_sel:[0,1]
	s_delay_alu instid0(VALU_DEP_1) | instskip(SKIP_1) | instid1(VALU_DEP_2)
	v_pk_fma_f32 v[94:95], v[36:37], v[34:35], v[92:93] op_sel:[1,0,0] op_sel_hi:[0,0,1] neg_lo:[0,0,1] neg_hi:[0,0,1]
	v_pk_fma_f32 v[34:35], v[36:37], v[34:35], v[92:93] op_sel:[1,0,0] op_sel_hi:[0,1,1]
	v_mov_b32_e32 v35, v95
	s_delay_alu instid0(VALU_DEP_1)
	v_pk_add_f32 v[32:33], v[32:33], v[34:35]
.LBB71_910:                             ;   in Loop: Header=BB71_3 Depth=1
	s_or_b32 exec_lo, exec_lo, s57
	s_delay_alu instid0(VALU_DEP_1) | instskip(NEXT) | instid1(VALU_DEP_1)
	v_pk_add_f32 v[34:35], v[32:33], 0 neg_lo:[1,1] neg_hi:[1,1]
	v_dual_mov_b32 v32, v35 :: v_dual_mov_b32 v33, v34
.LBB71_911:                             ;   in Loop: Header=BB71_3 Depth=1
	s_or_b32 exec_lo, exec_lo, s66
	s_and_saveexec_b32 s57, s41
	s_cbranch_execz .LBB71_913
; %bb.912:                              ;   in Loop: Header=BB71_3 Depth=1
	ds_load_b64 v[34:35], v5 offset:29120
	v_dual_mov_b32 v36, v33 :: v_dual_mov_b32 v37, v32
	s_wait_dscnt 0x0
	s_delay_alu instid0(VALU_DEP_1) | instskip(NEXT) | instid1(VALU_DEP_1)
	v_dual_mul_f32 v92, v36, v34 :: v_dual_mul_f32 v94, v33, v35
	v_pk_fma_f32 v[36:37], v[36:37], v[34:35], v[92:93] op_sel_hi:[1,1,0]
	s_delay_alu instid0(VALU_DEP_2) | instskip(NEXT) | instid1(VALU_DEP_2)
	v_pk_fma_f32 v[32:33], v[32:33], v[34:35], v[94:95] op_sel_hi:[1,1,0] neg_lo:[0,0,1] neg_hi:[0,0,1]
	v_mov_b32_e32 v33, v37
	ds_store_b64 v55, v[32:33]
.LBB71_913:                             ;   in Loop: Header=BB71_3 Depth=1
	s_or_b32 exec_lo, exec_lo, s57
	s_wait_dscnt 0x0
	s_barrier_signal -1
	s_barrier_wait -1
	s_and_saveexec_b32 s57, s42
	s_cbranch_execz .LBB71_915
; %bb.914:                              ;   in Loop: Header=BB71_3 Depth=1
	ds_load_b64 v[34:35], v53 offset:29120
	ds_load_b64 v[36:37], v55
	s_wait_dscnt 0x0
	v_dual_mul_f32 v92, v37, v35 :: v_dual_mul_f32 v93, v36, v35
	s_delay_alu instid0(VALU_DEP_1) | instskip(NEXT) | instid1(VALU_DEP_1)
	v_dual_fma_f32 v92, v36, v34, -v92 :: v_dual_fmac_f32 v93, v37, v34
	v_pk_add_f32 v[32:33], v[32:33], v[92:93]
.LBB71_915:                             ;   in Loop: Header=BB71_3 Depth=1
	s_or_b32 exec_lo, exec_lo, s57
	s_barrier_signal -1
	s_barrier_wait -1
	s_and_saveexec_b32 s57, s43
	s_cbranch_execz .LBB71_917
; %bb.916:                              ;   in Loop: Header=BB71_3 Depth=1
	ds_load_b64 v[34:35], v5 offset:29640
	s_wait_dscnt 0x0
	v_pk_mul_f32 v[36:37], v[32:33], v[34:35] op_sel:[1,1] op_sel_hi:[1,0]
	s_delay_alu instid0(VALU_DEP_1) | instskip(SKIP_1) | instid1(VALU_DEP_2)
	v_pk_fma_f32 v[92:93], v[32:33], v[34:35], v[36:37] op_sel_hi:[0,1,1]
	v_pk_fma_f32 v[32:33], v[32:33], v[34:35], v[36:37] op_sel_hi:[0,1,1] neg_lo:[0,0,1] neg_hi:[0,0,1]
	v_mov_b32_e32 v33, v93
	ds_store_b64 v55, v[32:33]
.LBB71_917:                             ;   in Loop: Header=BB71_3 Depth=1
	s_or_b32 exec_lo, exec_lo, s57
	s_wait_dscnt 0x0
	s_barrier_signal -1
	s_barrier_wait -1
	s_and_saveexec_b32 s57, s44
	s_cbranch_execz .LBB71_919
; %bb.918:                              ;   in Loop: Header=BB71_3 Depth=1
	ds_load_b64 v[34:35], v53 offset:29632
	ds_load_b64 v[36:37], v55
	s_wait_dscnt 0x0
	v_pk_mul_f32 v[92:93], v[36:37], v[34:35] op_sel:[1,1] op_sel_hi:[0,1]
	s_delay_alu instid0(VALU_DEP_1) | instskip(SKIP_1) | instid1(VALU_DEP_2)
	v_pk_fma_f32 v[94:95], v[36:37], v[34:35], v[92:93] op_sel_hi:[1,0,1]
	v_pk_fma_f32 v[34:35], v[36:37], v[34:35], v[92:93] op_sel_hi:[1,0,1] neg_lo:[0,0,1] neg_hi:[0,0,1]
	v_mov_b32_e32 v35, v95
	s_delay_alu instid0(VALU_DEP_1)
	v_pk_add_f32 v[32:33], v[32:33], v[34:35]
.LBB71_919:                             ;   in Loop: Header=BB71_3 Depth=1
	s_or_b32 exec_lo, exec_lo, s57
	s_barrier_signal -1
	s_barrier_wait -1
	s_and_saveexec_b32 s57, s45
	s_cbranch_execz .LBB71_921
; %bb.920:                              ;   in Loop: Header=BB71_3 Depth=1
	ds_load_b64 v[34:35], v5 offset:30160
	s_wait_dscnt 0x0
	v_pk_mul_f32 v[36:37], v[32:33], v[34:35] op_sel:[1,1] op_sel_hi:[1,0]
	s_delay_alu instid0(VALU_DEP_1) | instskip(SKIP_1) | instid1(VALU_DEP_2)
	v_pk_fma_f32 v[92:93], v[32:33], v[34:35], v[36:37] op_sel_hi:[0,1,1]
	v_pk_fma_f32 v[32:33], v[32:33], v[34:35], v[36:37] op_sel_hi:[0,1,1] neg_lo:[0,0,1] neg_hi:[0,0,1]
	v_mov_b32_e32 v33, v93
	ds_store_b64 v55, v[32:33]
.LBB71_921:                             ;   in Loop: Header=BB71_3 Depth=1
	s_or_b32 exec_lo, exec_lo, s57
	s_wait_dscnt 0x0
	s_barrier_signal -1
	s_barrier_wait -1
	s_and_saveexec_b32 s57, s46
	s_cbranch_execz .LBB71_923
; %bb.922:                              ;   in Loop: Header=BB71_3 Depth=1
	ds_load_b64 v[34:35], v53 offset:30144
	ds_load_b64 v[36:37], v55
	s_wait_dscnt 0x0
	v_pk_mul_f32 v[92:93], v[36:37], v[34:35] op_sel:[1,1] op_sel_hi:[0,1]
	s_delay_alu instid0(VALU_DEP_1) | instskip(SKIP_1) | instid1(VALU_DEP_2)
	v_pk_fma_f32 v[94:95], v[36:37], v[34:35], v[92:93] op_sel_hi:[1,0,1]
	v_pk_fma_f32 v[34:35], v[36:37], v[34:35], v[92:93] op_sel_hi:[1,0,1] neg_lo:[0,0,1] neg_hi:[0,0,1]
	v_mov_b32_e32 v35, v95
	s_delay_alu instid0(VALU_DEP_1)
	v_pk_add_f32 v[32:33], v[32:33], v[34:35]
.LBB71_923:                             ;   in Loop: Header=BB71_3 Depth=1
	;; [unrolled: 33-line block ×3, first 2 shown]
	s_or_b32 exec_lo, exec_lo, s57
	s_barrier_signal -1
	s_barrier_wait -1
	s_and_saveexec_b32 s57, s49
	s_cbranch_execz .LBB71_929
; %bb.928:                              ;   in Loop: Header=BB71_3 Depth=1
	ds_load_b64 v[34:35], v5 offset:31200
	s_wait_dscnt 0x0
	v_dual_mul_f32 v36, v32, v35 :: v_dual_mul_f32 v92, v33, v35
	s_delay_alu instid0(VALU_DEP_1) | instskip(NEXT) | instid1(VALU_DEP_2)
	v_pk_fma_f32 v[36:37], v[32:33], v[34:35], v[36:37] op_sel:[0,1,0] op_sel_hi:[1,0,0]
	v_pk_fma_f32 v[34:35], v[32:33], v[34:35], v[92:93] op_sel_hi:[1,1,0] neg_lo:[0,0,1] neg_hi:[0,0,1]
	s_delay_alu instid0(VALU_DEP_2) | instskip(NEXT) | instid1(VALU_DEP_1)
	v_mov_b32_e32 v35, v37
	v_mov_b64_e32 v[32:33], v[34:35]
	ds_store_b64 v55, v[34:35]
.LBB71_929:                             ;   in Loop: Header=BB71_3 Depth=1
	s_or_b32 exec_lo, exec_lo, s57
	s_wait_dscnt 0x0
	s_barrier_signal -1
	s_barrier_wait -1
	s_and_saveexec_b32 s57, s50
	s_cbranch_execz .LBB71_931
; %bb.930:                              ;   in Loop: Header=BB71_3 Depth=1
	ds_load_b64 v[34:35], v53 offset:31168
	ds_load_b64 v[36:37], v55
	s_wait_dscnt 0x0
	v_dual_mul_f32 v92, v37, v35 :: v_dual_mul_f32 v93, v36, v35
	s_delay_alu instid0(VALU_DEP_1) | instskip(NEXT) | instid1(VALU_DEP_1)
	v_dual_fma_f32 v92, v36, v34, -v92 :: v_dual_fmac_f32 v93, v37, v34
	v_pk_add_f32 v[32:33], v[32:33], v[92:93]
.LBB71_931:                             ;   in Loop: Header=BB71_3 Depth=1
	s_or_b32 exec_lo, exec_lo, s57
	s_barrier_signal -1
	s_barrier_wait -1
	s_and_saveexec_b32 s57, s51
	s_cbranch_execz .LBB71_933
; %bb.932:                              ;   in Loop: Header=BB71_3 Depth=1
	ds_load_b64 v[34:35], v5 offset:31720
	s_wait_dscnt 0x0
	v_pk_mul_f32 v[36:37], v[32:33], v[34:35] op_sel:[1,1] op_sel_hi:[1,0]
	s_delay_alu instid0(VALU_DEP_1) | instskip(SKIP_1) | instid1(VALU_DEP_2)
	v_pk_fma_f32 v[92:93], v[32:33], v[34:35], v[36:37] op_sel_hi:[0,1,1]
	v_pk_fma_f32 v[34:35], v[32:33], v[34:35], v[36:37] neg_lo:[0,0,1] neg_hi:[0,0,1]
	v_mov_b32_e32 v35, v93
	s_delay_alu instid0(VALU_DEP_1)
	v_mov_b64_e32 v[32:33], v[34:35]
	ds_store_b64 v55, v[34:35]
.LBB71_933:                             ;   in Loop: Header=BB71_3 Depth=1
	s_or_b32 exec_lo, exec_lo, s57
	s_wait_dscnt 0x0
	s_barrier_signal -1
	s_barrier_wait -1
	s_and_saveexec_b32 s57, s52
	s_cbranch_execz .LBB71_935
; %bb.934:                              ;   in Loop: Header=BB71_3 Depth=1
	ds_load_b64 v[34:35], v53 offset:31680
	ds_load_b64 v[36:37], v55
	s_wait_dscnt 0x0
	v_pk_mul_f32 v[92:93], v[36:37], v[34:35] op_sel:[1,1] op_sel_hi:[0,1]
	s_delay_alu instid0(VALU_DEP_1) | instskip(SKIP_1) | instid1(VALU_DEP_2)
	v_pk_fma_f32 v[94:95], v[36:37], v[34:35], v[92:93] op_sel_hi:[1,0,1]
	v_pk_fma_f32 v[34:35], v[36:37], v[34:35], v[92:93] neg_lo:[0,0,1] neg_hi:[0,0,1]
	v_mov_b32_e32 v35, v95
	s_delay_alu instid0(VALU_DEP_1)
	v_pk_add_f32 v[32:33], v[32:33], v[34:35]
.LBB71_935:                             ;   in Loop: Header=BB71_3 Depth=1
	s_or_b32 exec_lo, exec_lo, s57
	s_barrier_signal -1
	s_barrier_wait -1
	s_and_saveexec_b32 s57, s53
	s_cbranch_execz .LBB71_937
; %bb.936:                              ;   in Loop: Header=BB71_3 Depth=1
	ds_load_b64 v[34:35], v5 offset:32240
	s_wait_dscnt 0x0
	v_pk_mul_f32 v[36:37], v[32:33], v[34:35] op_sel:[1,1] op_sel_hi:[1,0]
	s_delay_alu instid0(VALU_DEP_1) | instskip(SKIP_1) | instid1(VALU_DEP_2)
	v_pk_fma_f32 v[92:93], v[32:33], v[34:35], v[36:37] op_sel_hi:[0,1,1]
	v_pk_fma_f32 v[34:35], v[32:33], v[34:35], v[36:37] neg_lo:[0,0,1] neg_hi:[0,0,1]
	v_mov_b32_e32 v35, v93
	s_delay_alu instid0(VALU_DEP_1)
	v_mov_b64_e32 v[32:33], v[34:35]
	ds_store_b64 v55, v[34:35]
.LBB71_937:                             ;   in Loop: Header=BB71_3 Depth=1
	s_or_b32 exec_lo, exec_lo, s57
	s_wait_dscnt 0x0
	s_barrier_signal -1
	s_barrier_wait -1
	s_and_saveexec_b32 s57, s54
	s_cbranch_execz .LBB71_939
; %bb.938:                              ;   in Loop: Header=BB71_3 Depth=1
	ds_load_b64 v[34:35], v5 offset:32248
	ds_load_b64 v[36:37], v55
	s_wait_dscnt 0x0
	v_pk_mul_f32 v[92:93], v[36:37], v[34:35] op_sel:[1,1] op_sel_hi:[0,1]
	s_delay_alu instid0(VALU_DEP_1) | instskip(SKIP_1) | instid1(VALU_DEP_2)
	v_pk_fma_f32 v[94:95], v[36:37], v[34:35], v[92:93] op_sel_hi:[1,0,1]
	v_pk_fma_f32 v[34:35], v[36:37], v[34:35], v[92:93] neg_lo:[0,0,1] neg_hi:[0,0,1]
	v_mov_b32_e32 v35, v95
	s_delay_alu instid0(VALU_DEP_1)
	v_pk_add_f32 v[32:33], v[32:33], v[34:35]
.LBB71_939:                             ;   in Loop: Header=BB71_3 Depth=1
	s_or_b32 exec_lo, exec_lo, s57
	s_barrier_signal -1
	s_barrier_wait -1
	s_and_saveexec_b32 s57, s54
	s_cbranch_execz .LBB71_941
; %bb.940:                              ;   in Loop: Header=BB71_3 Depth=1
	ds_load_b64 v[34:35], v5 offset:32760
	s_wait_dscnt 0x0
	v_pk_mul_f32 v[36:37], v[32:33], v[34:35] op_sel:[1,1] op_sel_hi:[1,0]
	s_delay_alu instid0(VALU_DEP_1) | instskip(SKIP_1) | instid1(VALU_DEP_2)
	v_pk_fma_f32 v[92:93], v[32:33], v[34:35], v[36:37] op_sel_hi:[0,1,1]
	v_pk_fma_f32 v[34:35], v[32:33], v[34:35], v[36:37] neg_lo:[0,0,1] neg_hi:[0,0,1]
	v_mov_b32_e32 v35, v93
	s_delay_alu instid0(VALU_DEP_1)
	v_mov_b64_e32 v[32:33], v[34:35]
	ds_store_b64 v55, v[34:35]
.LBB71_941:                             ;   in Loop: Header=BB71_3 Depth=1
	s_or_b32 exec_lo, exec_lo, s57
	s_wait_dscnt 0x0
	s_barrier_signal -1
	s_barrier_wait -1
	s_barrier_signal -1
	s_barrier_wait -1
	s_and_saveexec_b32 s57, s3
; %bb.942:                              ;   in Loop: Header=BB71_3 Depth=1
	v_pk_add_f32 v[32:33], v[32:33], 0 neg_lo:[1,1] neg_hi:[1,1]
	ds_store_b64 v56, v[32:33] offset:25024
; %bb.943:                              ;   in Loop: Header=BB71_3 Depth=1
	s_or_b32 exec_lo, exec_lo, s57
	s_wait_dscnt 0x0
	s_barrier_signal -1
	s_barrier_wait -1
	s_barrier_signal -1
	s_barrier_wait -1
	s_and_saveexec_b32 s57, s55
	s_cbranch_execz .LBB71_945
; %bb.944:                              ;   in Loop: Header=BB71_3 Depth=1
	ds_load_b64 v[32:33], v59 offset:25024
	s_wait_dscnt 0x0
	ds_store_b64 v60, v[32:33] offset:29056
	ds_load_b64 v[32:33], v59 offset:25032
	s_wait_dscnt 0x0
	ds_store_b64 v60, v[32:33] offset:29568
	ds_load_b64 v[32:33], v59 offset:25040
	s_wait_dscnt 0x0
	ds_store_b64 v60, v[32:33] offset:30080
	ds_load_b64 v[32:33], v59 offset:25048
	s_wait_dscnt 0x0
	ds_store_b64 v60, v[32:33] offset:30592
	ds_load_b64 v[32:33], v59 offset:25056
	s_wait_dscnt 0x0
	ds_store_b64 v60, v[32:33] offset:31104
	ds_load_b64 v[32:33], v59 offset:25064
	s_wait_dscnt 0x0
	ds_store_b64 v60, v[32:33] offset:31616
	ds_load_b64 v[32:33], v59 offset:25072
	s_wait_dscnt 0x0
	ds_store_b64 v60, v[32:33] offset:32128
	ds_load_b64 v[32:33], v59 offset:25080
	s_wait_dscnt 0x0
	ds_store_b64 v60, v[32:33] offset:32640
.LBB71_945:                             ;   in Loop: Header=BB71_3 Depth=1
	s_or_b32 exec_lo, exec_lo, s57
	s_wait_dscnt 0x0
	s_barrier_signal -1
	s_barrier_wait -1
	s_and_saveexec_b32 s57, s14
	s_cbranch_execz .LBB71_947
; %bb.946:                              ;   in Loop: Header=BB71_3 Depth=1
	ds_load_b128 v[32:35], v5 offset:29120
	ds_load_b64 v[36:37], v5 offset:29640
	s_wait_dscnt 0x1
	v_dual_mov_b32 v94, v35 :: v_dual_mov_b32 v95, v34
	s_wait_dscnt 0x0
	v_dual_mul_f32 v93, v37, v33 :: v_dual_mul_f32 v92, v36, v33
	s_delay_alu instid0(VALU_DEP_1) | instskip(NEXT) | instid1(VALU_DEP_2)
	v_xor_b32_e32 v96, 0x80000000, v93
	v_fmac_f32_e32 v92, v37, v32
	s_delay_alu instid0(VALU_DEP_2) | instskip(NEXT) | instid1(VALU_DEP_2)
	v_fmac_f32_e32 v96, v36, v32
	v_pk_mul_f32 v[32:33], v[92:93], v[94:95] op_sel_hi:[0,1]
	s_delay_alu instid0(VALU_DEP_1) | instskip(SKIP_2) | instid1(VALU_DEP_3)
	v_pk_fma_f32 v[36:37], v[96:97], v[34:35], v[32:33] op_sel_hi:[0,1,1]
	v_pk_fma_f32 v[32:33], v[96:97], v[34:35], v[32:33] neg_lo:[0,0,1] neg_hi:[0,0,1]
	v_add_nc_u32_e64 v34, 0x7000, 0
	v_mov_b32_e32 v33, v37
	ds_store_2addr_b64 v34, v[32:33], v[32:33] offset0:57 offset1:120
.LBB71_947:                             ;   in Loop: Header=BB71_3 Depth=1
	s_or_b32 exec_lo, exec_lo, s57
	v_mov_b32_e32 v33, 0
	s_wait_dscnt 0x0
	s_barrier_signal -1
	s_barrier_wait -1
	s_delay_alu instid0(VALU_DEP_1)
	v_mov_b32_e32 v32, v33
	s_and_saveexec_b32 s57, s0
	s_cbranch_execz .LBB71_951
; %bb.948:                              ;   in Loop: Header=BB71_3 Depth=1
	ds_load_b64 v[32:33], v39 offset:29136
	ds_load_b64 v[34:35], v40 offset:29120
	s_wait_dscnt 0x0
	v_dual_mul_f32 v36, v35, v33 :: v_dual_mul_f32 v37, v34, v33
	s_delay_alu instid0(VALU_DEP_1) | instskip(NEXT) | instid1(VALU_DEP_1)
	v_dual_fma_f32 v36, v34, v32, -v36 :: v_dual_fmac_f32 v37, v35, v32
	v_pk_add_f32 v[32:33], v[36:37], 0 op_sel_hi:[1,0]
	s_and_saveexec_b32 s58, s15
	s_cbranch_execz .LBB71_950
; %bb.949:                              ;   in Loop: Header=BB71_3 Depth=1
	ds_load_b64 v[34:35], v60 offset:29648
	ds_load_b64 v[36:37], v5 offset:29128
	s_wait_dscnt 0x0
	v_pk_mul_f32 v[92:93], v[36:37], v[34:35] op_sel:[1,1] op_sel_hi:[0,1]
	s_delay_alu instid0(VALU_DEP_1) | instskip(SKIP_1) | instid1(VALU_DEP_2)
	v_pk_fma_f32 v[94:95], v[36:37], v[34:35], v[92:93] op_sel_hi:[1,0,1]
	v_pk_fma_f32 v[34:35], v[36:37], v[34:35], v[92:93] neg_lo:[0,0,1] neg_hi:[0,0,1]
	v_mov_b32_e32 v35, v95
	s_delay_alu instid0(VALU_DEP_1)
	v_pk_add_f32 v[32:33], v[32:33], v[34:35]
.LBB71_950:                             ;   in Loop: Header=BB71_3 Depth=1
	s_or_b32 exec_lo, exec_lo, s58
	s_delay_alu instid0(VALU_DEP_1)
	v_pk_add_f32 v[32:33], v[32:33], 0 neg_lo:[1,1] neg_hi:[1,1]
.LBB71_951:                             ;   in Loop: Header=BB71_3 Depth=1
	s_or_b32 exec_lo, exec_lo, s57
	s_and_saveexec_b32 s57, s98
	s_cbranch_execz .LBB71_953
; %bb.952:                              ;   in Loop: Header=BB71_3 Depth=1
	ds_load_b64 v[34:35], v5 offset:30160
	s_wait_dscnt 0x0
	v_pk_mul_f32 v[36:37], v[32:33], v[34:35] op_sel:[1,1] op_sel_hi:[1,0]
	s_delay_alu instid0(VALU_DEP_1) | instskip(SKIP_1) | instid1(VALU_DEP_2)
	v_pk_fma_f32 v[92:93], v[32:33], v[34:35], v[36:37] op_sel_hi:[0,1,1]
	v_pk_fma_f32 v[34:35], v[32:33], v[34:35], v[36:37] neg_lo:[0,0,1] neg_hi:[0,0,1]
	v_mov_b32_e32 v35, v93
	s_delay_alu instid0(VALU_DEP_1)
	v_mov_b64_e32 v[32:33], v[34:35]
	ds_store_b64 v3, v[34:35]
.LBB71_953:                             ;   in Loop: Header=BB71_3 Depth=1
	s_or_b32 exec_lo, exec_lo, s57
	s_wait_dscnt 0x0
	s_barrier_signal -1
	s_barrier_wait -1
	s_and_saveexec_b32 s57, s99
	s_cbranch_execz .LBB71_955
; %bb.954:                              ;   in Loop: Header=BB71_3 Depth=1
	ds_load_b64 v[34:35], v5 offset:30168
	ds_load_b64 v[36:37], v3
	s_wait_dscnt 0x0
	v_pk_mul_f32 v[92:93], v[36:37], v[34:35] op_sel:[1,1] op_sel_hi:[0,1]
	s_delay_alu instid0(VALU_DEP_1) | instskip(SKIP_1) | instid1(VALU_DEP_2)
	v_pk_fma_f32 v[94:95], v[36:37], v[34:35], v[92:93] op_sel_hi:[1,0,1]
	v_pk_fma_f32 v[34:35], v[36:37], v[34:35], v[92:93] neg_lo:[0,0,1] neg_hi:[0,0,1]
	v_mov_b32_e32 v35, v95
	s_delay_alu instid0(VALU_DEP_1)
	v_pk_add_f32 v[32:33], v[32:33], v[34:35]
.LBB71_955:                             ;   in Loop: Header=BB71_3 Depth=1
	s_or_b32 exec_lo, exec_lo, s57
	s_barrier_signal -1
	s_barrier_wait -1
	s_and_saveexec_b32 s57, s99
	s_cbranch_execz .LBB71_957
; %bb.956:                              ;   in Loop: Header=BB71_3 Depth=1
	ds_load_b64 v[34:35], v5 offset:30680
	s_wait_dscnt 0x0
	v_pk_mul_f32 v[36:37], v[32:33], v[34:35] op_sel:[1,1] op_sel_hi:[1,0]
	s_delay_alu instid0(VALU_DEP_1) | instskip(SKIP_1) | instid1(VALU_DEP_2)
	v_pk_fma_f32 v[92:93], v[32:33], v[34:35], v[36:37] op_sel_hi:[0,1,1]
	v_pk_fma_f32 v[34:35], v[32:33], v[34:35], v[36:37] neg_lo:[0,0,1] neg_hi:[0,0,1]
	v_mov_b32_e32 v35, v93
	s_delay_alu instid0(VALU_DEP_1)
	v_mov_b64_e32 v[32:33], v[34:35]
	ds_store_b64 v3, v[34:35]
.LBB71_957:                             ;   in Loop: Header=BB71_3 Depth=1
	s_or_b32 exec_lo, exec_lo, s57
	s_wait_dscnt 0x0
	s_barrier_signal -1
	s_barrier_wait -1
	s_barrier_signal -1
	s_barrier_wait -1
	s_and_saveexec_b32 s57, s0
; %bb.958:                              ;   in Loop: Header=BB71_3 Depth=1
	v_pk_add_f32 v[32:33], v[32:33], 0 neg_lo:[1,1] neg_hi:[1,1]
	ds_store_b64 v39, v[32:33] offset:29136
; %bb.959:                              ;   in Loop: Header=BB71_3 Depth=1
	s_or_b32 exec_lo, exec_lo, s57
	s_wait_dscnt 0x0
	s_barrier_signal -1
	s_barrier_wait -1
	s_barrier_signal -1
	s_barrier_wait -1
	s_and_saveexec_b32 s57, s100
	s_cbranch_execz .LBB71_961
; %bb.960:                              ;   in Loop: Header=BB71_3 Depth=1
	ds_load_b64 v[32:33], v62 offset:29136
	s_wait_dscnt 0x0
	ds_store_b64 v60, v[32:33] offset:30144
	ds_load_b64 v[32:33], v62 offset:29144
	s_wait_dscnt 0x0
	ds_store_b64 v60, v[32:33] offset:30656
.LBB71_961:                             ;   in Loop: Header=BB71_3 Depth=1
	s_or_b32 exec_lo, exec_lo, s57
	s_wait_dscnt 0x0
	s_barrier_signal -1
	s_barrier_wait -1
	s_and_saveexec_b32 s57, s14
	s_cbranch_execz .LBB71_963
; %bb.962:                              ;   in Loop: Header=BB71_3 Depth=1
	ds_load_b128 v[32:35], v5 offset:30160
	ds_load_b64 v[36:37], v5 offset:30680
	s_wait_dscnt 0x1
	v_dual_mov_b32 v94, v35 :: v_dual_mov_b32 v95, v34
	s_wait_dscnt 0x0
	v_dual_mul_f32 v93, v37, v33 :: v_dual_mul_f32 v92, v36, v33
	s_delay_alu instid0(VALU_DEP_1) | instskip(NEXT) | instid1(VALU_DEP_2)
	v_xor_b32_e32 v96, 0x80000000, v93
	v_fmac_f32_e32 v92, v37, v32
	s_delay_alu instid0(VALU_DEP_2) | instskip(NEXT) | instid1(VALU_DEP_2)
	v_fmac_f32_e32 v96, v36, v32
	v_pk_mul_f32 v[32:33], v[92:93], v[94:95] op_sel_hi:[0,1]
	s_delay_alu instid0(VALU_DEP_1) | instskip(SKIP_2) | instid1(VALU_DEP_3)
	v_pk_fma_f32 v[36:37], v[96:97], v[34:35], v[32:33] op_sel_hi:[0,1,1]
	v_pk_fma_f32 v[32:33], v[96:97], v[34:35], v[32:33] neg_lo:[0,0,1] neg_hi:[0,0,1]
	v_add_nc_u32_e64 v34, 0x7000, 0
	v_mov_b32_e32 v33, v37
	ds_store_2addr_b64 v34, v[32:33], v[32:33] offset0:187 offset1:250
.LBB71_963:                             ;   in Loop: Header=BB71_3 Depth=1
	s_or_b32 exec_lo, exec_lo, s57
	v_mov_b32_e32 v32, 0
	s_wait_dscnt 0x0
	s_barrier_signal -1
	s_barrier_wait -1
	s_delay_alu instid0(VALU_DEP_1)
	v_mov_b32_e32 v33, v32
	s_and_saveexec_b32 s66, s2
	s_cbranch_execz .LBB71_969
; %bb.964:                              ;   in Loop: Header=BB71_3 Depth=1
	ds_load_b64 v[32:33], v46 offset:29152
	ds_load_b64 v[34:35], v42 offset:29120
	s_wait_dscnt 0x0
	v_pk_mul_f32 v[36:37], v[34:35], v[32:33] op_sel:[0,1]
	s_delay_alu instid0(VALU_DEP_1) | instskip(SKIP_1) | instid1(VALU_DEP_2)
	v_pk_fma_f32 v[92:93], v[34:35], v[32:33], v[36:37] op_sel:[1,0,0] op_sel_hi:[0,0,1] neg_lo:[0,0,1] neg_hi:[0,0,1]
	v_pk_fma_f32 v[32:33], v[34:35], v[32:33], v[36:37] op_sel:[1,0,0] op_sel_hi:[0,1,1]
	v_mov_b32_e32 v33, v93
	s_delay_alu instid0(VALU_DEP_1)
	v_pk_add_f32 v[32:33], v[32:33], 0 op_sel_hi:[1,0]
	s_and_saveexec_b32 s57, s16
	s_cbranch_execnz .LBB71_1158
; %bb.965:                              ;   in Loop: Header=BB71_3 Depth=1
	s_or_b32 exec_lo, exec_lo, s57
	s_and_saveexec_b32 s57, s17
	s_cbranch_execnz .LBB71_1159
.LBB71_966:                             ;   in Loop: Header=BB71_3 Depth=1
	s_or_b32 exec_lo, exec_lo, s57
	s_and_saveexec_b32 s57, s0
	s_cbranch_execz .LBB71_968
.LBB71_967:                             ;   in Loop: Header=BB71_3 Depth=1
	ds_load_b64 v[34:35], v70 offset:30688
	ds_load_b64 v[36:37], v5 offset:29144
	s_wait_dscnt 0x0
	v_pk_mul_f32 v[92:93], v[36:37], v[34:35] op_sel:[0,1]
	s_delay_alu instid0(VALU_DEP_1) | instskip(SKIP_1) | instid1(VALU_DEP_2)
	v_pk_fma_f32 v[94:95], v[36:37], v[34:35], v[92:93] op_sel:[1,0,0] op_sel_hi:[0,0,1] neg_lo:[0,0,1] neg_hi:[0,0,1]
	v_pk_fma_f32 v[34:35], v[36:37], v[34:35], v[92:93] op_sel:[1,0,0] op_sel_hi:[0,1,1]
	v_mov_b32_e32 v35, v95
	s_delay_alu instid0(VALU_DEP_1)
	v_pk_add_f32 v[32:33], v[32:33], v[34:35]
.LBB71_968:                             ;   in Loop: Header=BB71_3 Depth=1
	s_or_b32 exec_lo, exec_lo, s57
	s_delay_alu instid0(VALU_DEP_1) | instskip(NEXT) | instid1(VALU_DEP_1)
	v_pk_add_f32 v[34:35], v[32:33], 0 neg_lo:[1,1] neg_hi:[1,1]
	v_dual_mov_b32 v32, v35 :: v_dual_mov_b32 v33, v34
.LBB71_969:                             ;   in Loop: Header=BB71_3 Depth=1
	s_or_b32 exec_lo, exec_lo, s66
	s_and_saveexec_b32 s57, s101
	s_cbranch_execz .LBB71_971
; %bb.970:                              ;   in Loop: Header=BB71_3 Depth=1
	ds_load_b64 v[34:35], v5 offset:31200
	v_dual_mov_b32 v36, v33 :: v_dual_mov_b32 v37, v32
	s_wait_dscnt 0x0
	s_delay_alu instid0(VALU_DEP_1) | instskip(NEXT) | instid1(VALU_DEP_1)
	v_dual_mul_f32 v92, v36, v34 :: v_dual_mul_f32 v94, v33, v35
	v_pk_fma_f32 v[36:37], v[36:37], v[34:35], v[92:93] op_sel_hi:[1,1,0]
	s_delay_alu instid0(VALU_DEP_2) | instskip(NEXT) | instid1(VALU_DEP_2)
	v_pk_fma_f32 v[32:33], v[32:33], v[34:35], v[94:95] op_sel_hi:[1,1,0] neg_lo:[0,0,1] neg_hi:[0,0,1]
	v_mov_b32_e32 v33, v37
	ds_store_b64 v45, v[32:33]
.LBB71_971:                             ;   in Loop: Header=BB71_3 Depth=1
	s_or_b32 exec_lo, exec_lo, s57
	s_wait_dscnt 0x0
	s_barrier_signal -1
	s_barrier_wait -1
	s_and_saveexec_b32 s57, s102
	s_cbranch_execz .LBB71_973
; %bb.972:                              ;   in Loop: Header=BB71_3 Depth=1
	ds_load_b64 v[34:35], v43 offset:31200
	ds_load_b64 v[36:37], v45
	s_wait_dscnt 0x0
	v_dual_mul_f32 v92, v37, v35 :: v_dual_mul_f32 v93, v36, v35
	s_delay_alu instid0(VALU_DEP_1) | instskip(NEXT) | instid1(VALU_DEP_1)
	v_dual_fma_f32 v92, v36, v34, -v92 :: v_dual_fmac_f32 v93, v37, v34
	v_pk_add_f32 v[32:33], v[32:33], v[92:93]
.LBB71_973:                             ;   in Loop: Header=BB71_3 Depth=1
	s_or_b32 exec_lo, exec_lo, s57
	s_barrier_signal -1
	s_barrier_wait -1
	s_and_saveexec_b32 s57, s103
	s_cbranch_execz .LBB71_975
; %bb.974:                              ;   in Loop: Header=BB71_3 Depth=1
	ds_load_b64 v[34:35], v5 offset:31720
	s_wait_dscnt 0x0
	v_pk_mul_f32 v[36:37], v[32:33], v[34:35] op_sel:[1,1] op_sel_hi:[1,0]
	s_delay_alu instid0(VALU_DEP_1) | instskip(SKIP_1) | instid1(VALU_DEP_2)
	v_pk_fma_f32 v[92:93], v[32:33], v[34:35], v[36:37] op_sel_hi:[0,1,1]
	v_pk_fma_f32 v[34:35], v[32:33], v[34:35], v[36:37] neg_lo:[0,0,1] neg_hi:[0,0,1]
	v_mov_b32_e32 v35, v93
	s_delay_alu instid0(VALU_DEP_1)
	v_mov_b64_e32 v[32:33], v[34:35]
	ds_store_b64 v45, v[34:35]
.LBB71_975:                             ;   in Loop: Header=BB71_3 Depth=1
	s_or_b32 exec_lo, exec_lo, s57
	s_wait_dscnt 0x0
	s_barrier_signal -1
	s_barrier_wait -1
	s_and_saveexec_b32 s57, s104
	s_cbranch_execz .LBB71_977
; %bb.976:                              ;   in Loop: Header=BB71_3 Depth=1
	ds_load_b64 v[34:35], v43 offset:31712
	ds_load_b64 v[36:37], v45
	s_wait_dscnt 0x0
	v_pk_mul_f32 v[92:93], v[36:37], v[34:35] op_sel:[1,1] op_sel_hi:[0,1]
	s_delay_alu instid0(VALU_DEP_1) | instskip(SKIP_1) | instid1(VALU_DEP_2)
	v_pk_fma_f32 v[94:95], v[36:37], v[34:35], v[92:93] op_sel_hi:[1,0,1]
	v_pk_fma_f32 v[34:35], v[36:37], v[34:35], v[92:93] neg_lo:[0,0,1] neg_hi:[0,0,1]
	v_mov_b32_e32 v35, v95
	s_delay_alu instid0(VALU_DEP_1)
	v_pk_add_f32 v[32:33], v[32:33], v[34:35]
.LBB71_977:                             ;   in Loop: Header=BB71_3 Depth=1
	s_or_b32 exec_lo, exec_lo, s57
	s_barrier_signal -1
	s_barrier_wait -1
	s_and_saveexec_b32 s57, vcc_hi
	s_cbranch_execz .LBB71_979
; %bb.978:                              ;   in Loop: Header=BB71_3 Depth=1
	ds_load_b64 v[34:35], v5 offset:32240
	s_wait_dscnt 0x0
	v_pk_mul_f32 v[36:37], v[32:33], v[34:35] op_sel:[1,1] op_sel_hi:[1,0]
	s_delay_alu instid0(VALU_DEP_1) | instskip(SKIP_1) | instid1(VALU_DEP_2)
	v_pk_fma_f32 v[92:93], v[32:33], v[34:35], v[36:37] op_sel_hi:[0,1,1]
	v_pk_fma_f32 v[34:35], v[32:33], v[34:35], v[36:37] neg_lo:[0,0,1] neg_hi:[0,0,1]
	v_mov_b32_e32 v35, v93
	s_delay_alu instid0(VALU_DEP_1)
	v_mov_b64_e32 v[32:33], v[34:35]
	ds_store_b64 v45, v[34:35]
.LBB71_979:                             ;   in Loop: Header=BB71_3 Depth=1
	s_or_b32 exec_lo, exec_lo, s57
	s_wait_dscnt 0x0
	s_barrier_signal -1
	s_barrier_wait -1
	s_and_saveexec_b32 s57, s39
	s_cbranch_execz .LBB71_981
; %bb.980:                              ;   in Loop: Header=BB71_3 Depth=1
	ds_load_b64 v[34:35], v5 offset:32248
	ds_load_b64 v[36:37], v45
	s_wait_dscnt 0x0
	v_pk_mul_f32 v[92:93], v[36:37], v[34:35] op_sel:[1,1] op_sel_hi:[0,1]
	s_delay_alu instid0(VALU_DEP_1) | instskip(SKIP_1) | instid1(VALU_DEP_2)
	v_pk_fma_f32 v[94:95], v[36:37], v[34:35], v[92:93] op_sel_hi:[1,0,1]
	v_pk_fma_f32 v[34:35], v[36:37], v[34:35], v[92:93] neg_lo:[0,0,1] neg_hi:[0,0,1]
	v_mov_b32_e32 v35, v95
	s_delay_alu instid0(VALU_DEP_1)
	v_pk_add_f32 v[32:33], v[32:33], v[34:35]
.LBB71_981:                             ;   in Loop: Header=BB71_3 Depth=1
	s_or_b32 exec_lo, exec_lo, s57
	s_barrier_signal -1
	s_barrier_wait -1
	s_and_saveexec_b32 s57, s39
	s_cbranch_execz .LBB71_983
; %bb.982:                              ;   in Loop: Header=BB71_3 Depth=1
	ds_load_b64 v[34:35], v5 offset:32760
	s_wait_dscnt 0x0
	v_pk_mul_f32 v[36:37], v[32:33], v[34:35] op_sel:[1,1] op_sel_hi:[1,0]
	s_delay_alu instid0(VALU_DEP_1) | instskip(SKIP_1) | instid1(VALU_DEP_2)
	v_pk_fma_f32 v[92:93], v[32:33], v[34:35], v[36:37] op_sel_hi:[0,1,1]
	v_pk_fma_f32 v[34:35], v[32:33], v[34:35], v[36:37] neg_lo:[0,0,1] neg_hi:[0,0,1]
	v_mov_b32_e32 v35, v93
	s_delay_alu instid0(VALU_DEP_1)
	v_mov_b64_e32 v[32:33], v[34:35]
	ds_store_b64 v45, v[34:35]
.LBB71_983:                             ;   in Loop: Header=BB71_3 Depth=1
	s_or_b32 exec_lo, exec_lo, s57
	s_wait_dscnt 0x0
	s_barrier_signal -1
	s_barrier_wait -1
	s_barrier_signal -1
	s_barrier_wait -1
	s_and_saveexec_b32 s57, s2
; %bb.984:                              ;   in Loop: Header=BB71_3 Depth=1
	v_pk_add_f32 v[32:33], v[32:33], 0 neg_lo:[1,1] neg_hi:[1,1]
	ds_store_b64 v46, v[32:33] offset:29152
; %bb.985:                              ;   in Loop: Header=BB71_3 Depth=1
	s_or_b32 exec_lo, exec_lo, s57
	s_wait_dscnt 0x0
	s_barrier_signal -1
	s_barrier_wait -1
	s_barrier_signal -1
	s_barrier_wait -1
	s_and_saveexec_b32 s57, s40
	s_cbranch_execz .LBB71_987
; %bb.986:                              ;   in Loop: Header=BB71_3 Depth=1
	ds_load_b64 v[32:33], v71 offset:29152
	s_wait_dscnt 0x0
	ds_store_b64 v76, v[32:33] offset:31168
	ds_load_b64 v[32:33], v71 offset:29160
	s_wait_dscnt 0x0
	ds_store_b64 v76, v[32:33] offset:31680
	;; [unrolled: 3-line block ×4, first 2 shown]
.LBB71_987:                             ;   in Loop: Header=BB71_3 Depth=1
	s_or_b32 exec_lo, exec_lo, s57
	s_wait_dscnt 0x0
	s_barrier_signal -1
	s_barrier_wait -1
	s_and_saveexec_b32 s57, s14
	s_cbranch_execz .LBB71_989
; %bb.988:                              ;   in Loop: Header=BB71_3 Depth=1
	ds_load_b128 v[32:35], v5 offset:31200
	ds_load_b64 v[36:37], v5 offset:31720
	s_wait_dscnt 0x1
	v_dual_mov_b32 v94, v35 :: v_dual_mov_b32 v95, v34
	s_wait_dscnt 0x0
	v_dual_mul_f32 v93, v37, v33 :: v_dual_mul_f32 v92, v36, v33
	s_delay_alu instid0(VALU_DEP_1) | instskip(NEXT) | instid1(VALU_DEP_2)
	v_xor_b32_e32 v96, 0x80000000, v93
	v_fmac_f32_e32 v92, v37, v32
	s_delay_alu instid0(VALU_DEP_2) | instskip(NEXT) | instid1(VALU_DEP_2)
	v_fmac_f32_e32 v96, v36, v32
	v_pk_mul_f32 v[32:33], v[92:93], v[94:95] op_sel_hi:[0,1]
	s_delay_alu instid0(VALU_DEP_1) | instskip(SKIP_2) | instid1(VALU_DEP_3)
	v_pk_fma_f32 v[36:37], v[96:97], v[34:35], v[32:33] op_sel_hi:[0,1,1]
	v_pk_fma_f32 v[32:33], v[96:97], v[34:35], v[32:33] neg_lo:[0,0,1] neg_hi:[0,0,1]
	v_add_nc_u32_e64 v34, 0x7800, 0
	v_mov_b32_e32 v33, v37
	ds_store_2addr_b64 v34, v[32:33], v[32:33] offset0:61 offset1:124
.LBB71_989:                             ;   in Loop: Header=BB71_3 Depth=1
	s_or_b32 exec_lo, exec_lo, s57
	v_mov_b32_e32 v33, 0
	s_wait_dscnt 0x0
	s_barrier_signal -1
	s_barrier_wait -1
	s_delay_alu instid0(VALU_DEP_1)
	v_mov_b32_e32 v32, v33
	s_and_saveexec_b32 s57, s0
	s_cbranch_execz .LBB71_993
; %bb.990:                              ;   in Loop: Header=BB71_3 Depth=1
	ds_load_b64 v[32:33], v39 offset:31216
	ds_load_b64 v[34:35], v40 offset:31200
	s_wait_dscnt 0x0
	v_dual_mul_f32 v36, v35, v33 :: v_dual_mul_f32 v37, v34, v33
	s_delay_alu instid0(VALU_DEP_1) | instskip(NEXT) | instid1(VALU_DEP_1)
	v_dual_fma_f32 v36, v34, v32, -v36 :: v_dual_fmac_f32 v37, v35, v32
	v_pk_add_f32 v[32:33], v[36:37], 0 op_sel_hi:[1,0]
	s_and_saveexec_b32 s58, s15
	s_cbranch_execz .LBB71_992
; %bb.991:                              ;   in Loop: Header=BB71_3 Depth=1
	ds_load_b64 v[34:35], v76 offset:31728
	ds_load_b64 v[36:37], v5 offset:31208
	s_wait_dscnt 0x0
	v_pk_mul_f32 v[92:93], v[36:37], v[34:35] op_sel:[1,1] op_sel_hi:[0,1]
	s_delay_alu instid0(VALU_DEP_1) | instskip(SKIP_1) | instid1(VALU_DEP_2)
	v_pk_fma_f32 v[94:95], v[36:37], v[34:35], v[92:93] op_sel_hi:[1,0,1]
	v_pk_fma_f32 v[34:35], v[36:37], v[34:35], v[92:93] neg_lo:[0,0,1] neg_hi:[0,0,1]
	v_mov_b32_e32 v35, v95
	s_delay_alu instid0(VALU_DEP_1)
	v_pk_add_f32 v[32:33], v[32:33], v[34:35]
.LBB71_992:                             ;   in Loop: Header=BB71_3 Depth=1
	s_or_b32 exec_lo, exec_lo, s58
	s_delay_alu instid0(VALU_DEP_1)
	v_pk_add_f32 v[32:33], v[32:33], 0 neg_lo:[1,1] neg_hi:[1,1]
.LBB71_993:                             ;   in Loop: Header=BB71_3 Depth=1
	s_or_b32 exec_lo, exec_lo, s57
	s_and_saveexec_b32 s57, s98
	s_cbranch_execz .LBB71_995
; %bb.994:                              ;   in Loop: Header=BB71_3 Depth=1
	ds_load_b64 v[34:35], v5 offset:32240
	s_wait_dscnt 0x0
	v_pk_mul_f32 v[36:37], v[32:33], v[34:35] op_sel:[1,1] op_sel_hi:[1,0]
	s_delay_alu instid0(VALU_DEP_1) | instskip(SKIP_1) | instid1(VALU_DEP_2)
	v_pk_fma_f32 v[92:93], v[32:33], v[34:35], v[36:37] op_sel_hi:[0,1,1]
	v_pk_fma_f32 v[34:35], v[32:33], v[34:35], v[36:37] neg_lo:[0,0,1] neg_hi:[0,0,1]
	v_mov_b32_e32 v35, v93
	s_delay_alu instid0(VALU_DEP_1)
	v_mov_b64_e32 v[32:33], v[34:35]
	ds_store_b64 v3, v[34:35]
.LBB71_995:                             ;   in Loop: Header=BB71_3 Depth=1
	s_or_b32 exec_lo, exec_lo, s57
	s_wait_dscnt 0x0
	s_barrier_signal -1
	s_barrier_wait -1
	s_and_saveexec_b32 s57, s99
	s_cbranch_execz .LBB71_997
; %bb.996:                              ;   in Loop: Header=BB71_3 Depth=1
	ds_load_b64 v[34:35], v5 offset:32248
	ds_load_b64 v[36:37], v3
	s_wait_dscnt 0x0
	v_pk_mul_f32 v[92:93], v[36:37], v[34:35] op_sel:[1,1] op_sel_hi:[0,1]
	s_delay_alu instid0(VALU_DEP_1) | instskip(SKIP_1) | instid1(VALU_DEP_2)
	v_pk_fma_f32 v[94:95], v[36:37], v[34:35], v[92:93] op_sel_hi:[1,0,1]
	v_pk_fma_f32 v[34:35], v[36:37], v[34:35], v[92:93] neg_lo:[0,0,1] neg_hi:[0,0,1]
	v_mov_b32_e32 v35, v95
	s_delay_alu instid0(VALU_DEP_1)
	v_pk_add_f32 v[32:33], v[32:33], v[34:35]
.LBB71_997:                             ;   in Loop: Header=BB71_3 Depth=1
	s_or_b32 exec_lo, exec_lo, s57
	s_barrier_signal -1
	s_barrier_wait -1
	s_and_saveexec_b32 s57, s99
	s_cbranch_execz .LBB71_999
; %bb.998:                              ;   in Loop: Header=BB71_3 Depth=1
	ds_load_b64 v[34:35], v5 offset:32760
	s_wait_dscnt 0x0
	v_pk_mul_f32 v[36:37], v[32:33], v[34:35] op_sel:[1,1] op_sel_hi:[1,0]
	s_delay_alu instid0(VALU_DEP_1) | instskip(SKIP_1) | instid1(VALU_DEP_2)
	v_pk_fma_f32 v[92:93], v[32:33], v[34:35], v[36:37] op_sel_hi:[0,1,1]
	v_pk_fma_f32 v[34:35], v[32:33], v[34:35], v[36:37] neg_lo:[0,0,1] neg_hi:[0,0,1]
	v_mov_b32_e32 v35, v93
	s_delay_alu instid0(VALU_DEP_1)
	v_mov_b64_e32 v[32:33], v[34:35]
	ds_store_b64 v3, v[34:35]
.LBB71_999:                             ;   in Loop: Header=BB71_3 Depth=1
	s_or_b32 exec_lo, exec_lo, s57
	s_wait_dscnt 0x0
	s_barrier_signal -1
	s_barrier_wait -1
	s_barrier_signal -1
	s_barrier_wait -1
	s_and_saveexec_b32 s57, s0
; %bb.1000:                             ;   in Loop: Header=BB71_3 Depth=1
	v_pk_add_f32 v[32:33], v[32:33], 0 neg_lo:[1,1] neg_hi:[1,1]
	ds_store_b64 v39, v[32:33] offset:31216
; %bb.1001:                             ;   in Loop: Header=BB71_3 Depth=1
	s_or_b32 exec_lo, exec_lo, s57
	s_wait_dscnt 0x0
	s_barrier_signal -1
	s_barrier_wait -1
	s_barrier_signal -1
	s_barrier_wait -1
	s_and_saveexec_b32 s57, s100
	s_cbranch_execz .LBB71_1003
; %bb.1002:                             ;   in Loop: Header=BB71_3 Depth=1
	ds_load_b64 v[32:33], v77 offset:31216
	s_wait_dscnt 0x0
	ds_store_b64 v76, v[32:33] offset:32224
	ds_load_b64 v[32:33], v77 offset:31224
	s_wait_dscnt 0x0
	ds_store_b64 v76, v[32:33] offset:32736
.LBB71_1003:                            ;   in Loop: Header=BB71_3 Depth=1
	s_or_b32 exec_lo, exec_lo, s57
	s_wait_dscnt 0x0
	s_barrier_signal -1
	s_barrier_wait -1
	s_and_saveexec_b32 s57, s14
	s_cbranch_execz .LBB71_1005
; %bb.1004:                             ;   in Loop: Header=BB71_3 Depth=1
	ds_load_b128 v[32:35], v5 offset:32240
	ds_load_b64 v[36:37], v5 offset:32760
	s_wait_dscnt 0x1
	v_dual_mov_b32 v94, v35 :: v_dual_mov_b32 v95, v34
	s_wait_dscnt 0x0
	v_dual_mul_f32 v93, v37, v33 :: v_dual_mul_f32 v92, v36, v33
	s_delay_alu instid0(VALU_DEP_1) | instskip(NEXT) | instid1(VALU_DEP_2)
	v_xor_b32_e32 v96, 0x80000000, v93
	v_fmac_f32_e32 v92, v37, v32
	s_delay_alu instid0(VALU_DEP_2) | instskip(NEXT) | instid1(VALU_DEP_2)
	v_fmac_f32_e32 v96, v36, v32
	v_pk_mul_f32 v[32:33], v[92:93], v[94:95] op_sel_hi:[0,1]
	s_delay_alu instid0(VALU_DEP_1) | instskip(SKIP_2) | instid1(VALU_DEP_3)
	v_pk_fma_f32 v[36:37], v[96:97], v[34:35], v[32:33] op_sel_hi:[0,1,1]
	v_pk_fma_f32 v[32:33], v[96:97], v[34:35], v[32:33] neg_lo:[0,0,1] neg_hi:[0,0,1]
	v_add_nc_u32_e64 v34, 0x7800, 0
	v_mov_b32_e32 v33, v37
	ds_store_2addr_b64 v34, v[32:33], v[32:33] offset0:191 offset1:254
.LBB71_1005:                            ;   in Loop: Header=BB71_3 Depth=1
	s_or_b32 exec_lo, exec_lo, s57
.LBB71_1006:                            ;   in Loop: Header=BB71_3 Depth=1
	v_readlane_b32 s58, v102, 3
	v_mov_b64_e32 v[32:33], 0
	v_readlane_b32 s59, v102, 4
	s_mul_u64 s[66:67], s[78:79], s[80:81]
	s_wait_dscnt 0x0
	s_lshl_b64 s[66:67], s[66:67], 3
	s_barrier_signal -1
	s_add_nc_u64 s[68:69], s[58:59], s[66:67]
	s_barrier_wait -1
	s_and_saveexec_b32 s57, s75
	s_cbranch_execz .LBB71_1008
; %bb.1007:                             ;   in Loop: Header=BB71_3 Depth=1
	v_lshl_add_u64 v[32:33], v[0:1], 3, s[68:69]
	v_readlane_b32 s58, v102, 27
	v_readlane_b32 s59, v102, 28
	global_load_b64 v[32:33], v[32:33], off
	v_mov_b64_e32 v[34:35], s[58:59]
	v_readlane_b32 s58, v102, 29
	v_readlane_b32 s59, v102, 30
	s_delay_alu instid0(VALU_DEP_1) | instskip(SKIP_1) | instid1(VALU_DEP_4)
	v_mov_b64_e32 v[36:37], s[58:59]
	s_wait_loadcnt 0x0
	v_pk_mul_f32 v[34:35], v[34:35], v[32:33]
	s_wait_xcnt 0x0
	s_delay_alu instid0(VALU_DEP_1)
	v_pk_fma_f32 v[32:33], v[36:37], v[32:33], v[34:35] op_sel:[0,0,1] op_sel_hi:[1,1,0] neg_lo:[1,0,0] neg_hi:[1,0,0]
.LBB71_1008:                            ;   in Loop: Header=BB71_3 Depth=1
	s_or_b32 exec_lo, exec_lo, s57
	s_delay_alu instid0(SALU_CYCLE_1)
	s_and_not1_b32 vcc_lo, exec_lo, s72
	s_cbranch_vccnz .LBB71_1027
; %bb.1009:                             ;   in Loop: Header=BB71_3 Depth=1
	v_mov_b32_e32 v92, -1
	s_lshl_b64 s[66:67], s[80:81], 2
	s_delay_alu instid0(SALU_CYCLE_1)
	s_add_nc_u64 s[90:91], s[84:85], s[66:67]
	s_mov_b32 s67, 0
	s_branch .LBB71_1011
.LBB71_1010:                            ;   in Loop: Header=BB71_1011 Depth=2
	s_or_b32 exec_lo, exec_lo, s57
	s_add_co_i32 s67, s67, 1
	s_delay_alu instid0(SALU_CYCLE_1)
	s_cmp_eq_u32 s67, s93
	s_cbranch_scc1 .LBB71_1027
.LBB71_1011:                            ;   Parent Loop BB71_3 Depth=1
                                        ; =>  This Loop Header: Depth=2
                                        ;       Child Loop BB71_1013 Depth 3
	v_cmp_gt_i32_e32 vcc_lo, s67, v92
	s_and_b32 s58, s36, vcc_lo
	s_delay_alu instid0(SALU_CYCLE_1)
	s_and_saveexec_b32 s57, s58
	s_cbranch_execz .LBB71_1014
; %bb.1012:                             ;   in Loop: Header=BB71_1011 Depth=2
	global_load_b32 v92, v5, s[90:91]
	s_wait_loadcnt 0x0
	v_cmp_le_i32_e32 vcc_lo, s67, v92
	s_cbranch_vccnz .LBB71_1014
.LBB71_1013:                            ;   Parent Loop BB71_3 Depth=1
                                        ;     Parent Loop BB71_1011 Depth=2
                                        ; =>    This Inner Loop Header: Depth=3
	global_wb scope:SCOPE_DEV
	s_wait_storecnt 0x0
	global_inv scope:SCOPE_DEV
	global_load_b32 v92, v5, s[90:91]
	s_wait_loadcnt 0x0
	v_cmp_gt_i32_e32 vcc_lo, s67, v92
	s_cbranch_vccnz .LBB71_1013
.LBB71_1014:                            ;   in Loop: Header=BB71_1011 Depth=2
	s_wait_xcnt 0x0
	s_or_b32 exec_lo, exec_lo, s57
	s_sub_co_i32 s57, s94, s67
	global_wb scope:SCOPE_DEV
	s_wait_storecnt 0x0
	global_inv scope:SCOPE_DEV
	s_lshl_b32 s66, s57, 6
	s_wait_loadcnt 0x0
	s_barrier_signal -1
	s_barrier_wait -1
	s_and_saveexec_b32 s58, s37
	s_cbranch_execz .LBB71_1019
; %bb.1015:                             ;   in Loop: Header=BB71_1011 Depth=2
	s_ashr_i32 vcc_lo, s66, 31
	s_delay_alu instid0(SALU_CYCLE_1) | instskip(NEXT) | instid1(VALU_DEP_1)
	v_dual_mov_b32 v35, vcc_lo :: v_dual_bitop2_b32 v34, s66, v4 bitop3:0x54
	v_cmp_le_i64_e32 vcc_lo, s[82:83], v[34:35]
	s_and_saveexec_b32 s59, vcc_lo
	s_delay_alu instid0(SALU_CYCLE_1)
	s_xor_b32 vcc_lo, exec_lo, s59
; %bb.1016:                             ;   in Loop: Header=BB71_1011 Depth=2
	ds_store_b64 v85, v[28:29]
                                        ; implicit-def: $vgpr34_vgpr35
; %bb.1017:                             ;   in Loop: Header=BB71_1011 Depth=2
	s_and_not1_saveexec_b32 s59, vcc_lo
	s_cbranch_execz .LBB71_1019
; %bb.1018:                             ;   in Loop: Header=BB71_1011 Depth=2
	v_mul_u64_e32 v[34:35], s[76:77], v[34:35]
	s_delay_alu instid0(VALU_DEP_1)
	v_lshl_add_u64 v[34:35], v[34:35], 3, s[68:69]
	global_load_b64 v[34:35], v[34:35], off
	s_wait_loadcnt 0x0
	ds_store_b64 v85, v[34:35]
.LBB71_1019:                            ;   in Loop: Header=BB71_1011 Depth=2
	s_or_b32 exec_lo, exec_lo, s58
	v_add_nc_u32_e32 v34, s66, v38
	s_cmp_eq_u32 s57, s73
	s_wait_dscnt 0x0
	s_cselect_b32 vcc_lo, -1, 0
	s_barrier_signal -1
	v_ashrrev_i32_e32 v35, 31, v34
	v_cmp_gt_i32_e64 s66, s82, v34
	s_barrier_wait -1
	s_delay_alu instid0(VALU_DEP_2) | instskip(SKIP_1) | instid1(SALU_CYCLE_1)
	v_lshl_add_u64 v[36:37], v[34:35], 3, v[30:31]
	s_and_b32 s58, s66, s5
	s_and_saveexec_b32 s57, s58
	s_cbranch_execz .LBB71_1021
; %bb.1020:                             ;   in Loop: Header=BB71_1011 Depth=2
	s_delay_alu instid0(VALU_DEP_1) | instskip(SKIP_4) | instid1(VALU_DEP_1)
	v_dual_cndmask_b32 v95, v37, v21 :: v_dual_cndmask_b32 v94, v36, v20
	ds_load_b64 v[96:97], v78
	flat_load_b64 v[94:95], v[94:95]
	s_wait_loadcnt_dscnt 0x0
	v_dual_mul_f32 v35, v97, v95 :: v_dual_mul_f32 v93, v96, v95
	v_dual_fma_f32 v35, v96, v94, -v35 :: v_dual_fmac_f32 v93, v97, v94
	s_delay_alu instid0(VALU_DEP_1)
	v_dual_add_f32 v32, v32, v35 :: v_dual_add_f32 v33, v33, v93
.LBB71_1021:                            ;   in Loop: Header=BB71_1011 Depth=2
	s_or_b32 exec_lo, exec_lo, s57
	v_add_nc_u32_e32 v35, 16, v34
	s_delay_alu instid0(VALU_DEP_1) | instskip(SKIP_1) | instid1(SALU_CYCLE_1)
	v_cmp_gt_i32_e64 s66, s82, v35
	s_and_b32 s58, s66, s5
	s_and_saveexec_b32 s57, s58
	s_cbranch_execz .LBB71_1023
; %bb.1022:                             ;   in Loop: Header=BB71_1011 Depth=2
	v_add_nc_u64_e32 v[94:95], 0x80, v[36:37]
	ds_load_b64 v[96:97], v78 offset:128
	v_dual_cndmask_b32 v95, v95, v23 :: v_dual_cndmask_b32 v94, v94, v22
	flat_load_b64 v[94:95], v[94:95]
	s_wait_loadcnt_dscnt 0x0
	v_dual_mul_f32 v35, v97, v95 :: v_dual_mul_f32 v93, v96, v95
	s_delay_alu instid0(VALU_DEP_1) | instskip(NEXT) | instid1(VALU_DEP_1)
	v_dual_fma_f32 v35, v96, v94, -v35 :: v_dual_fmac_f32 v93, v97, v94
	v_dual_add_f32 v32, v32, v35 :: v_dual_add_f32 v33, v33, v93
.LBB71_1023:                            ;   in Loop: Header=BB71_1011 Depth=2
	s_or_b32 exec_lo, exec_lo, s57
	v_add_nc_u32_e32 v35, 32, v34
	s_delay_alu instid0(VALU_DEP_1) | instskip(SKIP_1) | instid1(SALU_CYCLE_1)
	v_cmp_gt_i32_e64 s66, s82, v35
	s_and_b32 s58, s66, s5
	s_and_saveexec_b32 s57, s58
	s_cbranch_execz .LBB71_1025
; %bb.1024:                             ;   in Loop: Header=BB71_1011 Depth=2
	v_add_nc_u64_e32 v[94:95], 0x100, v[36:37]
	ds_load_b64 v[96:97], v78 offset:256
	v_dual_cndmask_b32 v95, v95, v25 :: v_dual_cndmask_b32 v94, v94, v24
	flat_load_b64 v[94:95], v[94:95]
	s_wait_loadcnt_dscnt 0x0
	v_dual_mul_f32 v35, v97, v95 :: v_dual_mul_f32 v99, v96, v95
	s_delay_alu instid0(VALU_DEP_1) | instskip(NEXT) | instid1(VALU_DEP_2)
	v_fma_f32 v98, v96, v94, -v35
	v_fmac_f32_e32 v99, v97, v94
	s_delay_alu instid0(VALU_DEP_1)
	v_pk_add_f32 v[32:33], v[32:33], v[98:99]
.LBB71_1025:                            ;   in Loop: Header=BB71_1011 Depth=2
	s_or_b32 exec_lo, exec_lo, s57
	v_add_nc_u32_e32 v34, 48, v34
	s_delay_alu instid0(VALU_DEP_1) | instskip(SKIP_1) | instid1(SALU_CYCLE_1)
	v_cmp_gt_i32_e64 s66, s82, v34
	s_and_b32 s58, s66, s5
	s_and_saveexec_b32 s57, s58
	s_cbranch_execz .LBB71_1010
; %bb.1026:                             ;   in Loop: Header=BB71_1011 Depth=2
	v_add_nc_u64_e32 v[34:35], 0x180, v[36:37]
	ds_load_b64 v[36:37], v78 offset:384
	v_dual_cndmask_b32 v35, v35, v27 :: v_dual_cndmask_b32 v34, v34, v26
	flat_load_b64 v[34:35], v[34:35]
	s_wait_loadcnt_dscnt 0x0
	v_pk_mul_f32 v[94:95], v[36:37], v[34:35] op_sel:[1,1] op_sel_hi:[0,1]
	s_delay_alu instid0(VALU_DEP_1) | instskip(SKIP_1) | instid1(VALU_DEP_2)
	v_pk_fma_f32 v[96:97], v[36:37], v[34:35], v[94:95] op_sel_hi:[1,0,1]
	v_pk_fma_f32 v[34:35], v[36:37], v[34:35], v[94:95] neg_lo:[0,0,1] neg_hi:[0,0,1]
	v_mov_b32_e32 v35, v97
	s_delay_alu instid0(VALU_DEP_1)
	v_pk_add_f32 v[32:33], v[32:33], v[34:35]
	s_branch .LBB71_1010
.LBB71_1027:                            ;   in Loop: Header=BB71_3 Depth=1
	ds_store_b64 v86, v[32:33]
	s_wait_dscnt 0x0
	s_barrier_signal -1
	s_barrier_wait -1
	s_and_saveexec_b32 s57, s1
	s_cbranch_execz .LBB71_1029
; %bb.1028:                             ;   in Loop: Header=BB71_3 Depth=1
	ds_load_2addr_stride64_b64 v[34:37], v87 offset0:1 offset1:2
	ds_load_2addr_stride64_b64 v[92:95], v87 offset0:3 offset1:4
	;; [unrolled: 1-line block ×3, first 2 shown]
	s_wait_dscnt 0x2
	v_pk_add_f32 v[30:31], v[32:33], v[34:35]
	s_delay_alu instid0(VALU_DEP_1) | instskip(SKIP_3) | instid1(VALU_DEP_1)
	v_pk_add_f32 v[34:35], v[30:31], v[36:37]
	ds_load_2addr_stride64_b64 v[30:33], v87 offset0:7 offset1:8
	s_wait_dscnt 0x2
	v_pk_add_f32 v[34:35], v[34:35], v[92:93]
	v_pk_add_f32 v[92:93], v[34:35], v[94:95]
	ds_load_2addr_stride64_b64 v[34:37], v87 offset0:9 offset1:10
	s_wait_dscnt 0x2
	v_pk_add_f32 v[92:93], v[92:93], v[96:97]
	s_delay_alu instid0(VALU_DEP_1) | instskip(SKIP_3) | instid1(VALU_DEP_1)
	v_pk_add_f32 v[96:97], v[92:93], v[98:99]
	ds_load_2addr_stride64_b64 v[92:95], v87 offset0:11 offset1:12
	s_wait_dscnt 0x2
	v_pk_add_f32 v[30:31], v[96:97], v[30:31]
	v_pk_add_f32 v[96:97], v[30:31], v[32:33]
	ds_load_2addr_stride64_b64 v[30:33], v87 offset0:13 offset1:14
	s_wait_dscnt 0x2
	v_pk_add_f32 v[34:35], v[96:97], v[34:35]
	s_delay_alu instid0(VALU_DEP_1) | instskip(SKIP_3) | instid1(VALU_DEP_1)
	v_pk_add_f32 v[34:35], v[34:35], v[36:37]
	ds_load_b64 v[36:37], v87 offset:7680
	s_wait_dscnt 0x2
	v_pk_add_f32 v[34:35], v[34:35], v[92:93]
	v_pk_add_f32 v[34:35], v[34:35], v[94:95]
	s_wait_dscnt 0x1
	s_delay_alu instid0(VALU_DEP_1) | instskip(NEXT) | instid1(VALU_DEP_1)
	v_pk_add_f32 v[30:31], v[34:35], v[30:31]
	v_pk_add_f32 v[30:31], v[30:31], v[32:33]
	s_wait_dscnt 0x0
	s_delay_alu instid0(VALU_DEP_1) | instskip(NEXT) | instid1(VALU_DEP_1)
	v_pk_add_f32 v[30:31], v[30:31], v[36:37]
	v_cndmask_b32_e64 v33, -v31, 0, s74
	s_delay_alu instid0(VALU_DEP_2)
	v_cndmask_b32_e64 v32, -v30, 0, s74
.LBB71_1029:                            ;   in Loop: Header=BB71_3 Depth=1
	s_or_b32 exec_lo, exec_lo, s57
	s_delay_alu instid0(SALU_CYCLE_1)
	s_and_not1_b32 vcc_lo, exec_lo, s97
	s_cbranch_vccnz .LBB71_1039
; %bb.1030:                             ;   in Loop: Header=BB71_3 Depth=1
	s_and_saveexec_b32 s57, s1
; %bb.1031:                             ;   in Loop: Header=BB71_3 Depth=1
	ds_store_b64 v89, v[32:33]
; %bb.1032:                             ;   in Loop: Header=BB71_3 Depth=1
	s_or_b32 exec_lo, exec_lo, s57
	v_mov_b64_e32 v[30:31], 0
	s_wait_dscnt 0x0
	s_barrier_signal -1
	s_barrier_wait -1
	s_and_saveexec_b32 s57, s6
	s_cbranch_execnz .LBB71_1103
; %bb.1033:                             ;   in Loop: Header=BB71_3 Depth=1
	s_or_b32 exec_lo, exec_lo, s57
	s_and_saveexec_b32 s57, s7
	s_cbranch_execnz .LBB71_1104
.LBB71_1034:                            ;   in Loop: Header=BB71_3 Depth=1
	s_or_b32 exec_lo, exec_lo, s57
	s_and_saveexec_b32 s57, s8
	s_cbranch_execnz .LBB71_1105
.LBB71_1035:                            ;   in Loop: Header=BB71_3 Depth=1
	s_or_b32 exec_lo, exec_lo, s57
	s_and_saveexec_b32 s57, s9
	s_cbranch_execz .LBB71_1037
.LBB71_1036:                            ;   in Loop: Header=BB71_3 Depth=1
	ds_load_b64 v[34:35], v88 offset:24576
	ds_load_b64 v[36:37], v78 offset:384
	s_wait_dscnt 0x0
	v_pk_mul_f32 v[92:93], v[36:37], v[34:35] op_sel:[1,1] op_sel_hi:[0,1]
	s_delay_alu instid0(VALU_DEP_1) | instskip(SKIP_1) | instid1(VALU_DEP_2)
	v_pk_fma_f32 v[94:95], v[36:37], v[34:35], v[92:93] op_sel_hi:[1,0,1]
	v_pk_fma_f32 v[34:35], v[36:37], v[34:35], v[92:93] neg_lo:[0,0,1] neg_hi:[0,0,1]
	v_mov_b32_e32 v35, v95
	s_delay_alu instid0(VALU_DEP_1)
	v_pk_add_f32 v[30:31], v[30:31], v[34:35]
.LBB71_1037:                            ;   in Loop: Header=BB71_3 Depth=1
	s_or_b32 exec_lo, exec_lo, s57
	s_mov_b32 s67, 0
	s_mov_b32 s66, 0
	ds_store_b64 v86, v[30:31]
	s_wait_dscnt 0x0
	s_barrier_signal -1
	s_barrier_wait -1
                                        ; implicit-def: $vgpr34_vgpr35
	s_and_saveexec_b32 s57, s1
	s_cbranch_execz .LBB71_1106
; %bb.1038:                             ;   in Loop: Header=BB71_3 Depth=1
	ds_load_2addr_stride64_b64 v[34:37], v87 offset0:1 offset1:2
	ds_load_2addr_stride64_b64 v[92:95], v87 offset0:3 offset1:4
	;; [unrolled: 1-line block ×3, first 2 shown]
	s_mov_b32 s66, exec_lo
	s_wait_dscnt 0x2
	v_pk_add_f32 v[30:31], v[30:31], v[34:35]
	s_delay_alu instid0(VALU_DEP_1) | instskip(SKIP_3) | instid1(VALU_DEP_1)
	v_pk_add_f32 v[30:31], v[30:31], v[36:37]
	ds_load_2addr_stride64_b64 v[34:37], v87 offset0:7 offset1:8
	s_wait_dscnt 0x2
	v_pk_add_f32 v[30:31], v[30:31], v[92:93]
	v_pk_add_f32 v[30:31], v[30:31], v[94:95]
	ds_load_2addr_stride64_b64 v[92:95], v87 offset0:9 offset1:10
	s_wait_dscnt 0x2
	v_pk_add_f32 v[30:31], v[30:31], v[96:97]
	s_delay_alu instid0(VALU_DEP_1) | instskip(SKIP_3) | instid1(VALU_DEP_1)
	v_pk_add_f32 v[30:31], v[30:31], v[98:99]
	ds_load_2addr_stride64_b64 v[96:99], v87 offset0:11 offset1:12
	s_wait_dscnt 0x2
	v_pk_add_f32 v[30:31], v[30:31], v[34:35]
	v_pk_add_f32 v[30:31], v[30:31], v[36:37]
	ds_load_2addr_stride64_b64 v[34:37], v87 offset0:13 offset1:14
	s_wait_dscnt 0x2
	v_pk_add_f32 v[30:31], v[30:31], v[92:93]
	ds_load_b64 v[92:93], v87 offset:7680
	v_pk_add_f32 v[30:31], v[30:31], v[94:95]
	s_wait_dscnt 0x2
	s_delay_alu instid0(VALU_DEP_1) | instskip(NEXT) | instid1(VALU_DEP_1)
	v_pk_add_f32 v[30:31], v[30:31], v[96:97]
	v_pk_add_f32 v[30:31], v[30:31], v[98:99]
	s_wait_dscnt 0x1
	s_delay_alu instid0(VALU_DEP_1) | instskip(NEXT) | instid1(VALU_DEP_1)
	v_pk_add_f32 v[30:31], v[30:31], v[34:35]
	v_pk_add_f32 v[30:31], v[30:31], v[36:37]
	s_wait_dscnt 0x0
	s_delay_alu instid0(VALU_DEP_1) | instskip(SKIP_1) | instid1(SALU_CYCLE_1)
	v_pk_add_f32 v[34:35], v[30:31], v[92:93]
	s_or_b32 exec_lo, exec_lo, s57
	s_and_b32 vcc_lo, exec_lo, s67
	s_cbranch_vccnz .LBB71_1040
	s_branch .LBB71_1107
.LBB71_1039:                            ;   in Loop: Header=BB71_3 Depth=1
	s_mov_b32 s66, 0
                                        ; implicit-def: $vgpr34_vgpr35
	s_cbranch_execz .LBB71_1107
.LBB71_1040:                            ;   in Loop: Header=BB71_3 Depth=1
	v_dual_mov_b32 v30, v91 :: v_dual_mov_b32 v31, v82
	s_mov_b32 s67, 63
	s_branch .LBB71_1042
.LBB71_1041:                            ;   in Loop: Header=BB71_1042 Depth=2
	s_or_b32 exec_lo, exec_lo, s57
	v_add_nc_u32_e32 v31, 0xfffffc00, v31
	v_add_nc_u32_e32 v30, 2, v30
	s_add_co_i32 s67, s67, -2
	s_cmp_lg_u32 s90, 0
	s_barrier_signal -1
	s_barrier_wait -1
	s_cbranch_scc0 .LBB71_1050
.LBB71_1042:                            ;   Parent Loop BB71_3 Depth=1
                                        ; =>  This Inner Loop Header: Depth=2
	s_delay_alu instid0(VALU_DEP_1) | instskip(SKIP_2) | instid1(SALU_CYCLE_1)
	v_cmp_eq_u32_e32 vcc_lo, 0, v30
	v_add_nc_u32_e32 v34, v77, v41
	s_and_b32 s58, s1, vcc_lo
	s_and_saveexec_b32 s57, s58
	s_cbranch_execz .LBB71_1044
; %bb.1043:                             ;   in Loop: Header=BB71_1042 Depth=2
	ds_load_b64 v[36:37], v34
	s_wait_dscnt 0x0
	v_pk_mul_f32 v[92:93], v[32:33], v[36:37] op_sel:[1,1] op_sel_hi:[1,0]
	s_delay_alu instid0(VALU_DEP_1) | instskip(SKIP_1) | instid1(VALU_DEP_2)
	v_pk_fma_f32 v[94:95], v[32:33], v[36:37], v[92:93] op_sel_hi:[0,1,1]
	v_pk_fma_f32 v[36:37], v[32:33], v[36:37], v[92:93] neg_lo:[0,0,1] neg_hi:[0,0,1]
	v_mov_b32_e32 v37, v95
	s_delay_alu instid0(VALU_DEP_1)
	v_mov_b64_e32 v[32:33], v[36:37]
	ds_store_b64 v5, v[36:37] offset:41472
.LBB71_1044:                            ;   in Loop: Header=BB71_1042 Depth=2
	s_or_b32 exec_lo, exec_lo, s57
	v_cmp_gt_u32_e32 vcc_lo, s67, v2
	s_wait_dscnt 0x0
	s_barrier_signal -1
	s_barrier_wait -1
	s_and_b32 s58, s1, vcc_lo
	s_delay_alu instid0(SALU_CYCLE_1)
	s_and_saveexec_b32 s57, s58
	s_cbranch_execz .LBB71_1046
; %bb.1045:                             ;   in Loop: Header=BB71_1042 Depth=2
	ds_load_b64 v[36:37], v31 offset:512
	ds_load_b64 v[92:93], v5 offset:41472
	s_wait_dscnt 0x0
	v_pk_mul_f32 v[94:95], v[92:93], v[36:37] op_sel:[1,1] op_sel_hi:[0,1]
	s_delay_alu instid0(VALU_DEP_1) | instskip(SKIP_1) | instid1(VALU_DEP_2)
	v_pk_fma_f32 v[96:97], v[92:93], v[36:37], v[94:95] op_sel_hi:[1,0,1]
	v_pk_fma_f32 v[36:37], v[92:93], v[36:37], v[94:95] neg_lo:[0,0,1] neg_hi:[0,0,1]
	v_mov_b32_e32 v37, v97
	s_delay_alu instid0(VALU_DEP_1)
	v_pk_add_f32 v[32:33], v[32:33], v[36:37]
.LBB71_1046:                            ;   in Loop: Header=BB71_1042 Depth=2
	s_or_b32 exec_lo, exec_lo, s57
	s_add_co_i32 s90, s67, -1
	s_delay_alu instid0(SALU_CYCLE_1) | instskip(SKIP_3) | instid1(SALU_CYCLE_1)
	v_cmp_eq_u32_e32 vcc_lo, s90, v2
	s_barrier_signal -1
	s_barrier_wait -1
	s_and_b32 s58, s1, vcc_lo
	s_and_saveexec_b32 s57, s58
	s_cbranch_execz .LBB71_1048
; %bb.1047:                             ;   in Loop: Header=BB71_1042 Depth=2
	ds_load_b64 v[34:35], v34
	s_wait_dscnt 0x0
	v_pk_mul_f32 v[36:37], v[32:33], v[34:35] op_sel:[1,1] op_sel_hi:[1,0]
	s_delay_alu instid0(VALU_DEP_1) | instskip(SKIP_1) | instid1(VALU_DEP_2)
	v_pk_fma_f32 v[92:93], v[32:33], v[34:35], v[36:37] op_sel_hi:[0,1,1]
	v_pk_fma_f32 v[34:35], v[32:33], v[34:35], v[36:37] neg_lo:[0,0,1] neg_hi:[0,0,1]
	v_mov_b32_e32 v35, v93
	s_delay_alu instid0(VALU_DEP_1)
	v_mov_b64_e32 v[32:33], v[34:35]
	ds_store_b64 v5, v[34:35] offset:41472
.LBB71_1048:                            ;   in Loop: Header=BB71_1042 Depth=2
	s_or_b32 exec_lo, exec_lo, s57
	v_cmp_gt_u32_e32 vcc_lo, s90, v2
	s_wait_dscnt 0x0
	s_barrier_signal -1
	s_barrier_wait -1
	s_and_b32 s58, s1, vcc_lo
	s_delay_alu instid0(SALU_CYCLE_1)
	s_and_saveexec_b32 s57, s58
	s_cbranch_execz .LBB71_1041
; %bb.1049:                             ;   in Loop: Header=BB71_1042 Depth=2
	ds_load_b64 v[34:35], v31
	ds_load_b64 v[36:37], v5 offset:41472
	s_wait_dscnt 0x0
	v_pk_mul_f32 v[92:93], v[36:37], v[34:35] op_sel:[1,1] op_sel_hi:[0,1]
	s_delay_alu instid0(VALU_DEP_1) | instskip(SKIP_1) | instid1(VALU_DEP_2)
	v_pk_fma_f32 v[94:95], v[36:37], v[34:35], v[92:93] op_sel_hi:[1,0,1]
	v_pk_fma_f32 v[34:35], v[36:37], v[34:35], v[92:93] neg_lo:[0,0,1] neg_hi:[0,0,1]
	v_mov_b32_e32 v35, v95
	s_delay_alu instid0(VALU_DEP_1)
	v_pk_add_f32 v[32:33], v[32:33], v[34:35]
	s_branch .LBB71_1041
.LBB71_1050:                            ;   in Loop: Header=BB71_3 Depth=1
	s_and_b32 vcc_lo, exec_lo, s95
	s_mov_b32 s57, -1
	s_cbranch_vccnz .LBB71_1108
; %bb.1051:                             ;   in Loop: Header=BB71_3 Depth=1
	s_and_not1_b32 vcc_lo, exec_lo, s57
	s_cbranch_vccz .LBB71_1109
.LBB71_1052:                            ;   in Loop: Header=BB71_3 Depth=1
	s_and_saveexec_b32 s57, s66
	s_cbranch_execz .LBB71_1054
.LBB71_1053:                            ;   in Loop: Header=BB71_3 Depth=1
	v_lshl_add_u64 v[30:31], v[10:11], 3, s[68:69]
	global_store_b64 v[30:31], v[32:33], off
.LBB71_1054:                            ;   in Loop: Header=BB71_3 Depth=1
	s_wait_xcnt 0x0
	s_or_b32 exec_lo, exec_lo, s57
	global_wb scope:SCOPE_DEV
	s_wait_storecnt 0x0
	global_inv scope:SCOPE_DEV
	s_wait_loadcnt 0x0
	s_barrier_signal -1
	s_barrier_wait -1
	s_and_saveexec_b32 s57, s36
	s_cbranch_execz .LBB71_2
; %bb.1055:                             ;   in Loop: Header=BB71_3 Depth=1
	s_lshl_b64 s[66:67], s[80:81], 2
	s_delay_alu instid0(SALU_CYCLE_1)
	s_add_nc_u64 s[66:67], s[84:85], s[66:67]
	global_load_b32 v30, v5, s[66:67]
	s_wait_loadcnt 0x0
	v_add_nc_u32_e32 v30, 1, v30
	global_store_b32 v5, v30, s[66:67]
	s_branch .LBB71_2
.LBB71_1056:                            ;   in Loop: Header=BB71_3 Depth=1
	s_mov_b32 s57, exec_lo
	v_readlane_b32 s58, v102, 19
	s_and_b32 s58, s57, s58
	s_delay_alu instid0(SALU_CYCLE_1)
	s_xor_b32 s57, s58, s57
	s_mov_b32 exec_lo, s58
	s_cbranch_execz .LBB71_1060
; %bb.1057:                             ;   in Loop: Header=BB71_3 Depth=1
	v_readlane_b32 s59, v101, 11
	s_and_saveexec_b32 s58, s59
; %bb.1058:                             ;   in Loop: Header=BB71_3 Depth=1
	ds_store_b64 v72, v[28:29]
; %bb.1059:                             ;   in Loop: Header=BB71_3 Depth=1
	s_or_b32 exec_lo, exec_lo, s58
.LBB71_1060:                            ;   in Loop: Header=BB71_3 Depth=1
	s_and_not1_saveexec_b32 s69, s57
	s_cbranch_execz .LBB71_1066
; %bb.1061:                             ;   in Loop: Header=BB71_3 Depth=1
	v_lshl_add_u64 v[32:33], v[12:13], 3, s[66:67]
                                        ; implicit-def: $vgpr34_vgpr35
	global_load_b64 v[32:33], v[32:33], off
	s_wait_loadcnt 0x0
	v_cmp_ngt_f32_e64 s57, |v32|, |v33|
	s_wait_xcnt 0x0
	s_and_saveexec_b32 s58, s57
	s_delay_alu instid0(SALU_CYCLE_1)
	s_xor_b32 s57, exec_lo, s58
	s_cbranch_execz .LBB71_1063
; %bb.1062:                             ;   in Loop: Header=BB71_3 Depth=1
	v_div_scale_f32 v34, null, v33, v33, v32
	v_div_scale_f32 v37, vcc_lo, v32, v33, v32
	s_delay_alu instid0(VALU_DEP_2) | instskip(SKIP_1) | instid1(TRANS32_DEP_1)
	v_rcp_f32_e32 v35, v34
	v_nop
	v_fma_f32 v36, -v34, v35, 1.0
	s_delay_alu instid0(VALU_DEP_1) | instskip(NEXT) | instid1(VALU_DEP_1)
	v_fmac_f32_e32 v35, v36, v35
	v_mul_f32_e32 v36, v37, v35
	s_delay_alu instid0(VALU_DEP_1) | instskip(NEXT) | instid1(VALU_DEP_1)
	v_fma_f32 v92, -v34, v36, v37
	v_fmac_f32_e32 v36, v92, v35
	s_delay_alu instid0(VALU_DEP_1) | instskip(NEXT) | instid1(VALU_DEP_1)
	v_fma_f32 v34, -v34, v36, v37
	v_div_fmas_f32 v34, v34, v35, v36
	s_delay_alu instid0(VALU_DEP_1) | instskip(NEXT) | instid1(VALU_DEP_1)
	v_div_fixup_f32 v34, v34, v33, v32
	v_fmac_f32_e32 v33, v32, v34
	s_delay_alu instid0(VALU_DEP_1) | instskip(SKIP_1) | instid1(VALU_DEP_2)
	v_div_scale_f32 v32, null, v33, v33, 1.0
	v_div_scale_f32 v37, vcc_lo, 1.0, v33, 1.0
	v_rcp_f32_e32 v35, v32
	v_nop
	s_delay_alu instid0(TRANS32_DEP_1) | instskip(NEXT) | instid1(VALU_DEP_1)
	v_fma_f32 v36, -v32, v35, 1.0
	v_fmac_f32_e32 v35, v36, v35
	s_delay_alu instid0(VALU_DEP_1) | instskip(NEXT) | instid1(VALU_DEP_1)
	v_mul_f32_e32 v36, v37, v35
	v_fma_f32 v92, -v32, v36, v37
	s_delay_alu instid0(VALU_DEP_1) | instskip(NEXT) | instid1(VALU_DEP_1)
	v_fmac_f32_e32 v36, v92, v35
	v_fma_f32 v32, -v32, v36, v37
	s_delay_alu instid0(VALU_DEP_1) | instskip(NEXT) | instid1(VALU_DEP_1)
	v_div_fmas_f32 v32, v32, v35, v36
	v_div_fixup_f32 v32, v32, v33, 1.0
	s_delay_alu instid0(VALU_DEP_1)
	v_mul_f32_e32 v34, v34, v32
	v_xor_b32_e32 v35, 0x80000000, v32
                                        ; implicit-def: $vgpr32_vgpr33
.LBB71_1063:                            ;   in Loop: Header=BB71_3 Depth=1
	s_and_not1_saveexec_b32 s57, s57
	s_cbranch_execz .LBB71_1065
; %bb.1064:                             ;   in Loop: Header=BB71_3 Depth=1
	v_div_scale_f32 v34, null, v32, v32, v33
	v_div_scale_f32 v37, vcc_lo, v33, v32, v33
	s_delay_alu instid0(VALU_DEP_2) | instskip(SKIP_1) | instid1(TRANS32_DEP_1)
	v_rcp_f32_e32 v35, v34
	v_nop
	v_fma_f32 v36, -v34, v35, 1.0
	s_delay_alu instid0(VALU_DEP_1) | instskip(NEXT) | instid1(VALU_DEP_1)
	v_fmac_f32_e32 v35, v36, v35
	v_mul_f32_e32 v36, v37, v35
	s_delay_alu instid0(VALU_DEP_1) | instskip(NEXT) | instid1(VALU_DEP_1)
	v_fma_f32 v92, -v34, v36, v37
	v_fmac_f32_e32 v36, v92, v35
	s_delay_alu instid0(VALU_DEP_1) | instskip(NEXT) | instid1(VALU_DEP_1)
	v_fma_f32 v34, -v34, v36, v37
	v_div_fmas_f32 v34, v34, v35, v36
	s_delay_alu instid0(VALU_DEP_1) | instskip(NEXT) | instid1(VALU_DEP_1)
	v_div_fixup_f32 v35, v34, v32, v33
	v_fmac_f32_e32 v32, v33, v35
	s_delay_alu instid0(VALU_DEP_1) | instskip(NEXT) | instid1(VALU_DEP_1)
	v_div_scale_f32 v33, null, v32, v32, 1.0
	v_rcp_f32_e32 v34, v33
	v_nop
	s_delay_alu instid0(TRANS32_DEP_1) | instskip(NEXT) | instid1(VALU_DEP_1)
	v_fma_f32 v36, -v33, v34, 1.0
	v_fmac_f32_e32 v34, v36, v34
	v_div_scale_f32 v36, vcc_lo, 1.0, v32, 1.0
	s_delay_alu instid0(VALU_DEP_1) | instskip(NEXT) | instid1(VALU_DEP_1)
	v_mul_f32_e32 v37, v36, v34
	v_fma_f32 v92, -v33, v37, v36
	s_delay_alu instid0(VALU_DEP_1) | instskip(NEXT) | instid1(VALU_DEP_1)
	v_fmac_f32_e32 v37, v92, v34
	v_fma_f32 v33, -v33, v37, v36
	s_delay_alu instid0(VALU_DEP_1) | instskip(NEXT) | instid1(VALU_DEP_1)
	v_div_fmas_f32 v33, v33, v34, v37
	v_div_fixup_f32 v34, v33, v32, 1.0
	s_delay_alu instid0(VALU_DEP_1)
	v_mul_f32_e64 v35, v35, -v34
.LBB71_1065:                            ;   in Loop: Header=BB71_3 Depth=1
	s_or_b32 exec_lo, exec_lo, s57
	ds_store_b64 v72, v[34:35]
.LBB71_1066:                            ;   in Loop: Header=BB71_3 Depth=1
	s_or_b32 exec_lo, exec_lo, s69
	s_and_not1_saveexec_b32 s57, s68
	s_cbranch_execz .LBB71_18
.LBB71_1067:                            ;   in Loop: Header=BB71_3 Depth=1
	v_lshl_add_u64 v[32:33], v[12:13], 3, s[66:67]
	global_load_b64 v[32:33], v[32:33], off
	s_wait_loadcnt 0x0
	s_wait_xcnt 0x0
	v_pk_add_f32 v[32:33], v[32:33], 0 neg_lo:[1,1] neg_hi:[1,1]
	ds_store_b64 v72, v[32:33]
	s_or_b32 exec_lo, exec_lo, s57
	s_and_saveexec_b32 s57, s7
	s_delay_alu instid0(SALU_CYCLE_1)
	s_xor_b32 s68, exec_lo, s57
	s_cbranch_execz .LBB71_19
.LBB71_1068:                            ;   in Loop: Header=BB71_3 Depth=1
	s_mov_b32 s57, exec_lo
	v_readlane_b32 s58, v102, 21
	s_and_b32 s58, s57, s58
	s_delay_alu instid0(SALU_CYCLE_1)
	s_xor_b32 s57, s58, s57
	s_mov_b32 exec_lo, s58
	s_cbranch_execz .LBB71_1072
; %bb.1069:                             ;   in Loop: Header=BB71_3 Depth=1
	v_readlane_b32 s59, v101, 12
	s_and_saveexec_b32 s58, s59
; %bb.1070:                             ;   in Loop: Header=BB71_3 Depth=1
	ds_store_b64 v73, v[28:29]
; %bb.1071:                             ;   in Loop: Header=BB71_3 Depth=1
	s_or_b32 exec_lo, exec_lo, s58
.LBB71_1072:                            ;   in Loop: Header=BB71_3 Depth=1
	s_and_not1_saveexec_b32 s69, s57
	s_cbranch_execz .LBB71_1078
; %bb.1073:                             ;   in Loop: Header=BB71_3 Depth=1
	v_lshl_add_u64 v[32:33], v[14:15], 3, s[66:67]
                                        ; implicit-def: $vgpr34_vgpr35
	global_load_b64 v[32:33], v[32:33], off
	s_wait_loadcnt 0x0
	v_cmp_ngt_f32_e64 s57, |v32|, |v33|
	s_wait_xcnt 0x0
	s_and_saveexec_b32 s58, s57
	s_delay_alu instid0(SALU_CYCLE_1)
	s_xor_b32 s57, exec_lo, s58
	s_cbranch_execz .LBB71_1075
; %bb.1074:                             ;   in Loop: Header=BB71_3 Depth=1
	v_div_scale_f32 v34, null, v33, v33, v32
	v_div_scale_f32 v37, vcc_lo, v32, v33, v32
	s_delay_alu instid0(VALU_DEP_2) | instskip(SKIP_1) | instid1(TRANS32_DEP_1)
	v_rcp_f32_e32 v35, v34
	v_nop
	v_fma_f32 v36, -v34, v35, 1.0
	s_delay_alu instid0(VALU_DEP_1) | instskip(NEXT) | instid1(VALU_DEP_1)
	v_fmac_f32_e32 v35, v36, v35
	v_mul_f32_e32 v36, v37, v35
	s_delay_alu instid0(VALU_DEP_1) | instskip(NEXT) | instid1(VALU_DEP_1)
	v_fma_f32 v92, -v34, v36, v37
	v_fmac_f32_e32 v36, v92, v35
	s_delay_alu instid0(VALU_DEP_1) | instskip(NEXT) | instid1(VALU_DEP_1)
	v_fma_f32 v34, -v34, v36, v37
	v_div_fmas_f32 v34, v34, v35, v36
	s_delay_alu instid0(VALU_DEP_1) | instskip(NEXT) | instid1(VALU_DEP_1)
	v_div_fixup_f32 v34, v34, v33, v32
	v_fmac_f32_e32 v33, v32, v34
	s_delay_alu instid0(VALU_DEP_1) | instskip(SKIP_1) | instid1(VALU_DEP_2)
	v_div_scale_f32 v32, null, v33, v33, 1.0
	v_div_scale_f32 v37, vcc_lo, 1.0, v33, 1.0
	v_rcp_f32_e32 v35, v32
	v_nop
	s_delay_alu instid0(TRANS32_DEP_1) | instskip(NEXT) | instid1(VALU_DEP_1)
	v_fma_f32 v36, -v32, v35, 1.0
	v_fmac_f32_e32 v35, v36, v35
	s_delay_alu instid0(VALU_DEP_1) | instskip(NEXT) | instid1(VALU_DEP_1)
	v_mul_f32_e32 v36, v37, v35
	v_fma_f32 v92, -v32, v36, v37
	s_delay_alu instid0(VALU_DEP_1) | instskip(NEXT) | instid1(VALU_DEP_1)
	v_fmac_f32_e32 v36, v92, v35
	v_fma_f32 v32, -v32, v36, v37
	s_delay_alu instid0(VALU_DEP_1) | instskip(NEXT) | instid1(VALU_DEP_1)
	v_div_fmas_f32 v32, v32, v35, v36
	v_div_fixup_f32 v32, v32, v33, 1.0
	s_delay_alu instid0(VALU_DEP_1)
	v_mul_f32_e32 v34, v34, v32
	v_xor_b32_e32 v35, 0x80000000, v32
                                        ; implicit-def: $vgpr32_vgpr33
.LBB71_1075:                            ;   in Loop: Header=BB71_3 Depth=1
	s_and_not1_saveexec_b32 s57, s57
	s_cbranch_execz .LBB71_1077
; %bb.1076:                             ;   in Loop: Header=BB71_3 Depth=1
	v_div_scale_f32 v34, null, v32, v32, v33
	v_div_scale_f32 v37, vcc_lo, v33, v32, v33
	s_delay_alu instid0(VALU_DEP_2) | instskip(SKIP_1) | instid1(TRANS32_DEP_1)
	v_rcp_f32_e32 v35, v34
	v_nop
	v_fma_f32 v36, -v34, v35, 1.0
	s_delay_alu instid0(VALU_DEP_1) | instskip(NEXT) | instid1(VALU_DEP_1)
	v_fmac_f32_e32 v35, v36, v35
	v_mul_f32_e32 v36, v37, v35
	s_delay_alu instid0(VALU_DEP_1) | instskip(NEXT) | instid1(VALU_DEP_1)
	v_fma_f32 v92, -v34, v36, v37
	v_fmac_f32_e32 v36, v92, v35
	s_delay_alu instid0(VALU_DEP_1) | instskip(NEXT) | instid1(VALU_DEP_1)
	v_fma_f32 v34, -v34, v36, v37
	v_div_fmas_f32 v34, v34, v35, v36
	s_delay_alu instid0(VALU_DEP_1) | instskip(NEXT) | instid1(VALU_DEP_1)
	v_div_fixup_f32 v35, v34, v32, v33
	v_fmac_f32_e32 v32, v33, v35
	s_delay_alu instid0(VALU_DEP_1) | instskip(NEXT) | instid1(VALU_DEP_1)
	v_div_scale_f32 v33, null, v32, v32, 1.0
	v_rcp_f32_e32 v34, v33
	v_nop
	s_delay_alu instid0(TRANS32_DEP_1) | instskip(NEXT) | instid1(VALU_DEP_1)
	v_fma_f32 v36, -v33, v34, 1.0
	v_fmac_f32_e32 v34, v36, v34
	v_div_scale_f32 v36, vcc_lo, 1.0, v32, 1.0
	s_delay_alu instid0(VALU_DEP_1) | instskip(NEXT) | instid1(VALU_DEP_1)
	v_mul_f32_e32 v37, v36, v34
	v_fma_f32 v92, -v33, v37, v36
	s_delay_alu instid0(VALU_DEP_1) | instskip(NEXT) | instid1(VALU_DEP_1)
	v_fmac_f32_e32 v37, v92, v34
	v_fma_f32 v33, -v33, v37, v36
	s_delay_alu instid0(VALU_DEP_1) | instskip(NEXT) | instid1(VALU_DEP_1)
	v_div_fmas_f32 v33, v33, v34, v37
	v_div_fixup_f32 v34, v33, v32, 1.0
	s_delay_alu instid0(VALU_DEP_1)
	v_mul_f32_e64 v35, v35, -v34
.LBB71_1077:                            ;   in Loop: Header=BB71_3 Depth=1
	s_or_b32 exec_lo, exec_lo, s57
	ds_store_b64 v73, v[34:35]
.LBB71_1078:                            ;   in Loop: Header=BB71_3 Depth=1
	s_or_b32 exec_lo, exec_lo, s69
	s_and_not1_saveexec_b32 s57, s68
	s_cbranch_execz .LBB71_20
.LBB71_1079:                            ;   in Loop: Header=BB71_3 Depth=1
	v_lshl_add_u64 v[32:33], v[14:15], 3, s[66:67]
	global_load_b64 v[32:33], v[32:33], off
	s_wait_loadcnt 0x0
	s_wait_xcnt 0x0
	v_pk_add_f32 v[32:33], v[32:33], 0 neg_lo:[1,1] neg_hi:[1,1]
	ds_store_b64 v73, v[32:33]
	s_or_b32 exec_lo, exec_lo, s57
	s_and_saveexec_b32 s57, s8
	s_delay_alu instid0(SALU_CYCLE_1)
	s_xor_b32 s68, exec_lo, s57
	s_cbranch_execz .LBB71_21
.LBB71_1080:                            ;   in Loop: Header=BB71_3 Depth=1
	s_mov_b32 s57, exec_lo
	v_readlane_b32 s58, v102, 23
	s_and_b32 s58, s57, s58
	s_delay_alu instid0(SALU_CYCLE_1)
	s_xor_b32 s57, s58, s57
	s_mov_b32 exec_lo, s58
	s_cbranch_execz .LBB71_1084
; %bb.1081:                             ;   in Loop: Header=BB71_3 Depth=1
	v_readlane_b32 s59, v101, 13
	s_and_saveexec_b32 s58, s59
; %bb.1082:                             ;   in Loop: Header=BB71_3 Depth=1
	ds_store_b64 v74, v[28:29]
; %bb.1083:                             ;   in Loop: Header=BB71_3 Depth=1
	s_or_b32 exec_lo, exec_lo, s58
.LBB71_1084:                            ;   in Loop: Header=BB71_3 Depth=1
	s_and_not1_saveexec_b32 s69, s57
	s_cbranch_execz .LBB71_1090
; %bb.1085:                             ;   in Loop: Header=BB71_3 Depth=1
	v_lshl_add_u64 v[32:33], v[16:17], 3, s[66:67]
                                        ; implicit-def: $vgpr34_vgpr35
	global_load_b64 v[32:33], v[32:33], off
	s_wait_loadcnt 0x0
	v_cmp_ngt_f32_e64 s57, |v32|, |v33|
	s_wait_xcnt 0x0
	s_and_saveexec_b32 s58, s57
	s_delay_alu instid0(SALU_CYCLE_1)
	s_xor_b32 s57, exec_lo, s58
	s_cbranch_execz .LBB71_1087
; %bb.1086:                             ;   in Loop: Header=BB71_3 Depth=1
	v_div_scale_f32 v34, null, v33, v33, v32
	v_div_scale_f32 v37, vcc_lo, v32, v33, v32
	s_delay_alu instid0(VALU_DEP_2) | instskip(SKIP_1) | instid1(TRANS32_DEP_1)
	v_rcp_f32_e32 v35, v34
	v_nop
	v_fma_f32 v36, -v34, v35, 1.0
	s_delay_alu instid0(VALU_DEP_1) | instskip(NEXT) | instid1(VALU_DEP_1)
	v_fmac_f32_e32 v35, v36, v35
	v_mul_f32_e32 v36, v37, v35
	s_delay_alu instid0(VALU_DEP_1) | instskip(NEXT) | instid1(VALU_DEP_1)
	v_fma_f32 v92, -v34, v36, v37
	v_fmac_f32_e32 v36, v92, v35
	s_delay_alu instid0(VALU_DEP_1) | instskip(NEXT) | instid1(VALU_DEP_1)
	v_fma_f32 v34, -v34, v36, v37
	v_div_fmas_f32 v34, v34, v35, v36
	s_delay_alu instid0(VALU_DEP_1) | instskip(NEXT) | instid1(VALU_DEP_1)
	v_div_fixup_f32 v34, v34, v33, v32
	v_fmac_f32_e32 v33, v32, v34
	s_delay_alu instid0(VALU_DEP_1) | instskip(SKIP_1) | instid1(VALU_DEP_2)
	v_div_scale_f32 v32, null, v33, v33, 1.0
	v_div_scale_f32 v37, vcc_lo, 1.0, v33, 1.0
	v_rcp_f32_e32 v35, v32
	v_nop
	s_delay_alu instid0(TRANS32_DEP_1) | instskip(NEXT) | instid1(VALU_DEP_1)
	v_fma_f32 v36, -v32, v35, 1.0
	v_fmac_f32_e32 v35, v36, v35
	s_delay_alu instid0(VALU_DEP_1) | instskip(NEXT) | instid1(VALU_DEP_1)
	v_mul_f32_e32 v36, v37, v35
	v_fma_f32 v92, -v32, v36, v37
	s_delay_alu instid0(VALU_DEP_1) | instskip(NEXT) | instid1(VALU_DEP_1)
	v_fmac_f32_e32 v36, v92, v35
	v_fma_f32 v32, -v32, v36, v37
	s_delay_alu instid0(VALU_DEP_1) | instskip(NEXT) | instid1(VALU_DEP_1)
	v_div_fmas_f32 v32, v32, v35, v36
	v_div_fixup_f32 v32, v32, v33, 1.0
	s_delay_alu instid0(VALU_DEP_1)
	v_mul_f32_e32 v34, v34, v32
	v_xor_b32_e32 v35, 0x80000000, v32
                                        ; implicit-def: $vgpr32_vgpr33
.LBB71_1087:                            ;   in Loop: Header=BB71_3 Depth=1
	s_and_not1_saveexec_b32 s57, s57
	s_cbranch_execz .LBB71_1089
; %bb.1088:                             ;   in Loop: Header=BB71_3 Depth=1
	v_div_scale_f32 v34, null, v32, v32, v33
	v_div_scale_f32 v37, vcc_lo, v33, v32, v33
	s_delay_alu instid0(VALU_DEP_2) | instskip(SKIP_1) | instid1(TRANS32_DEP_1)
	v_rcp_f32_e32 v35, v34
	v_nop
	v_fma_f32 v36, -v34, v35, 1.0
	s_delay_alu instid0(VALU_DEP_1) | instskip(NEXT) | instid1(VALU_DEP_1)
	v_fmac_f32_e32 v35, v36, v35
	v_mul_f32_e32 v36, v37, v35
	s_delay_alu instid0(VALU_DEP_1) | instskip(NEXT) | instid1(VALU_DEP_1)
	v_fma_f32 v92, -v34, v36, v37
	v_fmac_f32_e32 v36, v92, v35
	s_delay_alu instid0(VALU_DEP_1) | instskip(NEXT) | instid1(VALU_DEP_1)
	v_fma_f32 v34, -v34, v36, v37
	v_div_fmas_f32 v34, v34, v35, v36
	s_delay_alu instid0(VALU_DEP_1) | instskip(NEXT) | instid1(VALU_DEP_1)
	v_div_fixup_f32 v35, v34, v32, v33
	v_fmac_f32_e32 v32, v33, v35
	s_delay_alu instid0(VALU_DEP_1) | instskip(NEXT) | instid1(VALU_DEP_1)
	v_div_scale_f32 v33, null, v32, v32, 1.0
	v_rcp_f32_e32 v34, v33
	v_nop
	s_delay_alu instid0(TRANS32_DEP_1) | instskip(NEXT) | instid1(VALU_DEP_1)
	v_fma_f32 v36, -v33, v34, 1.0
	v_fmac_f32_e32 v34, v36, v34
	v_div_scale_f32 v36, vcc_lo, 1.0, v32, 1.0
	s_delay_alu instid0(VALU_DEP_1) | instskip(NEXT) | instid1(VALU_DEP_1)
	v_mul_f32_e32 v37, v36, v34
	v_fma_f32 v92, -v33, v37, v36
	s_delay_alu instid0(VALU_DEP_1) | instskip(NEXT) | instid1(VALU_DEP_1)
	v_fmac_f32_e32 v37, v92, v34
	v_fma_f32 v33, -v33, v37, v36
	s_delay_alu instid0(VALU_DEP_1) | instskip(NEXT) | instid1(VALU_DEP_1)
	v_div_fmas_f32 v33, v33, v34, v37
	v_div_fixup_f32 v34, v33, v32, 1.0
	s_delay_alu instid0(VALU_DEP_1)
	v_mul_f32_e64 v35, v35, -v34
.LBB71_1089:                            ;   in Loop: Header=BB71_3 Depth=1
	s_or_b32 exec_lo, exec_lo, s57
	ds_store_b64 v74, v[34:35]
.LBB71_1090:                            ;   in Loop: Header=BB71_3 Depth=1
	s_or_b32 exec_lo, exec_lo, s69
	s_and_not1_saveexec_b32 s57, s68
	s_cbranch_execz .LBB71_22
.LBB71_1091:                            ;   in Loop: Header=BB71_3 Depth=1
	v_lshl_add_u64 v[32:33], v[16:17], 3, s[66:67]
	global_load_b64 v[32:33], v[32:33], off
	s_wait_loadcnt 0x0
	s_wait_xcnt 0x0
	v_pk_add_f32 v[32:33], v[32:33], 0 neg_lo:[1,1] neg_hi:[1,1]
	ds_store_b64 v74, v[32:33]
	s_or_b32 exec_lo, exec_lo, s57
	s_and_saveexec_b32 s57, s9
	s_delay_alu instid0(SALU_CYCLE_1)
	s_xor_b32 s68, exec_lo, s57
	s_cbranch_execz .LBB71_23
.LBB71_1092:                            ;   in Loop: Header=BB71_3 Depth=1
	s_mov_b32 s57, exec_lo
	v_readlane_b32 s58, v102, 25
	s_and_b32 s58, s57, s58
	s_delay_alu instid0(SALU_CYCLE_1)
	s_xor_b32 s57, s58, s57
	s_mov_b32 exec_lo, s58
	s_cbranch_execz .LBB71_1096
; %bb.1093:                             ;   in Loop: Header=BB71_3 Depth=1
	v_readlane_b32 s59, v101, 14
	s_and_saveexec_b32 s58, s59
; %bb.1094:                             ;   in Loop: Header=BB71_3 Depth=1
	ds_store_b64 v75, v[28:29]
; %bb.1095:                             ;   in Loop: Header=BB71_3 Depth=1
	s_or_b32 exec_lo, exec_lo, s58
.LBB71_1096:                            ;   in Loop: Header=BB71_3 Depth=1
	s_and_not1_saveexec_b32 s69, s57
	s_cbranch_execz .LBB71_1102
; %bb.1097:                             ;   in Loop: Header=BB71_3 Depth=1
	v_lshl_add_u64 v[32:33], v[18:19], 3, s[66:67]
                                        ; implicit-def: $vgpr34_vgpr35
	global_load_b64 v[32:33], v[32:33], off
	s_wait_loadcnt 0x0
	v_cmp_ngt_f32_e64 s57, |v32|, |v33|
	s_wait_xcnt 0x0
	s_and_saveexec_b32 s58, s57
	s_delay_alu instid0(SALU_CYCLE_1)
	s_xor_b32 s57, exec_lo, s58
	s_cbranch_execz .LBB71_1099
; %bb.1098:                             ;   in Loop: Header=BB71_3 Depth=1
	v_div_scale_f32 v34, null, v33, v33, v32
	v_div_scale_f32 v37, vcc_lo, v32, v33, v32
	s_delay_alu instid0(VALU_DEP_2) | instskip(SKIP_1) | instid1(TRANS32_DEP_1)
	v_rcp_f32_e32 v35, v34
	v_nop
	v_fma_f32 v36, -v34, v35, 1.0
	s_delay_alu instid0(VALU_DEP_1) | instskip(NEXT) | instid1(VALU_DEP_1)
	v_fmac_f32_e32 v35, v36, v35
	v_mul_f32_e32 v36, v37, v35
	s_delay_alu instid0(VALU_DEP_1) | instskip(NEXT) | instid1(VALU_DEP_1)
	v_fma_f32 v92, -v34, v36, v37
	v_fmac_f32_e32 v36, v92, v35
	s_delay_alu instid0(VALU_DEP_1) | instskip(NEXT) | instid1(VALU_DEP_1)
	v_fma_f32 v34, -v34, v36, v37
	v_div_fmas_f32 v34, v34, v35, v36
	s_delay_alu instid0(VALU_DEP_1) | instskip(NEXT) | instid1(VALU_DEP_1)
	v_div_fixup_f32 v34, v34, v33, v32
	v_fmac_f32_e32 v33, v32, v34
	s_delay_alu instid0(VALU_DEP_1) | instskip(SKIP_1) | instid1(VALU_DEP_2)
	v_div_scale_f32 v32, null, v33, v33, 1.0
	v_div_scale_f32 v37, vcc_lo, 1.0, v33, 1.0
	v_rcp_f32_e32 v35, v32
	v_nop
	s_delay_alu instid0(TRANS32_DEP_1) | instskip(NEXT) | instid1(VALU_DEP_1)
	v_fma_f32 v36, -v32, v35, 1.0
	v_fmac_f32_e32 v35, v36, v35
	s_delay_alu instid0(VALU_DEP_1) | instskip(NEXT) | instid1(VALU_DEP_1)
	v_mul_f32_e32 v36, v37, v35
	v_fma_f32 v92, -v32, v36, v37
	s_delay_alu instid0(VALU_DEP_1) | instskip(NEXT) | instid1(VALU_DEP_1)
	v_fmac_f32_e32 v36, v92, v35
	v_fma_f32 v32, -v32, v36, v37
	s_delay_alu instid0(VALU_DEP_1) | instskip(NEXT) | instid1(VALU_DEP_1)
	v_div_fmas_f32 v32, v32, v35, v36
	v_div_fixup_f32 v32, v32, v33, 1.0
	s_delay_alu instid0(VALU_DEP_1)
	v_mul_f32_e32 v34, v34, v32
	v_xor_b32_e32 v35, 0x80000000, v32
                                        ; implicit-def: $vgpr32_vgpr33
.LBB71_1099:                            ;   in Loop: Header=BB71_3 Depth=1
	s_and_not1_saveexec_b32 s57, s57
	s_cbranch_execz .LBB71_1101
; %bb.1100:                             ;   in Loop: Header=BB71_3 Depth=1
	v_div_scale_f32 v34, null, v32, v32, v33
	v_div_scale_f32 v37, vcc_lo, v33, v32, v33
	s_delay_alu instid0(VALU_DEP_2) | instskip(SKIP_1) | instid1(TRANS32_DEP_1)
	v_rcp_f32_e32 v35, v34
	v_nop
	v_fma_f32 v36, -v34, v35, 1.0
	s_delay_alu instid0(VALU_DEP_1) | instskip(NEXT) | instid1(VALU_DEP_1)
	v_fmac_f32_e32 v35, v36, v35
	v_mul_f32_e32 v36, v37, v35
	s_delay_alu instid0(VALU_DEP_1) | instskip(NEXT) | instid1(VALU_DEP_1)
	v_fma_f32 v92, -v34, v36, v37
	v_fmac_f32_e32 v36, v92, v35
	s_delay_alu instid0(VALU_DEP_1) | instskip(NEXT) | instid1(VALU_DEP_1)
	v_fma_f32 v34, -v34, v36, v37
	v_div_fmas_f32 v34, v34, v35, v36
	s_delay_alu instid0(VALU_DEP_1) | instskip(NEXT) | instid1(VALU_DEP_1)
	v_div_fixup_f32 v35, v34, v32, v33
	v_fmac_f32_e32 v32, v33, v35
	s_delay_alu instid0(VALU_DEP_1) | instskip(NEXT) | instid1(VALU_DEP_1)
	v_div_scale_f32 v33, null, v32, v32, 1.0
	v_rcp_f32_e32 v34, v33
	v_nop
	s_delay_alu instid0(TRANS32_DEP_1) | instskip(NEXT) | instid1(VALU_DEP_1)
	v_fma_f32 v36, -v33, v34, 1.0
	v_fmac_f32_e32 v34, v36, v34
	v_div_scale_f32 v36, vcc_lo, 1.0, v32, 1.0
	s_delay_alu instid0(VALU_DEP_1) | instskip(NEXT) | instid1(VALU_DEP_1)
	v_mul_f32_e32 v37, v36, v34
	v_fma_f32 v92, -v33, v37, v36
	s_delay_alu instid0(VALU_DEP_1) | instskip(NEXT) | instid1(VALU_DEP_1)
	v_fmac_f32_e32 v37, v92, v34
	v_fma_f32 v33, -v33, v37, v36
	s_delay_alu instid0(VALU_DEP_1) | instskip(NEXT) | instid1(VALU_DEP_1)
	v_div_fmas_f32 v33, v33, v34, v37
	v_div_fixup_f32 v34, v33, v32, 1.0
	s_delay_alu instid0(VALU_DEP_1)
	v_mul_f32_e64 v35, v35, -v34
.LBB71_1101:                            ;   in Loop: Header=BB71_3 Depth=1
	s_or_b32 exec_lo, exec_lo, s57
	ds_store_b64 v75, v[34:35]
.LBB71_1102:                            ;   in Loop: Header=BB71_3 Depth=1
	s_or_b32 exec_lo, exec_lo, s69
	s_and_not1_saveexec_b32 s57, s68
	s_cbranch_execnz .LBB71_24
	s_branch .LBB71_25
.LBB71_1103:                            ;   in Loop: Header=BB71_3 Depth=1
	ds_load_b64 v[30:31], v88
	ds_load_b64 v[34:35], v78
	s_wait_dscnt 0x0
	v_dual_mul_f32 v36, v35, v31 :: v_dual_mul_f32 v31, v34, v31
	s_delay_alu instid0(VALU_DEP_1) | instskip(NEXT) | instid1(VALU_DEP_1)
	v_dual_fma_f32 v34, v34, v30, -v36 :: v_dual_fmac_f32 v31, v35, v30
	v_dual_add_f32 v30, 0, v34 :: v_dual_add_f32 v31, 0, v31
	s_or_b32 exec_lo, exec_lo, s57
	s_and_saveexec_b32 s57, s7
	s_cbranch_execz .LBB71_1034
.LBB71_1104:                            ;   in Loop: Header=BB71_3 Depth=1
	ds_load_b64 v[34:35], v88 offset:8192
	ds_load_b64 v[36:37], v78 offset:128
	s_wait_dscnt 0x0
	v_dual_mul_f32 v92, v37, v35 :: v_dual_mul_f32 v93, v36, v35
	s_delay_alu instid0(VALU_DEP_1) | instskip(NEXT) | instid1(VALU_DEP_1)
	v_dual_fma_f32 v92, v36, v34, -v92 :: v_dual_fmac_f32 v93, v37, v34
	v_pk_add_f32 v[30:31], v[30:31], v[92:93]
	s_or_b32 exec_lo, exec_lo, s57
	s_and_saveexec_b32 s57, s8
	s_cbranch_execz .LBB71_1035
.LBB71_1105:                            ;   in Loop: Header=BB71_3 Depth=1
	ds_load_b64 v[34:35], v88 offset:16384
	ds_load_b64 v[36:37], v78 offset:256
	s_wait_dscnt 0x0
	v_pk_mul_f32 v[92:93], v[36:37], v[34:35] op_sel:[1,1] op_sel_hi:[0,1]
	s_delay_alu instid0(VALU_DEP_1) | instskip(SKIP_1) | instid1(VALU_DEP_2)
	v_pk_fma_f32 v[94:95], v[36:37], v[34:35], v[92:93] op_sel_hi:[1,0,1]
	v_pk_fma_f32 v[34:35], v[36:37], v[34:35], v[92:93] neg_lo:[0,0,1] neg_hi:[0,0,1]
	v_mov_b32_e32 v35, v95
	s_delay_alu instid0(VALU_DEP_1)
	v_pk_add_f32 v[30:31], v[30:31], v[34:35]
	s_or_b32 exec_lo, exec_lo, s57
	s_and_saveexec_b32 s57, s9
	s_cbranch_execnz .LBB71_1036
	s_branch .LBB71_1037
.LBB71_1106:                            ;   in Loop: Header=BB71_3 Depth=1
	s_or_b32 exec_lo, exec_lo, s57
	s_delay_alu instid0(SALU_CYCLE_1)
	s_and_b32 vcc_lo, exec_lo, s67
	s_cbranch_vccnz .LBB71_1040
.LBB71_1107:                            ;   in Loop: Header=BB71_3 Depth=1
	v_mov_b64_e32 v[32:33], v[34:35]
	s_and_saveexec_b32 s57, s66
	s_cbranch_execnz .LBB71_1053
	s_branch .LBB71_1054
.LBB71_1108:                            ;   in Loop: Header=BB71_3 Depth=1
	s_and_not1_b32 s58, s66, exec_lo
	s_and_b32 s59, s1, exec_lo
	s_delay_alu instid0(SALU_CYCLE_1)
	s_or_b32 s66, s58, s59
	s_cbranch_execnz .LBB71_1052
.LBB71_1109:                            ;   in Loop: Header=BB71_3 Depth=1
	v_readlane_b32 s58, v102, 11
	s_and_not1_b32 s57, s66, exec_lo
	s_and_b32 s58, s58, exec_lo
	s_delay_alu instid0(SALU_CYCLE_1) | instskip(NEXT) | instid1(SALU_CYCLE_1)
	s_or_b32 s66, s57, s58
	s_and_saveexec_b32 s57, s66
	s_cbranch_execnz .LBB71_1053
	s_branch .LBB71_1054
.LBB71_1110:                            ;   in Loop: Header=BB71_3 Depth=1
	ds_load_b64 v[34:35], v47 offset:544
	ds_load_b64 v[36:37], v42 offset:8
	s_wait_dscnt 0x0
	v_pk_mul_f32 v[92:93], v[36:37], v[34:35] op_sel:[0,1]
	s_delay_alu instid0(VALU_DEP_1) | instskip(SKIP_1) | instid1(VALU_DEP_2)
	v_pk_fma_f32 v[94:95], v[36:37], v[34:35], v[92:93] op_sel:[1,0,0] op_sel_hi:[0,0,1] neg_lo:[0,0,1] neg_hi:[0,0,1]
	v_pk_fma_f32 v[34:35], v[36:37], v[34:35], v[92:93] op_sel:[1,0,0] op_sel_hi:[0,1,1]
	v_mov_b32_e32 v35, v95
	s_delay_alu instid0(VALU_DEP_1)
	v_pk_add_f32 v[32:33], v[32:33], v[34:35]
	s_or_b32 exec_lo, exec_lo, s57
	s_and_saveexec_b32 s57, s17
	s_cbranch_execz .LBB71_106
.LBB71_1111:                            ;   in Loop: Header=BB71_3 Depth=1
	ds_load_b64 v[34:35], v46 offset:1056
	ds_load_b64 v[36:37], v42 offset:16
	s_wait_dscnt 0x0
	v_pk_mul_f32 v[92:93], v[36:37], v[34:35] op_sel:[0,1]
	s_delay_alu instid0(VALU_DEP_1) | instskip(SKIP_1) | instid1(VALU_DEP_2)
	v_pk_fma_f32 v[94:95], v[36:37], v[34:35], v[92:93] op_sel:[1,0,0] op_sel_hi:[0,0,1] neg_lo:[0,0,1] neg_hi:[0,0,1]
	v_pk_fma_f32 v[34:35], v[36:37], v[34:35], v[92:93] op_sel:[1,0,0] op_sel_hi:[0,1,1]
	v_mov_b32_e32 v35, v95
	s_delay_alu instid0(VALU_DEP_1)
	v_pk_add_f32 v[32:33], v[32:33], v[34:35]
	s_or_b32 exec_lo, exec_lo, s57
	s_and_saveexec_b32 s57, s0
	s_cbranch_execnz .LBB71_107
	s_branch .LBB71_108
.LBB71_1112:                            ;   in Loop: Header=BB71_3 Depth=1
	ds_load_b64 v[34:35], v57 offset:576
	ds_load_b64 v[36:37], v52 offset:8
	s_wait_dscnt 0x0
	v_dual_mul_f32 v92, v37, v35 :: v_dual_mul_f32 v35, v36, v35
	s_delay_alu instid0(VALU_DEP_1) | instskip(NEXT) | instid1(VALU_DEP_1)
	v_dual_fma_f32 v36, v36, v34, -v92 :: v_dual_fmac_f32 v35, v37, v34
	v_dual_add_f32 v33, v33, v36 :: v_dual_add_f32 v32, v32, v35
	s_or_b32 exec_lo, exec_lo, s57
	s_and_saveexec_b32 s57, s19
	s_cbranch_execz .LBB71_148
.LBB71_1113:                            ;   in Loop: Header=BB71_3 Depth=1
	ds_load_b64 v[34:35], v57 offset:1088
	ds_load_b64 v[36:37], v52 offset:16
	s_wait_dscnt 0x0
	v_dual_mul_f32 v92, v37, v35 :: v_dual_mul_f32 v35, v36, v35
	s_delay_alu instid0(VALU_DEP_1) | instskip(NEXT) | instid1(VALU_DEP_1)
	v_dual_fma_f32 v36, v36, v34, -v92 :: v_dual_fmac_f32 v35, v37, v34
	v_dual_add_f32 v33, v33, v36 :: v_dual_add_f32 v32, v32, v35
	s_or_b32 exec_lo, exec_lo, s57
	s_and_saveexec_b32 s57, s20
	s_cbranch_execz .LBB71_149
.LBB71_1114:                            ;   in Loop: Header=BB71_3 Depth=1
	ds_load_b64 v[34:35], v57 offset:1600
	ds_load_b64 v[36:37], v52 offset:24
	s_wait_dscnt 0x0
	v_dual_mul_f32 v92, v37, v35 :: v_dual_mul_f32 v35, v36, v35
	s_delay_alu instid0(VALU_DEP_1) | instskip(NEXT) | instid1(VALU_DEP_1)
	v_dual_fma_f32 v36, v36, v34, -v92 :: v_dual_fmac_f32 v35, v37, v34
	v_dual_add_f32 v33, v33, v36 :: v_dual_add_f32 v32, v32, v35
	s_or_b32 exec_lo, exec_lo, s57
	s_and_saveexec_b32 s57, s21
	s_cbranch_execz .LBB71_150
.LBB71_1115:                            ;   in Loop: Header=BB71_3 Depth=1
	ds_load_b64 v[34:35], v56 offset:2112
	ds_load_b64 v[36:37], v52 offset:32
	s_wait_dscnt 0x0
	v_dual_mul_f32 v93, v37, v35 :: v_dual_mul_f32 v92, v36, v35
	s_delay_alu instid0(VALU_DEP_1) | instskip(NEXT) | instid1(VALU_DEP_1)
	v_dual_fma_f32 v93, v36, v34, -v93 :: v_dual_fmac_f32 v92, v37, v34
	v_pk_add_f32 v[32:33], v[32:33], v[92:93]
	s_or_b32 exec_lo, exec_lo, s57
	s_and_saveexec_b32 s57, s22
	s_cbranch_execz .LBB71_151
.LBB71_1116:                            ;   in Loop: Header=BB71_3 Depth=1
	ds_load_b64 v[34:35], v57 offset:2624
	ds_load_b64 v[36:37], v52 offset:40
	s_wait_dscnt 0x0
	v_pk_mul_f32 v[92:93], v[36:37], v[34:35] op_sel:[0,1]
	s_delay_alu instid0(VALU_DEP_1) | instskip(SKIP_1) | instid1(VALU_DEP_2)
	v_pk_fma_f32 v[94:95], v[36:37], v[34:35], v[92:93] op_sel:[1,0,0] op_sel_hi:[0,0,1] neg_lo:[0,0,1] neg_hi:[0,0,1]
	v_pk_fma_f32 v[34:35], v[36:37], v[34:35], v[92:93] op_sel:[1,0,0] op_sel_hi:[0,1,1]
	v_mov_b32_e32 v35, v95
	s_delay_alu instid0(VALU_DEP_1)
	v_pk_add_f32 v[32:33], v[32:33], v[34:35]
	s_or_b32 exec_lo, exec_lo, s57
	s_and_saveexec_b32 s57, s2
	s_cbranch_execz .LBB71_152
.LBB71_1117:                            ;   in Loop: Header=BB71_3 Depth=1
	ds_load_b64 v[34:35], v56 offset:3136
	ds_load_b64 v[36:37], v52 offset:48
	s_wait_dscnt 0x0
	v_pk_mul_f32 v[92:93], v[36:37], v[34:35] op_sel:[0,1]
	s_delay_alu instid0(VALU_DEP_1) | instskip(SKIP_1) | instid1(VALU_DEP_2)
	v_pk_fma_f32 v[94:95], v[36:37], v[34:35], v[92:93] op_sel:[1,0,0] op_sel_hi:[0,0,1] neg_lo:[0,0,1] neg_hi:[0,0,1]
	v_pk_fma_f32 v[34:35], v[36:37], v[34:35], v[92:93] op_sel:[1,0,0] op_sel_hi:[0,1,1]
	v_mov_b32_e32 v35, v95
	s_delay_alu instid0(VALU_DEP_1)
	v_pk_add_f32 v[32:33], v[32:33], v[34:35]
	s_or_b32 exec_lo, exec_lo, s57
	s_and_saveexec_b32 s57, s17
	s_cbranch_execnz .LBB71_153
	s_branch .LBB71_154
.LBB71_1118:                            ;   in Loop: Header=BB71_3 Depth=1
	ds_load_b64 v[34:35], v47 offset:4704
	ds_load_b64 v[36:37], v42 offset:4168
	s_wait_dscnt 0x0
	v_pk_mul_f32 v[92:93], v[36:37], v[34:35] op_sel:[0,1]
	s_delay_alu instid0(VALU_DEP_1) | instskip(SKIP_1) | instid1(VALU_DEP_2)
	v_pk_fma_f32 v[94:95], v[36:37], v[34:35], v[92:93] op_sel:[1,0,0] op_sel_hi:[0,0,1] neg_lo:[0,0,1] neg_hi:[0,0,1]
	v_pk_fma_f32 v[34:35], v[36:37], v[34:35], v[92:93] op_sel:[1,0,0] op_sel_hi:[0,1,1]
	v_mov_b32_e32 v35, v95
	s_delay_alu instid0(VALU_DEP_1)
	v_pk_add_f32 v[32:33], v[32:33], v[34:35]
	s_or_b32 exec_lo, exec_lo, s57
	s_and_saveexec_b32 s57, s17
	s_cbranch_execz .LBB71_210
.LBB71_1119:                            ;   in Loop: Header=BB71_3 Depth=1
	ds_load_b64 v[34:35], v46 offset:5216
	ds_load_b64 v[36:37], v42 offset:4176
	s_wait_dscnt 0x0
	v_pk_mul_f32 v[92:93], v[36:37], v[34:35] op_sel:[0,1]
	s_delay_alu instid0(VALU_DEP_1) | instskip(SKIP_1) | instid1(VALU_DEP_2)
	v_pk_fma_f32 v[94:95], v[36:37], v[34:35], v[92:93] op_sel:[1,0,0] op_sel_hi:[0,0,1] neg_lo:[0,0,1] neg_hi:[0,0,1]
	v_pk_fma_f32 v[34:35], v[36:37], v[34:35], v[92:93] op_sel:[1,0,0] op_sel_hi:[0,1,1]
	v_mov_b32_e32 v35, v95
	s_delay_alu instid0(VALU_DEP_1)
	v_pk_add_f32 v[32:33], v[32:33], v[34:35]
	s_or_b32 exec_lo, exec_lo, s57
	s_and_saveexec_b32 s57, s0
	s_cbranch_execnz .LBB71_211
	s_branch .LBB71_212
.LBB71_1120:                            ;   in Loop: Header=BB71_3 Depth=1
	ds_load_b64 v[34:35], v66 offset:5760
	ds_load_b64 v[36:37], v61 offset:88
	s_wait_dscnt 0x0
	v_dual_mul_f32 v92, v37, v35 :: v_dual_mul_f32 v35, v36, v35
	s_delay_alu instid0(VALU_DEP_1) | instskip(NEXT) | instid1(VALU_DEP_1)
	v_dual_fma_f32 v36, v36, v34, -v92 :: v_dual_fmac_f32 v35, v37, v34
	v_dual_add_f32 v33, v33, v36 :: v_dual_add_f32 v32, v32, v35
	s_or_b32 exec_lo, exec_lo, s57
	s_and_saveexec_b32 s57, s3
	s_cbranch_execz .LBB71_272
.LBB71_1121:                            ;   in Loop: Header=BB71_3 Depth=1
	ds_load_b64 v[34:35], v65 offset:6272
	ds_load_b64 v[36:37], v61 offset:96
	s_wait_dscnt 0x0
	v_dual_mul_f32 v93, v37, v35 :: v_dual_mul_f32 v92, v36, v35
	s_delay_alu instid0(VALU_DEP_1) | instskip(NEXT) | instid1(VALU_DEP_1)
	v_dual_fma_f32 v93, v36, v34, -v93 :: v_dual_fmac_f32 v92, v37, v34
	v_pk_add_f32 v[32:33], v[32:33], v[92:93]
	s_or_b32 exec_lo, exec_lo, s57
	s_and_saveexec_b32 s57, s19
	s_cbranch_execz .LBB71_273
.LBB71_1122:                            ;   in Loop: Header=BB71_3 Depth=1
	ds_load_b64 v[34:35], v66 offset:6784
	ds_load_b64 v[36:37], v61 offset:104
	s_wait_dscnt 0x0
	v_pk_mul_f32 v[92:93], v[36:37], v[34:35] op_sel:[0,1]
	s_delay_alu instid0(VALU_DEP_1) | instskip(SKIP_1) | instid1(VALU_DEP_2)
	v_pk_fma_f32 v[94:95], v[36:37], v[34:35], v[92:93] op_sel:[1,0,0] op_sel_hi:[0,0,1] neg_lo:[0,0,1] neg_hi:[0,0,1]
	v_pk_fma_f32 v[34:35], v[36:37], v[34:35], v[92:93] op_sel:[1,0,0] op_sel_hi:[0,1,1]
	v_mov_b32_e32 v35, v95
	s_delay_alu instid0(VALU_DEP_1)
	v_pk_add_f32 v[32:33], v[32:33], v[34:35]
	s_or_b32 exec_lo, exec_lo, s57
	s_and_saveexec_b32 s57, s21
	s_cbranch_execz .LBB71_274
.LBB71_1123:                            ;   in Loop: Header=BB71_3 Depth=1
	ds_load_b64 v[34:35], v65 offset:7296
	ds_load_b64 v[36:37], v61 offset:112
	s_wait_dscnt 0x0
	v_pk_mul_f32 v[92:93], v[36:37], v[34:35] op_sel:[0,1]
	s_delay_alu instid0(VALU_DEP_1) | instskip(SKIP_1) | instid1(VALU_DEP_2)
	v_pk_fma_f32 v[94:95], v[36:37], v[34:35], v[92:93] op_sel:[1,0,0] op_sel_hi:[0,0,1] neg_lo:[0,0,1] neg_hi:[0,0,1]
	v_pk_fma_f32 v[34:35], v[36:37], v[34:35], v[92:93] op_sel:[1,0,0] op_sel_hi:[0,1,1]
	v_mov_b32_e32 v35, v95
	s_delay_alu instid0(VALU_DEP_1)
	v_pk_add_f32 v[32:33], v[32:33], v[34:35]
	s_or_b32 exec_lo, exec_lo, s57
	s_and_saveexec_b32 s57, s2
	s_cbranch_execnz .LBB71_275
	s_branch .LBB71_276
.LBB71_1124:                            ;   in Loop: Header=BB71_3 Depth=1
	ds_load_b64 v[34:35], v47 offset:8864
	ds_load_b64 v[36:37], v42 offset:8328
	s_wait_dscnt 0x0
	v_pk_mul_f32 v[92:93], v[36:37], v[34:35] op_sel:[0,1]
	s_delay_alu instid0(VALU_DEP_1) | instskip(SKIP_1) | instid1(VALU_DEP_2)
	v_pk_fma_f32 v[94:95], v[36:37], v[34:35], v[92:93] op_sel:[1,0,0] op_sel_hi:[0,0,1] neg_lo:[0,0,1] neg_hi:[0,0,1]
	v_pk_fma_f32 v[34:35], v[36:37], v[34:35], v[92:93] op_sel:[1,0,0] op_sel_hi:[0,1,1]
	v_mov_b32_e32 v35, v95
	s_delay_alu instid0(VALU_DEP_1)
	v_pk_add_f32 v[32:33], v[32:33], v[34:35]
	s_or_b32 exec_lo, exec_lo, s57
	s_and_saveexec_b32 s57, s17
	s_cbranch_execz .LBB71_364
.LBB71_1125:                            ;   in Loop: Header=BB71_3 Depth=1
	ds_load_b64 v[34:35], v46 offset:9376
	ds_load_b64 v[36:37], v42 offset:8336
	s_wait_dscnt 0x0
	v_pk_mul_f32 v[92:93], v[36:37], v[34:35] op_sel:[0,1]
	s_delay_alu instid0(VALU_DEP_1) | instskip(SKIP_1) | instid1(VALU_DEP_2)
	v_pk_fma_f32 v[94:95], v[36:37], v[34:35], v[92:93] op_sel:[1,0,0] op_sel_hi:[0,0,1] neg_lo:[0,0,1] neg_hi:[0,0,1]
	v_pk_fma_f32 v[34:35], v[36:37], v[34:35], v[92:93] op_sel:[1,0,0] op_sel_hi:[0,1,1]
	v_mov_b32_e32 v35, v95
	s_delay_alu instid0(VALU_DEP_1)
	v_pk_add_f32 v[32:33], v[32:33], v[34:35]
	s_or_b32 exec_lo, exec_lo, s57
	s_and_saveexec_b32 s57, s0
	s_cbranch_execnz .LBB71_365
	s_branch .LBB71_366
.LBB71_1126:                            ;   in Loop: Header=BB71_3 Depth=1
	ds_load_b64 v[34:35], v57 offset:8896
	ds_load_b64 v[36:37], v52 offset:8328
	s_wait_dscnt 0x0
	v_dual_mul_f32 v92, v37, v35 :: v_dual_mul_f32 v35, v36, v35
	s_delay_alu instid0(VALU_DEP_1) | instskip(NEXT) | instid1(VALU_DEP_1)
	v_dual_fma_f32 v36, v36, v34, -v92 :: v_dual_fmac_f32 v35, v37, v34
	v_dual_add_f32 v33, v33, v36 :: v_dual_add_f32 v32, v32, v35
	s_or_b32 exec_lo, exec_lo, s57
	s_and_saveexec_b32 s57, s19
	s_cbranch_execz .LBB71_406
.LBB71_1127:                            ;   in Loop: Header=BB71_3 Depth=1
	ds_load_b64 v[34:35], v57 offset:9408
	ds_load_b64 v[36:37], v52 offset:8336
	s_wait_dscnt 0x0
	v_dual_mul_f32 v92, v37, v35 :: v_dual_mul_f32 v35, v36, v35
	s_delay_alu instid0(VALU_DEP_1) | instskip(NEXT) | instid1(VALU_DEP_1)
	v_dual_fma_f32 v36, v36, v34, -v92 :: v_dual_fmac_f32 v35, v37, v34
	v_dual_add_f32 v33, v33, v36 :: v_dual_add_f32 v32, v32, v35
	s_or_b32 exec_lo, exec_lo, s57
	s_and_saveexec_b32 s57, s20
	s_cbranch_execz .LBB71_407
.LBB71_1128:                            ;   in Loop: Header=BB71_3 Depth=1
	ds_load_b64 v[34:35], v57 offset:9920
	ds_load_b64 v[36:37], v52 offset:8344
	s_wait_dscnt 0x0
	v_dual_mul_f32 v92, v37, v35 :: v_dual_mul_f32 v35, v36, v35
	s_delay_alu instid0(VALU_DEP_1) | instskip(NEXT) | instid1(VALU_DEP_1)
	v_dual_fma_f32 v36, v36, v34, -v92 :: v_dual_fmac_f32 v35, v37, v34
	v_dual_add_f32 v33, v33, v36 :: v_dual_add_f32 v32, v32, v35
	s_or_b32 exec_lo, exec_lo, s57
	s_and_saveexec_b32 s57, s21
	s_cbranch_execz .LBB71_408
.LBB71_1129:                            ;   in Loop: Header=BB71_3 Depth=1
	ds_load_b64 v[34:35], v56 offset:10432
	ds_load_b64 v[36:37], v52 offset:8352
	s_wait_dscnt 0x0
	v_dual_mul_f32 v93, v37, v35 :: v_dual_mul_f32 v92, v36, v35
	s_delay_alu instid0(VALU_DEP_1) | instskip(NEXT) | instid1(VALU_DEP_1)
	v_dual_fma_f32 v93, v36, v34, -v93 :: v_dual_fmac_f32 v92, v37, v34
	v_pk_add_f32 v[32:33], v[32:33], v[92:93]
	s_or_b32 exec_lo, exec_lo, s57
	s_and_saveexec_b32 s57, s22
	s_cbranch_execz .LBB71_409
.LBB71_1130:                            ;   in Loop: Header=BB71_3 Depth=1
	ds_load_b64 v[34:35], v57 offset:10944
	ds_load_b64 v[36:37], v52 offset:8360
	s_wait_dscnt 0x0
	v_pk_mul_f32 v[92:93], v[36:37], v[34:35] op_sel:[0,1]
	s_delay_alu instid0(VALU_DEP_1) | instskip(SKIP_1) | instid1(VALU_DEP_2)
	v_pk_fma_f32 v[94:95], v[36:37], v[34:35], v[92:93] op_sel:[1,0,0] op_sel_hi:[0,0,1] neg_lo:[0,0,1] neg_hi:[0,0,1]
	v_pk_fma_f32 v[34:35], v[36:37], v[34:35], v[92:93] op_sel:[1,0,0] op_sel_hi:[0,1,1]
	v_mov_b32_e32 v35, v95
	s_delay_alu instid0(VALU_DEP_1)
	v_pk_add_f32 v[32:33], v[32:33], v[34:35]
	s_or_b32 exec_lo, exec_lo, s57
	s_and_saveexec_b32 s57, s2
	s_cbranch_execz .LBB71_410
.LBB71_1131:                            ;   in Loop: Header=BB71_3 Depth=1
	ds_load_b64 v[34:35], v56 offset:11456
	ds_load_b64 v[36:37], v52 offset:8368
	s_wait_dscnt 0x0
	v_pk_mul_f32 v[92:93], v[36:37], v[34:35] op_sel:[0,1]
	s_delay_alu instid0(VALU_DEP_1) | instskip(SKIP_1) | instid1(VALU_DEP_2)
	v_pk_fma_f32 v[94:95], v[36:37], v[34:35], v[92:93] op_sel:[1,0,0] op_sel_hi:[0,0,1] neg_lo:[0,0,1] neg_hi:[0,0,1]
	v_pk_fma_f32 v[34:35], v[36:37], v[34:35], v[92:93] op_sel:[1,0,0] op_sel_hi:[0,1,1]
	v_mov_b32_e32 v35, v95
	s_delay_alu instid0(VALU_DEP_1)
	v_pk_add_f32 v[32:33], v[32:33], v[34:35]
	s_or_b32 exec_lo, exec_lo, s57
	s_and_saveexec_b32 s57, s17
	s_cbranch_execnz .LBB71_411
	s_branch .LBB71_412
.LBB71_1132:                            ;   in Loop: Header=BB71_3 Depth=1
	ds_load_b64 v[34:35], v47 offset:13024
	ds_load_b64 v[36:37], v42 offset:12488
	s_wait_dscnt 0x0
	v_pk_mul_f32 v[92:93], v[36:37], v[34:35] op_sel:[0,1]
	s_delay_alu instid0(VALU_DEP_1) | instskip(SKIP_1) | instid1(VALU_DEP_2)
	v_pk_fma_f32 v[94:95], v[36:37], v[34:35], v[92:93] op_sel:[1,0,0] op_sel_hi:[0,0,1] neg_lo:[0,0,1] neg_hi:[0,0,1]
	v_pk_fma_f32 v[34:35], v[36:37], v[34:35], v[92:93] op_sel:[1,0,0] op_sel_hi:[0,1,1]
	v_mov_b32_e32 v35, v95
	s_delay_alu instid0(VALU_DEP_1)
	v_pk_add_f32 v[32:33], v[32:33], v[34:35]
	s_or_b32 exec_lo, exec_lo, s57
	s_and_saveexec_b32 s57, s17
	s_cbranch_execz .LBB71_468
.LBB71_1133:                            ;   in Loop: Header=BB71_3 Depth=1
	ds_load_b64 v[34:35], v46 offset:13536
	ds_load_b64 v[36:37], v42 offset:12496
	s_wait_dscnt 0x0
	v_pk_mul_f32 v[92:93], v[36:37], v[34:35] op_sel:[0,1]
	s_delay_alu instid0(VALU_DEP_1) | instskip(SKIP_1) | instid1(VALU_DEP_2)
	v_pk_fma_f32 v[94:95], v[36:37], v[34:35], v[92:93] op_sel:[1,0,0] op_sel_hi:[0,0,1] neg_lo:[0,0,1] neg_hi:[0,0,1]
	v_pk_fma_f32 v[34:35], v[36:37], v[34:35], v[92:93] op_sel:[1,0,0] op_sel_hi:[0,1,1]
	v_mov_b32_e32 v35, v95
	s_delay_alu instid0(VALU_DEP_1)
	v_pk_add_f32 v[32:33], v[32:33], v[34:35]
	s_or_b32 exec_lo, exec_lo, s57
	s_and_saveexec_b32 s57, s0
	s_cbranch_execnz .LBB71_469
	s_branch .LBB71_470
.LBB71_1134:                            ;   in Loop: Header=BB71_3 Depth=1
	ds_load_b64 v[36:37], v35 offset:15104
	ds_load_b64 v[92:93], v34 offset:232
	s_wait_dscnt 0x0
	v_pk_mul_f32 v[94:95], v[92:93], v[36:37] op_sel:[1,1] op_sel_hi:[0,1]
	s_delay_alu instid0(VALU_DEP_1) | instskip(SKIP_1) | instid1(VALU_DEP_2)
	v_pk_fma_f32 v[96:97], v[92:93], v[36:37], v[94:95] op_sel_hi:[1,0,1]
	v_pk_fma_f32 v[36:37], v[92:93], v[36:37], v[94:95] neg_lo:[0,0,1] neg_hi:[0,0,1]
	v_mov_b32_e32 v37, v97
	s_delay_alu instid0(VALU_DEP_1)
	v_pk_add_f32 v[32:33], v[32:33], v[36:37]
	s_or_b32 exec_lo, exec_lo, s57
	s_and_saveexec_b32 s57, s3
	s_cbranch_execz .LBB71_566
.LBB71_1135:                            ;   in Loop: Header=BB71_3 Depth=1
	ds_load_b64 v[36:37], v35 offset:15616
	ds_load_b64 v[92:93], v34 offset:240
	s_wait_dscnt 0x0
	v_pk_mul_f32 v[94:95], v[92:93], v[36:37] op_sel:[1,1] op_sel_hi:[0,1]
	s_delay_alu instid0(VALU_DEP_1) | instskip(SKIP_1) | instid1(VALU_DEP_2)
	v_pk_fma_f32 v[96:97], v[92:93], v[36:37], v[94:95] op_sel_hi:[1,0,1]
	v_pk_fma_f32 v[36:37], v[92:93], v[36:37], v[94:95] neg_lo:[0,0,1] neg_hi:[0,0,1]
	v_mov_b32_e32 v37, v97
	s_delay_alu instid0(VALU_DEP_1)
	v_pk_add_f32 v[32:33], v[32:33], v[36:37]
	s_or_b32 exec_lo, exec_lo, s57
	s_and_saveexec_b32 s57, s21
	s_cbranch_execnz .LBB71_567
	s_branch .LBB71_568
.LBB71_1136:                            ;   in Loop: Header=BB71_3 Depth=1
	ds_load_b64 v[34:35], v47 offset:17184
	ds_load_b64 v[36:37], v42 offset:16648
	s_wait_dscnt 0x0
	v_pk_mul_f32 v[92:93], v[36:37], v[34:35] op_sel:[0,1]
	s_delay_alu instid0(VALU_DEP_1) | instskip(SKIP_1) | instid1(VALU_DEP_2)
	v_pk_fma_f32 v[94:95], v[36:37], v[34:35], v[92:93] op_sel:[1,0,0] op_sel_hi:[0,0,1] neg_lo:[0,0,1] neg_hi:[0,0,1]
	v_pk_fma_f32 v[34:35], v[36:37], v[34:35], v[92:93] op_sel:[1,0,0] op_sel_hi:[0,1,1]
	v_mov_b32_e32 v35, v95
	s_delay_alu instid0(VALU_DEP_1)
	v_pk_add_f32 v[32:33], v[32:33], v[34:35]
	s_or_b32 exec_lo, exec_lo, s57
	s_and_saveexec_b32 s57, s17
	s_cbranch_execz .LBB71_604
.LBB71_1137:                            ;   in Loop: Header=BB71_3 Depth=1
	ds_load_b64 v[34:35], v46 offset:17696
	ds_load_b64 v[36:37], v42 offset:16656
	s_wait_dscnt 0x0
	v_pk_mul_f32 v[92:93], v[36:37], v[34:35] op_sel:[0,1]
	s_delay_alu instid0(VALU_DEP_1) | instskip(SKIP_1) | instid1(VALU_DEP_2)
	v_pk_fma_f32 v[94:95], v[36:37], v[34:35], v[92:93] op_sel:[1,0,0] op_sel_hi:[0,0,1] neg_lo:[0,0,1] neg_hi:[0,0,1]
	v_pk_fma_f32 v[34:35], v[36:37], v[34:35], v[92:93] op_sel:[1,0,0] op_sel_hi:[0,1,1]
	v_mov_b32_e32 v35, v95
	s_delay_alu instid0(VALU_DEP_1)
	v_pk_add_f32 v[32:33], v[32:33], v[34:35]
	s_or_b32 exec_lo, exec_lo, s57
	s_and_saveexec_b32 s57, s0
	s_cbranch_execnz .LBB71_605
	s_branch .LBB71_606
.LBB71_1138:                            ;   in Loop: Header=BB71_3 Depth=1
	ds_load_b64 v[34:35], v57 offset:17216
	ds_load_b64 v[36:37], v52 offset:16648
	s_wait_dscnt 0x0
	v_dual_mul_f32 v92, v37, v35 :: v_dual_mul_f32 v35, v36, v35
	s_delay_alu instid0(VALU_DEP_1) | instskip(NEXT) | instid1(VALU_DEP_1)
	v_dual_fma_f32 v36, v36, v34, -v92 :: v_dual_fmac_f32 v35, v37, v34
	v_dual_add_f32 v33, v33, v36 :: v_dual_add_f32 v32, v32, v35
	s_or_b32 exec_lo, exec_lo, s57
	s_and_saveexec_b32 s57, s19
	s_cbranch_execz .LBB71_646
.LBB71_1139:                            ;   in Loop: Header=BB71_3 Depth=1
	ds_load_b64 v[34:35], v57 offset:17728
	ds_load_b64 v[36:37], v52 offset:16656
	s_wait_dscnt 0x0
	v_dual_mul_f32 v92, v37, v35 :: v_dual_mul_f32 v35, v36, v35
	s_delay_alu instid0(VALU_DEP_1) | instskip(NEXT) | instid1(VALU_DEP_1)
	v_dual_fma_f32 v36, v36, v34, -v92 :: v_dual_fmac_f32 v35, v37, v34
	v_dual_add_f32 v33, v33, v36 :: v_dual_add_f32 v32, v32, v35
	s_or_b32 exec_lo, exec_lo, s57
	s_and_saveexec_b32 s57, s20
	s_cbranch_execz .LBB71_647
.LBB71_1140:                            ;   in Loop: Header=BB71_3 Depth=1
	ds_load_b64 v[34:35], v57 offset:18240
	ds_load_b64 v[36:37], v52 offset:16664
	s_wait_dscnt 0x0
	v_dual_mul_f32 v92, v37, v35 :: v_dual_mul_f32 v35, v36, v35
	s_delay_alu instid0(VALU_DEP_1) | instskip(NEXT) | instid1(VALU_DEP_1)
	v_dual_fma_f32 v36, v36, v34, -v92 :: v_dual_fmac_f32 v35, v37, v34
	v_dual_add_f32 v33, v33, v36 :: v_dual_add_f32 v32, v32, v35
	s_or_b32 exec_lo, exec_lo, s57
	s_and_saveexec_b32 s57, s21
	s_cbranch_execz .LBB71_648
.LBB71_1141:                            ;   in Loop: Header=BB71_3 Depth=1
	ds_load_b64 v[34:35], v56 offset:18752
	ds_load_b64 v[36:37], v52 offset:16672
	s_wait_dscnt 0x0
	v_dual_mul_f32 v93, v37, v35 :: v_dual_mul_f32 v92, v36, v35
	s_delay_alu instid0(VALU_DEP_1) | instskip(NEXT) | instid1(VALU_DEP_1)
	v_dual_fma_f32 v93, v36, v34, -v93 :: v_dual_fmac_f32 v92, v37, v34
	v_pk_add_f32 v[32:33], v[32:33], v[92:93]
	s_or_b32 exec_lo, exec_lo, s57
	s_and_saveexec_b32 s57, s22
	s_cbranch_execz .LBB71_649
.LBB71_1142:                            ;   in Loop: Header=BB71_3 Depth=1
	ds_load_b64 v[34:35], v57 offset:19264
	ds_load_b64 v[36:37], v52 offset:16680
	s_wait_dscnt 0x0
	v_pk_mul_f32 v[92:93], v[36:37], v[34:35] op_sel:[0,1]
	s_delay_alu instid0(VALU_DEP_1) | instskip(SKIP_1) | instid1(VALU_DEP_2)
	v_pk_fma_f32 v[94:95], v[36:37], v[34:35], v[92:93] op_sel:[1,0,0] op_sel_hi:[0,0,1] neg_lo:[0,0,1] neg_hi:[0,0,1]
	v_pk_fma_f32 v[34:35], v[36:37], v[34:35], v[92:93] op_sel:[1,0,0] op_sel_hi:[0,1,1]
	v_mov_b32_e32 v35, v95
	s_delay_alu instid0(VALU_DEP_1)
	v_pk_add_f32 v[32:33], v[32:33], v[34:35]
	s_or_b32 exec_lo, exec_lo, s57
	s_and_saveexec_b32 s57, s2
	s_cbranch_execz .LBB71_650
.LBB71_1143:                            ;   in Loop: Header=BB71_3 Depth=1
	ds_load_b64 v[34:35], v56 offset:19776
	ds_load_b64 v[36:37], v52 offset:16688
	s_wait_dscnt 0x0
	v_pk_mul_f32 v[92:93], v[36:37], v[34:35] op_sel:[0,1]
	s_delay_alu instid0(VALU_DEP_1) | instskip(SKIP_1) | instid1(VALU_DEP_2)
	v_pk_fma_f32 v[94:95], v[36:37], v[34:35], v[92:93] op_sel:[1,0,0] op_sel_hi:[0,0,1] neg_lo:[0,0,1] neg_hi:[0,0,1]
	v_pk_fma_f32 v[34:35], v[36:37], v[34:35], v[92:93] op_sel:[1,0,0] op_sel_hi:[0,1,1]
	v_mov_b32_e32 v35, v95
	s_delay_alu instid0(VALU_DEP_1)
	v_pk_add_f32 v[32:33], v[32:33], v[34:35]
	s_or_b32 exec_lo, exec_lo, s57
	s_and_saveexec_b32 s57, s17
	s_cbranch_execnz .LBB71_651
	s_branch .LBB71_652
.LBB71_1144:                            ;   in Loop: Header=BB71_3 Depth=1
	ds_load_b64 v[34:35], v47 offset:21344
	ds_load_b64 v[36:37], v42 offset:20808
	s_wait_dscnt 0x0
	v_pk_mul_f32 v[92:93], v[36:37], v[34:35] op_sel:[0,1]
	s_delay_alu instid0(VALU_DEP_1) | instskip(SKIP_1) | instid1(VALU_DEP_2)
	v_pk_fma_f32 v[94:95], v[36:37], v[34:35], v[92:93] op_sel:[1,0,0] op_sel_hi:[0,0,1] neg_lo:[0,0,1] neg_hi:[0,0,1]
	v_pk_fma_f32 v[34:35], v[36:37], v[34:35], v[92:93] op_sel:[1,0,0] op_sel_hi:[0,1,1]
	v_mov_b32_e32 v35, v95
	s_delay_alu instid0(VALU_DEP_1)
	v_pk_add_f32 v[32:33], v[32:33], v[34:35]
	s_or_b32 exec_lo, exec_lo, s57
	s_and_saveexec_b32 s57, s17
	s_cbranch_execz .LBB71_708
.LBB71_1145:                            ;   in Loop: Header=BB71_3 Depth=1
	ds_load_b64 v[34:35], v46 offset:21856
	ds_load_b64 v[36:37], v42 offset:20816
	s_wait_dscnt 0x0
	v_pk_mul_f32 v[92:93], v[36:37], v[34:35] op_sel:[0,1]
	s_delay_alu instid0(VALU_DEP_1) | instskip(SKIP_1) | instid1(VALU_DEP_2)
	v_pk_fma_f32 v[94:95], v[36:37], v[34:35], v[92:93] op_sel:[1,0,0] op_sel_hi:[0,0,1] neg_lo:[0,0,1] neg_hi:[0,0,1]
	v_pk_fma_f32 v[34:35], v[36:37], v[34:35], v[92:93] op_sel:[1,0,0] op_sel_hi:[0,1,1]
	v_mov_b32_e32 v35, v95
	s_delay_alu instid0(VALU_DEP_1)
	v_pk_add_f32 v[32:33], v[32:33], v[34:35]
	s_or_b32 exec_lo, exec_lo, s57
	s_and_saveexec_b32 s57, s0
	s_cbranch_execnz .LBB71_709
	s_branch .LBB71_710
.LBB71_1146:                            ;   in Loop: Header=BB71_3 Depth=1
	ds_load_b64 v[34:35], v66 offset:22400
	ds_load_b64 v[36:37], v61 offset:16728
	s_wait_dscnt 0x0
	v_dual_mul_f32 v92, v37, v35 :: v_dual_mul_f32 v35, v36, v35
	s_delay_alu instid0(VALU_DEP_1) | instskip(NEXT) | instid1(VALU_DEP_1)
	v_dual_fma_f32 v36, v36, v34, -v92 :: v_dual_fmac_f32 v35, v37, v34
	v_dual_add_f32 v33, v33, v36 :: v_dual_add_f32 v32, v32, v35
	s_or_b32 exec_lo, exec_lo, s57
	s_and_saveexec_b32 s57, s3
	s_cbranch_execz .LBB71_770
.LBB71_1147:                            ;   in Loop: Header=BB71_3 Depth=1
	ds_load_b64 v[34:35], v65 offset:22912
	ds_load_b64 v[36:37], v61 offset:16736
	s_wait_dscnt 0x0
	v_dual_mul_f32 v93, v37, v35 :: v_dual_mul_f32 v92, v36, v35
	s_delay_alu instid0(VALU_DEP_1) | instskip(NEXT) | instid1(VALU_DEP_1)
	v_dual_fma_f32 v93, v36, v34, -v93 :: v_dual_fmac_f32 v92, v37, v34
	v_pk_add_f32 v[32:33], v[32:33], v[92:93]
	s_or_b32 exec_lo, exec_lo, s57
	s_and_saveexec_b32 s57, s19
	s_cbranch_execz .LBB71_771
.LBB71_1148:                            ;   in Loop: Header=BB71_3 Depth=1
	ds_load_b64 v[34:35], v66 offset:23424
	ds_load_b64 v[36:37], v61 offset:16744
	s_wait_dscnt 0x0
	v_pk_mul_f32 v[92:93], v[36:37], v[34:35] op_sel:[0,1]
	s_delay_alu instid0(VALU_DEP_1) | instskip(SKIP_1) | instid1(VALU_DEP_2)
	v_pk_fma_f32 v[94:95], v[36:37], v[34:35], v[92:93] op_sel:[1,0,0] op_sel_hi:[0,0,1] neg_lo:[0,0,1] neg_hi:[0,0,1]
	v_pk_fma_f32 v[34:35], v[36:37], v[34:35], v[92:93] op_sel:[1,0,0] op_sel_hi:[0,1,1]
	v_mov_b32_e32 v35, v95
	s_delay_alu instid0(VALU_DEP_1)
	v_pk_add_f32 v[32:33], v[32:33], v[34:35]
	s_or_b32 exec_lo, exec_lo, s57
	s_and_saveexec_b32 s57, s21
	s_cbranch_execz .LBB71_772
.LBB71_1149:                            ;   in Loop: Header=BB71_3 Depth=1
	ds_load_b64 v[34:35], v65 offset:23936
	ds_load_b64 v[36:37], v61 offset:16752
	s_wait_dscnt 0x0
	v_pk_mul_f32 v[92:93], v[36:37], v[34:35] op_sel:[0,1]
	s_delay_alu instid0(VALU_DEP_1) | instskip(SKIP_1) | instid1(VALU_DEP_2)
	v_pk_fma_f32 v[94:95], v[36:37], v[34:35], v[92:93] op_sel:[1,0,0] op_sel_hi:[0,0,1] neg_lo:[0,0,1] neg_hi:[0,0,1]
	v_pk_fma_f32 v[34:35], v[36:37], v[34:35], v[92:93] op_sel:[1,0,0] op_sel_hi:[0,1,1]
	v_mov_b32_e32 v35, v95
	s_delay_alu instid0(VALU_DEP_1)
	v_pk_add_f32 v[32:33], v[32:33], v[34:35]
	s_or_b32 exec_lo, exec_lo, s57
	s_and_saveexec_b32 s57, s2
	s_cbranch_execnz .LBB71_773
	s_branch .LBB71_774
.LBB71_1150:                            ;   in Loop: Header=BB71_3 Depth=1
	ds_load_b64 v[34:35], v47 offset:25504
	ds_load_b64 v[36:37], v42 offset:24968
	s_wait_dscnt 0x0
	v_pk_mul_f32 v[92:93], v[36:37], v[34:35] op_sel:[0,1]
	s_delay_alu instid0(VALU_DEP_1) | instskip(SKIP_1) | instid1(VALU_DEP_2)
	v_pk_fma_f32 v[94:95], v[36:37], v[34:35], v[92:93] op_sel:[1,0,0] op_sel_hi:[0,0,1] neg_lo:[0,0,1] neg_hi:[0,0,1]
	v_pk_fma_f32 v[34:35], v[36:37], v[34:35], v[92:93] op_sel:[1,0,0] op_sel_hi:[0,1,1]
	v_mov_b32_e32 v35, v95
	s_delay_alu instid0(VALU_DEP_1)
	v_pk_add_f32 v[32:33], v[32:33], v[34:35]
	s_or_b32 exec_lo, exec_lo, s57
	s_and_saveexec_b32 s57, s17
	s_cbranch_execz .LBB71_862
.LBB71_1151:                            ;   in Loop: Header=BB71_3 Depth=1
	ds_load_b64 v[34:35], v46 offset:26016
	ds_load_b64 v[36:37], v42 offset:24976
	s_wait_dscnt 0x0
	v_pk_mul_f32 v[92:93], v[36:37], v[34:35] op_sel:[0,1]
	s_delay_alu instid0(VALU_DEP_1) | instskip(SKIP_1) | instid1(VALU_DEP_2)
	v_pk_fma_f32 v[94:95], v[36:37], v[34:35], v[92:93] op_sel:[1,0,0] op_sel_hi:[0,0,1] neg_lo:[0,0,1] neg_hi:[0,0,1]
	v_pk_fma_f32 v[34:35], v[36:37], v[34:35], v[92:93] op_sel:[1,0,0] op_sel_hi:[0,1,1]
	v_mov_b32_e32 v35, v95
	s_delay_alu instid0(VALU_DEP_1)
	v_pk_add_f32 v[32:33], v[32:33], v[34:35]
	s_or_b32 exec_lo, exec_lo, s57
	s_and_saveexec_b32 s57, s0
	s_cbranch_execnz .LBB71_863
	s_branch .LBB71_864
.LBB71_1152:                            ;   in Loop: Header=BB71_3 Depth=1
	ds_load_b64 v[34:35], v57 offset:25536
	ds_load_b64 v[36:37], v52 offset:24968
	s_wait_dscnt 0x0
	v_dual_mul_f32 v92, v37, v35 :: v_dual_mul_f32 v35, v36, v35
	s_delay_alu instid0(VALU_DEP_1) | instskip(NEXT) | instid1(VALU_DEP_1)
	v_dual_fma_f32 v36, v36, v34, -v92 :: v_dual_fmac_f32 v35, v37, v34
	v_dual_add_f32 v33, v33, v36 :: v_dual_add_f32 v32, v32, v35
	s_or_b32 exec_lo, exec_lo, s57
	s_and_saveexec_b32 s57, s19
	s_cbranch_execz .LBB71_904
.LBB71_1153:                            ;   in Loop: Header=BB71_3 Depth=1
	ds_load_b64 v[34:35], v57 offset:26048
	ds_load_b64 v[36:37], v52 offset:24976
	s_wait_dscnt 0x0
	v_dual_mul_f32 v92, v37, v35 :: v_dual_mul_f32 v35, v36, v35
	s_delay_alu instid0(VALU_DEP_1) | instskip(NEXT) | instid1(VALU_DEP_1)
	v_dual_fma_f32 v36, v36, v34, -v92 :: v_dual_fmac_f32 v35, v37, v34
	v_dual_add_f32 v33, v33, v36 :: v_dual_add_f32 v32, v32, v35
	s_or_b32 exec_lo, exec_lo, s57
	s_and_saveexec_b32 s57, s20
	s_cbranch_execz .LBB71_905
.LBB71_1154:                            ;   in Loop: Header=BB71_3 Depth=1
	ds_load_b64 v[34:35], v57 offset:26560
	ds_load_b64 v[36:37], v52 offset:24984
	s_wait_dscnt 0x0
	v_dual_mul_f32 v92, v37, v35 :: v_dual_mul_f32 v35, v36, v35
	s_delay_alu instid0(VALU_DEP_1) | instskip(NEXT) | instid1(VALU_DEP_1)
	v_dual_fma_f32 v36, v36, v34, -v92 :: v_dual_fmac_f32 v35, v37, v34
	v_dual_add_f32 v33, v33, v36 :: v_dual_add_f32 v32, v32, v35
	s_or_b32 exec_lo, exec_lo, s57
	s_and_saveexec_b32 s57, s21
	s_cbranch_execz .LBB71_906
.LBB71_1155:                            ;   in Loop: Header=BB71_3 Depth=1
	ds_load_b64 v[34:35], v56 offset:27072
	ds_load_b64 v[36:37], v52 offset:24992
	s_wait_dscnt 0x0
	v_dual_mul_f32 v93, v37, v35 :: v_dual_mul_f32 v92, v36, v35
	s_delay_alu instid0(VALU_DEP_1) | instskip(NEXT) | instid1(VALU_DEP_1)
	v_dual_fma_f32 v93, v36, v34, -v93 :: v_dual_fmac_f32 v92, v37, v34
	v_pk_add_f32 v[32:33], v[32:33], v[92:93]
	s_or_b32 exec_lo, exec_lo, s57
	s_and_saveexec_b32 s57, s22
	s_cbranch_execz .LBB71_907
.LBB71_1156:                            ;   in Loop: Header=BB71_3 Depth=1
	ds_load_b64 v[34:35], v57 offset:27584
	ds_load_b64 v[36:37], v52 offset:25000
	s_wait_dscnt 0x0
	v_pk_mul_f32 v[92:93], v[36:37], v[34:35] op_sel:[0,1]
	s_delay_alu instid0(VALU_DEP_1) | instskip(SKIP_1) | instid1(VALU_DEP_2)
	v_pk_fma_f32 v[94:95], v[36:37], v[34:35], v[92:93] op_sel:[1,0,0] op_sel_hi:[0,0,1] neg_lo:[0,0,1] neg_hi:[0,0,1]
	v_pk_fma_f32 v[34:35], v[36:37], v[34:35], v[92:93] op_sel:[1,0,0] op_sel_hi:[0,1,1]
	v_mov_b32_e32 v35, v95
	s_delay_alu instid0(VALU_DEP_1)
	v_pk_add_f32 v[32:33], v[32:33], v[34:35]
	s_or_b32 exec_lo, exec_lo, s57
	s_and_saveexec_b32 s57, s2
	s_cbranch_execz .LBB71_908
.LBB71_1157:                            ;   in Loop: Header=BB71_3 Depth=1
	ds_load_b64 v[34:35], v56 offset:28096
	ds_load_b64 v[36:37], v52 offset:25008
	s_wait_dscnt 0x0
	v_pk_mul_f32 v[92:93], v[36:37], v[34:35] op_sel:[0,1]
	s_delay_alu instid0(VALU_DEP_1) | instskip(SKIP_1) | instid1(VALU_DEP_2)
	v_pk_fma_f32 v[94:95], v[36:37], v[34:35], v[92:93] op_sel:[1,0,0] op_sel_hi:[0,0,1] neg_lo:[0,0,1] neg_hi:[0,0,1]
	v_pk_fma_f32 v[34:35], v[36:37], v[34:35], v[92:93] op_sel:[1,0,0] op_sel_hi:[0,1,1]
	v_mov_b32_e32 v35, v95
	s_delay_alu instid0(VALU_DEP_1)
	v_pk_add_f32 v[32:33], v[32:33], v[34:35]
	s_or_b32 exec_lo, exec_lo, s57
	s_and_saveexec_b32 s57, s17
	s_cbranch_execnz .LBB71_909
	s_branch .LBB71_910
.LBB71_1158:                            ;   in Loop: Header=BB71_3 Depth=1
	ds_load_b64 v[34:35], v47 offset:29664
	ds_load_b64 v[36:37], v42 offset:29128
	s_wait_dscnt 0x0
	v_pk_mul_f32 v[92:93], v[36:37], v[34:35] op_sel:[0,1]
	s_delay_alu instid0(VALU_DEP_1) | instskip(SKIP_1) | instid1(VALU_DEP_2)
	v_pk_fma_f32 v[94:95], v[36:37], v[34:35], v[92:93] op_sel:[1,0,0] op_sel_hi:[0,0,1] neg_lo:[0,0,1] neg_hi:[0,0,1]
	v_pk_fma_f32 v[34:35], v[36:37], v[34:35], v[92:93] op_sel:[1,0,0] op_sel_hi:[0,1,1]
	v_mov_b32_e32 v35, v95
	s_delay_alu instid0(VALU_DEP_1)
	v_pk_add_f32 v[32:33], v[32:33], v[34:35]
	s_or_b32 exec_lo, exec_lo, s57
	s_and_saveexec_b32 s57, s17
	s_cbranch_execz .LBB71_966
.LBB71_1159:                            ;   in Loop: Header=BB71_3 Depth=1
	ds_load_b64 v[34:35], v46 offset:30176
	ds_load_b64 v[36:37], v42 offset:29136
	s_wait_dscnt 0x0
	v_pk_mul_f32 v[92:93], v[36:37], v[34:35] op_sel:[0,1]
	s_delay_alu instid0(VALU_DEP_1) | instskip(SKIP_1) | instid1(VALU_DEP_2)
	v_pk_fma_f32 v[94:95], v[36:37], v[34:35], v[92:93] op_sel:[1,0,0] op_sel_hi:[0,0,1] neg_lo:[0,0,1] neg_hi:[0,0,1]
	v_pk_fma_f32 v[34:35], v[36:37], v[34:35], v[92:93] op_sel:[1,0,0] op_sel_hi:[0,1,1]
	v_mov_b32_e32 v35, v95
	s_delay_alu instid0(VALU_DEP_1)
	v_pk_add_f32 v[32:33], v[32:33], v[34:35]
	s_or_b32 exec_lo, exec_lo, s57
	s_and_saveexec_b32 s57, s0
	s_cbranch_execnz .LBB71_967
	s_branch .LBB71_968
.LBB71_1160:
	s_endpgm
	.section	.rodata,"a",@progbits
	.p2align	6, 0x0
	.amdhsa_kernel _ZL19rocblas_trsv_deviceILi64ELi16ELb1ELb1ELb0ELb0E19rocblas_complex_numIfES1_PKS1_PS1_EviT7_lllT6_T8_lllPii
		.amdhsa_group_segment_fixed_size 41480
		.amdhsa_private_segment_fixed_size 48
		.amdhsa_kernarg_size 352
		.amdhsa_user_sgpr_count 2
		.amdhsa_user_sgpr_dispatch_ptr 0
		.amdhsa_user_sgpr_queue_ptr 0
		.amdhsa_user_sgpr_kernarg_segment_ptr 1
		.amdhsa_user_sgpr_dispatch_id 0
		.amdhsa_user_sgpr_kernarg_preload_length 0
		.amdhsa_user_sgpr_kernarg_preload_offset 0
		.amdhsa_user_sgpr_private_segment_size 0
		.amdhsa_wavefront_size32 1
		.amdhsa_uses_dynamic_stack 0
		.amdhsa_enable_private_segment 1
		.amdhsa_system_sgpr_workgroup_id_x 1
		.amdhsa_system_sgpr_workgroup_id_y 0
		.amdhsa_system_sgpr_workgroup_id_z 1
		.amdhsa_system_sgpr_workgroup_info 0
		.amdhsa_system_vgpr_workitem_id 1
		.amdhsa_next_free_vgpr 103
		.amdhsa_next_free_sgpr 105
		.amdhsa_named_barrier_count 0
		.amdhsa_reserve_vcc 1
		.amdhsa_float_round_mode_32 0
		.amdhsa_float_round_mode_16_64 0
		.amdhsa_float_denorm_mode_32 3
		.amdhsa_float_denorm_mode_16_64 3
		.amdhsa_fp16_overflow 0
		.amdhsa_memory_ordered 1
		.amdhsa_forward_progress 1
		.amdhsa_inst_pref_size 255
		.amdhsa_round_robin_scheduling 0
		.amdhsa_exception_fp_ieee_invalid_op 0
		.amdhsa_exception_fp_denorm_src 0
		.amdhsa_exception_fp_ieee_div_zero 0
		.amdhsa_exception_fp_ieee_overflow 0
		.amdhsa_exception_fp_ieee_underflow 0
		.amdhsa_exception_fp_ieee_inexact 0
		.amdhsa_exception_int_div_zero 0
	.end_amdhsa_kernel
	.section	.text._ZL19rocblas_trsv_deviceILi64ELi16ELb1ELb1ELb0ELb0E19rocblas_complex_numIfES1_PKS1_PS1_EviT7_lllT6_T8_lllPii,"axG",@progbits,_ZL19rocblas_trsv_deviceILi64ELi16ELb1ELb1ELb0ELb0E19rocblas_complex_numIfES1_PKS1_PS1_EviT7_lllT6_T8_lllPii,comdat
.Lfunc_end71:
	.size	_ZL19rocblas_trsv_deviceILi64ELi16ELb1ELb1ELb0ELb0E19rocblas_complex_numIfES1_PKS1_PS1_EviT7_lllT6_T8_lllPii, .Lfunc_end71-_ZL19rocblas_trsv_deviceILi64ELi16ELb1ELb1ELb0ELb0E19rocblas_complex_numIfES1_PKS1_PS1_EviT7_lllT6_T8_lllPii
                                        ; -- End function
	.set _ZL19rocblas_trsv_deviceILi64ELi16ELb1ELb1ELb0ELb0E19rocblas_complex_numIfES1_PKS1_PS1_EviT7_lllT6_T8_lllPii.num_vgpr, 103
	.set _ZL19rocblas_trsv_deviceILi64ELi16ELb1ELb1ELb0ELb0E19rocblas_complex_numIfES1_PKS1_PS1_EviT7_lllT6_T8_lllPii.num_agpr, 0
	.set _ZL19rocblas_trsv_deviceILi64ELi16ELb1ELb1ELb0ELb0E19rocblas_complex_numIfES1_PKS1_PS1_EviT7_lllT6_T8_lllPii.numbered_sgpr, 105
	.set _ZL19rocblas_trsv_deviceILi64ELi16ELb1ELb1ELb0ELb0E19rocblas_complex_numIfES1_PKS1_PS1_EviT7_lllT6_T8_lllPii.num_named_barrier, 0
	.set _ZL19rocblas_trsv_deviceILi64ELi16ELb1ELb1ELb0ELb0E19rocblas_complex_numIfES1_PKS1_PS1_EviT7_lllT6_T8_lllPii.private_seg_size, 48
	.set _ZL19rocblas_trsv_deviceILi64ELi16ELb1ELb1ELb0ELb0E19rocblas_complex_numIfES1_PKS1_PS1_EviT7_lllT6_T8_lllPii.uses_vcc, 1
	.set _ZL19rocblas_trsv_deviceILi64ELi16ELb1ELb1ELb0ELb0E19rocblas_complex_numIfES1_PKS1_PS1_EviT7_lllT6_T8_lllPii.uses_flat_scratch, 0
	.set _ZL19rocblas_trsv_deviceILi64ELi16ELb1ELb1ELb0ELb0E19rocblas_complex_numIfES1_PKS1_PS1_EviT7_lllT6_T8_lllPii.has_dyn_sized_stack, 0
	.set _ZL19rocblas_trsv_deviceILi64ELi16ELb1ELb1ELb0ELb0E19rocblas_complex_numIfES1_PKS1_PS1_EviT7_lllT6_T8_lllPii.has_recursion, 0
	.set _ZL19rocblas_trsv_deviceILi64ELi16ELb1ELb1ELb0ELb0E19rocblas_complex_numIfES1_PKS1_PS1_EviT7_lllT6_T8_lllPii.has_indirect_call, 0
	.section	.AMDGPU.csdata,"",@progbits
; Kernel info:
; codeLenInByte = 54900
; TotalNumSgprs: 107
; NumVgprs: 103
; ScratchSize: 48
; MemoryBound: 0
; FloatMode: 240
; IeeeMode: 1
; LDSByteSize: 41480 bytes/workgroup (compile time only)
; SGPRBlocks: 0
; VGPRBlocks: 6
; NumSGPRsForWavesPerEU: 107
; NumVGPRsForWavesPerEU: 103
; NamedBarCnt: 0
; Occupancy: 9
; WaveLimiterHint : 0
; COMPUTE_PGM_RSRC2:SCRATCH_EN: 1
; COMPUTE_PGM_RSRC2:USER_SGPR: 2
; COMPUTE_PGM_RSRC2:TRAP_HANDLER: 0
; COMPUTE_PGM_RSRC2:TGID_X_EN: 1
; COMPUTE_PGM_RSRC2:TGID_Y_EN: 0
; COMPUTE_PGM_RSRC2:TGID_Z_EN: 1
; COMPUTE_PGM_RSRC2:TIDIG_COMP_CNT: 1
	.section	.text._ZL19rocblas_trsv_deviceILi64ELi16ELb1ELb1ELb1ELb0E19rocblas_complex_numIfES1_PKS1_PS1_EviT7_lllT6_T8_lllPii,"axG",@progbits,_ZL19rocblas_trsv_deviceILi64ELi16ELb1ELb1ELb1ELb0E19rocblas_complex_numIfES1_PKS1_PS1_EviT7_lllT6_T8_lllPii,comdat
	.globl	_ZL19rocblas_trsv_deviceILi64ELi16ELb1ELb1ELb1ELb0E19rocblas_complex_numIfES1_PKS1_PS1_EviT7_lllT6_T8_lllPii ; -- Begin function _ZL19rocblas_trsv_deviceILi64ELi16ELb1ELb1ELb1ELb0E19rocblas_complex_numIfES1_PKS1_PS1_EviT7_lllT6_T8_lllPii
	.p2align	8
	.type	_ZL19rocblas_trsv_deviceILi64ELi16ELb1ELb1ELb1ELb0E19rocblas_complex_numIfES1_PKS1_PS1_EviT7_lllT6_T8_lllPii,@function
_ZL19rocblas_trsv_deviceILi64ELi16ELb1ELb1ELb1ELb0E19rocblas_complex_numIfES1_PKS1_PS1_EviT7_lllT6_T8_lllPii: ; @_ZL19rocblas_trsv_deviceILi64ELi16ELb1ELb1ELb1ELb0E19rocblas_complex_numIfES1_PKS1_PS1_EviT7_lllT6_T8_lllPii
; %bb.0:
	s_load_b32 s90, s[0:1], 0x58
	s_bfe_u32 s2, ttmp6, 0x40014
	s_lshr_b32 s3, ttmp7, 16
	s_add_co_i32 s2, s2, 1
	s_bfe_u32 s5, ttmp6, 0x40008
	s_mul_i32 s2, s3, s2
	s_getreg_b32 s4, hwreg(HW_REG_IB_STS2, 6, 4)
	s_add_co_i32 s5, s5, s2
	s_cmp_eq_u32 s4, 0
	s_mov_b32 s77, 0
	s_cselect_b32 s76, s3, s5
	s_wait_kmcnt 0x0
	s_cmp_ge_u32 s76, s90
	s_cbranch_scc1 .LBB72_1174
; %bb.1:
	s_clause 0x4
	s_load_b256 s[60:67], s[0:1], 0x8
	s_load_b256 s[68:75], s[0:1], 0x30
	s_load_b32 s5, s[0:1], 0x6c
	s_load_b32 s92, s[0:1], 0x60
	;; [unrolled: 1-line block ×3, first 2 shown]
	s_bfe_u32 s2, ttmp6, 0x4000c
	s_and_b32 s3, ttmp6, 15
	s_add_co_i32 s2, s2, 1
	s_clause 0x1
	s_load_b64 s[80:81], s[0:1], 0x50
	s_load_b64 s[16:17], s[0:1], 0x28
	s_mul_i32 s2, ttmp9, s2
	v_and_b32_e32 v2, 0x3ff, v0
	s_add_co_i32 s6, s3, s2
	v_mov_b32_e32 v5, 0
	v_bfe_u32 v41, v0, 10, 10
                                        ; implicit-def: $vgpr106 : SGPR spill to VGPR lane
                                        ; implicit-def: $vgpr105 : SGPR spill to VGPR lane
                                        ; implicit-def: $vgpr104 : SGPR spill to VGPR lane
	s_delay_alu instid0(VALU_DEP_3) | instskip(SKIP_2) | instid1(VALU_DEP_4)
	v_dual_lshrrev_b32 v12, 10, v0 :: v_dual_lshlrev_b32 v1, 6, v2
	v_lshlrev_b32_e32 v44, 3, v2
	v_mul_i32_i24_e32 v51, 0xfffffe08, v2
	v_add_nc_u32_e32 v20, 16, v41
	s_wait_kmcnt 0x0
	s_lshl_b64 s[0:1], s[62:63], 3
	s_lshl_b64 s[2:3], s[70:71], 3
	s_cmp_eq_u32 s4, 0
	s_add_nc_u64 s[0:1], s[60:61], s[0:1]
	s_cselect_b32 s91, ttmp9, s6
	s_and_b32 s4, s5, 0xffff
	s_add_co_i32 s5, s78, -1
	s_ashr_i32 s79, s78, 31
	s_ashr_i32 s6, s5, 31
	s_lshr_b32 s7, s79, 26
	s_lshr_b32 s6, s6, 26
	s_add_co_i32 s7, s78, s7
	s_add_co_i32 s92, s92, -1
	s_add_co_i32 s5, s5, s6
	s_and_not1_b32 s7, s7, 63
	s_sub_co_i32 s14, s92, s91
	s_ashr_i32 s5, s5, 6
	s_sub_co_i32 s9, s78, s7
	s_cmp_eq_u32 s5, s14
	v_lshl_add_u32 v23, v41, 6, v2
	s_cselect_b32 s5, -1, 0
	s_cmp_lg_u32 s9, 0
	v_lshl_add_u32 v11, v20, 6, v2
	s_cselect_b32 s6, -1, 0
	v_mad_u32_u24 v4, v41, s4, v2
	s_and_b32 s15, s6, s5
	s_add_nc_u64 s[6:7], s[64:65], 1
	s_xor_b32 s93, s15, -1
	s_cmp_lg_u32 s91, 0
	v_add_nc_u32_e32 v26, 32, v41
	s_cselect_b32 s5, -1, 0
	s_lshl_b32 s10, s14, 6
	v_writelane_b32 v106, s5, 0
	v_dual_mov_b32 v3, v5 :: v_dual_add_nc_u32 v21, s10, v41
	v_dual_add_nc_u32 v10, v41, v1 :: v_dual_add_nc_u32 v14, s10, v2
	v_writelane_b32 v106, s0, 1
	s_delay_alu instid0(VALU_DEP_3) | instskip(NEXT) | instid1(VALU_DEP_4)
	v_mad_nc_u64_u32 v[18:19], s6, s10, v[2:3]
	v_add_nc_u32_e32 v6, 64, v21
	s_cmp_lt_i32 s91, 5
	v_ashrrev_i32_e32 v15, 31, v14
	v_writelane_b32 v106, s1, 2
	s_add_nc_u64 s[0:1], s[68:69], s[2:3]
	v_ashrrev_i32_e32 v7, 31, v6
	s_cselect_b32 vcc_lo, -1, 0
	s_delay_alu instid0(SALU_CYCLE_1)
	v_dual_cndmask_b32 v22, v23, v10, vcc_lo :: v_dual_bitop2_b32 v13, 1, v0 bitop3:0x40
	v_writelane_b32 v106, s0, 3
	v_add_nc_u32_e32 v3, v20, v1
	s_ashr_i32 s11, s10, 31
	s_or_b32 vcc_lo, vcc_lo, s15
	v_cmp_eq_u32_e64 s2, 1, v13
	v_writelane_b32 v106, s1, 4
	s_mul_i32 s0, s6, s11
	s_mul_i32 s1, s7, s10
	v_dual_cndmask_b32 v24, v11, v3 :: v_dual_lshlrev_b32 v11, 3, v13
	v_add3_u32 v19, s0, s1, v19
	v_lshrrev_b32_e32 v10, 1, v23
	v_cmp_gt_u32_e64 s0, 4, v23
	s_xor_b32 s1, s2, -1
	v_bitop3_b32 v25, v0, v12, 0x3ff bitop3:0xa8
	v_cmp_gt_u32_e64 s3, 2, v2
	v_lshl_or_b32 v42, v10, 9, v11
	v_dual_lshrrev_b32 v11, 2, v23 :: v_dual_bitop2_b32 v12, 3, v0 bitop3:0x40
	s_and_b32 s96, s1, s0
	v_cmp_eq_u32_e64 s1, 0, v41
	s_and_b32 s97, s2, s0
	v_dual_lshlrev_b32 v13, 3, v11 :: v_dual_lshlrev_b32 v46, 3, v12
	v_mul_u32_u24_e32 v45, 0x208, v11
	s_and_b32 s98, s1, s3
	v_cmp_gt_u32_e64 s2, 16, v23
	v_cmp_eq_u32_e64 s3, 0, v12
	v_cmp_ne_u32_e64 s4, 0, v12
	v_sub_nc_u32_e32 v16, v45, v13
	v_lshl_or_b32 v49, v11, 9, v46
	v_cmp_eq_u32_e64 s5, 1, v12
	s_and_b32 s99, s3, s2
	v_cmp_eq_u32_e64 s3, 2, v12
	v_cmp_lt_u32_e64 s6, 1, v12
	s_and_b32 s100, s4, s2
	v_dual_lshrrev_b32 v11, 3, v23 :: v_dual_add_nc_u32 v50, v16, v46
	s_and_b32 s103, s3, s2
	v_cmp_eq_u32_e64 s3, 3, v12
	v_cmp_gt_u32_e64 s4, 4, v2
	v_and_b32_e32 v12, 7, v0
	s_and_b32 s101, s5, s2
	s_and_b32 s102, s6, s2
	s_and_b32 s104, s3, s2
	s_and_b32 vcc_hi, s1, s4
	v_cmp_gt_u32_e64 s3, 64, v23
	v_cmp_eq_u32_e64 s4, 0, v12
	v_cmp_ne_u32_e64 s5, 0, v12
	v_cmp_eq_u32_e64 s6, 1, v12
	v_mul_u32_u24_e32 v55, 0x208, v11
	v_lshlrev_b32_e32 v56, 3, v12
	s_and_b32 s38, s4, s3
	v_cmp_lt_u32_e64 s4, 1, v12
	s_and_b32 s39, s5, s3
	v_cmp_eq_u32_e64 s5, 2, v12
	s_and_b32 s40, s6, s3
	v_cmp_lt_u32_e64 s6, 2, v12
	s_and_b32 s41, s4, s3
	v_cmp_eq_u32_e64 s4, 3, v12
	s_and_b32 s42, s5, s3
	v_cmp_lt_u32_e64 s5, 3, v12
	v_lshl_add_u32 v17, v26, 6, v2
	v_add_nc_u32_e32 v48, 0x8000, v13
	v_and_b32_e32 v13, -8, v23
	v_lshl_or_b32 v59, v11, 9, v56
	s_and_b32 s43, s6, s3
	v_cmp_eq_u32_e64 s6, 4, v12
	s_and_b32 s44, s4, s3
	v_dual_sub_nc_u32 v16, v55, v13 :: v_dual_lshrrev_b32 v11, 4, v23
	v_cmp_lt_u32_e64 s4, 4, v12
	s_and_b32 s45, s5, s3
	v_cmp_eq_u32_e64 s5, 5, v12
	v_add_nc_u32_e32 v60, v16, v56
	s_and_b32 s46, s6, s3
	v_cmp_lt_u32_e64 s6, 5, v12
	s_and_b32 s47, s4, s3
	v_cmp_eq_u32_e64 s4, 6, v12
	s_and_b32 s48, s5, s3
	v_cmp_eq_u32_e64 s5, 7, v12
	v_lshlrev_b32_e32 v12, 3, v11
	v_mul_u32_u24_e32 v64, 0x208, v11
	v_add_nc_u32_e32 v58, 0x8000, v13
	s_and_b32 s50, s4, s3
	v_cmp_gt_u32_e64 s4, 8, v2
	s_and_b32 s51, s5, s3
	v_sub_nc_u32_e32 v13, v64, v12
	v_dual_add_nc_u32 v27, 48, v41 :: v_dual_bitop2_b32 v16, 15, v0 bitop3:0x40
	s_and_b32 s52, s1, s4
	v_cmp_gt_u32_e64 s4, 0x100, v23
	s_and_b32 s49, s6, s3
	v_lshlrev_b32_e32 v66, 3, v16
	v_mad_u32_u24 v47, 0x1f8, v2, v44
	v_lshl_add_u32 v28, v27, 6, v2
	v_cmp_gt_u32_e64 s35, 0xf0, v23
	v_and_b32_e32 v70, 31, v0
	v_lshl_or_b32 v68, v11, 9, v66
	v_dual_add_nc_u32 v11, v26, v1 :: v_dual_add_nc_u32 v69, v13, v66
	v_cmp_eq_u32_e64 s5, 0, v16
	v_cmp_ne_u32_e64 s6, 0, v16
	v_cmp_eq_u32_e64 s7, 2, v16
	v_cmp_lt_u32_e64 s8, 2, v16
	v_mad_i32_i24 v52, 0xfffffe08, v2, v47
	s_and_b32 s5, s5, s4
	s_and_b32 s6, s6, s4
	v_writelane_b32 v106, s5, 5
	v_cmp_eq_u32_e64 s5, 1, v16
	s_and_b32 s58, s8, s4
	v_cmp_eq_u32_e64 s8, 5, v16
	v_add_nc_u32_e32 v1, v27, v1
	v_writelane_b32 v106, s6, 6
	s_and_b32 s5, s5, s4
	v_cmp_lt_u32_e64 s6, 1, v16
	v_mad_u32_u24 v53, 0x1f8, v2, v52
	v_dual_cndmask_b32 v28, v28, v1 :: v_dual_add_nc_u32 v67, 0x8000, v12
	v_writelane_b32 v106, s5, 7
	v_cmp_eq_u32_e64 s5, 3, v16
	s_and_b32 s6, s6, s4
	s_and_b32 s63, s8, s4
	v_cmp_lt_u32_e64 s8, 7, v16
	v_writelane_b32 v106, s6, 8
	s_and_b32 s59, s5, s4
	v_cmp_eq_u32_e64 s5, 4, v16
	s_and_b32 s6, s7, s4
	v_cmp_lt_u32_e64 s7, 4, v16
	v_writelane_b32 v106, s6, 9
	v_cmp_lt_u32_e64 s6, 3, v16
	s_and_b32 s61, s5, s4
	v_cmp_eq_u32_e64 s5, 6, v16
	s_and_b32 s62, s7, s4
	v_cmp_eq_u32_e64 s7, 7, v16
	s_and_b32 s60, s6, s4
	v_cmp_lt_u32_e64 s6, 5, v16
	s_and_b32 s13, s5, s4
	v_cmp_eq_u32_e64 s5, 8, v16
	s_and_b32 s25, s7, s4
	v_cmp_lt_u32_e64 s7, 9, v16
	s_and_b32 s12, s6, s4
	v_cmp_lt_u32_e64 s6, 6, v16
	s_and_b32 s29, s5, s4
	v_cmp_eq_u32_e64 s5, 9, v16
	v_mul_lo_u32 v1, v51, 6
	s_xor_b32 s95, vcc_lo, -1
	s_and_b32 s23, s6, s4
	v_cmp_lt_u32_e64 s6, 8, v16
	s_and_b32 s34, s5, s4
	v_cmp_eq_u32_e64 s5, 11, v16
	v_mad_i32_i24 v54, 0xfffffe08, v2, v53
	v_cndmask_b32_e32 v29, v17, v11, vcc_lo
	s_and_b32 s31, s6, s4
	v_cmp_lt_u32_e64 s6, 10, v16
	s_and_b32 s83, s5, s4
	v_cmp_eq_u32_e64 s5, 13, v16
	v_cmp_eq_u32_e32 vcc_lo, 14, v16
	v_writelane_b32 v105, s35, 0
	v_cmp_gt_u32_e64 s35, 0xe0, v23
	s_and_b32 s82, s6, s4
	s_and_b32 s26, s5, s4
	v_cmp_gt_u32_e64 s5, 16, v2
	v_cmp_lt_u32_e64 s6, 11, v16
	s_and_b32 s27, s8, s4
	v_cmp_eq_u32_e64 s8, 10, v16
	s_and_b32 s84, s7, s4
	v_cmp_eq_u32_e64 s7, 12, v16
	v_lshl_add_u32 v3, v10, 3, 0x8000
	v_mul_u32_u24_e32 v43, 0x208, v10
	v_mul_u32_u24_e32 v10, 0x1f8, v2
	v_mad_u32_u24 v57, 0x1f8, v2, v54
	s_and_b32 s30, vcc_lo, s4
	v_cmp_le_i32_e32 vcc_lo, s9, v2
	s_and_b32 s94, s1, s5
	v_cmp_gt_u32_e64 s5, 32, v2
	v_writelane_b32 v105, s35, 1
	v_cmp_gt_u32_e64 s35, 0xd0, v23
	v_add_nc_u64_e32 v[12:13], s[10:11], v[4:5]
	s_and_b32 s10, s6, s4
	v_cmp_lt_u32_e64 s6, 13, v16
	s_and_b32 s85, s8, s4
	v_cmp_lt_u32_e64 s8, 12, v16
	s_and_b32 s11, s7, s4
	v_cmp_eq_u32_e64 s7, 15, v16
	v_mad_i32_i24 v61, 0xfffffe08, v2, v57
	s_and_b32 s70, vcc_lo, s15
	v_mad_u32 v10, v10, 7, v1
	s_and_b32 s5, s1, s5
	v_writelane_b32 v105, s35, 2
	v_cmp_gt_u32_e64 s35, 0xc0, v23
	s_and_b32 s28, s6, s4
	s_xor_b32 s6, s70, -1
	v_writelane_b32 v106, s5, 10
	v_cmp_gt_i32_e64 s5, s9, v2
	s_and_b32 s24, s8, s4
	s_and_b32 s33, s7, s4
	;; [unrolled: 1-line block ×3, first 2 shown]
	s_xor_b32 s18, s17, 0x80000000
	v_mad_u32_u24 v62, 0x1f8, v2, v61
	s_cmp_gt_i32 s91, 0
	v_writelane_b32 v105, s35, 3
	v_cmp_gt_u32_e64 s35, 0xb0, v23
	v_mul_u32_u24_e32 v16, 0x1f0, v2
	s_cselect_b32 s68, -1, 0
	s_and_b32 s5, s1, s5
	v_cmp_gt_i32_e64 s6, s78, v6
	v_writelane_b32 v106, s5, 11
	v_cmp_gt_i32_e64 s5, s78, v14
	v_mad_i32_i24 v63, 0xfffffe08, v2, v62
	v_writelane_b32 v105, s35, 4
	v_cmp_gt_u32_e64 s35, 0xa0, v23
	v_dual_sub_nc_u32 v30, v10, v16 :: v_dual_lshlrev_b32 v75, 3, v22
	v_add_nc_u32_e32 v16, 0x50, v21
	s_and_b32 s6, s6, s5
	v_mad_u32_u24 v65, 0x1f8, v2, v63
	v_writelane_b32 v105, s35, 5
	v_cmp_gt_u32_e64 s35, 0x90, v23
	v_writelane_b32 v106, s6, 12
	v_cmp_gt_i32_e64 s6, s78, v16
	v_add_nc_u32_e32 v31, 0x60, v21
	v_mad_i32_i24 v73, 0xfffffe08, v2, v65
	v_writelane_b32 v105, s35, 6
	v_cmp_gt_u32_e64 s35, 0x80, v23
	s_and_b32 s6, s6, s5
	v_add_nc_u32_e32 v21, 0x70, v21
	v_writelane_b32 v106, s6, 13
	v_cmp_gt_i32_e64 s6, s78, v31
	v_mad_u32_u24 v74, 0x1f8, v2, v73
	v_writelane_b32 v105, s35, 7
	v_cmp_gt_u32_e64 s35, 0x70, v23
	v_lshlrev_b32_e32 v78, 3, v28
	s_and_b32 s6, s6, s5
	v_mad_i32_i24 v79, 0xfffffe08, v2, v74
	v_writelane_b32 v106, s6, 14
	v_cmp_gt_i32_e64 s6, s78, v21
	v_lshlrev_b32_e32 v21, 3, v41
	v_writelane_b32 v105, s35, 8
	v_cmp_gt_u32_e64 s35, 0x60, v23
	v_lshrrev_b32_e32 v11, 5, v23
	v_mad_u32_u24 v80, 0x1f8, v2, v79
	v_or_b32_e32 v81, 0xa000, v21
	v_dual_lshlrev_b32 v76, 3, v24 :: v_dual_lshlrev_b32 v77, 3, v29
	v_writelane_b32 v105, s35, 9
	v_cmp_gt_u32_e64 s35, 0x50, v23
	v_dual_lshlrev_b32 v71, 3, v11 :: v_dual_lshlrev_b32 v72, 9, v11
	v_dual_add_nc_u32 v82, v80, v21 :: v_dual_lshlrev_b32 v84, 3, v70
	v_dual_add_nc_u32 v90, v81, v44 :: v_dual_bitop2_b32 v29, v20, v2 bitop3:0x54
	s_delay_alu instid0(VALU_DEP_4) | instskip(SKIP_1) | instid1(VALU_DEP_4)
	v_writelane_b32 v105, s35, 10
	v_cmp_gt_u32_e64 s53, 64, v25
	v_dual_lshlrev_b32 v21, 9, v70 :: v_dual_bitop2_b32 v85, v72, v84 bitop3:0x54
	v_or_b32_e32 v31, v26, v2
	v_or_b32_e32 v32, v27, v2
	s_delay_alu instid0(VALU_DEP_4)
	v_writelane_b32 v105, s53, 11
	v_cmp_gt_u32_e64 s53, 64, v29
	v_add_nc_u32_e32 v94, v84, v21
	s_and_b32 s6, s6, s5
	s_add_co_i32 s69, s14, 1
	v_writelane_b32 v106, s6, 15
	v_writelane_b32 v105, s53, 12
	v_cmp_gt_u32_e64 s53, 64, v31
	v_cmp_le_i32_e64 s6, s9, v41
	v_cmp_ne_u32_e64 s15, v2, v20
	v_cmp_ne_u32_e64 s19, v2, v26
	;; [unrolled: 1-line block ×3, first 2 shown]
	v_writelane_b32 v105, s53, 13
	v_cmp_gt_u32_e64 s53, 64, v32
	s_or_b32 s7, s6, vcc_lo
	v_cmp_le_u32_e64 s6, v2, v41
	v_mul_u64_e32 v[8:9], s[64:65], v[14:15]
	v_mul_u64_e32 v[0:1], s[72:73], v[12:13]
	v_writelane_b32 v105, s53, 14
	v_cmp_gt_u32_e64 s53, 0x3e0, v23
	s_or_b32 s7, s7, s6
	v_mul_u64_e32 v[10:11], s[72:73], v[14:15]
	v_writelane_b32 v106, s7, 16
	v_cmp_le_i32_e64 s7, s9, v20
	v_writelane_b32 v105, s53, 15
	v_cmp_gt_u32_e64 s53, 0x3c0, v23
	v_mad_nc_u64_u32 v[12:13], s64, v41, v[18:19]
	v_mad_nc_u64_u32 v[14:15], s64, v20, v[18:19]
	s_or_b32 s8, s7, vcc_lo
	v_cmp_le_u32_e64 s7, v2, v20
	v_writelane_b32 v105, s53, 16
	v_cmp_gt_u32_e64 s53, 0x3a0, v23
	v_mad_nc_u64_u32 v[16:17], s64, v26, v[18:19]
	v_mad_nc_u64_u32 v[18:19], s64, v27, v[18:19]
	s_or_b32 s8, s8, s7
	v_add_nc_u32_e32 v83, 0x8000, v71
	v_writelane_b32 v105, s53, 17
	v_cmp_gt_u32_e64 s53, 0x380, v23
	v_writelane_b32 v106, s8, 17
	v_cmp_le_i32_e64 s8, s9, v26
	v_cmp_le_i32_e64 s9, s9, v27
	v_mad_u32 v13, s65, v41, v13
	v_writelane_b32 v105, s53, 18
	v_cmp_gt_u32_e64 s53, 0x360, v23
	s_or_b32 s14, s8, vcc_lo
	v_cmp_le_u32_e64 s8, v2, v26
	v_mad_u32 v15, s65, v20, v15
	v_mad_u32 v17, s65, v26, v17
	v_writelane_b32 v105, s53, 19
	v_cmp_gt_u32_e64 s53, 0x340, v23
	s_or_b32 s14, s14, s8
	v_mad_u32 v19, s65, v27, v19
	v_writelane_b32 v106, s14, 18
	s_or_b32 s14, s9, vcc_lo
	v_writelane_b32 v105, s53, 20
	v_cmp_gt_u32_e64 s53, 0x320, v23
	v_cmp_le_u32_e64 s9, v2, v27
	v_mov_b64_e32 v[20:21], 0
	v_lshl_add_u32 v86, v4, 3, 0xa000
	v_lshl_add_u32 v87, v23, 3, 0x8000
	v_writelane_b32 v105, s53, 21
	v_cmp_gt_u32_e64 s53, 0x300, v23
	s_or_b32 s14, s14, s9
	v_add_nc_u32_e32 v88, 0x8000, v44
	v_writelane_b32 v106, s14, 19
	v_cmp_ne_u32_e64 s14, v2, v41
	v_writelane_b32 v105, s53, 22
	v_cmp_gt_u32_e64 s53, 0x2e0, v23
	v_lshl_add_u32 v89, v41, 9, v73
	v_or_b32_e32 v91, 0x4100, v84
	v_writelane_b32 v106, s14, 20
	s_or_b32 s14, vcc_lo, s14
	v_writelane_b32 v105, s53, 23
	v_cmp_gt_u32_e64 s53, 0x2c0, v23
	v_add_nc_u32_e32 v92, 0x7c00, v30
	v_writelane_b32 v106, s14, 21
	s_or_b32 s14, vcc_lo, s15
	v_subrev_nc_u32_e32 v93, 63, v2
	v_writelane_b32 v105, s53, 24
	v_cmp_gt_u32_e64 s53, 0x2a0, v23
	v_writelane_b32 v106, s15, 22
	v_cmp_gt_u32_e64 s15, 2, v23
	v_cmp_gt_u32_e64 s21, 32, v23
	v_cmp_gt_u32_e64 s22, 24, v23
	v_writelane_b32 v105, s53, 25
	v_cmp_gt_u32_e64 s53, 0x280, v23
	v_writelane_b32 v106, s14, 23
	s_or_b32 s14, vcc_lo, s19
	v_cmp_gt_u32_e64 s35, 0x400, v23
	v_cmp_eq_u32_e64 s36, 0, v4
	v_writelane_b32 v105, s53, 26
	v_cmp_gt_u32_e64 s53, 0x260, v23
	v_writelane_b32 v106, s19, 24
	s_mov_b32 s19, s17
	s_mov_b32 s17, s16
	v_cmp_gt_u32_e64 s37, 64, v4
	v_writelane_b32 v105, s53, 27
	v_cmp_gt_u32_e64 s53, 0x240, v23
	v_writelane_b32 v106, s14, 25
	s_or_b32 s14, vcc_lo, s20
	v_cmp_lt_u32_e32 vcc_lo, 0x3ff, v23
                                        ; implicit-def: $vgpr22
                                        ; implicit-def: $vgpr24
                                        ; implicit-def: $vgpr26
                                        ; implicit-def: $vgpr28
	v_writelane_b32 v105, s53, 28
	v_cmp_gt_u32_e64 s53, 0x220, v23
	v_writelane_b32 v106, s20, 26
	v_cmp_gt_u32_e64 s20, 40, v23
	s_xor_b32 s65, vcc_lo, -1
	v_writelane_b32 v105, s53, 29
	v_cmp_gt_u32_e64 s53, 0x200, v23
	v_writelane_b32 v106, s14, 27
	v_cmp_eq_u32_e64 s14, 0, v25
	s_delay_alu instid0(VALU_DEP_3) | instskip(SKIP_2) | instid1(VALU_DEP_2)
	v_writelane_b32 v105, s53, 30
	v_cmp_gt_u32_e64 s53, 0x1e0, v23
	v_writelane_b32 v106, s18, 28
	v_writelane_b32 v105, s53, 31
	v_cmp_gt_u32_e64 s53, 0x1c0, v23
	v_writelane_b32 v106, s19, 29
	v_cmp_gt_u32_e64 s18, 56, v23
	v_cmp_gt_u32_e64 s19, 48, v23
	s_delay_alu instid0(VALU_DEP_4) | instskip(SKIP_2) | instid1(VALU_DEP_2)
	v_writelane_b32 v104, s53, 0
	v_cmp_gt_u32_e64 s53, 0x1a0, v23
	v_writelane_b32 v106, s16, 30
	v_writelane_b32 v104, s53, 1
	v_cmp_gt_u32_e64 s53, 0x180, v23
	v_writelane_b32 v106, s17, 31
	v_cmp_gt_u32_e64 s16, 12, v23
	v_cmp_gt_u32_e64 s17, 8, v23
	s_delay_alu instid0(VALU_DEP_4) | instskip(SKIP_1) | instid1(VALU_DEP_1)
	v_writelane_b32 v104, s53, 2
	v_cmp_gt_u32_e64 s53, 0x160, v23
	v_writelane_b32 v104, s53, 3
	v_cmp_gt_u32_e64 s53, 0x140, v23
	s_delay_alu instid0(VALU_DEP_1) | instskip(SKIP_1) | instid1(VALU_DEP_1)
	v_writelane_b32 v104, s53, 4
	v_cmp_gt_u32_e64 s53, 0x120, v23
	v_writelane_b32 v104, s53, 5
	s_branch .LBB72_3
.LBB72_2:                               ;   in Loop: Header=BB72_3 Depth=1
	s_wait_xcnt 0x0
	s_or_b32 exec_lo, exec_lo, s53
	s_add_co_i32 s76, s76, 0x10000
	global_wb scope:SCOPE_DEV
	s_wait_storecnt 0x0
	global_inv scope:SCOPE_DEV
	s_cmp_lt_u32 s76, s90
	s_cbranch_scc0 .LBB72_1174
.LBB72_3:                               ; =>This Loop Header: Depth=1
                                        ;     Child Loop BB72_569 Depth 2
                                        ;     Child Loop BB72_1010 Depth 2
                                        ;       Child Loop BB72_1012 Depth 3
                                        ;     Child Loop BB72_1056 Depth 2
	v_readlane_b32 s56, v106, 1
	v_readlane_b32 s57, v106, 2
	s_mul_u64 s[54:55], s[66:67], s[76:77]
	v_readlane_b32 s53, v106, 0
	s_lshl_b64 s[54:55], s[54:55], 3
	s_delay_alu instid0(SALU_CYCLE_1)
	s_add_nc_u64 s[86:87], s[56:57], s[54:55]
	s_and_not1_b32 vcc_lo, exec_lo, s53
	v_lshl_add_u64 v[30:31], v[8:9], 3, s[86:87]
	s_cbranch_vccnz .LBB72_13
; %bb.4:                                ;   in Loop: Header=BB72_3 Depth=1
	s_delay_alu instid0(VALU_DEP_1)
	v_lshl_add_u64 v[32:33], v[6:7], 3, v[30:31]
	v_dual_mov_b32 v24, 0 :: v_dual_mov_b32 v22, 0
	v_mov_b32_e32 v23, 0
	s_barrier_signal -1
	s_barrier_wait -1
	s_mov_b32 s53, exec_lo
	v_readlane_b32 s54, v106, 12
	s_and_b32 s54, s53, s54
	s_delay_alu instid0(SALU_CYCLE_1)
	s_mov_b32 exec_lo, s54
	s_cbranch_execz .LBB72_6
; %bb.5:                                ;   in Loop: Header=BB72_3 Depth=1
	global_load_b64 v[22:23], v[32:33], off
.LBB72_6:                               ;   in Loop: Header=BB72_3 Depth=1
	s_wait_xcnt 0x0
	s_or_b32 exec_lo, exec_lo, s53
	v_mov_b32_e32 v25, 0
	s_wait_loadcnt 0x0
	s_barrier_signal -1
	s_barrier_wait -1
	s_mov_b32 s53, exec_lo
	v_readlane_b32 s54, v106, 13
	s_and_b32 s54, s53, s54
	s_delay_alu instid0(SALU_CYCLE_1)
	s_mov_b32 exec_lo, s54
	s_cbranch_execz .LBB72_8
; %bb.7:                                ;   in Loop: Header=BB72_3 Depth=1
	global_load_b64 v[24:25], v[32:33], off offset:128
.LBB72_8:                               ;   in Loop: Header=BB72_3 Depth=1
	s_wait_xcnt 0x0
	s_or_b32 exec_lo, exec_lo, s53
	v_dual_mov_b32 v29, 0 :: v_dual_mov_b32 v26, 0
	v_mov_b32_e32 v27, 0
	s_wait_loadcnt 0x0
	s_barrier_signal -1
	s_barrier_wait -1
	s_mov_b32 s53, exec_lo
	v_readlane_b32 s54, v106, 14
	s_and_b32 s54, s53, s54
	s_delay_alu instid0(SALU_CYCLE_1)
	s_mov_b32 exec_lo, s54
	s_cbranch_execz .LBB72_10
; %bb.9:                                ;   in Loop: Header=BB72_3 Depth=1
	global_load_b64 v[26:27], v[32:33], off offset:256
.LBB72_10:                              ;   in Loop: Header=BB72_3 Depth=1
	s_wait_xcnt 0x0
	s_or_b32 exec_lo, exec_lo, s53
	v_mov_b32_e32 v28, 0
	s_wait_loadcnt 0x0
	s_barrier_signal -1
	s_barrier_wait -1
	s_mov_b32 s53, exec_lo
	v_readlane_b32 s54, v106, 15
	s_and_b32 s54, s53, s54
	s_delay_alu instid0(SALU_CYCLE_1)
	s_mov_b32 exec_lo, s54
	s_cbranch_execz .LBB72_12
; %bb.11:                               ;   in Loop: Header=BB72_3 Depth=1
	global_load_b64 v[28:29], v[32:33], off offset:384
.LBB72_12:                              ;   in Loop: Header=BB72_3 Depth=1
	s_wait_xcnt 0x0
	s_or_b32 exec_lo, exec_lo, s53
.LBB72_13:                              ;   in Loop: Header=BB72_3 Depth=1
	s_delay_alu instid0(SALU_CYCLE_1)
	s_and_not1_b32 vcc_lo, exec_lo, s93
	s_mov_b32 s53, -1
	s_cbranch_vccnz .LBB72_24
; %bb.14:                               ;   in Loop: Header=BB72_3 Depth=1
	s_and_saveexec_b32 s53, s6
	s_delay_alu instid0(SALU_CYCLE_1)
	s_xor_b32 s64, exec_lo, s53
	s_cbranch_execnz .LBB72_1070
; %bb.15:                               ;   in Loop: Header=BB72_3 Depth=1
	s_and_not1_saveexec_b32 s53, s64
	s_cbranch_execnz .LBB72_1081
.LBB72_16:                              ;   in Loop: Header=BB72_3 Depth=1
	s_or_b32 exec_lo, exec_lo, s53
	s_and_saveexec_b32 s53, s7
	s_delay_alu instid0(SALU_CYCLE_1)
	s_xor_b32 s64, exec_lo, s53
	s_cbranch_execnz .LBB72_1082
.LBB72_17:                              ;   in Loop: Header=BB72_3 Depth=1
	s_and_not1_saveexec_b32 s53, s64
	s_cbranch_execnz .LBB72_1093
.LBB72_18:                              ;   in Loop: Header=BB72_3 Depth=1
	s_or_b32 exec_lo, exec_lo, s53
	s_and_saveexec_b32 s53, s8
	s_delay_alu instid0(SALU_CYCLE_1)
	s_xor_b32 s64, exec_lo, s53
	s_cbranch_execnz .LBB72_1094
.LBB72_19:                              ;   in Loop: Header=BB72_3 Depth=1
	s_and_not1_saveexec_b32 s53, s64
	s_cbranch_execnz .LBB72_1105
.LBB72_20:                              ;   in Loop: Header=BB72_3 Depth=1
	s_or_b32 exec_lo, exec_lo, s53
	s_and_saveexec_b32 s53, s9
	s_delay_alu instid0(SALU_CYCLE_1)
	s_xor_b32 s64, exec_lo, s53
	s_cbranch_execnz .LBB72_1106
.LBB72_21:                              ;   in Loop: Header=BB72_3 Depth=1
	s_and_not1_saveexec_b32 s53, s64
	s_cbranch_execz .LBB72_23
.LBB72_22:                              ;   in Loop: Header=BB72_3 Depth=1
	v_lshl_add_u64 v[32:33], v[18:19], 3, s[86:87]
	global_load_b64 v[32:33], v[32:33], off
	s_wait_loadcnt 0x0
	v_xor_b32_e32 v32, 0x80000000, v32
	ds_store_b64 v78, v[32:33]
.LBB72_23:                              ;   in Loop: Header=BB72_3 Depth=1
	s_or_b32 exec_lo, exec_lo, s53
	s_mov_b32 s53, 0
.LBB72_24:                              ;   in Loop: Header=BB72_3 Depth=1
	s_delay_alu instid0(SALU_CYCLE_1)
	s_and_b32 vcc_lo, exec_lo, s53
	s_cbranch_vccz .LBB72_82
; %bb.25:                               ;   in Loop: Header=BB72_3 Depth=1
	s_mov_b32 s53, exec_lo
	v_readlane_b32 s54, v106, 16
	s_and_b32 s54, s53, s54
	s_delay_alu instid0(SALU_CYCLE_1)
	s_xor_b32 s64, s54, s53
	s_mov_b32 exec_lo, s54
	s_cbranch_execz .LBB72_37
; %bb.26:                               ;   in Loop: Header=BB72_3 Depth=1
	s_mov_b32 s53, exec_lo
	v_readlane_b32 s54, v106, 21
	s_and_b32 s54, s53, s54
	s_delay_alu instid0(SALU_CYCLE_1)
	s_xor_b32 s53, s54, s53
	s_mov_b32 exec_lo, s54
	s_cbranch_execz .LBB72_30
; %bb.27:                               ;   in Loop: Header=BB72_3 Depth=1
	s_mov_b32 s54, exec_lo
	v_readlane_b32 s55, v105, 11
	s_and_b32 s55, s54, s55
	s_delay_alu instid0(SALU_CYCLE_1)
	s_mov_b32 exec_lo, s55
; %bb.28:                               ;   in Loop: Header=BB72_3 Depth=1
	ds_store_b64 v82, v[20:21]
; %bb.29:                               ;   in Loop: Header=BB72_3 Depth=1
	s_or_b32 exec_lo, exec_lo, s54
.LBB72_30:                              ;   in Loop: Header=BB72_3 Depth=1
	s_and_not1_saveexec_b32 s88, s53
	s_cbranch_execz .LBB72_36
; %bb.31:                               ;   in Loop: Header=BB72_3 Depth=1
	v_lshl_add_u64 v[32:33], v[12:13], 3, s[86:87]
                                        ; implicit-def: $vgpr34_vgpr35
	global_load_b64 v[32:33], v[32:33], off
	s_wait_loadcnt 0x0
	v_cmp_ngt_f32_e64 s53, |v32|, |v33|
	s_and_saveexec_b32 s54, s53
	s_delay_alu instid0(SALU_CYCLE_1)
	s_xor_b32 s53, exec_lo, s54
	s_cbranch_execz .LBB72_33
; %bb.32:                               ;   in Loop: Header=BB72_3 Depth=1
	v_div_scale_f32 v34, null, -v33, -v33, v32
	v_div_scale_f32 v37, vcc_lo, v32, -v33, v32
	s_delay_alu instid0(VALU_DEP_2) | instskip(SKIP_1) | instid1(TRANS32_DEP_1)
	v_rcp_f32_e32 v35, v34
	v_nop
	v_fma_f32 v36, -v34, v35, 1.0
	s_delay_alu instid0(VALU_DEP_1) | instskip(NEXT) | instid1(VALU_DEP_1)
	v_fmac_f32_e32 v35, v36, v35
	v_mul_f32_e32 v36, v37, v35
	s_delay_alu instid0(VALU_DEP_1) | instskip(NEXT) | instid1(VALU_DEP_1)
	v_fma_f32 v38, -v34, v36, v37
	v_fmac_f32_e32 v36, v38, v35
	s_delay_alu instid0(VALU_DEP_1) | instskip(NEXT) | instid1(VALU_DEP_1)
	v_fma_f32 v34, -v34, v36, v37
	v_div_fmas_f32 v34, v34, v35, v36
	s_delay_alu instid0(VALU_DEP_1) | instskip(NEXT) | instid1(VALU_DEP_1)
	v_div_fixup_f32 v34, v34, -v33, v32
	v_fma_f32 v32, v32, v34, -v33
	s_delay_alu instid0(VALU_DEP_1) | instskip(SKIP_1) | instid1(VALU_DEP_2)
	v_div_scale_f32 v33, null, v32, v32, 1.0
	v_div_scale_f32 v37, vcc_lo, 1.0, v32, 1.0
	v_rcp_f32_e32 v35, v33
	v_nop
	s_delay_alu instid0(TRANS32_DEP_1) | instskip(NEXT) | instid1(VALU_DEP_1)
	v_fma_f32 v36, -v33, v35, 1.0
	v_fmac_f32_e32 v35, v36, v35
	s_delay_alu instid0(VALU_DEP_1) | instskip(NEXT) | instid1(VALU_DEP_1)
	v_mul_f32_e32 v36, v37, v35
	v_fma_f32 v38, -v33, v36, v37
	s_delay_alu instid0(VALU_DEP_1) | instskip(NEXT) | instid1(VALU_DEP_1)
	v_fmac_f32_e32 v36, v38, v35
	v_fma_f32 v33, -v33, v36, v37
	s_delay_alu instid0(VALU_DEP_1) | instskip(NEXT) | instid1(VALU_DEP_1)
	v_div_fmas_f32 v33, v33, v35, v36
	v_div_fixup_f32 v32, v33, v32, 1.0
	s_delay_alu instid0(VALU_DEP_1)
	v_mul_f32_e32 v34, v34, v32
	v_xor_b32_e32 v35, 0x80000000, v32
                                        ; implicit-def: $vgpr32_vgpr33
.LBB72_33:                              ;   in Loop: Header=BB72_3 Depth=1
	s_and_not1_saveexec_b32 s53, s53
	s_cbranch_execz .LBB72_35
; %bb.34:                               ;   in Loop: Header=BB72_3 Depth=1
	v_div_scale_f32 v34, null, v32, v32, -v33
	v_div_scale_f32 v37, vcc_lo, -v33, v32, -v33
	s_delay_alu instid0(VALU_DEP_2) | instskip(SKIP_1) | instid1(TRANS32_DEP_1)
	v_rcp_f32_e32 v35, v34
	v_nop
	v_fma_f32 v36, -v34, v35, 1.0
	s_delay_alu instid0(VALU_DEP_1) | instskip(NEXT) | instid1(VALU_DEP_1)
	v_fmac_f32_e32 v35, v36, v35
	v_mul_f32_e32 v36, v37, v35
	s_delay_alu instid0(VALU_DEP_1) | instskip(NEXT) | instid1(VALU_DEP_1)
	v_fma_f32 v38, -v34, v36, v37
	v_fmac_f32_e32 v36, v38, v35
	s_delay_alu instid0(VALU_DEP_1) | instskip(NEXT) | instid1(VALU_DEP_1)
	v_fma_f32 v34, -v34, v36, v37
	v_div_fmas_f32 v34, v34, v35, v36
	s_delay_alu instid0(VALU_DEP_1) | instskip(NEXT) | instid1(VALU_DEP_1)
	v_div_fixup_f32 v35, v34, v32, -v33
	v_fma_f32 v32, -v33, v35, v32
	s_delay_alu instid0(VALU_DEP_1) | instskip(NEXT) | instid1(VALU_DEP_1)
	v_div_scale_f32 v33, null, v32, v32, 1.0
	v_rcp_f32_e32 v34, v33
	v_nop
	s_delay_alu instid0(TRANS32_DEP_1) | instskip(NEXT) | instid1(VALU_DEP_1)
	v_fma_f32 v36, -v33, v34, 1.0
	v_fmac_f32_e32 v34, v36, v34
	v_div_scale_f32 v36, vcc_lo, 1.0, v32, 1.0
	s_delay_alu instid0(VALU_DEP_1) | instskip(NEXT) | instid1(VALU_DEP_1)
	v_mul_f32_e32 v37, v36, v34
	v_fma_f32 v38, -v33, v37, v36
	s_delay_alu instid0(VALU_DEP_1) | instskip(NEXT) | instid1(VALU_DEP_1)
	v_fmac_f32_e32 v37, v38, v34
	v_fma_f32 v33, -v33, v37, v36
	s_delay_alu instid0(VALU_DEP_1) | instskip(NEXT) | instid1(VALU_DEP_1)
	v_div_fmas_f32 v33, v33, v34, v37
	v_div_fixup_f32 v34, v33, v32, 1.0
	s_delay_alu instid0(VALU_DEP_1)
	v_mul_f32_e64 v35, v35, -v34
.LBB72_35:                              ;   in Loop: Header=BB72_3 Depth=1
	s_or_b32 exec_lo, exec_lo, s53
	ds_store_b64 v82, v[34:35]
.LBB72_36:                              ;   in Loop: Header=BB72_3 Depth=1
	s_or_b32 exec_lo, exec_lo, s88
.LBB72_37:                              ;   in Loop: Header=BB72_3 Depth=1
	s_and_not1_saveexec_b32 s53, s64
	s_cbranch_execz .LBB72_39
; %bb.38:                               ;   in Loop: Header=BB72_3 Depth=1
	v_lshl_add_u64 v[32:33], v[12:13], 3, s[86:87]
	global_load_b64 v[32:33], v[32:33], off
	s_wait_loadcnt 0x0
	v_xor_b32_e32 v32, 0x80000000, v32
	ds_store_b64 v82, v[32:33]
.LBB72_39:                              ;   in Loop: Header=BB72_3 Depth=1
	s_or_b32 exec_lo, exec_lo, s53
	s_delay_alu instid0(SALU_CYCLE_1) | instskip(SKIP_2) | instid1(SALU_CYCLE_1)
	s_mov_b32 s53, exec_lo
	v_readlane_b32 s54, v106, 17
	s_and_b32 s54, s53, s54
	s_xor_b32 s64, s54, s53
	s_mov_b32 exec_lo, s54
	s_cbranch_execz .LBB72_51
; %bb.40:                               ;   in Loop: Header=BB72_3 Depth=1
	s_mov_b32 s53, exec_lo
	v_readlane_b32 s54, v106, 23
	s_and_b32 s54, s53, s54
	s_delay_alu instid0(SALU_CYCLE_1)
	s_xor_b32 s53, s54, s53
	s_mov_b32 exec_lo, s54
	s_cbranch_execz .LBB72_44
; %bb.41:                               ;   in Loop: Header=BB72_3 Depth=1
	s_mov_b32 s54, exec_lo
	v_readlane_b32 s55, v105, 12
	s_and_b32 s55, s54, s55
	s_delay_alu instid0(SALU_CYCLE_1)
	s_mov_b32 exec_lo, s55
; %bb.42:                               ;   in Loop: Header=BB72_3 Depth=1
	ds_store_b64 v76, v[20:21]
; %bb.43:                               ;   in Loop: Header=BB72_3 Depth=1
	s_or_b32 exec_lo, exec_lo, s54
.LBB72_44:                              ;   in Loop: Header=BB72_3 Depth=1
	s_and_not1_saveexec_b32 s88, s53
	s_cbranch_execz .LBB72_50
; %bb.45:                               ;   in Loop: Header=BB72_3 Depth=1
	v_lshl_add_u64 v[32:33], v[14:15], 3, s[86:87]
                                        ; implicit-def: $vgpr34_vgpr35
	global_load_b64 v[32:33], v[32:33], off
	s_wait_loadcnt 0x0
	v_cmp_ngt_f32_e64 s53, |v32|, |v33|
	s_and_saveexec_b32 s54, s53
	s_delay_alu instid0(SALU_CYCLE_1)
	s_xor_b32 s53, exec_lo, s54
	s_cbranch_execz .LBB72_47
; %bb.46:                               ;   in Loop: Header=BB72_3 Depth=1
	v_div_scale_f32 v34, null, -v33, -v33, v32
	v_div_scale_f32 v37, vcc_lo, v32, -v33, v32
	s_delay_alu instid0(VALU_DEP_2) | instskip(SKIP_1) | instid1(TRANS32_DEP_1)
	v_rcp_f32_e32 v35, v34
	v_nop
	v_fma_f32 v36, -v34, v35, 1.0
	s_delay_alu instid0(VALU_DEP_1) | instskip(NEXT) | instid1(VALU_DEP_1)
	v_fmac_f32_e32 v35, v36, v35
	v_mul_f32_e32 v36, v37, v35
	s_delay_alu instid0(VALU_DEP_1) | instskip(NEXT) | instid1(VALU_DEP_1)
	v_fma_f32 v38, -v34, v36, v37
	v_fmac_f32_e32 v36, v38, v35
	s_delay_alu instid0(VALU_DEP_1) | instskip(NEXT) | instid1(VALU_DEP_1)
	v_fma_f32 v34, -v34, v36, v37
	v_div_fmas_f32 v34, v34, v35, v36
	s_delay_alu instid0(VALU_DEP_1) | instskip(NEXT) | instid1(VALU_DEP_1)
	v_div_fixup_f32 v34, v34, -v33, v32
	v_fma_f32 v32, v32, v34, -v33
	s_delay_alu instid0(VALU_DEP_1) | instskip(SKIP_1) | instid1(VALU_DEP_2)
	v_div_scale_f32 v33, null, v32, v32, 1.0
	v_div_scale_f32 v37, vcc_lo, 1.0, v32, 1.0
	v_rcp_f32_e32 v35, v33
	v_nop
	s_delay_alu instid0(TRANS32_DEP_1) | instskip(NEXT) | instid1(VALU_DEP_1)
	v_fma_f32 v36, -v33, v35, 1.0
	v_fmac_f32_e32 v35, v36, v35
	s_delay_alu instid0(VALU_DEP_1) | instskip(NEXT) | instid1(VALU_DEP_1)
	v_mul_f32_e32 v36, v37, v35
	v_fma_f32 v38, -v33, v36, v37
	s_delay_alu instid0(VALU_DEP_1) | instskip(NEXT) | instid1(VALU_DEP_1)
	v_fmac_f32_e32 v36, v38, v35
	v_fma_f32 v33, -v33, v36, v37
	s_delay_alu instid0(VALU_DEP_1) | instskip(NEXT) | instid1(VALU_DEP_1)
	v_div_fmas_f32 v33, v33, v35, v36
	v_div_fixup_f32 v32, v33, v32, 1.0
	s_delay_alu instid0(VALU_DEP_1)
	v_mul_f32_e32 v34, v34, v32
	v_xor_b32_e32 v35, 0x80000000, v32
                                        ; implicit-def: $vgpr32_vgpr33
.LBB72_47:                              ;   in Loop: Header=BB72_3 Depth=1
	s_and_not1_saveexec_b32 s53, s53
	s_cbranch_execz .LBB72_49
; %bb.48:                               ;   in Loop: Header=BB72_3 Depth=1
	v_div_scale_f32 v34, null, v32, v32, -v33
	v_div_scale_f32 v37, vcc_lo, -v33, v32, -v33
	s_delay_alu instid0(VALU_DEP_2) | instskip(SKIP_1) | instid1(TRANS32_DEP_1)
	v_rcp_f32_e32 v35, v34
	v_nop
	v_fma_f32 v36, -v34, v35, 1.0
	s_delay_alu instid0(VALU_DEP_1) | instskip(NEXT) | instid1(VALU_DEP_1)
	v_fmac_f32_e32 v35, v36, v35
	v_mul_f32_e32 v36, v37, v35
	s_delay_alu instid0(VALU_DEP_1) | instskip(NEXT) | instid1(VALU_DEP_1)
	v_fma_f32 v38, -v34, v36, v37
	v_fmac_f32_e32 v36, v38, v35
	s_delay_alu instid0(VALU_DEP_1) | instskip(NEXT) | instid1(VALU_DEP_1)
	v_fma_f32 v34, -v34, v36, v37
	v_div_fmas_f32 v34, v34, v35, v36
	s_delay_alu instid0(VALU_DEP_1) | instskip(NEXT) | instid1(VALU_DEP_1)
	v_div_fixup_f32 v35, v34, v32, -v33
	v_fma_f32 v32, -v33, v35, v32
	s_delay_alu instid0(VALU_DEP_1) | instskip(NEXT) | instid1(VALU_DEP_1)
	v_div_scale_f32 v33, null, v32, v32, 1.0
	v_rcp_f32_e32 v34, v33
	v_nop
	s_delay_alu instid0(TRANS32_DEP_1) | instskip(NEXT) | instid1(VALU_DEP_1)
	v_fma_f32 v36, -v33, v34, 1.0
	v_fmac_f32_e32 v34, v36, v34
	v_div_scale_f32 v36, vcc_lo, 1.0, v32, 1.0
	s_delay_alu instid0(VALU_DEP_1) | instskip(NEXT) | instid1(VALU_DEP_1)
	v_mul_f32_e32 v37, v36, v34
	v_fma_f32 v38, -v33, v37, v36
	s_delay_alu instid0(VALU_DEP_1) | instskip(NEXT) | instid1(VALU_DEP_1)
	v_fmac_f32_e32 v37, v38, v34
	v_fma_f32 v33, -v33, v37, v36
	s_delay_alu instid0(VALU_DEP_1) | instskip(NEXT) | instid1(VALU_DEP_1)
	v_div_fmas_f32 v33, v33, v34, v37
	v_div_fixup_f32 v34, v33, v32, 1.0
	s_delay_alu instid0(VALU_DEP_1)
	v_mul_f32_e64 v35, v35, -v34
.LBB72_49:                              ;   in Loop: Header=BB72_3 Depth=1
	s_or_b32 exec_lo, exec_lo, s53
	ds_store_b64 v76, v[34:35]
.LBB72_50:                              ;   in Loop: Header=BB72_3 Depth=1
	s_or_b32 exec_lo, exec_lo, s88
.LBB72_51:                              ;   in Loop: Header=BB72_3 Depth=1
	s_and_not1_saveexec_b32 s53, s64
	s_cbranch_execz .LBB72_53
; %bb.52:                               ;   in Loop: Header=BB72_3 Depth=1
	v_lshl_add_u64 v[32:33], v[14:15], 3, s[86:87]
	global_load_b64 v[32:33], v[32:33], off
	s_wait_loadcnt 0x0
	v_xor_b32_e32 v32, 0x80000000, v32
	ds_store_b64 v76, v[32:33]
.LBB72_53:                              ;   in Loop: Header=BB72_3 Depth=1
	s_or_b32 exec_lo, exec_lo, s53
	s_delay_alu instid0(SALU_CYCLE_1) | instskip(SKIP_2) | instid1(SALU_CYCLE_1)
	s_mov_b32 s53, exec_lo
	v_readlane_b32 s54, v106, 18
	s_and_b32 s54, s53, s54
	s_xor_b32 s64, s54, s53
	s_mov_b32 exec_lo, s54
	s_cbranch_execz .LBB72_65
; %bb.54:                               ;   in Loop: Header=BB72_3 Depth=1
	s_mov_b32 s53, exec_lo
	v_readlane_b32 s54, v106, 25
	s_and_b32 s54, s53, s54
	s_delay_alu instid0(SALU_CYCLE_1)
	s_xor_b32 s53, s54, s53
	s_mov_b32 exec_lo, s54
	s_cbranch_execz .LBB72_58
; %bb.55:                               ;   in Loop: Header=BB72_3 Depth=1
	s_mov_b32 s54, exec_lo
	v_readlane_b32 s55, v105, 13
	s_and_b32 s55, s54, s55
	s_delay_alu instid0(SALU_CYCLE_1)
	s_mov_b32 exec_lo, s55
; %bb.56:                               ;   in Loop: Header=BB72_3 Depth=1
	ds_store_b64 v77, v[20:21]
; %bb.57:                               ;   in Loop: Header=BB72_3 Depth=1
	s_or_b32 exec_lo, exec_lo, s54
.LBB72_58:                              ;   in Loop: Header=BB72_3 Depth=1
	s_and_not1_saveexec_b32 s88, s53
	s_cbranch_execz .LBB72_64
; %bb.59:                               ;   in Loop: Header=BB72_3 Depth=1
	v_lshl_add_u64 v[32:33], v[16:17], 3, s[86:87]
                                        ; implicit-def: $vgpr34_vgpr35
	global_load_b64 v[32:33], v[32:33], off
	s_wait_loadcnt 0x0
	v_cmp_ngt_f32_e64 s53, |v32|, |v33|
	s_and_saveexec_b32 s54, s53
	s_delay_alu instid0(SALU_CYCLE_1)
	s_xor_b32 s53, exec_lo, s54
	s_cbranch_execz .LBB72_61
; %bb.60:                               ;   in Loop: Header=BB72_3 Depth=1
	v_div_scale_f32 v34, null, -v33, -v33, v32
	v_div_scale_f32 v37, vcc_lo, v32, -v33, v32
	s_delay_alu instid0(VALU_DEP_2) | instskip(SKIP_1) | instid1(TRANS32_DEP_1)
	v_rcp_f32_e32 v35, v34
	v_nop
	v_fma_f32 v36, -v34, v35, 1.0
	s_delay_alu instid0(VALU_DEP_1) | instskip(NEXT) | instid1(VALU_DEP_1)
	v_fmac_f32_e32 v35, v36, v35
	v_mul_f32_e32 v36, v37, v35
	s_delay_alu instid0(VALU_DEP_1) | instskip(NEXT) | instid1(VALU_DEP_1)
	v_fma_f32 v38, -v34, v36, v37
	v_fmac_f32_e32 v36, v38, v35
	s_delay_alu instid0(VALU_DEP_1) | instskip(NEXT) | instid1(VALU_DEP_1)
	v_fma_f32 v34, -v34, v36, v37
	v_div_fmas_f32 v34, v34, v35, v36
	s_delay_alu instid0(VALU_DEP_1) | instskip(NEXT) | instid1(VALU_DEP_1)
	v_div_fixup_f32 v34, v34, -v33, v32
	v_fma_f32 v32, v32, v34, -v33
	s_delay_alu instid0(VALU_DEP_1) | instskip(SKIP_1) | instid1(VALU_DEP_2)
	v_div_scale_f32 v33, null, v32, v32, 1.0
	v_div_scale_f32 v37, vcc_lo, 1.0, v32, 1.0
	v_rcp_f32_e32 v35, v33
	v_nop
	s_delay_alu instid0(TRANS32_DEP_1) | instskip(NEXT) | instid1(VALU_DEP_1)
	v_fma_f32 v36, -v33, v35, 1.0
	v_fmac_f32_e32 v35, v36, v35
	s_delay_alu instid0(VALU_DEP_1) | instskip(NEXT) | instid1(VALU_DEP_1)
	v_mul_f32_e32 v36, v37, v35
	v_fma_f32 v38, -v33, v36, v37
	s_delay_alu instid0(VALU_DEP_1) | instskip(NEXT) | instid1(VALU_DEP_1)
	v_fmac_f32_e32 v36, v38, v35
	v_fma_f32 v33, -v33, v36, v37
	s_delay_alu instid0(VALU_DEP_1) | instskip(NEXT) | instid1(VALU_DEP_1)
	v_div_fmas_f32 v33, v33, v35, v36
	v_div_fixup_f32 v32, v33, v32, 1.0
	s_delay_alu instid0(VALU_DEP_1)
	v_mul_f32_e32 v34, v34, v32
	v_xor_b32_e32 v35, 0x80000000, v32
                                        ; implicit-def: $vgpr32_vgpr33
.LBB72_61:                              ;   in Loop: Header=BB72_3 Depth=1
	s_and_not1_saveexec_b32 s53, s53
	s_cbranch_execz .LBB72_63
; %bb.62:                               ;   in Loop: Header=BB72_3 Depth=1
	v_div_scale_f32 v34, null, v32, v32, -v33
	v_div_scale_f32 v37, vcc_lo, -v33, v32, -v33
	s_delay_alu instid0(VALU_DEP_2) | instskip(SKIP_1) | instid1(TRANS32_DEP_1)
	v_rcp_f32_e32 v35, v34
	v_nop
	v_fma_f32 v36, -v34, v35, 1.0
	s_delay_alu instid0(VALU_DEP_1) | instskip(NEXT) | instid1(VALU_DEP_1)
	v_fmac_f32_e32 v35, v36, v35
	v_mul_f32_e32 v36, v37, v35
	s_delay_alu instid0(VALU_DEP_1) | instskip(NEXT) | instid1(VALU_DEP_1)
	v_fma_f32 v38, -v34, v36, v37
	v_fmac_f32_e32 v36, v38, v35
	s_delay_alu instid0(VALU_DEP_1) | instskip(NEXT) | instid1(VALU_DEP_1)
	v_fma_f32 v34, -v34, v36, v37
	v_div_fmas_f32 v34, v34, v35, v36
	s_delay_alu instid0(VALU_DEP_1) | instskip(NEXT) | instid1(VALU_DEP_1)
	v_div_fixup_f32 v35, v34, v32, -v33
	v_fma_f32 v32, -v33, v35, v32
	s_delay_alu instid0(VALU_DEP_1) | instskip(NEXT) | instid1(VALU_DEP_1)
	v_div_scale_f32 v33, null, v32, v32, 1.0
	v_rcp_f32_e32 v34, v33
	v_nop
	s_delay_alu instid0(TRANS32_DEP_1) | instskip(NEXT) | instid1(VALU_DEP_1)
	v_fma_f32 v36, -v33, v34, 1.0
	v_fmac_f32_e32 v34, v36, v34
	v_div_scale_f32 v36, vcc_lo, 1.0, v32, 1.0
	s_delay_alu instid0(VALU_DEP_1) | instskip(NEXT) | instid1(VALU_DEP_1)
	v_mul_f32_e32 v37, v36, v34
	v_fma_f32 v38, -v33, v37, v36
	s_delay_alu instid0(VALU_DEP_1) | instskip(NEXT) | instid1(VALU_DEP_1)
	v_fmac_f32_e32 v37, v38, v34
	v_fma_f32 v33, -v33, v37, v36
	s_delay_alu instid0(VALU_DEP_1) | instskip(NEXT) | instid1(VALU_DEP_1)
	v_div_fmas_f32 v33, v33, v34, v37
	v_div_fixup_f32 v34, v33, v32, 1.0
	s_delay_alu instid0(VALU_DEP_1)
	v_mul_f32_e64 v35, v35, -v34
.LBB72_63:                              ;   in Loop: Header=BB72_3 Depth=1
	s_or_b32 exec_lo, exec_lo, s53
	ds_store_b64 v77, v[34:35]
.LBB72_64:                              ;   in Loop: Header=BB72_3 Depth=1
	s_or_b32 exec_lo, exec_lo, s88
.LBB72_65:                              ;   in Loop: Header=BB72_3 Depth=1
	s_and_not1_saveexec_b32 s53, s64
	s_cbranch_execz .LBB72_67
; %bb.66:                               ;   in Loop: Header=BB72_3 Depth=1
	v_lshl_add_u64 v[32:33], v[16:17], 3, s[86:87]
	global_load_b64 v[32:33], v[32:33], off
	s_wait_loadcnt 0x0
	v_xor_b32_e32 v32, 0x80000000, v32
	ds_store_b64 v77, v[32:33]
.LBB72_67:                              ;   in Loop: Header=BB72_3 Depth=1
	s_or_b32 exec_lo, exec_lo, s53
	s_delay_alu instid0(SALU_CYCLE_1) | instskip(SKIP_2) | instid1(SALU_CYCLE_1)
	s_mov_b32 s53, exec_lo
	v_readlane_b32 s54, v106, 19
	s_and_b32 s54, s53, s54
	s_xor_b32 s64, s54, s53
	s_mov_b32 exec_lo, s54
	s_cbranch_execz .LBB72_79
; %bb.68:                               ;   in Loop: Header=BB72_3 Depth=1
	s_mov_b32 s53, exec_lo
	v_readlane_b32 s54, v106, 27
	s_and_b32 s54, s53, s54
	s_delay_alu instid0(SALU_CYCLE_1)
	s_xor_b32 s53, s54, s53
	s_mov_b32 exec_lo, s54
	s_cbranch_execz .LBB72_72
; %bb.69:                               ;   in Loop: Header=BB72_3 Depth=1
	s_mov_b32 s54, exec_lo
	v_readlane_b32 s55, v105, 14
	s_and_b32 s55, s54, s55
	s_delay_alu instid0(SALU_CYCLE_1)
	s_mov_b32 exec_lo, s55
; %bb.70:                               ;   in Loop: Header=BB72_3 Depth=1
	ds_store_b64 v78, v[20:21]
; %bb.71:                               ;   in Loop: Header=BB72_3 Depth=1
	s_or_b32 exec_lo, exec_lo, s54
.LBB72_72:                              ;   in Loop: Header=BB72_3 Depth=1
	s_and_not1_saveexec_b32 s88, s53
	s_cbranch_execz .LBB72_78
; %bb.73:                               ;   in Loop: Header=BB72_3 Depth=1
	v_lshl_add_u64 v[32:33], v[18:19], 3, s[86:87]
                                        ; implicit-def: $vgpr34_vgpr35
	global_load_b64 v[32:33], v[32:33], off
	s_wait_loadcnt 0x0
	v_cmp_ngt_f32_e64 s53, |v32|, |v33|
	s_and_saveexec_b32 s54, s53
	s_delay_alu instid0(SALU_CYCLE_1)
	s_xor_b32 s53, exec_lo, s54
	s_cbranch_execz .LBB72_75
; %bb.74:                               ;   in Loop: Header=BB72_3 Depth=1
	v_div_scale_f32 v34, null, -v33, -v33, v32
	v_div_scale_f32 v37, vcc_lo, v32, -v33, v32
	s_delay_alu instid0(VALU_DEP_2) | instskip(SKIP_1) | instid1(TRANS32_DEP_1)
	v_rcp_f32_e32 v35, v34
	v_nop
	v_fma_f32 v36, -v34, v35, 1.0
	s_delay_alu instid0(VALU_DEP_1) | instskip(NEXT) | instid1(VALU_DEP_1)
	v_fmac_f32_e32 v35, v36, v35
	v_mul_f32_e32 v36, v37, v35
	s_delay_alu instid0(VALU_DEP_1) | instskip(NEXT) | instid1(VALU_DEP_1)
	v_fma_f32 v38, -v34, v36, v37
	v_fmac_f32_e32 v36, v38, v35
	s_delay_alu instid0(VALU_DEP_1) | instskip(NEXT) | instid1(VALU_DEP_1)
	v_fma_f32 v34, -v34, v36, v37
	v_div_fmas_f32 v34, v34, v35, v36
	s_delay_alu instid0(VALU_DEP_1) | instskip(NEXT) | instid1(VALU_DEP_1)
	v_div_fixup_f32 v34, v34, -v33, v32
	v_fma_f32 v32, v32, v34, -v33
	s_delay_alu instid0(VALU_DEP_1) | instskip(SKIP_1) | instid1(VALU_DEP_2)
	v_div_scale_f32 v33, null, v32, v32, 1.0
	v_div_scale_f32 v37, vcc_lo, 1.0, v32, 1.0
	v_rcp_f32_e32 v35, v33
	v_nop
	s_delay_alu instid0(TRANS32_DEP_1) | instskip(NEXT) | instid1(VALU_DEP_1)
	v_fma_f32 v36, -v33, v35, 1.0
	v_fmac_f32_e32 v35, v36, v35
	s_delay_alu instid0(VALU_DEP_1) | instskip(NEXT) | instid1(VALU_DEP_1)
	v_mul_f32_e32 v36, v37, v35
	v_fma_f32 v38, -v33, v36, v37
	s_delay_alu instid0(VALU_DEP_1) | instskip(NEXT) | instid1(VALU_DEP_1)
	v_fmac_f32_e32 v36, v38, v35
	v_fma_f32 v33, -v33, v36, v37
	s_delay_alu instid0(VALU_DEP_1) | instskip(NEXT) | instid1(VALU_DEP_1)
	v_div_fmas_f32 v33, v33, v35, v36
	v_div_fixup_f32 v32, v33, v32, 1.0
	s_delay_alu instid0(VALU_DEP_1)
	v_mul_f32_e32 v34, v34, v32
	v_xor_b32_e32 v35, 0x80000000, v32
                                        ; implicit-def: $vgpr32_vgpr33
.LBB72_75:                              ;   in Loop: Header=BB72_3 Depth=1
	s_and_not1_saveexec_b32 s53, s53
	s_cbranch_execz .LBB72_77
; %bb.76:                               ;   in Loop: Header=BB72_3 Depth=1
	v_div_scale_f32 v34, null, v32, v32, -v33
	v_div_scale_f32 v37, vcc_lo, -v33, v32, -v33
	s_delay_alu instid0(VALU_DEP_2) | instskip(SKIP_1) | instid1(TRANS32_DEP_1)
	v_rcp_f32_e32 v35, v34
	v_nop
	v_fma_f32 v36, -v34, v35, 1.0
	s_delay_alu instid0(VALU_DEP_1) | instskip(NEXT) | instid1(VALU_DEP_1)
	v_fmac_f32_e32 v35, v36, v35
	v_mul_f32_e32 v36, v37, v35
	s_delay_alu instid0(VALU_DEP_1) | instskip(NEXT) | instid1(VALU_DEP_1)
	v_fma_f32 v38, -v34, v36, v37
	v_fmac_f32_e32 v36, v38, v35
	s_delay_alu instid0(VALU_DEP_1) | instskip(NEXT) | instid1(VALU_DEP_1)
	v_fma_f32 v34, -v34, v36, v37
	v_div_fmas_f32 v34, v34, v35, v36
	s_delay_alu instid0(VALU_DEP_1) | instskip(NEXT) | instid1(VALU_DEP_1)
	v_div_fixup_f32 v35, v34, v32, -v33
	v_fma_f32 v32, -v33, v35, v32
	s_delay_alu instid0(VALU_DEP_1) | instskip(NEXT) | instid1(VALU_DEP_1)
	v_div_scale_f32 v33, null, v32, v32, 1.0
	v_rcp_f32_e32 v34, v33
	v_nop
	s_delay_alu instid0(TRANS32_DEP_1) | instskip(NEXT) | instid1(VALU_DEP_1)
	v_fma_f32 v36, -v33, v34, 1.0
	v_fmac_f32_e32 v34, v36, v34
	v_div_scale_f32 v36, vcc_lo, 1.0, v32, 1.0
	s_delay_alu instid0(VALU_DEP_1) | instskip(NEXT) | instid1(VALU_DEP_1)
	v_mul_f32_e32 v37, v36, v34
	v_fma_f32 v38, -v33, v37, v36
	s_delay_alu instid0(VALU_DEP_1) | instskip(NEXT) | instid1(VALU_DEP_1)
	v_fmac_f32_e32 v37, v38, v34
	v_fma_f32 v33, -v33, v37, v36
	s_delay_alu instid0(VALU_DEP_1) | instskip(NEXT) | instid1(VALU_DEP_1)
	v_div_fmas_f32 v33, v33, v34, v37
	v_div_fixup_f32 v34, v33, v32, 1.0
	s_delay_alu instid0(VALU_DEP_1)
	v_mul_f32_e64 v35, v35, -v34
.LBB72_77:                              ;   in Loop: Header=BB72_3 Depth=1
	s_or_b32 exec_lo, exec_lo, s53
	ds_store_b64 v78, v[34:35]
.LBB72_78:                              ;   in Loop: Header=BB72_3 Depth=1
	s_or_b32 exec_lo, exec_lo, s88
.LBB72_79:                              ;   in Loop: Header=BB72_3 Depth=1
	s_and_not1_saveexec_b32 s53, s64
	s_cbranch_execz .LBB72_81
; %bb.80:                               ;   in Loop: Header=BB72_3 Depth=1
	v_lshl_add_u64 v[32:33], v[18:19], 3, s[86:87]
	global_load_b64 v[32:33], v[32:33], off
	s_wait_loadcnt 0x0
	v_xor_b32_e32 v32, 0x80000000, v32
	ds_store_b64 v78, v[32:33]
.LBB72_81:                              ;   in Loop: Header=BB72_3 Depth=1
	s_or_b32 exec_lo, exec_lo, s53
.LBB72_82:                              ;   in Loop: Header=BB72_3 Depth=1
	s_delay_alu instid0(SALU_CYCLE_1)
	s_and_not1_b32 vcc_lo, exec_lo, s95
	s_wait_loadcnt_dscnt 0x0
	s_barrier_signal -1
	s_barrier_wait -1
	s_cbranch_vccnz .LBB72_1004
; %bb.83:                               ;   in Loop: Header=BB72_3 Depth=1
	s_and_saveexec_b32 s53, s14
	s_cbranch_execz .LBB72_85
; %bb.84:                               ;   in Loop: Header=BB72_3 Depth=1
	ds_load_b128 v[32:35], v5
	ds_load_b64 v[36:37], v5 offset:520
	s_wait_dscnt 0x1
	v_dual_mov_b32 v96, v35 :: v_dual_mov_b32 v97, v34
	s_wait_dscnt 0x0
	v_dual_mul_f32 v39, v37, v33 :: v_dual_mul_f32 v38, v36, v33
	s_delay_alu instid0(VALU_DEP_1) | instskip(NEXT) | instid1(VALU_DEP_1)
	v_xor_b32_e32 v40, 0x80000000, v39
	v_dual_fmac_f32 v38, v37, v32 :: v_dual_fmac_f32 v40, v36, v32
	s_delay_alu instid0(VALU_DEP_1) | instskip(NEXT) | instid1(VALU_DEP_1)
	v_pk_mul_f32 v[32:33], v[38:39], v[96:97] op_sel_hi:[0,1]
	v_pk_fma_f32 v[36:37], v[40:41], v[34:35], v[32:33] op_sel_hi:[0,1,1]
	v_pk_fma_f32 v[32:33], v[40:41], v[34:35], v[32:33] neg_lo:[0,0,1] neg_hi:[0,0,1]
	s_delay_alu instid0(VALU_DEP_2)
	v_mov_b32_e32 v33, v37
	ds_store_2addr_b64 v5, v[32:33], v[32:33] offset0:1 offset1:64
.LBB72_85:                              ;   in Loop: Header=BB72_3 Depth=1
	s_or_b32 exec_lo, exec_lo, s53
	v_mov_b32_e32 v33, 0
	s_wait_dscnt 0x0
	s_barrier_signal -1
	s_barrier_wait -1
	s_delay_alu instid0(VALU_DEP_1)
	v_mov_b32_e32 v32, v33
	s_and_saveexec_b32 s53, s0
	s_cbranch_execz .LBB72_89
; %bb.86:                               ;   in Loop: Header=BB72_3 Depth=1
	ds_load_b64 v[32:33], v42 offset:16
	ds_load_b64 v[34:35], v43
	s_wait_dscnt 0x0
	v_dual_mul_f32 v36, v35, v33 :: v_dual_mul_f32 v37, v34, v33
	s_delay_alu instid0(VALU_DEP_1) | instskip(NEXT) | instid1(VALU_DEP_1)
	v_dual_fma_f32 v36, v34, v32, -v36 :: v_dual_fmac_f32 v37, v35, v32
	v_pk_add_f32 v[32:33], v[36:37], 0 op_sel_hi:[1,0]
	s_and_saveexec_b32 s54, s15
	s_cbranch_execz .LBB72_88
; %bb.87:                               ;   in Loop: Header=BB72_3 Depth=1
	ds_load_b64 v[34:35], v44 offset:528
	ds_load_b64 v[36:37], v5 offset:8
	s_wait_dscnt 0x0
	v_pk_mul_f32 v[38:39], v[36:37], v[34:35] op_sel:[1,1] op_sel_hi:[0,1]
	s_delay_alu instid0(VALU_DEP_1) | instskip(SKIP_1) | instid1(VALU_DEP_2)
	v_pk_fma_f32 v[96:97], v[36:37], v[34:35], v[38:39] op_sel_hi:[1,0,1]
	v_pk_fma_f32 v[34:35], v[36:37], v[34:35], v[38:39] neg_lo:[0,0,1] neg_hi:[0,0,1]
	v_mov_b32_e32 v35, v97
	s_delay_alu instid0(VALU_DEP_1)
	v_pk_add_f32 v[32:33], v[32:33], v[34:35]
.LBB72_88:                              ;   in Loop: Header=BB72_3 Depth=1
	s_or_b32 exec_lo, exec_lo, s54
	s_delay_alu instid0(VALU_DEP_1)
	v_pk_add_f32 v[32:33], v[32:33], 0 neg_lo:[1,1] neg_hi:[1,1]
.LBB72_89:                              ;   in Loop: Header=BB72_3 Depth=1
	s_or_b32 exec_lo, exec_lo, s53
	s_and_saveexec_b32 s53, s96
	s_cbranch_execz .LBB72_91
; %bb.90:                               ;   in Loop: Header=BB72_3 Depth=1
	ds_load_b64 v[34:35], v5 offset:1040
	s_wait_dscnt 0x0
	v_pk_mul_f32 v[36:37], v[32:33], v[34:35] op_sel:[1,1] op_sel_hi:[1,0]
	s_delay_alu instid0(VALU_DEP_1) | instskip(SKIP_1) | instid1(VALU_DEP_2)
	v_pk_fma_f32 v[38:39], v[32:33], v[34:35], v[36:37] op_sel_hi:[0,1,1]
	v_pk_fma_f32 v[34:35], v[32:33], v[34:35], v[36:37] neg_lo:[0,0,1] neg_hi:[0,0,1]
	v_mov_b32_e32 v35, v39
	s_delay_alu instid0(VALU_DEP_1)
	v_mov_b64_e32 v[32:33], v[34:35]
	ds_store_b64 v3, v[34:35]
.LBB72_91:                              ;   in Loop: Header=BB72_3 Depth=1
	s_or_b32 exec_lo, exec_lo, s53
	s_wait_dscnt 0x0
	s_barrier_signal -1
	s_barrier_wait -1
	s_and_saveexec_b32 s53, s97
	s_cbranch_execz .LBB72_93
; %bb.92:                               ;   in Loop: Header=BB72_3 Depth=1
	ds_load_b64 v[34:35], v5 offset:1048
	ds_load_b64 v[36:37], v3
	s_wait_dscnt 0x0
	v_pk_mul_f32 v[38:39], v[36:37], v[34:35] op_sel:[1,1] op_sel_hi:[0,1]
	s_delay_alu instid0(VALU_DEP_1) | instskip(SKIP_1) | instid1(VALU_DEP_2)
	v_pk_fma_f32 v[96:97], v[36:37], v[34:35], v[38:39] op_sel_hi:[1,0,1]
	v_pk_fma_f32 v[34:35], v[36:37], v[34:35], v[38:39] neg_lo:[0,0,1] neg_hi:[0,0,1]
	v_mov_b32_e32 v35, v97
	s_delay_alu instid0(VALU_DEP_1)
	v_pk_add_f32 v[32:33], v[32:33], v[34:35]
.LBB72_93:                              ;   in Loop: Header=BB72_3 Depth=1
	s_or_b32 exec_lo, exec_lo, s53
	s_barrier_signal -1
	s_barrier_wait -1
	s_and_saveexec_b32 s53, s97
	s_cbranch_execz .LBB72_95
; %bb.94:                               ;   in Loop: Header=BB72_3 Depth=1
	ds_load_b64 v[34:35], v5 offset:1560
	s_wait_dscnt 0x0
	v_pk_mul_f32 v[36:37], v[32:33], v[34:35] op_sel:[1,1] op_sel_hi:[1,0]
	s_delay_alu instid0(VALU_DEP_1) | instskip(SKIP_1) | instid1(VALU_DEP_2)
	v_pk_fma_f32 v[38:39], v[32:33], v[34:35], v[36:37] op_sel_hi:[0,1,1]
	v_pk_fma_f32 v[34:35], v[32:33], v[34:35], v[36:37] neg_lo:[0,0,1] neg_hi:[0,0,1]
	v_mov_b32_e32 v35, v39
	s_delay_alu instid0(VALU_DEP_1)
	v_mov_b64_e32 v[32:33], v[34:35]
	ds_store_b64 v3, v[34:35]
.LBB72_95:                              ;   in Loop: Header=BB72_3 Depth=1
	s_or_b32 exec_lo, exec_lo, s53
	s_wait_dscnt 0x0
	s_barrier_signal -1
	s_barrier_wait -1
	s_barrier_signal -1
	s_barrier_wait -1
	s_and_saveexec_b32 s53, s0
; %bb.96:                               ;   in Loop: Header=BB72_3 Depth=1
	v_pk_add_f32 v[32:33], v[32:33], 0 neg_lo:[1,1] neg_hi:[1,1]
	ds_store_b64 v42, v[32:33] offset:16
; %bb.97:                               ;   in Loop: Header=BB72_3 Depth=1
	s_or_b32 exec_lo, exec_lo, s53
	s_wait_dscnt 0x0
	s_barrier_signal -1
	s_barrier_wait -1
	s_barrier_signal -1
	s_barrier_wait -1
	s_and_saveexec_b32 s53, s98
	s_cbranch_execz .LBB72_99
; %bb.98:                               ;   in Loop: Header=BB72_3 Depth=1
	ds_load_b64 v[32:33], v47 offset:16
	s_wait_dscnt 0x0
	ds_store_b64 v44, v[32:33] offset:1024
	ds_load_b64 v[32:33], v47 offset:24
	s_wait_dscnt 0x0
	ds_store_b64 v44, v[32:33] offset:1536
.LBB72_99:                              ;   in Loop: Header=BB72_3 Depth=1
	s_or_b32 exec_lo, exec_lo, s53
	s_wait_dscnt 0x0
	s_barrier_signal -1
	s_barrier_wait -1
	s_and_saveexec_b32 s53, s14
	s_cbranch_execz .LBB72_101
; %bb.100:                              ;   in Loop: Header=BB72_3 Depth=1
	ds_load_b128 v[32:35], v5 offset:1040
	ds_load_b64 v[36:37], v5 offset:1560
	s_wait_dscnt 0x1
	v_dual_mov_b32 v96, v35 :: v_dual_mov_b32 v97, v34
	s_wait_dscnt 0x0
	v_dual_mul_f32 v39, v37, v33 :: v_dual_mul_f32 v38, v36, v33
	s_delay_alu instid0(VALU_DEP_1) | instskip(NEXT) | instid1(VALU_DEP_1)
	v_xor_b32_e32 v40, 0x80000000, v39
	v_dual_fmac_f32 v38, v37, v32 :: v_dual_fmac_f32 v40, v36, v32
	s_delay_alu instid0(VALU_DEP_1) | instskip(NEXT) | instid1(VALU_DEP_1)
	v_pk_mul_f32 v[32:33], v[38:39], v[96:97] op_sel_hi:[0,1]
	v_pk_fma_f32 v[36:37], v[40:41], v[34:35], v[32:33] op_sel_hi:[0,1,1]
	v_pk_fma_f32 v[32:33], v[40:41], v[34:35], v[32:33] neg_lo:[0,0,1] neg_hi:[0,0,1]
	s_delay_alu instid0(VALU_DEP_2)
	v_mov_b32_e32 v33, v37
	ds_store_2addr_b64 v5, v[32:33], v[32:33] offset0:131 offset1:194
.LBB72_101:                             ;   in Loop: Header=BB72_3 Depth=1
	s_or_b32 exec_lo, exec_lo, s53
	v_mov_b32_e32 v32, 0
	s_wait_dscnt 0x0
	s_barrier_signal -1
	s_barrier_wait -1
	s_delay_alu instid0(VALU_DEP_1)
	v_mov_b32_e32 v33, v32
	s_and_saveexec_b32 s64, s2
	s_cbranch_execz .LBB72_107
; %bb.102:                              ;   in Loop: Header=BB72_3 Depth=1
	ds_load_b64 v[32:33], v49 offset:32
	ds_load_b64 v[34:35], v45
	s_wait_dscnt 0x0
	v_pk_mul_f32 v[36:37], v[34:35], v[32:33] op_sel:[0,1]
	s_delay_alu instid0(VALU_DEP_1) | instskip(SKIP_1) | instid1(VALU_DEP_2)
	v_pk_fma_f32 v[38:39], v[34:35], v[32:33], v[36:37] op_sel:[1,0,0] op_sel_hi:[0,0,1] neg_lo:[0,0,1] neg_hi:[0,0,1]
	v_pk_fma_f32 v[32:33], v[34:35], v[32:33], v[36:37] op_sel:[1,0,0] op_sel_hi:[0,1,1]
	v_mov_b32_e32 v33, v39
	s_delay_alu instid0(VALU_DEP_1)
	v_pk_add_f32 v[32:33], v[32:33], 0 op_sel_hi:[1,0]
	s_and_saveexec_b32 s53, s16
	s_cbranch_execnz .LBB72_1124
; %bb.103:                              ;   in Loop: Header=BB72_3 Depth=1
	s_or_b32 exec_lo, exec_lo, s53
	s_and_saveexec_b32 s53, s17
	s_cbranch_execnz .LBB72_1125
.LBB72_104:                             ;   in Loop: Header=BB72_3 Depth=1
	s_or_b32 exec_lo, exec_lo, s53
	s_and_saveexec_b32 s53, s0
	s_cbranch_execz .LBB72_106
.LBB72_105:                             ;   in Loop: Header=BB72_3 Depth=1
	ds_load_b64 v[34:35], v52 offset:1568
	ds_load_b64 v[36:37], v5 offset:24
	s_wait_dscnt 0x0
	v_pk_mul_f32 v[38:39], v[36:37], v[34:35] op_sel:[0,1]
	s_delay_alu instid0(VALU_DEP_1) | instskip(SKIP_1) | instid1(VALU_DEP_2)
	v_pk_fma_f32 v[96:97], v[36:37], v[34:35], v[38:39] op_sel:[1,0,0] op_sel_hi:[0,0,1] neg_lo:[0,0,1] neg_hi:[0,0,1]
	v_pk_fma_f32 v[34:35], v[36:37], v[34:35], v[38:39] op_sel:[1,0,0] op_sel_hi:[0,1,1]
	v_mov_b32_e32 v35, v97
	s_delay_alu instid0(VALU_DEP_1)
	v_pk_add_f32 v[32:33], v[32:33], v[34:35]
.LBB72_106:                             ;   in Loop: Header=BB72_3 Depth=1
	s_or_b32 exec_lo, exec_lo, s53
	s_delay_alu instid0(VALU_DEP_1) | instskip(NEXT) | instid1(VALU_DEP_1)
	v_pk_add_f32 v[34:35], v[32:33], 0 neg_lo:[1,1] neg_hi:[1,1]
	v_dual_mov_b32 v32, v35 :: v_dual_mov_b32 v33, v34
.LBB72_107:                             ;   in Loop: Header=BB72_3 Depth=1
	s_or_b32 exec_lo, exec_lo, s64
	s_and_saveexec_b32 s53, s99
	s_cbranch_execz .LBB72_109
; %bb.108:                              ;   in Loop: Header=BB72_3 Depth=1
	ds_load_b64 v[34:35], v5 offset:2080
	v_dual_mov_b32 v36, v33 :: v_dual_mov_b32 v37, v32
	s_wait_dscnt 0x0
	s_delay_alu instid0(VALU_DEP_1) | instskip(NEXT) | instid1(VALU_DEP_1)
	v_dual_mul_f32 v38, v36, v34 :: v_dual_mul_f32 v40, v33, v35
	v_pk_fma_f32 v[36:37], v[36:37], v[34:35], v[38:39] op_sel_hi:[1,1,0]
	s_delay_alu instid0(VALU_DEP_2) | instskip(NEXT) | instid1(VALU_DEP_2)
	v_pk_fma_f32 v[32:33], v[32:33], v[34:35], v[40:41] op_sel_hi:[1,1,0] neg_lo:[0,0,1] neg_hi:[0,0,1]
	v_mov_b32_e32 v33, v37
	ds_store_b64 v48, v[32:33]
.LBB72_109:                             ;   in Loop: Header=BB72_3 Depth=1
	s_or_b32 exec_lo, exec_lo, s53
	s_wait_dscnt 0x0
	s_barrier_signal -1
	s_barrier_wait -1
	s_and_saveexec_b32 s53, s100
	s_cbranch_execz .LBB72_111
; %bb.110:                              ;   in Loop: Header=BB72_3 Depth=1
	ds_load_b64 v[34:35], v46 offset:2080
	ds_load_b64 v[36:37], v48
	s_wait_dscnt 0x0
	v_dual_mul_f32 v38, v37, v35 :: v_dual_mul_f32 v39, v36, v35
	s_delay_alu instid0(VALU_DEP_1) | instskip(NEXT) | instid1(VALU_DEP_1)
	v_dual_fma_f32 v38, v36, v34, -v38 :: v_dual_fmac_f32 v39, v37, v34
	v_pk_add_f32 v[32:33], v[32:33], v[38:39]
.LBB72_111:                             ;   in Loop: Header=BB72_3 Depth=1
	s_or_b32 exec_lo, exec_lo, s53
	s_barrier_signal -1
	s_barrier_wait -1
	s_and_saveexec_b32 s53, s101
	s_cbranch_execz .LBB72_113
; %bb.112:                              ;   in Loop: Header=BB72_3 Depth=1
	ds_load_b64 v[34:35], v5 offset:2600
	s_wait_dscnt 0x0
	v_pk_mul_f32 v[36:37], v[32:33], v[34:35] op_sel:[1,1] op_sel_hi:[1,0]
	s_delay_alu instid0(VALU_DEP_1) | instskip(SKIP_1) | instid1(VALU_DEP_2)
	v_pk_fma_f32 v[38:39], v[32:33], v[34:35], v[36:37] op_sel_hi:[0,1,1]
	v_pk_fma_f32 v[34:35], v[32:33], v[34:35], v[36:37] neg_lo:[0,0,1] neg_hi:[0,0,1]
	v_mov_b32_e32 v35, v39
	s_delay_alu instid0(VALU_DEP_1)
	v_mov_b64_e32 v[32:33], v[34:35]
	ds_store_b64 v48, v[34:35]
.LBB72_113:                             ;   in Loop: Header=BB72_3 Depth=1
	s_or_b32 exec_lo, exec_lo, s53
	s_wait_dscnt 0x0
	s_barrier_signal -1
	s_barrier_wait -1
	s_and_saveexec_b32 s53, s102
	s_cbranch_execz .LBB72_115
; %bb.114:                              ;   in Loop: Header=BB72_3 Depth=1
	ds_load_b64 v[34:35], v46 offset:2592
	ds_load_b64 v[36:37], v48
	s_wait_dscnt 0x0
	v_pk_mul_f32 v[38:39], v[36:37], v[34:35] op_sel:[1,1] op_sel_hi:[0,1]
	s_delay_alu instid0(VALU_DEP_1) | instskip(SKIP_1) | instid1(VALU_DEP_2)
	v_pk_fma_f32 v[96:97], v[36:37], v[34:35], v[38:39] op_sel_hi:[1,0,1]
	v_pk_fma_f32 v[34:35], v[36:37], v[34:35], v[38:39] neg_lo:[0,0,1] neg_hi:[0,0,1]
	v_mov_b32_e32 v35, v97
	s_delay_alu instid0(VALU_DEP_1)
	v_pk_add_f32 v[32:33], v[32:33], v[34:35]
.LBB72_115:                             ;   in Loop: Header=BB72_3 Depth=1
	s_or_b32 exec_lo, exec_lo, s53
	s_barrier_signal -1
	s_barrier_wait -1
	s_and_saveexec_b32 s53, s103
	s_cbranch_execz .LBB72_117
; %bb.116:                              ;   in Loop: Header=BB72_3 Depth=1
	ds_load_b64 v[34:35], v5 offset:3120
	s_wait_dscnt 0x0
	v_pk_mul_f32 v[36:37], v[32:33], v[34:35] op_sel:[1,1] op_sel_hi:[1,0]
	s_delay_alu instid0(VALU_DEP_1) | instskip(SKIP_1) | instid1(VALU_DEP_2)
	v_pk_fma_f32 v[38:39], v[32:33], v[34:35], v[36:37] op_sel_hi:[0,1,1]
	v_pk_fma_f32 v[34:35], v[32:33], v[34:35], v[36:37] neg_lo:[0,0,1] neg_hi:[0,0,1]
	v_mov_b32_e32 v35, v39
	s_delay_alu instid0(VALU_DEP_1)
	v_mov_b64_e32 v[32:33], v[34:35]
	ds_store_b64 v48, v[34:35]
.LBB72_117:                             ;   in Loop: Header=BB72_3 Depth=1
	s_or_b32 exec_lo, exec_lo, s53
	s_wait_dscnt 0x0
	s_barrier_signal -1
	s_barrier_wait -1
	s_and_saveexec_b32 s53, s104
	s_cbranch_execz .LBB72_119
; %bb.118:                              ;   in Loop: Header=BB72_3 Depth=1
	ds_load_b64 v[34:35], v5 offset:3128
	ds_load_b64 v[36:37], v48
	s_wait_dscnt 0x0
	v_pk_mul_f32 v[38:39], v[36:37], v[34:35] op_sel:[1,1] op_sel_hi:[0,1]
	s_delay_alu instid0(VALU_DEP_1) | instskip(SKIP_1) | instid1(VALU_DEP_2)
	v_pk_fma_f32 v[96:97], v[36:37], v[34:35], v[38:39] op_sel_hi:[1,0,1]
	v_pk_fma_f32 v[34:35], v[36:37], v[34:35], v[38:39] neg_lo:[0,0,1] neg_hi:[0,0,1]
	v_mov_b32_e32 v35, v97
	s_delay_alu instid0(VALU_DEP_1)
	v_pk_add_f32 v[32:33], v[32:33], v[34:35]
.LBB72_119:                             ;   in Loop: Header=BB72_3 Depth=1
	s_or_b32 exec_lo, exec_lo, s53
	s_barrier_signal -1
	s_barrier_wait -1
	s_and_saveexec_b32 s53, s104
	s_cbranch_execz .LBB72_121
; %bb.120:                              ;   in Loop: Header=BB72_3 Depth=1
	ds_load_b64 v[34:35], v5 offset:3640
	s_wait_dscnt 0x0
	v_pk_mul_f32 v[36:37], v[32:33], v[34:35] op_sel:[1,1] op_sel_hi:[1,0]
	s_delay_alu instid0(VALU_DEP_1) | instskip(SKIP_1) | instid1(VALU_DEP_2)
	v_pk_fma_f32 v[38:39], v[32:33], v[34:35], v[36:37] op_sel_hi:[0,1,1]
	v_pk_fma_f32 v[34:35], v[32:33], v[34:35], v[36:37] neg_lo:[0,0,1] neg_hi:[0,0,1]
	v_mov_b32_e32 v35, v39
	s_delay_alu instid0(VALU_DEP_1)
	v_mov_b64_e32 v[32:33], v[34:35]
	ds_store_b64 v48, v[34:35]
.LBB72_121:                             ;   in Loop: Header=BB72_3 Depth=1
	s_or_b32 exec_lo, exec_lo, s53
	s_wait_dscnt 0x0
	s_barrier_signal -1
	s_barrier_wait -1
	s_barrier_signal -1
	s_barrier_wait -1
	s_and_saveexec_b32 s53, s2
; %bb.122:                              ;   in Loop: Header=BB72_3 Depth=1
	v_pk_add_f32 v[32:33], v[32:33], 0 neg_lo:[1,1] neg_hi:[1,1]
	ds_store_b64 v49, v[32:33] offset:32
; %bb.123:                              ;   in Loop: Header=BB72_3 Depth=1
	s_or_b32 exec_lo, exec_lo, s53
	s_wait_dscnt 0x0
	s_barrier_signal -1
	s_barrier_wait -1
	s_barrier_signal -1
	s_barrier_wait -1
	s_and_saveexec_b32 s53, vcc_hi
	s_cbranch_execz .LBB72_125
; %bb.124:                              ;   in Loop: Header=BB72_3 Depth=1
	ds_load_b64 v[32:33], v53 offset:32
	s_wait_dscnt 0x0
	ds_store_b64 v54, v[32:33] offset:2048
	ds_load_b64 v[32:33], v53 offset:40
	s_wait_dscnt 0x0
	ds_store_b64 v54, v[32:33] offset:2560
	;; [unrolled: 3-line block ×4, first 2 shown]
.LBB72_125:                             ;   in Loop: Header=BB72_3 Depth=1
	s_or_b32 exec_lo, exec_lo, s53
	s_wait_dscnt 0x0
	s_barrier_signal -1
	s_barrier_wait -1
	s_and_saveexec_b32 s53, s14
	s_cbranch_execz .LBB72_127
; %bb.126:                              ;   in Loop: Header=BB72_3 Depth=1
	ds_load_b128 v[32:35], v5 offset:2080
	ds_load_b64 v[36:37], v5 offset:2600
	s_wait_dscnt 0x1
	v_dual_mov_b32 v96, v35 :: v_dual_mov_b32 v97, v34
	s_wait_dscnt 0x0
	v_dual_mul_f32 v39, v37, v33 :: v_dual_mul_f32 v38, v36, v33
	s_delay_alu instid0(VALU_DEP_1) | instskip(NEXT) | instid1(VALU_DEP_1)
	v_xor_b32_e32 v40, 0x80000000, v39
	v_dual_fmac_f32 v38, v37, v32 :: v_dual_fmac_f32 v40, v36, v32
	s_delay_alu instid0(VALU_DEP_1) | instskip(NEXT) | instid1(VALU_DEP_1)
	v_pk_mul_f32 v[32:33], v[38:39], v[96:97] op_sel_hi:[0,1]
	v_pk_fma_f32 v[36:37], v[40:41], v[34:35], v[32:33] op_sel_hi:[0,1,1]
	v_pk_fma_f32 v[32:33], v[40:41], v[34:35], v[32:33] neg_lo:[0,0,1] neg_hi:[0,0,1]
	v_add_nc_u32_e64 v34, 0x800, 0
	s_delay_alu instid0(VALU_DEP_3)
	v_mov_b32_e32 v33, v37
	ds_store_2addr_b64 v34, v[32:33], v[32:33] offset0:5 offset1:68
.LBB72_127:                             ;   in Loop: Header=BB72_3 Depth=1
	s_or_b32 exec_lo, exec_lo, s53
	v_mov_b32_e32 v33, 0
	s_wait_dscnt 0x0
	s_barrier_signal -1
	s_barrier_wait -1
	s_delay_alu instid0(VALU_DEP_1)
	v_mov_b32_e32 v32, v33
	s_and_saveexec_b32 s53, s0
	s_cbranch_execz .LBB72_131
; %bb.128:                              ;   in Loop: Header=BB72_3 Depth=1
	ds_load_b64 v[32:33], v42 offset:2096
	ds_load_b64 v[34:35], v43 offset:2080
	s_wait_dscnt 0x0
	v_dual_mul_f32 v36, v35, v33 :: v_dual_mul_f32 v37, v34, v33
	s_delay_alu instid0(VALU_DEP_1) | instskip(NEXT) | instid1(VALU_DEP_1)
	v_dual_fma_f32 v36, v34, v32, -v36 :: v_dual_fmac_f32 v37, v35, v32
	v_pk_add_f32 v[32:33], v[36:37], 0 op_sel_hi:[1,0]
	s_and_saveexec_b32 s54, s15
	s_cbranch_execz .LBB72_130
; %bb.129:                              ;   in Loop: Header=BB72_3 Depth=1
	ds_load_b64 v[34:35], v54 offset:2608
	ds_load_b64 v[36:37], v5 offset:2088
	s_wait_dscnt 0x0
	v_pk_mul_f32 v[38:39], v[36:37], v[34:35] op_sel:[1,1] op_sel_hi:[0,1]
	s_delay_alu instid0(VALU_DEP_1) | instskip(SKIP_1) | instid1(VALU_DEP_2)
	v_pk_fma_f32 v[96:97], v[36:37], v[34:35], v[38:39] op_sel_hi:[1,0,1]
	v_pk_fma_f32 v[34:35], v[36:37], v[34:35], v[38:39] neg_lo:[0,0,1] neg_hi:[0,0,1]
	v_mov_b32_e32 v35, v97
	s_delay_alu instid0(VALU_DEP_1)
	v_pk_add_f32 v[32:33], v[32:33], v[34:35]
.LBB72_130:                             ;   in Loop: Header=BB72_3 Depth=1
	s_or_b32 exec_lo, exec_lo, s54
	s_delay_alu instid0(VALU_DEP_1)
	v_pk_add_f32 v[32:33], v[32:33], 0 neg_lo:[1,1] neg_hi:[1,1]
.LBB72_131:                             ;   in Loop: Header=BB72_3 Depth=1
	s_or_b32 exec_lo, exec_lo, s53
	s_and_saveexec_b32 s53, s96
	s_cbranch_execz .LBB72_133
; %bb.132:                              ;   in Loop: Header=BB72_3 Depth=1
	ds_load_b64 v[34:35], v5 offset:3120
	s_wait_dscnt 0x0
	v_pk_mul_f32 v[36:37], v[32:33], v[34:35] op_sel:[1,1] op_sel_hi:[1,0]
	s_delay_alu instid0(VALU_DEP_1) | instskip(SKIP_1) | instid1(VALU_DEP_2)
	v_pk_fma_f32 v[38:39], v[32:33], v[34:35], v[36:37] op_sel_hi:[0,1,1]
	v_pk_fma_f32 v[34:35], v[32:33], v[34:35], v[36:37] neg_lo:[0,0,1] neg_hi:[0,0,1]
	v_mov_b32_e32 v35, v39
	s_delay_alu instid0(VALU_DEP_1)
	v_mov_b64_e32 v[32:33], v[34:35]
	ds_store_b64 v3, v[34:35]
.LBB72_133:                             ;   in Loop: Header=BB72_3 Depth=1
	s_or_b32 exec_lo, exec_lo, s53
	s_wait_dscnt 0x0
	s_barrier_signal -1
	s_barrier_wait -1
	s_and_saveexec_b32 s53, s97
	s_cbranch_execz .LBB72_135
; %bb.134:                              ;   in Loop: Header=BB72_3 Depth=1
	ds_load_b64 v[34:35], v5 offset:3128
	ds_load_b64 v[36:37], v3
	s_wait_dscnt 0x0
	v_pk_mul_f32 v[38:39], v[36:37], v[34:35] op_sel:[1,1] op_sel_hi:[0,1]
	s_delay_alu instid0(VALU_DEP_1) | instskip(SKIP_1) | instid1(VALU_DEP_2)
	v_pk_fma_f32 v[96:97], v[36:37], v[34:35], v[38:39] op_sel_hi:[1,0,1]
	v_pk_fma_f32 v[34:35], v[36:37], v[34:35], v[38:39] neg_lo:[0,0,1] neg_hi:[0,0,1]
	v_mov_b32_e32 v35, v97
	s_delay_alu instid0(VALU_DEP_1)
	v_pk_add_f32 v[32:33], v[32:33], v[34:35]
.LBB72_135:                             ;   in Loop: Header=BB72_3 Depth=1
	s_or_b32 exec_lo, exec_lo, s53
	s_barrier_signal -1
	s_barrier_wait -1
	s_and_saveexec_b32 s53, s97
	s_cbranch_execz .LBB72_137
; %bb.136:                              ;   in Loop: Header=BB72_3 Depth=1
	ds_load_b64 v[34:35], v5 offset:3640
	s_wait_dscnt 0x0
	v_pk_mul_f32 v[36:37], v[32:33], v[34:35] op_sel:[1,1] op_sel_hi:[1,0]
	s_delay_alu instid0(VALU_DEP_1) | instskip(SKIP_1) | instid1(VALU_DEP_2)
	v_pk_fma_f32 v[38:39], v[32:33], v[34:35], v[36:37] op_sel_hi:[0,1,1]
	v_pk_fma_f32 v[34:35], v[32:33], v[34:35], v[36:37] neg_lo:[0,0,1] neg_hi:[0,0,1]
	v_mov_b32_e32 v35, v39
	s_delay_alu instid0(VALU_DEP_1)
	v_mov_b64_e32 v[32:33], v[34:35]
	ds_store_b64 v3, v[34:35]
.LBB72_137:                             ;   in Loop: Header=BB72_3 Depth=1
	s_or_b32 exec_lo, exec_lo, s53
	s_wait_dscnt 0x0
	s_barrier_signal -1
	s_barrier_wait -1
	s_barrier_signal -1
	s_barrier_wait -1
	s_and_saveexec_b32 s53, s0
; %bb.138:                              ;   in Loop: Header=BB72_3 Depth=1
	v_pk_add_f32 v[32:33], v[32:33], 0 neg_lo:[1,1] neg_hi:[1,1]
	ds_store_b64 v42, v[32:33] offset:2096
; %bb.139:                              ;   in Loop: Header=BB72_3 Depth=1
	s_or_b32 exec_lo, exec_lo, s53
	s_wait_dscnt 0x0
	s_barrier_signal -1
	s_barrier_wait -1
	s_barrier_signal -1
	s_barrier_wait -1
	s_and_saveexec_b32 s53, s98
	s_cbranch_execz .LBB72_141
; %bb.140:                              ;   in Loop: Header=BB72_3 Depth=1
	ds_load_b64 v[32:33], v57 offset:2096
	s_wait_dscnt 0x0
	ds_store_b64 v54, v[32:33] offset:3104
	ds_load_b64 v[32:33], v57 offset:2104
	s_wait_dscnt 0x0
	ds_store_b64 v54, v[32:33] offset:3616
.LBB72_141:                             ;   in Loop: Header=BB72_3 Depth=1
	s_or_b32 exec_lo, exec_lo, s53
	s_wait_dscnt 0x0
	s_barrier_signal -1
	s_barrier_wait -1
	s_and_saveexec_b32 s53, s14
	s_cbranch_execz .LBB72_143
; %bb.142:                              ;   in Loop: Header=BB72_3 Depth=1
	ds_load_b128 v[32:35], v5 offset:3120
	ds_load_b64 v[36:37], v5 offset:3640
	s_wait_dscnt 0x1
	v_dual_mov_b32 v96, v35 :: v_dual_mov_b32 v97, v34
	s_wait_dscnt 0x0
	v_dual_mul_f32 v39, v37, v33 :: v_dual_mul_f32 v38, v36, v33
	s_delay_alu instid0(VALU_DEP_1) | instskip(NEXT) | instid1(VALU_DEP_1)
	v_xor_b32_e32 v40, 0x80000000, v39
	v_dual_fmac_f32 v38, v37, v32 :: v_dual_fmac_f32 v40, v36, v32
	s_delay_alu instid0(VALU_DEP_1) | instskip(NEXT) | instid1(VALU_DEP_1)
	v_pk_mul_f32 v[32:33], v[38:39], v[96:97] op_sel_hi:[0,1]
	v_pk_fma_f32 v[36:37], v[40:41], v[34:35], v[32:33] op_sel_hi:[0,1,1]
	v_pk_fma_f32 v[32:33], v[40:41], v[34:35], v[32:33] neg_lo:[0,0,1] neg_hi:[0,0,1]
	v_add_nc_u32_e64 v34, 0x800, 0
	s_delay_alu instid0(VALU_DEP_3)
	v_mov_b32_e32 v33, v37
	ds_store_2addr_b64 v34, v[32:33], v[32:33] offset0:135 offset1:198
.LBB72_143:                             ;   in Loop: Header=BB72_3 Depth=1
	s_or_b32 exec_lo, exec_lo, s53
	v_mov_b32_e32 v32, 0
	s_wait_dscnt 0x0
	s_barrier_signal -1
	s_barrier_wait -1
	s_delay_alu instid0(VALU_DEP_1)
	v_mov_b32_e32 v33, v32
	s_and_saveexec_b32 s64, s3
	s_cbranch_execz .LBB72_153
; %bb.144:                              ;   in Loop: Header=BB72_3 Depth=1
	ds_load_b64 v[32:33], v59 offset:64
	ds_load_b64 v[34:35], v55
	s_wait_dscnt 0x0
	v_dual_mul_f32 v36, v35, v33 :: v_dual_mul_f32 v37, v34, v33
	s_delay_alu instid0(VALU_DEP_1) | instskip(NEXT) | instid1(VALU_DEP_1)
	v_dual_fma_f32 v33, v34, v32, -v36 :: v_dual_fmac_f32 v37, v35, v32
	v_add_f32_e32 v33, 0, v33
	s_delay_alu instid0(VALU_DEP_2)
	v_add_f32_e32 v32, 0, v37
	s_and_saveexec_b32 s53, s18
	s_cbranch_execnz .LBB72_1126
; %bb.145:                              ;   in Loop: Header=BB72_3 Depth=1
	s_or_b32 exec_lo, exec_lo, s53
	s_and_saveexec_b32 s53, s19
	s_cbranch_execnz .LBB72_1127
.LBB72_146:                             ;   in Loop: Header=BB72_3 Depth=1
	s_or_b32 exec_lo, exec_lo, s53
	s_and_saveexec_b32 s53, s20
	s_cbranch_execnz .LBB72_1128
.LBB72_147:                             ;   in Loop: Header=BB72_3 Depth=1
	s_or_b32 exec_lo, exec_lo, s53
	s_and_saveexec_b32 s53, s21
	s_cbranch_execnz .LBB72_1129
.LBB72_148:                             ;   in Loop: Header=BB72_3 Depth=1
	s_or_b32 exec_lo, exec_lo, s53
	s_and_saveexec_b32 s53, s22
	s_cbranch_execnz .LBB72_1130
.LBB72_149:                             ;   in Loop: Header=BB72_3 Depth=1
	s_or_b32 exec_lo, exec_lo, s53
	s_and_saveexec_b32 s53, s2
	s_cbranch_execnz .LBB72_1131
.LBB72_150:                             ;   in Loop: Header=BB72_3 Depth=1
	s_or_b32 exec_lo, exec_lo, s53
	s_and_saveexec_b32 s53, s17
	s_cbranch_execz .LBB72_152
.LBB72_151:                             ;   in Loop: Header=BB72_3 Depth=1
	ds_load_b64 v[34:35], v61 offset:3648
	ds_load_b64 v[36:37], v5 offset:56
	s_wait_dscnt 0x0
	v_pk_mul_f32 v[38:39], v[36:37], v[34:35] op_sel:[0,1]
	s_delay_alu instid0(VALU_DEP_1) | instskip(SKIP_1) | instid1(VALU_DEP_2)
	v_pk_fma_f32 v[96:97], v[36:37], v[34:35], v[38:39] op_sel:[1,0,0] op_sel_hi:[0,0,1] neg_lo:[0,0,1] neg_hi:[0,0,1]
	v_pk_fma_f32 v[34:35], v[36:37], v[34:35], v[38:39] op_sel:[1,0,0] op_sel_hi:[0,1,1]
	v_mov_b32_e32 v35, v97
	s_delay_alu instid0(VALU_DEP_1)
	v_pk_add_f32 v[32:33], v[32:33], v[34:35]
.LBB72_152:                             ;   in Loop: Header=BB72_3 Depth=1
	s_or_b32 exec_lo, exec_lo, s53
	s_delay_alu instid0(VALU_DEP_1) | instskip(NEXT) | instid1(VALU_DEP_1)
	v_pk_add_f32 v[34:35], v[32:33], 0 neg_lo:[1,1] neg_hi:[1,1]
	v_dual_mov_b32 v32, v35 :: v_dual_mov_b32 v33, v34
.LBB72_153:                             ;   in Loop: Header=BB72_3 Depth=1
	s_or_b32 exec_lo, exec_lo, s64
	s_and_saveexec_b32 s53, s38
	s_cbranch_execz .LBB72_155
; %bb.154:                              ;   in Loop: Header=BB72_3 Depth=1
	ds_load_b64 v[34:35], v5 offset:4160
	v_dual_mov_b32 v36, v33 :: v_dual_mov_b32 v37, v32
	s_wait_dscnt 0x0
	s_delay_alu instid0(VALU_DEP_1) | instskip(NEXT) | instid1(VALU_DEP_1)
	v_dual_mul_f32 v38, v36, v34 :: v_dual_mul_f32 v40, v33, v35
	v_pk_fma_f32 v[36:37], v[36:37], v[34:35], v[38:39] op_sel_hi:[1,1,0]
	s_delay_alu instid0(VALU_DEP_2) | instskip(NEXT) | instid1(VALU_DEP_2)
	v_pk_fma_f32 v[32:33], v[32:33], v[34:35], v[40:41] op_sel_hi:[1,1,0] neg_lo:[0,0,1] neg_hi:[0,0,1]
	v_mov_b32_e32 v33, v37
	ds_store_b64 v58, v[32:33]
.LBB72_155:                             ;   in Loop: Header=BB72_3 Depth=1
	s_or_b32 exec_lo, exec_lo, s53
	s_wait_dscnt 0x0
	s_barrier_signal -1
	s_barrier_wait -1
	s_and_saveexec_b32 s53, s39
	s_cbranch_execz .LBB72_157
; %bb.156:                              ;   in Loop: Header=BB72_3 Depth=1
	ds_load_b64 v[34:35], v56 offset:4160
	ds_load_b64 v[36:37], v58
	s_wait_dscnt 0x0
	v_dual_mul_f32 v38, v37, v35 :: v_dual_mul_f32 v39, v36, v35
	s_delay_alu instid0(VALU_DEP_1) | instskip(NEXT) | instid1(VALU_DEP_1)
	v_dual_fma_f32 v38, v36, v34, -v38 :: v_dual_fmac_f32 v39, v37, v34
	v_pk_add_f32 v[32:33], v[32:33], v[38:39]
.LBB72_157:                             ;   in Loop: Header=BB72_3 Depth=1
	s_or_b32 exec_lo, exec_lo, s53
	s_barrier_signal -1
	s_barrier_wait -1
	s_and_saveexec_b32 s53, s40
	s_cbranch_execz .LBB72_159
; %bb.158:                              ;   in Loop: Header=BB72_3 Depth=1
	ds_load_b64 v[34:35], v5 offset:4680
	s_wait_dscnt 0x0
	v_pk_mul_f32 v[36:37], v[32:33], v[34:35] op_sel:[1,1] op_sel_hi:[1,0]
	s_delay_alu instid0(VALU_DEP_1) | instskip(SKIP_1) | instid1(VALU_DEP_2)
	v_pk_fma_f32 v[38:39], v[32:33], v[34:35], v[36:37] op_sel_hi:[0,1,1]
	v_pk_fma_f32 v[32:33], v[32:33], v[34:35], v[36:37] op_sel_hi:[0,1,1] neg_lo:[0,0,1] neg_hi:[0,0,1]
	v_mov_b32_e32 v33, v39
	ds_store_b64 v58, v[32:33]
.LBB72_159:                             ;   in Loop: Header=BB72_3 Depth=1
	s_or_b32 exec_lo, exec_lo, s53
	s_wait_dscnt 0x0
	s_barrier_signal -1
	s_barrier_wait -1
	s_and_saveexec_b32 s53, s41
	s_cbranch_execz .LBB72_161
; %bb.160:                              ;   in Loop: Header=BB72_3 Depth=1
	ds_load_b64 v[34:35], v56 offset:4672
	ds_load_b64 v[36:37], v58
	s_wait_dscnt 0x0
	v_pk_mul_f32 v[38:39], v[36:37], v[34:35] op_sel:[1,1] op_sel_hi:[0,1]
	s_delay_alu instid0(VALU_DEP_1) | instskip(SKIP_1) | instid1(VALU_DEP_2)
	v_pk_fma_f32 v[96:97], v[36:37], v[34:35], v[38:39] op_sel_hi:[1,0,1]
	v_pk_fma_f32 v[34:35], v[36:37], v[34:35], v[38:39] op_sel_hi:[1,0,1] neg_lo:[0,0,1] neg_hi:[0,0,1]
	v_mov_b32_e32 v35, v97
	s_delay_alu instid0(VALU_DEP_1)
	v_pk_add_f32 v[32:33], v[32:33], v[34:35]
.LBB72_161:                             ;   in Loop: Header=BB72_3 Depth=1
	s_or_b32 exec_lo, exec_lo, s53
	s_barrier_signal -1
	s_barrier_wait -1
	s_and_saveexec_b32 s53, s42
	s_cbranch_execz .LBB72_163
; %bb.162:                              ;   in Loop: Header=BB72_3 Depth=1
	ds_load_b64 v[34:35], v5 offset:5200
	s_wait_dscnt 0x0
	v_pk_mul_f32 v[36:37], v[32:33], v[34:35] op_sel:[1,1] op_sel_hi:[1,0]
	s_delay_alu instid0(VALU_DEP_1) | instskip(SKIP_1) | instid1(VALU_DEP_2)
	v_pk_fma_f32 v[38:39], v[32:33], v[34:35], v[36:37] op_sel_hi:[0,1,1]
	v_pk_fma_f32 v[32:33], v[32:33], v[34:35], v[36:37] op_sel_hi:[0,1,1] neg_lo:[0,0,1] neg_hi:[0,0,1]
	v_mov_b32_e32 v33, v39
	ds_store_b64 v58, v[32:33]
.LBB72_163:                             ;   in Loop: Header=BB72_3 Depth=1
	s_or_b32 exec_lo, exec_lo, s53
	s_wait_dscnt 0x0
	s_barrier_signal -1
	s_barrier_wait -1
	s_and_saveexec_b32 s53, s43
	s_cbranch_execz .LBB72_165
; %bb.164:                              ;   in Loop: Header=BB72_3 Depth=1
	ds_load_b64 v[34:35], v56 offset:5184
	ds_load_b64 v[36:37], v58
	s_wait_dscnt 0x0
	v_pk_mul_f32 v[38:39], v[36:37], v[34:35] op_sel:[1,1] op_sel_hi:[0,1]
	s_delay_alu instid0(VALU_DEP_1) | instskip(SKIP_1) | instid1(VALU_DEP_2)
	v_pk_fma_f32 v[96:97], v[36:37], v[34:35], v[38:39] op_sel_hi:[1,0,1]
	v_pk_fma_f32 v[34:35], v[36:37], v[34:35], v[38:39] op_sel_hi:[1,0,1] neg_lo:[0,0,1] neg_hi:[0,0,1]
	v_mov_b32_e32 v35, v97
	s_delay_alu instid0(VALU_DEP_1)
	v_pk_add_f32 v[32:33], v[32:33], v[34:35]
.LBB72_165:                             ;   in Loop: Header=BB72_3 Depth=1
	;; [unrolled: 33-line block ×3, first 2 shown]
	s_or_b32 exec_lo, exec_lo, s53
	s_barrier_signal -1
	s_barrier_wait -1
	s_and_saveexec_b32 s53, s46
	s_cbranch_execz .LBB72_171
; %bb.170:                              ;   in Loop: Header=BB72_3 Depth=1
	ds_load_b64 v[34:35], v5 offset:6240
	s_wait_dscnt 0x0
	v_dual_mul_f32 v36, v32, v35 :: v_dual_mul_f32 v38, v33, v35
	s_delay_alu instid0(VALU_DEP_1) | instskip(NEXT) | instid1(VALU_DEP_2)
	v_pk_fma_f32 v[36:37], v[32:33], v[34:35], v[36:37] op_sel:[0,1,0] op_sel_hi:[1,0,0]
	v_pk_fma_f32 v[34:35], v[32:33], v[34:35], v[38:39] op_sel_hi:[1,1,0] neg_lo:[0,0,1] neg_hi:[0,0,1]
	s_delay_alu instid0(VALU_DEP_2) | instskip(NEXT) | instid1(VALU_DEP_1)
	v_mov_b32_e32 v35, v37
	v_mov_b64_e32 v[32:33], v[34:35]
	ds_store_b64 v58, v[34:35]
.LBB72_171:                             ;   in Loop: Header=BB72_3 Depth=1
	s_or_b32 exec_lo, exec_lo, s53
	s_wait_dscnt 0x0
	s_barrier_signal -1
	s_barrier_wait -1
	s_and_saveexec_b32 s53, s47
	s_cbranch_execz .LBB72_173
; %bb.172:                              ;   in Loop: Header=BB72_3 Depth=1
	ds_load_b64 v[34:35], v56 offset:6208
	ds_load_b64 v[36:37], v58
	s_wait_dscnt 0x0
	v_dual_mul_f32 v38, v37, v35 :: v_dual_mul_f32 v39, v36, v35
	s_delay_alu instid0(VALU_DEP_1) | instskip(NEXT) | instid1(VALU_DEP_1)
	v_dual_fma_f32 v38, v36, v34, -v38 :: v_dual_fmac_f32 v39, v37, v34
	v_pk_add_f32 v[32:33], v[32:33], v[38:39]
.LBB72_173:                             ;   in Loop: Header=BB72_3 Depth=1
	s_or_b32 exec_lo, exec_lo, s53
	s_barrier_signal -1
	s_barrier_wait -1
	s_and_saveexec_b32 s53, s48
	s_cbranch_execz .LBB72_175
; %bb.174:                              ;   in Loop: Header=BB72_3 Depth=1
	ds_load_b64 v[34:35], v5 offset:6760
	s_wait_dscnt 0x0
	v_pk_mul_f32 v[36:37], v[32:33], v[34:35] op_sel:[1,1] op_sel_hi:[1,0]
	s_delay_alu instid0(VALU_DEP_1) | instskip(SKIP_1) | instid1(VALU_DEP_2)
	v_pk_fma_f32 v[38:39], v[32:33], v[34:35], v[36:37] op_sel_hi:[0,1,1]
	v_pk_fma_f32 v[34:35], v[32:33], v[34:35], v[36:37] neg_lo:[0,0,1] neg_hi:[0,0,1]
	v_mov_b32_e32 v35, v39
	s_delay_alu instid0(VALU_DEP_1)
	v_mov_b64_e32 v[32:33], v[34:35]
	ds_store_b64 v58, v[34:35]
.LBB72_175:                             ;   in Loop: Header=BB72_3 Depth=1
	s_or_b32 exec_lo, exec_lo, s53
	s_wait_dscnt 0x0
	s_barrier_signal -1
	s_barrier_wait -1
	s_and_saveexec_b32 s53, s49
	s_cbranch_execz .LBB72_177
; %bb.176:                              ;   in Loop: Header=BB72_3 Depth=1
	ds_load_b64 v[34:35], v56 offset:6720
	ds_load_b64 v[36:37], v58
	s_wait_dscnt 0x0
	v_pk_mul_f32 v[38:39], v[36:37], v[34:35] op_sel:[1,1] op_sel_hi:[0,1]
	s_delay_alu instid0(VALU_DEP_1) | instskip(SKIP_1) | instid1(VALU_DEP_2)
	v_pk_fma_f32 v[96:97], v[36:37], v[34:35], v[38:39] op_sel_hi:[1,0,1]
	v_pk_fma_f32 v[34:35], v[36:37], v[34:35], v[38:39] neg_lo:[0,0,1] neg_hi:[0,0,1]
	v_mov_b32_e32 v35, v97
	s_delay_alu instid0(VALU_DEP_1)
	v_pk_add_f32 v[32:33], v[32:33], v[34:35]
.LBB72_177:                             ;   in Loop: Header=BB72_3 Depth=1
	s_or_b32 exec_lo, exec_lo, s53
	s_barrier_signal -1
	s_barrier_wait -1
	s_and_saveexec_b32 s53, s50
	s_cbranch_execz .LBB72_179
; %bb.178:                              ;   in Loop: Header=BB72_3 Depth=1
	ds_load_b64 v[34:35], v5 offset:7280
	s_wait_dscnt 0x0
	v_pk_mul_f32 v[36:37], v[32:33], v[34:35] op_sel:[1,1] op_sel_hi:[1,0]
	s_delay_alu instid0(VALU_DEP_1) | instskip(SKIP_1) | instid1(VALU_DEP_2)
	v_pk_fma_f32 v[38:39], v[32:33], v[34:35], v[36:37] op_sel_hi:[0,1,1]
	v_pk_fma_f32 v[34:35], v[32:33], v[34:35], v[36:37] neg_lo:[0,0,1] neg_hi:[0,0,1]
	v_mov_b32_e32 v35, v39
	s_delay_alu instid0(VALU_DEP_1)
	v_mov_b64_e32 v[32:33], v[34:35]
	ds_store_b64 v58, v[34:35]
.LBB72_179:                             ;   in Loop: Header=BB72_3 Depth=1
	s_or_b32 exec_lo, exec_lo, s53
	s_wait_dscnt 0x0
	s_barrier_signal -1
	s_barrier_wait -1
	s_and_saveexec_b32 s53, s51
	s_cbranch_execz .LBB72_181
; %bb.180:                              ;   in Loop: Header=BB72_3 Depth=1
	ds_load_b64 v[34:35], v5 offset:7288
	ds_load_b64 v[36:37], v58
	s_wait_dscnt 0x0
	v_pk_mul_f32 v[38:39], v[36:37], v[34:35] op_sel:[1,1] op_sel_hi:[0,1]
	s_delay_alu instid0(VALU_DEP_1) | instskip(SKIP_1) | instid1(VALU_DEP_2)
	v_pk_fma_f32 v[96:97], v[36:37], v[34:35], v[38:39] op_sel_hi:[1,0,1]
	v_pk_fma_f32 v[34:35], v[36:37], v[34:35], v[38:39] neg_lo:[0,0,1] neg_hi:[0,0,1]
	v_mov_b32_e32 v35, v97
	s_delay_alu instid0(VALU_DEP_1)
	v_pk_add_f32 v[32:33], v[32:33], v[34:35]
.LBB72_181:                             ;   in Loop: Header=BB72_3 Depth=1
	s_or_b32 exec_lo, exec_lo, s53
	s_barrier_signal -1
	s_barrier_wait -1
	s_and_saveexec_b32 s53, s51
	s_cbranch_execz .LBB72_183
; %bb.182:                              ;   in Loop: Header=BB72_3 Depth=1
	ds_load_b64 v[34:35], v5 offset:7800
	s_wait_dscnt 0x0
	v_pk_mul_f32 v[36:37], v[32:33], v[34:35] op_sel:[1,1] op_sel_hi:[1,0]
	s_delay_alu instid0(VALU_DEP_1) | instskip(SKIP_1) | instid1(VALU_DEP_2)
	v_pk_fma_f32 v[38:39], v[32:33], v[34:35], v[36:37] op_sel_hi:[0,1,1]
	v_pk_fma_f32 v[34:35], v[32:33], v[34:35], v[36:37] neg_lo:[0,0,1] neg_hi:[0,0,1]
	v_mov_b32_e32 v35, v39
	s_delay_alu instid0(VALU_DEP_1)
	v_mov_b64_e32 v[32:33], v[34:35]
	ds_store_b64 v58, v[34:35]
.LBB72_183:                             ;   in Loop: Header=BB72_3 Depth=1
	s_or_b32 exec_lo, exec_lo, s53
	s_wait_dscnt 0x0
	s_barrier_signal -1
	s_barrier_wait -1
	s_barrier_signal -1
	s_barrier_wait -1
	s_and_saveexec_b32 s53, s3
; %bb.184:                              ;   in Loop: Header=BB72_3 Depth=1
	v_pk_add_f32 v[32:33], v[32:33], 0 neg_lo:[1,1] neg_hi:[1,1]
	ds_store_b64 v59, v[32:33] offset:64
; %bb.185:                              ;   in Loop: Header=BB72_3 Depth=1
	s_or_b32 exec_lo, exec_lo, s53
	s_wait_dscnt 0x0
	s_barrier_signal -1
	s_barrier_wait -1
	s_barrier_signal -1
	s_barrier_wait -1
	s_and_saveexec_b32 s53, s52
	s_cbranch_execz .LBB72_187
; %bb.186:                              ;   in Loop: Header=BB72_3 Depth=1
	ds_load_b64 v[32:33], v62 offset:64
	s_wait_dscnt 0x0
	ds_store_b64 v63, v[32:33] offset:4096
	ds_load_b64 v[32:33], v62 offset:72
	s_wait_dscnt 0x0
	ds_store_b64 v63, v[32:33] offset:4608
	;; [unrolled: 3-line block ×8, first 2 shown]
.LBB72_187:                             ;   in Loop: Header=BB72_3 Depth=1
	s_or_b32 exec_lo, exec_lo, s53
	s_wait_dscnt 0x0
	s_barrier_signal -1
	s_barrier_wait -1
	s_and_saveexec_b32 s53, s14
	s_cbranch_execz .LBB72_189
; %bb.188:                              ;   in Loop: Header=BB72_3 Depth=1
	ds_load_b128 v[32:35], v5 offset:4160
	ds_load_b64 v[36:37], v5 offset:4680
	s_wait_dscnt 0x1
	v_dual_mov_b32 v96, v35 :: v_dual_mov_b32 v97, v34
	s_wait_dscnt 0x0
	v_dual_mul_f32 v39, v37, v33 :: v_dual_mul_f32 v38, v36, v33
	s_delay_alu instid0(VALU_DEP_1) | instskip(NEXT) | instid1(VALU_DEP_1)
	v_xor_b32_e32 v40, 0x80000000, v39
	v_dual_fmac_f32 v38, v37, v32 :: v_dual_fmac_f32 v40, v36, v32
	s_delay_alu instid0(VALU_DEP_1) | instskip(NEXT) | instid1(VALU_DEP_1)
	v_pk_mul_f32 v[32:33], v[38:39], v[96:97] op_sel_hi:[0,1]
	v_pk_fma_f32 v[36:37], v[40:41], v[34:35], v[32:33] op_sel_hi:[0,1,1]
	v_pk_fma_f32 v[32:33], v[40:41], v[34:35], v[32:33] neg_lo:[0,0,1] neg_hi:[0,0,1]
	v_add_nc_u32_e64 v34, 0x1000, 0
	s_delay_alu instid0(VALU_DEP_3)
	v_mov_b32_e32 v33, v37
	ds_store_2addr_b64 v34, v[32:33], v[32:33] offset0:9 offset1:72
.LBB72_189:                             ;   in Loop: Header=BB72_3 Depth=1
	s_or_b32 exec_lo, exec_lo, s53
	v_mov_b32_e32 v33, 0
	s_wait_dscnt 0x0
	s_barrier_signal -1
	s_barrier_wait -1
	s_delay_alu instid0(VALU_DEP_1)
	v_mov_b32_e32 v32, v33
	s_and_saveexec_b32 s53, s0
	s_cbranch_execz .LBB72_193
; %bb.190:                              ;   in Loop: Header=BB72_3 Depth=1
	ds_load_b64 v[32:33], v42 offset:4176
	ds_load_b64 v[34:35], v43 offset:4160
	s_wait_dscnt 0x0
	v_dual_mul_f32 v36, v35, v33 :: v_dual_mul_f32 v37, v34, v33
	s_delay_alu instid0(VALU_DEP_1) | instskip(NEXT) | instid1(VALU_DEP_1)
	v_dual_fma_f32 v36, v34, v32, -v36 :: v_dual_fmac_f32 v37, v35, v32
	v_pk_add_f32 v[32:33], v[36:37], 0 op_sel_hi:[1,0]
	s_and_saveexec_b32 s54, s15
	s_cbranch_execz .LBB72_192
; %bb.191:                              ;   in Loop: Header=BB72_3 Depth=1
	ds_load_b64 v[34:35], v63 offset:4688
	ds_load_b64 v[36:37], v5 offset:4168
	s_wait_dscnt 0x0
	v_pk_mul_f32 v[38:39], v[36:37], v[34:35] op_sel:[1,1] op_sel_hi:[0,1]
	s_delay_alu instid0(VALU_DEP_1) | instskip(SKIP_1) | instid1(VALU_DEP_2)
	v_pk_fma_f32 v[96:97], v[36:37], v[34:35], v[38:39] op_sel_hi:[1,0,1]
	v_pk_fma_f32 v[34:35], v[36:37], v[34:35], v[38:39] neg_lo:[0,0,1] neg_hi:[0,0,1]
	v_mov_b32_e32 v35, v97
	s_delay_alu instid0(VALU_DEP_1)
	v_pk_add_f32 v[32:33], v[32:33], v[34:35]
.LBB72_192:                             ;   in Loop: Header=BB72_3 Depth=1
	s_or_b32 exec_lo, exec_lo, s54
	s_delay_alu instid0(VALU_DEP_1)
	v_pk_add_f32 v[32:33], v[32:33], 0 neg_lo:[1,1] neg_hi:[1,1]
.LBB72_193:                             ;   in Loop: Header=BB72_3 Depth=1
	s_or_b32 exec_lo, exec_lo, s53
	s_and_saveexec_b32 s53, s96
	s_cbranch_execz .LBB72_195
; %bb.194:                              ;   in Loop: Header=BB72_3 Depth=1
	ds_load_b64 v[34:35], v5 offset:5200
	s_wait_dscnt 0x0
	v_pk_mul_f32 v[36:37], v[32:33], v[34:35] op_sel:[1,1] op_sel_hi:[1,0]
	s_delay_alu instid0(VALU_DEP_1) | instskip(SKIP_1) | instid1(VALU_DEP_2)
	v_pk_fma_f32 v[38:39], v[32:33], v[34:35], v[36:37] op_sel_hi:[0,1,1]
	v_pk_fma_f32 v[34:35], v[32:33], v[34:35], v[36:37] neg_lo:[0,0,1] neg_hi:[0,0,1]
	v_mov_b32_e32 v35, v39
	s_delay_alu instid0(VALU_DEP_1)
	v_mov_b64_e32 v[32:33], v[34:35]
	ds_store_b64 v3, v[34:35]
.LBB72_195:                             ;   in Loop: Header=BB72_3 Depth=1
	s_or_b32 exec_lo, exec_lo, s53
	s_wait_dscnt 0x0
	s_barrier_signal -1
	s_barrier_wait -1
	s_and_saveexec_b32 s53, s97
	s_cbranch_execz .LBB72_197
; %bb.196:                              ;   in Loop: Header=BB72_3 Depth=1
	ds_load_b64 v[34:35], v5 offset:5208
	ds_load_b64 v[36:37], v3
	s_wait_dscnt 0x0
	v_pk_mul_f32 v[38:39], v[36:37], v[34:35] op_sel:[1,1] op_sel_hi:[0,1]
	s_delay_alu instid0(VALU_DEP_1) | instskip(SKIP_1) | instid1(VALU_DEP_2)
	v_pk_fma_f32 v[96:97], v[36:37], v[34:35], v[38:39] op_sel_hi:[1,0,1]
	v_pk_fma_f32 v[34:35], v[36:37], v[34:35], v[38:39] neg_lo:[0,0,1] neg_hi:[0,0,1]
	v_mov_b32_e32 v35, v97
	s_delay_alu instid0(VALU_DEP_1)
	v_pk_add_f32 v[32:33], v[32:33], v[34:35]
.LBB72_197:                             ;   in Loop: Header=BB72_3 Depth=1
	s_or_b32 exec_lo, exec_lo, s53
	s_barrier_signal -1
	s_barrier_wait -1
	s_and_saveexec_b32 s53, s97
	s_cbranch_execz .LBB72_199
; %bb.198:                              ;   in Loop: Header=BB72_3 Depth=1
	ds_load_b64 v[34:35], v5 offset:5720
	s_wait_dscnt 0x0
	v_pk_mul_f32 v[36:37], v[32:33], v[34:35] op_sel:[1,1] op_sel_hi:[1,0]
	s_delay_alu instid0(VALU_DEP_1) | instskip(SKIP_1) | instid1(VALU_DEP_2)
	v_pk_fma_f32 v[38:39], v[32:33], v[34:35], v[36:37] op_sel_hi:[0,1,1]
	v_pk_fma_f32 v[34:35], v[32:33], v[34:35], v[36:37] neg_lo:[0,0,1] neg_hi:[0,0,1]
	v_mov_b32_e32 v35, v39
	s_delay_alu instid0(VALU_DEP_1)
	v_mov_b64_e32 v[32:33], v[34:35]
	ds_store_b64 v3, v[34:35]
.LBB72_199:                             ;   in Loop: Header=BB72_3 Depth=1
	s_or_b32 exec_lo, exec_lo, s53
	s_wait_dscnt 0x0
	s_barrier_signal -1
	s_barrier_wait -1
	s_barrier_signal -1
	s_barrier_wait -1
	s_and_saveexec_b32 s53, s0
; %bb.200:                              ;   in Loop: Header=BB72_3 Depth=1
	v_pk_add_f32 v[32:33], v[32:33], 0 neg_lo:[1,1] neg_hi:[1,1]
	ds_store_b64 v42, v[32:33] offset:4176
; %bb.201:                              ;   in Loop: Header=BB72_3 Depth=1
	s_or_b32 exec_lo, exec_lo, s53
	s_wait_dscnt 0x0
	s_barrier_signal -1
	s_barrier_wait -1
	s_barrier_signal -1
	s_barrier_wait -1
	s_and_saveexec_b32 s53, s98
	s_cbranch_execz .LBB72_203
; %bb.202:                              ;   in Loop: Header=BB72_3 Depth=1
	ds_load_b64 v[32:33], v65 offset:4176
	s_wait_dscnt 0x0
	ds_store_b64 v63, v[32:33] offset:5184
	ds_load_b64 v[32:33], v65 offset:4184
	s_wait_dscnt 0x0
	ds_store_b64 v63, v[32:33] offset:5696
.LBB72_203:                             ;   in Loop: Header=BB72_3 Depth=1
	s_or_b32 exec_lo, exec_lo, s53
	s_wait_dscnt 0x0
	s_barrier_signal -1
	s_barrier_wait -1
	s_and_saveexec_b32 s53, s14
	s_cbranch_execz .LBB72_205
; %bb.204:                              ;   in Loop: Header=BB72_3 Depth=1
	ds_load_b128 v[32:35], v5 offset:5200
	ds_load_b64 v[36:37], v5 offset:5720
	s_wait_dscnt 0x1
	v_dual_mov_b32 v96, v35 :: v_dual_mov_b32 v97, v34
	s_wait_dscnt 0x0
	v_dual_mul_f32 v39, v37, v33 :: v_dual_mul_f32 v38, v36, v33
	s_delay_alu instid0(VALU_DEP_1) | instskip(NEXT) | instid1(VALU_DEP_1)
	v_xor_b32_e32 v40, 0x80000000, v39
	v_dual_fmac_f32 v38, v37, v32 :: v_dual_fmac_f32 v40, v36, v32
	s_delay_alu instid0(VALU_DEP_1) | instskip(NEXT) | instid1(VALU_DEP_1)
	v_pk_mul_f32 v[32:33], v[38:39], v[96:97] op_sel_hi:[0,1]
	v_pk_fma_f32 v[36:37], v[40:41], v[34:35], v[32:33] op_sel_hi:[0,1,1]
	v_pk_fma_f32 v[32:33], v[40:41], v[34:35], v[32:33] neg_lo:[0,0,1] neg_hi:[0,0,1]
	v_add_nc_u32_e64 v34, 0x1000, 0
	s_delay_alu instid0(VALU_DEP_3)
	v_mov_b32_e32 v33, v37
	ds_store_2addr_b64 v34, v[32:33], v[32:33] offset0:139 offset1:202
.LBB72_205:                             ;   in Loop: Header=BB72_3 Depth=1
	s_or_b32 exec_lo, exec_lo, s53
	v_mov_b32_e32 v32, 0
	s_wait_dscnt 0x0
	s_barrier_signal -1
	s_barrier_wait -1
	s_delay_alu instid0(VALU_DEP_1)
	v_mov_b32_e32 v33, v32
	s_and_saveexec_b32 s64, s2
	s_cbranch_execz .LBB72_211
; %bb.206:                              ;   in Loop: Header=BB72_3 Depth=1
	ds_load_b64 v[32:33], v49 offset:4192
	ds_load_b64 v[34:35], v45 offset:4160
	s_wait_dscnt 0x0
	v_pk_mul_f32 v[36:37], v[34:35], v[32:33] op_sel:[0,1]
	s_delay_alu instid0(VALU_DEP_1) | instskip(SKIP_1) | instid1(VALU_DEP_2)
	v_pk_fma_f32 v[38:39], v[34:35], v[32:33], v[36:37] op_sel:[1,0,0] op_sel_hi:[0,0,1] neg_lo:[0,0,1] neg_hi:[0,0,1]
	v_pk_fma_f32 v[32:33], v[34:35], v[32:33], v[36:37] op_sel:[1,0,0] op_sel_hi:[0,1,1]
	v_mov_b32_e32 v33, v39
	s_delay_alu instid0(VALU_DEP_1)
	v_pk_add_f32 v[32:33], v[32:33], 0 op_sel_hi:[1,0]
	s_and_saveexec_b32 s53, s16
	s_cbranch_execnz .LBB72_1132
; %bb.207:                              ;   in Loop: Header=BB72_3 Depth=1
	s_or_b32 exec_lo, exec_lo, s53
	s_and_saveexec_b32 s53, s17
	s_cbranch_execnz .LBB72_1133
.LBB72_208:                             ;   in Loop: Header=BB72_3 Depth=1
	s_or_b32 exec_lo, exec_lo, s53
	s_and_saveexec_b32 s53, s0
	s_cbranch_execz .LBB72_210
.LBB72_209:                             ;   in Loop: Header=BB72_3 Depth=1
	ds_load_b64 v[34:35], v73 offset:5728
	ds_load_b64 v[36:37], v5 offset:4184
	s_wait_dscnt 0x0
	v_pk_mul_f32 v[38:39], v[36:37], v[34:35] op_sel:[0,1]
	s_delay_alu instid0(VALU_DEP_1) | instskip(SKIP_1) | instid1(VALU_DEP_2)
	v_pk_fma_f32 v[96:97], v[36:37], v[34:35], v[38:39] op_sel:[1,0,0] op_sel_hi:[0,0,1] neg_lo:[0,0,1] neg_hi:[0,0,1]
	v_pk_fma_f32 v[34:35], v[36:37], v[34:35], v[38:39] op_sel:[1,0,0] op_sel_hi:[0,1,1]
	v_mov_b32_e32 v35, v97
	s_delay_alu instid0(VALU_DEP_1)
	v_pk_add_f32 v[32:33], v[32:33], v[34:35]
.LBB72_210:                             ;   in Loop: Header=BB72_3 Depth=1
	s_or_b32 exec_lo, exec_lo, s53
	s_delay_alu instid0(VALU_DEP_1) | instskip(NEXT) | instid1(VALU_DEP_1)
	v_pk_add_f32 v[34:35], v[32:33], 0 neg_lo:[1,1] neg_hi:[1,1]
	v_dual_mov_b32 v32, v35 :: v_dual_mov_b32 v33, v34
.LBB72_211:                             ;   in Loop: Header=BB72_3 Depth=1
	s_or_b32 exec_lo, exec_lo, s64
	s_and_saveexec_b32 s53, s99
	s_cbranch_execz .LBB72_213
; %bb.212:                              ;   in Loop: Header=BB72_3 Depth=1
	ds_load_b64 v[34:35], v5 offset:6240
	v_dual_mov_b32 v36, v33 :: v_dual_mov_b32 v37, v32
	s_wait_dscnt 0x0
	s_delay_alu instid0(VALU_DEP_1) | instskip(NEXT) | instid1(VALU_DEP_1)
	v_dual_mul_f32 v38, v36, v34 :: v_dual_mul_f32 v40, v33, v35
	v_pk_fma_f32 v[36:37], v[36:37], v[34:35], v[38:39] op_sel_hi:[1,1,0]
	s_delay_alu instid0(VALU_DEP_2) | instskip(NEXT) | instid1(VALU_DEP_2)
	v_pk_fma_f32 v[32:33], v[32:33], v[34:35], v[40:41] op_sel_hi:[1,1,0] neg_lo:[0,0,1] neg_hi:[0,0,1]
	v_mov_b32_e32 v33, v37
	ds_store_b64 v48, v[32:33]
.LBB72_213:                             ;   in Loop: Header=BB72_3 Depth=1
	s_or_b32 exec_lo, exec_lo, s53
	s_wait_dscnt 0x0
	s_barrier_signal -1
	s_barrier_wait -1
	s_and_saveexec_b32 s53, s100
	s_cbranch_execz .LBB72_215
; %bb.214:                              ;   in Loop: Header=BB72_3 Depth=1
	ds_load_b64 v[34:35], v46 offset:6240
	ds_load_b64 v[36:37], v48
	s_wait_dscnt 0x0
	v_dual_mul_f32 v38, v37, v35 :: v_dual_mul_f32 v39, v36, v35
	s_delay_alu instid0(VALU_DEP_1) | instskip(NEXT) | instid1(VALU_DEP_1)
	v_dual_fma_f32 v38, v36, v34, -v38 :: v_dual_fmac_f32 v39, v37, v34
	v_pk_add_f32 v[32:33], v[32:33], v[38:39]
.LBB72_215:                             ;   in Loop: Header=BB72_3 Depth=1
	s_or_b32 exec_lo, exec_lo, s53
	s_barrier_signal -1
	s_barrier_wait -1
	s_and_saveexec_b32 s53, s101
	s_cbranch_execz .LBB72_217
; %bb.216:                              ;   in Loop: Header=BB72_3 Depth=1
	ds_load_b64 v[34:35], v5 offset:6760
	s_wait_dscnt 0x0
	v_pk_mul_f32 v[36:37], v[32:33], v[34:35] op_sel:[1,1] op_sel_hi:[1,0]
	s_delay_alu instid0(VALU_DEP_1) | instskip(SKIP_1) | instid1(VALU_DEP_2)
	v_pk_fma_f32 v[38:39], v[32:33], v[34:35], v[36:37] op_sel_hi:[0,1,1]
	v_pk_fma_f32 v[34:35], v[32:33], v[34:35], v[36:37] neg_lo:[0,0,1] neg_hi:[0,0,1]
	v_mov_b32_e32 v35, v39
	s_delay_alu instid0(VALU_DEP_1)
	v_mov_b64_e32 v[32:33], v[34:35]
	ds_store_b64 v48, v[34:35]
.LBB72_217:                             ;   in Loop: Header=BB72_3 Depth=1
	s_or_b32 exec_lo, exec_lo, s53
	s_wait_dscnt 0x0
	s_barrier_signal -1
	s_barrier_wait -1
	s_and_saveexec_b32 s53, s102
	s_cbranch_execz .LBB72_219
; %bb.218:                              ;   in Loop: Header=BB72_3 Depth=1
	ds_load_b64 v[34:35], v46 offset:6752
	ds_load_b64 v[36:37], v48
	s_wait_dscnt 0x0
	v_pk_mul_f32 v[38:39], v[36:37], v[34:35] op_sel:[1,1] op_sel_hi:[0,1]
	s_delay_alu instid0(VALU_DEP_1) | instskip(SKIP_1) | instid1(VALU_DEP_2)
	v_pk_fma_f32 v[96:97], v[36:37], v[34:35], v[38:39] op_sel_hi:[1,0,1]
	v_pk_fma_f32 v[34:35], v[36:37], v[34:35], v[38:39] neg_lo:[0,0,1] neg_hi:[0,0,1]
	v_mov_b32_e32 v35, v97
	s_delay_alu instid0(VALU_DEP_1)
	v_pk_add_f32 v[32:33], v[32:33], v[34:35]
.LBB72_219:                             ;   in Loop: Header=BB72_3 Depth=1
	s_or_b32 exec_lo, exec_lo, s53
	s_barrier_signal -1
	s_barrier_wait -1
	s_and_saveexec_b32 s53, s103
	s_cbranch_execz .LBB72_221
; %bb.220:                              ;   in Loop: Header=BB72_3 Depth=1
	ds_load_b64 v[34:35], v5 offset:7280
	s_wait_dscnt 0x0
	v_pk_mul_f32 v[36:37], v[32:33], v[34:35] op_sel:[1,1] op_sel_hi:[1,0]
	s_delay_alu instid0(VALU_DEP_1) | instskip(SKIP_1) | instid1(VALU_DEP_2)
	v_pk_fma_f32 v[38:39], v[32:33], v[34:35], v[36:37] op_sel_hi:[0,1,1]
	v_pk_fma_f32 v[34:35], v[32:33], v[34:35], v[36:37] neg_lo:[0,0,1] neg_hi:[0,0,1]
	v_mov_b32_e32 v35, v39
	s_delay_alu instid0(VALU_DEP_1)
	v_mov_b64_e32 v[32:33], v[34:35]
	ds_store_b64 v48, v[34:35]
.LBB72_221:                             ;   in Loop: Header=BB72_3 Depth=1
	s_or_b32 exec_lo, exec_lo, s53
	s_wait_dscnt 0x0
	s_barrier_signal -1
	s_barrier_wait -1
	s_and_saveexec_b32 s53, s104
	s_cbranch_execz .LBB72_223
; %bb.222:                              ;   in Loop: Header=BB72_3 Depth=1
	ds_load_b64 v[34:35], v5 offset:7288
	ds_load_b64 v[36:37], v48
	s_wait_dscnt 0x0
	v_pk_mul_f32 v[38:39], v[36:37], v[34:35] op_sel:[1,1] op_sel_hi:[0,1]
	s_delay_alu instid0(VALU_DEP_1) | instskip(SKIP_1) | instid1(VALU_DEP_2)
	v_pk_fma_f32 v[96:97], v[36:37], v[34:35], v[38:39] op_sel_hi:[1,0,1]
	v_pk_fma_f32 v[34:35], v[36:37], v[34:35], v[38:39] neg_lo:[0,0,1] neg_hi:[0,0,1]
	v_mov_b32_e32 v35, v97
	s_delay_alu instid0(VALU_DEP_1)
	v_pk_add_f32 v[32:33], v[32:33], v[34:35]
.LBB72_223:                             ;   in Loop: Header=BB72_3 Depth=1
	s_or_b32 exec_lo, exec_lo, s53
	s_barrier_signal -1
	s_barrier_wait -1
	s_and_saveexec_b32 s53, s104
	s_cbranch_execz .LBB72_225
; %bb.224:                              ;   in Loop: Header=BB72_3 Depth=1
	ds_load_b64 v[34:35], v5 offset:7800
	s_wait_dscnt 0x0
	v_pk_mul_f32 v[36:37], v[32:33], v[34:35] op_sel:[1,1] op_sel_hi:[1,0]
	s_delay_alu instid0(VALU_DEP_1) | instskip(SKIP_1) | instid1(VALU_DEP_2)
	v_pk_fma_f32 v[38:39], v[32:33], v[34:35], v[36:37] op_sel_hi:[0,1,1]
	v_pk_fma_f32 v[34:35], v[32:33], v[34:35], v[36:37] neg_lo:[0,0,1] neg_hi:[0,0,1]
	v_mov_b32_e32 v35, v39
	s_delay_alu instid0(VALU_DEP_1)
	v_mov_b64_e32 v[32:33], v[34:35]
	ds_store_b64 v48, v[34:35]
.LBB72_225:                             ;   in Loop: Header=BB72_3 Depth=1
	s_or_b32 exec_lo, exec_lo, s53
	s_wait_dscnt 0x0
	s_barrier_signal -1
	s_barrier_wait -1
	s_barrier_signal -1
	s_barrier_wait -1
	s_and_saveexec_b32 s53, s2
; %bb.226:                              ;   in Loop: Header=BB72_3 Depth=1
	v_pk_add_f32 v[32:33], v[32:33], 0 neg_lo:[1,1] neg_hi:[1,1]
	ds_store_b64 v49, v[32:33] offset:4192
; %bb.227:                              ;   in Loop: Header=BB72_3 Depth=1
	s_or_b32 exec_lo, exec_lo, s53
	s_wait_dscnt 0x0
	s_barrier_signal -1
	s_barrier_wait -1
	s_barrier_signal -1
	s_barrier_wait -1
	s_and_saveexec_b32 s53, vcc_hi
	s_cbranch_execz .LBB72_229
; %bb.228:                              ;   in Loop: Header=BB72_3 Depth=1
	ds_load_b64 v[32:33], v74 offset:4192
	s_wait_dscnt 0x0
	ds_store_b64 v79, v[32:33] offset:6208
	ds_load_b64 v[32:33], v74 offset:4200
	s_wait_dscnt 0x0
	ds_store_b64 v79, v[32:33] offset:6720
	;; [unrolled: 3-line block ×4, first 2 shown]
.LBB72_229:                             ;   in Loop: Header=BB72_3 Depth=1
	s_or_b32 exec_lo, exec_lo, s53
	s_wait_dscnt 0x0
	s_barrier_signal -1
	s_barrier_wait -1
	s_and_saveexec_b32 s53, s14
	s_cbranch_execz .LBB72_231
; %bb.230:                              ;   in Loop: Header=BB72_3 Depth=1
	ds_load_b128 v[32:35], v5 offset:6240
	ds_load_b64 v[36:37], v5 offset:6760
	s_wait_dscnt 0x1
	v_dual_mov_b32 v96, v35 :: v_dual_mov_b32 v97, v34
	s_wait_dscnt 0x0
	v_dual_mul_f32 v39, v37, v33 :: v_dual_mul_f32 v38, v36, v33
	s_delay_alu instid0(VALU_DEP_1) | instskip(NEXT) | instid1(VALU_DEP_1)
	v_xor_b32_e32 v40, 0x80000000, v39
	v_dual_fmac_f32 v38, v37, v32 :: v_dual_fmac_f32 v40, v36, v32
	s_delay_alu instid0(VALU_DEP_1) | instskip(NEXT) | instid1(VALU_DEP_1)
	v_pk_mul_f32 v[32:33], v[38:39], v[96:97] op_sel_hi:[0,1]
	v_pk_fma_f32 v[36:37], v[40:41], v[34:35], v[32:33] op_sel_hi:[0,1,1]
	v_pk_fma_f32 v[32:33], v[40:41], v[34:35], v[32:33] neg_lo:[0,0,1] neg_hi:[0,0,1]
	v_add_nc_u32_e64 v34, 0x1800, 0
	s_delay_alu instid0(VALU_DEP_3)
	v_mov_b32_e32 v33, v37
	ds_store_2addr_b64 v34, v[32:33], v[32:33] offset0:13 offset1:76
.LBB72_231:                             ;   in Loop: Header=BB72_3 Depth=1
	s_or_b32 exec_lo, exec_lo, s53
	v_mov_b32_e32 v33, 0
	s_wait_dscnt 0x0
	s_barrier_signal -1
	s_barrier_wait -1
	s_delay_alu instid0(VALU_DEP_1)
	v_mov_b32_e32 v32, v33
	s_and_saveexec_b32 s53, s0
	s_cbranch_execz .LBB72_235
; %bb.232:                              ;   in Loop: Header=BB72_3 Depth=1
	ds_load_b64 v[32:33], v42 offset:6256
	ds_load_b64 v[34:35], v43 offset:6240
	s_wait_dscnt 0x0
	v_dual_mul_f32 v36, v35, v33 :: v_dual_mul_f32 v37, v34, v33
	s_delay_alu instid0(VALU_DEP_1) | instskip(NEXT) | instid1(VALU_DEP_1)
	v_dual_fma_f32 v36, v34, v32, -v36 :: v_dual_fmac_f32 v37, v35, v32
	v_pk_add_f32 v[32:33], v[36:37], 0 op_sel_hi:[1,0]
	s_and_saveexec_b32 s54, s15
	s_cbranch_execz .LBB72_234
; %bb.233:                              ;   in Loop: Header=BB72_3 Depth=1
	ds_load_b64 v[34:35], v79 offset:6768
	ds_load_b64 v[36:37], v5 offset:6248
	s_wait_dscnt 0x0
	v_pk_mul_f32 v[38:39], v[36:37], v[34:35] op_sel:[1,1] op_sel_hi:[0,1]
	s_delay_alu instid0(VALU_DEP_1) | instskip(SKIP_1) | instid1(VALU_DEP_2)
	v_pk_fma_f32 v[96:97], v[36:37], v[34:35], v[38:39] op_sel_hi:[1,0,1]
	v_pk_fma_f32 v[34:35], v[36:37], v[34:35], v[38:39] neg_lo:[0,0,1] neg_hi:[0,0,1]
	v_mov_b32_e32 v35, v97
	s_delay_alu instid0(VALU_DEP_1)
	v_pk_add_f32 v[32:33], v[32:33], v[34:35]
.LBB72_234:                             ;   in Loop: Header=BB72_3 Depth=1
	s_or_b32 exec_lo, exec_lo, s54
	s_delay_alu instid0(VALU_DEP_1)
	v_pk_add_f32 v[32:33], v[32:33], 0 neg_lo:[1,1] neg_hi:[1,1]
.LBB72_235:                             ;   in Loop: Header=BB72_3 Depth=1
	s_or_b32 exec_lo, exec_lo, s53
	s_and_saveexec_b32 s53, s96
	s_cbranch_execz .LBB72_237
; %bb.236:                              ;   in Loop: Header=BB72_3 Depth=1
	ds_load_b64 v[34:35], v5 offset:7280
	s_wait_dscnt 0x0
	v_pk_mul_f32 v[36:37], v[32:33], v[34:35] op_sel:[1,1] op_sel_hi:[1,0]
	s_delay_alu instid0(VALU_DEP_1) | instskip(SKIP_1) | instid1(VALU_DEP_2)
	v_pk_fma_f32 v[38:39], v[32:33], v[34:35], v[36:37] op_sel_hi:[0,1,1]
	v_pk_fma_f32 v[34:35], v[32:33], v[34:35], v[36:37] neg_lo:[0,0,1] neg_hi:[0,0,1]
	v_mov_b32_e32 v35, v39
	s_delay_alu instid0(VALU_DEP_1)
	v_mov_b64_e32 v[32:33], v[34:35]
	ds_store_b64 v3, v[34:35]
.LBB72_237:                             ;   in Loop: Header=BB72_3 Depth=1
	s_or_b32 exec_lo, exec_lo, s53
	s_wait_dscnt 0x0
	s_barrier_signal -1
	s_barrier_wait -1
	s_and_saveexec_b32 s53, s97
	s_cbranch_execz .LBB72_239
; %bb.238:                              ;   in Loop: Header=BB72_3 Depth=1
	ds_load_b64 v[34:35], v5 offset:7288
	ds_load_b64 v[36:37], v3
	s_wait_dscnt 0x0
	v_pk_mul_f32 v[38:39], v[36:37], v[34:35] op_sel:[1,1] op_sel_hi:[0,1]
	s_delay_alu instid0(VALU_DEP_1) | instskip(SKIP_1) | instid1(VALU_DEP_2)
	v_pk_fma_f32 v[96:97], v[36:37], v[34:35], v[38:39] op_sel_hi:[1,0,1]
	v_pk_fma_f32 v[34:35], v[36:37], v[34:35], v[38:39] neg_lo:[0,0,1] neg_hi:[0,0,1]
	v_mov_b32_e32 v35, v97
	s_delay_alu instid0(VALU_DEP_1)
	v_pk_add_f32 v[32:33], v[32:33], v[34:35]
.LBB72_239:                             ;   in Loop: Header=BB72_3 Depth=1
	s_or_b32 exec_lo, exec_lo, s53
	s_barrier_signal -1
	s_barrier_wait -1
	s_and_saveexec_b32 s53, s97
	s_cbranch_execz .LBB72_241
; %bb.240:                              ;   in Loop: Header=BB72_3 Depth=1
	ds_load_b64 v[34:35], v5 offset:7800
	s_wait_dscnt 0x0
	v_pk_mul_f32 v[36:37], v[32:33], v[34:35] op_sel:[1,1] op_sel_hi:[1,0]
	s_delay_alu instid0(VALU_DEP_1) | instskip(SKIP_1) | instid1(VALU_DEP_2)
	v_pk_fma_f32 v[38:39], v[32:33], v[34:35], v[36:37] op_sel_hi:[0,1,1]
	v_pk_fma_f32 v[34:35], v[32:33], v[34:35], v[36:37] neg_lo:[0,0,1] neg_hi:[0,0,1]
	v_mov_b32_e32 v35, v39
	s_delay_alu instid0(VALU_DEP_1)
	v_mov_b64_e32 v[32:33], v[34:35]
	ds_store_b64 v3, v[34:35]
.LBB72_241:                             ;   in Loop: Header=BB72_3 Depth=1
	s_or_b32 exec_lo, exec_lo, s53
	s_wait_dscnt 0x0
	s_barrier_signal -1
	s_barrier_wait -1
	s_barrier_signal -1
	s_barrier_wait -1
	s_and_saveexec_b32 s53, s0
; %bb.242:                              ;   in Loop: Header=BB72_3 Depth=1
	v_pk_add_f32 v[32:33], v[32:33], 0 neg_lo:[1,1] neg_hi:[1,1]
	ds_store_b64 v42, v[32:33] offset:6256
; %bb.243:                              ;   in Loop: Header=BB72_3 Depth=1
	s_or_b32 exec_lo, exec_lo, s53
	s_wait_dscnt 0x0
	s_barrier_signal -1
	s_barrier_wait -1
	s_barrier_signal -1
	s_barrier_wait -1
	s_and_saveexec_b32 s53, s98
	s_cbranch_execz .LBB72_245
; %bb.244:                              ;   in Loop: Header=BB72_3 Depth=1
	ds_load_b64 v[32:33], v80 offset:6256
	s_wait_dscnt 0x0
	ds_store_b64 v79, v[32:33] offset:7264
	ds_load_b64 v[32:33], v80 offset:6264
	s_wait_dscnt 0x0
	ds_store_b64 v79, v[32:33] offset:7776
.LBB72_245:                             ;   in Loop: Header=BB72_3 Depth=1
	s_or_b32 exec_lo, exec_lo, s53
	s_wait_dscnt 0x0
	s_barrier_signal -1
	s_barrier_wait -1
	s_and_saveexec_b32 s53, s14
	s_cbranch_execz .LBB72_247
; %bb.246:                              ;   in Loop: Header=BB72_3 Depth=1
	ds_load_b128 v[32:35], v5 offset:7280
	ds_load_b64 v[36:37], v5 offset:7800
	s_wait_dscnt 0x1
	v_dual_mov_b32 v96, v35 :: v_dual_mov_b32 v97, v34
	s_wait_dscnt 0x0
	v_dual_mul_f32 v39, v37, v33 :: v_dual_mul_f32 v38, v36, v33
	s_delay_alu instid0(VALU_DEP_1) | instskip(NEXT) | instid1(VALU_DEP_1)
	v_xor_b32_e32 v40, 0x80000000, v39
	v_dual_fmac_f32 v38, v37, v32 :: v_dual_fmac_f32 v40, v36, v32
	s_delay_alu instid0(VALU_DEP_1) | instskip(NEXT) | instid1(VALU_DEP_1)
	v_pk_mul_f32 v[32:33], v[38:39], v[96:97] op_sel_hi:[0,1]
	v_pk_fma_f32 v[36:37], v[40:41], v[34:35], v[32:33] op_sel_hi:[0,1,1]
	v_pk_fma_f32 v[32:33], v[40:41], v[34:35], v[32:33] neg_lo:[0,0,1] neg_hi:[0,0,1]
	v_add_nc_u32_e64 v34, 0x1800, 0
	s_delay_alu instid0(VALU_DEP_3)
	v_mov_b32_e32 v33, v37
	ds_store_2addr_b64 v34, v[32:33], v[32:33] offset0:143 offset1:206
.LBB72_247:                             ;   in Loop: Header=BB72_3 Depth=1
	s_or_b32 exec_lo, exec_lo, s53
	v_mov_b32_e32 v32, 0
	s_wait_dscnt 0x0
	s_barrier_signal -1
	s_barrier_wait -1
	s_delay_alu instid0(VALU_DEP_1)
	v_mov_b32_e32 v33, v32
	s_and_saveexec_b32 s86, s4
	s_cbranch_execz .LBB72_275
; %bb.248:                              ;   in Loop: Header=BB72_3 Depth=1
	ds_load_b64 v[32:33], v68 offset:128
	ds_load_b64 v[34:35], v64
	s_wait_dscnt 0x0
	v_dual_mul_f32 v36, v35, v33 :: v_dual_mul_f32 v37, v34, v33
	s_delay_alu instid0(VALU_DEP_1) | instskip(NEXT) | instid1(VALU_DEP_1)
	v_dual_fma_f32 v33, v34, v32, -v36 :: v_dual_fmac_f32 v37, v35, v32
	v_add_f32_e32 v33, 0, v33
	s_delay_alu instid0(VALU_DEP_2) | instskip(SKIP_3) | instid1(SALU_CYCLE_1)
	v_add_f32_e32 v32, 0, v37
	s_mov_b32 s53, exec_lo
	v_readlane_b32 s54, v105, 0
	s_and_b32 s54, s53, s54
	s_mov_b32 exec_lo, s54
	s_cbranch_execz .LBB72_250
; %bb.249:                              ;   in Loop: Header=BB72_3 Depth=1
	ds_load_b64 v[34:35], v69 offset:640
	ds_load_b64 v[36:37], v64 offset:8
	s_wait_dscnt 0x0
	v_dual_mul_f32 v38, v37, v35 :: v_dual_mul_f32 v35, v36, v35
	s_delay_alu instid0(VALU_DEP_1) | instskip(NEXT) | instid1(VALU_DEP_1)
	v_dual_fma_f32 v36, v36, v34, -v38 :: v_dual_fmac_f32 v35, v37, v34
	v_dual_add_f32 v33, v33, v36 :: v_dual_add_f32 v32, v32, v35
.LBB72_250:                             ;   in Loop: Header=BB72_3 Depth=1
	s_or_b32 exec_lo, exec_lo, s53
	s_delay_alu instid0(SALU_CYCLE_1) | instskip(SKIP_2) | instid1(SALU_CYCLE_1)
	s_mov_b32 s53, exec_lo
	v_readlane_b32 s54, v105, 1
	s_and_b32 s54, s53, s54
	s_mov_b32 exec_lo, s54
	s_cbranch_execz .LBB72_252
; %bb.251:                              ;   in Loop: Header=BB72_3 Depth=1
	ds_load_b64 v[34:35], v69 offset:1152
	ds_load_b64 v[36:37], v64 offset:16
	s_wait_dscnt 0x0
	v_dual_mul_f32 v38, v37, v35 :: v_dual_mul_f32 v35, v36, v35
	s_delay_alu instid0(VALU_DEP_1) | instskip(NEXT) | instid1(VALU_DEP_1)
	v_dual_fma_f32 v36, v36, v34, -v38 :: v_dual_fmac_f32 v35, v37, v34
	v_dual_add_f32 v33, v33, v36 :: v_dual_add_f32 v32, v32, v35
.LBB72_252:                             ;   in Loop: Header=BB72_3 Depth=1
	s_or_b32 exec_lo, exec_lo, s53
	s_delay_alu instid0(SALU_CYCLE_1) | instskip(SKIP_2) | instid1(SALU_CYCLE_1)
	;; [unrolled: 16-line block ×10, first 2 shown]
	s_mov_b32 s53, exec_lo
	v_readlane_b32 s54, v105, 10
	s_and_b32 s54, s53, s54
	s_mov_b32 exec_lo, s54
	s_cbranch_execnz .LBB72_1134
; %bb.269:                              ;   in Loop: Header=BB72_3 Depth=1
	s_or_b32 exec_lo, exec_lo, s53
	s_and_saveexec_b32 s53, s3
	s_cbranch_execnz .LBB72_1135
.LBB72_270:                             ;   in Loop: Header=BB72_3 Depth=1
	s_or_b32 exec_lo, exec_lo, s53
	s_and_saveexec_b32 s53, s19
	s_cbranch_execnz .LBB72_1136
.LBB72_271:                             ;   in Loop: Header=BB72_3 Depth=1
	s_or_b32 exec_lo, exec_lo, s53
	s_and_saveexec_b32 s53, s21
	s_cbranch_execnz .LBB72_1137
.LBB72_272:                             ;   in Loop: Header=BB72_3 Depth=1
	s_or_b32 exec_lo, exec_lo, s53
	s_and_saveexec_b32 s53, s2
	s_cbranch_execz .LBB72_274
.LBB72_273:                             ;   in Loop: Header=BB72_3 Depth=1
	ds_load_b64 v[34:35], v44 offset:7808
	ds_load_b64 v[36:37], v5 offset:120
	s_wait_dscnt 0x0
	v_pk_mul_f32 v[38:39], v[36:37], v[34:35] op_sel:[0,1]
	s_delay_alu instid0(VALU_DEP_1) | instskip(SKIP_1) | instid1(VALU_DEP_2)
	v_pk_fma_f32 v[96:97], v[36:37], v[34:35], v[38:39] op_sel:[1,0,0] op_sel_hi:[0,0,1] neg_lo:[0,0,1] neg_hi:[0,0,1]
	v_pk_fma_f32 v[34:35], v[36:37], v[34:35], v[38:39] op_sel:[1,0,0] op_sel_hi:[0,1,1]
	v_mov_b32_e32 v35, v97
	s_delay_alu instid0(VALU_DEP_1)
	v_pk_add_f32 v[32:33], v[32:33], v[34:35]
.LBB72_274:                             ;   in Loop: Header=BB72_3 Depth=1
	s_or_b32 exec_lo, exec_lo, s53
	s_delay_alu instid0(VALU_DEP_1) | instskip(NEXT) | instid1(VALU_DEP_1)
	v_pk_add_f32 v[34:35], v[32:33], 0 neg_lo:[1,1] neg_hi:[1,1]
	v_dual_mov_b32 v32, v35 :: v_dual_mov_b32 v33, v34
.LBB72_275:                             ;   in Loop: Header=BB72_3 Depth=1
	s_or_b32 exec_lo, exec_lo, s86
	s_delay_alu instid0(SALU_CYCLE_1) | instskip(SKIP_2) | instid1(SALU_CYCLE_1)
	s_mov_b32 s53, exec_lo
	v_readlane_b32 s54, v106, 5
	s_and_b32 s54, s53, s54
	s_mov_b32 exec_lo, s54
	s_cbranch_execz .LBB72_277
; %bb.276:                              ;   in Loop: Header=BB72_3 Depth=1
	ds_load_b64 v[34:35], v5 offset:8320
	v_dual_mov_b32 v36, v33 :: v_dual_mov_b32 v37, v32
	s_wait_dscnt 0x0
	s_delay_alu instid0(VALU_DEP_1) | instskip(NEXT) | instid1(VALU_DEP_1)
	v_dual_mul_f32 v38, v36, v34 :: v_dual_mul_f32 v40, v33, v35
	v_pk_fma_f32 v[36:37], v[36:37], v[34:35], v[38:39] op_sel_hi:[1,1,0]
	s_delay_alu instid0(VALU_DEP_2) | instskip(NEXT) | instid1(VALU_DEP_2)
	v_pk_fma_f32 v[32:33], v[32:33], v[34:35], v[40:41] op_sel_hi:[1,1,0] neg_lo:[0,0,1] neg_hi:[0,0,1]
	v_mov_b32_e32 v33, v37
	ds_store_b64 v67, v[32:33]
.LBB72_277:                             ;   in Loop: Header=BB72_3 Depth=1
	s_or_b32 exec_lo, exec_lo, s53
	s_wait_dscnt 0x0
	s_barrier_signal -1
	s_barrier_wait -1
	s_mov_b32 s53, exec_lo
	v_readlane_b32 s54, v106, 6
	s_and_b32 s54, s53, s54
	s_delay_alu instid0(SALU_CYCLE_1)
	s_mov_b32 exec_lo, s54
	s_cbranch_execz .LBB72_279
; %bb.278:                              ;   in Loop: Header=BB72_3 Depth=1
	ds_load_b64 v[34:35], v66 offset:8320
	ds_load_b64 v[36:37], v67
	s_wait_dscnt 0x0
	v_dual_mul_f32 v38, v37, v35 :: v_dual_mul_f32 v39, v36, v35
	s_delay_alu instid0(VALU_DEP_1) | instskip(NEXT) | instid1(VALU_DEP_1)
	v_dual_fma_f32 v38, v36, v34, -v38 :: v_dual_fmac_f32 v39, v37, v34
	v_pk_add_f32 v[32:33], v[32:33], v[38:39]
.LBB72_279:                             ;   in Loop: Header=BB72_3 Depth=1
	s_or_b32 exec_lo, exec_lo, s53
	s_barrier_signal -1
	s_barrier_wait -1
	s_mov_b32 s53, exec_lo
	v_readlane_b32 s54, v106, 7
	s_and_b32 s54, s53, s54
	s_delay_alu instid0(SALU_CYCLE_1)
	s_mov_b32 exec_lo, s54
	s_cbranch_execz .LBB72_281
; %bb.280:                              ;   in Loop: Header=BB72_3 Depth=1
	ds_load_b64 v[34:35], v5 offset:8840
	s_wait_dscnt 0x0
	v_pk_mul_f32 v[36:37], v[32:33], v[34:35] op_sel:[1,1] op_sel_hi:[1,0]
	s_delay_alu instid0(VALU_DEP_1) | instskip(SKIP_1) | instid1(VALU_DEP_2)
	v_pk_fma_f32 v[38:39], v[32:33], v[34:35], v[36:37] op_sel_hi:[0,1,1]
	v_pk_fma_f32 v[32:33], v[32:33], v[34:35], v[36:37] op_sel_hi:[0,1,1] neg_lo:[0,0,1] neg_hi:[0,0,1]
	v_mov_b32_e32 v33, v39
	ds_store_b64 v67, v[32:33]
.LBB72_281:                             ;   in Loop: Header=BB72_3 Depth=1
	s_or_b32 exec_lo, exec_lo, s53
	s_wait_dscnt 0x0
	s_barrier_signal -1
	s_barrier_wait -1
	s_mov_b32 s53, exec_lo
	v_readlane_b32 s54, v106, 8
	s_and_b32 s54, s53, s54
	s_delay_alu instid0(SALU_CYCLE_1)
	s_mov_b32 exec_lo, s54
	s_cbranch_execz .LBB72_283
; %bb.282:                              ;   in Loop: Header=BB72_3 Depth=1
	ds_load_b64 v[34:35], v66 offset:8832
	ds_load_b64 v[36:37], v67
	s_wait_dscnt 0x0
	v_pk_mul_f32 v[38:39], v[36:37], v[34:35] op_sel:[1,1] op_sel_hi:[0,1]
	s_delay_alu instid0(VALU_DEP_1) | instskip(SKIP_1) | instid1(VALU_DEP_2)
	v_pk_fma_f32 v[96:97], v[36:37], v[34:35], v[38:39] op_sel_hi:[1,0,1]
	v_pk_fma_f32 v[34:35], v[36:37], v[34:35], v[38:39] op_sel_hi:[1,0,1] neg_lo:[0,0,1] neg_hi:[0,0,1]
	v_mov_b32_e32 v35, v97
	s_delay_alu instid0(VALU_DEP_1)
	v_pk_add_f32 v[32:33], v[32:33], v[34:35]
.LBB72_283:                             ;   in Loop: Header=BB72_3 Depth=1
	s_or_b32 exec_lo, exec_lo, s53
	s_barrier_signal -1
	s_barrier_wait -1
	s_mov_b32 s53, exec_lo
	v_readlane_b32 s54, v106, 9
	s_and_b32 s54, s53, s54
	s_delay_alu instid0(SALU_CYCLE_1)
	s_mov_b32 exec_lo, s54
	s_cbranch_execz .LBB72_285
; %bb.284:                              ;   in Loop: Header=BB72_3 Depth=1
	ds_load_b64 v[34:35], v5 offset:9360
	s_wait_dscnt 0x0
	v_pk_mul_f32 v[36:37], v[32:33], v[34:35] op_sel:[1,1] op_sel_hi:[1,0]
	s_delay_alu instid0(VALU_DEP_1) | instskip(SKIP_1) | instid1(VALU_DEP_2)
	v_pk_fma_f32 v[38:39], v[32:33], v[34:35], v[36:37] op_sel_hi:[0,1,1]
	v_pk_fma_f32 v[32:33], v[32:33], v[34:35], v[36:37] op_sel_hi:[0,1,1] neg_lo:[0,0,1] neg_hi:[0,0,1]
	v_mov_b32_e32 v33, v39
	ds_store_b64 v67, v[32:33]
.LBB72_285:                             ;   in Loop: Header=BB72_3 Depth=1
	s_or_b32 exec_lo, exec_lo, s53
	s_wait_dscnt 0x0
	s_barrier_signal -1
	s_barrier_wait -1
	s_and_saveexec_b32 s53, s58
	s_cbranch_execz .LBB72_287
; %bb.286:                              ;   in Loop: Header=BB72_3 Depth=1
	ds_load_b64 v[34:35], v66 offset:9344
	ds_load_b64 v[36:37], v67
	s_wait_dscnt 0x0
	v_pk_mul_f32 v[38:39], v[36:37], v[34:35] op_sel:[1,1] op_sel_hi:[0,1]
	s_delay_alu instid0(VALU_DEP_1) | instskip(SKIP_1) | instid1(VALU_DEP_2)
	v_pk_fma_f32 v[96:97], v[36:37], v[34:35], v[38:39] op_sel_hi:[1,0,1]
	v_pk_fma_f32 v[34:35], v[36:37], v[34:35], v[38:39] op_sel_hi:[1,0,1] neg_lo:[0,0,1] neg_hi:[0,0,1]
	v_mov_b32_e32 v35, v97
	s_delay_alu instid0(VALU_DEP_1)
	v_pk_add_f32 v[32:33], v[32:33], v[34:35]
.LBB72_287:                             ;   in Loop: Header=BB72_3 Depth=1
	s_or_b32 exec_lo, exec_lo, s53
	s_barrier_signal -1
	s_barrier_wait -1
	s_and_saveexec_b32 s53, s59
	s_cbranch_execz .LBB72_289
; %bb.288:                              ;   in Loop: Header=BB72_3 Depth=1
	ds_load_b64 v[34:35], v5 offset:9880
	s_wait_dscnt 0x0
	v_pk_mul_f32 v[36:37], v[32:33], v[34:35] op_sel:[1,1] op_sel_hi:[1,0]
	s_delay_alu instid0(VALU_DEP_1) | instskip(SKIP_1) | instid1(VALU_DEP_2)
	v_pk_fma_f32 v[38:39], v[32:33], v[34:35], v[36:37] op_sel_hi:[0,1,1]
	v_pk_fma_f32 v[32:33], v[32:33], v[34:35], v[36:37] op_sel_hi:[0,1,1] neg_lo:[0,0,1] neg_hi:[0,0,1]
	v_mov_b32_e32 v33, v39
	ds_store_b64 v67, v[32:33]
.LBB72_289:                             ;   in Loop: Header=BB72_3 Depth=1
	s_or_b32 exec_lo, exec_lo, s53
	s_wait_dscnt 0x0
	s_barrier_signal -1
	s_barrier_wait -1
	s_and_saveexec_b32 s53, s60
	s_cbranch_execz .LBB72_291
; %bb.290:                              ;   in Loop: Header=BB72_3 Depth=1
	ds_load_b64 v[34:35], v66 offset:9856
	ds_load_b64 v[36:37], v67
	s_wait_dscnt 0x0
	v_pk_mul_f32 v[38:39], v[36:37], v[34:35] op_sel:[1,1] op_sel_hi:[0,1]
	s_delay_alu instid0(VALU_DEP_1) | instskip(SKIP_1) | instid1(VALU_DEP_2)
	v_pk_fma_f32 v[96:97], v[36:37], v[34:35], v[38:39] op_sel_hi:[1,0,1]
	v_pk_fma_f32 v[34:35], v[36:37], v[34:35], v[38:39] op_sel_hi:[1,0,1] neg_lo:[0,0,1] neg_hi:[0,0,1]
	v_mov_b32_e32 v35, v97
	s_delay_alu instid0(VALU_DEP_1)
	v_pk_add_f32 v[32:33], v[32:33], v[34:35]
.LBB72_291:                             ;   in Loop: Header=BB72_3 Depth=1
	s_or_b32 exec_lo, exec_lo, s53
	s_barrier_signal -1
	s_barrier_wait -1
	s_and_saveexec_b32 s53, s61
	s_cbranch_execz .LBB72_293
; %bb.292:                              ;   in Loop: Header=BB72_3 Depth=1
	ds_load_b64 v[34:35], v5 offset:10400
	s_wait_dscnt 0x0
	v_dual_mul_f32 v36, v32, v35 :: v_dual_mul_f32 v38, v33, v35
	s_delay_alu instid0(VALU_DEP_1) | instskip(NEXT) | instid1(VALU_DEP_2)
	v_pk_fma_f32 v[36:37], v[32:33], v[34:35], v[36:37] op_sel:[0,1,0] op_sel_hi:[1,0,0]
	v_pk_fma_f32 v[34:35], v[32:33], v[34:35], v[38:39] op_sel_hi:[1,1,0] neg_lo:[0,0,1] neg_hi:[0,0,1]
	s_delay_alu instid0(VALU_DEP_2) | instskip(NEXT) | instid1(VALU_DEP_1)
	v_mov_b32_e32 v35, v37
	v_mov_b64_e32 v[32:33], v[34:35]
	ds_store_b64 v67, v[34:35]
.LBB72_293:                             ;   in Loop: Header=BB72_3 Depth=1
	s_or_b32 exec_lo, exec_lo, s53
	s_wait_dscnt 0x0
	s_barrier_signal -1
	s_barrier_wait -1
	s_and_saveexec_b32 s53, s62
	s_cbranch_execz .LBB72_295
; %bb.294:                              ;   in Loop: Header=BB72_3 Depth=1
	ds_load_b64 v[34:35], v66 offset:10368
	ds_load_b64 v[36:37], v67
	s_wait_dscnt 0x0
	v_dual_mul_f32 v38, v37, v35 :: v_dual_mul_f32 v39, v36, v35
	s_delay_alu instid0(VALU_DEP_1) | instskip(NEXT) | instid1(VALU_DEP_1)
	v_dual_fma_f32 v38, v36, v34, -v38 :: v_dual_fmac_f32 v39, v37, v34
	v_pk_add_f32 v[32:33], v[32:33], v[38:39]
.LBB72_295:                             ;   in Loop: Header=BB72_3 Depth=1
	s_or_b32 exec_lo, exec_lo, s53
	s_barrier_signal -1
	s_barrier_wait -1
	s_and_saveexec_b32 s53, s63
	s_cbranch_execz .LBB72_297
; %bb.296:                              ;   in Loop: Header=BB72_3 Depth=1
	ds_load_b64 v[34:35], v5 offset:10920
	s_wait_dscnt 0x0
	v_pk_mul_f32 v[36:37], v[32:33], v[34:35] op_sel:[1,1] op_sel_hi:[1,0]
	s_delay_alu instid0(VALU_DEP_1) | instskip(SKIP_1) | instid1(VALU_DEP_2)
	v_pk_fma_f32 v[38:39], v[32:33], v[34:35], v[36:37] op_sel_hi:[0,1,1]
	v_pk_fma_f32 v[32:33], v[32:33], v[34:35], v[36:37] op_sel_hi:[0,1,1] neg_lo:[0,0,1] neg_hi:[0,0,1]
	v_mov_b32_e32 v33, v39
	ds_store_b64 v67, v[32:33]
.LBB72_297:                             ;   in Loop: Header=BB72_3 Depth=1
	s_or_b32 exec_lo, exec_lo, s53
	s_wait_dscnt 0x0
	s_barrier_signal -1
	s_barrier_wait -1
	s_and_saveexec_b32 s53, s12
	s_cbranch_execz .LBB72_299
; %bb.298:                              ;   in Loop: Header=BB72_3 Depth=1
	ds_load_b64 v[34:35], v66 offset:10880
	ds_load_b64 v[36:37], v67
	s_wait_dscnt 0x0
	v_pk_mul_f32 v[38:39], v[36:37], v[34:35] op_sel:[1,1] op_sel_hi:[0,1]
	s_delay_alu instid0(VALU_DEP_1) | instskip(SKIP_1) | instid1(VALU_DEP_2)
	v_pk_fma_f32 v[96:97], v[36:37], v[34:35], v[38:39] op_sel_hi:[1,0,1]
	v_pk_fma_f32 v[34:35], v[36:37], v[34:35], v[38:39] op_sel_hi:[1,0,1] neg_lo:[0,0,1] neg_hi:[0,0,1]
	v_mov_b32_e32 v35, v97
	s_delay_alu instid0(VALU_DEP_1)
	v_pk_add_f32 v[32:33], v[32:33], v[34:35]
.LBB72_299:                             ;   in Loop: Header=BB72_3 Depth=1
	s_or_b32 exec_lo, exec_lo, s53
	s_barrier_signal -1
	s_barrier_wait -1
	s_and_saveexec_b32 s53, s13
	s_cbranch_execz .LBB72_301
; %bb.300:                              ;   in Loop: Header=BB72_3 Depth=1
	ds_load_b64 v[34:35], v5 offset:11440
	s_wait_dscnt 0x0
	v_pk_mul_f32 v[36:37], v[32:33], v[34:35] op_sel:[1,1] op_sel_hi:[1,0]
	s_delay_alu instid0(VALU_DEP_1) | instskip(SKIP_1) | instid1(VALU_DEP_2)
	v_pk_fma_f32 v[38:39], v[32:33], v[34:35], v[36:37] op_sel_hi:[0,1,1]
	v_pk_fma_f32 v[32:33], v[32:33], v[34:35], v[36:37] op_sel_hi:[0,1,1] neg_lo:[0,0,1] neg_hi:[0,0,1]
	v_mov_b32_e32 v33, v39
	ds_store_b64 v67, v[32:33]
.LBB72_301:                             ;   in Loop: Header=BB72_3 Depth=1
	s_or_b32 exec_lo, exec_lo, s53
	s_wait_dscnt 0x0
	s_barrier_signal -1
	s_barrier_wait -1
	s_and_saveexec_b32 s53, s23
	s_cbranch_execz .LBB72_303
; %bb.302:                              ;   in Loop: Header=BB72_3 Depth=1
	ds_load_b64 v[34:35], v66 offset:11392
	ds_load_b64 v[36:37], v67
	s_wait_dscnt 0x0
	v_pk_mul_f32 v[38:39], v[36:37], v[34:35] op_sel:[1,1] op_sel_hi:[0,1]
	s_delay_alu instid0(VALU_DEP_1) | instskip(SKIP_1) | instid1(VALU_DEP_2)
	v_pk_fma_f32 v[96:97], v[36:37], v[34:35], v[38:39] op_sel_hi:[1,0,1]
	v_pk_fma_f32 v[34:35], v[36:37], v[34:35], v[38:39] op_sel_hi:[1,0,1] neg_lo:[0,0,1] neg_hi:[0,0,1]
	v_mov_b32_e32 v35, v97
	s_delay_alu instid0(VALU_DEP_1)
	v_pk_add_f32 v[32:33], v[32:33], v[34:35]
.LBB72_303:                             ;   in Loop: Header=BB72_3 Depth=1
	s_or_b32 exec_lo, exec_lo, s53
	s_barrier_signal -1
	s_barrier_wait -1
	s_and_saveexec_b32 s53, s25
	s_cbranch_execz .LBB72_305
; %bb.304:                              ;   in Loop: Header=BB72_3 Depth=1
	ds_load_b64 v[34:35], v5 offset:11960
	s_wait_dscnt 0x0
	v_pk_mul_f32 v[36:37], v[32:33], v[34:35] op_sel:[1,1] op_sel_hi:[1,0]
	s_delay_alu instid0(VALU_DEP_1) | instskip(SKIP_1) | instid1(VALU_DEP_2)
	v_pk_fma_f32 v[38:39], v[32:33], v[34:35], v[36:37] op_sel_hi:[0,1,1]
	v_pk_fma_f32 v[32:33], v[32:33], v[34:35], v[36:37] op_sel_hi:[0,1,1] neg_lo:[0,0,1] neg_hi:[0,0,1]
	v_mov_b32_e32 v33, v39
	ds_store_b64 v67, v[32:33]
.LBB72_305:                             ;   in Loop: Header=BB72_3 Depth=1
	s_or_b32 exec_lo, exec_lo, s53
	s_wait_dscnt 0x0
	s_barrier_signal -1
	s_barrier_wait -1
	s_and_saveexec_b32 s53, s27
	s_cbranch_execz .LBB72_307
; %bb.306:                              ;   in Loop: Header=BB72_3 Depth=1
	ds_load_b64 v[34:35], v66 offset:11904
	ds_load_b64 v[36:37], v67
	s_wait_dscnt 0x0
	v_pk_mul_f32 v[38:39], v[36:37], v[34:35] op_sel:[1,1] op_sel_hi:[0,1]
	s_delay_alu instid0(VALU_DEP_1) | instskip(SKIP_1) | instid1(VALU_DEP_2)
	v_pk_fma_f32 v[96:97], v[36:37], v[34:35], v[38:39] op_sel_hi:[1,0,1]
	v_pk_fma_f32 v[34:35], v[36:37], v[34:35], v[38:39] op_sel_hi:[1,0,1] neg_lo:[0,0,1] neg_hi:[0,0,1]
	v_mov_b32_e32 v35, v97
	s_delay_alu instid0(VALU_DEP_1)
	v_pk_add_f32 v[32:33], v[32:33], v[34:35]
.LBB72_307:                             ;   in Loop: Header=BB72_3 Depth=1
	s_or_b32 exec_lo, exec_lo, s53
	s_barrier_signal -1
	s_barrier_wait -1
	s_and_saveexec_b32 s53, s29
	s_cbranch_execz .LBB72_309
; %bb.308:                              ;   in Loop: Header=BB72_3 Depth=1
	ds_load_b64 v[34:35], v5 offset:12480
	s_wait_dscnt 0x0
	v_dual_mul_f32 v36, v32, v35 :: v_dual_mul_f32 v38, v33, v35
	s_delay_alu instid0(VALU_DEP_1) | instskip(NEXT) | instid1(VALU_DEP_2)
	v_pk_fma_f32 v[36:37], v[32:33], v[34:35], v[36:37] op_sel:[0,1,0] op_sel_hi:[1,0,0]
	v_pk_fma_f32 v[34:35], v[32:33], v[34:35], v[38:39] op_sel_hi:[1,1,0] neg_lo:[0,0,1] neg_hi:[0,0,1]
	s_delay_alu instid0(VALU_DEP_2) | instskip(NEXT) | instid1(VALU_DEP_1)
	v_mov_b32_e32 v35, v37
	v_mov_b64_e32 v[32:33], v[34:35]
	ds_store_b64 v67, v[34:35]
.LBB72_309:                             ;   in Loop: Header=BB72_3 Depth=1
	s_or_b32 exec_lo, exec_lo, s53
	s_wait_dscnt 0x0
	s_barrier_signal -1
	s_barrier_wait -1
	s_and_saveexec_b32 s53, s31
	s_cbranch_execz .LBB72_311
; %bb.310:                              ;   in Loop: Header=BB72_3 Depth=1
	ds_load_b64 v[34:35], v66 offset:12416
	ds_load_b64 v[36:37], v67
	s_wait_dscnt 0x0
	v_dual_mul_f32 v38, v37, v35 :: v_dual_mul_f32 v39, v36, v35
	s_delay_alu instid0(VALU_DEP_1) | instskip(NEXT) | instid1(VALU_DEP_1)
	v_dual_fma_f32 v38, v36, v34, -v38 :: v_dual_fmac_f32 v39, v37, v34
	v_pk_add_f32 v[32:33], v[32:33], v[38:39]
.LBB72_311:                             ;   in Loop: Header=BB72_3 Depth=1
	s_or_b32 exec_lo, exec_lo, s53
	s_barrier_signal -1
	s_barrier_wait -1
	s_and_saveexec_b32 s53, s34
	s_cbranch_execz .LBB72_313
; %bb.312:                              ;   in Loop: Header=BB72_3 Depth=1
	ds_load_b64 v[34:35], v5 offset:13000
	s_wait_dscnt 0x0
	v_pk_mul_f32 v[36:37], v[32:33], v[34:35] op_sel:[1,1] op_sel_hi:[1,0]
	s_delay_alu instid0(VALU_DEP_1) | instskip(SKIP_1) | instid1(VALU_DEP_2)
	v_pk_fma_f32 v[38:39], v[32:33], v[34:35], v[36:37] op_sel_hi:[0,1,1]
	v_pk_fma_f32 v[32:33], v[32:33], v[34:35], v[36:37] op_sel_hi:[0,1,1] neg_lo:[0,0,1] neg_hi:[0,0,1]
	v_mov_b32_e32 v33, v39
	ds_store_b64 v67, v[32:33]
.LBB72_313:                             ;   in Loop: Header=BB72_3 Depth=1
	s_or_b32 exec_lo, exec_lo, s53
	s_wait_dscnt 0x0
	s_barrier_signal -1
	s_barrier_wait -1
	s_and_saveexec_b32 s53, s84
	s_cbranch_execz .LBB72_315
; %bb.314:                              ;   in Loop: Header=BB72_3 Depth=1
	ds_load_b64 v[34:35], v66 offset:12928
	ds_load_b64 v[36:37], v67
	s_wait_dscnt 0x0
	v_pk_mul_f32 v[38:39], v[36:37], v[34:35] op_sel:[1,1] op_sel_hi:[0,1]
	s_delay_alu instid0(VALU_DEP_1) | instskip(SKIP_1) | instid1(VALU_DEP_2)
	v_pk_fma_f32 v[96:97], v[36:37], v[34:35], v[38:39] op_sel_hi:[1,0,1]
	v_pk_fma_f32 v[34:35], v[36:37], v[34:35], v[38:39] op_sel_hi:[1,0,1] neg_lo:[0,0,1] neg_hi:[0,0,1]
	v_mov_b32_e32 v35, v97
	s_delay_alu instid0(VALU_DEP_1)
	v_pk_add_f32 v[32:33], v[32:33], v[34:35]
.LBB72_315:                             ;   in Loop: Header=BB72_3 Depth=1
	s_or_b32 exec_lo, exec_lo, s53
	s_barrier_signal -1
	s_barrier_wait -1
	s_and_saveexec_b32 s53, s85
	s_cbranch_execz .LBB72_317
; %bb.316:                              ;   in Loop: Header=BB72_3 Depth=1
	ds_load_b64 v[34:35], v5 offset:13520
	s_wait_dscnt 0x0
	v_pk_mul_f32 v[36:37], v[32:33], v[34:35] op_sel:[1,1] op_sel_hi:[1,0]
	s_delay_alu instid0(VALU_DEP_1) | instskip(SKIP_1) | instid1(VALU_DEP_2)
	v_pk_fma_f32 v[38:39], v[32:33], v[34:35], v[36:37] op_sel_hi:[0,1,1]
	v_pk_fma_f32 v[32:33], v[32:33], v[34:35], v[36:37] op_sel_hi:[0,1,1] neg_lo:[0,0,1] neg_hi:[0,0,1]
	v_mov_b32_e32 v33, v39
	ds_store_b64 v67, v[32:33]
.LBB72_317:                             ;   in Loop: Header=BB72_3 Depth=1
	s_or_b32 exec_lo, exec_lo, s53
	s_wait_dscnt 0x0
	s_barrier_signal -1
	s_barrier_wait -1
	s_and_saveexec_b32 s53, s82
	s_cbranch_execz .LBB72_319
; %bb.318:                              ;   in Loop: Header=BB72_3 Depth=1
	ds_load_b64 v[34:35], v66 offset:13440
	ds_load_b64 v[36:37], v67
	s_wait_dscnt 0x0
	v_pk_mul_f32 v[38:39], v[36:37], v[34:35] op_sel:[1,1] op_sel_hi:[0,1]
	s_delay_alu instid0(VALU_DEP_1) | instskip(SKIP_1) | instid1(VALU_DEP_2)
	v_pk_fma_f32 v[96:97], v[36:37], v[34:35], v[38:39] op_sel_hi:[1,0,1]
	v_pk_fma_f32 v[34:35], v[36:37], v[34:35], v[38:39] op_sel_hi:[1,0,1] neg_lo:[0,0,1] neg_hi:[0,0,1]
	v_mov_b32_e32 v35, v97
	s_delay_alu instid0(VALU_DEP_1)
	v_pk_add_f32 v[32:33], v[32:33], v[34:35]
.LBB72_319:                             ;   in Loop: Header=BB72_3 Depth=1
	;; [unrolled: 33-line block ×3, first 2 shown]
	s_or_b32 exec_lo, exec_lo, s53
	s_barrier_signal -1
	s_barrier_wait -1
	s_and_saveexec_b32 s53, s11
	s_cbranch_execz .LBB72_325
; %bb.324:                              ;   in Loop: Header=BB72_3 Depth=1
	ds_load_b64 v[34:35], v5 offset:14560
	s_wait_dscnt 0x0
	v_dual_mul_f32 v36, v32, v35 :: v_dual_mul_f32 v38, v33, v35
	s_delay_alu instid0(VALU_DEP_1) | instskip(NEXT) | instid1(VALU_DEP_2)
	v_pk_fma_f32 v[36:37], v[32:33], v[34:35], v[36:37] op_sel:[0,1,0] op_sel_hi:[1,0,0]
	v_pk_fma_f32 v[34:35], v[32:33], v[34:35], v[38:39] op_sel_hi:[1,1,0] neg_lo:[0,0,1] neg_hi:[0,0,1]
	s_delay_alu instid0(VALU_DEP_2) | instskip(NEXT) | instid1(VALU_DEP_1)
	v_mov_b32_e32 v35, v37
	v_mov_b64_e32 v[32:33], v[34:35]
	ds_store_b64 v67, v[34:35]
.LBB72_325:                             ;   in Loop: Header=BB72_3 Depth=1
	s_or_b32 exec_lo, exec_lo, s53
	s_wait_dscnt 0x0
	s_barrier_signal -1
	s_barrier_wait -1
	s_and_saveexec_b32 s53, s24
	s_cbranch_execz .LBB72_327
; %bb.326:                              ;   in Loop: Header=BB72_3 Depth=1
	ds_load_b64 v[34:35], v66 offset:14464
	ds_load_b64 v[36:37], v67
	s_wait_dscnt 0x0
	v_dual_mul_f32 v38, v37, v35 :: v_dual_mul_f32 v39, v36, v35
	s_delay_alu instid0(VALU_DEP_1) | instskip(NEXT) | instid1(VALU_DEP_1)
	v_dual_fma_f32 v38, v36, v34, -v38 :: v_dual_fmac_f32 v39, v37, v34
	v_pk_add_f32 v[32:33], v[32:33], v[38:39]
.LBB72_327:                             ;   in Loop: Header=BB72_3 Depth=1
	s_or_b32 exec_lo, exec_lo, s53
	s_barrier_signal -1
	s_barrier_wait -1
	s_and_saveexec_b32 s53, s26
	s_cbranch_execz .LBB72_329
; %bb.328:                              ;   in Loop: Header=BB72_3 Depth=1
	ds_load_b64 v[34:35], v5 offset:15080
	s_wait_dscnt 0x0
	v_pk_mul_f32 v[36:37], v[32:33], v[34:35] op_sel:[1,1] op_sel_hi:[1,0]
	s_delay_alu instid0(VALU_DEP_1) | instskip(SKIP_1) | instid1(VALU_DEP_2)
	v_pk_fma_f32 v[38:39], v[32:33], v[34:35], v[36:37] op_sel_hi:[0,1,1]
	v_pk_fma_f32 v[34:35], v[32:33], v[34:35], v[36:37] neg_lo:[0,0,1] neg_hi:[0,0,1]
	v_mov_b32_e32 v35, v39
	s_delay_alu instid0(VALU_DEP_1)
	v_mov_b64_e32 v[32:33], v[34:35]
	ds_store_b64 v67, v[34:35]
.LBB72_329:                             ;   in Loop: Header=BB72_3 Depth=1
	s_or_b32 exec_lo, exec_lo, s53
	s_wait_dscnt 0x0
	s_barrier_signal -1
	s_barrier_wait -1
	s_and_saveexec_b32 s53, s28
	s_cbranch_execz .LBB72_331
; %bb.330:                              ;   in Loop: Header=BB72_3 Depth=1
	ds_load_b64 v[34:35], v66 offset:14976
	ds_load_b64 v[36:37], v67
	s_wait_dscnt 0x0
	v_pk_mul_f32 v[38:39], v[36:37], v[34:35] op_sel:[1,1] op_sel_hi:[0,1]
	s_delay_alu instid0(VALU_DEP_1) | instskip(SKIP_1) | instid1(VALU_DEP_2)
	v_pk_fma_f32 v[96:97], v[36:37], v[34:35], v[38:39] op_sel_hi:[1,0,1]
	v_pk_fma_f32 v[34:35], v[36:37], v[34:35], v[38:39] neg_lo:[0,0,1] neg_hi:[0,0,1]
	v_mov_b32_e32 v35, v97
	s_delay_alu instid0(VALU_DEP_1)
	v_pk_add_f32 v[32:33], v[32:33], v[34:35]
.LBB72_331:                             ;   in Loop: Header=BB72_3 Depth=1
	s_or_b32 exec_lo, exec_lo, s53
	s_barrier_signal -1
	s_barrier_wait -1
	s_and_saveexec_b32 s53, s30
	s_cbranch_execz .LBB72_333
; %bb.332:                              ;   in Loop: Header=BB72_3 Depth=1
	ds_load_b64 v[34:35], v5 offset:15600
	s_wait_dscnt 0x0
	v_pk_mul_f32 v[36:37], v[32:33], v[34:35] op_sel:[1,1] op_sel_hi:[1,0]
	s_delay_alu instid0(VALU_DEP_1) | instskip(SKIP_1) | instid1(VALU_DEP_2)
	v_pk_fma_f32 v[38:39], v[32:33], v[34:35], v[36:37] op_sel_hi:[0,1,1]
	v_pk_fma_f32 v[34:35], v[32:33], v[34:35], v[36:37] neg_lo:[0,0,1] neg_hi:[0,0,1]
	v_mov_b32_e32 v35, v39
	s_delay_alu instid0(VALU_DEP_1)
	v_mov_b64_e32 v[32:33], v[34:35]
	ds_store_b64 v67, v[34:35]
.LBB72_333:                             ;   in Loop: Header=BB72_3 Depth=1
	s_or_b32 exec_lo, exec_lo, s53
	s_wait_dscnt 0x0
	s_barrier_signal -1
	s_barrier_wait -1
	s_and_saveexec_b32 s53, s33
	s_cbranch_execz .LBB72_335
; %bb.334:                              ;   in Loop: Header=BB72_3 Depth=1
	ds_load_b64 v[34:35], v5 offset:15608
	ds_load_b64 v[36:37], v67
	s_wait_dscnt 0x0
	v_pk_mul_f32 v[38:39], v[36:37], v[34:35] op_sel:[1,1] op_sel_hi:[0,1]
	s_delay_alu instid0(VALU_DEP_1) | instskip(SKIP_1) | instid1(VALU_DEP_2)
	v_pk_fma_f32 v[96:97], v[36:37], v[34:35], v[38:39] op_sel_hi:[1,0,1]
	v_pk_fma_f32 v[34:35], v[36:37], v[34:35], v[38:39] neg_lo:[0,0,1] neg_hi:[0,0,1]
	v_mov_b32_e32 v35, v97
	s_delay_alu instid0(VALU_DEP_1)
	v_pk_add_f32 v[32:33], v[32:33], v[34:35]
.LBB72_335:                             ;   in Loop: Header=BB72_3 Depth=1
	s_or_b32 exec_lo, exec_lo, s53
	s_barrier_signal -1
	s_barrier_wait -1
	s_and_saveexec_b32 s53, s33
	s_cbranch_execz .LBB72_337
; %bb.336:                              ;   in Loop: Header=BB72_3 Depth=1
	ds_load_b64 v[34:35], v5 offset:16120
	s_wait_dscnt 0x0
	v_pk_mul_f32 v[36:37], v[32:33], v[34:35] op_sel:[1,1] op_sel_hi:[1,0]
	s_delay_alu instid0(VALU_DEP_1) | instskip(SKIP_1) | instid1(VALU_DEP_2)
	v_pk_fma_f32 v[38:39], v[32:33], v[34:35], v[36:37] op_sel_hi:[0,1,1]
	v_pk_fma_f32 v[34:35], v[32:33], v[34:35], v[36:37] neg_lo:[0,0,1] neg_hi:[0,0,1]
	v_mov_b32_e32 v35, v39
	s_delay_alu instid0(VALU_DEP_1)
	v_mov_b64_e32 v[32:33], v[34:35]
	ds_store_b64 v67, v[34:35]
.LBB72_337:                             ;   in Loop: Header=BB72_3 Depth=1
	s_or_b32 exec_lo, exec_lo, s53
	s_wait_dscnt 0x0
	s_barrier_signal -1
	s_barrier_wait -1
	s_barrier_signal -1
	s_barrier_wait -1
	s_and_saveexec_b32 s53, s4
; %bb.338:                              ;   in Loop: Header=BB72_3 Depth=1
	v_pk_add_f32 v[32:33], v[32:33], 0 neg_lo:[1,1] neg_hi:[1,1]
	ds_store_b64 v68, v[32:33] offset:128
; %bb.339:                              ;   in Loop: Header=BB72_3 Depth=1
	s_or_b32 exec_lo, exec_lo, s53
	s_wait_dscnt 0x0
	s_barrier_signal -1
	s_barrier_wait -1
	s_barrier_signal -1
	s_barrier_wait -1
	s_and_saveexec_b32 s53, s94
	s_cbranch_execz .LBB72_341
; %bb.340:                              ;   in Loop: Header=BB72_3 Depth=1
	ds_load_b64 v[32:33], v47 offset:128
	s_wait_dscnt 0x0
	ds_store_b64 v52, v[32:33] offset:8192
	ds_load_b64 v[32:33], v47 offset:136
	s_wait_dscnt 0x0
	ds_store_b64 v52, v[32:33] offset:8704
	;; [unrolled: 3-line block ×16, first 2 shown]
.LBB72_341:                             ;   in Loop: Header=BB72_3 Depth=1
	s_or_b32 exec_lo, exec_lo, s53
	s_wait_dscnt 0x0
	s_barrier_signal -1
	s_barrier_wait -1
	s_and_saveexec_b32 s53, s14
	s_cbranch_execz .LBB72_343
; %bb.342:                              ;   in Loop: Header=BB72_3 Depth=1
	ds_load_b128 v[32:35], v5 offset:8320
	ds_load_b64 v[36:37], v5 offset:8840
	s_wait_dscnt 0x1
	v_dual_mov_b32 v96, v35 :: v_dual_mov_b32 v97, v34
	s_wait_dscnt 0x0
	v_dual_mul_f32 v39, v37, v33 :: v_dual_mul_f32 v38, v36, v33
	s_delay_alu instid0(VALU_DEP_1) | instskip(NEXT) | instid1(VALU_DEP_1)
	v_xor_b32_e32 v40, 0x80000000, v39
	v_dual_fmac_f32 v38, v37, v32 :: v_dual_fmac_f32 v40, v36, v32
	s_delay_alu instid0(VALU_DEP_1) | instskip(NEXT) | instid1(VALU_DEP_1)
	v_pk_mul_f32 v[32:33], v[38:39], v[96:97] op_sel_hi:[0,1]
	v_pk_fma_f32 v[36:37], v[40:41], v[34:35], v[32:33] op_sel_hi:[0,1,1]
	v_pk_fma_f32 v[32:33], v[40:41], v[34:35], v[32:33] neg_lo:[0,0,1] neg_hi:[0,0,1]
	v_add_nc_u32_e64 v34, 0x2000, 0
	s_delay_alu instid0(VALU_DEP_3)
	v_mov_b32_e32 v33, v37
	ds_store_2addr_b64 v34, v[32:33], v[32:33] offset0:17 offset1:80
.LBB72_343:                             ;   in Loop: Header=BB72_3 Depth=1
	s_or_b32 exec_lo, exec_lo, s53
	v_mov_b32_e32 v33, 0
	s_wait_dscnt 0x0
	s_barrier_signal -1
	s_barrier_wait -1
	s_delay_alu instid0(VALU_DEP_1)
	v_mov_b32_e32 v32, v33
	s_and_saveexec_b32 s53, s0
	s_cbranch_execz .LBB72_347
; %bb.344:                              ;   in Loop: Header=BB72_3 Depth=1
	ds_load_b64 v[32:33], v42 offset:8336
	ds_load_b64 v[34:35], v43 offset:8320
	s_wait_dscnt 0x0
	v_dual_mul_f32 v36, v35, v33 :: v_dual_mul_f32 v37, v34, v33
	s_delay_alu instid0(VALU_DEP_1) | instskip(NEXT) | instid1(VALU_DEP_1)
	v_dual_fma_f32 v36, v34, v32, -v36 :: v_dual_fmac_f32 v37, v35, v32
	v_pk_add_f32 v[32:33], v[36:37], 0 op_sel_hi:[1,0]
	s_and_saveexec_b32 s54, s15
	s_cbranch_execz .LBB72_346
; %bb.345:                              ;   in Loop: Header=BB72_3 Depth=1
	ds_load_b64 v[34:35], v44 offset:8848
	ds_load_b64 v[36:37], v5 offset:8328
	s_wait_dscnt 0x0
	v_pk_mul_f32 v[38:39], v[36:37], v[34:35] op_sel:[1,1] op_sel_hi:[0,1]
	s_delay_alu instid0(VALU_DEP_1) | instskip(SKIP_1) | instid1(VALU_DEP_2)
	v_pk_fma_f32 v[96:97], v[36:37], v[34:35], v[38:39] op_sel_hi:[1,0,1]
	v_pk_fma_f32 v[34:35], v[36:37], v[34:35], v[38:39] neg_lo:[0,0,1] neg_hi:[0,0,1]
	v_mov_b32_e32 v35, v97
	s_delay_alu instid0(VALU_DEP_1)
	v_pk_add_f32 v[32:33], v[32:33], v[34:35]
.LBB72_346:                             ;   in Loop: Header=BB72_3 Depth=1
	s_or_b32 exec_lo, exec_lo, s54
	s_delay_alu instid0(VALU_DEP_1)
	v_pk_add_f32 v[32:33], v[32:33], 0 neg_lo:[1,1] neg_hi:[1,1]
.LBB72_347:                             ;   in Loop: Header=BB72_3 Depth=1
	s_or_b32 exec_lo, exec_lo, s53
	s_and_saveexec_b32 s53, s96
	s_cbranch_execz .LBB72_349
; %bb.348:                              ;   in Loop: Header=BB72_3 Depth=1
	ds_load_b64 v[34:35], v5 offset:9360
	s_wait_dscnt 0x0
	v_pk_mul_f32 v[36:37], v[32:33], v[34:35] op_sel:[1,1] op_sel_hi:[1,0]
	s_delay_alu instid0(VALU_DEP_1) | instskip(SKIP_1) | instid1(VALU_DEP_2)
	v_pk_fma_f32 v[38:39], v[32:33], v[34:35], v[36:37] op_sel_hi:[0,1,1]
	v_pk_fma_f32 v[34:35], v[32:33], v[34:35], v[36:37] neg_lo:[0,0,1] neg_hi:[0,0,1]
	v_mov_b32_e32 v35, v39
	s_delay_alu instid0(VALU_DEP_1)
	v_mov_b64_e32 v[32:33], v[34:35]
	ds_store_b64 v3, v[34:35]
.LBB72_349:                             ;   in Loop: Header=BB72_3 Depth=1
	s_or_b32 exec_lo, exec_lo, s53
	s_wait_dscnt 0x0
	s_barrier_signal -1
	s_barrier_wait -1
	s_and_saveexec_b32 s53, s97
	s_cbranch_execz .LBB72_351
; %bb.350:                              ;   in Loop: Header=BB72_3 Depth=1
	ds_load_b64 v[34:35], v5 offset:9368
	ds_load_b64 v[36:37], v3
	s_wait_dscnt 0x0
	v_pk_mul_f32 v[38:39], v[36:37], v[34:35] op_sel:[1,1] op_sel_hi:[0,1]
	s_delay_alu instid0(VALU_DEP_1) | instskip(SKIP_1) | instid1(VALU_DEP_2)
	v_pk_fma_f32 v[96:97], v[36:37], v[34:35], v[38:39] op_sel_hi:[1,0,1]
	v_pk_fma_f32 v[34:35], v[36:37], v[34:35], v[38:39] neg_lo:[0,0,1] neg_hi:[0,0,1]
	v_mov_b32_e32 v35, v97
	s_delay_alu instid0(VALU_DEP_1)
	v_pk_add_f32 v[32:33], v[32:33], v[34:35]
.LBB72_351:                             ;   in Loop: Header=BB72_3 Depth=1
	s_or_b32 exec_lo, exec_lo, s53
	s_barrier_signal -1
	s_barrier_wait -1
	s_and_saveexec_b32 s53, s97
	s_cbranch_execz .LBB72_353
; %bb.352:                              ;   in Loop: Header=BB72_3 Depth=1
	ds_load_b64 v[34:35], v5 offset:9880
	s_wait_dscnt 0x0
	v_pk_mul_f32 v[36:37], v[32:33], v[34:35] op_sel:[1,1] op_sel_hi:[1,0]
	s_delay_alu instid0(VALU_DEP_1) | instskip(SKIP_1) | instid1(VALU_DEP_2)
	v_pk_fma_f32 v[38:39], v[32:33], v[34:35], v[36:37] op_sel_hi:[0,1,1]
	v_pk_fma_f32 v[34:35], v[32:33], v[34:35], v[36:37] neg_lo:[0,0,1] neg_hi:[0,0,1]
	v_mov_b32_e32 v35, v39
	s_delay_alu instid0(VALU_DEP_1)
	v_mov_b64_e32 v[32:33], v[34:35]
	ds_store_b64 v3, v[34:35]
.LBB72_353:                             ;   in Loop: Header=BB72_3 Depth=1
	s_or_b32 exec_lo, exec_lo, s53
	s_wait_dscnt 0x0
	s_barrier_signal -1
	s_barrier_wait -1
	s_barrier_signal -1
	s_barrier_wait -1
	s_and_saveexec_b32 s53, s0
; %bb.354:                              ;   in Loop: Header=BB72_3 Depth=1
	v_pk_add_f32 v[32:33], v[32:33], 0 neg_lo:[1,1] neg_hi:[1,1]
	ds_store_b64 v42, v[32:33] offset:8336
; %bb.355:                              ;   in Loop: Header=BB72_3 Depth=1
	s_or_b32 exec_lo, exec_lo, s53
	s_wait_dscnt 0x0
	s_barrier_signal -1
	s_barrier_wait -1
	s_barrier_signal -1
	s_barrier_wait -1
	s_and_saveexec_b32 s53, s98
	s_cbranch_execz .LBB72_357
; %bb.356:                              ;   in Loop: Header=BB72_3 Depth=1
	ds_load_b64 v[32:33], v47 offset:8336
	s_wait_dscnt 0x0
	ds_store_b64 v44, v[32:33] offset:9344
	ds_load_b64 v[32:33], v47 offset:8344
	s_wait_dscnt 0x0
	ds_store_b64 v44, v[32:33] offset:9856
.LBB72_357:                             ;   in Loop: Header=BB72_3 Depth=1
	s_or_b32 exec_lo, exec_lo, s53
	s_wait_dscnt 0x0
	s_barrier_signal -1
	s_barrier_wait -1
	s_and_saveexec_b32 s53, s14
	s_cbranch_execz .LBB72_359
; %bb.358:                              ;   in Loop: Header=BB72_3 Depth=1
	ds_load_b128 v[32:35], v5 offset:9360
	ds_load_b64 v[36:37], v5 offset:9880
	s_wait_dscnt 0x1
	v_dual_mov_b32 v96, v35 :: v_dual_mov_b32 v97, v34
	s_wait_dscnt 0x0
	v_dual_mul_f32 v39, v37, v33 :: v_dual_mul_f32 v38, v36, v33
	s_delay_alu instid0(VALU_DEP_1) | instskip(NEXT) | instid1(VALU_DEP_1)
	v_xor_b32_e32 v40, 0x80000000, v39
	v_dual_fmac_f32 v38, v37, v32 :: v_dual_fmac_f32 v40, v36, v32
	s_delay_alu instid0(VALU_DEP_1) | instskip(NEXT) | instid1(VALU_DEP_1)
	v_pk_mul_f32 v[32:33], v[38:39], v[96:97] op_sel_hi:[0,1]
	v_pk_fma_f32 v[36:37], v[40:41], v[34:35], v[32:33] op_sel_hi:[0,1,1]
	v_pk_fma_f32 v[32:33], v[40:41], v[34:35], v[32:33] neg_lo:[0,0,1] neg_hi:[0,0,1]
	v_add_nc_u32_e64 v34, 0x2000, 0
	s_delay_alu instid0(VALU_DEP_3)
	v_mov_b32_e32 v33, v37
	ds_store_2addr_b64 v34, v[32:33], v[32:33] offset0:147 offset1:210
.LBB72_359:                             ;   in Loop: Header=BB72_3 Depth=1
	s_or_b32 exec_lo, exec_lo, s53
	v_mov_b32_e32 v32, 0
	s_wait_dscnt 0x0
	s_barrier_signal -1
	s_barrier_wait -1
	s_delay_alu instid0(VALU_DEP_1)
	v_mov_b32_e32 v33, v32
	s_and_saveexec_b32 s64, s2
	s_cbranch_execz .LBB72_365
; %bb.360:                              ;   in Loop: Header=BB72_3 Depth=1
	ds_load_b64 v[32:33], v49 offset:8352
	ds_load_b64 v[34:35], v45 offset:8320
	s_wait_dscnt 0x0
	v_pk_mul_f32 v[36:37], v[34:35], v[32:33] op_sel:[0,1]
	s_delay_alu instid0(VALU_DEP_1) | instskip(SKIP_1) | instid1(VALU_DEP_2)
	v_pk_fma_f32 v[38:39], v[34:35], v[32:33], v[36:37] op_sel:[1,0,0] op_sel_hi:[0,0,1] neg_lo:[0,0,1] neg_hi:[0,0,1]
	v_pk_fma_f32 v[32:33], v[34:35], v[32:33], v[36:37] op_sel:[1,0,0] op_sel_hi:[0,1,1]
	v_mov_b32_e32 v33, v39
	s_delay_alu instid0(VALU_DEP_1)
	v_pk_add_f32 v[32:33], v[32:33], 0 op_sel_hi:[1,0]
	s_and_saveexec_b32 s53, s16
	s_cbranch_execnz .LBB72_1138
; %bb.361:                              ;   in Loop: Header=BB72_3 Depth=1
	s_or_b32 exec_lo, exec_lo, s53
	s_and_saveexec_b32 s53, s17
	s_cbranch_execnz .LBB72_1139
.LBB72_362:                             ;   in Loop: Header=BB72_3 Depth=1
	s_or_b32 exec_lo, exec_lo, s53
	s_and_saveexec_b32 s53, s0
	s_cbranch_execz .LBB72_364
.LBB72_363:                             ;   in Loop: Header=BB72_3 Depth=1
	ds_load_b64 v[34:35], v52 offset:9888
	ds_load_b64 v[36:37], v5 offset:8344
	s_wait_dscnt 0x0
	v_pk_mul_f32 v[38:39], v[36:37], v[34:35] op_sel:[0,1]
	s_delay_alu instid0(VALU_DEP_1) | instskip(SKIP_1) | instid1(VALU_DEP_2)
	v_pk_fma_f32 v[96:97], v[36:37], v[34:35], v[38:39] op_sel:[1,0,0] op_sel_hi:[0,0,1] neg_lo:[0,0,1] neg_hi:[0,0,1]
	v_pk_fma_f32 v[34:35], v[36:37], v[34:35], v[38:39] op_sel:[1,0,0] op_sel_hi:[0,1,1]
	v_mov_b32_e32 v35, v97
	s_delay_alu instid0(VALU_DEP_1)
	v_pk_add_f32 v[32:33], v[32:33], v[34:35]
.LBB72_364:                             ;   in Loop: Header=BB72_3 Depth=1
	s_or_b32 exec_lo, exec_lo, s53
	s_delay_alu instid0(VALU_DEP_1) | instskip(NEXT) | instid1(VALU_DEP_1)
	v_pk_add_f32 v[34:35], v[32:33], 0 neg_lo:[1,1] neg_hi:[1,1]
	v_dual_mov_b32 v32, v35 :: v_dual_mov_b32 v33, v34
.LBB72_365:                             ;   in Loop: Header=BB72_3 Depth=1
	s_or_b32 exec_lo, exec_lo, s64
	s_and_saveexec_b32 s53, s99
	s_cbranch_execz .LBB72_367
; %bb.366:                              ;   in Loop: Header=BB72_3 Depth=1
	ds_load_b64 v[34:35], v5 offset:10400
	v_dual_mov_b32 v36, v33 :: v_dual_mov_b32 v37, v32
	s_wait_dscnt 0x0
	s_delay_alu instid0(VALU_DEP_1) | instskip(NEXT) | instid1(VALU_DEP_1)
	v_dual_mul_f32 v38, v36, v34 :: v_dual_mul_f32 v40, v33, v35
	v_pk_fma_f32 v[36:37], v[36:37], v[34:35], v[38:39] op_sel_hi:[1,1,0]
	s_delay_alu instid0(VALU_DEP_2) | instskip(NEXT) | instid1(VALU_DEP_2)
	v_pk_fma_f32 v[32:33], v[32:33], v[34:35], v[40:41] op_sel_hi:[1,1,0] neg_lo:[0,0,1] neg_hi:[0,0,1]
	v_mov_b32_e32 v33, v37
	ds_store_b64 v48, v[32:33]
.LBB72_367:                             ;   in Loop: Header=BB72_3 Depth=1
	s_or_b32 exec_lo, exec_lo, s53
	s_wait_dscnt 0x0
	s_barrier_signal -1
	s_barrier_wait -1
	s_and_saveexec_b32 s53, s100
	s_cbranch_execz .LBB72_369
; %bb.368:                              ;   in Loop: Header=BB72_3 Depth=1
	ds_load_b64 v[34:35], v46 offset:10400
	ds_load_b64 v[36:37], v48
	s_wait_dscnt 0x0
	v_dual_mul_f32 v38, v37, v35 :: v_dual_mul_f32 v39, v36, v35
	s_delay_alu instid0(VALU_DEP_1) | instskip(NEXT) | instid1(VALU_DEP_1)
	v_dual_fma_f32 v38, v36, v34, -v38 :: v_dual_fmac_f32 v39, v37, v34
	v_pk_add_f32 v[32:33], v[32:33], v[38:39]
.LBB72_369:                             ;   in Loop: Header=BB72_3 Depth=1
	s_or_b32 exec_lo, exec_lo, s53
	s_barrier_signal -1
	s_barrier_wait -1
	s_and_saveexec_b32 s53, s101
	s_cbranch_execz .LBB72_371
; %bb.370:                              ;   in Loop: Header=BB72_3 Depth=1
	ds_load_b64 v[34:35], v5 offset:10920
	s_wait_dscnt 0x0
	v_pk_mul_f32 v[36:37], v[32:33], v[34:35] op_sel:[1,1] op_sel_hi:[1,0]
	s_delay_alu instid0(VALU_DEP_1) | instskip(SKIP_1) | instid1(VALU_DEP_2)
	v_pk_fma_f32 v[38:39], v[32:33], v[34:35], v[36:37] op_sel_hi:[0,1,1]
	v_pk_fma_f32 v[34:35], v[32:33], v[34:35], v[36:37] neg_lo:[0,0,1] neg_hi:[0,0,1]
	v_mov_b32_e32 v35, v39
	s_delay_alu instid0(VALU_DEP_1)
	v_mov_b64_e32 v[32:33], v[34:35]
	ds_store_b64 v48, v[34:35]
.LBB72_371:                             ;   in Loop: Header=BB72_3 Depth=1
	s_or_b32 exec_lo, exec_lo, s53
	s_wait_dscnt 0x0
	s_barrier_signal -1
	s_barrier_wait -1
	s_and_saveexec_b32 s53, s102
	s_cbranch_execz .LBB72_373
; %bb.372:                              ;   in Loop: Header=BB72_3 Depth=1
	ds_load_b64 v[34:35], v46 offset:10912
	ds_load_b64 v[36:37], v48
	s_wait_dscnt 0x0
	v_pk_mul_f32 v[38:39], v[36:37], v[34:35] op_sel:[1,1] op_sel_hi:[0,1]
	s_delay_alu instid0(VALU_DEP_1) | instskip(SKIP_1) | instid1(VALU_DEP_2)
	v_pk_fma_f32 v[96:97], v[36:37], v[34:35], v[38:39] op_sel_hi:[1,0,1]
	v_pk_fma_f32 v[34:35], v[36:37], v[34:35], v[38:39] neg_lo:[0,0,1] neg_hi:[0,0,1]
	v_mov_b32_e32 v35, v97
	s_delay_alu instid0(VALU_DEP_1)
	v_pk_add_f32 v[32:33], v[32:33], v[34:35]
.LBB72_373:                             ;   in Loop: Header=BB72_3 Depth=1
	s_or_b32 exec_lo, exec_lo, s53
	s_barrier_signal -1
	s_barrier_wait -1
	s_and_saveexec_b32 s53, s103
	s_cbranch_execz .LBB72_375
; %bb.374:                              ;   in Loop: Header=BB72_3 Depth=1
	ds_load_b64 v[34:35], v5 offset:11440
	s_wait_dscnt 0x0
	v_pk_mul_f32 v[36:37], v[32:33], v[34:35] op_sel:[1,1] op_sel_hi:[1,0]
	s_delay_alu instid0(VALU_DEP_1) | instskip(SKIP_1) | instid1(VALU_DEP_2)
	v_pk_fma_f32 v[38:39], v[32:33], v[34:35], v[36:37] op_sel_hi:[0,1,1]
	v_pk_fma_f32 v[34:35], v[32:33], v[34:35], v[36:37] neg_lo:[0,0,1] neg_hi:[0,0,1]
	v_mov_b32_e32 v35, v39
	s_delay_alu instid0(VALU_DEP_1)
	v_mov_b64_e32 v[32:33], v[34:35]
	ds_store_b64 v48, v[34:35]
.LBB72_375:                             ;   in Loop: Header=BB72_3 Depth=1
	s_or_b32 exec_lo, exec_lo, s53
	s_wait_dscnt 0x0
	s_barrier_signal -1
	s_barrier_wait -1
	s_and_saveexec_b32 s53, s104
	s_cbranch_execz .LBB72_377
; %bb.376:                              ;   in Loop: Header=BB72_3 Depth=1
	ds_load_b64 v[34:35], v5 offset:11448
	ds_load_b64 v[36:37], v48
	s_wait_dscnt 0x0
	v_pk_mul_f32 v[38:39], v[36:37], v[34:35] op_sel:[1,1] op_sel_hi:[0,1]
	s_delay_alu instid0(VALU_DEP_1) | instskip(SKIP_1) | instid1(VALU_DEP_2)
	v_pk_fma_f32 v[96:97], v[36:37], v[34:35], v[38:39] op_sel_hi:[1,0,1]
	v_pk_fma_f32 v[34:35], v[36:37], v[34:35], v[38:39] neg_lo:[0,0,1] neg_hi:[0,0,1]
	v_mov_b32_e32 v35, v97
	s_delay_alu instid0(VALU_DEP_1)
	v_pk_add_f32 v[32:33], v[32:33], v[34:35]
.LBB72_377:                             ;   in Loop: Header=BB72_3 Depth=1
	s_or_b32 exec_lo, exec_lo, s53
	s_barrier_signal -1
	s_barrier_wait -1
	s_and_saveexec_b32 s53, s104
	s_cbranch_execz .LBB72_379
; %bb.378:                              ;   in Loop: Header=BB72_3 Depth=1
	ds_load_b64 v[34:35], v5 offset:11960
	s_wait_dscnt 0x0
	v_pk_mul_f32 v[36:37], v[32:33], v[34:35] op_sel:[1,1] op_sel_hi:[1,0]
	s_delay_alu instid0(VALU_DEP_1) | instskip(SKIP_1) | instid1(VALU_DEP_2)
	v_pk_fma_f32 v[38:39], v[32:33], v[34:35], v[36:37] op_sel_hi:[0,1,1]
	v_pk_fma_f32 v[34:35], v[32:33], v[34:35], v[36:37] neg_lo:[0,0,1] neg_hi:[0,0,1]
	v_mov_b32_e32 v35, v39
	s_delay_alu instid0(VALU_DEP_1)
	v_mov_b64_e32 v[32:33], v[34:35]
	ds_store_b64 v48, v[34:35]
.LBB72_379:                             ;   in Loop: Header=BB72_3 Depth=1
	s_or_b32 exec_lo, exec_lo, s53
	s_wait_dscnt 0x0
	s_barrier_signal -1
	s_barrier_wait -1
	s_barrier_signal -1
	s_barrier_wait -1
	s_and_saveexec_b32 s53, s2
; %bb.380:                              ;   in Loop: Header=BB72_3 Depth=1
	v_pk_add_f32 v[32:33], v[32:33], 0 neg_lo:[1,1] neg_hi:[1,1]
	ds_store_b64 v49, v[32:33] offset:8352
; %bb.381:                              ;   in Loop: Header=BB72_3 Depth=1
	s_or_b32 exec_lo, exec_lo, s53
	s_wait_dscnt 0x0
	s_barrier_signal -1
	s_barrier_wait -1
	s_barrier_signal -1
	s_barrier_wait -1
	s_and_saveexec_b32 s53, vcc_hi
	s_cbranch_execz .LBB72_383
; %bb.382:                              ;   in Loop: Header=BB72_3 Depth=1
	ds_load_b64 v[32:33], v53 offset:8352
	s_wait_dscnt 0x0
	ds_store_b64 v54, v[32:33] offset:10368
	ds_load_b64 v[32:33], v53 offset:8360
	s_wait_dscnt 0x0
	ds_store_b64 v54, v[32:33] offset:10880
	;; [unrolled: 3-line block ×4, first 2 shown]
.LBB72_383:                             ;   in Loop: Header=BB72_3 Depth=1
	s_or_b32 exec_lo, exec_lo, s53
	s_wait_dscnt 0x0
	s_barrier_signal -1
	s_barrier_wait -1
	s_and_saveexec_b32 s53, s14
	s_cbranch_execz .LBB72_385
; %bb.384:                              ;   in Loop: Header=BB72_3 Depth=1
	ds_load_b128 v[32:35], v5 offset:10400
	ds_load_b64 v[36:37], v5 offset:10920
	s_wait_dscnt 0x1
	v_dual_mov_b32 v96, v35 :: v_dual_mov_b32 v97, v34
	s_wait_dscnt 0x0
	v_dual_mul_f32 v39, v37, v33 :: v_dual_mul_f32 v38, v36, v33
	s_delay_alu instid0(VALU_DEP_1) | instskip(NEXT) | instid1(VALU_DEP_1)
	v_xor_b32_e32 v40, 0x80000000, v39
	v_dual_fmac_f32 v38, v37, v32 :: v_dual_fmac_f32 v40, v36, v32
	s_delay_alu instid0(VALU_DEP_1) | instskip(NEXT) | instid1(VALU_DEP_1)
	v_pk_mul_f32 v[32:33], v[38:39], v[96:97] op_sel_hi:[0,1]
	v_pk_fma_f32 v[36:37], v[40:41], v[34:35], v[32:33] op_sel_hi:[0,1,1]
	v_pk_fma_f32 v[32:33], v[40:41], v[34:35], v[32:33] neg_lo:[0,0,1] neg_hi:[0,0,1]
	v_add_nc_u32_e64 v34, 0x2800, 0
	s_delay_alu instid0(VALU_DEP_3)
	v_mov_b32_e32 v33, v37
	ds_store_2addr_b64 v34, v[32:33], v[32:33] offset0:21 offset1:84
.LBB72_385:                             ;   in Loop: Header=BB72_3 Depth=1
	s_or_b32 exec_lo, exec_lo, s53
	v_mov_b32_e32 v33, 0
	s_wait_dscnt 0x0
	s_barrier_signal -1
	s_barrier_wait -1
	s_delay_alu instid0(VALU_DEP_1)
	v_mov_b32_e32 v32, v33
	s_and_saveexec_b32 s53, s0
	s_cbranch_execz .LBB72_389
; %bb.386:                              ;   in Loop: Header=BB72_3 Depth=1
	ds_load_b64 v[32:33], v42 offset:10416
	ds_load_b64 v[34:35], v43 offset:10400
	s_wait_dscnt 0x0
	v_dual_mul_f32 v36, v35, v33 :: v_dual_mul_f32 v37, v34, v33
	s_delay_alu instid0(VALU_DEP_1) | instskip(NEXT) | instid1(VALU_DEP_1)
	v_dual_fma_f32 v36, v34, v32, -v36 :: v_dual_fmac_f32 v37, v35, v32
	v_pk_add_f32 v[32:33], v[36:37], 0 op_sel_hi:[1,0]
	s_and_saveexec_b32 s54, s15
	s_cbranch_execz .LBB72_388
; %bb.387:                              ;   in Loop: Header=BB72_3 Depth=1
	ds_load_b64 v[34:35], v54 offset:10928
	ds_load_b64 v[36:37], v5 offset:10408
	s_wait_dscnt 0x0
	v_pk_mul_f32 v[38:39], v[36:37], v[34:35] op_sel:[1,1] op_sel_hi:[0,1]
	s_delay_alu instid0(VALU_DEP_1) | instskip(SKIP_1) | instid1(VALU_DEP_2)
	v_pk_fma_f32 v[96:97], v[36:37], v[34:35], v[38:39] op_sel_hi:[1,0,1]
	v_pk_fma_f32 v[34:35], v[36:37], v[34:35], v[38:39] neg_lo:[0,0,1] neg_hi:[0,0,1]
	v_mov_b32_e32 v35, v97
	s_delay_alu instid0(VALU_DEP_1)
	v_pk_add_f32 v[32:33], v[32:33], v[34:35]
.LBB72_388:                             ;   in Loop: Header=BB72_3 Depth=1
	s_or_b32 exec_lo, exec_lo, s54
	s_delay_alu instid0(VALU_DEP_1)
	v_pk_add_f32 v[32:33], v[32:33], 0 neg_lo:[1,1] neg_hi:[1,1]
.LBB72_389:                             ;   in Loop: Header=BB72_3 Depth=1
	s_or_b32 exec_lo, exec_lo, s53
	s_and_saveexec_b32 s53, s96
	s_cbranch_execz .LBB72_391
; %bb.390:                              ;   in Loop: Header=BB72_3 Depth=1
	ds_load_b64 v[34:35], v5 offset:11440
	s_wait_dscnt 0x0
	v_pk_mul_f32 v[36:37], v[32:33], v[34:35] op_sel:[1,1] op_sel_hi:[1,0]
	s_delay_alu instid0(VALU_DEP_1) | instskip(SKIP_1) | instid1(VALU_DEP_2)
	v_pk_fma_f32 v[38:39], v[32:33], v[34:35], v[36:37] op_sel_hi:[0,1,1]
	v_pk_fma_f32 v[34:35], v[32:33], v[34:35], v[36:37] neg_lo:[0,0,1] neg_hi:[0,0,1]
	v_mov_b32_e32 v35, v39
	s_delay_alu instid0(VALU_DEP_1)
	v_mov_b64_e32 v[32:33], v[34:35]
	ds_store_b64 v3, v[34:35]
.LBB72_391:                             ;   in Loop: Header=BB72_3 Depth=1
	s_or_b32 exec_lo, exec_lo, s53
	s_wait_dscnt 0x0
	s_barrier_signal -1
	s_barrier_wait -1
	s_and_saveexec_b32 s53, s97
	s_cbranch_execz .LBB72_393
; %bb.392:                              ;   in Loop: Header=BB72_3 Depth=1
	ds_load_b64 v[34:35], v5 offset:11448
	ds_load_b64 v[36:37], v3
	s_wait_dscnt 0x0
	v_pk_mul_f32 v[38:39], v[36:37], v[34:35] op_sel:[1,1] op_sel_hi:[0,1]
	s_delay_alu instid0(VALU_DEP_1) | instskip(SKIP_1) | instid1(VALU_DEP_2)
	v_pk_fma_f32 v[96:97], v[36:37], v[34:35], v[38:39] op_sel_hi:[1,0,1]
	v_pk_fma_f32 v[34:35], v[36:37], v[34:35], v[38:39] neg_lo:[0,0,1] neg_hi:[0,0,1]
	v_mov_b32_e32 v35, v97
	s_delay_alu instid0(VALU_DEP_1)
	v_pk_add_f32 v[32:33], v[32:33], v[34:35]
.LBB72_393:                             ;   in Loop: Header=BB72_3 Depth=1
	s_or_b32 exec_lo, exec_lo, s53
	s_barrier_signal -1
	s_barrier_wait -1
	s_and_saveexec_b32 s53, s97
	s_cbranch_execz .LBB72_395
; %bb.394:                              ;   in Loop: Header=BB72_3 Depth=1
	ds_load_b64 v[34:35], v5 offset:11960
	s_wait_dscnt 0x0
	v_pk_mul_f32 v[36:37], v[32:33], v[34:35] op_sel:[1,1] op_sel_hi:[1,0]
	s_delay_alu instid0(VALU_DEP_1) | instskip(SKIP_1) | instid1(VALU_DEP_2)
	v_pk_fma_f32 v[38:39], v[32:33], v[34:35], v[36:37] op_sel_hi:[0,1,1]
	v_pk_fma_f32 v[34:35], v[32:33], v[34:35], v[36:37] neg_lo:[0,0,1] neg_hi:[0,0,1]
	v_mov_b32_e32 v35, v39
	s_delay_alu instid0(VALU_DEP_1)
	v_mov_b64_e32 v[32:33], v[34:35]
	ds_store_b64 v3, v[34:35]
.LBB72_395:                             ;   in Loop: Header=BB72_3 Depth=1
	s_or_b32 exec_lo, exec_lo, s53
	s_wait_dscnt 0x0
	s_barrier_signal -1
	s_barrier_wait -1
	s_barrier_signal -1
	s_barrier_wait -1
	s_and_saveexec_b32 s53, s0
; %bb.396:                              ;   in Loop: Header=BB72_3 Depth=1
	v_pk_add_f32 v[32:33], v[32:33], 0 neg_lo:[1,1] neg_hi:[1,1]
	ds_store_b64 v42, v[32:33] offset:10416
; %bb.397:                              ;   in Loop: Header=BB72_3 Depth=1
	s_or_b32 exec_lo, exec_lo, s53
	s_wait_dscnt 0x0
	s_barrier_signal -1
	s_barrier_wait -1
	s_barrier_signal -1
	s_barrier_wait -1
	s_and_saveexec_b32 s53, s98
	s_cbranch_execz .LBB72_399
; %bb.398:                              ;   in Loop: Header=BB72_3 Depth=1
	ds_load_b64 v[32:33], v57 offset:10416
	s_wait_dscnt 0x0
	ds_store_b64 v54, v[32:33] offset:11424
	ds_load_b64 v[32:33], v57 offset:10424
	s_wait_dscnt 0x0
	ds_store_b64 v54, v[32:33] offset:11936
.LBB72_399:                             ;   in Loop: Header=BB72_3 Depth=1
	s_or_b32 exec_lo, exec_lo, s53
	s_wait_dscnt 0x0
	s_barrier_signal -1
	s_barrier_wait -1
	s_and_saveexec_b32 s53, s14
	s_cbranch_execz .LBB72_401
; %bb.400:                              ;   in Loop: Header=BB72_3 Depth=1
	ds_load_b128 v[32:35], v5 offset:11440
	ds_load_b64 v[36:37], v5 offset:11960
	s_wait_dscnt 0x1
	v_dual_mov_b32 v96, v35 :: v_dual_mov_b32 v97, v34
	s_wait_dscnt 0x0
	v_dual_mul_f32 v39, v37, v33 :: v_dual_mul_f32 v38, v36, v33
	s_delay_alu instid0(VALU_DEP_1) | instskip(NEXT) | instid1(VALU_DEP_1)
	v_xor_b32_e32 v40, 0x80000000, v39
	v_dual_fmac_f32 v38, v37, v32 :: v_dual_fmac_f32 v40, v36, v32
	s_delay_alu instid0(VALU_DEP_1) | instskip(NEXT) | instid1(VALU_DEP_1)
	v_pk_mul_f32 v[32:33], v[38:39], v[96:97] op_sel_hi:[0,1]
	v_pk_fma_f32 v[36:37], v[40:41], v[34:35], v[32:33] op_sel_hi:[0,1,1]
	v_pk_fma_f32 v[32:33], v[40:41], v[34:35], v[32:33] neg_lo:[0,0,1] neg_hi:[0,0,1]
	v_add_nc_u32_e64 v34, 0x2800, 0
	s_delay_alu instid0(VALU_DEP_3)
	v_mov_b32_e32 v33, v37
	ds_store_2addr_b64 v34, v[32:33], v[32:33] offset0:151 offset1:214
.LBB72_401:                             ;   in Loop: Header=BB72_3 Depth=1
	s_or_b32 exec_lo, exec_lo, s53
	v_mov_b32_e32 v32, 0
	s_wait_dscnt 0x0
	s_barrier_signal -1
	s_barrier_wait -1
	s_delay_alu instid0(VALU_DEP_1)
	v_mov_b32_e32 v33, v32
	s_and_saveexec_b32 s64, s3
	s_cbranch_execz .LBB72_411
; %bb.402:                              ;   in Loop: Header=BB72_3 Depth=1
	ds_load_b64 v[32:33], v59 offset:8384
	ds_load_b64 v[34:35], v55 offset:8320
	s_wait_dscnt 0x0
	v_dual_mul_f32 v36, v35, v33 :: v_dual_mul_f32 v37, v34, v33
	s_delay_alu instid0(VALU_DEP_1) | instskip(NEXT) | instid1(VALU_DEP_1)
	v_dual_fma_f32 v33, v34, v32, -v36 :: v_dual_fmac_f32 v37, v35, v32
	v_add_f32_e32 v33, 0, v33
	s_delay_alu instid0(VALU_DEP_2)
	v_add_f32_e32 v32, 0, v37
	s_and_saveexec_b32 s53, s18
	s_cbranch_execnz .LBB72_1140
; %bb.403:                              ;   in Loop: Header=BB72_3 Depth=1
	s_or_b32 exec_lo, exec_lo, s53
	s_and_saveexec_b32 s53, s19
	s_cbranch_execnz .LBB72_1141
.LBB72_404:                             ;   in Loop: Header=BB72_3 Depth=1
	s_or_b32 exec_lo, exec_lo, s53
	s_and_saveexec_b32 s53, s20
	s_cbranch_execnz .LBB72_1142
.LBB72_405:                             ;   in Loop: Header=BB72_3 Depth=1
	s_or_b32 exec_lo, exec_lo, s53
	s_and_saveexec_b32 s53, s21
	s_cbranch_execnz .LBB72_1143
.LBB72_406:                             ;   in Loop: Header=BB72_3 Depth=1
	s_or_b32 exec_lo, exec_lo, s53
	s_and_saveexec_b32 s53, s22
	s_cbranch_execnz .LBB72_1144
.LBB72_407:                             ;   in Loop: Header=BB72_3 Depth=1
	s_or_b32 exec_lo, exec_lo, s53
	s_and_saveexec_b32 s53, s2
	s_cbranch_execnz .LBB72_1145
.LBB72_408:                             ;   in Loop: Header=BB72_3 Depth=1
	s_or_b32 exec_lo, exec_lo, s53
	s_and_saveexec_b32 s53, s17
	s_cbranch_execz .LBB72_410
.LBB72_409:                             ;   in Loop: Header=BB72_3 Depth=1
	ds_load_b64 v[34:35], v61 offset:11968
	ds_load_b64 v[36:37], v5 offset:8376
	s_wait_dscnt 0x0
	v_pk_mul_f32 v[38:39], v[36:37], v[34:35] op_sel:[0,1]
	s_delay_alu instid0(VALU_DEP_1) | instskip(SKIP_1) | instid1(VALU_DEP_2)
	v_pk_fma_f32 v[96:97], v[36:37], v[34:35], v[38:39] op_sel:[1,0,0] op_sel_hi:[0,0,1] neg_lo:[0,0,1] neg_hi:[0,0,1]
	v_pk_fma_f32 v[34:35], v[36:37], v[34:35], v[38:39] op_sel:[1,0,0] op_sel_hi:[0,1,1]
	v_mov_b32_e32 v35, v97
	s_delay_alu instid0(VALU_DEP_1)
	v_pk_add_f32 v[32:33], v[32:33], v[34:35]
.LBB72_410:                             ;   in Loop: Header=BB72_3 Depth=1
	s_or_b32 exec_lo, exec_lo, s53
	s_delay_alu instid0(VALU_DEP_1) | instskip(NEXT) | instid1(VALU_DEP_1)
	v_pk_add_f32 v[34:35], v[32:33], 0 neg_lo:[1,1] neg_hi:[1,1]
	v_dual_mov_b32 v32, v35 :: v_dual_mov_b32 v33, v34
.LBB72_411:                             ;   in Loop: Header=BB72_3 Depth=1
	s_or_b32 exec_lo, exec_lo, s64
	s_and_saveexec_b32 s53, s38
	s_cbranch_execz .LBB72_413
; %bb.412:                              ;   in Loop: Header=BB72_3 Depth=1
	ds_load_b64 v[34:35], v5 offset:12480
	v_dual_mov_b32 v36, v33 :: v_dual_mov_b32 v37, v32
	s_wait_dscnt 0x0
	s_delay_alu instid0(VALU_DEP_1) | instskip(NEXT) | instid1(VALU_DEP_1)
	v_dual_mul_f32 v38, v36, v34 :: v_dual_mul_f32 v40, v33, v35
	v_pk_fma_f32 v[36:37], v[36:37], v[34:35], v[38:39] op_sel_hi:[1,1,0]
	s_delay_alu instid0(VALU_DEP_2) | instskip(NEXT) | instid1(VALU_DEP_2)
	v_pk_fma_f32 v[32:33], v[32:33], v[34:35], v[40:41] op_sel_hi:[1,1,0] neg_lo:[0,0,1] neg_hi:[0,0,1]
	v_mov_b32_e32 v33, v37
	ds_store_b64 v58, v[32:33]
.LBB72_413:                             ;   in Loop: Header=BB72_3 Depth=1
	s_or_b32 exec_lo, exec_lo, s53
	s_wait_dscnt 0x0
	s_barrier_signal -1
	s_barrier_wait -1
	s_and_saveexec_b32 s53, s39
	s_cbranch_execz .LBB72_415
; %bb.414:                              ;   in Loop: Header=BB72_3 Depth=1
	ds_load_b64 v[34:35], v56 offset:12480
	ds_load_b64 v[36:37], v58
	s_wait_dscnt 0x0
	v_dual_mul_f32 v38, v37, v35 :: v_dual_mul_f32 v39, v36, v35
	s_delay_alu instid0(VALU_DEP_1) | instskip(NEXT) | instid1(VALU_DEP_1)
	v_dual_fma_f32 v38, v36, v34, -v38 :: v_dual_fmac_f32 v39, v37, v34
	v_pk_add_f32 v[32:33], v[32:33], v[38:39]
.LBB72_415:                             ;   in Loop: Header=BB72_3 Depth=1
	s_or_b32 exec_lo, exec_lo, s53
	s_barrier_signal -1
	s_barrier_wait -1
	s_and_saveexec_b32 s53, s40
	s_cbranch_execz .LBB72_417
; %bb.416:                              ;   in Loop: Header=BB72_3 Depth=1
	ds_load_b64 v[34:35], v5 offset:13000
	s_wait_dscnt 0x0
	v_pk_mul_f32 v[36:37], v[32:33], v[34:35] op_sel:[1,1] op_sel_hi:[1,0]
	s_delay_alu instid0(VALU_DEP_1) | instskip(SKIP_1) | instid1(VALU_DEP_2)
	v_pk_fma_f32 v[38:39], v[32:33], v[34:35], v[36:37] op_sel_hi:[0,1,1]
	v_pk_fma_f32 v[32:33], v[32:33], v[34:35], v[36:37] op_sel_hi:[0,1,1] neg_lo:[0,0,1] neg_hi:[0,0,1]
	v_mov_b32_e32 v33, v39
	ds_store_b64 v58, v[32:33]
.LBB72_417:                             ;   in Loop: Header=BB72_3 Depth=1
	s_or_b32 exec_lo, exec_lo, s53
	s_wait_dscnt 0x0
	s_barrier_signal -1
	s_barrier_wait -1
	s_and_saveexec_b32 s53, s41
	s_cbranch_execz .LBB72_419
; %bb.418:                              ;   in Loop: Header=BB72_3 Depth=1
	ds_load_b64 v[34:35], v56 offset:12992
	ds_load_b64 v[36:37], v58
	s_wait_dscnt 0x0
	v_pk_mul_f32 v[38:39], v[36:37], v[34:35] op_sel:[1,1] op_sel_hi:[0,1]
	s_delay_alu instid0(VALU_DEP_1) | instskip(SKIP_1) | instid1(VALU_DEP_2)
	v_pk_fma_f32 v[96:97], v[36:37], v[34:35], v[38:39] op_sel_hi:[1,0,1]
	v_pk_fma_f32 v[34:35], v[36:37], v[34:35], v[38:39] op_sel_hi:[1,0,1] neg_lo:[0,0,1] neg_hi:[0,0,1]
	v_mov_b32_e32 v35, v97
	s_delay_alu instid0(VALU_DEP_1)
	v_pk_add_f32 v[32:33], v[32:33], v[34:35]
.LBB72_419:                             ;   in Loop: Header=BB72_3 Depth=1
	s_or_b32 exec_lo, exec_lo, s53
	s_barrier_signal -1
	s_barrier_wait -1
	s_and_saveexec_b32 s53, s42
	s_cbranch_execz .LBB72_421
; %bb.420:                              ;   in Loop: Header=BB72_3 Depth=1
	ds_load_b64 v[34:35], v5 offset:13520
	s_wait_dscnt 0x0
	v_pk_mul_f32 v[36:37], v[32:33], v[34:35] op_sel:[1,1] op_sel_hi:[1,0]
	s_delay_alu instid0(VALU_DEP_1) | instskip(SKIP_1) | instid1(VALU_DEP_2)
	v_pk_fma_f32 v[38:39], v[32:33], v[34:35], v[36:37] op_sel_hi:[0,1,1]
	v_pk_fma_f32 v[32:33], v[32:33], v[34:35], v[36:37] op_sel_hi:[0,1,1] neg_lo:[0,0,1] neg_hi:[0,0,1]
	v_mov_b32_e32 v33, v39
	ds_store_b64 v58, v[32:33]
.LBB72_421:                             ;   in Loop: Header=BB72_3 Depth=1
	s_or_b32 exec_lo, exec_lo, s53
	s_wait_dscnt 0x0
	s_barrier_signal -1
	s_barrier_wait -1
	s_and_saveexec_b32 s53, s43
	s_cbranch_execz .LBB72_423
; %bb.422:                              ;   in Loop: Header=BB72_3 Depth=1
	ds_load_b64 v[34:35], v56 offset:13504
	ds_load_b64 v[36:37], v58
	s_wait_dscnt 0x0
	v_pk_mul_f32 v[38:39], v[36:37], v[34:35] op_sel:[1,1] op_sel_hi:[0,1]
	s_delay_alu instid0(VALU_DEP_1) | instskip(SKIP_1) | instid1(VALU_DEP_2)
	v_pk_fma_f32 v[96:97], v[36:37], v[34:35], v[38:39] op_sel_hi:[1,0,1]
	v_pk_fma_f32 v[34:35], v[36:37], v[34:35], v[38:39] op_sel_hi:[1,0,1] neg_lo:[0,0,1] neg_hi:[0,0,1]
	v_mov_b32_e32 v35, v97
	s_delay_alu instid0(VALU_DEP_1)
	v_pk_add_f32 v[32:33], v[32:33], v[34:35]
.LBB72_423:                             ;   in Loop: Header=BB72_3 Depth=1
	;; [unrolled: 33-line block ×3, first 2 shown]
	s_or_b32 exec_lo, exec_lo, s53
	s_barrier_signal -1
	s_barrier_wait -1
	s_and_saveexec_b32 s53, s46
	s_cbranch_execz .LBB72_429
; %bb.428:                              ;   in Loop: Header=BB72_3 Depth=1
	ds_load_b64 v[34:35], v5 offset:14560
	s_wait_dscnt 0x0
	v_dual_mul_f32 v36, v32, v35 :: v_dual_mul_f32 v38, v33, v35
	s_delay_alu instid0(VALU_DEP_1) | instskip(NEXT) | instid1(VALU_DEP_2)
	v_pk_fma_f32 v[36:37], v[32:33], v[34:35], v[36:37] op_sel:[0,1,0] op_sel_hi:[1,0,0]
	v_pk_fma_f32 v[34:35], v[32:33], v[34:35], v[38:39] op_sel_hi:[1,1,0] neg_lo:[0,0,1] neg_hi:[0,0,1]
	s_delay_alu instid0(VALU_DEP_2) | instskip(NEXT) | instid1(VALU_DEP_1)
	v_mov_b32_e32 v35, v37
	v_mov_b64_e32 v[32:33], v[34:35]
	ds_store_b64 v58, v[34:35]
.LBB72_429:                             ;   in Loop: Header=BB72_3 Depth=1
	s_or_b32 exec_lo, exec_lo, s53
	s_wait_dscnt 0x0
	s_barrier_signal -1
	s_barrier_wait -1
	s_and_saveexec_b32 s53, s47
	s_cbranch_execz .LBB72_431
; %bb.430:                              ;   in Loop: Header=BB72_3 Depth=1
	ds_load_b64 v[34:35], v56 offset:14528
	ds_load_b64 v[36:37], v58
	s_wait_dscnt 0x0
	v_dual_mul_f32 v38, v37, v35 :: v_dual_mul_f32 v39, v36, v35
	s_delay_alu instid0(VALU_DEP_1) | instskip(NEXT) | instid1(VALU_DEP_1)
	v_dual_fma_f32 v38, v36, v34, -v38 :: v_dual_fmac_f32 v39, v37, v34
	v_pk_add_f32 v[32:33], v[32:33], v[38:39]
.LBB72_431:                             ;   in Loop: Header=BB72_3 Depth=1
	s_or_b32 exec_lo, exec_lo, s53
	s_barrier_signal -1
	s_barrier_wait -1
	s_and_saveexec_b32 s53, s48
	s_cbranch_execz .LBB72_433
; %bb.432:                              ;   in Loop: Header=BB72_3 Depth=1
	ds_load_b64 v[34:35], v5 offset:15080
	s_wait_dscnt 0x0
	v_pk_mul_f32 v[36:37], v[32:33], v[34:35] op_sel:[1,1] op_sel_hi:[1,0]
	s_delay_alu instid0(VALU_DEP_1) | instskip(SKIP_1) | instid1(VALU_DEP_2)
	v_pk_fma_f32 v[38:39], v[32:33], v[34:35], v[36:37] op_sel_hi:[0,1,1]
	v_pk_fma_f32 v[34:35], v[32:33], v[34:35], v[36:37] neg_lo:[0,0,1] neg_hi:[0,0,1]
	v_mov_b32_e32 v35, v39
	s_delay_alu instid0(VALU_DEP_1)
	v_mov_b64_e32 v[32:33], v[34:35]
	ds_store_b64 v58, v[34:35]
.LBB72_433:                             ;   in Loop: Header=BB72_3 Depth=1
	s_or_b32 exec_lo, exec_lo, s53
	s_wait_dscnt 0x0
	s_barrier_signal -1
	s_barrier_wait -1
	s_and_saveexec_b32 s53, s49
	s_cbranch_execz .LBB72_435
; %bb.434:                              ;   in Loop: Header=BB72_3 Depth=1
	ds_load_b64 v[34:35], v56 offset:15040
	ds_load_b64 v[36:37], v58
	s_wait_dscnt 0x0
	v_pk_mul_f32 v[38:39], v[36:37], v[34:35] op_sel:[1,1] op_sel_hi:[0,1]
	s_delay_alu instid0(VALU_DEP_1) | instskip(SKIP_1) | instid1(VALU_DEP_2)
	v_pk_fma_f32 v[96:97], v[36:37], v[34:35], v[38:39] op_sel_hi:[1,0,1]
	v_pk_fma_f32 v[34:35], v[36:37], v[34:35], v[38:39] neg_lo:[0,0,1] neg_hi:[0,0,1]
	v_mov_b32_e32 v35, v97
	s_delay_alu instid0(VALU_DEP_1)
	v_pk_add_f32 v[32:33], v[32:33], v[34:35]
.LBB72_435:                             ;   in Loop: Header=BB72_3 Depth=1
	s_or_b32 exec_lo, exec_lo, s53
	s_barrier_signal -1
	s_barrier_wait -1
	s_and_saveexec_b32 s53, s50
	s_cbranch_execz .LBB72_437
; %bb.436:                              ;   in Loop: Header=BB72_3 Depth=1
	ds_load_b64 v[34:35], v5 offset:15600
	s_wait_dscnt 0x0
	v_pk_mul_f32 v[36:37], v[32:33], v[34:35] op_sel:[1,1] op_sel_hi:[1,0]
	s_delay_alu instid0(VALU_DEP_1) | instskip(SKIP_1) | instid1(VALU_DEP_2)
	v_pk_fma_f32 v[38:39], v[32:33], v[34:35], v[36:37] op_sel_hi:[0,1,1]
	v_pk_fma_f32 v[34:35], v[32:33], v[34:35], v[36:37] neg_lo:[0,0,1] neg_hi:[0,0,1]
	v_mov_b32_e32 v35, v39
	s_delay_alu instid0(VALU_DEP_1)
	v_mov_b64_e32 v[32:33], v[34:35]
	ds_store_b64 v58, v[34:35]
.LBB72_437:                             ;   in Loop: Header=BB72_3 Depth=1
	s_or_b32 exec_lo, exec_lo, s53
	s_wait_dscnt 0x0
	s_barrier_signal -1
	s_barrier_wait -1
	s_and_saveexec_b32 s53, s51
	s_cbranch_execz .LBB72_439
; %bb.438:                              ;   in Loop: Header=BB72_3 Depth=1
	ds_load_b64 v[34:35], v5 offset:15608
	ds_load_b64 v[36:37], v58
	s_wait_dscnt 0x0
	v_pk_mul_f32 v[38:39], v[36:37], v[34:35] op_sel:[1,1] op_sel_hi:[0,1]
	s_delay_alu instid0(VALU_DEP_1) | instskip(SKIP_1) | instid1(VALU_DEP_2)
	v_pk_fma_f32 v[96:97], v[36:37], v[34:35], v[38:39] op_sel_hi:[1,0,1]
	v_pk_fma_f32 v[34:35], v[36:37], v[34:35], v[38:39] neg_lo:[0,0,1] neg_hi:[0,0,1]
	v_mov_b32_e32 v35, v97
	s_delay_alu instid0(VALU_DEP_1)
	v_pk_add_f32 v[32:33], v[32:33], v[34:35]
.LBB72_439:                             ;   in Loop: Header=BB72_3 Depth=1
	s_or_b32 exec_lo, exec_lo, s53
	s_barrier_signal -1
	s_barrier_wait -1
	s_and_saveexec_b32 s53, s51
	s_cbranch_execz .LBB72_441
; %bb.440:                              ;   in Loop: Header=BB72_3 Depth=1
	ds_load_b64 v[34:35], v5 offset:16120
	s_wait_dscnt 0x0
	v_pk_mul_f32 v[36:37], v[32:33], v[34:35] op_sel:[1,1] op_sel_hi:[1,0]
	s_delay_alu instid0(VALU_DEP_1) | instskip(SKIP_1) | instid1(VALU_DEP_2)
	v_pk_fma_f32 v[38:39], v[32:33], v[34:35], v[36:37] op_sel_hi:[0,1,1]
	v_pk_fma_f32 v[34:35], v[32:33], v[34:35], v[36:37] neg_lo:[0,0,1] neg_hi:[0,0,1]
	v_mov_b32_e32 v35, v39
	s_delay_alu instid0(VALU_DEP_1)
	v_mov_b64_e32 v[32:33], v[34:35]
	ds_store_b64 v58, v[34:35]
.LBB72_441:                             ;   in Loop: Header=BB72_3 Depth=1
	s_or_b32 exec_lo, exec_lo, s53
	s_wait_dscnt 0x0
	s_barrier_signal -1
	s_barrier_wait -1
	s_barrier_signal -1
	s_barrier_wait -1
	s_and_saveexec_b32 s53, s3
; %bb.442:                              ;   in Loop: Header=BB72_3 Depth=1
	v_pk_add_f32 v[32:33], v[32:33], 0 neg_lo:[1,1] neg_hi:[1,1]
	ds_store_b64 v59, v[32:33] offset:8384
; %bb.443:                              ;   in Loop: Header=BB72_3 Depth=1
	s_or_b32 exec_lo, exec_lo, s53
	s_wait_dscnt 0x0
	s_barrier_signal -1
	s_barrier_wait -1
	s_barrier_signal -1
	s_barrier_wait -1
	s_and_saveexec_b32 s53, s52
	s_cbranch_execz .LBB72_445
; %bb.444:                              ;   in Loop: Header=BB72_3 Depth=1
	ds_load_b64 v[32:33], v62 offset:8384
	s_wait_dscnt 0x0
	ds_store_b64 v63, v[32:33] offset:12416
	ds_load_b64 v[32:33], v62 offset:8392
	s_wait_dscnt 0x0
	ds_store_b64 v63, v[32:33] offset:12928
	;; [unrolled: 3-line block ×8, first 2 shown]
.LBB72_445:                             ;   in Loop: Header=BB72_3 Depth=1
	s_or_b32 exec_lo, exec_lo, s53
	s_wait_dscnt 0x0
	s_barrier_signal -1
	s_barrier_wait -1
	s_and_saveexec_b32 s53, s14
	s_cbranch_execz .LBB72_447
; %bb.446:                              ;   in Loop: Header=BB72_3 Depth=1
	ds_load_b128 v[32:35], v5 offset:12480
	ds_load_b64 v[36:37], v5 offset:13000
	s_wait_dscnt 0x1
	v_dual_mov_b32 v96, v35 :: v_dual_mov_b32 v97, v34
	s_wait_dscnt 0x0
	v_dual_mul_f32 v39, v37, v33 :: v_dual_mul_f32 v38, v36, v33
	s_delay_alu instid0(VALU_DEP_1) | instskip(NEXT) | instid1(VALU_DEP_1)
	v_xor_b32_e32 v40, 0x80000000, v39
	v_dual_fmac_f32 v38, v37, v32 :: v_dual_fmac_f32 v40, v36, v32
	s_delay_alu instid0(VALU_DEP_1) | instskip(NEXT) | instid1(VALU_DEP_1)
	v_pk_mul_f32 v[32:33], v[38:39], v[96:97] op_sel_hi:[0,1]
	v_pk_fma_f32 v[36:37], v[40:41], v[34:35], v[32:33] op_sel_hi:[0,1,1]
	v_pk_fma_f32 v[32:33], v[40:41], v[34:35], v[32:33] neg_lo:[0,0,1] neg_hi:[0,0,1]
	v_add_nc_u32_e64 v34, 0x3000, 0
	s_delay_alu instid0(VALU_DEP_3)
	v_mov_b32_e32 v33, v37
	ds_store_2addr_b64 v34, v[32:33], v[32:33] offset0:25 offset1:88
.LBB72_447:                             ;   in Loop: Header=BB72_3 Depth=1
	s_or_b32 exec_lo, exec_lo, s53
	v_mov_b32_e32 v33, 0
	s_wait_dscnt 0x0
	s_barrier_signal -1
	s_barrier_wait -1
	s_delay_alu instid0(VALU_DEP_1)
	v_mov_b32_e32 v32, v33
	s_and_saveexec_b32 s53, s0
	s_cbranch_execz .LBB72_451
; %bb.448:                              ;   in Loop: Header=BB72_3 Depth=1
	ds_load_b64 v[32:33], v42 offset:12496
	ds_load_b64 v[34:35], v43 offset:12480
	s_wait_dscnt 0x0
	v_dual_mul_f32 v36, v35, v33 :: v_dual_mul_f32 v37, v34, v33
	s_delay_alu instid0(VALU_DEP_1) | instskip(NEXT) | instid1(VALU_DEP_1)
	v_dual_fma_f32 v36, v34, v32, -v36 :: v_dual_fmac_f32 v37, v35, v32
	v_pk_add_f32 v[32:33], v[36:37], 0 op_sel_hi:[1,0]
	s_and_saveexec_b32 s54, s15
	s_cbranch_execz .LBB72_450
; %bb.449:                              ;   in Loop: Header=BB72_3 Depth=1
	ds_load_b64 v[34:35], v63 offset:13008
	ds_load_b64 v[36:37], v5 offset:12488
	s_wait_dscnt 0x0
	v_pk_mul_f32 v[38:39], v[36:37], v[34:35] op_sel:[1,1] op_sel_hi:[0,1]
	s_delay_alu instid0(VALU_DEP_1) | instskip(SKIP_1) | instid1(VALU_DEP_2)
	v_pk_fma_f32 v[96:97], v[36:37], v[34:35], v[38:39] op_sel_hi:[1,0,1]
	v_pk_fma_f32 v[34:35], v[36:37], v[34:35], v[38:39] neg_lo:[0,0,1] neg_hi:[0,0,1]
	v_mov_b32_e32 v35, v97
	s_delay_alu instid0(VALU_DEP_1)
	v_pk_add_f32 v[32:33], v[32:33], v[34:35]
.LBB72_450:                             ;   in Loop: Header=BB72_3 Depth=1
	s_or_b32 exec_lo, exec_lo, s54
	s_delay_alu instid0(VALU_DEP_1)
	v_pk_add_f32 v[32:33], v[32:33], 0 neg_lo:[1,1] neg_hi:[1,1]
.LBB72_451:                             ;   in Loop: Header=BB72_3 Depth=1
	s_or_b32 exec_lo, exec_lo, s53
	s_and_saveexec_b32 s53, s96
	s_cbranch_execz .LBB72_453
; %bb.452:                              ;   in Loop: Header=BB72_3 Depth=1
	ds_load_b64 v[34:35], v5 offset:13520
	s_wait_dscnt 0x0
	v_pk_mul_f32 v[36:37], v[32:33], v[34:35] op_sel:[1,1] op_sel_hi:[1,0]
	s_delay_alu instid0(VALU_DEP_1) | instskip(SKIP_1) | instid1(VALU_DEP_2)
	v_pk_fma_f32 v[38:39], v[32:33], v[34:35], v[36:37] op_sel_hi:[0,1,1]
	v_pk_fma_f32 v[34:35], v[32:33], v[34:35], v[36:37] neg_lo:[0,0,1] neg_hi:[0,0,1]
	v_mov_b32_e32 v35, v39
	s_delay_alu instid0(VALU_DEP_1)
	v_mov_b64_e32 v[32:33], v[34:35]
	ds_store_b64 v3, v[34:35]
.LBB72_453:                             ;   in Loop: Header=BB72_3 Depth=1
	s_or_b32 exec_lo, exec_lo, s53
	s_wait_dscnt 0x0
	s_barrier_signal -1
	s_barrier_wait -1
	s_and_saveexec_b32 s53, s97
	s_cbranch_execz .LBB72_455
; %bb.454:                              ;   in Loop: Header=BB72_3 Depth=1
	ds_load_b64 v[34:35], v5 offset:13528
	ds_load_b64 v[36:37], v3
	s_wait_dscnt 0x0
	v_pk_mul_f32 v[38:39], v[36:37], v[34:35] op_sel:[1,1] op_sel_hi:[0,1]
	s_delay_alu instid0(VALU_DEP_1) | instskip(SKIP_1) | instid1(VALU_DEP_2)
	v_pk_fma_f32 v[96:97], v[36:37], v[34:35], v[38:39] op_sel_hi:[1,0,1]
	v_pk_fma_f32 v[34:35], v[36:37], v[34:35], v[38:39] neg_lo:[0,0,1] neg_hi:[0,0,1]
	v_mov_b32_e32 v35, v97
	s_delay_alu instid0(VALU_DEP_1)
	v_pk_add_f32 v[32:33], v[32:33], v[34:35]
.LBB72_455:                             ;   in Loop: Header=BB72_3 Depth=1
	s_or_b32 exec_lo, exec_lo, s53
	s_barrier_signal -1
	s_barrier_wait -1
	s_and_saveexec_b32 s53, s97
	s_cbranch_execz .LBB72_457
; %bb.456:                              ;   in Loop: Header=BB72_3 Depth=1
	ds_load_b64 v[34:35], v5 offset:14040
	s_wait_dscnt 0x0
	v_pk_mul_f32 v[36:37], v[32:33], v[34:35] op_sel:[1,1] op_sel_hi:[1,0]
	s_delay_alu instid0(VALU_DEP_1) | instskip(SKIP_1) | instid1(VALU_DEP_2)
	v_pk_fma_f32 v[38:39], v[32:33], v[34:35], v[36:37] op_sel_hi:[0,1,1]
	v_pk_fma_f32 v[34:35], v[32:33], v[34:35], v[36:37] neg_lo:[0,0,1] neg_hi:[0,0,1]
	v_mov_b32_e32 v35, v39
	s_delay_alu instid0(VALU_DEP_1)
	v_mov_b64_e32 v[32:33], v[34:35]
	ds_store_b64 v3, v[34:35]
.LBB72_457:                             ;   in Loop: Header=BB72_3 Depth=1
	s_or_b32 exec_lo, exec_lo, s53
	s_wait_dscnt 0x0
	s_barrier_signal -1
	s_barrier_wait -1
	s_barrier_signal -1
	s_barrier_wait -1
	s_and_saveexec_b32 s53, s0
; %bb.458:                              ;   in Loop: Header=BB72_3 Depth=1
	v_pk_add_f32 v[32:33], v[32:33], 0 neg_lo:[1,1] neg_hi:[1,1]
	ds_store_b64 v42, v[32:33] offset:12496
; %bb.459:                              ;   in Loop: Header=BB72_3 Depth=1
	s_or_b32 exec_lo, exec_lo, s53
	s_wait_dscnt 0x0
	s_barrier_signal -1
	s_barrier_wait -1
	s_barrier_signal -1
	s_barrier_wait -1
	s_and_saveexec_b32 s53, s98
	s_cbranch_execz .LBB72_461
; %bb.460:                              ;   in Loop: Header=BB72_3 Depth=1
	ds_load_b64 v[32:33], v65 offset:12496
	s_wait_dscnt 0x0
	ds_store_b64 v63, v[32:33] offset:13504
	ds_load_b64 v[32:33], v65 offset:12504
	s_wait_dscnt 0x0
	ds_store_b64 v63, v[32:33] offset:14016
.LBB72_461:                             ;   in Loop: Header=BB72_3 Depth=1
	s_or_b32 exec_lo, exec_lo, s53
	s_wait_dscnt 0x0
	s_barrier_signal -1
	s_barrier_wait -1
	s_and_saveexec_b32 s53, s14
	s_cbranch_execz .LBB72_463
; %bb.462:                              ;   in Loop: Header=BB72_3 Depth=1
	ds_load_b128 v[32:35], v5 offset:13520
	ds_load_b64 v[36:37], v5 offset:14040
	s_wait_dscnt 0x1
	v_dual_mov_b32 v96, v35 :: v_dual_mov_b32 v97, v34
	s_wait_dscnt 0x0
	v_dual_mul_f32 v39, v37, v33 :: v_dual_mul_f32 v38, v36, v33
	s_delay_alu instid0(VALU_DEP_1) | instskip(NEXT) | instid1(VALU_DEP_1)
	v_xor_b32_e32 v40, 0x80000000, v39
	v_dual_fmac_f32 v38, v37, v32 :: v_dual_fmac_f32 v40, v36, v32
	s_delay_alu instid0(VALU_DEP_1) | instskip(NEXT) | instid1(VALU_DEP_1)
	v_pk_mul_f32 v[32:33], v[38:39], v[96:97] op_sel_hi:[0,1]
	v_pk_fma_f32 v[36:37], v[40:41], v[34:35], v[32:33] op_sel_hi:[0,1,1]
	v_pk_fma_f32 v[32:33], v[40:41], v[34:35], v[32:33] neg_lo:[0,0,1] neg_hi:[0,0,1]
	v_add_nc_u32_e64 v34, 0x3000, 0
	s_delay_alu instid0(VALU_DEP_3)
	v_mov_b32_e32 v33, v37
	ds_store_2addr_b64 v34, v[32:33], v[32:33] offset0:155 offset1:218
.LBB72_463:                             ;   in Loop: Header=BB72_3 Depth=1
	s_or_b32 exec_lo, exec_lo, s53
	v_mov_b32_e32 v32, 0
	s_wait_dscnt 0x0
	s_barrier_signal -1
	s_barrier_wait -1
	s_delay_alu instid0(VALU_DEP_1)
	v_mov_b32_e32 v33, v32
	s_and_saveexec_b32 s64, s2
	s_cbranch_execz .LBB72_469
; %bb.464:                              ;   in Loop: Header=BB72_3 Depth=1
	ds_load_b64 v[32:33], v49 offset:12512
	ds_load_b64 v[34:35], v45 offset:12480
	s_wait_dscnt 0x0
	v_pk_mul_f32 v[36:37], v[34:35], v[32:33] op_sel:[0,1]
	s_delay_alu instid0(VALU_DEP_1) | instskip(SKIP_1) | instid1(VALU_DEP_2)
	v_pk_fma_f32 v[38:39], v[34:35], v[32:33], v[36:37] op_sel:[1,0,0] op_sel_hi:[0,0,1] neg_lo:[0,0,1] neg_hi:[0,0,1]
	v_pk_fma_f32 v[32:33], v[34:35], v[32:33], v[36:37] op_sel:[1,0,0] op_sel_hi:[0,1,1]
	v_mov_b32_e32 v33, v39
	s_delay_alu instid0(VALU_DEP_1)
	v_pk_add_f32 v[32:33], v[32:33], 0 op_sel_hi:[1,0]
	s_and_saveexec_b32 s53, s16
	s_cbranch_execnz .LBB72_1146
; %bb.465:                              ;   in Loop: Header=BB72_3 Depth=1
	s_or_b32 exec_lo, exec_lo, s53
	s_and_saveexec_b32 s53, s17
	s_cbranch_execnz .LBB72_1147
.LBB72_466:                             ;   in Loop: Header=BB72_3 Depth=1
	s_or_b32 exec_lo, exec_lo, s53
	s_and_saveexec_b32 s53, s0
	s_cbranch_execz .LBB72_468
.LBB72_467:                             ;   in Loop: Header=BB72_3 Depth=1
	ds_load_b64 v[34:35], v73 offset:14048
	ds_load_b64 v[36:37], v5 offset:12504
	s_wait_dscnt 0x0
	v_pk_mul_f32 v[38:39], v[36:37], v[34:35] op_sel:[0,1]
	s_delay_alu instid0(VALU_DEP_1) | instskip(SKIP_1) | instid1(VALU_DEP_2)
	v_pk_fma_f32 v[96:97], v[36:37], v[34:35], v[38:39] op_sel:[1,0,0] op_sel_hi:[0,0,1] neg_lo:[0,0,1] neg_hi:[0,0,1]
	v_pk_fma_f32 v[34:35], v[36:37], v[34:35], v[38:39] op_sel:[1,0,0] op_sel_hi:[0,1,1]
	v_mov_b32_e32 v35, v97
	s_delay_alu instid0(VALU_DEP_1)
	v_pk_add_f32 v[32:33], v[32:33], v[34:35]
.LBB72_468:                             ;   in Loop: Header=BB72_3 Depth=1
	s_or_b32 exec_lo, exec_lo, s53
	s_delay_alu instid0(VALU_DEP_1) | instskip(NEXT) | instid1(VALU_DEP_1)
	v_pk_add_f32 v[34:35], v[32:33], 0 neg_lo:[1,1] neg_hi:[1,1]
	v_dual_mov_b32 v32, v35 :: v_dual_mov_b32 v33, v34
.LBB72_469:                             ;   in Loop: Header=BB72_3 Depth=1
	s_or_b32 exec_lo, exec_lo, s64
	s_and_saveexec_b32 s53, s99
	s_cbranch_execz .LBB72_471
; %bb.470:                              ;   in Loop: Header=BB72_3 Depth=1
	ds_load_b64 v[34:35], v5 offset:14560
	v_dual_mov_b32 v36, v33 :: v_dual_mov_b32 v37, v32
	s_wait_dscnt 0x0
	s_delay_alu instid0(VALU_DEP_1) | instskip(NEXT) | instid1(VALU_DEP_1)
	v_dual_mul_f32 v38, v36, v34 :: v_dual_mul_f32 v40, v33, v35
	v_pk_fma_f32 v[36:37], v[36:37], v[34:35], v[38:39] op_sel_hi:[1,1,0]
	s_delay_alu instid0(VALU_DEP_2) | instskip(NEXT) | instid1(VALU_DEP_2)
	v_pk_fma_f32 v[32:33], v[32:33], v[34:35], v[40:41] op_sel_hi:[1,1,0] neg_lo:[0,0,1] neg_hi:[0,0,1]
	v_mov_b32_e32 v33, v37
	ds_store_b64 v48, v[32:33]
.LBB72_471:                             ;   in Loop: Header=BB72_3 Depth=1
	s_or_b32 exec_lo, exec_lo, s53
	s_wait_dscnt 0x0
	s_barrier_signal -1
	s_barrier_wait -1
	s_and_saveexec_b32 s53, s100
	s_cbranch_execz .LBB72_473
; %bb.472:                              ;   in Loop: Header=BB72_3 Depth=1
	ds_load_b64 v[34:35], v46 offset:14560
	ds_load_b64 v[36:37], v48
	s_wait_dscnt 0x0
	v_dual_mul_f32 v38, v37, v35 :: v_dual_mul_f32 v39, v36, v35
	s_delay_alu instid0(VALU_DEP_1) | instskip(NEXT) | instid1(VALU_DEP_1)
	v_dual_fma_f32 v38, v36, v34, -v38 :: v_dual_fmac_f32 v39, v37, v34
	v_pk_add_f32 v[32:33], v[32:33], v[38:39]
.LBB72_473:                             ;   in Loop: Header=BB72_3 Depth=1
	s_or_b32 exec_lo, exec_lo, s53
	s_barrier_signal -1
	s_barrier_wait -1
	s_and_saveexec_b32 s53, s101
	s_cbranch_execz .LBB72_475
; %bb.474:                              ;   in Loop: Header=BB72_3 Depth=1
	ds_load_b64 v[34:35], v5 offset:15080
	s_wait_dscnt 0x0
	v_pk_mul_f32 v[36:37], v[32:33], v[34:35] op_sel:[1,1] op_sel_hi:[1,0]
	s_delay_alu instid0(VALU_DEP_1) | instskip(SKIP_1) | instid1(VALU_DEP_2)
	v_pk_fma_f32 v[38:39], v[32:33], v[34:35], v[36:37] op_sel_hi:[0,1,1]
	v_pk_fma_f32 v[34:35], v[32:33], v[34:35], v[36:37] neg_lo:[0,0,1] neg_hi:[0,0,1]
	v_mov_b32_e32 v35, v39
	s_delay_alu instid0(VALU_DEP_1)
	v_mov_b64_e32 v[32:33], v[34:35]
	ds_store_b64 v48, v[34:35]
.LBB72_475:                             ;   in Loop: Header=BB72_3 Depth=1
	s_or_b32 exec_lo, exec_lo, s53
	s_wait_dscnt 0x0
	s_barrier_signal -1
	s_barrier_wait -1
	s_and_saveexec_b32 s53, s102
	s_cbranch_execz .LBB72_477
; %bb.476:                              ;   in Loop: Header=BB72_3 Depth=1
	ds_load_b64 v[34:35], v46 offset:15072
	ds_load_b64 v[36:37], v48
	s_wait_dscnt 0x0
	v_pk_mul_f32 v[38:39], v[36:37], v[34:35] op_sel:[1,1] op_sel_hi:[0,1]
	s_delay_alu instid0(VALU_DEP_1) | instskip(SKIP_1) | instid1(VALU_DEP_2)
	v_pk_fma_f32 v[96:97], v[36:37], v[34:35], v[38:39] op_sel_hi:[1,0,1]
	v_pk_fma_f32 v[34:35], v[36:37], v[34:35], v[38:39] neg_lo:[0,0,1] neg_hi:[0,0,1]
	v_mov_b32_e32 v35, v97
	s_delay_alu instid0(VALU_DEP_1)
	v_pk_add_f32 v[32:33], v[32:33], v[34:35]
.LBB72_477:                             ;   in Loop: Header=BB72_3 Depth=1
	s_or_b32 exec_lo, exec_lo, s53
	s_barrier_signal -1
	s_barrier_wait -1
	s_and_saveexec_b32 s53, s103
	s_cbranch_execz .LBB72_479
; %bb.478:                              ;   in Loop: Header=BB72_3 Depth=1
	ds_load_b64 v[34:35], v5 offset:15600
	s_wait_dscnt 0x0
	v_pk_mul_f32 v[36:37], v[32:33], v[34:35] op_sel:[1,1] op_sel_hi:[1,0]
	s_delay_alu instid0(VALU_DEP_1) | instskip(SKIP_1) | instid1(VALU_DEP_2)
	v_pk_fma_f32 v[38:39], v[32:33], v[34:35], v[36:37] op_sel_hi:[0,1,1]
	v_pk_fma_f32 v[34:35], v[32:33], v[34:35], v[36:37] neg_lo:[0,0,1] neg_hi:[0,0,1]
	v_mov_b32_e32 v35, v39
	s_delay_alu instid0(VALU_DEP_1)
	v_mov_b64_e32 v[32:33], v[34:35]
	ds_store_b64 v48, v[34:35]
.LBB72_479:                             ;   in Loop: Header=BB72_3 Depth=1
	s_or_b32 exec_lo, exec_lo, s53
	s_wait_dscnt 0x0
	s_barrier_signal -1
	s_barrier_wait -1
	s_and_saveexec_b32 s53, s104
	s_cbranch_execz .LBB72_481
; %bb.480:                              ;   in Loop: Header=BB72_3 Depth=1
	ds_load_b64 v[34:35], v5 offset:15608
	ds_load_b64 v[36:37], v48
	s_wait_dscnt 0x0
	v_pk_mul_f32 v[38:39], v[36:37], v[34:35] op_sel:[1,1] op_sel_hi:[0,1]
	s_delay_alu instid0(VALU_DEP_1) | instskip(SKIP_1) | instid1(VALU_DEP_2)
	v_pk_fma_f32 v[96:97], v[36:37], v[34:35], v[38:39] op_sel_hi:[1,0,1]
	v_pk_fma_f32 v[34:35], v[36:37], v[34:35], v[38:39] neg_lo:[0,0,1] neg_hi:[0,0,1]
	v_mov_b32_e32 v35, v97
	s_delay_alu instid0(VALU_DEP_1)
	v_pk_add_f32 v[32:33], v[32:33], v[34:35]
.LBB72_481:                             ;   in Loop: Header=BB72_3 Depth=1
	s_or_b32 exec_lo, exec_lo, s53
	s_barrier_signal -1
	s_barrier_wait -1
	s_and_saveexec_b32 s53, s104
	s_cbranch_execz .LBB72_483
; %bb.482:                              ;   in Loop: Header=BB72_3 Depth=1
	ds_load_b64 v[34:35], v5 offset:16120
	s_wait_dscnt 0x0
	v_pk_mul_f32 v[36:37], v[32:33], v[34:35] op_sel:[1,1] op_sel_hi:[1,0]
	s_delay_alu instid0(VALU_DEP_1) | instskip(SKIP_1) | instid1(VALU_DEP_2)
	v_pk_fma_f32 v[38:39], v[32:33], v[34:35], v[36:37] op_sel_hi:[0,1,1]
	v_pk_fma_f32 v[34:35], v[32:33], v[34:35], v[36:37] neg_lo:[0,0,1] neg_hi:[0,0,1]
	v_mov_b32_e32 v35, v39
	s_delay_alu instid0(VALU_DEP_1)
	v_mov_b64_e32 v[32:33], v[34:35]
	ds_store_b64 v48, v[34:35]
.LBB72_483:                             ;   in Loop: Header=BB72_3 Depth=1
	s_or_b32 exec_lo, exec_lo, s53
	s_wait_dscnt 0x0
	s_barrier_signal -1
	s_barrier_wait -1
	s_barrier_signal -1
	s_barrier_wait -1
	s_and_saveexec_b32 s53, s2
; %bb.484:                              ;   in Loop: Header=BB72_3 Depth=1
	v_pk_add_f32 v[32:33], v[32:33], 0 neg_lo:[1,1] neg_hi:[1,1]
	ds_store_b64 v49, v[32:33] offset:12512
; %bb.485:                              ;   in Loop: Header=BB72_3 Depth=1
	s_or_b32 exec_lo, exec_lo, s53
	s_wait_dscnt 0x0
	s_barrier_signal -1
	s_barrier_wait -1
	s_barrier_signal -1
	s_barrier_wait -1
	s_and_saveexec_b32 s53, vcc_hi
	s_cbranch_execz .LBB72_487
; %bb.486:                              ;   in Loop: Header=BB72_3 Depth=1
	ds_load_b64 v[32:33], v74 offset:12512
	s_wait_dscnt 0x0
	ds_store_b64 v79, v[32:33] offset:14528
	ds_load_b64 v[32:33], v74 offset:12520
	s_wait_dscnt 0x0
	ds_store_b64 v79, v[32:33] offset:15040
	;; [unrolled: 3-line block ×4, first 2 shown]
.LBB72_487:                             ;   in Loop: Header=BB72_3 Depth=1
	s_or_b32 exec_lo, exec_lo, s53
	s_wait_dscnt 0x0
	s_barrier_signal -1
	s_barrier_wait -1
	s_and_saveexec_b32 s53, s14
	s_cbranch_execz .LBB72_489
; %bb.488:                              ;   in Loop: Header=BB72_3 Depth=1
	ds_load_b128 v[32:35], v5 offset:14560
	ds_load_b64 v[36:37], v5 offset:15080
	s_wait_dscnt 0x1
	v_dual_mov_b32 v96, v35 :: v_dual_mov_b32 v97, v34
	s_wait_dscnt 0x0
	v_dual_mul_f32 v39, v37, v33 :: v_dual_mul_f32 v38, v36, v33
	s_delay_alu instid0(VALU_DEP_1) | instskip(NEXT) | instid1(VALU_DEP_1)
	v_xor_b32_e32 v40, 0x80000000, v39
	v_dual_fmac_f32 v38, v37, v32 :: v_dual_fmac_f32 v40, v36, v32
	s_delay_alu instid0(VALU_DEP_1) | instskip(NEXT) | instid1(VALU_DEP_1)
	v_pk_mul_f32 v[32:33], v[38:39], v[96:97] op_sel_hi:[0,1]
	v_pk_fma_f32 v[36:37], v[40:41], v[34:35], v[32:33] op_sel_hi:[0,1,1]
	v_pk_fma_f32 v[32:33], v[40:41], v[34:35], v[32:33] neg_lo:[0,0,1] neg_hi:[0,0,1]
	v_add_nc_u32_e64 v34, 0x3800, 0
	s_delay_alu instid0(VALU_DEP_3)
	v_mov_b32_e32 v33, v37
	ds_store_2addr_b64 v34, v[32:33], v[32:33] offset0:29 offset1:92
.LBB72_489:                             ;   in Loop: Header=BB72_3 Depth=1
	s_or_b32 exec_lo, exec_lo, s53
	v_mov_b32_e32 v33, 0
	s_wait_dscnt 0x0
	s_barrier_signal -1
	s_barrier_wait -1
	s_delay_alu instid0(VALU_DEP_1)
	v_mov_b32_e32 v32, v33
	s_and_saveexec_b32 s53, s0
	s_cbranch_execz .LBB72_493
; %bb.490:                              ;   in Loop: Header=BB72_3 Depth=1
	ds_load_b64 v[32:33], v42 offset:14576
	ds_load_b64 v[34:35], v43 offset:14560
	s_wait_dscnt 0x0
	v_dual_mul_f32 v36, v35, v33 :: v_dual_mul_f32 v37, v34, v33
	s_delay_alu instid0(VALU_DEP_1) | instskip(NEXT) | instid1(VALU_DEP_1)
	v_dual_fma_f32 v36, v34, v32, -v36 :: v_dual_fmac_f32 v37, v35, v32
	v_pk_add_f32 v[32:33], v[36:37], 0 op_sel_hi:[1,0]
	s_and_saveexec_b32 s54, s15
	s_cbranch_execz .LBB72_492
; %bb.491:                              ;   in Loop: Header=BB72_3 Depth=1
	ds_load_b64 v[34:35], v79 offset:15088
	ds_load_b64 v[36:37], v5 offset:14568
	s_wait_dscnt 0x0
	v_pk_mul_f32 v[38:39], v[36:37], v[34:35] op_sel:[1,1] op_sel_hi:[0,1]
	s_delay_alu instid0(VALU_DEP_1) | instskip(SKIP_1) | instid1(VALU_DEP_2)
	v_pk_fma_f32 v[96:97], v[36:37], v[34:35], v[38:39] op_sel_hi:[1,0,1]
	v_pk_fma_f32 v[34:35], v[36:37], v[34:35], v[38:39] neg_lo:[0,0,1] neg_hi:[0,0,1]
	v_mov_b32_e32 v35, v97
	s_delay_alu instid0(VALU_DEP_1)
	v_pk_add_f32 v[32:33], v[32:33], v[34:35]
.LBB72_492:                             ;   in Loop: Header=BB72_3 Depth=1
	s_or_b32 exec_lo, exec_lo, s54
	s_delay_alu instid0(VALU_DEP_1)
	v_pk_add_f32 v[32:33], v[32:33], 0 neg_lo:[1,1] neg_hi:[1,1]
.LBB72_493:                             ;   in Loop: Header=BB72_3 Depth=1
	s_or_b32 exec_lo, exec_lo, s53
	s_and_saveexec_b32 s53, s96
	s_cbranch_execz .LBB72_495
; %bb.494:                              ;   in Loop: Header=BB72_3 Depth=1
	ds_load_b64 v[34:35], v5 offset:15600
	s_wait_dscnt 0x0
	v_pk_mul_f32 v[36:37], v[32:33], v[34:35] op_sel:[1,1] op_sel_hi:[1,0]
	s_delay_alu instid0(VALU_DEP_1) | instskip(SKIP_1) | instid1(VALU_DEP_2)
	v_pk_fma_f32 v[38:39], v[32:33], v[34:35], v[36:37] op_sel_hi:[0,1,1]
	v_pk_fma_f32 v[34:35], v[32:33], v[34:35], v[36:37] neg_lo:[0,0,1] neg_hi:[0,0,1]
	v_mov_b32_e32 v35, v39
	s_delay_alu instid0(VALU_DEP_1)
	v_mov_b64_e32 v[32:33], v[34:35]
	ds_store_b64 v3, v[34:35]
.LBB72_495:                             ;   in Loop: Header=BB72_3 Depth=1
	s_or_b32 exec_lo, exec_lo, s53
	s_wait_dscnt 0x0
	s_barrier_signal -1
	s_barrier_wait -1
	s_and_saveexec_b32 s53, s97
	s_cbranch_execz .LBB72_497
; %bb.496:                              ;   in Loop: Header=BB72_3 Depth=1
	ds_load_b64 v[34:35], v5 offset:15608
	ds_load_b64 v[36:37], v3
	s_wait_dscnt 0x0
	v_pk_mul_f32 v[38:39], v[36:37], v[34:35] op_sel:[1,1] op_sel_hi:[0,1]
	s_delay_alu instid0(VALU_DEP_1) | instskip(SKIP_1) | instid1(VALU_DEP_2)
	v_pk_fma_f32 v[96:97], v[36:37], v[34:35], v[38:39] op_sel_hi:[1,0,1]
	v_pk_fma_f32 v[34:35], v[36:37], v[34:35], v[38:39] neg_lo:[0,0,1] neg_hi:[0,0,1]
	v_mov_b32_e32 v35, v97
	s_delay_alu instid0(VALU_DEP_1)
	v_pk_add_f32 v[32:33], v[32:33], v[34:35]
.LBB72_497:                             ;   in Loop: Header=BB72_3 Depth=1
	s_or_b32 exec_lo, exec_lo, s53
	s_barrier_signal -1
	s_barrier_wait -1
	s_and_saveexec_b32 s53, s97
	s_cbranch_execz .LBB72_499
; %bb.498:                              ;   in Loop: Header=BB72_3 Depth=1
	ds_load_b64 v[34:35], v5 offset:16120
	s_wait_dscnt 0x0
	v_pk_mul_f32 v[36:37], v[32:33], v[34:35] op_sel:[1,1] op_sel_hi:[1,0]
	s_delay_alu instid0(VALU_DEP_1) | instskip(SKIP_1) | instid1(VALU_DEP_2)
	v_pk_fma_f32 v[38:39], v[32:33], v[34:35], v[36:37] op_sel_hi:[0,1,1]
	v_pk_fma_f32 v[34:35], v[32:33], v[34:35], v[36:37] neg_lo:[0,0,1] neg_hi:[0,0,1]
	v_mov_b32_e32 v35, v39
	s_delay_alu instid0(VALU_DEP_1)
	v_mov_b64_e32 v[32:33], v[34:35]
	ds_store_b64 v3, v[34:35]
.LBB72_499:                             ;   in Loop: Header=BB72_3 Depth=1
	s_or_b32 exec_lo, exec_lo, s53
	s_wait_dscnt 0x0
	s_barrier_signal -1
	s_barrier_wait -1
	s_barrier_signal -1
	s_barrier_wait -1
	s_and_saveexec_b32 s53, s0
; %bb.500:                              ;   in Loop: Header=BB72_3 Depth=1
	v_pk_add_f32 v[32:33], v[32:33], 0 neg_lo:[1,1] neg_hi:[1,1]
	ds_store_b64 v42, v[32:33] offset:14576
; %bb.501:                              ;   in Loop: Header=BB72_3 Depth=1
	s_or_b32 exec_lo, exec_lo, s53
	s_wait_dscnt 0x0
	s_barrier_signal -1
	s_barrier_wait -1
	s_barrier_signal -1
	s_barrier_wait -1
	s_and_saveexec_b32 s53, s98
	s_cbranch_execz .LBB72_503
; %bb.502:                              ;   in Loop: Header=BB72_3 Depth=1
	ds_load_b64 v[32:33], v80 offset:14576
	s_wait_dscnt 0x0
	ds_store_b64 v79, v[32:33] offset:15584
	ds_load_b64 v[32:33], v80 offset:14584
	s_wait_dscnt 0x0
	ds_store_b64 v79, v[32:33] offset:16096
.LBB72_503:                             ;   in Loop: Header=BB72_3 Depth=1
	s_or_b32 exec_lo, exec_lo, s53
	s_wait_dscnt 0x0
	s_barrier_signal -1
	s_barrier_wait -1
	s_and_saveexec_b32 s53, s14
	s_cbranch_execz .LBB72_505
; %bb.504:                              ;   in Loop: Header=BB72_3 Depth=1
	ds_load_b128 v[32:35], v5 offset:15600
	ds_load_b64 v[36:37], v5 offset:16120
	s_wait_dscnt 0x1
	v_dual_mov_b32 v96, v35 :: v_dual_mov_b32 v97, v34
	s_wait_dscnt 0x0
	v_dual_mul_f32 v39, v37, v33 :: v_dual_mul_f32 v38, v36, v33
	s_delay_alu instid0(VALU_DEP_1) | instskip(NEXT) | instid1(VALU_DEP_1)
	v_xor_b32_e32 v40, 0x80000000, v39
	v_dual_fmac_f32 v38, v37, v32 :: v_dual_fmac_f32 v40, v36, v32
	s_delay_alu instid0(VALU_DEP_1) | instskip(NEXT) | instid1(VALU_DEP_1)
	v_pk_mul_f32 v[32:33], v[38:39], v[96:97] op_sel_hi:[0,1]
	v_pk_fma_f32 v[36:37], v[40:41], v[34:35], v[32:33] op_sel_hi:[0,1,1]
	v_pk_fma_f32 v[32:33], v[40:41], v[34:35], v[32:33] neg_lo:[0,0,1] neg_hi:[0,0,1]
	v_add_nc_u32_e64 v34, 0x3800, 0
	s_delay_alu instid0(VALU_DEP_3)
	v_mov_b32_e32 v33, v37
	ds_store_2addr_b64 v34, v[32:33], v[32:33] offset0:159 offset1:222
.LBB72_505:                             ;   in Loop: Header=BB72_3 Depth=1
	s_or_b32 exec_lo, exec_lo, s53
	v_mov_b64_e32 v[32:33], 0
	s_wait_dscnt 0x0
	s_barrier_signal -1
	s_barrier_wait -1
	s_and_saveexec_b32 s86, s35
	s_cbranch_execz .LBB72_567
; %bb.506:                              ;   in Loop: Header=BB72_3 Depth=1
	v_add_nc_u32_e32 v35, v84, v72
	v_add_nc_u32_e32 v34, v72, v71
	ds_load_b64 v[32:33], v35 offset:256
	ds_load_b64 v[36:37], v34
	s_wait_dscnt 0x0
	v_pk_mul_f32 v[38:39], v[36:37], v[32:33] op_sel:[1,1] op_sel_hi:[0,1]
	s_delay_alu instid0(VALU_DEP_1) | instskip(SKIP_1) | instid1(VALU_DEP_2)
	v_pk_fma_f32 v[96:97], v[36:37], v[32:33], v[38:39] op_sel_hi:[1,0,1]
	v_pk_fma_f32 v[32:33], v[36:37], v[32:33], v[38:39] neg_lo:[0,0,1] neg_hi:[0,0,1]
	v_mov_b32_e32 v33, v97
	s_delay_alu instid0(VALU_DEP_1) | instskip(SKIP_3) | instid1(SALU_CYCLE_1)
	v_pk_add_f32 v[32:33], v[32:33], 0 op_sel_hi:[1,0]
	s_mov_b32 s53, exec_lo
	v_readlane_b32 s54, v105, 15
	s_and_b32 s54, s53, s54
	s_mov_b32 exec_lo, s54
	s_cbranch_execz .LBB72_508
; %bb.507:                              ;   in Loop: Header=BB72_3 Depth=1
	ds_load_b64 v[36:37], v35 offset:768
	ds_load_b64 v[38:39], v34 offset:8
	s_wait_dscnt 0x0
	v_pk_mul_f32 v[96:97], v[38:39], v[36:37] op_sel:[1,1] op_sel_hi:[0,1]
	s_delay_alu instid0(VALU_DEP_1) | instskip(SKIP_1) | instid1(VALU_DEP_2)
	v_pk_fma_f32 v[98:99], v[38:39], v[36:37], v[96:97] op_sel_hi:[1,0,1]
	v_pk_fma_f32 v[36:37], v[38:39], v[36:37], v[96:97] neg_lo:[0,0,1] neg_hi:[0,0,1]
	v_mov_b32_e32 v37, v99
	s_delay_alu instid0(VALU_DEP_1)
	v_pk_add_f32 v[32:33], v[32:33], v[36:37]
.LBB72_508:                             ;   in Loop: Header=BB72_3 Depth=1
	s_or_b32 exec_lo, exec_lo, s53
	s_delay_alu instid0(SALU_CYCLE_1) | instskip(SKIP_2) | instid1(SALU_CYCLE_1)
	s_mov_b32 s53, exec_lo
	v_readlane_b32 s54, v105, 16
	s_and_b32 s54, s53, s54
	s_mov_b32 exec_lo, s54
	s_cbranch_execz .LBB72_510
; %bb.509:                              ;   in Loop: Header=BB72_3 Depth=1
	ds_load_b64 v[36:37], v35 offset:1280
	ds_load_b64 v[38:39], v34 offset:16
	s_wait_dscnt 0x0
	v_pk_mul_f32 v[96:97], v[38:39], v[36:37] op_sel:[1,1] op_sel_hi:[0,1]
	s_delay_alu instid0(VALU_DEP_1) | instskip(SKIP_1) | instid1(VALU_DEP_2)
	v_pk_fma_f32 v[98:99], v[38:39], v[36:37], v[96:97] op_sel_hi:[1,0,1]
	v_pk_fma_f32 v[36:37], v[38:39], v[36:37], v[96:97] neg_lo:[0,0,1] neg_hi:[0,0,1]
	v_mov_b32_e32 v37, v99
	s_delay_alu instid0(VALU_DEP_1)
	v_pk_add_f32 v[32:33], v[32:33], v[36:37]
.LBB72_510:                             ;   in Loop: Header=BB72_3 Depth=1
	s_or_b32 exec_lo, exec_lo, s53
	s_delay_alu instid0(SALU_CYCLE_1) | instskip(SKIP_2) | instid1(SALU_CYCLE_1)
	s_mov_b32 s53, exec_lo
	v_readlane_b32 s54, v105, 17
	s_and_b32 s54, s53, s54
	s_mov_b32 exec_lo, s54
	s_cbranch_execz .LBB72_512
; %bb.511:                              ;   in Loop: Header=BB72_3 Depth=1
	ds_load_b64 v[36:37], v35 offset:1792
	ds_load_b64 v[38:39], v34 offset:24
	s_wait_dscnt 0x0
	v_pk_mul_f32 v[96:97], v[38:39], v[36:37] op_sel:[1,1] op_sel_hi:[0,1]
	s_delay_alu instid0(VALU_DEP_1) | instskip(SKIP_1) | instid1(VALU_DEP_2)
	v_pk_fma_f32 v[98:99], v[38:39], v[36:37], v[96:97] op_sel_hi:[1,0,1]
	v_pk_fma_f32 v[36:37], v[38:39], v[36:37], v[96:97] neg_lo:[0,0,1] neg_hi:[0,0,1]
	v_mov_b32_e32 v37, v99
	s_delay_alu instid0(VALU_DEP_1)
	v_pk_add_f32 v[32:33], v[32:33], v[36:37]
.LBB72_512:                             ;   in Loop: Header=BB72_3 Depth=1
	s_or_b32 exec_lo, exec_lo, s53
	s_delay_alu instid0(SALU_CYCLE_1) | instskip(SKIP_2) | instid1(SALU_CYCLE_1)
	s_mov_b32 s53, exec_lo
	v_readlane_b32 s54, v105, 18
	s_and_b32 s54, s53, s54
	s_mov_b32 exec_lo, s54
	s_cbranch_execz .LBB72_514
; %bb.513:                              ;   in Loop: Header=BB72_3 Depth=1
	ds_load_b64 v[36:37], v35 offset:2304
	ds_load_b64 v[38:39], v34 offset:32
	s_wait_dscnt 0x0
	v_pk_mul_f32 v[96:97], v[38:39], v[36:37] op_sel:[1,1] op_sel_hi:[0,1]
	s_delay_alu instid0(VALU_DEP_1) | instskip(SKIP_1) | instid1(VALU_DEP_2)
	v_pk_fma_f32 v[98:99], v[38:39], v[36:37], v[96:97] op_sel_hi:[1,0,1]
	v_pk_fma_f32 v[36:37], v[38:39], v[36:37], v[96:97] neg_lo:[0,0,1] neg_hi:[0,0,1]
	v_mov_b32_e32 v37, v99
	s_delay_alu instid0(VALU_DEP_1)
	v_pk_add_f32 v[32:33], v[32:33], v[36:37]
.LBB72_514:                             ;   in Loop: Header=BB72_3 Depth=1
	s_or_b32 exec_lo, exec_lo, s53
	s_delay_alu instid0(SALU_CYCLE_1) | instskip(SKIP_2) | instid1(SALU_CYCLE_1)
	s_mov_b32 s53, exec_lo
	v_readlane_b32 s54, v105, 19
	s_and_b32 s54, s53, s54
	s_mov_b32 exec_lo, s54
	s_cbranch_execz .LBB72_516
; %bb.515:                              ;   in Loop: Header=BB72_3 Depth=1
	ds_load_b64 v[36:37], v35 offset:2816
	ds_load_b64 v[38:39], v34 offset:40
	s_wait_dscnt 0x0
	v_pk_mul_f32 v[96:97], v[38:39], v[36:37] op_sel:[1,1] op_sel_hi:[0,1]
	s_delay_alu instid0(VALU_DEP_1) | instskip(SKIP_1) | instid1(VALU_DEP_2)
	v_pk_fma_f32 v[98:99], v[38:39], v[36:37], v[96:97] op_sel_hi:[1,0,1]
	v_pk_fma_f32 v[36:37], v[38:39], v[36:37], v[96:97] neg_lo:[0,0,1] neg_hi:[0,0,1]
	v_mov_b32_e32 v37, v99
	s_delay_alu instid0(VALU_DEP_1)
	v_pk_add_f32 v[32:33], v[32:33], v[36:37]
.LBB72_516:                             ;   in Loop: Header=BB72_3 Depth=1
	s_or_b32 exec_lo, exec_lo, s53
	s_delay_alu instid0(SALU_CYCLE_1) | instskip(SKIP_2) | instid1(SALU_CYCLE_1)
	s_mov_b32 s53, exec_lo
	v_readlane_b32 s54, v105, 20
	s_and_b32 s54, s53, s54
	s_mov_b32 exec_lo, s54
	s_cbranch_execz .LBB72_518
; %bb.517:                              ;   in Loop: Header=BB72_3 Depth=1
	ds_load_b64 v[36:37], v35 offset:3328
	ds_load_b64 v[38:39], v34 offset:48
	s_wait_dscnt 0x0
	v_pk_mul_f32 v[96:97], v[38:39], v[36:37] op_sel:[1,1] op_sel_hi:[0,1]
	s_delay_alu instid0(VALU_DEP_1) | instskip(SKIP_1) | instid1(VALU_DEP_2)
	v_pk_fma_f32 v[98:99], v[38:39], v[36:37], v[96:97] op_sel_hi:[1,0,1]
	v_pk_fma_f32 v[36:37], v[38:39], v[36:37], v[96:97] neg_lo:[0,0,1] neg_hi:[0,0,1]
	v_mov_b32_e32 v37, v99
	s_delay_alu instid0(VALU_DEP_1)
	v_pk_add_f32 v[32:33], v[32:33], v[36:37]
.LBB72_518:                             ;   in Loop: Header=BB72_3 Depth=1
	s_or_b32 exec_lo, exec_lo, s53
	s_delay_alu instid0(SALU_CYCLE_1) | instskip(SKIP_2) | instid1(SALU_CYCLE_1)
	s_mov_b32 s53, exec_lo
	v_readlane_b32 s54, v105, 21
	s_and_b32 s54, s53, s54
	s_mov_b32 exec_lo, s54
	s_cbranch_execz .LBB72_520
; %bb.519:                              ;   in Loop: Header=BB72_3 Depth=1
	ds_load_b64 v[36:37], v35 offset:3840
	ds_load_b64 v[38:39], v34 offset:56
	s_wait_dscnt 0x0
	v_pk_mul_f32 v[96:97], v[38:39], v[36:37] op_sel:[1,1] op_sel_hi:[0,1]
	s_delay_alu instid0(VALU_DEP_1) | instskip(SKIP_1) | instid1(VALU_DEP_2)
	v_pk_fma_f32 v[98:99], v[38:39], v[36:37], v[96:97] op_sel_hi:[1,0,1]
	v_pk_fma_f32 v[36:37], v[38:39], v[36:37], v[96:97] neg_lo:[0,0,1] neg_hi:[0,0,1]
	v_mov_b32_e32 v37, v99
	s_delay_alu instid0(VALU_DEP_1)
	v_pk_add_f32 v[32:33], v[32:33], v[36:37]
.LBB72_520:                             ;   in Loop: Header=BB72_3 Depth=1
	s_or_b32 exec_lo, exec_lo, s53
	s_delay_alu instid0(SALU_CYCLE_1) | instskip(SKIP_2) | instid1(SALU_CYCLE_1)
	s_mov_b32 s53, exec_lo
	v_readlane_b32 s54, v105, 22
	s_and_b32 s54, s53, s54
	s_mov_b32 exec_lo, s54
	s_cbranch_execz .LBB72_522
; %bb.521:                              ;   in Loop: Header=BB72_3 Depth=1
	ds_load_b64 v[36:37], v35 offset:4352
	ds_load_b64 v[38:39], v34 offset:64
	s_wait_dscnt 0x0
	v_pk_mul_f32 v[96:97], v[38:39], v[36:37] op_sel:[1,1] op_sel_hi:[0,1]
	s_delay_alu instid0(VALU_DEP_1) | instskip(SKIP_1) | instid1(VALU_DEP_2)
	v_pk_fma_f32 v[98:99], v[38:39], v[36:37], v[96:97] op_sel_hi:[1,0,1]
	v_pk_fma_f32 v[36:37], v[38:39], v[36:37], v[96:97] neg_lo:[0,0,1] neg_hi:[0,0,1]
	v_mov_b32_e32 v37, v99
	s_delay_alu instid0(VALU_DEP_1)
	v_pk_add_f32 v[32:33], v[32:33], v[36:37]
.LBB72_522:                             ;   in Loop: Header=BB72_3 Depth=1
	s_or_b32 exec_lo, exec_lo, s53
	s_delay_alu instid0(SALU_CYCLE_1) | instskip(SKIP_2) | instid1(SALU_CYCLE_1)
	s_mov_b32 s53, exec_lo
	v_readlane_b32 s54, v105, 23
	s_and_b32 s54, s53, s54
	s_mov_b32 exec_lo, s54
	s_cbranch_execz .LBB72_524
; %bb.523:                              ;   in Loop: Header=BB72_3 Depth=1
	ds_load_b64 v[36:37], v35 offset:4864
	ds_load_b64 v[38:39], v34 offset:72
	s_wait_dscnt 0x0
	v_pk_mul_f32 v[96:97], v[38:39], v[36:37] op_sel:[1,1] op_sel_hi:[0,1]
	s_delay_alu instid0(VALU_DEP_1) | instskip(SKIP_1) | instid1(VALU_DEP_2)
	v_pk_fma_f32 v[98:99], v[38:39], v[36:37], v[96:97] op_sel_hi:[1,0,1]
	v_pk_fma_f32 v[36:37], v[38:39], v[36:37], v[96:97] neg_lo:[0,0,1] neg_hi:[0,0,1]
	v_mov_b32_e32 v37, v99
	s_delay_alu instid0(VALU_DEP_1)
	v_pk_add_f32 v[32:33], v[32:33], v[36:37]
.LBB72_524:                             ;   in Loop: Header=BB72_3 Depth=1
	s_or_b32 exec_lo, exec_lo, s53
	s_delay_alu instid0(SALU_CYCLE_1) | instskip(SKIP_2) | instid1(SALU_CYCLE_1)
	s_mov_b32 s53, exec_lo
	v_readlane_b32 s54, v105, 24
	s_and_b32 s54, s53, s54
	s_mov_b32 exec_lo, s54
	s_cbranch_execz .LBB72_526
; %bb.525:                              ;   in Loop: Header=BB72_3 Depth=1
	ds_load_b64 v[36:37], v35 offset:5376
	ds_load_b64 v[38:39], v34 offset:80
	s_wait_dscnt 0x0
	v_pk_mul_f32 v[96:97], v[38:39], v[36:37] op_sel:[1,1] op_sel_hi:[0,1]
	s_delay_alu instid0(VALU_DEP_1) | instskip(SKIP_1) | instid1(VALU_DEP_2)
	v_pk_fma_f32 v[98:99], v[38:39], v[36:37], v[96:97] op_sel_hi:[1,0,1]
	v_pk_fma_f32 v[36:37], v[38:39], v[36:37], v[96:97] neg_lo:[0,0,1] neg_hi:[0,0,1]
	v_mov_b32_e32 v37, v99
	s_delay_alu instid0(VALU_DEP_1)
	v_pk_add_f32 v[32:33], v[32:33], v[36:37]
.LBB72_526:                             ;   in Loop: Header=BB72_3 Depth=1
	s_or_b32 exec_lo, exec_lo, s53
	s_delay_alu instid0(SALU_CYCLE_1) | instskip(SKIP_2) | instid1(SALU_CYCLE_1)
	s_mov_b32 s53, exec_lo
	v_readlane_b32 s54, v105, 25
	s_and_b32 s54, s53, s54
	s_mov_b32 exec_lo, s54
	s_cbranch_execz .LBB72_528
; %bb.527:                              ;   in Loop: Header=BB72_3 Depth=1
	ds_load_b64 v[36:37], v35 offset:5888
	ds_load_b64 v[38:39], v34 offset:88
	s_wait_dscnt 0x0
	v_pk_mul_f32 v[96:97], v[38:39], v[36:37] op_sel:[1,1] op_sel_hi:[0,1]
	s_delay_alu instid0(VALU_DEP_1) | instskip(SKIP_1) | instid1(VALU_DEP_2)
	v_pk_fma_f32 v[98:99], v[38:39], v[36:37], v[96:97] op_sel_hi:[1,0,1]
	v_pk_fma_f32 v[36:37], v[38:39], v[36:37], v[96:97] neg_lo:[0,0,1] neg_hi:[0,0,1]
	v_mov_b32_e32 v37, v99
	s_delay_alu instid0(VALU_DEP_1)
	v_pk_add_f32 v[32:33], v[32:33], v[36:37]
.LBB72_528:                             ;   in Loop: Header=BB72_3 Depth=1
	s_or_b32 exec_lo, exec_lo, s53
	s_delay_alu instid0(SALU_CYCLE_1) | instskip(SKIP_2) | instid1(SALU_CYCLE_1)
	s_mov_b32 s53, exec_lo
	v_readlane_b32 s54, v105, 26
	s_and_b32 s54, s53, s54
	s_mov_b32 exec_lo, s54
	s_cbranch_execz .LBB72_530
; %bb.529:                              ;   in Loop: Header=BB72_3 Depth=1
	ds_load_b64 v[36:37], v35 offset:6400
	ds_load_b64 v[38:39], v34 offset:96
	s_wait_dscnt 0x0
	v_pk_mul_f32 v[96:97], v[38:39], v[36:37] op_sel:[1,1] op_sel_hi:[0,1]
	s_delay_alu instid0(VALU_DEP_1) | instskip(SKIP_1) | instid1(VALU_DEP_2)
	v_pk_fma_f32 v[98:99], v[38:39], v[36:37], v[96:97] op_sel_hi:[1,0,1]
	v_pk_fma_f32 v[36:37], v[38:39], v[36:37], v[96:97] neg_lo:[0,0,1] neg_hi:[0,0,1]
	v_mov_b32_e32 v37, v99
	s_delay_alu instid0(VALU_DEP_1)
	v_pk_add_f32 v[32:33], v[32:33], v[36:37]
.LBB72_530:                             ;   in Loop: Header=BB72_3 Depth=1
	s_or_b32 exec_lo, exec_lo, s53
	s_delay_alu instid0(SALU_CYCLE_1) | instskip(SKIP_2) | instid1(SALU_CYCLE_1)
	s_mov_b32 s53, exec_lo
	v_readlane_b32 s54, v105, 27
	s_and_b32 s54, s53, s54
	s_mov_b32 exec_lo, s54
	s_cbranch_execz .LBB72_532
; %bb.531:                              ;   in Loop: Header=BB72_3 Depth=1
	ds_load_b64 v[36:37], v35 offset:6912
	ds_load_b64 v[38:39], v34 offset:104
	s_wait_dscnt 0x0
	v_pk_mul_f32 v[96:97], v[38:39], v[36:37] op_sel:[1,1] op_sel_hi:[0,1]
	s_delay_alu instid0(VALU_DEP_1) | instskip(SKIP_1) | instid1(VALU_DEP_2)
	v_pk_fma_f32 v[98:99], v[38:39], v[36:37], v[96:97] op_sel_hi:[1,0,1]
	v_pk_fma_f32 v[36:37], v[38:39], v[36:37], v[96:97] neg_lo:[0,0,1] neg_hi:[0,0,1]
	v_mov_b32_e32 v37, v99
	s_delay_alu instid0(VALU_DEP_1)
	v_pk_add_f32 v[32:33], v[32:33], v[36:37]
.LBB72_532:                             ;   in Loop: Header=BB72_3 Depth=1
	s_or_b32 exec_lo, exec_lo, s53
	s_delay_alu instid0(SALU_CYCLE_1) | instskip(SKIP_2) | instid1(SALU_CYCLE_1)
	s_mov_b32 s53, exec_lo
	v_readlane_b32 s54, v105, 28
	s_and_b32 s54, s53, s54
	s_mov_b32 exec_lo, s54
	s_cbranch_execz .LBB72_534
; %bb.533:                              ;   in Loop: Header=BB72_3 Depth=1
	ds_load_b64 v[36:37], v35 offset:7424
	ds_load_b64 v[38:39], v34 offset:112
	s_wait_dscnt 0x0
	v_pk_mul_f32 v[96:97], v[38:39], v[36:37] op_sel:[1,1] op_sel_hi:[0,1]
	s_delay_alu instid0(VALU_DEP_1) | instskip(SKIP_1) | instid1(VALU_DEP_2)
	v_pk_fma_f32 v[98:99], v[38:39], v[36:37], v[96:97] op_sel_hi:[1,0,1]
	v_pk_fma_f32 v[36:37], v[38:39], v[36:37], v[96:97] neg_lo:[0,0,1] neg_hi:[0,0,1]
	v_mov_b32_e32 v37, v99
	s_delay_alu instid0(VALU_DEP_1)
	v_pk_add_f32 v[32:33], v[32:33], v[36:37]
.LBB72_534:                             ;   in Loop: Header=BB72_3 Depth=1
	s_or_b32 exec_lo, exec_lo, s53
	s_delay_alu instid0(SALU_CYCLE_1) | instskip(SKIP_2) | instid1(SALU_CYCLE_1)
	s_mov_b32 s53, exec_lo
	v_readlane_b32 s54, v105, 29
	s_and_b32 s54, s53, s54
	s_mov_b32 exec_lo, s54
	s_cbranch_execz .LBB72_536
; %bb.535:                              ;   in Loop: Header=BB72_3 Depth=1
	ds_load_b64 v[36:37], v35 offset:7936
	ds_load_b64 v[38:39], v34 offset:120
	s_wait_dscnt 0x0
	v_pk_mul_f32 v[96:97], v[38:39], v[36:37] op_sel:[1,1] op_sel_hi:[0,1]
	s_delay_alu instid0(VALU_DEP_1) | instskip(SKIP_1) | instid1(VALU_DEP_2)
	v_pk_fma_f32 v[98:99], v[38:39], v[36:37], v[96:97] op_sel_hi:[1,0,1]
	v_pk_fma_f32 v[36:37], v[38:39], v[36:37], v[96:97] neg_lo:[0,0,1] neg_hi:[0,0,1]
	v_mov_b32_e32 v37, v99
	s_delay_alu instid0(VALU_DEP_1)
	v_pk_add_f32 v[32:33], v[32:33], v[36:37]
.LBB72_536:                             ;   in Loop: Header=BB72_3 Depth=1
	s_or_b32 exec_lo, exec_lo, s53
	s_delay_alu instid0(SALU_CYCLE_1) | instskip(SKIP_2) | instid1(SALU_CYCLE_1)
	s_mov_b32 s53, exec_lo
	v_readlane_b32 s54, v105, 30
	s_and_b32 s54, s53, s54
	s_mov_b32 exec_lo, s54
	s_cbranch_execz .LBB72_538
; %bb.537:                              ;   in Loop: Header=BB72_3 Depth=1
	ds_load_b64 v[36:37], v35 offset:8448
	ds_load_b64 v[38:39], v34 offset:128
	s_wait_dscnt 0x0
	v_pk_mul_f32 v[96:97], v[38:39], v[36:37] op_sel:[1,1] op_sel_hi:[0,1]
	s_delay_alu instid0(VALU_DEP_1) | instskip(SKIP_1) | instid1(VALU_DEP_2)
	v_pk_fma_f32 v[98:99], v[38:39], v[36:37], v[96:97] op_sel_hi:[1,0,1]
	v_pk_fma_f32 v[36:37], v[38:39], v[36:37], v[96:97] neg_lo:[0,0,1] neg_hi:[0,0,1]
	v_mov_b32_e32 v37, v99
	s_delay_alu instid0(VALU_DEP_1)
	v_pk_add_f32 v[32:33], v[32:33], v[36:37]
.LBB72_538:                             ;   in Loop: Header=BB72_3 Depth=1
	s_or_b32 exec_lo, exec_lo, s53
	s_delay_alu instid0(SALU_CYCLE_1) | instskip(SKIP_2) | instid1(SALU_CYCLE_1)
	s_mov_b32 s53, exec_lo
	v_readlane_b32 s54, v105, 31
	s_and_b32 s54, s53, s54
	s_mov_b32 exec_lo, s54
	s_cbranch_execz .LBB72_540
; %bb.539:                              ;   in Loop: Header=BB72_3 Depth=1
	ds_load_b64 v[36:37], v35 offset:8960
	ds_load_b64 v[38:39], v34 offset:136
	s_wait_dscnt 0x0
	v_pk_mul_f32 v[96:97], v[38:39], v[36:37] op_sel:[1,1] op_sel_hi:[0,1]
	s_delay_alu instid0(VALU_DEP_1) | instskip(SKIP_1) | instid1(VALU_DEP_2)
	v_pk_fma_f32 v[98:99], v[38:39], v[36:37], v[96:97] op_sel_hi:[1,0,1]
	v_pk_fma_f32 v[36:37], v[38:39], v[36:37], v[96:97] neg_lo:[0,0,1] neg_hi:[0,0,1]
	v_mov_b32_e32 v37, v99
	s_delay_alu instid0(VALU_DEP_1)
	v_pk_add_f32 v[32:33], v[32:33], v[36:37]
.LBB72_540:                             ;   in Loop: Header=BB72_3 Depth=1
	s_or_b32 exec_lo, exec_lo, s53
	s_delay_alu instid0(SALU_CYCLE_1) | instskip(SKIP_2) | instid1(SALU_CYCLE_1)
	s_mov_b32 s53, exec_lo
	v_readlane_b32 s54, v104, 0
	s_and_b32 s54, s53, s54
	s_mov_b32 exec_lo, s54
	s_cbranch_execz .LBB72_542
; %bb.541:                              ;   in Loop: Header=BB72_3 Depth=1
	ds_load_b64 v[36:37], v35 offset:9472
	ds_load_b64 v[38:39], v34 offset:144
	s_wait_dscnt 0x0
	v_pk_mul_f32 v[96:97], v[38:39], v[36:37] op_sel:[1,1] op_sel_hi:[0,1]
	s_delay_alu instid0(VALU_DEP_1) | instskip(SKIP_1) | instid1(VALU_DEP_2)
	v_pk_fma_f32 v[98:99], v[38:39], v[36:37], v[96:97] op_sel_hi:[1,0,1]
	v_pk_fma_f32 v[36:37], v[38:39], v[36:37], v[96:97] neg_lo:[0,0,1] neg_hi:[0,0,1]
	v_mov_b32_e32 v37, v99
	s_delay_alu instid0(VALU_DEP_1)
	v_pk_add_f32 v[32:33], v[32:33], v[36:37]
.LBB72_542:                             ;   in Loop: Header=BB72_3 Depth=1
	s_or_b32 exec_lo, exec_lo, s53
	s_delay_alu instid0(SALU_CYCLE_1) | instskip(SKIP_2) | instid1(SALU_CYCLE_1)
	s_mov_b32 s53, exec_lo
	v_readlane_b32 s54, v104, 1
	s_and_b32 s54, s53, s54
	s_mov_b32 exec_lo, s54
	s_cbranch_execz .LBB72_544
; %bb.543:                              ;   in Loop: Header=BB72_3 Depth=1
	ds_load_b64 v[36:37], v35 offset:9984
	ds_load_b64 v[38:39], v34 offset:152
	s_wait_dscnt 0x0
	v_pk_mul_f32 v[96:97], v[38:39], v[36:37] op_sel:[1,1] op_sel_hi:[0,1]
	s_delay_alu instid0(VALU_DEP_1) | instskip(SKIP_1) | instid1(VALU_DEP_2)
	v_pk_fma_f32 v[98:99], v[38:39], v[36:37], v[96:97] op_sel_hi:[1,0,1]
	v_pk_fma_f32 v[36:37], v[38:39], v[36:37], v[96:97] neg_lo:[0,0,1] neg_hi:[0,0,1]
	v_mov_b32_e32 v37, v99
	s_delay_alu instid0(VALU_DEP_1)
	v_pk_add_f32 v[32:33], v[32:33], v[36:37]
.LBB72_544:                             ;   in Loop: Header=BB72_3 Depth=1
	s_or_b32 exec_lo, exec_lo, s53
	s_delay_alu instid0(SALU_CYCLE_1) | instskip(SKIP_2) | instid1(SALU_CYCLE_1)
	s_mov_b32 s53, exec_lo
	v_readlane_b32 s54, v104, 2
	s_and_b32 s54, s53, s54
	s_mov_b32 exec_lo, s54
	s_cbranch_execz .LBB72_546
; %bb.545:                              ;   in Loop: Header=BB72_3 Depth=1
	ds_load_b64 v[36:37], v35 offset:10496
	ds_load_b64 v[38:39], v34 offset:160
	s_wait_dscnt 0x0
	v_pk_mul_f32 v[96:97], v[38:39], v[36:37] op_sel:[1,1] op_sel_hi:[0,1]
	s_delay_alu instid0(VALU_DEP_1) | instskip(SKIP_1) | instid1(VALU_DEP_2)
	v_pk_fma_f32 v[98:99], v[38:39], v[36:37], v[96:97] op_sel_hi:[1,0,1]
	v_pk_fma_f32 v[36:37], v[38:39], v[36:37], v[96:97] neg_lo:[0,0,1] neg_hi:[0,0,1]
	v_mov_b32_e32 v37, v99
	s_delay_alu instid0(VALU_DEP_1)
	v_pk_add_f32 v[32:33], v[32:33], v[36:37]
.LBB72_546:                             ;   in Loop: Header=BB72_3 Depth=1
	s_or_b32 exec_lo, exec_lo, s53
	s_delay_alu instid0(SALU_CYCLE_1) | instskip(SKIP_2) | instid1(SALU_CYCLE_1)
	s_mov_b32 s53, exec_lo
	v_readlane_b32 s54, v104, 3
	s_and_b32 s54, s53, s54
	s_mov_b32 exec_lo, s54
	s_cbranch_execz .LBB72_548
; %bb.547:                              ;   in Loop: Header=BB72_3 Depth=1
	ds_load_b64 v[36:37], v35 offset:11008
	ds_load_b64 v[38:39], v34 offset:168
	s_wait_dscnt 0x0
	v_pk_mul_f32 v[96:97], v[38:39], v[36:37] op_sel:[1,1] op_sel_hi:[0,1]
	s_delay_alu instid0(VALU_DEP_1) | instskip(SKIP_1) | instid1(VALU_DEP_2)
	v_pk_fma_f32 v[98:99], v[38:39], v[36:37], v[96:97] op_sel_hi:[1,0,1]
	v_pk_fma_f32 v[36:37], v[38:39], v[36:37], v[96:97] neg_lo:[0,0,1] neg_hi:[0,0,1]
	v_mov_b32_e32 v37, v99
	s_delay_alu instid0(VALU_DEP_1)
	v_pk_add_f32 v[32:33], v[32:33], v[36:37]
.LBB72_548:                             ;   in Loop: Header=BB72_3 Depth=1
	s_or_b32 exec_lo, exec_lo, s53
	s_delay_alu instid0(SALU_CYCLE_1) | instskip(SKIP_2) | instid1(SALU_CYCLE_1)
	s_mov_b32 s53, exec_lo
	v_readlane_b32 s54, v104, 4
	s_and_b32 s54, s53, s54
	s_mov_b32 exec_lo, s54
	s_cbranch_execz .LBB72_550
; %bb.549:                              ;   in Loop: Header=BB72_3 Depth=1
	ds_load_b64 v[36:37], v35 offset:11520
	ds_load_b64 v[38:39], v34 offset:176
	s_wait_dscnt 0x0
	v_pk_mul_f32 v[96:97], v[38:39], v[36:37] op_sel:[1,1] op_sel_hi:[0,1]
	s_delay_alu instid0(VALU_DEP_1) | instskip(SKIP_1) | instid1(VALU_DEP_2)
	v_pk_fma_f32 v[98:99], v[38:39], v[36:37], v[96:97] op_sel_hi:[1,0,1]
	v_pk_fma_f32 v[36:37], v[38:39], v[36:37], v[96:97] neg_lo:[0,0,1] neg_hi:[0,0,1]
	v_mov_b32_e32 v37, v99
	s_delay_alu instid0(VALU_DEP_1)
	v_pk_add_f32 v[32:33], v[32:33], v[36:37]
.LBB72_550:                             ;   in Loop: Header=BB72_3 Depth=1
	s_or_b32 exec_lo, exec_lo, s53
	s_delay_alu instid0(SALU_CYCLE_1) | instskip(SKIP_2) | instid1(SALU_CYCLE_1)
	s_mov_b32 s53, exec_lo
	v_readlane_b32 s54, v104, 5
	s_and_b32 s54, s53, s54
	s_mov_b32 exec_lo, s54
	s_cbranch_execz .LBB72_552
; %bb.551:                              ;   in Loop: Header=BB72_3 Depth=1
	ds_load_b64 v[36:37], v35 offset:12032
	ds_load_b64 v[38:39], v34 offset:184
	s_wait_dscnt 0x0
	v_pk_mul_f32 v[96:97], v[38:39], v[36:37] op_sel:[1,1] op_sel_hi:[0,1]
	s_delay_alu instid0(VALU_DEP_1) | instskip(SKIP_1) | instid1(VALU_DEP_2)
	v_pk_fma_f32 v[98:99], v[38:39], v[36:37], v[96:97] op_sel_hi:[1,0,1]
	v_pk_fma_f32 v[36:37], v[38:39], v[36:37], v[96:97] neg_lo:[0,0,1] neg_hi:[0,0,1]
	v_mov_b32_e32 v37, v99
	s_delay_alu instid0(VALU_DEP_1)
	v_pk_add_f32 v[32:33], v[32:33], v[36:37]
.LBB72_552:                             ;   in Loop: Header=BB72_3 Depth=1
	s_or_b32 exec_lo, exec_lo, s53
	s_and_saveexec_b32 s53, s4
	s_cbranch_execz .LBB72_554
; %bb.553:                              ;   in Loop: Header=BB72_3 Depth=1
	ds_load_b64 v[36:37], v35 offset:12544
	ds_load_b64 v[38:39], v34 offset:192
	s_wait_dscnt 0x0
	v_pk_mul_f32 v[96:97], v[38:39], v[36:37] op_sel:[1,1] op_sel_hi:[0,1]
	s_delay_alu instid0(VALU_DEP_1) | instskip(SKIP_1) | instid1(VALU_DEP_2)
	v_pk_fma_f32 v[98:99], v[38:39], v[36:37], v[96:97] op_sel_hi:[1,0,1]
	v_pk_fma_f32 v[36:37], v[38:39], v[36:37], v[96:97] neg_lo:[0,0,1] neg_hi:[0,0,1]
	v_mov_b32_e32 v37, v99
	s_delay_alu instid0(VALU_DEP_1)
	v_pk_add_f32 v[32:33], v[32:33], v[36:37]
.LBB72_554:                             ;   in Loop: Header=BB72_3 Depth=1
	s_or_b32 exec_lo, exec_lo, s53
	s_delay_alu instid0(SALU_CYCLE_1) | instskip(SKIP_2) | instid1(SALU_CYCLE_1)
	s_mov_b32 s53, exec_lo
	v_readlane_b32 s54, v105, 1
	s_and_b32 s54, s53, s54
	s_mov_b32 exec_lo, s54
	s_cbranch_execz .LBB72_556
; %bb.555:                              ;   in Loop: Header=BB72_3 Depth=1
	ds_load_b64 v[36:37], v35 offset:13056
	ds_load_b64 v[38:39], v34 offset:200
	s_wait_dscnt 0x0
	v_pk_mul_f32 v[96:97], v[38:39], v[36:37] op_sel:[1,1] op_sel_hi:[0,1]
	s_delay_alu instid0(VALU_DEP_1) | instskip(SKIP_1) | instid1(VALU_DEP_2)
	v_pk_fma_f32 v[98:99], v[38:39], v[36:37], v[96:97] op_sel_hi:[1,0,1]
	v_pk_fma_f32 v[36:37], v[38:39], v[36:37], v[96:97] neg_lo:[0,0,1] neg_hi:[0,0,1]
	v_mov_b32_e32 v37, v99
	s_delay_alu instid0(VALU_DEP_1)
	v_pk_add_f32 v[32:33], v[32:33], v[36:37]
.LBB72_556:                             ;   in Loop: Header=BB72_3 Depth=1
	s_or_b32 exec_lo, exec_lo, s53
	s_delay_alu instid0(SALU_CYCLE_1) | instskip(SKIP_2) | instid1(SALU_CYCLE_1)
	s_mov_b32 s53, exec_lo
	v_readlane_b32 s54, v105, 3
	s_and_b32 s54, s53, s54
	s_mov_b32 exec_lo, s54
	;; [unrolled: 19-line block ×5, first 2 shown]
	s_cbranch_execnz .LBB72_1148
; %bb.563:                              ;   in Loop: Header=BB72_3 Depth=1
	s_or_b32 exec_lo, exec_lo, s53
	s_and_saveexec_b32 s53, s3
	s_cbranch_execnz .LBB72_1149
.LBB72_564:                             ;   in Loop: Header=BB72_3 Depth=1
	s_or_b32 exec_lo, exec_lo, s53
	s_and_saveexec_b32 s53, s21
	s_cbranch_execz .LBB72_566
.LBB72_565:                             ;   in Loop: Header=BB72_3 Depth=1
	ds_load_b64 v[36:37], v84 offset:16128
	ds_load_b64 v[34:35], v34 offset:248
	s_wait_dscnt 0x0
	v_pk_mul_f32 v[38:39], v[34:35], v[36:37] op_sel:[1,1] op_sel_hi:[0,1]
	s_delay_alu instid0(VALU_DEP_1) | instskip(SKIP_1) | instid1(VALU_DEP_2)
	v_pk_fma_f32 v[96:97], v[34:35], v[36:37], v[38:39] op_sel_hi:[1,0,1]
	v_pk_fma_f32 v[34:35], v[34:35], v[36:37], v[38:39] neg_lo:[0,0,1] neg_hi:[0,0,1]
	v_mov_b32_e32 v35, v97
	s_delay_alu instid0(VALU_DEP_1)
	v_pk_add_f32 v[32:33], v[32:33], v[34:35]
.LBB72_566:                             ;   in Loop: Header=BB72_3 Depth=1
	s_or_b32 exec_lo, exec_lo, s53
	s_delay_alu instid0(VALU_DEP_1)
	v_pk_add_f32 v[32:33], v[32:33], 0 neg_lo:[1,1] neg_hi:[1,1]
.LBB72_567:                             ;   in Loop: Header=BB72_3 Depth=1
	s_or_b32 exec_lo, exec_lo, s86
	v_dual_mov_b32 v34, v70 :: v_dual_mov_b32 v35, v91
	s_mov_b32 s64, 0
	s_branch .LBB72_569
.LBB72_568:                             ;   in Loop: Header=BB72_569 Depth=2
	s_or_b32 exec_lo, exec_lo, s53
	v_add_nc_u32_e32 v35, 0x400, v35
	v_add_nc_u32_e32 v34, -2, v34
	s_add_co_i32 s64, s64, 2
	s_delay_alu instid0(SALU_CYCLE_1)
	s_cmp_eq_u32 s64, 32
	s_barrier_signal -1
	s_barrier_wait -1
	s_cbranch_scc1 .LBB72_577
.LBB72_569:                             ;   Parent Loop BB72_3 Depth=1
                                        ; =>  This Inner Loop Header: Depth=2
	s_delay_alu instid0(VALU_DEP_1) | instskip(SKIP_1) | instid1(SALU_CYCLE_1)
	v_cmp_eq_u32_e32 vcc_lo, 0, v34
	s_and_b32 s54, s65, vcc_lo
	s_and_saveexec_b32 s53, s54
	s_cbranch_execz .LBB72_571
; %bb.570:                              ;   in Loop: Header=BB72_569 Depth=2
	ds_load_b64 v[36:37], v94 offset:16640
	s_wait_dscnt 0x0
	v_pk_mul_f32 v[38:39], v[32:33], v[36:37] op_sel:[1,1] op_sel_hi:[1,0]
	s_delay_alu instid0(VALU_DEP_1) | instskip(SKIP_1) | instid1(VALU_DEP_2)
	v_pk_fma_f32 v[96:97], v[32:33], v[36:37], v[38:39] op_sel_hi:[0,1,1]
	v_pk_fma_f32 v[36:37], v[32:33], v[36:37], v[38:39] neg_lo:[0,0,1] neg_hi:[0,0,1]
	v_mov_b32_e32 v37, v97
	s_delay_alu instid0(VALU_DEP_1)
	v_mov_b64_e32 v[32:33], v[36:37]
	ds_store_b64 v83, v[36:37]
.LBB72_571:                             ;   in Loop: Header=BB72_569 Depth=2
	s_or_b32 exec_lo, exec_lo, s53
	v_cmp_lt_u32_e32 vcc_lo, s64, v70
	s_wait_dscnt 0x0
	s_barrier_signal -1
	s_barrier_wait -1
	s_and_b32 s54, s65, vcc_lo
	s_delay_alu instid0(SALU_CYCLE_1)
	s_and_saveexec_b32 s53, s54
	s_cbranch_execz .LBB72_573
; %bb.572:                              ;   in Loop: Header=BB72_569 Depth=2
	ds_load_b64 v[36:37], v35
	ds_load_b64 v[38:39], v83
	s_wait_dscnt 0x0
	v_pk_mul_f32 v[96:97], v[38:39], v[36:37] op_sel:[1,1] op_sel_hi:[0,1]
	s_delay_alu instid0(VALU_DEP_1) | instskip(SKIP_1) | instid1(VALU_DEP_2)
	v_pk_fma_f32 v[98:99], v[38:39], v[36:37], v[96:97] op_sel_hi:[1,0,1]
	v_pk_fma_f32 v[36:37], v[38:39], v[36:37], v[96:97] neg_lo:[0,0,1] neg_hi:[0,0,1]
	v_mov_b32_e32 v37, v99
	s_delay_alu instid0(VALU_DEP_1)
	v_pk_add_f32 v[32:33], v[32:33], v[36:37]
.LBB72_573:                             ;   in Loop: Header=BB72_569 Depth=2
	s_or_b32 exec_lo, exec_lo, s53
	s_or_b32 s53, s64, 1
	s_delay_alu instid0(SALU_CYCLE_1) | instskip(SKIP_3) | instid1(SALU_CYCLE_1)
	v_cmp_eq_u32_e32 vcc_lo, s53, v70
	s_barrier_signal -1
	s_barrier_wait -1
	s_and_b32 s55, s65, vcc_lo
	s_and_saveexec_b32 s54, s55
	s_cbranch_execz .LBB72_575
; %bb.574:                              ;   in Loop: Header=BB72_569 Depth=2
	ds_load_b64 v[36:37], v94 offset:16640
	s_wait_dscnt 0x0
	v_pk_mul_f32 v[38:39], v[32:33], v[36:37] op_sel:[1,1] op_sel_hi:[1,0]
	s_delay_alu instid0(VALU_DEP_1) | instskip(SKIP_1) | instid1(VALU_DEP_2)
	v_pk_fma_f32 v[96:97], v[32:33], v[36:37], v[38:39] op_sel_hi:[0,1,1]
	v_pk_fma_f32 v[36:37], v[32:33], v[36:37], v[38:39] neg_lo:[0,0,1] neg_hi:[0,0,1]
	v_mov_b32_e32 v37, v97
	s_delay_alu instid0(VALU_DEP_1)
	v_mov_b64_e32 v[32:33], v[36:37]
	ds_store_b64 v83, v[36:37]
.LBB72_575:                             ;   in Loop: Header=BB72_569 Depth=2
	s_or_b32 exec_lo, exec_lo, s54
	v_cmp_lt_u32_e32 vcc_lo, s53, v70
	s_wait_dscnt 0x0
	s_barrier_signal -1
	s_barrier_wait -1
	s_and_b32 s54, s65, vcc_lo
	s_delay_alu instid0(SALU_CYCLE_1)
	s_and_saveexec_b32 s53, s54
	s_cbranch_execz .LBB72_568
; %bb.576:                              ;   in Loop: Header=BB72_569 Depth=2
	ds_load_b64 v[36:37], v35 offset:512
	ds_load_b64 v[38:39], v83
	s_wait_dscnt 0x0
	v_pk_mul_f32 v[96:97], v[38:39], v[36:37] op_sel:[1,1] op_sel_hi:[0,1]
	s_delay_alu instid0(VALU_DEP_1) | instskip(SKIP_1) | instid1(VALU_DEP_2)
	v_pk_fma_f32 v[98:99], v[38:39], v[36:37], v[96:97] op_sel_hi:[1,0,1]
	v_pk_fma_f32 v[36:37], v[38:39], v[36:37], v[96:97] neg_lo:[0,0,1] neg_hi:[0,0,1]
	v_mov_b32_e32 v37, v99
	s_delay_alu instid0(VALU_DEP_1)
	v_pk_add_f32 v[32:33], v[32:33], v[36:37]
	s_branch .LBB72_568
.LBB72_577:                             ;   in Loop: Header=BB72_3 Depth=1
	s_and_saveexec_b32 s53, s35
; %bb.578:                              ;   in Loop: Header=BB72_3 Depth=1
	v_pk_add_f32 v[32:33], v[32:33], 0 neg_lo:[1,1] neg_hi:[1,1]
	ds_store_b64 v85, v[32:33] offset:256
; %bb.579:                              ;   in Loop: Header=BB72_3 Depth=1
	s_or_b32 exec_lo, exec_lo, s53
	s_wait_dscnt 0x0
	s_barrier_signal -1
	s_barrier_wait -1
	s_barrier_signal -1
	s_barrier_wait -1
	s_mov_b32 s64, exec_lo
	v_readlane_b32 s53, v106, 10
	s_and_b32 s53, s64, s53
	s_delay_alu instid0(SALU_CYCLE_1)
	s_mov_b32 exec_lo, s53
	s_cbranch_execz .LBB72_581
; %bb.580:                              ;   in Loop: Header=BB72_3 Depth=1
	ds_load_b64 v[32:33], v80 offset:256
	v_add_nc_u32_e32 v34, v80, v51
	s_wait_dscnt 0x0
	ds_store_b64 v34, v[32:33] offset:16384
	ds_load_b64 v[32:33], v80 offset:264
	s_wait_dscnt 0x0
	ds_store_b64 v34, v[32:33] offset:16896
	ds_load_b64 v[32:33], v80 offset:272
	;; [unrolled: 3-line block ×31, first 2 shown]
	s_wait_dscnt 0x0
	ds_store_b64 v34, v[32:33] offset:32256
.LBB72_581:                             ;   in Loop: Header=BB72_3 Depth=1
	s_or_b32 exec_lo, exec_lo, s64
	s_wait_dscnt 0x0
	s_barrier_signal -1
	s_barrier_wait -1
	s_and_saveexec_b32 s53, s14
	s_cbranch_execz .LBB72_583
; %bb.582:                              ;   in Loop: Header=BB72_3 Depth=1
	ds_load_b128 v[32:35], v5 offset:16640
	ds_load_b64 v[36:37], v5 offset:17160
	s_wait_dscnt 0x1
	v_dual_mov_b32 v96, v35 :: v_dual_mov_b32 v97, v34
	s_wait_dscnt 0x0
	v_dual_mul_f32 v39, v37, v33 :: v_dual_mul_f32 v38, v36, v33
	s_delay_alu instid0(VALU_DEP_1) | instskip(NEXT) | instid1(VALU_DEP_1)
	v_xor_b32_e32 v40, 0x80000000, v39
	v_dual_fmac_f32 v38, v37, v32 :: v_dual_fmac_f32 v40, v36, v32
	s_delay_alu instid0(VALU_DEP_1) | instskip(NEXT) | instid1(VALU_DEP_1)
	v_pk_mul_f32 v[32:33], v[38:39], v[96:97] op_sel_hi:[0,1]
	v_pk_fma_f32 v[36:37], v[40:41], v[34:35], v[32:33] op_sel_hi:[0,1,1]
	v_pk_fma_f32 v[32:33], v[40:41], v[34:35], v[32:33] neg_lo:[0,0,1] neg_hi:[0,0,1]
	v_add_nc_u32_e64 v34, 0x4000, 0
	s_delay_alu instid0(VALU_DEP_3)
	v_mov_b32_e32 v33, v37
	ds_store_2addr_b64 v34, v[32:33], v[32:33] offset0:33 offset1:96
.LBB72_583:                             ;   in Loop: Header=BB72_3 Depth=1
	s_or_b32 exec_lo, exec_lo, s53
	v_mov_b32_e32 v33, 0
	s_wait_dscnt 0x0
	s_barrier_signal -1
	s_barrier_wait -1
	s_delay_alu instid0(VALU_DEP_1)
	v_mov_b32_e32 v32, v33
	s_and_saveexec_b32 s53, s0
	s_cbranch_execz .LBB72_587
; %bb.584:                              ;   in Loop: Header=BB72_3 Depth=1
	ds_load_b64 v[32:33], v42 offset:16656
	ds_load_b64 v[34:35], v43 offset:16640
	s_wait_dscnt 0x0
	v_dual_mul_f32 v36, v35, v33 :: v_dual_mul_f32 v37, v34, v33
	s_delay_alu instid0(VALU_DEP_1) | instskip(NEXT) | instid1(VALU_DEP_1)
	v_dual_fma_f32 v36, v34, v32, -v36 :: v_dual_fmac_f32 v37, v35, v32
	v_pk_add_f32 v[32:33], v[36:37], 0 op_sel_hi:[1,0]
	s_and_saveexec_b32 s54, s15
	s_cbranch_execz .LBB72_586
; %bb.585:                              ;   in Loop: Header=BB72_3 Depth=1
	ds_load_b64 v[34:35], v44 offset:17168
	ds_load_b64 v[36:37], v5 offset:16648
	s_wait_dscnt 0x0
	v_pk_mul_f32 v[38:39], v[36:37], v[34:35] op_sel:[1,1] op_sel_hi:[0,1]
	s_delay_alu instid0(VALU_DEP_1) | instskip(SKIP_1) | instid1(VALU_DEP_2)
	v_pk_fma_f32 v[96:97], v[36:37], v[34:35], v[38:39] op_sel_hi:[1,0,1]
	v_pk_fma_f32 v[34:35], v[36:37], v[34:35], v[38:39] neg_lo:[0,0,1] neg_hi:[0,0,1]
	v_mov_b32_e32 v35, v97
	s_delay_alu instid0(VALU_DEP_1)
	v_pk_add_f32 v[32:33], v[32:33], v[34:35]
.LBB72_586:                             ;   in Loop: Header=BB72_3 Depth=1
	s_or_b32 exec_lo, exec_lo, s54
	s_delay_alu instid0(VALU_DEP_1)
	v_pk_add_f32 v[32:33], v[32:33], 0 neg_lo:[1,1] neg_hi:[1,1]
.LBB72_587:                             ;   in Loop: Header=BB72_3 Depth=1
	s_or_b32 exec_lo, exec_lo, s53
	s_and_saveexec_b32 s53, s96
	s_cbranch_execz .LBB72_589
; %bb.588:                              ;   in Loop: Header=BB72_3 Depth=1
	ds_load_b64 v[34:35], v5 offset:17680
	s_wait_dscnt 0x0
	v_pk_mul_f32 v[36:37], v[32:33], v[34:35] op_sel:[1,1] op_sel_hi:[1,0]
	s_delay_alu instid0(VALU_DEP_1) | instskip(SKIP_1) | instid1(VALU_DEP_2)
	v_pk_fma_f32 v[38:39], v[32:33], v[34:35], v[36:37] op_sel_hi:[0,1,1]
	v_pk_fma_f32 v[34:35], v[32:33], v[34:35], v[36:37] neg_lo:[0,0,1] neg_hi:[0,0,1]
	v_mov_b32_e32 v35, v39
	s_delay_alu instid0(VALU_DEP_1)
	v_mov_b64_e32 v[32:33], v[34:35]
	ds_store_b64 v3, v[34:35]
.LBB72_589:                             ;   in Loop: Header=BB72_3 Depth=1
	s_or_b32 exec_lo, exec_lo, s53
	s_wait_dscnt 0x0
	s_barrier_signal -1
	s_barrier_wait -1
	s_and_saveexec_b32 s53, s97
	s_cbranch_execz .LBB72_591
; %bb.590:                              ;   in Loop: Header=BB72_3 Depth=1
	ds_load_b64 v[34:35], v5 offset:17688
	ds_load_b64 v[36:37], v3
	s_wait_dscnt 0x0
	v_pk_mul_f32 v[38:39], v[36:37], v[34:35] op_sel:[1,1] op_sel_hi:[0,1]
	s_delay_alu instid0(VALU_DEP_1) | instskip(SKIP_1) | instid1(VALU_DEP_2)
	v_pk_fma_f32 v[96:97], v[36:37], v[34:35], v[38:39] op_sel_hi:[1,0,1]
	v_pk_fma_f32 v[34:35], v[36:37], v[34:35], v[38:39] neg_lo:[0,0,1] neg_hi:[0,0,1]
	v_mov_b32_e32 v35, v97
	s_delay_alu instid0(VALU_DEP_1)
	v_pk_add_f32 v[32:33], v[32:33], v[34:35]
.LBB72_591:                             ;   in Loop: Header=BB72_3 Depth=1
	s_or_b32 exec_lo, exec_lo, s53
	s_barrier_signal -1
	s_barrier_wait -1
	s_and_saveexec_b32 s53, s97
	s_cbranch_execz .LBB72_593
; %bb.592:                              ;   in Loop: Header=BB72_3 Depth=1
	ds_load_b64 v[34:35], v5 offset:18200
	s_wait_dscnt 0x0
	v_pk_mul_f32 v[36:37], v[32:33], v[34:35] op_sel:[1,1] op_sel_hi:[1,0]
	s_delay_alu instid0(VALU_DEP_1) | instskip(SKIP_1) | instid1(VALU_DEP_2)
	v_pk_fma_f32 v[38:39], v[32:33], v[34:35], v[36:37] op_sel_hi:[0,1,1]
	v_pk_fma_f32 v[34:35], v[32:33], v[34:35], v[36:37] neg_lo:[0,0,1] neg_hi:[0,0,1]
	v_mov_b32_e32 v35, v39
	s_delay_alu instid0(VALU_DEP_1)
	v_mov_b64_e32 v[32:33], v[34:35]
	ds_store_b64 v3, v[34:35]
.LBB72_593:                             ;   in Loop: Header=BB72_3 Depth=1
	s_or_b32 exec_lo, exec_lo, s53
	s_wait_dscnt 0x0
	s_barrier_signal -1
	s_barrier_wait -1
	s_barrier_signal -1
	s_barrier_wait -1
	s_and_saveexec_b32 s53, s0
; %bb.594:                              ;   in Loop: Header=BB72_3 Depth=1
	v_pk_add_f32 v[32:33], v[32:33], 0 neg_lo:[1,1] neg_hi:[1,1]
	ds_store_b64 v42, v[32:33] offset:16656
; %bb.595:                              ;   in Loop: Header=BB72_3 Depth=1
	s_or_b32 exec_lo, exec_lo, s53
	s_wait_dscnt 0x0
	s_barrier_signal -1
	s_barrier_wait -1
	s_barrier_signal -1
	s_barrier_wait -1
	s_and_saveexec_b32 s53, s98
	s_cbranch_execz .LBB72_597
; %bb.596:                              ;   in Loop: Header=BB72_3 Depth=1
	ds_load_b64 v[32:33], v47 offset:16656
	s_wait_dscnt 0x0
	ds_store_b64 v44, v[32:33] offset:17664
	ds_load_b64 v[32:33], v47 offset:16664
	s_wait_dscnt 0x0
	ds_store_b64 v44, v[32:33] offset:18176
.LBB72_597:                             ;   in Loop: Header=BB72_3 Depth=1
	s_or_b32 exec_lo, exec_lo, s53
	s_wait_dscnt 0x0
	s_barrier_signal -1
	s_barrier_wait -1
	s_and_saveexec_b32 s53, s14
	s_cbranch_execz .LBB72_599
; %bb.598:                              ;   in Loop: Header=BB72_3 Depth=1
	ds_load_b128 v[32:35], v5 offset:17680
	ds_load_b64 v[36:37], v5 offset:18200
	s_wait_dscnt 0x1
	v_dual_mov_b32 v96, v35 :: v_dual_mov_b32 v97, v34
	s_wait_dscnt 0x0
	v_dual_mul_f32 v39, v37, v33 :: v_dual_mul_f32 v38, v36, v33
	s_delay_alu instid0(VALU_DEP_1) | instskip(NEXT) | instid1(VALU_DEP_1)
	v_xor_b32_e32 v40, 0x80000000, v39
	v_dual_fmac_f32 v38, v37, v32 :: v_dual_fmac_f32 v40, v36, v32
	s_delay_alu instid0(VALU_DEP_1) | instskip(NEXT) | instid1(VALU_DEP_1)
	v_pk_mul_f32 v[32:33], v[38:39], v[96:97] op_sel_hi:[0,1]
	v_pk_fma_f32 v[36:37], v[40:41], v[34:35], v[32:33] op_sel_hi:[0,1,1]
	v_pk_fma_f32 v[32:33], v[40:41], v[34:35], v[32:33] neg_lo:[0,0,1] neg_hi:[0,0,1]
	v_add_nc_u32_e64 v34, 0x4000, 0
	s_delay_alu instid0(VALU_DEP_3)
	v_mov_b32_e32 v33, v37
	ds_store_2addr_b64 v34, v[32:33], v[32:33] offset0:163 offset1:226
.LBB72_599:                             ;   in Loop: Header=BB72_3 Depth=1
	s_or_b32 exec_lo, exec_lo, s53
	v_mov_b32_e32 v32, 0
	s_wait_dscnt 0x0
	s_barrier_signal -1
	s_barrier_wait -1
	s_delay_alu instid0(VALU_DEP_1)
	v_mov_b32_e32 v33, v32
	s_and_saveexec_b32 s64, s2
	s_cbranch_execz .LBB72_605
; %bb.600:                              ;   in Loop: Header=BB72_3 Depth=1
	ds_load_b64 v[32:33], v49 offset:16672
	ds_load_b64 v[34:35], v45 offset:16640
	s_wait_dscnt 0x0
	v_pk_mul_f32 v[36:37], v[34:35], v[32:33] op_sel:[0,1]
	s_delay_alu instid0(VALU_DEP_1) | instskip(SKIP_1) | instid1(VALU_DEP_2)
	v_pk_fma_f32 v[38:39], v[34:35], v[32:33], v[36:37] op_sel:[1,0,0] op_sel_hi:[0,0,1] neg_lo:[0,0,1] neg_hi:[0,0,1]
	v_pk_fma_f32 v[32:33], v[34:35], v[32:33], v[36:37] op_sel:[1,0,0] op_sel_hi:[0,1,1]
	v_mov_b32_e32 v33, v39
	s_delay_alu instid0(VALU_DEP_1)
	v_pk_add_f32 v[32:33], v[32:33], 0 op_sel_hi:[1,0]
	s_and_saveexec_b32 s53, s16
	s_cbranch_execnz .LBB72_1150
; %bb.601:                              ;   in Loop: Header=BB72_3 Depth=1
	s_or_b32 exec_lo, exec_lo, s53
	s_and_saveexec_b32 s53, s17
	s_cbranch_execnz .LBB72_1151
.LBB72_602:                             ;   in Loop: Header=BB72_3 Depth=1
	s_or_b32 exec_lo, exec_lo, s53
	s_and_saveexec_b32 s53, s0
	s_cbranch_execz .LBB72_604
.LBB72_603:                             ;   in Loop: Header=BB72_3 Depth=1
	ds_load_b64 v[34:35], v52 offset:18208
	ds_load_b64 v[36:37], v5 offset:16664
	s_wait_dscnt 0x0
	v_pk_mul_f32 v[38:39], v[36:37], v[34:35] op_sel:[0,1]
	s_delay_alu instid0(VALU_DEP_1) | instskip(SKIP_1) | instid1(VALU_DEP_2)
	v_pk_fma_f32 v[96:97], v[36:37], v[34:35], v[38:39] op_sel:[1,0,0] op_sel_hi:[0,0,1] neg_lo:[0,0,1] neg_hi:[0,0,1]
	v_pk_fma_f32 v[34:35], v[36:37], v[34:35], v[38:39] op_sel:[1,0,0] op_sel_hi:[0,1,1]
	v_mov_b32_e32 v35, v97
	s_delay_alu instid0(VALU_DEP_1)
	v_pk_add_f32 v[32:33], v[32:33], v[34:35]
.LBB72_604:                             ;   in Loop: Header=BB72_3 Depth=1
	s_or_b32 exec_lo, exec_lo, s53
	s_delay_alu instid0(VALU_DEP_1) | instskip(NEXT) | instid1(VALU_DEP_1)
	v_pk_add_f32 v[34:35], v[32:33], 0 neg_lo:[1,1] neg_hi:[1,1]
	v_dual_mov_b32 v32, v35 :: v_dual_mov_b32 v33, v34
.LBB72_605:                             ;   in Loop: Header=BB72_3 Depth=1
	s_or_b32 exec_lo, exec_lo, s64
	s_and_saveexec_b32 s53, s99
	s_cbranch_execz .LBB72_607
; %bb.606:                              ;   in Loop: Header=BB72_3 Depth=1
	ds_load_b64 v[34:35], v5 offset:18720
	v_dual_mov_b32 v36, v33 :: v_dual_mov_b32 v37, v32
	s_wait_dscnt 0x0
	s_delay_alu instid0(VALU_DEP_1) | instskip(NEXT) | instid1(VALU_DEP_1)
	v_dual_mul_f32 v38, v36, v34 :: v_dual_mul_f32 v40, v33, v35
	v_pk_fma_f32 v[36:37], v[36:37], v[34:35], v[38:39] op_sel_hi:[1,1,0]
	s_delay_alu instid0(VALU_DEP_2) | instskip(NEXT) | instid1(VALU_DEP_2)
	v_pk_fma_f32 v[32:33], v[32:33], v[34:35], v[40:41] op_sel_hi:[1,1,0] neg_lo:[0,0,1] neg_hi:[0,0,1]
	v_mov_b32_e32 v33, v37
	ds_store_b64 v48, v[32:33]
.LBB72_607:                             ;   in Loop: Header=BB72_3 Depth=1
	s_or_b32 exec_lo, exec_lo, s53
	s_wait_dscnt 0x0
	s_barrier_signal -1
	s_barrier_wait -1
	s_and_saveexec_b32 s53, s100
	s_cbranch_execz .LBB72_609
; %bb.608:                              ;   in Loop: Header=BB72_3 Depth=1
	ds_load_b64 v[34:35], v46 offset:18720
	ds_load_b64 v[36:37], v48
	s_wait_dscnt 0x0
	v_dual_mul_f32 v38, v37, v35 :: v_dual_mul_f32 v39, v36, v35
	s_delay_alu instid0(VALU_DEP_1) | instskip(NEXT) | instid1(VALU_DEP_1)
	v_dual_fma_f32 v38, v36, v34, -v38 :: v_dual_fmac_f32 v39, v37, v34
	v_pk_add_f32 v[32:33], v[32:33], v[38:39]
.LBB72_609:                             ;   in Loop: Header=BB72_3 Depth=1
	s_or_b32 exec_lo, exec_lo, s53
	s_barrier_signal -1
	s_barrier_wait -1
	s_and_saveexec_b32 s53, s101
	s_cbranch_execz .LBB72_611
; %bb.610:                              ;   in Loop: Header=BB72_3 Depth=1
	ds_load_b64 v[34:35], v5 offset:19240
	s_wait_dscnt 0x0
	v_pk_mul_f32 v[36:37], v[32:33], v[34:35] op_sel:[1,1] op_sel_hi:[1,0]
	s_delay_alu instid0(VALU_DEP_1) | instskip(SKIP_1) | instid1(VALU_DEP_2)
	v_pk_fma_f32 v[38:39], v[32:33], v[34:35], v[36:37] op_sel_hi:[0,1,1]
	v_pk_fma_f32 v[34:35], v[32:33], v[34:35], v[36:37] neg_lo:[0,0,1] neg_hi:[0,0,1]
	v_mov_b32_e32 v35, v39
	s_delay_alu instid0(VALU_DEP_1)
	v_mov_b64_e32 v[32:33], v[34:35]
	ds_store_b64 v48, v[34:35]
.LBB72_611:                             ;   in Loop: Header=BB72_3 Depth=1
	s_or_b32 exec_lo, exec_lo, s53
	s_wait_dscnt 0x0
	s_barrier_signal -1
	s_barrier_wait -1
	s_and_saveexec_b32 s53, s102
	s_cbranch_execz .LBB72_613
; %bb.612:                              ;   in Loop: Header=BB72_3 Depth=1
	ds_load_b64 v[34:35], v46 offset:19232
	ds_load_b64 v[36:37], v48
	s_wait_dscnt 0x0
	v_pk_mul_f32 v[38:39], v[36:37], v[34:35] op_sel:[1,1] op_sel_hi:[0,1]
	s_delay_alu instid0(VALU_DEP_1) | instskip(SKIP_1) | instid1(VALU_DEP_2)
	v_pk_fma_f32 v[96:97], v[36:37], v[34:35], v[38:39] op_sel_hi:[1,0,1]
	v_pk_fma_f32 v[34:35], v[36:37], v[34:35], v[38:39] neg_lo:[0,0,1] neg_hi:[0,0,1]
	v_mov_b32_e32 v35, v97
	s_delay_alu instid0(VALU_DEP_1)
	v_pk_add_f32 v[32:33], v[32:33], v[34:35]
.LBB72_613:                             ;   in Loop: Header=BB72_3 Depth=1
	s_or_b32 exec_lo, exec_lo, s53
	s_barrier_signal -1
	s_barrier_wait -1
	s_and_saveexec_b32 s53, s103
	s_cbranch_execz .LBB72_615
; %bb.614:                              ;   in Loop: Header=BB72_3 Depth=1
	ds_load_b64 v[34:35], v5 offset:19760
	s_wait_dscnt 0x0
	v_pk_mul_f32 v[36:37], v[32:33], v[34:35] op_sel:[1,1] op_sel_hi:[1,0]
	s_delay_alu instid0(VALU_DEP_1) | instskip(SKIP_1) | instid1(VALU_DEP_2)
	v_pk_fma_f32 v[38:39], v[32:33], v[34:35], v[36:37] op_sel_hi:[0,1,1]
	v_pk_fma_f32 v[34:35], v[32:33], v[34:35], v[36:37] neg_lo:[0,0,1] neg_hi:[0,0,1]
	v_mov_b32_e32 v35, v39
	s_delay_alu instid0(VALU_DEP_1)
	v_mov_b64_e32 v[32:33], v[34:35]
	ds_store_b64 v48, v[34:35]
.LBB72_615:                             ;   in Loop: Header=BB72_3 Depth=1
	s_or_b32 exec_lo, exec_lo, s53
	s_wait_dscnt 0x0
	s_barrier_signal -1
	s_barrier_wait -1
	s_and_saveexec_b32 s53, s104
	s_cbranch_execz .LBB72_617
; %bb.616:                              ;   in Loop: Header=BB72_3 Depth=1
	ds_load_b64 v[34:35], v5 offset:19768
	ds_load_b64 v[36:37], v48
	s_wait_dscnt 0x0
	v_pk_mul_f32 v[38:39], v[36:37], v[34:35] op_sel:[1,1] op_sel_hi:[0,1]
	s_delay_alu instid0(VALU_DEP_1) | instskip(SKIP_1) | instid1(VALU_DEP_2)
	v_pk_fma_f32 v[96:97], v[36:37], v[34:35], v[38:39] op_sel_hi:[1,0,1]
	v_pk_fma_f32 v[34:35], v[36:37], v[34:35], v[38:39] neg_lo:[0,0,1] neg_hi:[0,0,1]
	v_mov_b32_e32 v35, v97
	s_delay_alu instid0(VALU_DEP_1)
	v_pk_add_f32 v[32:33], v[32:33], v[34:35]
.LBB72_617:                             ;   in Loop: Header=BB72_3 Depth=1
	s_or_b32 exec_lo, exec_lo, s53
	s_barrier_signal -1
	s_barrier_wait -1
	s_and_saveexec_b32 s53, s104
	s_cbranch_execz .LBB72_619
; %bb.618:                              ;   in Loop: Header=BB72_3 Depth=1
	ds_load_b64 v[34:35], v5 offset:20280
	s_wait_dscnt 0x0
	v_pk_mul_f32 v[36:37], v[32:33], v[34:35] op_sel:[1,1] op_sel_hi:[1,0]
	s_delay_alu instid0(VALU_DEP_1) | instskip(SKIP_1) | instid1(VALU_DEP_2)
	v_pk_fma_f32 v[38:39], v[32:33], v[34:35], v[36:37] op_sel_hi:[0,1,1]
	v_pk_fma_f32 v[34:35], v[32:33], v[34:35], v[36:37] neg_lo:[0,0,1] neg_hi:[0,0,1]
	v_mov_b32_e32 v35, v39
	s_delay_alu instid0(VALU_DEP_1)
	v_mov_b64_e32 v[32:33], v[34:35]
	ds_store_b64 v48, v[34:35]
.LBB72_619:                             ;   in Loop: Header=BB72_3 Depth=1
	s_or_b32 exec_lo, exec_lo, s53
	s_wait_dscnt 0x0
	s_barrier_signal -1
	s_barrier_wait -1
	s_barrier_signal -1
	s_barrier_wait -1
	s_and_saveexec_b32 s53, s2
; %bb.620:                              ;   in Loop: Header=BB72_3 Depth=1
	v_pk_add_f32 v[32:33], v[32:33], 0 neg_lo:[1,1] neg_hi:[1,1]
	ds_store_b64 v49, v[32:33] offset:16672
; %bb.621:                              ;   in Loop: Header=BB72_3 Depth=1
	s_or_b32 exec_lo, exec_lo, s53
	s_wait_dscnt 0x0
	s_barrier_signal -1
	s_barrier_wait -1
	s_barrier_signal -1
	s_barrier_wait -1
	s_and_saveexec_b32 s53, vcc_hi
	s_cbranch_execz .LBB72_623
; %bb.622:                              ;   in Loop: Header=BB72_3 Depth=1
	ds_load_b64 v[32:33], v53 offset:16672
	s_wait_dscnt 0x0
	ds_store_b64 v54, v[32:33] offset:18688
	ds_load_b64 v[32:33], v53 offset:16680
	s_wait_dscnt 0x0
	ds_store_b64 v54, v[32:33] offset:19200
	;; [unrolled: 3-line block ×4, first 2 shown]
.LBB72_623:                             ;   in Loop: Header=BB72_3 Depth=1
	s_or_b32 exec_lo, exec_lo, s53
	s_wait_dscnt 0x0
	s_barrier_signal -1
	s_barrier_wait -1
	s_and_saveexec_b32 s53, s14
	s_cbranch_execz .LBB72_625
; %bb.624:                              ;   in Loop: Header=BB72_3 Depth=1
	ds_load_b128 v[32:35], v5 offset:18720
	ds_load_b64 v[36:37], v5 offset:19240
	s_wait_dscnt 0x1
	v_dual_mov_b32 v96, v35 :: v_dual_mov_b32 v97, v34
	s_wait_dscnt 0x0
	v_dual_mul_f32 v39, v37, v33 :: v_dual_mul_f32 v38, v36, v33
	s_delay_alu instid0(VALU_DEP_1) | instskip(NEXT) | instid1(VALU_DEP_1)
	v_xor_b32_e32 v40, 0x80000000, v39
	v_dual_fmac_f32 v38, v37, v32 :: v_dual_fmac_f32 v40, v36, v32
	s_delay_alu instid0(VALU_DEP_1) | instskip(NEXT) | instid1(VALU_DEP_1)
	v_pk_mul_f32 v[32:33], v[38:39], v[96:97] op_sel_hi:[0,1]
	v_pk_fma_f32 v[36:37], v[40:41], v[34:35], v[32:33] op_sel_hi:[0,1,1]
	v_pk_fma_f32 v[32:33], v[40:41], v[34:35], v[32:33] neg_lo:[0,0,1] neg_hi:[0,0,1]
	v_add_nc_u32_e64 v34, 0x4800, 0
	s_delay_alu instid0(VALU_DEP_3)
	v_mov_b32_e32 v33, v37
	ds_store_2addr_b64 v34, v[32:33], v[32:33] offset0:37 offset1:100
.LBB72_625:                             ;   in Loop: Header=BB72_3 Depth=1
	s_or_b32 exec_lo, exec_lo, s53
	v_mov_b32_e32 v33, 0
	s_wait_dscnt 0x0
	s_barrier_signal -1
	s_barrier_wait -1
	s_delay_alu instid0(VALU_DEP_1)
	v_mov_b32_e32 v32, v33
	s_and_saveexec_b32 s53, s0
	s_cbranch_execz .LBB72_629
; %bb.626:                              ;   in Loop: Header=BB72_3 Depth=1
	ds_load_b64 v[32:33], v42 offset:18736
	ds_load_b64 v[34:35], v43 offset:18720
	s_wait_dscnt 0x0
	v_dual_mul_f32 v36, v35, v33 :: v_dual_mul_f32 v37, v34, v33
	s_delay_alu instid0(VALU_DEP_1) | instskip(NEXT) | instid1(VALU_DEP_1)
	v_dual_fma_f32 v36, v34, v32, -v36 :: v_dual_fmac_f32 v37, v35, v32
	v_pk_add_f32 v[32:33], v[36:37], 0 op_sel_hi:[1,0]
	s_and_saveexec_b32 s54, s15
	s_cbranch_execz .LBB72_628
; %bb.627:                              ;   in Loop: Header=BB72_3 Depth=1
	ds_load_b64 v[34:35], v54 offset:19248
	ds_load_b64 v[36:37], v5 offset:18728
	s_wait_dscnt 0x0
	v_pk_mul_f32 v[38:39], v[36:37], v[34:35] op_sel:[1,1] op_sel_hi:[0,1]
	s_delay_alu instid0(VALU_DEP_1) | instskip(SKIP_1) | instid1(VALU_DEP_2)
	v_pk_fma_f32 v[96:97], v[36:37], v[34:35], v[38:39] op_sel_hi:[1,0,1]
	v_pk_fma_f32 v[34:35], v[36:37], v[34:35], v[38:39] neg_lo:[0,0,1] neg_hi:[0,0,1]
	v_mov_b32_e32 v35, v97
	s_delay_alu instid0(VALU_DEP_1)
	v_pk_add_f32 v[32:33], v[32:33], v[34:35]
.LBB72_628:                             ;   in Loop: Header=BB72_3 Depth=1
	s_or_b32 exec_lo, exec_lo, s54
	s_delay_alu instid0(VALU_DEP_1)
	v_pk_add_f32 v[32:33], v[32:33], 0 neg_lo:[1,1] neg_hi:[1,1]
.LBB72_629:                             ;   in Loop: Header=BB72_3 Depth=1
	s_or_b32 exec_lo, exec_lo, s53
	s_and_saveexec_b32 s53, s96
	s_cbranch_execz .LBB72_631
; %bb.630:                              ;   in Loop: Header=BB72_3 Depth=1
	ds_load_b64 v[34:35], v5 offset:19760
	s_wait_dscnt 0x0
	v_pk_mul_f32 v[36:37], v[32:33], v[34:35] op_sel:[1,1] op_sel_hi:[1,0]
	s_delay_alu instid0(VALU_DEP_1) | instskip(SKIP_1) | instid1(VALU_DEP_2)
	v_pk_fma_f32 v[38:39], v[32:33], v[34:35], v[36:37] op_sel_hi:[0,1,1]
	v_pk_fma_f32 v[34:35], v[32:33], v[34:35], v[36:37] neg_lo:[0,0,1] neg_hi:[0,0,1]
	v_mov_b32_e32 v35, v39
	s_delay_alu instid0(VALU_DEP_1)
	v_mov_b64_e32 v[32:33], v[34:35]
	ds_store_b64 v3, v[34:35]
.LBB72_631:                             ;   in Loop: Header=BB72_3 Depth=1
	s_or_b32 exec_lo, exec_lo, s53
	s_wait_dscnt 0x0
	s_barrier_signal -1
	s_barrier_wait -1
	s_and_saveexec_b32 s53, s97
	s_cbranch_execz .LBB72_633
; %bb.632:                              ;   in Loop: Header=BB72_3 Depth=1
	ds_load_b64 v[34:35], v5 offset:19768
	ds_load_b64 v[36:37], v3
	s_wait_dscnt 0x0
	v_pk_mul_f32 v[38:39], v[36:37], v[34:35] op_sel:[1,1] op_sel_hi:[0,1]
	s_delay_alu instid0(VALU_DEP_1) | instskip(SKIP_1) | instid1(VALU_DEP_2)
	v_pk_fma_f32 v[96:97], v[36:37], v[34:35], v[38:39] op_sel_hi:[1,0,1]
	v_pk_fma_f32 v[34:35], v[36:37], v[34:35], v[38:39] neg_lo:[0,0,1] neg_hi:[0,0,1]
	v_mov_b32_e32 v35, v97
	s_delay_alu instid0(VALU_DEP_1)
	v_pk_add_f32 v[32:33], v[32:33], v[34:35]
.LBB72_633:                             ;   in Loop: Header=BB72_3 Depth=1
	s_or_b32 exec_lo, exec_lo, s53
	s_barrier_signal -1
	s_barrier_wait -1
	s_and_saveexec_b32 s53, s97
	s_cbranch_execz .LBB72_635
; %bb.634:                              ;   in Loop: Header=BB72_3 Depth=1
	ds_load_b64 v[34:35], v5 offset:20280
	s_wait_dscnt 0x0
	v_pk_mul_f32 v[36:37], v[32:33], v[34:35] op_sel:[1,1] op_sel_hi:[1,0]
	s_delay_alu instid0(VALU_DEP_1) | instskip(SKIP_1) | instid1(VALU_DEP_2)
	v_pk_fma_f32 v[38:39], v[32:33], v[34:35], v[36:37] op_sel_hi:[0,1,1]
	v_pk_fma_f32 v[34:35], v[32:33], v[34:35], v[36:37] neg_lo:[0,0,1] neg_hi:[0,0,1]
	v_mov_b32_e32 v35, v39
	s_delay_alu instid0(VALU_DEP_1)
	v_mov_b64_e32 v[32:33], v[34:35]
	ds_store_b64 v3, v[34:35]
.LBB72_635:                             ;   in Loop: Header=BB72_3 Depth=1
	s_or_b32 exec_lo, exec_lo, s53
	s_wait_dscnt 0x0
	s_barrier_signal -1
	s_barrier_wait -1
	s_barrier_signal -1
	s_barrier_wait -1
	s_and_saveexec_b32 s53, s0
; %bb.636:                              ;   in Loop: Header=BB72_3 Depth=1
	v_pk_add_f32 v[32:33], v[32:33], 0 neg_lo:[1,1] neg_hi:[1,1]
	ds_store_b64 v42, v[32:33] offset:18736
; %bb.637:                              ;   in Loop: Header=BB72_3 Depth=1
	s_or_b32 exec_lo, exec_lo, s53
	s_wait_dscnt 0x0
	s_barrier_signal -1
	s_barrier_wait -1
	s_barrier_signal -1
	s_barrier_wait -1
	s_and_saveexec_b32 s53, s98
	s_cbranch_execz .LBB72_639
; %bb.638:                              ;   in Loop: Header=BB72_3 Depth=1
	ds_load_b64 v[32:33], v57 offset:18736
	s_wait_dscnt 0x0
	ds_store_b64 v54, v[32:33] offset:19744
	ds_load_b64 v[32:33], v57 offset:18744
	s_wait_dscnt 0x0
	ds_store_b64 v54, v[32:33] offset:20256
.LBB72_639:                             ;   in Loop: Header=BB72_3 Depth=1
	s_or_b32 exec_lo, exec_lo, s53
	s_wait_dscnt 0x0
	s_barrier_signal -1
	s_barrier_wait -1
	s_and_saveexec_b32 s53, s14
	s_cbranch_execz .LBB72_641
; %bb.640:                              ;   in Loop: Header=BB72_3 Depth=1
	ds_load_b128 v[32:35], v5 offset:19760
	ds_load_b64 v[36:37], v5 offset:20280
	s_wait_dscnt 0x1
	v_dual_mov_b32 v96, v35 :: v_dual_mov_b32 v97, v34
	s_wait_dscnt 0x0
	v_dual_mul_f32 v39, v37, v33 :: v_dual_mul_f32 v38, v36, v33
	s_delay_alu instid0(VALU_DEP_1) | instskip(NEXT) | instid1(VALU_DEP_1)
	v_xor_b32_e32 v40, 0x80000000, v39
	v_dual_fmac_f32 v38, v37, v32 :: v_dual_fmac_f32 v40, v36, v32
	s_delay_alu instid0(VALU_DEP_1) | instskip(NEXT) | instid1(VALU_DEP_1)
	v_pk_mul_f32 v[32:33], v[38:39], v[96:97] op_sel_hi:[0,1]
	v_pk_fma_f32 v[36:37], v[40:41], v[34:35], v[32:33] op_sel_hi:[0,1,1]
	v_pk_fma_f32 v[32:33], v[40:41], v[34:35], v[32:33] neg_lo:[0,0,1] neg_hi:[0,0,1]
	v_add_nc_u32_e64 v34, 0x4800, 0
	s_delay_alu instid0(VALU_DEP_3)
	v_mov_b32_e32 v33, v37
	ds_store_2addr_b64 v34, v[32:33], v[32:33] offset0:167 offset1:230
.LBB72_641:                             ;   in Loop: Header=BB72_3 Depth=1
	s_or_b32 exec_lo, exec_lo, s53
	v_mov_b32_e32 v32, 0
	s_wait_dscnt 0x0
	s_barrier_signal -1
	s_barrier_wait -1
	s_delay_alu instid0(VALU_DEP_1)
	v_mov_b32_e32 v33, v32
	s_and_saveexec_b32 s64, s3
	s_cbranch_execz .LBB72_651
; %bb.642:                              ;   in Loop: Header=BB72_3 Depth=1
	ds_load_b64 v[32:33], v59 offset:16704
	ds_load_b64 v[34:35], v55 offset:16640
	s_wait_dscnt 0x0
	v_dual_mul_f32 v36, v35, v33 :: v_dual_mul_f32 v37, v34, v33
	s_delay_alu instid0(VALU_DEP_1) | instskip(NEXT) | instid1(VALU_DEP_1)
	v_dual_fma_f32 v33, v34, v32, -v36 :: v_dual_fmac_f32 v37, v35, v32
	v_add_f32_e32 v33, 0, v33
	s_delay_alu instid0(VALU_DEP_2)
	v_add_f32_e32 v32, 0, v37
	s_and_saveexec_b32 s53, s18
	s_cbranch_execnz .LBB72_1152
; %bb.643:                              ;   in Loop: Header=BB72_3 Depth=1
	s_or_b32 exec_lo, exec_lo, s53
	s_and_saveexec_b32 s53, s19
	s_cbranch_execnz .LBB72_1153
.LBB72_644:                             ;   in Loop: Header=BB72_3 Depth=1
	s_or_b32 exec_lo, exec_lo, s53
	s_and_saveexec_b32 s53, s20
	s_cbranch_execnz .LBB72_1154
.LBB72_645:                             ;   in Loop: Header=BB72_3 Depth=1
	s_or_b32 exec_lo, exec_lo, s53
	s_and_saveexec_b32 s53, s21
	s_cbranch_execnz .LBB72_1155
.LBB72_646:                             ;   in Loop: Header=BB72_3 Depth=1
	s_or_b32 exec_lo, exec_lo, s53
	s_and_saveexec_b32 s53, s22
	s_cbranch_execnz .LBB72_1156
.LBB72_647:                             ;   in Loop: Header=BB72_3 Depth=1
	s_or_b32 exec_lo, exec_lo, s53
	s_and_saveexec_b32 s53, s2
	s_cbranch_execnz .LBB72_1157
.LBB72_648:                             ;   in Loop: Header=BB72_3 Depth=1
	s_or_b32 exec_lo, exec_lo, s53
	s_and_saveexec_b32 s53, s17
	s_cbranch_execz .LBB72_650
.LBB72_649:                             ;   in Loop: Header=BB72_3 Depth=1
	ds_load_b64 v[34:35], v61 offset:20288
	ds_load_b64 v[36:37], v5 offset:16696
	s_wait_dscnt 0x0
	v_pk_mul_f32 v[38:39], v[36:37], v[34:35] op_sel:[0,1]
	s_delay_alu instid0(VALU_DEP_1) | instskip(SKIP_1) | instid1(VALU_DEP_2)
	v_pk_fma_f32 v[96:97], v[36:37], v[34:35], v[38:39] op_sel:[1,0,0] op_sel_hi:[0,0,1] neg_lo:[0,0,1] neg_hi:[0,0,1]
	v_pk_fma_f32 v[34:35], v[36:37], v[34:35], v[38:39] op_sel:[1,0,0] op_sel_hi:[0,1,1]
	v_mov_b32_e32 v35, v97
	s_delay_alu instid0(VALU_DEP_1)
	v_pk_add_f32 v[32:33], v[32:33], v[34:35]
.LBB72_650:                             ;   in Loop: Header=BB72_3 Depth=1
	s_or_b32 exec_lo, exec_lo, s53
	s_delay_alu instid0(VALU_DEP_1) | instskip(NEXT) | instid1(VALU_DEP_1)
	v_pk_add_f32 v[34:35], v[32:33], 0 neg_lo:[1,1] neg_hi:[1,1]
	v_dual_mov_b32 v32, v35 :: v_dual_mov_b32 v33, v34
.LBB72_651:                             ;   in Loop: Header=BB72_3 Depth=1
	s_or_b32 exec_lo, exec_lo, s64
	s_and_saveexec_b32 s53, s38
	s_cbranch_execz .LBB72_653
; %bb.652:                              ;   in Loop: Header=BB72_3 Depth=1
	ds_load_b64 v[34:35], v5 offset:20800
	v_dual_mov_b32 v36, v33 :: v_dual_mov_b32 v37, v32
	s_wait_dscnt 0x0
	s_delay_alu instid0(VALU_DEP_1) | instskip(NEXT) | instid1(VALU_DEP_1)
	v_dual_mul_f32 v38, v36, v34 :: v_dual_mul_f32 v40, v33, v35
	v_pk_fma_f32 v[36:37], v[36:37], v[34:35], v[38:39] op_sel_hi:[1,1,0]
	s_delay_alu instid0(VALU_DEP_2) | instskip(NEXT) | instid1(VALU_DEP_2)
	v_pk_fma_f32 v[32:33], v[32:33], v[34:35], v[40:41] op_sel_hi:[1,1,0] neg_lo:[0,0,1] neg_hi:[0,0,1]
	v_mov_b32_e32 v33, v37
	ds_store_b64 v58, v[32:33]
.LBB72_653:                             ;   in Loop: Header=BB72_3 Depth=1
	s_or_b32 exec_lo, exec_lo, s53
	s_wait_dscnt 0x0
	s_barrier_signal -1
	s_barrier_wait -1
	s_and_saveexec_b32 s53, s39
	s_cbranch_execz .LBB72_655
; %bb.654:                              ;   in Loop: Header=BB72_3 Depth=1
	ds_load_b64 v[34:35], v56 offset:20800
	ds_load_b64 v[36:37], v58
	s_wait_dscnt 0x0
	v_dual_mul_f32 v38, v37, v35 :: v_dual_mul_f32 v39, v36, v35
	s_delay_alu instid0(VALU_DEP_1) | instskip(NEXT) | instid1(VALU_DEP_1)
	v_dual_fma_f32 v38, v36, v34, -v38 :: v_dual_fmac_f32 v39, v37, v34
	v_pk_add_f32 v[32:33], v[32:33], v[38:39]
.LBB72_655:                             ;   in Loop: Header=BB72_3 Depth=1
	s_or_b32 exec_lo, exec_lo, s53
	s_barrier_signal -1
	s_barrier_wait -1
	s_and_saveexec_b32 s53, s40
	s_cbranch_execz .LBB72_657
; %bb.656:                              ;   in Loop: Header=BB72_3 Depth=1
	ds_load_b64 v[34:35], v5 offset:21320
	s_wait_dscnt 0x0
	v_pk_mul_f32 v[36:37], v[32:33], v[34:35] op_sel:[1,1] op_sel_hi:[1,0]
	s_delay_alu instid0(VALU_DEP_1) | instskip(SKIP_1) | instid1(VALU_DEP_2)
	v_pk_fma_f32 v[38:39], v[32:33], v[34:35], v[36:37] op_sel_hi:[0,1,1]
	v_pk_fma_f32 v[32:33], v[32:33], v[34:35], v[36:37] op_sel_hi:[0,1,1] neg_lo:[0,0,1] neg_hi:[0,0,1]
	v_mov_b32_e32 v33, v39
	ds_store_b64 v58, v[32:33]
.LBB72_657:                             ;   in Loop: Header=BB72_3 Depth=1
	s_or_b32 exec_lo, exec_lo, s53
	s_wait_dscnt 0x0
	s_barrier_signal -1
	s_barrier_wait -1
	s_and_saveexec_b32 s53, s41
	s_cbranch_execz .LBB72_659
; %bb.658:                              ;   in Loop: Header=BB72_3 Depth=1
	ds_load_b64 v[34:35], v56 offset:21312
	ds_load_b64 v[36:37], v58
	s_wait_dscnt 0x0
	v_pk_mul_f32 v[38:39], v[36:37], v[34:35] op_sel:[1,1] op_sel_hi:[0,1]
	s_delay_alu instid0(VALU_DEP_1) | instskip(SKIP_1) | instid1(VALU_DEP_2)
	v_pk_fma_f32 v[96:97], v[36:37], v[34:35], v[38:39] op_sel_hi:[1,0,1]
	v_pk_fma_f32 v[34:35], v[36:37], v[34:35], v[38:39] op_sel_hi:[1,0,1] neg_lo:[0,0,1] neg_hi:[0,0,1]
	v_mov_b32_e32 v35, v97
	s_delay_alu instid0(VALU_DEP_1)
	v_pk_add_f32 v[32:33], v[32:33], v[34:35]
.LBB72_659:                             ;   in Loop: Header=BB72_3 Depth=1
	s_or_b32 exec_lo, exec_lo, s53
	s_barrier_signal -1
	s_barrier_wait -1
	s_and_saveexec_b32 s53, s42
	s_cbranch_execz .LBB72_661
; %bb.660:                              ;   in Loop: Header=BB72_3 Depth=1
	ds_load_b64 v[34:35], v5 offset:21840
	s_wait_dscnt 0x0
	v_pk_mul_f32 v[36:37], v[32:33], v[34:35] op_sel:[1,1] op_sel_hi:[1,0]
	s_delay_alu instid0(VALU_DEP_1) | instskip(SKIP_1) | instid1(VALU_DEP_2)
	v_pk_fma_f32 v[38:39], v[32:33], v[34:35], v[36:37] op_sel_hi:[0,1,1]
	v_pk_fma_f32 v[32:33], v[32:33], v[34:35], v[36:37] op_sel_hi:[0,1,1] neg_lo:[0,0,1] neg_hi:[0,0,1]
	v_mov_b32_e32 v33, v39
	ds_store_b64 v58, v[32:33]
.LBB72_661:                             ;   in Loop: Header=BB72_3 Depth=1
	s_or_b32 exec_lo, exec_lo, s53
	s_wait_dscnt 0x0
	s_barrier_signal -1
	s_barrier_wait -1
	s_and_saveexec_b32 s53, s43
	s_cbranch_execz .LBB72_663
; %bb.662:                              ;   in Loop: Header=BB72_3 Depth=1
	ds_load_b64 v[34:35], v56 offset:21824
	ds_load_b64 v[36:37], v58
	s_wait_dscnt 0x0
	v_pk_mul_f32 v[38:39], v[36:37], v[34:35] op_sel:[1,1] op_sel_hi:[0,1]
	s_delay_alu instid0(VALU_DEP_1) | instskip(SKIP_1) | instid1(VALU_DEP_2)
	v_pk_fma_f32 v[96:97], v[36:37], v[34:35], v[38:39] op_sel_hi:[1,0,1]
	v_pk_fma_f32 v[34:35], v[36:37], v[34:35], v[38:39] op_sel_hi:[1,0,1] neg_lo:[0,0,1] neg_hi:[0,0,1]
	v_mov_b32_e32 v35, v97
	s_delay_alu instid0(VALU_DEP_1)
	v_pk_add_f32 v[32:33], v[32:33], v[34:35]
.LBB72_663:                             ;   in Loop: Header=BB72_3 Depth=1
	;; [unrolled: 33-line block ×3, first 2 shown]
	s_or_b32 exec_lo, exec_lo, s53
	s_barrier_signal -1
	s_barrier_wait -1
	s_and_saveexec_b32 s53, s46
	s_cbranch_execz .LBB72_669
; %bb.668:                              ;   in Loop: Header=BB72_3 Depth=1
	ds_load_b64 v[34:35], v5 offset:22880
	s_wait_dscnt 0x0
	v_dual_mul_f32 v36, v32, v35 :: v_dual_mul_f32 v38, v33, v35
	s_delay_alu instid0(VALU_DEP_1) | instskip(NEXT) | instid1(VALU_DEP_2)
	v_pk_fma_f32 v[36:37], v[32:33], v[34:35], v[36:37] op_sel:[0,1,0] op_sel_hi:[1,0,0]
	v_pk_fma_f32 v[34:35], v[32:33], v[34:35], v[38:39] op_sel_hi:[1,1,0] neg_lo:[0,0,1] neg_hi:[0,0,1]
	s_delay_alu instid0(VALU_DEP_2) | instskip(NEXT) | instid1(VALU_DEP_1)
	v_mov_b32_e32 v35, v37
	v_mov_b64_e32 v[32:33], v[34:35]
	ds_store_b64 v58, v[34:35]
.LBB72_669:                             ;   in Loop: Header=BB72_3 Depth=1
	s_or_b32 exec_lo, exec_lo, s53
	s_wait_dscnt 0x0
	s_barrier_signal -1
	s_barrier_wait -1
	s_and_saveexec_b32 s53, s47
	s_cbranch_execz .LBB72_671
; %bb.670:                              ;   in Loop: Header=BB72_3 Depth=1
	ds_load_b64 v[34:35], v56 offset:22848
	ds_load_b64 v[36:37], v58
	s_wait_dscnt 0x0
	v_dual_mul_f32 v38, v37, v35 :: v_dual_mul_f32 v39, v36, v35
	s_delay_alu instid0(VALU_DEP_1) | instskip(NEXT) | instid1(VALU_DEP_1)
	v_dual_fma_f32 v38, v36, v34, -v38 :: v_dual_fmac_f32 v39, v37, v34
	v_pk_add_f32 v[32:33], v[32:33], v[38:39]
.LBB72_671:                             ;   in Loop: Header=BB72_3 Depth=1
	s_or_b32 exec_lo, exec_lo, s53
	s_barrier_signal -1
	s_barrier_wait -1
	s_and_saveexec_b32 s53, s48
	s_cbranch_execz .LBB72_673
; %bb.672:                              ;   in Loop: Header=BB72_3 Depth=1
	ds_load_b64 v[34:35], v5 offset:23400
	s_wait_dscnt 0x0
	v_pk_mul_f32 v[36:37], v[32:33], v[34:35] op_sel:[1,1] op_sel_hi:[1,0]
	s_delay_alu instid0(VALU_DEP_1) | instskip(SKIP_1) | instid1(VALU_DEP_2)
	v_pk_fma_f32 v[38:39], v[32:33], v[34:35], v[36:37] op_sel_hi:[0,1,1]
	v_pk_fma_f32 v[34:35], v[32:33], v[34:35], v[36:37] neg_lo:[0,0,1] neg_hi:[0,0,1]
	v_mov_b32_e32 v35, v39
	s_delay_alu instid0(VALU_DEP_1)
	v_mov_b64_e32 v[32:33], v[34:35]
	ds_store_b64 v58, v[34:35]
.LBB72_673:                             ;   in Loop: Header=BB72_3 Depth=1
	s_or_b32 exec_lo, exec_lo, s53
	s_wait_dscnt 0x0
	s_barrier_signal -1
	s_barrier_wait -1
	s_and_saveexec_b32 s53, s49
	s_cbranch_execz .LBB72_675
; %bb.674:                              ;   in Loop: Header=BB72_3 Depth=1
	ds_load_b64 v[34:35], v56 offset:23360
	ds_load_b64 v[36:37], v58
	s_wait_dscnt 0x0
	v_pk_mul_f32 v[38:39], v[36:37], v[34:35] op_sel:[1,1] op_sel_hi:[0,1]
	s_delay_alu instid0(VALU_DEP_1) | instskip(SKIP_1) | instid1(VALU_DEP_2)
	v_pk_fma_f32 v[96:97], v[36:37], v[34:35], v[38:39] op_sel_hi:[1,0,1]
	v_pk_fma_f32 v[34:35], v[36:37], v[34:35], v[38:39] neg_lo:[0,0,1] neg_hi:[0,0,1]
	v_mov_b32_e32 v35, v97
	s_delay_alu instid0(VALU_DEP_1)
	v_pk_add_f32 v[32:33], v[32:33], v[34:35]
.LBB72_675:                             ;   in Loop: Header=BB72_3 Depth=1
	s_or_b32 exec_lo, exec_lo, s53
	s_barrier_signal -1
	s_barrier_wait -1
	s_and_saveexec_b32 s53, s50
	s_cbranch_execz .LBB72_677
; %bb.676:                              ;   in Loop: Header=BB72_3 Depth=1
	ds_load_b64 v[34:35], v5 offset:23920
	s_wait_dscnt 0x0
	v_pk_mul_f32 v[36:37], v[32:33], v[34:35] op_sel:[1,1] op_sel_hi:[1,0]
	s_delay_alu instid0(VALU_DEP_1) | instskip(SKIP_1) | instid1(VALU_DEP_2)
	v_pk_fma_f32 v[38:39], v[32:33], v[34:35], v[36:37] op_sel_hi:[0,1,1]
	v_pk_fma_f32 v[34:35], v[32:33], v[34:35], v[36:37] neg_lo:[0,0,1] neg_hi:[0,0,1]
	v_mov_b32_e32 v35, v39
	s_delay_alu instid0(VALU_DEP_1)
	v_mov_b64_e32 v[32:33], v[34:35]
	ds_store_b64 v58, v[34:35]
.LBB72_677:                             ;   in Loop: Header=BB72_3 Depth=1
	s_or_b32 exec_lo, exec_lo, s53
	s_wait_dscnt 0x0
	s_barrier_signal -1
	s_barrier_wait -1
	s_and_saveexec_b32 s53, s51
	s_cbranch_execz .LBB72_679
; %bb.678:                              ;   in Loop: Header=BB72_3 Depth=1
	ds_load_b64 v[34:35], v5 offset:23928
	ds_load_b64 v[36:37], v58
	s_wait_dscnt 0x0
	v_pk_mul_f32 v[38:39], v[36:37], v[34:35] op_sel:[1,1] op_sel_hi:[0,1]
	s_delay_alu instid0(VALU_DEP_1) | instskip(SKIP_1) | instid1(VALU_DEP_2)
	v_pk_fma_f32 v[96:97], v[36:37], v[34:35], v[38:39] op_sel_hi:[1,0,1]
	v_pk_fma_f32 v[34:35], v[36:37], v[34:35], v[38:39] neg_lo:[0,0,1] neg_hi:[0,0,1]
	v_mov_b32_e32 v35, v97
	s_delay_alu instid0(VALU_DEP_1)
	v_pk_add_f32 v[32:33], v[32:33], v[34:35]
.LBB72_679:                             ;   in Loop: Header=BB72_3 Depth=1
	s_or_b32 exec_lo, exec_lo, s53
	s_barrier_signal -1
	s_barrier_wait -1
	s_and_saveexec_b32 s53, s51
	s_cbranch_execz .LBB72_681
; %bb.680:                              ;   in Loop: Header=BB72_3 Depth=1
	ds_load_b64 v[34:35], v5 offset:24440
	s_wait_dscnt 0x0
	v_pk_mul_f32 v[36:37], v[32:33], v[34:35] op_sel:[1,1] op_sel_hi:[1,0]
	s_delay_alu instid0(VALU_DEP_1) | instskip(SKIP_1) | instid1(VALU_DEP_2)
	v_pk_fma_f32 v[38:39], v[32:33], v[34:35], v[36:37] op_sel_hi:[0,1,1]
	v_pk_fma_f32 v[34:35], v[32:33], v[34:35], v[36:37] neg_lo:[0,0,1] neg_hi:[0,0,1]
	v_mov_b32_e32 v35, v39
	s_delay_alu instid0(VALU_DEP_1)
	v_mov_b64_e32 v[32:33], v[34:35]
	ds_store_b64 v58, v[34:35]
.LBB72_681:                             ;   in Loop: Header=BB72_3 Depth=1
	s_or_b32 exec_lo, exec_lo, s53
	s_wait_dscnt 0x0
	s_barrier_signal -1
	s_barrier_wait -1
	s_barrier_signal -1
	s_barrier_wait -1
	s_and_saveexec_b32 s53, s3
; %bb.682:                              ;   in Loop: Header=BB72_3 Depth=1
	v_pk_add_f32 v[32:33], v[32:33], 0 neg_lo:[1,1] neg_hi:[1,1]
	ds_store_b64 v59, v[32:33] offset:16704
; %bb.683:                              ;   in Loop: Header=BB72_3 Depth=1
	s_or_b32 exec_lo, exec_lo, s53
	s_wait_dscnt 0x0
	s_barrier_signal -1
	s_barrier_wait -1
	s_barrier_signal -1
	s_barrier_wait -1
	s_and_saveexec_b32 s53, s52
	s_cbranch_execz .LBB72_685
; %bb.684:                              ;   in Loop: Header=BB72_3 Depth=1
	ds_load_b64 v[32:33], v62 offset:16704
	s_wait_dscnt 0x0
	ds_store_b64 v63, v[32:33] offset:20736
	ds_load_b64 v[32:33], v62 offset:16712
	s_wait_dscnt 0x0
	ds_store_b64 v63, v[32:33] offset:21248
	;; [unrolled: 3-line block ×8, first 2 shown]
.LBB72_685:                             ;   in Loop: Header=BB72_3 Depth=1
	s_or_b32 exec_lo, exec_lo, s53
	s_wait_dscnt 0x0
	s_barrier_signal -1
	s_barrier_wait -1
	s_and_saveexec_b32 s53, s14
	s_cbranch_execz .LBB72_687
; %bb.686:                              ;   in Loop: Header=BB72_3 Depth=1
	ds_load_b128 v[32:35], v5 offset:20800
	ds_load_b64 v[36:37], v5 offset:21320
	s_wait_dscnt 0x1
	v_dual_mov_b32 v96, v35 :: v_dual_mov_b32 v97, v34
	s_wait_dscnt 0x0
	v_dual_mul_f32 v39, v37, v33 :: v_dual_mul_f32 v38, v36, v33
	s_delay_alu instid0(VALU_DEP_1) | instskip(NEXT) | instid1(VALU_DEP_1)
	v_xor_b32_e32 v40, 0x80000000, v39
	v_dual_fmac_f32 v38, v37, v32 :: v_dual_fmac_f32 v40, v36, v32
	s_delay_alu instid0(VALU_DEP_1) | instskip(NEXT) | instid1(VALU_DEP_1)
	v_pk_mul_f32 v[32:33], v[38:39], v[96:97] op_sel_hi:[0,1]
	v_pk_fma_f32 v[36:37], v[40:41], v[34:35], v[32:33] op_sel_hi:[0,1,1]
	v_pk_fma_f32 v[32:33], v[40:41], v[34:35], v[32:33] neg_lo:[0,0,1] neg_hi:[0,0,1]
	v_add_nc_u32_e64 v34, 0x5000, 0
	s_delay_alu instid0(VALU_DEP_3)
	v_mov_b32_e32 v33, v37
	ds_store_2addr_b64 v34, v[32:33], v[32:33] offset0:41 offset1:104
.LBB72_687:                             ;   in Loop: Header=BB72_3 Depth=1
	s_or_b32 exec_lo, exec_lo, s53
	v_mov_b32_e32 v33, 0
	s_wait_dscnt 0x0
	s_barrier_signal -1
	s_barrier_wait -1
	s_delay_alu instid0(VALU_DEP_1)
	v_mov_b32_e32 v32, v33
	s_and_saveexec_b32 s53, s0
	s_cbranch_execz .LBB72_691
; %bb.688:                              ;   in Loop: Header=BB72_3 Depth=1
	ds_load_b64 v[32:33], v42 offset:20816
	ds_load_b64 v[34:35], v43 offset:20800
	s_wait_dscnt 0x0
	v_dual_mul_f32 v36, v35, v33 :: v_dual_mul_f32 v37, v34, v33
	s_delay_alu instid0(VALU_DEP_1) | instskip(NEXT) | instid1(VALU_DEP_1)
	v_dual_fma_f32 v36, v34, v32, -v36 :: v_dual_fmac_f32 v37, v35, v32
	v_pk_add_f32 v[32:33], v[36:37], 0 op_sel_hi:[1,0]
	s_and_saveexec_b32 s54, s15
	s_cbranch_execz .LBB72_690
; %bb.689:                              ;   in Loop: Header=BB72_3 Depth=1
	ds_load_b64 v[34:35], v63 offset:21328
	ds_load_b64 v[36:37], v5 offset:20808
	s_wait_dscnt 0x0
	v_pk_mul_f32 v[38:39], v[36:37], v[34:35] op_sel:[1,1] op_sel_hi:[0,1]
	s_delay_alu instid0(VALU_DEP_1) | instskip(SKIP_1) | instid1(VALU_DEP_2)
	v_pk_fma_f32 v[96:97], v[36:37], v[34:35], v[38:39] op_sel_hi:[1,0,1]
	v_pk_fma_f32 v[34:35], v[36:37], v[34:35], v[38:39] neg_lo:[0,0,1] neg_hi:[0,0,1]
	v_mov_b32_e32 v35, v97
	s_delay_alu instid0(VALU_DEP_1)
	v_pk_add_f32 v[32:33], v[32:33], v[34:35]
.LBB72_690:                             ;   in Loop: Header=BB72_3 Depth=1
	s_or_b32 exec_lo, exec_lo, s54
	s_delay_alu instid0(VALU_DEP_1)
	v_pk_add_f32 v[32:33], v[32:33], 0 neg_lo:[1,1] neg_hi:[1,1]
.LBB72_691:                             ;   in Loop: Header=BB72_3 Depth=1
	s_or_b32 exec_lo, exec_lo, s53
	s_and_saveexec_b32 s53, s96
	s_cbranch_execz .LBB72_693
; %bb.692:                              ;   in Loop: Header=BB72_3 Depth=1
	ds_load_b64 v[34:35], v5 offset:21840
	s_wait_dscnt 0x0
	v_pk_mul_f32 v[36:37], v[32:33], v[34:35] op_sel:[1,1] op_sel_hi:[1,0]
	s_delay_alu instid0(VALU_DEP_1) | instskip(SKIP_1) | instid1(VALU_DEP_2)
	v_pk_fma_f32 v[38:39], v[32:33], v[34:35], v[36:37] op_sel_hi:[0,1,1]
	v_pk_fma_f32 v[34:35], v[32:33], v[34:35], v[36:37] neg_lo:[0,0,1] neg_hi:[0,0,1]
	v_mov_b32_e32 v35, v39
	s_delay_alu instid0(VALU_DEP_1)
	v_mov_b64_e32 v[32:33], v[34:35]
	ds_store_b64 v3, v[34:35]
.LBB72_693:                             ;   in Loop: Header=BB72_3 Depth=1
	s_or_b32 exec_lo, exec_lo, s53
	s_wait_dscnt 0x0
	s_barrier_signal -1
	s_barrier_wait -1
	s_and_saveexec_b32 s53, s97
	s_cbranch_execz .LBB72_695
; %bb.694:                              ;   in Loop: Header=BB72_3 Depth=1
	ds_load_b64 v[34:35], v5 offset:21848
	ds_load_b64 v[36:37], v3
	s_wait_dscnt 0x0
	v_pk_mul_f32 v[38:39], v[36:37], v[34:35] op_sel:[1,1] op_sel_hi:[0,1]
	s_delay_alu instid0(VALU_DEP_1) | instskip(SKIP_1) | instid1(VALU_DEP_2)
	v_pk_fma_f32 v[96:97], v[36:37], v[34:35], v[38:39] op_sel_hi:[1,0,1]
	v_pk_fma_f32 v[34:35], v[36:37], v[34:35], v[38:39] neg_lo:[0,0,1] neg_hi:[0,0,1]
	v_mov_b32_e32 v35, v97
	s_delay_alu instid0(VALU_DEP_1)
	v_pk_add_f32 v[32:33], v[32:33], v[34:35]
.LBB72_695:                             ;   in Loop: Header=BB72_3 Depth=1
	s_or_b32 exec_lo, exec_lo, s53
	s_barrier_signal -1
	s_barrier_wait -1
	s_and_saveexec_b32 s53, s97
	s_cbranch_execz .LBB72_697
; %bb.696:                              ;   in Loop: Header=BB72_3 Depth=1
	ds_load_b64 v[34:35], v5 offset:22360
	s_wait_dscnt 0x0
	v_pk_mul_f32 v[36:37], v[32:33], v[34:35] op_sel:[1,1] op_sel_hi:[1,0]
	s_delay_alu instid0(VALU_DEP_1) | instskip(SKIP_1) | instid1(VALU_DEP_2)
	v_pk_fma_f32 v[38:39], v[32:33], v[34:35], v[36:37] op_sel_hi:[0,1,1]
	v_pk_fma_f32 v[34:35], v[32:33], v[34:35], v[36:37] neg_lo:[0,0,1] neg_hi:[0,0,1]
	v_mov_b32_e32 v35, v39
	s_delay_alu instid0(VALU_DEP_1)
	v_mov_b64_e32 v[32:33], v[34:35]
	ds_store_b64 v3, v[34:35]
.LBB72_697:                             ;   in Loop: Header=BB72_3 Depth=1
	s_or_b32 exec_lo, exec_lo, s53
	s_wait_dscnt 0x0
	s_barrier_signal -1
	s_barrier_wait -1
	s_barrier_signal -1
	s_barrier_wait -1
	s_and_saveexec_b32 s53, s0
; %bb.698:                              ;   in Loop: Header=BB72_3 Depth=1
	v_pk_add_f32 v[32:33], v[32:33], 0 neg_lo:[1,1] neg_hi:[1,1]
	ds_store_b64 v42, v[32:33] offset:20816
; %bb.699:                              ;   in Loop: Header=BB72_3 Depth=1
	s_or_b32 exec_lo, exec_lo, s53
	s_wait_dscnt 0x0
	s_barrier_signal -1
	s_barrier_wait -1
	s_barrier_signal -1
	s_barrier_wait -1
	s_and_saveexec_b32 s53, s98
	s_cbranch_execz .LBB72_701
; %bb.700:                              ;   in Loop: Header=BB72_3 Depth=1
	ds_load_b64 v[32:33], v65 offset:20816
	s_wait_dscnt 0x0
	ds_store_b64 v63, v[32:33] offset:21824
	ds_load_b64 v[32:33], v65 offset:20824
	s_wait_dscnt 0x0
	ds_store_b64 v63, v[32:33] offset:22336
.LBB72_701:                             ;   in Loop: Header=BB72_3 Depth=1
	s_or_b32 exec_lo, exec_lo, s53
	s_wait_dscnt 0x0
	s_barrier_signal -1
	s_barrier_wait -1
	s_and_saveexec_b32 s53, s14
	s_cbranch_execz .LBB72_703
; %bb.702:                              ;   in Loop: Header=BB72_3 Depth=1
	ds_load_b128 v[32:35], v5 offset:21840
	ds_load_b64 v[36:37], v5 offset:22360
	s_wait_dscnt 0x1
	v_dual_mov_b32 v96, v35 :: v_dual_mov_b32 v97, v34
	s_wait_dscnt 0x0
	v_dual_mul_f32 v39, v37, v33 :: v_dual_mul_f32 v38, v36, v33
	s_delay_alu instid0(VALU_DEP_1) | instskip(NEXT) | instid1(VALU_DEP_1)
	v_xor_b32_e32 v40, 0x80000000, v39
	v_dual_fmac_f32 v38, v37, v32 :: v_dual_fmac_f32 v40, v36, v32
	s_delay_alu instid0(VALU_DEP_1) | instskip(NEXT) | instid1(VALU_DEP_1)
	v_pk_mul_f32 v[32:33], v[38:39], v[96:97] op_sel_hi:[0,1]
	v_pk_fma_f32 v[36:37], v[40:41], v[34:35], v[32:33] op_sel_hi:[0,1,1]
	v_pk_fma_f32 v[32:33], v[40:41], v[34:35], v[32:33] neg_lo:[0,0,1] neg_hi:[0,0,1]
	v_add_nc_u32_e64 v34, 0x5000, 0
	s_delay_alu instid0(VALU_DEP_3)
	v_mov_b32_e32 v33, v37
	ds_store_2addr_b64 v34, v[32:33], v[32:33] offset0:171 offset1:234
.LBB72_703:                             ;   in Loop: Header=BB72_3 Depth=1
	s_or_b32 exec_lo, exec_lo, s53
	v_mov_b32_e32 v32, 0
	s_wait_dscnt 0x0
	s_barrier_signal -1
	s_barrier_wait -1
	s_delay_alu instid0(VALU_DEP_1)
	v_mov_b32_e32 v33, v32
	s_and_saveexec_b32 s64, s2
	s_cbranch_execz .LBB72_709
; %bb.704:                              ;   in Loop: Header=BB72_3 Depth=1
	ds_load_b64 v[32:33], v49 offset:20832
	ds_load_b64 v[34:35], v45 offset:20800
	s_wait_dscnt 0x0
	v_pk_mul_f32 v[36:37], v[34:35], v[32:33] op_sel:[0,1]
	s_delay_alu instid0(VALU_DEP_1) | instskip(SKIP_1) | instid1(VALU_DEP_2)
	v_pk_fma_f32 v[38:39], v[34:35], v[32:33], v[36:37] op_sel:[1,0,0] op_sel_hi:[0,0,1] neg_lo:[0,0,1] neg_hi:[0,0,1]
	v_pk_fma_f32 v[32:33], v[34:35], v[32:33], v[36:37] op_sel:[1,0,0] op_sel_hi:[0,1,1]
	v_mov_b32_e32 v33, v39
	s_delay_alu instid0(VALU_DEP_1)
	v_pk_add_f32 v[32:33], v[32:33], 0 op_sel_hi:[1,0]
	s_and_saveexec_b32 s53, s16
	s_cbranch_execnz .LBB72_1158
; %bb.705:                              ;   in Loop: Header=BB72_3 Depth=1
	s_or_b32 exec_lo, exec_lo, s53
	s_and_saveexec_b32 s53, s17
	s_cbranch_execnz .LBB72_1159
.LBB72_706:                             ;   in Loop: Header=BB72_3 Depth=1
	s_or_b32 exec_lo, exec_lo, s53
	s_and_saveexec_b32 s53, s0
	s_cbranch_execz .LBB72_708
.LBB72_707:                             ;   in Loop: Header=BB72_3 Depth=1
	ds_load_b64 v[34:35], v73 offset:22368
	ds_load_b64 v[36:37], v5 offset:20824
	s_wait_dscnt 0x0
	v_pk_mul_f32 v[38:39], v[36:37], v[34:35] op_sel:[0,1]
	s_delay_alu instid0(VALU_DEP_1) | instskip(SKIP_1) | instid1(VALU_DEP_2)
	v_pk_fma_f32 v[96:97], v[36:37], v[34:35], v[38:39] op_sel:[1,0,0] op_sel_hi:[0,0,1] neg_lo:[0,0,1] neg_hi:[0,0,1]
	v_pk_fma_f32 v[34:35], v[36:37], v[34:35], v[38:39] op_sel:[1,0,0] op_sel_hi:[0,1,1]
	v_mov_b32_e32 v35, v97
	s_delay_alu instid0(VALU_DEP_1)
	v_pk_add_f32 v[32:33], v[32:33], v[34:35]
.LBB72_708:                             ;   in Loop: Header=BB72_3 Depth=1
	s_or_b32 exec_lo, exec_lo, s53
	s_delay_alu instid0(VALU_DEP_1) | instskip(NEXT) | instid1(VALU_DEP_1)
	v_pk_add_f32 v[34:35], v[32:33], 0 neg_lo:[1,1] neg_hi:[1,1]
	v_dual_mov_b32 v32, v35 :: v_dual_mov_b32 v33, v34
.LBB72_709:                             ;   in Loop: Header=BB72_3 Depth=1
	s_or_b32 exec_lo, exec_lo, s64
	s_and_saveexec_b32 s53, s99
	s_cbranch_execz .LBB72_711
; %bb.710:                              ;   in Loop: Header=BB72_3 Depth=1
	ds_load_b64 v[34:35], v5 offset:22880
	v_dual_mov_b32 v36, v33 :: v_dual_mov_b32 v37, v32
	s_wait_dscnt 0x0
	s_delay_alu instid0(VALU_DEP_1) | instskip(NEXT) | instid1(VALU_DEP_1)
	v_dual_mul_f32 v38, v36, v34 :: v_dual_mul_f32 v40, v33, v35
	v_pk_fma_f32 v[36:37], v[36:37], v[34:35], v[38:39] op_sel_hi:[1,1,0]
	s_delay_alu instid0(VALU_DEP_2) | instskip(NEXT) | instid1(VALU_DEP_2)
	v_pk_fma_f32 v[32:33], v[32:33], v[34:35], v[40:41] op_sel_hi:[1,1,0] neg_lo:[0,0,1] neg_hi:[0,0,1]
	v_mov_b32_e32 v33, v37
	ds_store_b64 v48, v[32:33]
.LBB72_711:                             ;   in Loop: Header=BB72_3 Depth=1
	s_or_b32 exec_lo, exec_lo, s53
	s_wait_dscnt 0x0
	s_barrier_signal -1
	s_barrier_wait -1
	s_and_saveexec_b32 s53, s100
	s_cbranch_execz .LBB72_713
; %bb.712:                              ;   in Loop: Header=BB72_3 Depth=1
	ds_load_b64 v[34:35], v46 offset:22880
	ds_load_b64 v[36:37], v48
	s_wait_dscnt 0x0
	v_dual_mul_f32 v38, v37, v35 :: v_dual_mul_f32 v39, v36, v35
	s_delay_alu instid0(VALU_DEP_1) | instskip(NEXT) | instid1(VALU_DEP_1)
	v_dual_fma_f32 v38, v36, v34, -v38 :: v_dual_fmac_f32 v39, v37, v34
	v_pk_add_f32 v[32:33], v[32:33], v[38:39]
.LBB72_713:                             ;   in Loop: Header=BB72_3 Depth=1
	s_or_b32 exec_lo, exec_lo, s53
	s_barrier_signal -1
	s_barrier_wait -1
	s_and_saveexec_b32 s53, s101
	s_cbranch_execz .LBB72_715
; %bb.714:                              ;   in Loop: Header=BB72_3 Depth=1
	ds_load_b64 v[34:35], v5 offset:23400
	s_wait_dscnt 0x0
	v_pk_mul_f32 v[36:37], v[32:33], v[34:35] op_sel:[1,1] op_sel_hi:[1,0]
	s_delay_alu instid0(VALU_DEP_1) | instskip(SKIP_1) | instid1(VALU_DEP_2)
	v_pk_fma_f32 v[38:39], v[32:33], v[34:35], v[36:37] op_sel_hi:[0,1,1]
	v_pk_fma_f32 v[34:35], v[32:33], v[34:35], v[36:37] neg_lo:[0,0,1] neg_hi:[0,0,1]
	v_mov_b32_e32 v35, v39
	s_delay_alu instid0(VALU_DEP_1)
	v_mov_b64_e32 v[32:33], v[34:35]
	ds_store_b64 v48, v[34:35]
.LBB72_715:                             ;   in Loop: Header=BB72_3 Depth=1
	s_or_b32 exec_lo, exec_lo, s53
	s_wait_dscnt 0x0
	s_barrier_signal -1
	s_barrier_wait -1
	s_and_saveexec_b32 s53, s102
	s_cbranch_execz .LBB72_717
; %bb.716:                              ;   in Loop: Header=BB72_3 Depth=1
	ds_load_b64 v[34:35], v46 offset:23392
	ds_load_b64 v[36:37], v48
	s_wait_dscnt 0x0
	v_pk_mul_f32 v[38:39], v[36:37], v[34:35] op_sel:[1,1] op_sel_hi:[0,1]
	s_delay_alu instid0(VALU_DEP_1) | instskip(SKIP_1) | instid1(VALU_DEP_2)
	v_pk_fma_f32 v[96:97], v[36:37], v[34:35], v[38:39] op_sel_hi:[1,0,1]
	v_pk_fma_f32 v[34:35], v[36:37], v[34:35], v[38:39] neg_lo:[0,0,1] neg_hi:[0,0,1]
	v_mov_b32_e32 v35, v97
	s_delay_alu instid0(VALU_DEP_1)
	v_pk_add_f32 v[32:33], v[32:33], v[34:35]
.LBB72_717:                             ;   in Loop: Header=BB72_3 Depth=1
	s_or_b32 exec_lo, exec_lo, s53
	s_barrier_signal -1
	s_barrier_wait -1
	s_and_saveexec_b32 s53, s103
	s_cbranch_execz .LBB72_719
; %bb.718:                              ;   in Loop: Header=BB72_3 Depth=1
	ds_load_b64 v[34:35], v5 offset:23920
	s_wait_dscnt 0x0
	v_pk_mul_f32 v[36:37], v[32:33], v[34:35] op_sel:[1,1] op_sel_hi:[1,0]
	s_delay_alu instid0(VALU_DEP_1) | instskip(SKIP_1) | instid1(VALU_DEP_2)
	v_pk_fma_f32 v[38:39], v[32:33], v[34:35], v[36:37] op_sel_hi:[0,1,1]
	v_pk_fma_f32 v[34:35], v[32:33], v[34:35], v[36:37] neg_lo:[0,0,1] neg_hi:[0,0,1]
	v_mov_b32_e32 v35, v39
	s_delay_alu instid0(VALU_DEP_1)
	v_mov_b64_e32 v[32:33], v[34:35]
	ds_store_b64 v48, v[34:35]
.LBB72_719:                             ;   in Loop: Header=BB72_3 Depth=1
	s_or_b32 exec_lo, exec_lo, s53
	s_wait_dscnt 0x0
	s_barrier_signal -1
	s_barrier_wait -1
	s_and_saveexec_b32 s53, s104
	s_cbranch_execz .LBB72_721
; %bb.720:                              ;   in Loop: Header=BB72_3 Depth=1
	ds_load_b64 v[34:35], v5 offset:23928
	ds_load_b64 v[36:37], v48
	s_wait_dscnt 0x0
	v_pk_mul_f32 v[38:39], v[36:37], v[34:35] op_sel:[1,1] op_sel_hi:[0,1]
	s_delay_alu instid0(VALU_DEP_1) | instskip(SKIP_1) | instid1(VALU_DEP_2)
	v_pk_fma_f32 v[96:97], v[36:37], v[34:35], v[38:39] op_sel_hi:[1,0,1]
	v_pk_fma_f32 v[34:35], v[36:37], v[34:35], v[38:39] neg_lo:[0,0,1] neg_hi:[0,0,1]
	v_mov_b32_e32 v35, v97
	s_delay_alu instid0(VALU_DEP_1)
	v_pk_add_f32 v[32:33], v[32:33], v[34:35]
.LBB72_721:                             ;   in Loop: Header=BB72_3 Depth=1
	s_or_b32 exec_lo, exec_lo, s53
	s_barrier_signal -1
	s_barrier_wait -1
	s_and_saveexec_b32 s53, s104
	s_cbranch_execz .LBB72_723
; %bb.722:                              ;   in Loop: Header=BB72_3 Depth=1
	ds_load_b64 v[34:35], v5 offset:24440
	s_wait_dscnt 0x0
	v_pk_mul_f32 v[36:37], v[32:33], v[34:35] op_sel:[1,1] op_sel_hi:[1,0]
	s_delay_alu instid0(VALU_DEP_1) | instskip(SKIP_1) | instid1(VALU_DEP_2)
	v_pk_fma_f32 v[38:39], v[32:33], v[34:35], v[36:37] op_sel_hi:[0,1,1]
	v_pk_fma_f32 v[34:35], v[32:33], v[34:35], v[36:37] neg_lo:[0,0,1] neg_hi:[0,0,1]
	v_mov_b32_e32 v35, v39
	s_delay_alu instid0(VALU_DEP_1)
	v_mov_b64_e32 v[32:33], v[34:35]
	ds_store_b64 v48, v[34:35]
.LBB72_723:                             ;   in Loop: Header=BB72_3 Depth=1
	s_or_b32 exec_lo, exec_lo, s53
	s_wait_dscnt 0x0
	s_barrier_signal -1
	s_barrier_wait -1
	s_barrier_signal -1
	s_barrier_wait -1
	s_and_saveexec_b32 s53, s2
; %bb.724:                              ;   in Loop: Header=BB72_3 Depth=1
	v_pk_add_f32 v[32:33], v[32:33], 0 neg_lo:[1,1] neg_hi:[1,1]
	ds_store_b64 v49, v[32:33] offset:20832
; %bb.725:                              ;   in Loop: Header=BB72_3 Depth=1
	s_or_b32 exec_lo, exec_lo, s53
	s_wait_dscnt 0x0
	s_barrier_signal -1
	s_barrier_wait -1
	s_barrier_signal -1
	s_barrier_wait -1
	s_and_saveexec_b32 s53, vcc_hi
	s_cbranch_execz .LBB72_727
; %bb.726:                              ;   in Loop: Header=BB72_3 Depth=1
	ds_load_b64 v[32:33], v74 offset:20832
	s_wait_dscnt 0x0
	ds_store_b64 v79, v[32:33] offset:22848
	ds_load_b64 v[32:33], v74 offset:20840
	s_wait_dscnt 0x0
	ds_store_b64 v79, v[32:33] offset:23360
	;; [unrolled: 3-line block ×4, first 2 shown]
.LBB72_727:                             ;   in Loop: Header=BB72_3 Depth=1
	s_or_b32 exec_lo, exec_lo, s53
	s_wait_dscnt 0x0
	s_barrier_signal -1
	s_barrier_wait -1
	s_and_saveexec_b32 s53, s14
	s_cbranch_execz .LBB72_729
; %bb.728:                              ;   in Loop: Header=BB72_3 Depth=1
	ds_load_b128 v[32:35], v5 offset:22880
	ds_load_b64 v[36:37], v5 offset:23400
	s_wait_dscnt 0x1
	v_dual_mov_b32 v96, v35 :: v_dual_mov_b32 v97, v34
	s_wait_dscnt 0x0
	v_dual_mul_f32 v39, v37, v33 :: v_dual_mul_f32 v38, v36, v33
	s_delay_alu instid0(VALU_DEP_1) | instskip(NEXT) | instid1(VALU_DEP_1)
	v_xor_b32_e32 v40, 0x80000000, v39
	v_dual_fmac_f32 v38, v37, v32 :: v_dual_fmac_f32 v40, v36, v32
	s_delay_alu instid0(VALU_DEP_1) | instskip(NEXT) | instid1(VALU_DEP_1)
	v_pk_mul_f32 v[32:33], v[38:39], v[96:97] op_sel_hi:[0,1]
	v_pk_fma_f32 v[36:37], v[40:41], v[34:35], v[32:33] op_sel_hi:[0,1,1]
	v_pk_fma_f32 v[32:33], v[40:41], v[34:35], v[32:33] neg_lo:[0,0,1] neg_hi:[0,0,1]
	v_add_nc_u32_e64 v34, 0x5800, 0
	s_delay_alu instid0(VALU_DEP_3)
	v_mov_b32_e32 v33, v37
	ds_store_2addr_b64 v34, v[32:33], v[32:33] offset0:45 offset1:108
.LBB72_729:                             ;   in Loop: Header=BB72_3 Depth=1
	s_or_b32 exec_lo, exec_lo, s53
	v_mov_b32_e32 v33, 0
	s_wait_dscnt 0x0
	s_barrier_signal -1
	s_barrier_wait -1
	s_delay_alu instid0(VALU_DEP_1)
	v_mov_b32_e32 v32, v33
	s_and_saveexec_b32 s53, s0
	s_cbranch_execz .LBB72_733
; %bb.730:                              ;   in Loop: Header=BB72_3 Depth=1
	ds_load_b64 v[32:33], v42 offset:22896
	ds_load_b64 v[34:35], v43 offset:22880
	s_wait_dscnt 0x0
	v_dual_mul_f32 v36, v35, v33 :: v_dual_mul_f32 v37, v34, v33
	s_delay_alu instid0(VALU_DEP_1) | instskip(NEXT) | instid1(VALU_DEP_1)
	v_dual_fma_f32 v36, v34, v32, -v36 :: v_dual_fmac_f32 v37, v35, v32
	v_pk_add_f32 v[32:33], v[36:37], 0 op_sel_hi:[1,0]
	s_and_saveexec_b32 s54, s15
	s_cbranch_execz .LBB72_732
; %bb.731:                              ;   in Loop: Header=BB72_3 Depth=1
	ds_load_b64 v[34:35], v79 offset:23408
	ds_load_b64 v[36:37], v5 offset:22888
	s_wait_dscnt 0x0
	v_pk_mul_f32 v[38:39], v[36:37], v[34:35] op_sel:[1,1] op_sel_hi:[0,1]
	s_delay_alu instid0(VALU_DEP_1) | instskip(SKIP_1) | instid1(VALU_DEP_2)
	v_pk_fma_f32 v[96:97], v[36:37], v[34:35], v[38:39] op_sel_hi:[1,0,1]
	v_pk_fma_f32 v[34:35], v[36:37], v[34:35], v[38:39] neg_lo:[0,0,1] neg_hi:[0,0,1]
	v_mov_b32_e32 v35, v97
	s_delay_alu instid0(VALU_DEP_1)
	v_pk_add_f32 v[32:33], v[32:33], v[34:35]
.LBB72_732:                             ;   in Loop: Header=BB72_3 Depth=1
	s_or_b32 exec_lo, exec_lo, s54
	s_delay_alu instid0(VALU_DEP_1)
	v_pk_add_f32 v[32:33], v[32:33], 0 neg_lo:[1,1] neg_hi:[1,1]
.LBB72_733:                             ;   in Loop: Header=BB72_3 Depth=1
	s_or_b32 exec_lo, exec_lo, s53
	s_and_saveexec_b32 s53, s96
	s_cbranch_execz .LBB72_735
; %bb.734:                              ;   in Loop: Header=BB72_3 Depth=1
	ds_load_b64 v[34:35], v5 offset:23920
	s_wait_dscnt 0x0
	v_pk_mul_f32 v[36:37], v[32:33], v[34:35] op_sel:[1,1] op_sel_hi:[1,0]
	s_delay_alu instid0(VALU_DEP_1) | instskip(SKIP_1) | instid1(VALU_DEP_2)
	v_pk_fma_f32 v[38:39], v[32:33], v[34:35], v[36:37] op_sel_hi:[0,1,1]
	v_pk_fma_f32 v[34:35], v[32:33], v[34:35], v[36:37] neg_lo:[0,0,1] neg_hi:[0,0,1]
	v_mov_b32_e32 v35, v39
	s_delay_alu instid0(VALU_DEP_1)
	v_mov_b64_e32 v[32:33], v[34:35]
	ds_store_b64 v3, v[34:35]
.LBB72_735:                             ;   in Loop: Header=BB72_3 Depth=1
	s_or_b32 exec_lo, exec_lo, s53
	s_wait_dscnt 0x0
	s_barrier_signal -1
	s_barrier_wait -1
	s_and_saveexec_b32 s53, s97
	s_cbranch_execz .LBB72_737
; %bb.736:                              ;   in Loop: Header=BB72_3 Depth=1
	ds_load_b64 v[34:35], v5 offset:23928
	ds_load_b64 v[36:37], v3
	s_wait_dscnt 0x0
	v_pk_mul_f32 v[38:39], v[36:37], v[34:35] op_sel:[1,1] op_sel_hi:[0,1]
	s_delay_alu instid0(VALU_DEP_1) | instskip(SKIP_1) | instid1(VALU_DEP_2)
	v_pk_fma_f32 v[96:97], v[36:37], v[34:35], v[38:39] op_sel_hi:[1,0,1]
	v_pk_fma_f32 v[34:35], v[36:37], v[34:35], v[38:39] neg_lo:[0,0,1] neg_hi:[0,0,1]
	v_mov_b32_e32 v35, v97
	s_delay_alu instid0(VALU_DEP_1)
	v_pk_add_f32 v[32:33], v[32:33], v[34:35]
.LBB72_737:                             ;   in Loop: Header=BB72_3 Depth=1
	s_or_b32 exec_lo, exec_lo, s53
	s_barrier_signal -1
	s_barrier_wait -1
	s_and_saveexec_b32 s53, s97
	s_cbranch_execz .LBB72_739
; %bb.738:                              ;   in Loop: Header=BB72_3 Depth=1
	ds_load_b64 v[34:35], v5 offset:24440
	s_wait_dscnt 0x0
	v_pk_mul_f32 v[36:37], v[32:33], v[34:35] op_sel:[1,1] op_sel_hi:[1,0]
	s_delay_alu instid0(VALU_DEP_1) | instskip(SKIP_1) | instid1(VALU_DEP_2)
	v_pk_fma_f32 v[38:39], v[32:33], v[34:35], v[36:37] op_sel_hi:[0,1,1]
	v_pk_fma_f32 v[34:35], v[32:33], v[34:35], v[36:37] neg_lo:[0,0,1] neg_hi:[0,0,1]
	v_mov_b32_e32 v35, v39
	s_delay_alu instid0(VALU_DEP_1)
	v_mov_b64_e32 v[32:33], v[34:35]
	ds_store_b64 v3, v[34:35]
.LBB72_739:                             ;   in Loop: Header=BB72_3 Depth=1
	s_or_b32 exec_lo, exec_lo, s53
	s_wait_dscnt 0x0
	s_barrier_signal -1
	s_barrier_wait -1
	s_barrier_signal -1
	s_barrier_wait -1
	s_and_saveexec_b32 s53, s0
; %bb.740:                              ;   in Loop: Header=BB72_3 Depth=1
	v_pk_add_f32 v[32:33], v[32:33], 0 neg_lo:[1,1] neg_hi:[1,1]
	ds_store_b64 v42, v[32:33] offset:22896
; %bb.741:                              ;   in Loop: Header=BB72_3 Depth=1
	s_or_b32 exec_lo, exec_lo, s53
	s_wait_dscnt 0x0
	s_barrier_signal -1
	s_barrier_wait -1
	s_barrier_signal -1
	s_barrier_wait -1
	s_and_saveexec_b32 s53, s98
	s_cbranch_execz .LBB72_743
; %bb.742:                              ;   in Loop: Header=BB72_3 Depth=1
	ds_load_b64 v[32:33], v80 offset:22896
	s_wait_dscnt 0x0
	ds_store_b64 v79, v[32:33] offset:23904
	ds_load_b64 v[32:33], v80 offset:22904
	s_wait_dscnt 0x0
	ds_store_b64 v79, v[32:33] offset:24416
.LBB72_743:                             ;   in Loop: Header=BB72_3 Depth=1
	s_or_b32 exec_lo, exec_lo, s53
	s_wait_dscnt 0x0
	s_barrier_signal -1
	s_barrier_wait -1
	s_and_saveexec_b32 s53, s14
	s_cbranch_execz .LBB72_745
; %bb.744:                              ;   in Loop: Header=BB72_3 Depth=1
	ds_load_b128 v[32:35], v5 offset:23920
	ds_load_b64 v[36:37], v5 offset:24440
	s_wait_dscnt 0x1
	v_dual_mov_b32 v96, v35 :: v_dual_mov_b32 v97, v34
	s_wait_dscnt 0x0
	v_dual_mul_f32 v39, v37, v33 :: v_dual_mul_f32 v38, v36, v33
	s_delay_alu instid0(VALU_DEP_1) | instskip(NEXT) | instid1(VALU_DEP_1)
	v_xor_b32_e32 v40, 0x80000000, v39
	v_dual_fmac_f32 v38, v37, v32 :: v_dual_fmac_f32 v40, v36, v32
	s_delay_alu instid0(VALU_DEP_1) | instskip(NEXT) | instid1(VALU_DEP_1)
	v_pk_mul_f32 v[32:33], v[38:39], v[96:97] op_sel_hi:[0,1]
	v_pk_fma_f32 v[36:37], v[40:41], v[34:35], v[32:33] op_sel_hi:[0,1,1]
	v_pk_fma_f32 v[32:33], v[40:41], v[34:35], v[32:33] neg_lo:[0,0,1] neg_hi:[0,0,1]
	v_add_nc_u32_e64 v34, 0x5800, 0
	s_delay_alu instid0(VALU_DEP_3)
	v_mov_b32_e32 v33, v37
	ds_store_2addr_b64 v34, v[32:33], v[32:33] offset0:175 offset1:238
.LBB72_745:                             ;   in Loop: Header=BB72_3 Depth=1
	s_or_b32 exec_lo, exec_lo, s53
	v_mov_b32_e32 v32, 0
	s_wait_dscnt 0x0
	s_barrier_signal -1
	s_barrier_wait -1
	s_delay_alu instid0(VALU_DEP_1)
	v_mov_b32_e32 v33, v32
	s_and_saveexec_b32 s86, s4
	s_cbranch_execz .LBB72_773
; %bb.746:                              ;   in Loop: Header=BB72_3 Depth=1
	ds_load_b64 v[32:33], v68 offset:16768
	ds_load_b64 v[34:35], v64 offset:16640
	s_wait_dscnt 0x0
	v_dual_mul_f32 v36, v35, v33 :: v_dual_mul_f32 v37, v34, v33
	s_delay_alu instid0(VALU_DEP_1) | instskip(NEXT) | instid1(VALU_DEP_1)
	v_dual_fma_f32 v33, v34, v32, -v36 :: v_dual_fmac_f32 v37, v35, v32
	v_add_f32_e32 v33, 0, v33
	s_delay_alu instid0(VALU_DEP_2) | instskip(SKIP_3) | instid1(SALU_CYCLE_1)
	v_add_f32_e32 v32, 0, v37
	s_mov_b32 s53, exec_lo
	v_readlane_b32 s54, v105, 0
	s_and_b32 s54, s53, s54
	s_mov_b32 exec_lo, s54
	s_cbranch_execz .LBB72_748
; %bb.747:                              ;   in Loop: Header=BB72_3 Depth=1
	ds_load_b64 v[34:35], v69 offset:17280
	ds_load_b64 v[36:37], v64 offset:16648
	s_wait_dscnt 0x0
	v_dual_mul_f32 v38, v37, v35 :: v_dual_mul_f32 v35, v36, v35
	s_delay_alu instid0(VALU_DEP_1) | instskip(NEXT) | instid1(VALU_DEP_1)
	v_dual_fma_f32 v36, v36, v34, -v38 :: v_dual_fmac_f32 v35, v37, v34
	v_dual_add_f32 v33, v33, v36 :: v_dual_add_f32 v32, v32, v35
.LBB72_748:                             ;   in Loop: Header=BB72_3 Depth=1
	s_or_b32 exec_lo, exec_lo, s53
	s_delay_alu instid0(SALU_CYCLE_1) | instskip(SKIP_2) | instid1(SALU_CYCLE_1)
	s_mov_b32 s53, exec_lo
	v_readlane_b32 s54, v105, 1
	s_and_b32 s54, s53, s54
	s_mov_b32 exec_lo, s54
	s_cbranch_execz .LBB72_750
; %bb.749:                              ;   in Loop: Header=BB72_3 Depth=1
	ds_load_b64 v[34:35], v69 offset:17792
	ds_load_b64 v[36:37], v64 offset:16656
	s_wait_dscnt 0x0
	v_dual_mul_f32 v38, v37, v35 :: v_dual_mul_f32 v35, v36, v35
	s_delay_alu instid0(VALU_DEP_1) | instskip(NEXT) | instid1(VALU_DEP_1)
	v_dual_fma_f32 v36, v36, v34, -v38 :: v_dual_fmac_f32 v35, v37, v34
	v_dual_add_f32 v33, v33, v36 :: v_dual_add_f32 v32, v32, v35
.LBB72_750:                             ;   in Loop: Header=BB72_3 Depth=1
	s_or_b32 exec_lo, exec_lo, s53
	s_delay_alu instid0(SALU_CYCLE_1) | instskip(SKIP_2) | instid1(SALU_CYCLE_1)
	;; [unrolled: 16-line block ×10, first 2 shown]
	s_mov_b32 s53, exec_lo
	v_readlane_b32 s54, v105, 10
	s_and_b32 s54, s53, s54
	s_mov_b32 exec_lo, s54
	s_cbranch_execnz .LBB72_1160
; %bb.767:                              ;   in Loop: Header=BB72_3 Depth=1
	s_or_b32 exec_lo, exec_lo, s53
	s_and_saveexec_b32 s53, s3
	s_cbranch_execnz .LBB72_1161
.LBB72_768:                             ;   in Loop: Header=BB72_3 Depth=1
	s_or_b32 exec_lo, exec_lo, s53
	s_and_saveexec_b32 s53, s19
	s_cbranch_execnz .LBB72_1162
.LBB72_769:                             ;   in Loop: Header=BB72_3 Depth=1
	s_or_b32 exec_lo, exec_lo, s53
	s_and_saveexec_b32 s53, s21
	s_cbranch_execnz .LBB72_1163
.LBB72_770:                             ;   in Loop: Header=BB72_3 Depth=1
	s_or_b32 exec_lo, exec_lo, s53
	s_and_saveexec_b32 s53, s2
	s_cbranch_execz .LBB72_772
.LBB72_771:                             ;   in Loop: Header=BB72_3 Depth=1
	ds_load_b64 v[34:35], v44 offset:24448
	ds_load_b64 v[36:37], v5 offset:16760
	s_wait_dscnt 0x0
	v_pk_mul_f32 v[38:39], v[36:37], v[34:35] op_sel:[0,1]
	s_delay_alu instid0(VALU_DEP_1) | instskip(SKIP_1) | instid1(VALU_DEP_2)
	v_pk_fma_f32 v[96:97], v[36:37], v[34:35], v[38:39] op_sel:[1,0,0] op_sel_hi:[0,0,1] neg_lo:[0,0,1] neg_hi:[0,0,1]
	v_pk_fma_f32 v[34:35], v[36:37], v[34:35], v[38:39] op_sel:[1,0,0] op_sel_hi:[0,1,1]
	v_mov_b32_e32 v35, v97
	s_delay_alu instid0(VALU_DEP_1)
	v_pk_add_f32 v[32:33], v[32:33], v[34:35]
.LBB72_772:                             ;   in Loop: Header=BB72_3 Depth=1
	s_or_b32 exec_lo, exec_lo, s53
	s_delay_alu instid0(VALU_DEP_1) | instskip(NEXT) | instid1(VALU_DEP_1)
	v_pk_add_f32 v[34:35], v[32:33], 0 neg_lo:[1,1] neg_hi:[1,1]
	v_dual_mov_b32 v32, v35 :: v_dual_mov_b32 v33, v34
.LBB72_773:                             ;   in Loop: Header=BB72_3 Depth=1
	s_or_b32 exec_lo, exec_lo, s86
	s_delay_alu instid0(SALU_CYCLE_1) | instskip(SKIP_2) | instid1(SALU_CYCLE_1)
	s_mov_b32 s53, exec_lo
	v_readlane_b32 s54, v106, 5
	s_and_b32 s54, s53, s54
	s_mov_b32 exec_lo, s54
	s_cbranch_execz .LBB72_775
; %bb.774:                              ;   in Loop: Header=BB72_3 Depth=1
	ds_load_b64 v[34:35], v5 offset:24960
	v_dual_mov_b32 v36, v33 :: v_dual_mov_b32 v37, v32
	s_wait_dscnt 0x0
	s_delay_alu instid0(VALU_DEP_1) | instskip(NEXT) | instid1(VALU_DEP_1)
	v_dual_mul_f32 v38, v36, v34 :: v_dual_mul_f32 v40, v33, v35
	v_pk_fma_f32 v[36:37], v[36:37], v[34:35], v[38:39] op_sel_hi:[1,1,0]
	s_delay_alu instid0(VALU_DEP_2) | instskip(NEXT) | instid1(VALU_DEP_2)
	v_pk_fma_f32 v[32:33], v[32:33], v[34:35], v[40:41] op_sel_hi:[1,1,0] neg_lo:[0,0,1] neg_hi:[0,0,1]
	v_mov_b32_e32 v33, v37
	ds_store_b64 v67, v[32:33]
.LBB72_775:                             ;   in Loop: Header=BB72_3 Depth=1
	s_or_b32 exec_lo, exec_lo, s53
	s_wait_dscnt 0x0
	s_barrier_signal -1
	s_barrier_wait -1
	s_mov_b32 s53, exec_lo
	v_readlane_b32 s54, v106, 6
	s_and_b32 s54, s53, s54
	s_delay_alu instid0(SALU_CYCLE_1)
	s_mov_b32 exec_lo, s54
	s_cbranch_execz .LBB72_777
; %bb.776:                              ;   in Loop: Header=BB72_3 Depth=1
	ds_load_b64 v[34:35], v66 offset:24960
	ds_load_b64 v[36:37], v67
	s_wait_dscnt 0x0
	v_dual_mul_f32 v38, v37, v35 :: v_dual_mul_f32 v39, v36, v35
	s_delay_alu instid0(VALU_DEP_1) | instskip(NEXT) | instid1(VALU_DEP_1)
	v_dual_fma_f32 v38, v36, v34, -v38 :: v_dual_fmac_f32 v39, v37, v34
	v_pk_add_f32 v[32:33], v[32:33], v[38:39]
.LBB72_777:                             ;   in Loop: Header=BB72_3 Depth=1
	s_or_b32 exec_lo, exec_lo, s53
	s_barrier_signal -1
	s_barrier_wait -1
	s_mov_b32 s53, exec_lo
	v_readlane_b32 s54, v106, 7
	s_and_b32 s54, s53, s54
	s_delay_alu instid0(SALU_CYCLE_1)
	s_mov_b32 exec_lo, s54
	s_cbranch_execz .LBB72_779
; %bb.778:                              ;   in Loop: Header=BB72_3 Depth=1
	ds_load_b64 v[34:35], v5 offset:25480
	s_wait_dscnt 0x0
	v_pk_mul_f32 v[36:37], v[32:33], v[34:35] op_sel:[1,1] op_sel_hi:[1,0]
	s_delay_alu instid0(VALU_DEP_1) | instskip(SKIP_1) | instid1(VALU_DEP_2)
	v_pk_fma_f32 v[38:39], v[32:33], v[34:35], v[36:37] op_sel_hi:[0,1,1]
	v_pk_fma_f32 v[32:33], v[32:33], v[34:35], v[36:37] op_sel_hi:[0,1,1] neg_lo:[0,0,1] neg_hi:[0,0,1]
	v_mov_b32_e32 v33, v39
	ds_store_b64 v67, v[32:33]
.LBB72_779:                             ;   in Loop: Header=BB72_3 Depth=1
	s_or_b32 exec_lo, exec_lo, s53
	s_wait_dscnt 0x0
	s_barrier_signal -1
	s_barrier_wait -1
	s_mov_b32 s53, exec_lo
	v_readlane_b32 s54, v106, 8
	s_and_b32 s54, s53, s54
	s_delay_alu instid0(SALU_CYCLE_1)
	s_mov_b32 exec_lo, s54
	s_cbranch_execz .LBB72_781
; %bb.780:                              ;   in Loop: Header=BB72_3 Depth=1
	ds_load_b64 v[34:35], v66 offset:25472
	ds_load_b64 v[36:37], v67
	s_wait_dscnt 0x0
	v_pk_mul_f32 v[38:39], v[36:37], v[34:35] op_sel:[1,1] op_sel_hi:[0,1]
	s_delay_alu instid0(VALU_DEP_1) | instskip(SKIP_1) | instid1(VALU_DEP_2)
	v_pk_fma_f32 v[96:97], v[36:37], v[34:35], v[38:39] op_sel_hi:[1,0,1]
	v_pk_fma_f32 v[34:35], v[36:37], v[34:35], v[38:39] op_sel_hi:[1,0,1] neg_lo:[0,0,1] neg_hi:[0,0,1]
	v_mov_b32_e32 v35, v97
	s_delay_alu instid0(VALU_DEP_1)
	v_pk_add_f32 v[32:33], v[32:33], v[34:35]
.LBB72_781:                             ;   in Loop: Header=BB72_3 Depth=1
	s_or_b32 exec_lo, exec_lo, s53
	s_barrier_signal -1
	s_barrier_wait -1
	s_mov_b32 s53, exec_lo
	v_readlane_b32 s54, v106, 9
	s_and_b32 s54, s53, s54
	s_delay_alu instid0(SALU_CYCLE_1)
	s_mov_b32 exec_lo, s54
	s_cbranch_execz .LBB72_783
; %bb.782:                              ;   in Loop: Header=BB72_3 Depth=1
	ds_load_b64 v[34:35], v5 offset:26000
	s_wait_dscnt 0x0
	v_pk_mul_f32 v[36:37], v[32:33], v[34:35] op_sel:[1,1] op_sel_hi:[1,0]
	s_delay_alu instid0(VALU_DEP_1) | instskip(SKIP_1) | instid1(VALU_DEP_2)
	v_pk_fma_f32 v[38:39], v[32:33], v[34:35], v[36:37] op_sel_hi:[0,1,1]
	v_pk_fma_f32 v[32:33], v[32:33], v[34:35], v[36:37] op_sel_hi:[0,1,1] neg_lo:[0,0,1] neg_hi:[0,0,1]
	v_mov_b32_e32 v33, v39
	ds_store_b64 v67, v[32:33]
.LBB72_783:                             ;   in Loop: Header=BB72_3 Depth=1
	s_or_b32 exec_lo, exec_lo, s53
	s_wait_dscnt 0x0
	s_barrier_signal -1
	s_barrier_wait -1
	s_and_saveexec_b32 s53, s58
	s_cbranch_execz .LBB72_785
; %bb.784:                              ;   in Loop: Header=BB72_3 Depth=1
	ds_load_b64 v[34:35], v66 offset:25984
	ds_load_b64 v[36:37], v67
	s_wait_dscnt 0x0
	v_pk_mul_f32 v[38:39], v[36:37], v[34:35] op_sel:[1,1] op_sel_hi:[0,1]
	s_delay_alu instid0(VALU_DEP_1) | instskip(SKIP_1) | instid1(VALU_DEP_2)
	v_pk_fma_f32 v[96:97], v[36:37], v[34:35], v[38:39] op_sel_hi:[1,0,1]
	v_pk_fma_f32 v[34:35], v[36:37], v[34:35], v[38:39] op_sel_hi:[1,0,1] neg_lo:[0,0,1] neg_hi:[0,0,1]
	v_mov_b32_e32 v35, v97
	s_delay_alu instid0(VALU_DEP_1)
	v_pk_add_f32 v[32:33], v[32:33], v[34:35]
.LBB72_785:                             ;   in Loop: Header=BB72_3 Depth=1
	s_or_b32 exec_lo, exec_lo, s53
	s_barrier_signal -1
	s_barrier_wait -1
	s_and_saveexec_b32 s53, s59
	s_cbranch_execz .LBB72_787
; %bb.786:                              ;   in Loop: Header=BB72_3 Depth=1
	ds_load_b64 v[34:35], v5 offset:26520
	s_wait_dscnt 0x0
	v_pk_mul_f32 v[36:37], v[32:33], v[34:35] op_sel:[1,1] op_sel_hi:[1,0]
	s_delay_alu instid0(VALU_DEP_1) | instskip(SKIP_1) | instid1(VALU_DEP_2)
	v_pk_fma_f32 v[38:39], v[32:33], v[34:35], v[36:37] op_sel_hi:[0,1,1]
	v_pk_fma_f32 v[32:33], v[32:33], v[34:35], v[36:37] op_sel_hi:[0,1,1] neg_lo:[0,0,1] neg_hi:[0,0,1]
	v_mov_b32_e32 v33, v39
	ds_store_b64 v67, v[32:33]
.LBB72_787:                             ;   in Loop: Header=BB72_3 Depth=1
	s_or_b32 exec_lo, exec_lo, s53
	s_wait_dscnt 0x0
	s_barrier_signal -1
	s_barrier_wait -1
	s_and_saveexec_b32 s53, s60
	s_cbranch_execz .LBB72_789
; %bb.788:                              ;   in Loop: Header=BB72_3 Depth=1
	ds_load_b64 v[34:35], v66 offset:26496
	ds_load_b64 v[36:37], v67
	s_wait_dscnt 0x0
	v_pk_mul_f32 v[38:39], v[36:37], v[34:35] op_sel:[1,1] op_sel_hi:[0,1]
	s_delay_alu instid0(VALU_DEP_1) | instskip(SKIP_1) | instid1(VALU_DEP_2)
	v_pk_fma_f32 v[96:97], v[36:37], v[34:35], v[38:39] op_sel_hi:[1,0,1]
	v_pk_fma_f32 v[34:35], v[36:37], v[34:35], v[38:39] op_sel_hi:[1,0,1] neg_lo:[0,0,1] neg_hi:[0,0,1]
	v_mov_b32_e32 v35, v97
	s_delay_alu instid0(VALU_DEP_1)
	v_pk_add_f32 v[32:33], v[32:33], v[34:35]
.LBB72_789:                             ;   in Loop: Header=BB72_3 Depth=1
	s_or_b32 exec_lo, exec_lo, s53
	s_barrier_signal -1
	s_barrier_wait -1
	s_and_saveexec_b32 s53, s61
	s_cbranch_execz .LBB72_791
; %bb.790:                              ;   in Loop: Header=BB72_3 Depth=1
	ds_load_b64 v[34:35], v5 offset:27040
	s_wait_dscnt 0x0
	v_dual_mul_f32 v36, v32, v35 :: v_dual_mul_f32 v38, v33, v35
	s_delay_alu instid0(VALU_DEP_1) | instskip(NEXT) | instid1(VALU_DEP_2)
	v_pk_fma_f32 v[36:37], v[32:33], v[34:35], v[36:37] op_sel:[0,1,0] op_sel_hi:[1,0,0]
	v_pk_fma_f32 v[34:35], v[32:33], v[34:35], v[38:39] op_sel_hi:[1,1,0] neg_lo:[0,0,1] neg_hi:[0,0,1]
	s_delay_alu instid0(VALU_DEP_2) | instskip(NEXT) | instid1(VALU_DEP_1)
	v_mov_b32_e32 v35, v37
	v_mov_b64_e32 v[32:33], v[34:35]
	ds_store_b64 v67, v[34:35]
.LBB72_791:                             ;   in Loop: Header=BB72_3 Depth=1
	s_or_b32 exec_lo, exec_lo, s53
	s_wait_dscnt 0x0
	s_barrier_signal -1
	s_barrier_wait -1
	s_and_saveexec_b32 s53, s62
	s_cbranch_execz .LBB72_793
; %bb.792:                              ;   in Loop: Header=BB72_3 Depth=1
	ds_load_b64 v[34:35], v66 offset:27008
	ds_load_b64 v[36:37], v67
	s_wait_dscnt 0x0
	v_dual_mul_f32 v38, v37, v35 :: v_dual_mul_f32 v39, v36, v35
	s_delay_alu instid0(VALU_DEP_1) | instskip(NEXT) | instid1(VALU_DEP_1)
	v_dual_fma_f32 v38, v36, v34, -v38 :: v_dual_fmac_f32 v39, v37, v34
	v_pk_add_f32 v[32:33], v[32:33], v[38:39]
.LBB72_793:                             ;   in Loop: Header=BB72_3 Depth=1
	s_or_b32 exec_lo, exec_lo, s53
	s_barrier_signal -1
	s_barrier_wait -1
	s_and_saveexec_b32 s53, s63
	s_cbranch_execz .LBB72_795
; %bb.794:                              ;   in Loop: Header=BB72_3 Depth=1
	ds_load_b64 v[34:35], v5 offset:27560
	s_wait_dscnt 0x0
	v_pk_mul_f32 v[36:37], v[32:33], v[34:35] op_sel:[1,1] op_sel_hi:[1,0]
	s_delay_alu instid0(VALU_DEP_1) | instskip(SKIP_1) | instid1(VALU_DEP_2)
	v_pk_fma_f32 v[38:39], v[32:33], v[34:35], v[36:37] op_sel_hi:[0,1,1]
	v_pk_fma_f32 v[32:33], v[32:33], v[34:35], v[36:37] op_sel_hi:[0,1,1] neg_lo:[0,0,1] neg_hi:[0,0,1]
	v_mov_b32_e32 v33, v39
	ds_store_b64 v67, v[32:33]
.LBB72_795:                             ;   in Loop: Header=BB72_3 Depth=1
	s_or_b32 exec_lo, exec_lo, s53
	s_wait_dscnt 0x0
	s_barrier_signal -1
	s_barrier_wait -1
	s_and_saveexec_b32 s53, s12
	s_cbranch_execz .LBB72_797
; %bb.796:                              ;   in Loop: Header=BB72_3 Depth=1
	ds_load_b64 v[34:35], v66 offset:27520
	ds_load_b64 v[36:37], v67
	s_wait_dscnt 0x0
	v_pk_mul_f32 v[38:39], v[36:37], v[34:35] op_sel:[1,1] op_sel_hi:[0,1]
	s_delay_alu instid0(VALU_DEP_1) | instskip(SKIP_1) | instid1(VALU_DEP_2)
	v_pk_fma_f32 v[96:97], v[36:37], v[34:35], v[38:39] op_sel_hi:[1,0,1]
	v_pk_fma_f32 v[34:35], v[36:37], v[34:35], v[38:39] op_sel_hi:[1,0,1] neg_lo:[0,0,1] neg_hi:[0,0,1]
	v_mov_b32_e32 v35, v97
	s_delay_alu instid0(VALU_DEP_1)
	v_pk_add_f32 v[32:33], v[32:33], v[34:35]
.LBB72_797:                             ;   in Loop: Header=BB72_3 Depth=1
	s_or_b32 exec_lo, exec_lo, s53
	s_barrier_signal -1
	s_barrier_wait -1
	s_and_saveexec_b32 s53, s13
	s_cbranch_execz .LBB72_799
; %bb.798:                              ;   in Loop: Header=BB72_3 Depth=1
	ds_load_b64 v[34:35], v5 offset:28080
	s_wait_dscnt 0x0
	v_pk_mul_f32 v[36:37], v[32:33], v[34:35] op_sel:[1,1] op_sel_hi:[1,0]
	s_delay_alu instid0(VALU_DEP_1) | instskip(SKIP_1) | instid1(VALU_DEP_2)
	v_pk_fma_f32 v[38:39], v[32:33], v[34:35], v[36:37] op_sel_hi:[0,1,1]
	v_pk_fma_f32 v[32:33], v[32:33], v[34:35], v[36:37] op_sel_hi:[0,1,1] neg_lo:[0,0,1] neg_hi:[0,0,1]
	v_mov_b32_e32 v33, v39
	ds_store_b64 v67, v[32:33]
.LBB72_799:                             ;   in Loop: Header=BB72_3 Depth=1
	s_or_b32 exec_lo, exec_lo, s53
	s_wait_dscnt 0x0
	s_barrier_signal -1
	s_barrier_wait -1
	s_and_saveexec_b32 s53, s23
	s_cbranch_execz .LBB72_801
; %bb.800:                              ;   in Loop: Header=BB72_3 Depth=1
	ds_load_b64 v[34:35], v66 offset:28032
	ds_load_b64 v[36:37], v67
	s_wait_dscnt 0x0
	v_pk_mul_f32 v[38:39], v[36:37], v[34:35] op_sel:[1,1] op_sel_hi:[0,1]
	s_delay_alu instid0(VALU_DEP_1) | instskip(SKIP_1) | instid1(VALU_DEP_2)
	v_pk_fma_f32 v[96:97], v[36:37], v[34:35], v[38:39] op_sel_hi:[1,0,1]
	v_pk_fma_f32 v[34:35], v[36:37], v[34:35], v[38:39] op_sel_hi:[1,0,1] neg_lo:[0,0,1] neg_hi:[0,0,1]
	v_mov_b32_e32 v35, v97
	s_delay_alu instid0(VALU_DEP_1)
	v_pk_add_f32 v[32:33], v[32:33], v[34:35]
.LBB72_801:                             ;   in Loop: Header=BB72_3 Depth=1
	;; [unrolled: 33-line block ×3, first 2 shown]
	s_or_b32 exec_lo, exec_lo, s53
	s_barrier_signal -1
	s_barrier_wait -1
	s_and_saveexec_b32 s53, s29
	s_cbranch_execz .LBB72_807
; %bb.806:                              ;   in Loop: Header=BB72_3 Depth=1
	ds_load_b64 v[34:35], v5 offset:29120
	s_wait_dscnt 0x0
	v_dual_mul_f32 v36, v32, v35 :: v_dual_mul_f32 v38, v33, v35
	s_delay_alu instid0(VALU_DEP_1) | instskip(NEXT) | instid1(VALU_DEP_2)
	v_pk_fma_f32 v[36:37], v[32:33], v[34:35], v[36:37] op_sel:[0,1,0] op_sel_hi:[1,0,0]
	v_pk_fma_f32 v[34:35], v[32:33], v[34:35], v[38:39] op_sel_hi:[1,1,0] neg_lo:[0,0,1] neg_hi:[0,0,1]
	s_delay_alu instid0(VALU_DEP_2) | instskip(NEXT) | instid1(VALU_DEP_1)
	v_mov_b32_e32 v35, v37
	v_mov_b64_e32 v[32:33], v[34:35]
	ds_store_b64 v67, v[34:35]
.LBB72_807:                             ;   in Loop: Header=BB72_3 Depth=1
	s_or_b32 exec_lo, exec_lo, s53
	s_wait_dscnt 0x0
	s_barrier_signal -1
	s_barrier_wait -1
	s_and_saveexec_b32 s53, s31
	s_cbranch_execz .LBB72_809
; %bb.808:                              ;   in Loop: Header=BB72_3 Depth=1
	ds_load_b64 v[34:35], v66 offset:29056
	ds_load_b64 v[36:37], v67
	s_wait_dscnt 0x0
	v_dual_mul_f32 v38, v37, v35 :: v_dual_mul_f32 v39, v36, v35
	s_delay_alu instid0(VALU_DEP_1) | instskip(NEXT) | instid1(VALU_DEP_1)
	v_dual_fma_f32 v38, v36, v34, -v38 :: v_dual_fmac_f32 v39, v37, v34
	v_pk_add_f32 v[32:33], v[32:33], v[38:39]
.LBB72_809:                             ;   in Loop: Header=BB72_3 Depth=1
	s_or_b32 exec_lo, exec_lo, s53
	s_barrier_signal -1
	s_barrier_wait -1
	s_and_saveexec_b32 s53, s34
	s_cbranch_execz .LBB72_811
; %bb.810:                              ;   in Loop: Header=BB72_3 Depth=1
	ds_load_b64 v[34:35], v5 offset:29640
	s_wait_dscnt 0x0
	v_pk_mul_f32 v[36:37], v[32:33], v[34:35] op_sel:[1,1] op_sel_hi:[1,0]
	s_delay_alu instid0(VALU_DEP_1) | instskip(SKIP_1) | instid1(VALU_DEP_2)
	v_pk_fma_f32 v[38:39], v[32:33], v[34:35], v[36:37] op_sel_hi:[0,1,1]
	v_pk_fma_f32 v[32:33], v[32:33], v[34:35], v[36:37] op_sel_hi:[0,1,1] neg_lo:[0,0,1] neg_hi:[0,0,1]
	v_mov_b32_e32 v33, v39
	ds_store_b64 v67, v[32:33]
.LBB72_811:                             ;   in Loop: Header=BB72_3 Depth=1
	s_or_b32 exec_lo, exec_lo, s53
	s_wait_dscnt 0x0
	s_barrier_signal -1
	s_barrier_wait -1
	s_and_saveexec_b32 s53, s84
	s_cbranch_execz .LBB72_813
; %bb.812:                              ;   in Loop: Header=BB72_3 Depth=1
	ds_load_b64 v[34:35], v66 offset:29568
	ds_load_b64 v[36:37], v67
	s_wait_dscnt 0x0
	v_pk_mul_f32 v[38:39], v[36:37], v[34:35] op_sel:[1,1] op_sel_hi:[0,1]
	s_delay_alu instid0(VALU_DEP_1) | instskip(SKIP_1) | instid1(VALU_DEP_2)
	v_pk_fma_f32 v[96:97], v[36:37], v[34:35], v[38:39] op_sel_hi:[1,0,1]
	v_pk_fma_f32 v[34:35], v[36:37], v[34:35], v[38:39] op_sel_hi:[1,0,1] neg_lo:[0,0,1] neg_hi:[0,0,1]
	v_mov_b32_e32 v35, v97
	s_delay_alu instid0(VALU_DEP_1)
	v_pk_add_f32 v[32:33], v[32:33], v[34:35]
.LBB72_813:                             ;   in Loop: Header=BB72_3 Depth=1
	s_or_b32 exec_lo, exec_lo, s53
	s_barrier_signal -1
	s_barrier_wait -1
	s_and_saveexec_b32 s53, s85
	s_cbranch_execz .LBB72_815
; %bb.814:                              ;   in Loop: Header=BB72_3 Depth=1
	ds_load_b64 v[34:35], v5 offset:30160
	s_wait_dscnt 0x0
	v_pk_mul_f32 v[36:37], v[32:33], v[34:35] op_sel:[1,1] op_sel_hi:[1,0]
	s_delay_alu instid0(VALU_DEP_1) | instskip(SKIP_1) | instid1(VALU_DEP_2)
	v_pk_fma_f32 v[38:39], v[32:33], v[34:35], v[36:37] op_sel_hi:[0,1,1]
	v_pk_fma_f32 v[32:33], v[32:33], v[34:35], v[36:37] op_sel_hi:[0,1,1] neg_lo:[0,0,1] neg_hi:[0,0,1]
	v_mov_b32_e32 v33, v39
	ds_store_b64 v67, v[32:33]
.LBB72_815:                             ;   in Loop: Header=BB72_3 Depth=1
	s_or_b32 exec_lo, exec_lo, s53
	s_wait_dscnt 0x0
	s_barrier_signal -1
	s_barrier_wait -1
	s_and_saveexec_b32 s53, s82
	s_cbranch_execz .LBB72_817
; %bb.816:                              ;   in Loop: Header=BB72_3 Depth=1
	ds_load_b64 v[34:35], v66 offset:30080
	ds_load_b64 v[36:37], v67
	s_wait_dscnt 0x0
	v_pk_mul_f32 v[38:39], v[36:37], v[34:35] op_sel:[1,1] op_sel_hi:[0,1]
	s_delay_alu instid0(VALU_DEP_1) | instskip(SKIP_1) | instid1(VALU_DEP_2)
	v_pk_fma_f32 v[96:97], v[36:37], v[34:35], v[38:39] op_sel_hi:[1,0,1]
	v_pk_fma_f32 v[34:35], v[36:37], v[34:35], v[38:39] op_sel_hi:[1,0,1] neg_lo:[0,0,1] neg_hi:[0,0,1]
	v_mov_b32_e32 v35, v97
	s_delay_alu instid0(VALU_DEP_1)
	v_pk_add_f32 v[32:33], v[32:33], v[34:35]
.LBB72_817:                             ;   in Loop: Header=BB72_3 Depth=1
	;; [unrolled: 33-line block ×3, first 2 shown]
	s_or_b32 exec_lo, exec_lo, s53
	s_barrier_signal -1
	s_barrier_wait -1
	s_and_saveexec_b32 s53, s11
	s_cbranch_execz .LBB72_823
; %bb.822:                              ;   in Loop: Header=BB72_3 Depth=1
	ds_load_b64 v[34:35], v5 offset:31200
	s_wait_dscnt 0x0
	v_dual_mul_f32 v36, v32, v35 :: v_dual_mul_f32 v38, v33, v35
	s_delay_alu instid0(VALU_DEP_1) | instskip(NEXT) | instid1(VALU_DEP_2)
	v_pk_fma_f32 v[36:37], v[32:33], v[34:35], v[36:37] op_sel:[0,1,0] op_sel_hi:[1,0,0]
	v_pk_fma_f32 v[34:35], v[32:33], v[34:35], v[38:39] op_sel_hi:[1,1,0] neg_lo:[0,0,1] neg_hi:[0,0,1]
	s_delay_alu instid0(VALU_DEP_2) | instskip(NEXT) | instid1(VALU_DEP_1)
	v_mov_b32_e32 v35, v37
	v_mov_b64_e32 v[32:33], v[34:35]
	ds_store_b64 v67, v[34:35]
.LBB72_823:                             ;   in Loop: Header=BB72_3 Depth=1
	s_or_b32 exec_lo, exec_lo, s53
	s_wait_dscnt 0x0
	s_barrier_signal -1
	s_barrier_wait -1
	s_and_saveexec_b32 s53, s24
	s_cbranch_execz .LBB72_825
; %bb.824:                              ;   in Loop: Header=BB72_3 Depth=1
	ds_load_b64 v[34:35], v66 offset:31104
	ds_load_b64 v[36:37], v67
	s_wait_dscnt 0x0
	v_dual_mul_f32 v38, v37, v35 :: v_dual_mul_f32 v39, v36, v35
	s_delay_alu instid0(VALU_DEP_1) | instskip(NEXT) | instid1(VALU_DEP_1)
	v_dual_fma_f32 v38, v36, v34, -v38 :: v_dual_fmac_f32 v39, v37, v34
	v_pk_add_f32 v[32:33], v[32:33], v[38:39]
.LBB72_825:                             ;   in Loop: Header=BB72_3 Depth=1
	s_or_b32 exec_lo, exec_lo, s53
	s_barrier_signal -1
	s_barrier_wait -1
	s_and_saveexec_b32 s53, s26
	s_cbranch_execz .LBB72_827
; %bb.826:                              ;   in Loop: Header=BB72_3 Depth=1
	ds_load_b64 v[34:35], v5 offset:31720
	s_wait_dscnt 0x0
	v_pk_mul_f32 v[36:37], v[32:33], v[34:35] op_sel:[1,1] op_sel_hi:[1,0]
	s_delay_alu instid0(VALU_DEP_1) | instskip(SKIP_1) | instid1(VALU_DEP_2)
	v_pk_fma_f32 v[38:39], v[32:33], v[34:35], v[36:37] op_sel_hi:[0,1,1]
	v_pk_fma_f32 v[34:35], v[32:33], v[34:35], v[36:37] neg_lo:[0,0,1] neg_hi:[0,0,1]
	v_mov_b32_e32 v35, v39
	s_delay_alu instid0(VALU_DEP_1)
	v_mov_b64_e32 v[32:33], v[34:35]
	ds_store_b64 v67, v[34:35]
.LBB72_827:                             ;   in Loop: Header=BB72_3 Depth=1
	s_or_b32 exec_lo, exec_lo, s53
	s_wait_dscnt 0x0
	s_barrier_signal -1
	s_barrier_wait -1
	s_and_saveexec_b32 s53, s28
	s_cbranch_execz .LBB72_829
; %bb.828:                              ;   in Loop: Header=BB72_3 Depth=1
	ds_load_b64 v[34:35], v66 offset:31616
	ds_load_b64 v[36:37], v67
	s_wait_dscnt 0x0
	v_pk_mul_f32 v[38:39], v[36:37], v[34:35] op_sel:[1,1] op_sel_hi:[0,1]
	s_delay_alu instid0(VALU_DEP_1) | instskip(SKIP_1) | instid1(VALU_DEP_2)
	v_pk_fma_f32 v[96:97], v[36:37], v[34:35], v[38:39] op_sel_hi:[1,0,1]
	v_pk_fma_f32 v[34:35], v[36:37], v[34:35], v[38:39] neg_lo:[0,0,1] neg_hi:[0,0,1]
	v_mov_b32_e32 v35, v97
	s_delay_alu instid0(VALU_DEP_1)
	v_pk_add_f32 v[32:33], v[32:33], v[34:35]
.LBB72_829:                             ;   in Loop: Header=BB72_3 Depth=1
	s_or_b32 exec_lo, exec_lo, s53
	s_barrier_signal -1
	s_barrier_wait -1
	s_and_saveexec_b32 s53, s30
	s_cbranch_execz .LBB72_831
; %bb.830:                              ;   in Loop: Header=BB72_3 Depth=1
	ds_load_b64 v[34:35], v5 offset:32240
	s_wait_dscnt 0x0
	v_pk_mul_f32 v[36:37], v[32:33], v[34:35] op_sel:[1,1] op_sel_hi:[1,0]
	s_delay_alu instid0(VALU_DEP_1) | instskip(SKIP_1) | instid1(VALU_DEP_2)
	v_pk_fma_f32 v[38:39], v[32:33], v[34:35], v[36:37] op_sel_hi:[0,1,1]
	v_pk_fma_f32 v[34:35], v[32:33], v[34:35], v[36:37] neg_lo:[0,0,1] neg_hi:[0,0,1]
	v_mov_b32_e32 v35, v39
	s_delay_alu instid0(VALU_DEP_1)
	v_mov_b64_e32 v[32:33], v[34:35]
	ds_store_b64 v67, v[34:35]
.LBB72_831:                             ;   in Loop: Header=BB72_3 Depth=1
	s_or_b32 exec_lo, exec_lo, s53
	s_wait_dscnt 0x0
	s_barrier_signal -1
	s_barrier_wait -1
	s_and_saveexec_b32 s53, s33
	s_cbranch_execz .LBB72_833
; %bb.832:                              ;   in Loop: Header=BB72_3 Depth=1
	ds_load_b64 v[34:35], v5 offset:32248
	ds_load_b64 v[36:37], v67
	s_wait_dscnt 0x0
	v_pk_mul_f32 v[38:39], v[36:37], v[34:35] op_sel:[1,1] op_sel_hi:[0,1]
	s_delay_alu instid0(VALU_DEP_1) | instskip(SKIP_1) | instid1(VALU_DEP_2)
	v_pk_fma_f32 v[96:97], v[36:37], v[34:35], v[38:39] op_sel_hi:[1,0,1]
	v_pk_fma_f32 v[34:35], v[36:37], v[34:35], v[38:39] neg_lo:[0,0,1] neg_hi:[0,0,1]
	v_mov_b32_e32 v35, v97
	s_delay_alu instid0(VALU_DEP_1)
	v_pk_add_f32 v[32:33], v[32:33], v[34:35]
.LBB72_833:                             ;   in Loop: Header=BB72_3 Depth=1
	s_or_b32 exec_lo, exec_lo, s53
	s_barrier_signal -1
	s_barrier_wait -1
	s_and_saveexec_b32 s53, s33
	s_cbranch_execz .LBB72_835
; %bb.834:                              ;   in Loop: Header=BB72_3 Depth=1
	ds_load_b64 v[34:35], v5 offset:32760
	s_wait_dscnt 0x0
	v_pk_mul_f32 v[36:37], v[32:33], v[34:35] op_sel:[1,1] op_sel_hi:[1,0]
	s_delay_alu instid0(VALU_DEP_1) | instskip(SKIP_1) | instid1(VALU_DEP_2)
	v_pk_fma_f32 v[38:39], v[32:33], v[34:35], v[36:37] op_sel_hi:[0,1,1]
	v_pk_fma_f32 v[34:35], v[32:33], v[34:35], v[36:37] neg_lo:[0,0,1] neg_hi:[0,0,1]
	v_mov_b32_e32 v35, v39
	s_delay_alu instid0(VALU_DEP_1)
	v_mov_b64_e32 v[32:33], v[34:35]
	ds_store_b64 v67, v[34:35]
.LBB72_835:                             ;   in Loop: Header=BB72_3 Depth=1
	s_or_b32 exec_lo, exec_lo, s53
	s_wait_dscnt 0x0
	s_barrier_signal -1
	s_barrier_wait -1
	s_barrier_signal -1
	s_barrier_wait -1
	s_and_saveexec_b32 s53, s4
; %bb.836:                              ;   in Loop: Header=BB72_3 Depth=1
	v_pk_add_f32 v[32:33], v[32:33], 0 neg_lo:[1,1] neg_hi:[1,1]
	ds_store_b64 v68, v[32:33] offset:16768
; %bb.837:                              ;   in Loop: Header=BB72_3 Depth=1
	s_or_b32 exec_lo, exec_lo, s53
	s_wait_dscnt 0x0
	s_barrier_signal -1
	s_barrier_wait -1
	s_barrier_signal -1
	s_barrier_wait -1
	s_and_saveexec_b32 s53, s94
	s_cbranch_execz .LBB72_839
; %bb.838:                              ;   in Loop: Header=BB72_3 Depth=1
	ds_load_b64 v[32:33], v47 offset:16768
	s_wait_dscnt 0x0
	ds_store_b64 v52, v[32:33] offset:24832
	ds_load_b64 v[32:33], v47 offset:16776
	s_wait_dscnt 0x0
	ds_store_b64 v52, v[32:33] offset:25344
	;; [unrolled: 3-line block ×16, first 2 shown]
.LBB72_839:                             ;   in Loop: Header=BB72_3 Depth=1
	s_or_b32 exec_lo, exec_lo, s53
	s_wait_dscnt 0x0
	s_barrier_signal -1
	s_barrier_wait -1
	s_and_saveexec_b32 s53, s14
	s_cbranch_execz .LBB72_841
; %bb.840:                              ;   in Loop: Header=BB72_3 Depth=1
	ds_load_b128 v[32:35], v5 offset:24960
	ds_load_b64 v[36:37], v5 offset:25480
	s_wait_dscnt 0x1
	v_dual_mov_b32 v96, v35 :: v_dual_mov_b32 v97, v34
	s_wait_dscnt 0x0
	v_dual_mul_f32 v39, v37, v33 :: v_dual_mul_f32 v38, v36, v33
	s_delay_alu instid0(VALU_DEP_1) | instskip(NEXT) | instid1(VALU_DEP_1)
	v_xor_b32_e32 v40, 0x80000000, v39
	v_dual_fmac_f32 v38, v37, v32 :: v_dual_fmac_f32 v40, v36, v32
	s_delay_alu instid0(VALU_DEP_1) | instskip(NEXT) | instid1(VALU_DEP_1)
	v_pk_mul_f32 v[32:33], v[38:39], v[96:97] op_sel_hi:[0,1]
	v_pk_fma_f32 v[36:37], v[40:41], v[34:35], v[32:33] op_sel_hi:[0,1,1]
	v_pk_fma_f32 v[32:33], v[40:41], v[34:35], v[32:33] neg_lo:[0,0,1] neg_hi:[0,0,1]
	v_add_nc_u32_e64 v34, 0x6000, 0
	s_delay_alu instid0(VALU_DEP_3)
	v_mov_b32_e32 v33, v37
	ds_store_2addr_b64 v34, v[32:33], v[32:33] offset0:49 offset1:112
.LBB72_841:                             ;   in Loop: Header=BB72_3 Depth=1
	s_or_b32 exec_lo, exec_lo, s53
	v_mov_b32_e32 v33, 0
	s_wait_dscnt 0x0
	s_barrier_signal -1
	s_barrier_wait -1
	s_delay_alu instid0(VALU_DEP_1)
	v_mov_b32_e32 v32, v33
	s_and_saveexec_b32 s53, s0
	s_cbranch_execz .LBB72_845
; %bb.842:                              ;   in Loop: Header=BB72_3 Depth=1
	ds_load_b64 v[32:33], v42 offset:24976
	ds_load_b64 v[34:35], v43 offset:24960
	s_wait_dscnt 0x0
	v_dual_mul_f32 v36, v35, v33 :: v_dual_mul_f32 v37, v34, v33
	s_delay_alu instid0(VALU_DEP_1) | instskip(NEXT) | instid1(VALU_DEP_1)
	v_dual_fma_f32 v36, v34, v32, -v36 :: v_dual_fmac_f32 v37, v35, v32
	v_pk_add_f32 v[32:33], v[36:37], 0 op_sel_hi:[1,0]
	s_and_saveexec_b32 s54, s15
	s_cbranch_execz .LBB72_844
; %bb.843:                              ;   in Loop: Header=BB72_3 Depth=1
	ds_load_b64 v[34:35], v44 offset:25488
	ds_load_b64 v[36:37], v5 offset:24968
	s_wait_dscnt 0x0
	v_pk_mul_f32 v[38:39], v[36:37], v[34:35] op_sel:[1,1] op_sel_hi:[0,1]
	s_delay_alu instid0(VALU_DEP_1) | instskip(SKIP_1) | instid1(VALU_DEP_2)
	v_pk_fma_f32 v[96:97], v[36:37], v[34:35], v[38:39] op_sel_hi:[1,0,1]
	v_pk_fma_f32 v[34:35], v[36:37], v[34:35], v[38:39] neg_lo:[0,0,1] neg_hi:[0,0,1]
	v_mov_b32_e32 v35, v97
	s_delay_alu instid0(VALU_DEP_1)
	v_pk_add_f32 v[32:33], v[32:33], v[34:35]
.LBB72_844:                             ;   in Loop: Header=BB72_3 Depth=1
	s_or_b32 exec_lo, exec_lo, s54
	s_delay_alu instid0(VALU_DEP_1)
	v_pk_add_f32 v[32:33], v[32:33], 0 neg_lo:[1,1] neg_hi:[1,1]
.LBB72_845:                             ;   in Loop: Header=BB72_3 Depth=1
	s_or_b32 exec_lo, exec_lo, s53
	s_and_saveexec_b32 s53, s96
	s_cbranch_execz .LBB72_847
; %bb.846:                              ;   in Loop: Header=BB72_3 Depth=1
	ds_load_b64 v[34:35], v5 offset:26000
	s_wait_dscnt 0x0
	v_pk_mul_f32 v[36:37], v[32:33], v[34:35] op_sel:[1,1] op_sel_hi:[1,0]
	s_delay_alu instid0(VALU_DEP_1) | instskip(SKIP_1) | instid1(VALU_DEP_2)
	v_pk_fma_f32 v[38:39], v[32:33], v[34:35], v[36:37] op_sel_hi:[0,1,1]
	v_pk_fma_f32 v[34:35], v[32:33], v[34:35], v[36:37] neg_lo:[0,0,1] neg_hi:[0,0,1]
	v_mov_b32_e32 v35, v39
	s_delay_alu instid0(VALU_DEP_1)
	v_mov_b64_e32 v[32:33], v[34:35]
	ds_store_b64 v3, v[34:35]
.LBB72_847:                             ;   in Loop: Header=BB72_3 Depth=1
	s_or_b32 exec_lo, exec_lo, s53
	s_wait_dscnt 0x0
	s_barrier_signal -1
	s_barrier_wait -1
	s_and_saveexec_b32 s53, s97
	s_cbranch_execz .LBB72_849
; %bb.848:                              ;   in Loop: Header=BB72_3 Depth=1
	ds_load_b64 v[34:35], v5 offset:26008
	ds_load_b64 v[36:37], v3
	s_wait_dscnt 0x0
	v_pk_mul_f32 v[38:39], v[36:37], v[34:35] op_sel:[1,1] op_sel_hi:[0,1]
	s_delay_alu instid0(VALU_DEP_1) | instskip(SKIP_1) | instid1(VALU_DEP_2)
	v_pk_fma_f32 v[96:97], v[36:37], v[34:35], v[38:39] op_sel_hi:[1,0,1]
	v_pk_fma_f32 v[34:35], v[36:37], v[34:35], v[38:39] neg_lo:[0,0,1] neg_hi:[0,0,1]
	v_mov_b32_e32 v35, v97
	s_delay_alu instid0(VALU_DEP_1)
	v_pk_add_f32 v[32:33], v[32:33], v[34:35]
.LBB72_849:                             ;   in Loop: Header=BB72_3 Depth=1
	s_or_b32 exec_lo, exec_lo, s53
	s_barrier_signal -1
	s_barrier_wait -1
	s_and_saveexec_b32 s53, s97
	s_cbranch_execz .LBB72_851
; %bb.850:                              ;   in Loop: Header=BB72_3 Depth=1
	ds_load_b64 v[34:35], v5 offset:26520
	s_wait_dscnt 0x0
	v_pk_mul_f32 v[36:37], v[32:33], v[34:35] op_sel:[1,1] op_sel_hi:[1,0]
	s_delay_alu instid0(VALU_DEP_1) | instskip(SKIP_1) | instid1(VALU_DEP_2)
	v_pk_fma_f32 v[38:39], v[32:33], v[34:35], v[36:37] op_sel_hi:[0,1,1]
	v_pk_fma_f32 v[34:35], v[32:33], v[34:35], v[36:37] neg_lo:[0,0,1] neg_hi:[0,0,1]
	v_mov_b32_e32 v35, v39
	s_delay_alu instid0(VALU_DEP_1)
	v_mov_b64_e32 v[32:33], v[34:35]
	ds_store_b64 v3, v[34:35]
.LBB72_851:                             ;   in Loop: Header=BB72_3 Depth=1
	s_or_b32 exec_lo, exec_lo, s53
	s_wait_dscnt 0x0
	s_barrier_signal -1
	s_barrier_wait -1
	s_barrier_signal -1
	s_barrier_wait -1
	s_and_saveexec_b32 s53, s0
; %bb.852:                              ;   in Loop: Header=BB72_3 Depth=1
	v_pk_add_f32 v[32:33], v[32:33], 0 neg_lo:[1,1] neg_hi:[1,1]
	ds_store_b64 v42, v[32:33] offset:24976
; %bb.853:                              ;   in Loop: Header=BB72_3 Depth=1
	s_or_b32 exec_lo, exec_lo, s53
	s_wait_dscnt 0x0
	s_barrier_signal -1
	s_barrier_wait -1
	s_barrier_signal -1
	s_barrier_wait -1
	s_and_saveexec_b32 s53, s98
	s_cbranch_execz .LBB72_855
; %bb.854:                              ;   in Loop: Header=BB72_3 Depth=1
	ds_load_b64 v[32:33], v47 offset:24976
	s_wait_dscnt 0x0
	ds_store_b64 v44, v[32:33] offset:25984
	ds_load_b64 v[32:33], v47 offset:24984
	s_wait_dscnt 0x0
	ds_store_b64 v44, v[32:33] offset:26496
.LBB72_855:                             ;   in Loop: Header=BB72_3 Depth=1
	s_or_b32 exec_lo, exec_lo, s53
	s_wait_dscnt 0x0
	s_barrier_signal -1
	s_barrier_wait -1
	s_and_saveexec_b32 s53, s14
	s_cbranch_execz .LBB72_857
; %bb.856:                              ;   in Loop: Header=BB72_3 Depth=1
	ds_load_b128 v[32:35], v5 offset:26000
	ds_load_b64 v[36:37], v5 offset:26520
	s_wait_dscnt 0x1
	v_dual_mov_b32 v96, v35 :: v_dual_mov_b32 v97, v34
	s_wait_dscnt 0x0
	v_dual_mul_f32 v39, v37, v33 :: v_dual_mul_f32 v38, v36, v33
	s_delay_alu instid0(VALU_DEP_1) | instskip(NEXT) | instid1(VALU_DEP_1)
	v_xor_b32_e32 v40, 0x80000000, v39
	v_dual_fmac_f32 v38, v37, v32 :: v_dual_fmac_f32 v40, v36, v32
	s_delay_alu instid0(VALU_DEP_1) | instskip(NEXT) | instid1(VALU_DEP_1)
	v_pk_mul_f32 v[32:33], v[38:39], v[96:97] op_sel_hi:[0,1]
	v_pk_fma_f32 v[36:37], v[40:41], v[34:35], v[32:33] op_sel_hi:[0,1,1]
	v_pk_fma_f32 v[32:33], v[40:41], v[34:35], v[32:33] neg_lo:[0,0,1] neg_hi:[0,0,1]
	v_add_nc_u32_e64 v34, 0x6000, 0
	s_delay_alu instid0(VALU_DEP_3)
	v_mov_b32_e32 v33, v37
	ds_store_2addr_b64 v34, v[32:33], v[32:33] offset0:179 offset1:242
.LBB72_857:                             ;   in Loop: Header=BB72_3 Depth=1
	s_or_b32 exec_lo, exec_lo, s53
	v_mov_b32_e32 v32, 0
	s_wait_dscnt 0x0
	s_barrier_signal -1
	s_barrier_wait -1
	s_delay_alu instid0(VALU_DEP_1)
	v_mov_b32_e32 v33, v32
	s_and_saveexec_b32 s64, s2
	s_cbranch_execz .LBB72_863
; %bb.858:                              ;   in Loop: Header=BB72_3 Depth=1
	ds_load_b64 v[32:33], v49 offset:24992
	ds_load_b64 v[34:35], v45 offset:24960
	s_wait_dscnt 0x0
	v_pk_mul_f32 v[36:37], v[34:35], v[32:33] op_sel:[0,1]
	s_delay_alu instid0(VALU_DEP_1) | instskip(SKIP_1) | instid1(VALU_DEP_2)
	v_pk_fma_f32 v[38:39], v[34:35], v[32:33], v[36:37] op_sel:[1,0,0] op_sel_hi:[0,0,1] neg_lo:[0,0,1] neg_hi:[0,0,1]
	v_pk_fma_f32 v[32:33], v[34:35], v[32:33], v[36:37] op_sel:[1,0,0] op_sel_hi:[0,1,1]
	v_mov_b32_e32 v33, v39
	s_delay_alu instid0(VALU_DEP_1)
	v_pk_add_f32 v[32:33], v[32:33], 0 op_sel_hi:[1,0]
	s_and_saveexec_b32 s53, s16
	s_cbranch_execnz .LBB72_1164
; %bb.859:                              ;   in Loop: Header=BB72_3 Depth=1
	s_or_b32 exec_lo, exec_lo, s53
	s_and_saveexec_b32 s53, s17
	s_cbranch_execnz .LBB72_1165
.LBB72_860:                             ;   in Loop: Header=BB72_3 Depth=1
	s_or_b32 exec_lo, exec_lo, s53
	s_and_saveexec_b32 s53, s0
	s_cbranch_execz .LBB72_862
.LBB72_861:                             ;   in Loop: Header=BB72_3 Depth=1
	ds_load_b64 v[34:35], v52 offset:26528
	ds_load_b64 v[36:37], v5 offset:24984
	s_wait_dscnt 0x0
	v_pk_mul_f32 v[38:39], v[36:37], v[34:35] op_sel:[0,1]
	s_delay_alu instid0(VALU_DEP_1) | instskip(SKIP_1) | instid1(VALU_DEP_2)
	v_pk_fma_f32 v[96:97], v[36:37], v[34:35], v[38:39] op_sel:[1,0,0] op_sel_hi:[0,0,1] neg_lo:[0,0,1] neg_hi:[0,0,1]
	v_pk_fma_f32 v[34:35], v[36:37], v[34:35], v[38:39] op_sel:[1,0,0] op_sel_hi:[0,1,1]
	v_mov_b32_e32 v35, v97
	s_delay_alu instid0(VALU_DEP_1)
	v_pk_add_f32 v[32:33], v[32:33], v[34:35]
.LBB72_862:                             ;   in Loop: Header=BB72_3 Depth=1
	s_or_b32 exec_lo, exec_lo, s53
	s_delay_alu instid0(VALU_DEP_1) | instskip(NEXT) | instid1(VALU_DEP_1)
	v_pk_add_f32 v[34:35], v[32:33], 0 neg_lo:[1,1] neg_hi:[1,1]
	v_dual_mov_b32 v32, v35 :: v_dual_mov_b32 v33, v34
.LBB72_863:                             ;   in Loop: Header=BB72_3 Depth=1
	s_or_b32 exec_lo, exec_lo, s64
	s_and_saveexec_b32 s53, s99
	s_cbranch_execz .LBB72_865
; %bb.864:                              ;   in Loop: Header=BB72_3 Depth=1
	ds_load_b64 v[34:35], v5 offset:27040
	v_dual_mov_b32 v36, v33 :: v_dual_mov_b32 v37, v32
	s_wait_dscnt 0x0
	s_delay_alu instid0(VALU_DEP_1) | instskip(NEXT) | instid1(VALU_DEP_1)
	v_dual_mul_f32 v38, v36, v34 :: v_dual_mul_f32 v40, v33, v35
	v_pk_fma_f32 v[36:37], v[36:37], v[34:35], v[38:39] op_sel_hi:[1,1,0]
	s_delay_alu instid0(VALU_DEP_2) | instskip(NEXT) | instid1(VALU_DEP_2)
	v_pk_fma_f32 v[32:33], v[32:33], v[34:35], v[40:41] op_sel_hi:[1,1,0] neg_lo:[0,0,1] neg_hi:[0,0,1]
	v_mov_b32_e32 v33, v37
	ds_store_b64 v48, v[32:33]
.LBB72_865:                             ;   in Loop: Header=BB72_3 Depth=1
	s_or_b32 exec_lo, exec_lo, s53
	s_wait_dscnt 0x0
	s_barrier_signal -1
	s_barrier_wait -1
	s_and_saveexec_b32 s53, s100
	s_cbranch_execz .LBB72_867
; %bb.866:                              ;   in Loop: Header=BB72_3 Depth=1
	ds_load_b64 v[34:35], v46 offset:27040
	ds_load_b64 v[36:37], v48
	s_wait_dscnt 0x0
	v_dual_mul_f32 v38, v37, v35 :: v_dual_mul_f32 v39, v36, v35
	s_delay_alu instid0(VALU_DEP_1) | instskip(NEXT) | instid1(VALU_DEP_1)
	v_dual_fma_f32 v38, v36, v34, -v38 :: v_dual_fmac_f32 v39, v37, v34
	v_pk_add_f32 v[32:33], v[32:33], v[38:39]
.LBB72_867:                             ;   in Loop: Header=BB72_3 Depth=1
	s_or_b32 exec_lo, exec_lo, s53
	s_barrier_signal -1
	s_barrier_wait -1
	s_and_saveexec_b32 s53, s101
	s_cbranch_execz .LBB72_869
; %bb.868:                              ;   in Loop: Header=BB72_3 Depth=1
	ds_load_b64 v[34:35], v5 offset:27560
	s_wait_dscnt 0x0
	v_pk_mul_f32 v[36:37], v[32:33], v[34:35] op_sel:[1,1] op_sel_hi:[1,0]
	s_delay_alu instid0(VALU_DEP_1) | instskip(SKIP_1) | instid1(VALU_DEP_2)
	v_pk_fma_f32 v[38:39], v[32:33], v[34:35], v[36:37] op_sel_hi:[0,1,1]
	v_pk_fma_f32 v[34:35], v[32:33], v[34:35], v[36:37] neg_lo:[0,0,1] neg_hi:[0,0,1]
	v_mov_b32_e32 v35, v39
	s_delay_alu instid0(VALU_DEP_1)
	v_mov_b64_e32 v[32:33], v[34:35]
	ds_store_b64 v48, v[34:35]
.LBB72_869:                             ;   in Loop: Header=BB72_3 Depth=1
	s_or_b32 exec_lo, exec_lo, s53
	s_wait_dscnt 0x0
	s_barrier_signal -1
	s_barrier_wait -1
	s_and_saveexec_b32 s53, s102
	s_cbranch_execz .LBB72_871
; %bb.870:                              ;   in Loop: Header=BB72_3 Depth=1
	ds_load_b64 v[34:35], v46 offset:27552
	ds_load_b64 v[36:37], v48
	s_wait_dscnt 0x0
	v_pk_mul_f32 v[38:39], v[36:37], v[34:35] op_sel:[1,1] op_sel_hi:[0,1]
	s_delay_alu instid0(VALU_DEP_1) | instskip(SKIP_1) | instid1(VALU_DEP_2)
	v_pk_fma_f32 v[96:97], v[36:37], v[34:35], v[38:39] op_sel_hi:[1,0,1]
	v_pk_fma_f32 v[34:35], v[36:37], v[34:35], v[38:39] neg_lo:[0,0,1] neg_hi:[0,0,1]
	v_mov_b32_e32 v35, v97
	s_delay_alu instid0(VALU_DEP_1)
	v_pk_add_f32 v[32:33], v[32:33], v[34:35]
.LBB72_871:                             ;   in Loop: Header=BB72_3 Depth=1
	s_or_b32 exec_lo, exec_lo, s53
	s_barrier_signal -1
	s_barrier_wait -1
	s_and_saveexec_b32 s53, s103
	s_cbranch_execz .LBB72_873
; %bb.872:                              ;   in Loop: Header=BB72_3 Depth=1
	ds_load_b64 v[34:35], v5 offset:28080
	s_wait_dscnt 0x0
	v_pk_mul_f32 v[36:37], v[32:33], v[34:35] op_sel:[1,1] op_sel_hi:[1,0]
	s_delay_alu instid0(VALU_DEP_1) | instskip(SKIP_1) | instid1(VALU_DEP_2)
	v_pk_fma_f32 v[38:39], v[32:33], v[34:35], v[36:37] op_sel_hi:[0,1,1]
	v_pk_fma_f32 v[34:35], v[32:33], v[34:35], v[36:37] neg_lo:[0,0,1] neg_hi:[0,0,1]
	v_mov_b32_e32 v35, v39
	s_delay_alu instid0(VALU_DEP_1)
	v_mov_b64_e32 v[32:33], v[34:35]
	ds_store_b64 v48, v[34:35]
.LBB72_873:                             ;   in Loop: Header=BB72_3 Depth=1
	s_or_b32 exec_lo, exec_lo, s53
	s_wait_dscnt 0x0
	s_barrier_signal -1
	s_barrier_wait -1
	s_and_saveexec_b32 s53, s104
	s_cbranch_execz .LBB72_875
; %bb.874:                              ;   in Loop: Header=BB72_3 Depth=1
	ds_load_b64 v[34:35], v5 offset:28088
	ds_load_b64 v[36:37], v48
	s_wait_dscnt 0x0
	v_pk_mul_f32 v[38:39], v[36:37], v[34:35] op_sel:[1,1] op_sel_hi:[0,1]
	s_delay_alu instid0(VALU_DEP_1) | instskip(SKIP_1) | instid1(VALU_DEP_2)
	v_pk_fma_f32 v[96:97], v[36:37], v[34:35], v[38:39] op_sel_hi:[1,0,1]
	v_pk_fma_f32 v[34:35], v[36:37], v[34:35], v[38:39] neg_lo:[0,0,1] neg_hi:[0,0,1]
	v_mov_b32_e32 v35, v97
	s_delay_alu instid0(VALU_DEP_1)
	v_pk_add_f32 v[32:33], v[32:33], v[34:35]
.LBB72_875:                             ;   in Loop: Header=BB72_3 Depth=1
	s_or_b32 exec_lo, exec_lo, s53
	s_barrier_signal -1
	s_barrier_wait -1
	s_and_saveexec_b32 s53, s104
	s_cbranch_execz .LBB72_877
; %bb.876:                              ;   in Loop: Header=BB72_3 Depth=1
	ds_load_b64 v[34:35], v5 offset:28600
	s_wait_dscnt 0x0
	v_pk_mul_f32 v[36:37], v[32:33], v[34:35] op_sel:[1,1] op_sel_hi:[1,0]
	s_delay_alu instid0(VALU_DEP_1) | instskip(SKIP_1) | instid1(VALU_DEP_2)
	v_pk_fma_f32 v[38:39], v[32:33], v[34:35], v[36:37] op_sel_hi:[0,1,1]
	v_pk_fma_f32 v[34:35], v[32:33], v[34:35], v[36:37] neg_lo:[0,0,1] neg_hi:[0,0,1]
	v_mov_b32_e32 v35, v39
	s_delay_alu instid0(VALU_DEP_1)
	v_mov_b64_e32 v[32:33], v[34:35]
	ds_store_b64 v48, v[34:35]
.LBB72_877:                             ;   in Loop: Header=BB72_3 Depth=1
	s_or_b32 exec_lo, exec_lo, s53
	s_wait_dscnt 0x0
	s_barrier_signal -1
	s_barrier_wait -1
	s_barrier_signal -1
	s_barrier_wait -1
	s_and_saveexec_b32 s53, s2
; %bb.878:                              ;   in Loop: Header=BB72_3 Depth=1
	v_pk_add_f32 v[32:33], v[32:33], 0 neg_lo:[1,1] neg_hi:[1,1]
	ds_store_b64 v49, v[32:33] offset:24992
; %bb.879:                              ;   in Loop: Header=BB72_3 Depth=1
	s_or_b32 exec_lo, exec_lo, s53
	s_wait_dscnt 0x0
	s_barrier_signal -1
	s_barrier_wait -1
	s_barrier_signal -1
	s_barrier_wait -1
	s_and_saveexec_b32 s53, vcc_hi
	s_cbranch_execz .LBB72_881
; %bb.880:                              ;   in Loop: Header=BB72_3 Depth=1
	ds_load_b64 v[32:33], v53 offset:24992
	s_wait_dscnt 0x0
	ds_store_b64 v54, v[32:33] offset:27008
	ds_load_b64 v[32:33], v53 offset:25000
	s_wait_dscnt 0x0
	ds_store_b64 v54, v[32:33] offset:27520
	;; [unrolled: 3-line block ×4, first 2 shown]
.LBB72_881:                             ;   in Loop: Header=BB72_3 Depth=1
	s_or_b32 exec_lo, exec_lo, s53
	s_wait_dscnt 0x0
	s_barrier_signal -1
	s_barrier_wait -1
	s_and_saveexec_b32 s53, s14
	s_cbranch_execz .LBB72_883
; %bb.882:                              ;   in Loop: Header=BB72_3 Depth=1
	ds_load_b128 v[32:35], v5 offset:27040
	ds_load_b64 v[36:37], v5 offset:27560
	s_wait_dscnt 0x1
	v_dual_mov_b32 v96, v35 :: v_dual_mov_b32 v97, v34
	s_wait_dscnt 0x0
	v_dual_mul_f32 v39, v37, v33 :: v_dual_mul_f32 v38, v36, v33
	s_delay_alu instid0(VALU_DEP_1) | instskip(NEXT) | instid1(VALU_DEP_1)
	v_xor_b32_e32 v40, 0x80000000, v39
	v_dual_fmac_f32 v38, v37, v32 :: v_dual_fmac_f32 v40, v36, v32
	s_delay_alu instid0(VALU_DEP_1) | instskip(NEXT) | instid1(VALU_DEP_1)
	v_pk_mul_f32 v[32:33], v[38:39], v[96:97] op_sel_hi:[0,1]
	v_pk_fma_f32 v[36:37], v[40:41], v[34:35], v[32:33] op_sel_hi:[0,1,1]
	v_pk_fma_f32 v[32:33], v[40:41], v[34:35], v[32:33] neg_lo:[0,0,1] neg_hi:[0,0,1]
	v_add_nc_u32_e64 v34, 0x6800, 0
	s_delay_alu instid0(VALU_DEP_3)
	v_mov_b32_e32 v33, v37
	ds_store_2addr_b64 v34, v[32:33], v[32:33] offset0:53 offset1:116
.LBB72_883:                             ;   in Loop: Header=BB72_3 Depth=1
	s_or_b32 exec_lo, exec_lo, s53
	v_mov_b32_e32 v33, 0
	s_wait_dscnt 0x0
	s_barrier_signal -1
	s_barrier_wait -1
	s_delay_alu instid0(VALU_DEP_1)
	v_mov_b32_e32 v32, v33
	s_and_saveexec_b32 s53, s0
	s_cbranch_execz .LBB72_887
; %bb.884:                              ;   in Loop: Header=BB72_3 Depth=1
	ds_load_b64 v[32:33], v42 offset:27056
	ds_load_b64 v[34:35], v43 offset:27040
	s_wait_dscnt 0x0
	v_dual_mul_f32 v36, v35, v33 :: v_dual_mul_f32 v37, v34, v33
	s_delay_alu instid0(VALU_DEP_1) | instskip(NEXT) | instid1(VALU_DEP_1)
	v_dual_fma_f32 v36, v34, v32, -v36 :: v_dual_fmac_f32 v37, v35, v32
	v_pk_add_f32 v[32:33], v[36:37], 0 op_sel_hi:[1,0]
	s_and_saveexec_b32 s54, s15
	s_cbranch_execz .LBB72_886
; %bb.885:                              ;   in Loop: Header=BB72_3 Depth=1
	ds_load_b64 v[34:35], v54 offset:27568
	ds_load_b64 v[36:37], v5 offset:27048
	s_wait_dscnt 0x0
	v_pk_mul_f32 v[38:39], v[36:37], v[34:35] op_sel:[1,1] op_sel_hi:[0,1]
	s_delay_alu instid0(VALU_DEP_1) | instskip(SKIP_1) | instid1(VALU_DEP_2)
	v_pk_fma_f32 v[96:97], v[36:37], v[34:35], v[38:39] op_sel_hi:[1,0,1]
	v_pk_fma_f32 v[34:35], v[36:37], v[34:35], v[38:39] neg_lo:[0,0,1] neg_hi:[0,0,1]
	v_mov_b32_e32 v35, v97
	s_delay_alu instid0(VALU_DEP_1)
	v_pk_add_f32 v[32:33], v[32:33], v[34:35]
.LBB72_886:                             ;   in Loop: Header=BB72_3 Depth=1
	s_or_b32 exec_lo, exec_lo, s54
	s_delay_alu instid0(VALU_DEP_1)
	v_pk_add_f32 v[32:33], v[32:33], 0 neg_lo:[1,1] neg_hi:[1,1]
.LBB72_887:                             ;   in Loop: Header=BB72_3 Depth=1
	s_or_b32 exec_lo, exec_lo, s53
	s_and_saveexec_b32 s53, s96
	s_cbranch_execz .LBB72_889
; %bb.888:                              ;   in Loop: Header=BB72_3 Depth=1
	ds_load_b64 v[34:35], v5 offset:28080
	s_wait_dscnt 0x0
	v_pk_mul_f32 v[36:37], v[32:33], v[34:35] op_sel:[1,1] op_sel_hi:[1,0]
	s_delay_alu instid0(VALU_DEP_1) | instskip(SKIP_1) | instid1(VALU_DEP_2)
	v_pk_fma_f32 v[38:39], v[32:33], v[34:35], v[36:37] op_sel_hi:[0,1,1]
	v_pk_fma_f32 v[34:35], v[32:33], v[34:35], v[36:37] neg_lo:[0,0,1] neg_hi:[0,0,1]
	v_mov_b32_e32 v35, v39
	s_delay_alu instid0(VALU_DEP_1)
	v_mov_b64_e32 v[32:33], v[34:35]
	ds_store_b64 v3, v[34:35]
.LBB72_889:                             ;   in Loop: Header=BB72_3 Depth=1
	s_or_b32 exec_lo, exec_lo, s53
	s_wait_dscnt 0x0
	s_barrier_signal -1
	s_barrier_wait -1
	s_and_saveexec_b32 s53, s97
	s_cbranch_execz .LBB72_891
; %bb.890:                              ;   in Loop: Header=BB72_3 Depth=1
	ds_load_b64 v[34:35], v5 offset:28088
	ds_load_b64 v[36:37], v3
	s_wait_dscnt 0x0
	v_pk_mul_f32 v[38:39], v[36:37], v[34:35] op_sel:[1,1] op_sel_hi:[0,1]
	s_delay_alu instid0(VALU_DEP_1) | instskip(SKIP_1) | instid1(VALU_DEP_2)
	v_pk_fma_f32 v[96:97], v[36:37], v[34:35], v[38:39] op_sel_hi:[1,0,1]
	v_pk_fma_f32 v[34:35], v[36:37], v[34:35], v[38:39] neg_lo:[0,0,1] neg_hi:[0,0,1]
	v_mov_b32_e32 v35, v97
	s_delay_alu instid0(VALU_DEP_1)
	v_pk_add_f32 v[32:33], v[32:33], v[34:35]
.LBB72_891:                             ;   in Loop: Header=BB72_3 Depth=1
	s_or_b32 exec_lo, exec_lo, s53
	s_barrier_signal -1
	s_barrier_wait -1
	s_and_saveexec_b32 s53, s97
	s_cbranch_execz .LBB72_893
; %bb.892:                              ;   in Loop: Header=BB72_3 Depth=1
	ds_load_b64 v[34:35], v5 offset:28600
	s_wait_dscnt 0x0
	v_pk_mul_f32 v[36:37], v[32:33], v[34:35] op_sel:[1,1] op_sel_hi:[1,0]
	s_delay_alu instid0(VALU_DEP_1) | instskip(SKIP_1) | instid1(VALU_DEP_2)
	v_pk_fma_f32 v[38:39], v[32:33], v[34:35], v[36:37] op_sel_hi:[0,1,1]
	v_pk_fma_f32 v[34:35], v[32:33], v[34:35], v[36:37] neg_lo:[0,0,1] neg_hi:[0,0,1]
	v_mov_b32_e32 v35, v39
	s_delay_alu instid0(VALU_DEP_1)
	v_mov_b64_e32 v[32:33], v[34:35]
	ds_store_b64 v3, v[34:35]
.LBB72_893:                             ;   in Loop: Header=BB72_3 Depth=1
	s_or_b32 exec_lo, exec_lo, s53
	s_wait_dscnt 0x0
	s_barrier_signal -1
	s_barrier_wait -1
	s_barrier_signal -1
	s_barrier_wait -1
	s_and_saveexec_b32 s53, s0
; %bb.894:                              ;   in Loop: Header=BB72_3 Depth=1
	v_pk_add_f32 v[32:33], v[32:33], 0 neg_lo:[1,1] neg_hi:[1,1]
	ds_store_b64 v42, v[32:33] offset:27056
; %bb.895:                              ;   in Loop: Header=BB72_3 Depth=1
	s_or_b32 exec_lo, exec_lo, s53
	s_wait_dscnt 0x0
	s_barrier_signal -1
	s_barrier_wait -1
	s_barrier_signal -1
	s_barrier_wait -1
	s_and_saveexec_b32 s53, s98
	s_cbranch_execz .LBB72_897
; %bb.896:                              ;   in Loop: Header=BB72_3 Depth=1
	ds_load_b64 v[32:33], v57 offset:27056
	s_wait_dscnt 0x0
	ds_store_b64 v54, v[32:33] offset:28064
	ds_load_b64 v[32:33], v57 offset:27064
	s_wait_dscnt 0x0
	ds_store_b64 v54, v[32:33] offset:28576
.LBB72_897:                             ;   in Loop: Header=BB72_3 Depth=1
	s_or_b32 exec_lo, exec_lo, s53
	s_wait_dscnt 0x0
	s_barrier_signal -1
	s_barrier_wait -1
	s_and_saveexec_b32 s53, s14
	s_cbranch_execz .LBB72_899
; %bb.898:                              ;   in Loop: Header=BB72_3 Depth=1
	ds_load_b128 v[32:35], v5 offset:28080
	ds_load_b64 v[36:37], v5 offset:28600
	s_wait_dscnt 0x1
	v_dual_mov_b32 v96, v35 :: v_dual_mov_b32 v97, v34
	s_wait_dscnt 0x0
	v_dual_mul_f32 v39, v37, v33 :: v_dual_mul_f32 v38, v36, v33
	s_delay_alu instid0(VALU_DEP_1) | instskip(NEXT) | instid1(VALU_DEP_1)
	v_xor_b32_e32 v40, 0x80000000, v39
	v_dual_fmac_f32 v38, v37, v32 :: v_dual_fmac_f32 v40, v36, v32
	s_delay_alu instid0(VALU_DEP_1) | instskip(NEXT) | instid1(VALU_DEP_1)
	v_pk_mul_f32 v[32:33], v[38:39], v[96:97] op_sel_hi:[0,1]
	v_pk_fma_f32 v[36:37], v[40:41], v[34:35], v[32:33] op_sel_hi:[0,1,1]
	v_pk_fma_f32 v[32:33], v[40:41], v[34:35], v[32:33] neg_lo:[0,0,1] neg_hi:[0,0,1]
	v_add_nc_u32_e64 v34, 0x6800, 0
	s_delay_alu instid0(VALU_DEP_3)
	v_mov_b32_e32 v33, v37
	ds_store_2addr_b64 v34, v[32:33], v[32:33] offset0:183 offset1:246
.LBB72_899:                             ;   in Loop: Header=BB72_3 Depth=1
	s_or_b32 exec_lo, exec_lo, s53
	v_mov_b32_e32 v32, 0
	s_wait_dscnt 0x0
	s_barrier_signal -1
	s_barrier_wait -1
	s_delay_alu instid0(VALU_DEP_1)
	v_mov_b32_e32 v33, v32
	s_and_saveexec_b32 s64, s3
	s_cbranch_execz .LBB72_909
; %bb.900:                              ;   in Loop: Header=BB72_3 Depth=1
	ds_load_b64 v[32:33], v59 offset:25024
	ds_load_b64 v[34:35], v55 offset:24960
	s_wait_dscnt 0x0
	v_dual_mul_f32 v36, v35, v33 :: v_dual_mul_f32 v37, v34, v33
	s_delay_alu instid0(VALU_DEP_1) | instskip(NEXT) | instid1(VALU_DEP_1)
	v_dual_fma_f32 v33, v34, v32, -v36 :: v_dual_fmac_f32 v37, v35, v32
	v_add_f32_e32 v33, 0, v33
	s_delay_alu instid0(VALU_DEP_2)
	v_add_f32_e32 v32, 0, v37
	s_and_saveexec_b32 s53, s18
	s_cbranch_execnz .LBB72_1166
; %bb.901:                              ;   in Loop: Header=BB72_3 Depth=1
	s_or_b32 exec_lo, exec_lo, s53
	s_and_saveexec_b32 s53, s19
	s_cbranch_execnz .LBB72_1167
.LBB72_902:                             ;   in Loop: Header=BB72_3 Depth=1
	s_or_b32 exec_lo, exec_lo, s53
	s_and_saveexec_b32 s53, s20
	s_cbranch_execnz .LBB72_1168
.LBB72_903:                             ;   in Loop: Header=BB72_3 Depth=1
	s_or_b32 exec_lo, exec_lo, s53
	s_and_saveexec_b32 s53, s21
	s_cbranch_execnz .LBB72_1169
.LBB72_904:                             ;   in Loop: Header=BB72_3 Depth=1
	s_or_b32 exec_lo, exec_lo, s53
	s_and_saveexec_b32 s53, s22
	s_cbranch_execnz .LBB72_1170
.LBB72_905:                             ;   in Loop: Header=BB72_3 Depth=1
	s_or_b32 exec_lo, exec_lo, s53
	s_and_saveexec_b32 s53, s2
	s_cbranch_execnz .LBB72_1171
.LBB72_906:                             ;   in Loop: Header=BB72_3 Depth=1
	s_or_b32 exec_lo, exec_lo, s53
	s_and_saveexec_b32 s53, s17
	s_cbranch_execz .LBB72_908
.LBB72_907:                             ;   in Loop: Header=BB72_3 Depth=1
	ds_load_b64 v[34:35], v61 offset:28608
	ds_load_b64 v[36:37], v5 offset:25016
	s_wait_dscnt 0x0
	v_pk_mul_f32 v[38:39], v[36:37], v[34:35] op_sel:[0,1]
	s_delay_alu instid0(VALU_DEP_1) | instskip(SKIP_1) | instid1(VALU_DEP_2)
	v_pk_fma_f32 v[96:97], v[36:37], v[34:35], v[38:39] op_sel:[1,0,0] op_sel_hi:[0,0,1] neg_lo:[0,0,1] neg_hi:[0,0,1]
	v_pk_fma_f32 v[34:35], v[36:37], v[34:35], v[38:39] op_sel:[1,0,0] op_sel_hi:[0,1,1]
	v_mov_b32_e32 v35, v97
	s_delay_alu instid0(VALU_DEP_1)
	v_pk_add_f32 v[32:33], v[32:33], v[34:35]
.LBB72_908:                             ;   in Loop: Header=BB72_3 Depth=1
	s_or_b32 exec_lo, exec_lo, s53
	s_delay_alu instid0(VALU_DEP_1) | instskip(NEXT) | instid1(VALU_DEP_1)
	v_pk_add_f32 v[34:35], v[32:33], 0 neg_lo:[1,1] neg_hi:[1,1]
	v_dual_mov_b32 v32, v35 :: v_dual_mov_b32 v33, v34
.LBB72_909:                             ;   in Loop: Header=BB72_3 Depth=1
	s_or_b32 exec_lo, exec_lo, s64
	s_and_saveexec_b32 s53, s38
	s_cbranch_execz .LBB72_911
; %bb.910:                              ;   in Loop: Header=BB72_3 Depth=1
	ds_load_b64 v[34:35], v5 offset:29120
	v_dual_mov_b32 v36, v33 :: v_dual_mov_b32 v37, v32
	s_wait_dscnt 0x0
	s_delay_alu instid0(VALU_DEP_1) | instskip(NEXT) | instid1(VALU_DEP_1)
	v_dual_mul_f32 v38, v36, v34 :: v_dual_mul_f32 v40, v33, v35
	v_pk_fma_f32 v[36:37], v[36:37], v[34:35], v[38:39] op_sel_hi:[1,1,0]
	s_delay_alu instid0(VALU_DEP_2) | instskip(NEXT) | instid1(VALU_DEP_2)
	v_pk_fma_f32 v[32:33], v[32:33], v[34:35], v[40:41] op_sel_hi:[1,1,0] neg_lo:[0,0,1] neg_hi:[0,0,1]
	v_mov_b32_e32 v33, v37
	ds_store_b64 v58, v[32:33]
.LBB72_911:                             ;   in Loop: Header=BB72_3 Depth=1
	s_or_b32 exec_lo, exec_lo, s53
	s_wait_dscnt 0x0
	s_barrier_signal -1
	s_barrier_wait -1
	s_and_saveexec_b32 s53, s39
	s_cbranch_execz .LBB72_913
; %bb.912:                              ;   in Loop: Header=BB72_3 Depth=1
	ds_load_b64 v[34:35], v56 offset:29120
	ds_load_b64 v[36:37], v58
	s_wait_dscnt 0x0
	v_dual_mul_f32 v38, v37, v35 :: v_dual_mul_f32 v39, v36, v35
	s_delay_alu instid0(VALU_DEP_1) | instskip(NEXT) | instid1(VALU_DEP_1)
	v_dual_fma_f32 v38, v36, v34, -v38 :: v_dual_fmac_f32 v39, v37, v34
	v_pk_add_f32 v[32:33], v[32:33], v[38:39]
.LBB72_913:                             ;   in Loop: Header=BB72_3 Depth=1
	s_or_b32 exec_lo, exec_lo, s53
	s_barrier_signal -1
	s_barrier_wait -1
	s_and_saveexec_b32 s53, s40
	s_cbranch_execz .LBB72_915
; %bb.914:                              ;   in Loop: Header=BB72_3 Depth=1
	ds_load_b64 v[34:35], v5 offset:29640
	s_wait_dscnt 0x0
	v_pk_mul_f32 v[36:37], v[32:33], v[34:35] op_sel:[1,1] op_sel_hi:[1,0]
	s_delay_alu instid0(VALU_DEP_1) | instskip(SKIP_1) | instid1(VALU_DEP_2)
	v_pk_fma_f32 v[38:39], v[32:33], v[34:35], v[36:37] op_sel_hi:[0,1,1]
	v_pk_fma_f32 v[32:33], v[32:33], v[34:35], v[36:37] op_sel_hi:[0,1,1] neg_lo:[0,0,1] neg_hi:[0,0,1]
	v_mov_b32_e32 v33, v39
	ds_store_b64 v58, v[32:33]
.LBB72_915:                             ;   in Loop: Header=BB72_3 Depth=1
	s_or_b32 exec_lo, exec_lo, s53
	s_wait_dscnt 0x0
	s_barrier_signal -1
	s_barrier_wait -1
	s_and_saveexec_b32 s53, s41
	s_cbranch_execz .LBB72_917
; %bb.916:                              ;   in Loop: Header=BB72_3 Depth=1
	ds_load_b64 v[34:35], v56 offset:29632
	ds_load_b64 v[36:37], v58
	s_wait_dscnt 0x0
	v_pk_mul_f32 v[38:39], v[36:37], v[34:35] op_sel:[1,1] op_sel_hi:[0,1]
	s_delay_alu instid0(VALU_DEP_1) | instskip(SKIP_1) | instid1(VALU_DEP_2)
	v_pk_fma_f32 v[96:97], v[36:37], v[34:35], v[38:39] op_sel_hi:[1,0,1]
	v_pk_fma_f32 v[34:35], v[36:37], v[34:35], v[38:39] op_sel_hi:[1,0,1] neg_lo:[0,0,1] neg_hi:[0,0,1]
	v_mov_b32_e32 v35, v97
	s_delay_alu instid0(VALU_DEP_1)
	v_pk_add_f32 v[32:33], v[32:33], v[34:35]
.LBB72_917:                             ;   in Loop: Header=BB72_3 Depth=1
	s_or_b32 exec_lo, exec_lo, s53
	s_barrier_signal -1
	s_barrier_wait -1
	s_and_saveexec_b32 s53, s42
	s_cbranch_execz .LBB72_919
; %bb.918:                              ;   in Loop: Header=BB72_3 Depth=1
	ds_load_b64 v[34:35], v5 offset:30160
	s_wait_dscnt 0x0
	v_pk_mul_f32 v[36:37], v[32:33], v[34:35] op_sel:[1,1] op_sel_hi:[1,0]
	s_delay_alu instid0(VALU_DEP_1) | instskip(SKIP_1) | instid1(VALU_DEP_2)
	v_pk_fma_f32 v[38:39], v[32:33], v[34:35], v[36:37] op_sel_hi:[0,1,1]
	v_pk_fma_f32 v[32:33], v[32:33], v[34:35], v[36:37] op_sel_hi:[0,1,1] neg_lo:[0,0,1] neg_hi:[0,0,1]
	v_mov_b32_e32 v33, v39
	ds_store_b64 v58, v[32:33]
.LBB72_919:                             ;   in Loop: Header=BB72_3 Depth=1
	s_or_b32 exec_lo, exec_lo, s53
	s_wait_dscnt 0x0
	s_barrier_signal -1
	s_barrier_wait -1
	s_and_saveexec_b32 s53, s43
	s_cbranch_execz .LBB72_921
; %bb.920:                              ;   in Loop: Header=BB72_3 Depth=1
	ds_load_b64 v[34:35], v56 offset:30144
	ds_load_b64 v[36:37], v58
	s_wait_dscnt 0x0
	v_pk_mul_f32 v[38:39], v[36:37], v[34:35] op_sel:[1,1] op_sel_hi:[0,1]
	s_delay_alu instid0(VALU_DEP_1) | instskip(SKIP_1) | instid1(VALU_DEP_2)
	v_pk_fma_f32 v[96:97], v[36:37], v[34:35], v[38:39] op_sel_hi:[1,0,1]
	v_pk_fma_f32 v[34:35], v[36:37], v[34:35], v[38:39] op_sel_hi:[1,0,1] neg_lo:[0,0,1] neg_hi:[0,0,1]
	v_mov_b32_e32 v35, v97
	s_delay_alu instid0(VALU_DEP_1)
	v_pk_add_f32 v[32:33], v[32:33], v[34:35]
.LBB72_921:                             ;   in Loop: Header=BB72_3 Depth=1
	;; [unrolled: 33-line block ×3, first 2 shown]
	s_or_b32 exec_lo, exec_lo, s53
	s_barrier_signal -1
	s_barrier_wait -1
	s_and_saveexec_b32 s53, s46
	s_cbranch_execz .LBB72_927
; %bb.926:                              ;   in Loop: Header=BB72_3 Depth=1
	ds_load_b64 v[34:35], v5 offset:31200
	s_wait_dscnt 0x0
	v_dual_mul_f32 v36, v32, v35 :: v_dual_mul_f32 v38, v33, v35
	s_delay_alu instid0(VALU_DEP_1) | instskip(NEXT) | instid1(VALU_DEP_2)
	v_pk_fma_f32 v[36:37], v[32:33], v[34:35], v[36:37] op_sel:[0,1,0] op_sel_hi:[1,0,0]
	v_pk_fma_f32 v[34:35], v[32:33], v[34:35], v[38:39] op_sel_hi:[1,1,0] neg_lo:[0,0,1] neg_hi:[0,0,1]
	s_delay_alu instid0(VALU_DEP_2) | instskip(NEXT) | instid1(VALU_DEP_1)
	v_mov_b32_e32 v35, v37
	v_mov_b64_e32 v[32:33], v[34:35]
	ds_store_b64 v58, v[34:35]
.LBB72_927:                             ;   in Loop: Header=BB72_3 Depth=1
	s_or_b32 exec_lo, exec_lo, s53
	s_wait_dscnt 0x0
	s_barrier_signal -1
	s_barrier_wait -1
	s_and_saveexec_b32 s53, s47
	s_cbranch_execz .LBB72_929
; %bb.928:                              ;   in Loop: Header=BB72_3 Depth=1
	ds_load_b64 v[34:35], v56 offset:31168
	ds_load_b64 v[36:37], v58
	s_wait_dscnt 0x0
	v_dual_mul_f32 v38, v37, v35 :: v_dual_mul_f32 v39, v36, v35
	s_delay_alu instid0(VALU_DEP_1) | instskip(NEXT) | instid1(VALU_DEP_1)
	v_dual_fma_f32 v38, v36, v34, -v38 :: v_dual_fmac_f32 v39, v37, v34
	v_pk_add_f32 v[32:33], v[32:33], v[38:39]
.LBB72_929:                             ;   in Loop: Header=BB72_3 Depth=1
	s_or_b32 exec_lo, exec_lo, s53
	s_barrier_signal -1
	s_barrier_wait -1
	s_and_saveexec_b32 s53, s48
	s_cbranch_execz .LBB72_931
; %bb.930:                              ;   in Loop: Header=BB72_3 Depth=1
	ds_load_b64 v[34:35], v5 offset:31720
	s_wait_dscnt 0x0
	v_pk_mul_f32 v[36:37], v[32:33], v[34:35] op_sel:[1,1] op_sel_hi:[1,0]
	s_delay_alu instid0(VALU_DEP_1) | instskip(SKIP_1) | instid1(VALU_DEP_2)
	v_pk_fma_f32 v[38:39], v[32:33], v[34:35], v[36:37] op_sel_hi:[0,1,1]
	v_pk_fma_f32 v[34:35], v[32:33], v[34:35], v[36:37] neg_lo:[0,0,1] neg_hi:[0,0,1]
	v_mov_b32_e32 v35, v39
	s_delay_alu instid0(VALU_DEP_1)
	v_mov_b64_e32 v[32:33], v[34:35]
	ds_store_b64 v58, v[34:35]
.LBB72_931:                             ;   in Loop: Header=BB72_3 Depth=1
	s_or_b32 exec_lo, exec_lo, s53
	s_wait_dscnt 0x0
	s_barrier_signal -1
	s_barrier_wait -1
	s_and_saveexec_b32 s53, s49
	s_cbranch_execz .LBB72_933
; %bb.932:                              ;   in Loop: Header=BB72_3 Depth=1
	ds_load_b64 v[34:35], v56 offset:31680
	ds_load_b64 v[36:37], v58
	s_wait_dscnt 0x0
	v_pk_mul_f32 v[38:39], v[36:37], v[34:35] op_sel:[1,1] op_sel_hi:[0,1]
	s_delay_alu instid0(VALU_DEP_1) | instskip(SKIP_1) | instid1(VALU_DEP_2)
	v_pk_fma_f32 v[96:97], v[36:37], v[34:35], v[38:39] op_sel_hi:[1,0,1]
	v_pk_fma_f32 v[34:35], v[36:37], v[34:35], v[38:39] neg_lo:[0,0,1] neg_hi:[0,0,1]
	v_mov_b32_e32 v35, v97
	s_delay_alu instid0(VALU_DEP_1)
	v_pk_add_f32 v[32:33], v[32:33], v[34:35]
.LBB72_933:                             ;   in Loop: Header=BB72_3 Depth=1
	s_or_b32 exec_lo, exec_lo, s53
	s_barrier_signal -1
	s_barrier_wait -1
	s_and_saveexec_b32 s53, s50
	s_cbranch_execz .LBB72_935
; %bb.934:                              ;   in Loop: Header=BB72_3 Depth=1
	ds_load_b64 v[34:35], v5 offset:32240
	s_wait_dscnt 0x0
	v_pk_mul_f32 v[36:37], v[32:33], v[34:35] op_sel:[1,1] op_sel_hi:[1,0]
	s_delay_alu instid0(VALU_DEP_1) | instskip(SKIP_1) | instid1(VALU_DEP_2)
	v_pk_fma_f32 v[38:39], v[32:33], v[34:35], v[36:37] op_sel_hi:[0,1,1]
	v_pk_fma_f32 v[34:35], v[32:33], v[34:35], v[36:37] neg_lo:[0,0,1] neg_hi:[0,0,1]
	v_mov_b32_e32 v35, v39
	s_delay_alu instid0(VALU_DEP_1)
	v_mov_b64_e32 v[32:33], v[34:35]
	ds_store_b64 v58, v[34:35]
.LBB72_935:                             ;   in Loop: Header=BB72_3 Depth=1
	s_or_b32 exec_lo, exec_lo, s53
	s_wait_dscnt 0x0
	s_barrier_signal -1
	s_barrier_wait -1
	s_and_saveexec_b32 s53, s51
	s_cbranch_execz .LBB72_937
; %bb.936:                              ;   in Loop: Header=BB72_3 Depth=1
	ds_load_b64 v[34:35], v5 offset:32248
	ds_load_b64 v[36:37], v58
	s_wait_dscnt 0x0
	v_pk_mul_f32 v[38:39], v[36:37], v[34:35] op_sel:[1,1] op_sel_hi:[0,1]
	s_delay_alu instid0(VALU_DEP_1) | instskip(SKIP_1) | instid1(VALU_DEP_2)
	v_pk_fma_f32 v[96:97], v[36:37], v[34:35], v[38:39] op_sel_hi:[1,0,1]
	v_pk_fma_f32 v[34:35], v[36:37], v[34:35], v[38:39] neg_lo:[0,0,1] neg_hi:[0,0,1]
	v_mov_b32_e32 v35, v97
	s_delay_alu instid0(VALU_DEP_1)
	v_pk_add_f32 v[32:33], v[32:33], v[34:35]
.LBB72_937:                             ;   in Loop: Header=BB72_3 Depth=1
	s_or_b32 exec_lo, exec_lo, s53
	s_barrier_signal -1
	s_barrier_wait -1
	s_and_saveexec_b32 s53, s51
	s_cbranch_execz .LBB72_939
; %bb.938:                              ;   in Loop: Header=BB72_3 Depth=1
	ds_load_b64 v[34:35], v5 offset:32760
	s_wait_dscnt 0x0
	v_pk_mul_f32 v[36:37], v[32:33], v[34:35] op_sel:[1,1] op_sel_hi:[1,0]
	s_delay_alu instid0(VALU_DEP_1) | instskip(SKIP_1) | instid1(VALU_DEP_2)
	v_pk_fma_f32 v[38:39], v[32:33], v[34:35], v[36:37] op_sel_hi:[0,1,1]
	v_pk_fma_f32 v[34:35], v[32:33], v[34:35], v[36:37] neg_lo:[0,0,1] neg_hi:[0,0,1]
	v_mov_b32_e32 v35, v39
	s_delay_alu instid0(VALU_DEP_1)
	v_mov_b64_e32 v[32:33], v[34:35]
	ds_store_b64 v58, v[34:35]
.LBB72_939:                             ;   in Loop: Header=BB72_3 Depth=1
	s_or_b32 exec_lo, exec_lo, s53
	s_wait_dscnt 0x0
	s_barrier_signal -1
	s_barrier_wait -1
	s_barrier_signal -1
	s_barrier_wait -1
	s_and_saveexec_b32 s53, s3
; %bb.940:                              ;   in Loop: Header=BB72_3 Depth=1
	v_pk_add_f32 v[32:33], v[32:33], 0 neg_lo:[1,1] neg_hi:[1,1]
	ds_store_b64 v59, v[32:33] offset:25024
; %bb.941:                              ;   in Loop: Header=BB72_3 Depth=1
	s_or_b32 exec_lo, exec_lo, s53
	s_wait_dscnt 0x0
	s_barrier_signal -1
	s_barrier_wait -1
	s_barrier_signal -1
	s_barrier_wait -1
	s_and_saveexec_b32 s53, s52
	s_cbranch_execz .LBB72_943
; %bb.942:                              ;   in Loop: Header=BB72_3 Depth=1
	ds_load_b64 v[32:33], v62 offset:25024
	s_wait_dscnt 0x0
	ds_store_b64 v63, v[32:33] offset:29056
	ds_load_b64 v[32:33], v62 offset:25032
	s_wait_dscnt 0x0
	ds_store_b64 v63, v[32:33] offset:29568
	ds_load_b64 v[32:33], v62 offset:25040
	s_wait_dscnt 0x0
	ds_store_b64 v63, v[32:33] offset:30080
	ds_load_b64 v[32:33], v62 offset:25048
	s_wait_dscnt 0x0
	ds_store_b64 v63, v[32:33] offset:30592
	ds_load_b64 v[32:33], v62 offset:25056
	s_wait_dscnt 0x0
	ds_store_b64 v63, v[32:33] offset:31104
	ds_load_b64 v[32:33], v62 offset:25064
	s_wait_dscnt 0x0
	ds_store_b64 v63, v[32:33] offset:31616
	ds_load_b64 v[32:33], v62 offset:25072
	s_wait_dscnt 0x0
	ds_store_b64 v63, v[32:33] offset:32128
	ds_load_b64 v[32:33], v62 offset:25080
	s_wait_dscnt 0x0
	ds_store_b64 v63, v[32:33] offset:32640
.LBB72_943:                             ;   in Loop: Header=BB72_3 Depth=1
	s_or_b32 exec_lo, exec_lo, s53
	s_wait_dscnt 0x0
	s_barrier_signal -1
	s_barrier_wait -1
	s_and_saveexec_b32 s53, s14
	s_cbranch_execz .LBB72_945
; %bb.944:                              ;   in Loop: Header=BB72_3 Depth=1
	ds_load_b128 v[32:35], v5 offset:29120
	ds_load_b64 v[36:37], v5 offset:29640
	s_wait_dscnt 0x1
	v_dual_mov_b32 v96, v35 :: v_dual_mov_b32 v97, v34
	s_wait_dscnt 0x0
	v_dual_mul_f32 v39, v37, v33 :: v_dual_mul_f32 v38, v36, v33
	s_delay_alu instid0(VALU_DEP_1) | instskip(NEXT) | instid1(VALU_DEP_1)
	v_xor_b32_e32 v40, 0x80000000, v39
	v_dual_fmac_f32 v38, v37, v32 :: v_dual_fmac_f32 v40, v36, v32
	s_delay_alu instid0(VALU_DEP_1) | instskip(NEXT) | instid1(VALU_DEP_1)
	v_pk_mul_f32 v[32:33], v[38:39], v[96:97] op_sel_hi:[0,1]
	v_pk_fma_f32 v[36:37], v[40:41], v[34:35], v[32:33] op_sel_hi:[0,1,1]
	v_pk_fma_f32 v[32:33], v[40:41], v[34:35], v[32:33] neg_lo:[0,0,1] neg_hi:[0,0,1]
	v_add_nc_u32_e64 v34, 0x7000, 0
	s_delay_alu instid0(VALU_DEP_3)
	v_mov_b32_e32 v33, v37
	ds_store_2addr_b64 v34, v[32:33], v[32:33] offset0:57 offset1:120
.LBB72_945:                             ;   in Loop: Header=BB72_3 Depth=1
	s_or_b32 exec_lo, exec_lo, s53
	v_mov_b32_e32 v33, 0
	s_wait_dscnt 0x0
	s_barrier_signal -1
	s_barrier_wait -1
	s_delay_alu instid0(VALU_DEP_1)
	v_mov_b32_e32 v32, v33
	s_and_saveexec_b32 s53, s0
	s_cbranch_execz .LBB72_949
; %bb.946:                              ;   in Loop: Header=BB72_3 Depth=1
	ds_load_b64 v[32:33], v42 offset:29136
	ds_load_b64 v[34:35], v43 offset:29120
	s_wait_dscnt 0x0
	v_dual_mul_f32 v36, v35, v33 :: v_dual_mul_f32 v37, v34, v33
	s_delay_alu instid0(VALU_DEP_1) | instskip(NEXT) | instid1(VALU_DEP_1)
	v_dual_fma_f32 v36, v34, v32, -v36 :: v_dual_fmac_f32 v37, v35, v32
	v_pk_add_f32 v[32:33], v[36:37], 0 op_sel_hi:[1,0]
	s_and_saveexec_b32 s54, s15
	s_cbranch_execz .LBB72_948
; %bb.947:                              ;   in Loop: Header=BB72_3 Depth=1
	ds_load_b64 v[34:35], v63 offset:29648
	ds_load_b64 v[36:37], v5 offset:29128
	s_wait_dscnt 0x0
	v_pk_mul_f32 v[38:39], v[36:37], v[34:35] op_sel:[1,1] op_sel_hi:[0,1]
	s_delay_alu instid0(VALU_DEP_1) | instskip(SKIP_1) | instid1(VALU_DEP_2)
	v_pk_fma_f32 v[96:97], v[36:37], v[34:35], v[38:39] op_sel_hi:[1,0,1]
	v_pk_fma_f32 v[34:35], v[36:37], v[34:35], v[38:39] neg_lo:[0,0,1] neg_hi:[0,0,1]
	v_mov_b32_e32 v35, v97
	s_delay_alu instid0(VALU_DEP_1)
	v_pk_add_f32 v[32:33], v[32:33], v[34:35]
.LBB72_948:                             ;   in Loop: Header=BB72_3 Depth=1
	s_or_b32 exec_lo, exec_lo, s54
	s_delay_alu instid0(VALU_DEP_1)
	v_pk_add_f32 v[32:33], v[32:33], 0 neg_lo:[1,1] neg_hi:[1,1]
.LBB72_949:                             ;   in Loop: Header=BB72_3 Depth=1
	s_or_b32 exec_lo, exec_lo, s53
	s_and_saveexec_b32 s53, s96
	s_cbranch_execz .LBB72_951
; %bb.950:                              ;   in Loop: Header=BB72_3 Depth=1
	ds_load_b64 v[34:35], v5 offset:30160
	s_wait_dscnt 0x0
	v_pk_mul_f32 v[36:37], v[32:33], v[34:35] op_sel:[1,1] op_sel_hi:[1,0]
	s_delay_alu instid0(VALU_DEP_1) | instskip(SKIP_1) | instid1(VALU_DEP_2)
	v_pk_fma_f32 v[38:39], v[32:33], v[34:35], v[36:37] op_sel_hi:[0,1,1]
	v_pk_fma_f32 v[34:35], v[32:33], v[34:35], v[36:37] neg_lo:[0,0,1] neg_hi:[0,0,1]
	v_mov_b32_e32 v35, v39
	s_delay_alu instid0(VALU_DEP_1)
	v_mov_b64_e32 v[32:33], v[34:35]
	ds_store_b64 v3, v[34:35]
.LBB72_951:                             ;   in Loop: Header=BB72_3 Depth=1
	s_or_b32 exec_lo, exec_lo, s53
	s_wait_dscnt 0x0
	s_barrier_signal -1
	s_barrier_wait -1
	s_and_saveexec_b32 s53, s97
	s_cbranch_execz .LBB72_953
; %bb.952:                              ;   in Loop: Header=BB72_3 Depth=1
	ds_load_b64 v[34:35], v5 offset:30168
	ds_load_b64 v[36:37], v3
	s_wait_dscnt 0x0
	v_pk_mul_f32 v[38:39], v[36:37], v[34:35] op_sel:[1,1] op_sel_hi:[0,1]
	s_delay_alu instid0(VALU_DEP_1) | instskip(SKIP_1) | instid1(VALU_DEP_2)
	v_pk_fma_f32 v[96:97], v[36:37], v[34:35], v[38:39] op_sel_hi:[1,0,1]
	v_pk_fma_f32 v[34:35], v[36:37], v[34:35], v[38:39] neg_lo:[0,0,1] neg_hi:[0,0,1]
	v_mov_b32_e32 v35, v97
	s_delay_alu instid0(VALU_DEP_1)
	v_pk_add_f32 v[32:33], v[32:33], v[34:35]
.LBB72_953:                             ;   in Loop: Header=BB72_3 Depth=1
	s_or_b32 exec_lo, exec_lo, s53
	s_barrier_signal -1
	s_barrier_wait -1
	s_and_saveexec_b32 s53, s97
	s_cbranch_execz .LBB72_955
; %bb.954:                              ;   in Loop: Header=BB72_3 Depth=1
	ds_load_b64 v[34:35], v5 offset:30680
	s_wait_dscnt 0x0
	v_pk_mul_f32 v[36:37], v[32:33], v[34:35] op_sel:[1,1] op_sel_hi:[1,0]
	s_delay_alu instid0(VALU_DEP_1) | instskip(SKIP_1) | instid1(VALU_DEP_2)
	v_pk_fma_f32 v[38:39], v[32:33], v[34:35], v[36:37] op_sel_hi:[0,1,1]
	v_pk_fma_f32 v[34:35], v[32:33], v[34:35], v[36:37] neg_lo:[0,0,1] neg_hi:[0,0,1]
	v_mov_b32_e32 v35, v39
	s_delay_alu instid0(VALU_DEP_1)
	v_mov_b64_e32 v[32:33], v[34:35]
	ds_store_b64 v3, v[34:35]
.LBB72_955:                             ;   in Loop: Header=BB72_3 Depth=1
	s_or_b32 exec_lo, exec_lo, s53
	s_wait_dscnt 0x0
	s_barrier_signal -1
	s_barrier_wait -1
	s_barrier_signal -1
	s_barrier_wait -1
	s_and_saveexec_b32 s53, s0
; %bb.956:                              ;   in Loop: Header=BB72_3 Depth=1
	v_pk_add_f32 v[32:33], v[32:33], 0 neg_lo:[1,1] neg_hi:[1,1]
	ds_store_b64 v42, v[32:33] offset:29136
; %bb.957:                              ;   in Loop: Header=BB72_3 Depth=1
	s_or_b32 exec_lo, exec_lo, s53
	s_wait_dscnt 0x0
	s_barrier_signal -1
	s_barrier_wait -1
	s_barrier_signal -1
	s_barrier_wait -1
	s_and_saveexec_b32 s53, s98
	s_cbranch_execz .LBB72_959
; %bb.958:                              ;   in Loop: Header=BB72_3 Depth=1
	ds_load_b64 v[32:33], v65 offset:29136
	s_wait_dscnt 0x0
	ds_store_b64 v63, v[32:33] offset:30144
	ds_load_b64 v[32:33], v65 offset:29144
	s_wait_dscnt 0x0
	ds_store_b64 v63, v[32:33] offset:30656
.LBB72_959:                             ;   in Loop: Header=BB72_3 Depth=1
	s_or_b32 exec_lo, exec_lo, s53
	s_wait_dscnt 0x0
	s_barrier_signal -1
	s_barrier_wait -1
	s_and_saveexec_b32 s53, s14
	s_cbranch_execz .LBB72_961
; %bb.960:                              ;   in Loop: Header=BB72_3 Depth=1
	ds_load_b128 v[32:35], v5 offset:30160
	ds_load_b64 v[36:37], v5 offset:30680
	s_wait_dscnt 0x1
	v_dual_mov_b32 v96, v35 :: v_dual_mov_b32 v97, v34
	s_wait_dscnt 0x0
	v_dual_mul_f32 v39, v37, v33 :: v_dual_mul_f32 v38, v36, v33
	s_delay_alu instid0(VALU_DEP_1) | instskip(NEXT) | instid1(VALU_DEP_1)
	v_xor_b32_e32 v40, 0x80000000, v39
	v_dual_fmac_f32 v38, v37, v32 :: v_dual_fmac_f32 v40, v36, v32
	s_delay_alu instid0(VALU_DEP_1) | instskip(NEXT) | instid1(VALU_DEP_1)
	v_pk_mul_f32 v[32:33], v[38:39], v[96:97] op_sel_hi:[0,1]
	v_pk_fma_f32 v[36:37], v[40:41], v[34:35], v[32:33] op_sel_hi:[0,1,1]
	v_pk_fma_f32 v[32:33], v[40:41], v[34:35], v[32:33] neg_lo:[0,0,1] neg_hi:[0,0,1]
	v_add_nc_u32_e64 v34, 0x7000, 0
	s_delay_alu instid0(VALU_DEP_3)
	v_mov_b32_e32 v33, v37
	ds_store_2addr_b64 v34, v[32:33], v[32:33] offset0:187 offset1:250
.LBB72_961:                             ;   in Loop: Header=BB72_3 Depth=1
	s_or_b32 exec_lo, exec_lo, s53
	v_mov_b32_e32 v32, 0
	s_wait_dscnt 0x0
	s_barrier_signal -1
	s_barrier_wait -1
	s_delay_alu instid0(VALU_DEP_1)
	v_mov_b32_e32 v33, v32
	s_and_saveexec_b32 s64, s2
	s_cbranch_execz .LBB72_967
; %bb.962:                              ;   in Loop: Header=BB72_3 Depth=1
	ds_load_b64 v[32:33], v49 offset:29152
	ds_load_b64 v[34:35], v45 offset:29120
	s_wait_dscnt 0x0
	v_pk_mul_f32 v[36:37], v[34:35], v[32:33] op_sel:[0,1]
	s_delay_alu instid0(VALU_DEP_1) | instskip(SKIP_1) | instid1(VALU_DEP_2)
	v_pk_fma_f32 v[38:39], v[34:35], v[32:33], v[36:37] op_sel:[1,0,0] op_sel_hi:[0,0,1] neg_lo:[0,0,1] neg_hi:[0,0,1]
	v_pk_fma_f32 v[32:33], v[34:35], v[32:33], v[36:37] op_sel:[1,0,0] op_sel_hi:[0,1,1]
	v_mov_b32_e32 v33, v39
	s_delay_alu instid0(VALU_DEP_1)
	v_pk_add_f32 v[32:33], v[32:33], 0 op_sel_hi:[1,0]
	s_and_saveexec_b32 s53, s16
	s_cbranch_execnz .LBB72_1172
; %bb.963:                              ;   in Loop: Header=BB72_3 Depth=1
	s_or_b32 exec_lo, exec_lo, s53
	s_and_saveexec_b32 s53, s17
	s_cbranch_execnz .LBB72_1173
.LBB72_964:                             ;   in Loop: Header=BB72_3 Depth=1
	s_or_b32 exec_lo, exec_lo, s53
	s_and_saveexec_b32 s53, s0
	s_cbranch_execz .LBB72_966
.LBB72_965:                             ;   in Loop: Header=BB72_3 Depth=1
	ds_load_b64 v[34:35], v73 offset:30688
	ds_load_b64 v[36:37], v5 offset:29144
	s_wait_dscnt 0x0
	v_pk_mul_f32 v[38:39], v[36:37], v[34:35] op_sel:[0,1]
	s_delay_alu instid0(VALU_DEP_1) | instskip(SKIP_1) | instid1(VALU_DEP_2)
	v_pk_fma_f32 v[96:97], v[36:37], v[34:35], v[38:39] op_sel:[1,0,0] op_sel_hi:[0,0,1] neg_lo:[0,0,1] neg_hi:[0,0,1]
	v_pk_fma_f32 v[34:35], v[36:37], v[34:35], v[38:39] op_sel:[1,0,0] op_sel_hi:[0,1,1]
	v_mov_b32_e32 v35, v97
	s_delay_alu instid0(VALU_DEP_1)
	v_pk_add_f32 v[32:33], v[32:33], v[34:35]
.LBB72_966:                             ;   in Loop: Header=BB72_3 Depth=1
	s_or_b32 exec_lo, exec_lo, s53
	s_delay_alu instid0(VALU_DEP_1) | instskip(NEXT) | instid1(VALU_DEP_1)
	v_pk_add_f32 v[34:35], v[32:33], 0 neg_lo:[1,1] neg_hi:[1,1]
	v_dual_mov_b32 v32, v35 :: v_dual_mov_b32 v33, v34
.LBB72_967:                             ;   in Loop: Header=BB72_3 Depth=1
	s_or_b32 exec_lo, exec_lo, s64
	s_and_saveexec_b32 s53, s99
	s_cbranch_execz .LBB72_969
; %bb.968:                              ;   in Loop: Header=BB72_3 Depth=1
	ds_load_b64 v[34:35], v5 offset:31200
	v_dual_mov_b32 v36, v33 :: v_dual_mov_b32 v37, v32
	s_wait_dscnt 0x0
	s_delay_alu instid0(VALU_DEP_1) | instskip(NEXT) | instid1(VALU_DEP_1)
	v_dual_mul_f32 v38, v36, v34 :: v_dual_mul_f32 v40, v33, v35
	v_pk_fma_f32 v[36:37], v[36:37], v[34:35], v[38:39] op_sel_hi:[1,1,0]
	s_delay_alu instid0(VALU_DEP_2) | instskip(NEXT) | instid1(VALU_DEP_2)
	v_pk_fma_f32 v[32:33], v[32:33], v[34:35], v[40:41] op_sel_hi:[1,1,0] neg_lo:[0,0,1] neg_hi:[0,0,1]
	v_mov_b32_e32 v33, v37
	ds_store_b64 v48, v[32:33]
.LBB72_969:                             ;   in Loop: Header=BB72_3 Depth=1
	s_or_b32 exec_lo, exec_lo, s53
	s_wait_dscnt 0x0
	s_barrier_signal -1
	s_barrier_wait -1
	s_and_saveexec_b32 s53, s100
	s_cbranch_execz .LBB72_971
; %bb.970:                              ;   in Loop: Header=BB72_3 Depth=1
	ds_load_b64 v[34:35], v46 offset:31200
	ds_load_b64 v[36:37], v48
	s_wait_dscnt 0x0
	v_dual_mul_f32 v38, v37, v35 :: v_dual_mul_f32 v39, v36, v35
	s_delay_alu instid0(VALU_DEP_1) | instskip(NEXT) | instid1(VALU_DEP_1)
	v_dual_fma_f32 v38, v36, v34, -v38 :: v_dual_fmac_f32 v39, v37, v34
	v_pk_add_f32 v[32:33], v[32:33], v[38:39]
.LBB72_971:                             ;   in Loop: Header=BB72_3 Depth=1
	s_or_b32 exec_lo, exec_lo, s53
	s_barrier_signal -1
	s_barrier_wait -1
	s_and_saveexec_b32 s53, s101
	s_cbranch_execz .LBB72_973
; %bb.972:                              ;   in Loop: Header=BB72_3 Depth=1
	ds_load_b64 v[34:35], v5 offset:31720
	s_wait_dscnt 0x0
	v_pk_mul_f32 v[36:37], v[32:33], v[34:35] op_sel:[1,1] op_sel_hi:[1,0]
	s_delay_alu instid0(VALU_DEP_1) | instskip(SKIP_1) | instid1(VALU_DEP_2)
	v_pk_fma_f32 v[38:39], v[32:33], v[34:35], v[36:37] op_sel_hi:[0,1,1]
	v_pk_fma_f32 v[34:35], v[32:33], v[34:35], v[36:37] neg_lo:[0,0,1] neg_hi:[0,0,1]
	v_mov_b32_e32 v35, v39
	s_delay_alu instid0(VALU_DEP_1)
	v_mov_b64_e32 v[32:33], v[34:35]
	ds_store_b64 v48, v[34:35]
.LBB72_973:                             ;   in Loop: Header=BB72_3 Depth=1
	s_or_b32 exec_lo, exec_lo, s53
	s_wait_dscnt 0x0
	s_barrier_signal -1
	s_barrier_wait -1
	s_and_saveexec_b32 s53, s102
	s_cbranch_execz .LBB72_975
; %bb.974:                              ;   in Loop: Header=BB72_3 Depth=1
	ds_load_b64 v[34:35], v46 offset:31712
	ds_load_b64 v[36:37], v48
	s_wait_dscnt 0x0
	v_pk_mul_f32 v[38:39], v[36:37], v[34:35] op_sel:[1,1] op_sel_hi:[0,1]
	s_delay_alu instid0(VALU_DEP_1) | instskip(SKIP_1) | instid1(VALU_DEP_2)
	v_pk_fma_f32 v[96:97], v[36:37], v[34:35], v[38:39] op_sel_hi:[1,0,1]
	v_pk_fma_f32 v[34:35], v[36:37], v[34:35], v[38:39] neg_lo:[0,0,1] neg_hi:[0,0,1]
	v_mov_b32_e32 v35, v97
	s_delay_alu instid0(VALU_DEP_1)
	v_pk_add_f32 v[32:33], v[32:33], v[34:35]
.LBB72_975:                             ;   in Loop: Header=BB72_3 Depth=1
	s_or_b32 exec_lo, exec_lo, s53
	s_barrier_signal -1
	s_barrier_wait -1
	s_and_saveexec_b32 s53, s103
	s_cbranch_execz .LBB72_977
; %bb.976:                              ;   in Loop: Header=BB72_3 Depth=1
	ds_load_b64 v[34:35], v5 offset:32240
	s_wait_dscnt 0x0
	v_pk_mul_f32 v[36:37], v[32:33], v[34:35] op_sel:[1,1] op_sel_hi:[1,0]
	s_delay_alu instid0(VALU_DEP_1) | instskip(SKIP_1) | instid1(VALU_DEP_2)
	v_pk_fma_f32 v[38:39], v[32:33], v[34:35], v[36:37] op_sel_hi:[0,1,1]
	v_pk_fma_f32 v[34:35], v[32:33], v[34:35], v[36:37] neg_lo:[0,0,1] neg_hi:[0,0,1]
	v_mov_b32_e32 v35, v39
	s_delay_alu instid0(VALU_DEP_1)
	v_mov_b64_e32 v[32:33], v[34:35]
	ds_store_b64 v48, v[34:35]
.LBB72_977:                             ;   in Loop: Header=BB72_3 Depth=1
	s_or_b32 exec_lo, exec_lo, s53
	s_wait_dscnt 0x0
	s_barrier_signal -1
	s_barrier_wait -1
	s_and_saveexec_b32 s53, s104
	s_cbranch_execz .LBB72_979
; %bb.978:                              ;   in Loop: Header=BB72_3 Depth=1
	ds_load_b64 v[34:35], v5 offset:32248
	ds_load_b64 v[36:37], v48
	s_wait_dscnt 0x0
	v_pk_mul_f32 v[38:39], v[36:37], v[34:35] op_sel:[1,1] op_sel_hi:[0,1]
	s_delay_alu instid0(VALU_DEP_1) | instskip(SKIP_1) | instid1(VALU_DEP_2)
	v_pk_fma_f32 v[96:97], v[36:37], v[34:35], v[38:39] op_sel_hi:[1,0,1]
	v_pk_fma_f32 v[34:35], v[36:37], v[34:35], v[38:39] neg_lo:[0,0,1] neg_hi:[0,0,1]
	v_mov_b32_e32 v35, v97
	s_delay_alu instid0(VALU_DEP_1)
	v_pk_add_f32 v[32:33], v[32:33], v[34:35]
.LBB72_979:                             ;   in Loop: Header=BB72_3 Depth=1
	s_or_b32 exec_lo, exec_lo, s53
	s_barrier_signal -1
	s_barrier_wait -1
	s_and_saveexec_b32 s53, s104
	s_cbranch_execz .LBB72_981
; %bb.980:                              ;   in Loop: Header=BB72_3 Depth=1
	ds_load_b64 v[34:35], v5 offset:32760
	s_wait_dscnt 0x0
	v_pk_mul_f32 v[36:37], v[32:33], v[34:35] op_sel:[1,1] op_sel_hi:[1,0]
	s_delay_alu instid0(VALU_DEP_1) | instskip(SKIP_1) | instid1(VALU_DEP_2)
	v_pk_fma_f32 v[38:39], v[32:33], v[34:35], v[36:37] op_sel_hi:[0,1,1]
	v_pk_fma_f32 v[34:35], v[32:33], v[34:35], v[36:37] neg_lo:[0,0,1] neg_hi:[0,0,1]
	v_mov_b32_e32 v35, v39
	s_delay_alu instid0(VALU_DEP_1)
	v_mov_b64_e32 v[32:33], v[34:35]
	ds_store_b64 v48, v[34:35]
.LBB72_981:                             ;   in Loop: Header=BB72_3 Depth=1
	s_or_b32 exec_lo, exec_lo, s53
	s_wait_dscnt 0x0
	s_barrier_signal -1
	s_barrier_wait -1
	s_barrier_signal -1
	s_barrier_wait -1
	s_and_saveexec_b32 s53, s2
; %bb.982:                              ;   in Loop: Header=BB72_3 Depth=1
	v_pk_add_f32 v[32:33], v[32:33], 0 neg_lo:[1,1] neg_hi:[1,1]
	ds_store_b64 v49, v[32:33] offset:29152
; %bb.983:                              ;   in Loop: Header=BB72_3 Depth=1
	s_or_b32 exec_lo, exec_lo, s53
	s_wait_dscnt 0x0
	s_barrier_signal -1
	s_barrier_wait -1
	s_barrier_signal -1
	s_barrier_wait -1
	s_and_saveexec_b32 s53, vcc_hi
	s_cbranch_execz .LBB72_985
; %bb.984:                              ;   in Loop: Header=BB72_3 Depth=1
	ds_load_b64 v[32:33], v74 offset:29152
	s_wait_dscnt 0x0
	ds_store_b64 v79, v[32:33] offset:31168
	ds_load_b64 v[32:33], v74 offset:29160
	s_wait_dscnt 0x0
	ds_store_b64 v79, v[32:33] offset:31680
	;; [unrolled: 3-line block ×4, first 2 shown]
.LBB72_985:                             ;   in Loop: Header=BB72_3 Depth=1
	s_or_b32 exec_lo, exec_lo, s53
	s_wait_dscnt 0x0
	s_barrier_signal -1
	s_barrier_wait -1
	s_and_saveexec_b32 s53, s14
	s_cbranch_execz .LBB72_987
; %bb.986:                              ;   in Loop: Header=BB72_3 Depth=1
	ds_load_b128 v[32:35], v5 offset:31200
	ds_load_b64 v[36:37], v5 offset:31720
	s_wait_dscnt 0x1
	v_dual_mov_b32 v96, v35 :: v_dual_mov_b32 v97, v34
	s_wait_dscnt 0x0
	v_dual_mul_f32 v39, v37, v33 :: v_dual_mul_f32 v38, v36, v33
	s_delay_alu instid0(VALU_DEP_1) | instskip(NEXT) | instid1(VALU_DEP_1)
	v_xor_b32_e32 v40, 0x80000000, v39
	v_dual_fmac_f32 v38, v37, v32 :: v_dual_fmac_f32 v40, v36, v32
	s_delay_alu instid0(VALU_DEP_1) | instskip(NEXT) | instid1(VALU_DEP_1)
	v_pk_mul_f32 v[32:33], v[38:39], v[96:97] op_sel_hi:[0,1]
	v_pk_fma_f32 v[36:37], v[40:41], v[34:35], v[32:33] op_sel_hi:[0,1,1]
	v_pk_fma_f32 v[32:33], v[40:41], v[34:35], v[32:33] neg_lo:[0,0,1] neg_hi:[0,0,1]
	v_add_nc_u32_e64 v34, 0x7800, 0
	s_delay_alu instid0(VALU_DEP_3)
	v_mov_b32_e32 v33, v37
	ds_store_2addr_b64 v34, v[32:33], v[32:33] offset0:61 offset1:124
.LBB72_987:                             ;   in Loop: Header=BB72_3 Depth=1
	s_or_b32 exec_lo, exec_lo, s53
	v_mov_b32_e32 v33, 0
	s_wait_dscnt 0x0
	s_barrier_signal -1
	s_barrier_wait -1
	s_delay_alu instid0(VALU_DEP_1)
	v_mov_b32_e32 v32, v33
	s_and_saveexec_b32 s53, s0
	s_cbranch_execz .LBB72_991
; %bb.988:                              ;   in Loop: Header=BB72_3 Depth=1
	ds_load_b64 v[32:33], v42 offset:31216
	ds_load_b64 v[34:35], v43 offset:31200
	s_wait_dscnt 0x0
	v_dual_mul_f32 v36, v35, v33 :: v_dual_mul_f32 v37, v34, v33
	s_delay_alu instid0(VALU_DEP_1) | instskip(NEXT) | instid1(VALU_DEP_1)
	v_dual_fma_f32 v36, v34, v32, -v36 :: v_dual_fmac_f32 v37, v35, v32
	v_pk_add_f32 v[32:33], v[36:37], 0 op_sel_hi:[1,0]
	s_and_saveexec_b32 s54, s15
	s_cbranch_execz .LBB72_990
; %bb.989:                              ;   in Loop: Header=BB72_3 Depth=1
	ds_load_b64 v[34:35], v79 offset:31728
	ds_load_b64 v[36:37], v5 offset:31208
	s_wait_dscnt 0x0
	v_pk_mul_f32 v[38:39], v[36:37], v[34:35] op_sel:[1,1] op_sel_hi:[0,1]
	s_delay_alu instid0(VALU_DEP_1) | instskip(SKIP_1) | instid1(VALU_DEP_2)
	v_pk_fma_f32 v[96:97], v[36:37], v[34:35], v[38:39] op_sel_hi:[1,0,1]
	v_pk_fma_f32 v[34:35], v[36:37], v[34:35], v[38:39] neg_lo:[0,0,1] neg_hi:[0,0,1]
	v_mov_b32_e32 v35, v97
	s_delay_alu instid0(VALU_DEP_1)
	v_pk_add_f32 v[32:33], v[32:33], v[34:35]
.LBB72_990:                             ;   in Loop: Header=BB72_3 Depth=1
	s_or_b32 exec_lo, exec_lo, s54
	s_delay_alu instid0(VALU_DEP_1)
	v_pk_add_f32 v[32:33], v[32:33], 0 neg_lo:[1,1] neg_hi:[1,1]
.LBB72_991:                             ;   in Loop: Header=BB72_3 Depth=1
	s_or_b32 exec_lo, exec_lo, s53
	s_and_saveexec_b32 s53, s96
	s_cbranch_execz .LBB72_993
; %bb.992:                              ;   in Loop: Header=BB72_3 Depth=1
	ds_load_b64 v[34:35], v5 offset:32240
	s_wait_dscnt 0x0
	v_pk_mul_f32 v[36:37], v[32:33], v[34:35] op_sel:[1,1] op_sel_hi:[1,0]
	s_delay_alu instid0(VALU_DEP_1) | instskip(SKIP_1) | instid1(VALU_DEP_2)
	v_pk_fma_f32 v[38:39], v[32:33], v[34:35], v[36:37] op_sel_hi:[0,1,1]
	v_pk_fma_f32 v[34:35], v[32:33], v[34:35], v[36:37] neg_lo:[0,0,1] neg_hi:[0,0,1]
	v_mov_b32_e32 v35, v39
	s_delay_alu instid0(VALU_DEP_1)
	v_mov_b64_e32 v[32:33], v[34:35]
	ds_store_b64 v3, v[34:35]
.LBB72_993:                             ;   in Loop: Header=BB72_3 Depth=1
	s_or_b32 exec_lo, exec_lo, s53
	s_wait_dscnt 0x0
	s_barrier_signal -1
	s_barrier_wait -1
	s_and_saveexec_b32 s53, s97
	s_cbranch_execz .LBB72_995
; %bb.994:                              ;   in Loop: Header=BB72_3 Depth=1
	ds_load_b64 v[34:35], v5 offset:32248
	ds_load_b64 v[36:37], v3
	s_wait_dscnt 0x0
	v_pk_mul_f32 v[38:39], v[36:37], v[34:35] op_sel:[1,1] op_sel_hi:[0,1]
	s_delay_alu instid0(VALU_DEP_1) | instskip(SKIP_1) | instid1(VALU_DEP_2)
	v_pk_fma_f32 v[96:97], v[36:37], v[34:35], v[38:39] op_sel_hi:[1,0,1]
	v_pk_fma_f32 v[34:35], v[36:37], v[34:35], v[38:39] neg_lo:[0,0,1] neg_hi:[0,0,1]
	v_mov_b32_e32 v35, v97
	s_delay_alu instid0(VALU_DEP_1)
	v_pk_add_f32 v[32:33], v[32:33], v[34:35]
.LBB72_995:                             ;   in Loop: Header=BB72_3 Depth=1
	s_or_b32 exec_lo, exec_lo, s53
	s_barrier_signal -1
	s_barrier_wait -1
	s_and_saveexec_b32 s53, s97
	s_cbranch_execz .LBB72_997
; %bb.996:                              ;   in Loop: Header=BB72_3 Depth=1
	ds_load_b64 v[34:35], v5 offset:32760
	s_wait_dscnt 0x0
	v_pk_mul_f32 v[36:37], v[32:33], v[34:35] op_sel:[1,1] op_sel_hi:[1,0]
	s_delay_alu instid0(VALU_DEP_1) | instskip(SKIP_1) | instid1(VALU_DEP_2)
	v_pk_fma_f32 v[38:39], v[32:33], v[34:35], v[36:37] op_sel_hi:[0,1,1]
	v_pk_fma_f32 v[34:35], v[32:33], v[34:35], v[36:37] neg_lo:[0,0,1] neg_hi:[0,0,1]
	v_mov_b32_e32 v35, v39
	s_delay_alu instid0(VALU_DEP_1)
	v_mov_b64_e32 v[32:33], v[34:35]
	ds_store_b64 v3, v[34:35]
.LBB72_997:                             ;   in Loop: Header=BB72_3 Depth=1
	s_or_b32 exec_lo, exec_lo, s53
	s_wait_dscnt 0x0
	s_barrier_signal -1
	s_barrier_wait -1
	s_barrier_signal -1
	s_barrier_wait -1
	s_and_saveexec_b32 s53, s0
; %bb.998:                              ;   in Loop: Header=BB72_3 Depth=1
	v_pk_add_f32 v[32:33], v[32:33], 0 neg_lo:[1,1] neg_hi:[1,1]
	ds_store_b64 v42, v[32:33] offset:31216
; %bb.999:                              ;   in Loop: Header=BB72_3 Depth=1
	s_or_b32 exec_lo, exec_lo, s53
	s_wait_dscnt 0x0
	s_barrier_signal -1
	s_barrier_wait -1
	s_barrier_signal -1
	s_barrier_wait -1
	s_and_saveexec_b32 s53, s98
	s_cbranch_execz .LBB72_1001
; %bb.1000:                             ;   in Loop: Header=BB72_3 Depth=1
	ds_load_b64 v[32:33], v80 offset:31216
	s_wait_dscnt 0x0
	ds_store_b64 v79, v[32:33] offset:32224
	ds_load_b64 v[32:33], v80 offset:31224
	s_wait_dscnt 0x0
	ds_store_b64 v79, v[32:33] offset:32736
.LBB72_1001:                            ;   in Loop: Header=BB72_3 Depth=1
	s_or_b32 exec_lo, exec_lo, s53
	s_wait_dscnt 0x0
	s_barrier_signal -1
	s_barrier_wait -1
	s_and_saveexec_b32 s53, s14
	s_cbranch_execz .LBB72_1003
; %bb.1002:                             ;   in Loop: Header=BB72_3 Depth=1
	ds_load_b128 v[32:35], v5 offset:32240
	ds_load_b64 v[36:37], v5 offset:32760
	s_wait_dscnt 0x1
	v_dual_mov_b32 v96, v35 :: v_dual_mov_b32 v97, v34
	s_wait_dscnt 0x0
	v_dual_mul_f32 v39, v37, v33 :: v_dual_mul_f32 v38, v36, v33
	s_delay_alu instid0(VALU_DEP_1) | instskip(NEXT) | instid1(VALU_DEP_1)
	v_xor_b32_e32 v40, 0x80000000, v39
	v_dual_fmac_f32 v38, v37, v32 :: v_dual_fmac_f32 v40, v36, v32
	s_delay_alu instid0(VALU_DEP_1) | instskip(NEXT) | instid1(VALU_DEP_1)
	v_pk_mul_f32 v[32:33], v[38:39], v[96:97] op_sel_hi:[0,1]
	v_pk_fma_f32 v[36:37], v[40:41], v[34:35], v[32:33] op_sel_hi:[0,1,1]
	v_pk_fma_f32 v[32:33], v[40:41], v[34:35], v[32:33] neg_lo:[0,0,1] neg_hi:[0,0,1]
	v_add_nc_u32_e64 v34, 0x7800, 0
	s_delay_alu instid0(VALU_DEP_3)
	v_mov_b32_e32 v33, v37
	ds_store_2addr_b64 v34, v[32:33], v[32:33] offset0:191 offset1:254
.LBB72_1003:                            ;   in Loop: Header=BB72_3 Depth=1
	s_or_b32 exec_lo, exec_lo, s53
.LBB72_1004:                            ;   in Loop: Header=BB72_3 Depth=1
	v_readlane_b32 s56, v106, 3
	v_mov_b64_e32 v[32:33], 0
	v_readlane_b32 s57, v106, 4
	s_mul_u64 s[54:55], s[74:75], s[76:77]
	s_wait_dscnt 0x0
	s_lshl_b64 s[54:55], s[54:55], 3
	s_barrier_signal -1
	s_add_nc_u64 s[86:87], s[56:57], s[54:55]
	s_barrier_wait -1
	s_and_saveexec_b32 s53, s71
	s_cbranch_execz .LBB72_1006
; %bb.1005:                             ;   in Loop: Header=BB72_3 Depth=1
	v_lshl_add_u64 v[32:33], v[10:11], 3, s[86:87]
	v_readlane_b32 s54, v106, 28
	v_readlane_b32 s55, v106, 29
	global_load_b64 v[32:33], v[32:33], off
	v_mov_b64_e32 v[34:35], s[54:55]
	v_readlane_b32 s54, v106, 30
	v_readlane_b32 s55, v106, 31
	s_delay_alu instid0(VALU_DEP_1) | instskip(SKIP_1) | instid1(VALU_DEP_4)
	v_mov_b64_e32 v[36:37], s[54:55]
	s_wait_loadcnt 0x0
	v_pk_mul_f32 v[34:35], v[34:35], v[32:33]
	s_delay_alu instid0(VALU_DEP_1)
	v_pk_fma_f32 v[32:33], v[36:37], v[32:33], v[34:35] op_sel:[0,0,1] op_sel_hi:[1,1,0] neg_lo:[1,0,0] neg_hi:[1,0,0]
.LBB72_1006:                            ;   in Loop: Header=BB72_3 Depth=1
	s_or_b32 exec_lo, exec_lo, s53
	s_delay_alu instid0(SALU_CYCLE_1)
	s_and_not1_b32 vcc_lo, exec_lo, s68
	s_cbranch_vccnz .LBB72_1041
; %bb.1007:                             ;   in Loop: Header=BB72_3 Depth=1
	v_mov_b32_e32 v95, -1
	s_lshl_b64 s[54:55], s[76:77], 2
	s_mov_b32 s64, 0
	s_add_nc_u64 s[88:89], s[80:81], s[54:55]
	s_branch .LBB72_1010
.LBB72_1008:                            ;   in Loop: Header=BB72_1010 Depth=2
	s_wait_xcnt 0x0
	ds_load_b64 v[34:35], v81 offset:384
	s_wait_loadcnt_dscnt 0x0
	v_pk_mul_f32 v[38:39], v[38:39], v[34:35] op_sel:[0,1] op_sel_hi:[0,0]
	s_delay_alu instid0(VALU_DEP_1) | instskip(SKIP_1) | instid1(VALU_DEP_2)
	v_pk_fma_f32 v[96:97], v[36:37], v[34:35], v[38:39] op_sel_hi:[0,1,1] neg_lo:[0,0,1] neg_hi:[0,0,1]
	v_pk_fma_f32 v[34:35], v[36:37], v[34:35], v[38:39]
	v_mov_b32_e32 v35, v97
	s_delay_alu instid0(VALU_DEP_1)
	v_pk_add_f32 v[32:33], v[32:33], v[34:35]
.LBB72_1009:                            ;   in Loop: Header=BB72_1010 Depth=2
	s_or_b32 exec_lo, exec_lo, s53
	s_add_co_i32 s64, s64, 1
	s_delay_alu instid0(SALU_CYCLE_1)
	s_cmp_eq_u32 s64, s91
	s_cbranch_scc1 .LBB72_1041
.LBB72_1010:                            ;   Parent Loop BB72_3 Depth=1
                                        ; =>  This Loop Header: Depth=2
                                        ;       Child Loop BB72_1012 Depth 3
	v_cmp_gt_i32_e32 vcc_lo, s64, v95
	s_and_b32 s54, s36, vcc_lo
	s_delay_alu instid0(SALU_CYCLE_1)
	s_and_saveexec_b32 s53, s54
	s_cbranch_execz .LBB72_1013
; %bb.1011:                             ;   in Loop: Header=BB72_1010 Depth=2
	global_load_b32 v95, v5, s[88:89]
	s_wait_loadcnt 0x0
	v_cmp_le_i32_e32 vcc_lo, s64, v95
	s_cbranch_vccnz .LBB72_1013
.LBB72_1012:                            ;   Parent Loop BB72_3 Depth=1
                                        ;     Parent Loop BB72_1010 Depth=2
                                        ; =>    This Inner Loop Header: Depth=3
	global_wb scope:SCOPE_DEV
	s_wait_storecnt 0x0
	global_inv scope:SCOPE_DEV
	global_load_b32 v95, v5, s[88:89]
	s_wait_loadcnt 0x0
	v_cmp_gt_i32_e32 vcc_lo, s64, v95
	s_cbranch_vccnz .LBB72_1012
.LBB72_1013:                            ;   in Loop: Header=BB72_1010 Depth=2
	s_or_b32 exec_lo, exec_lo, s53
	s_sub_co_i32 s53, s92, s64
	global_wb scope:SCOPE_DEV
	s_wait_storecnt 0x0
	global_inv scope:SCOPE_DEV
	s_lshl_b32 s54, s53, 6
	s_wait_loadcnt 0x0
	s_barrier_signal -1
	s_barrier_wait -1
	s_and_saveexec_b32 s55, s37
	s_cbranch_execz .LBB72_1018
; %bb.1014:                             ;   in Loop: Header=BB72_1010 Depth=2
	s_ashr_i32 vcc_lo, s54, 31
	s_delay_alu instid0(SALU_CYCLE_1) | instskip(NEXT) | instid1(VALU_DEP_1)
	v_dual_mov_b32 v35, vcc_lo :: v_dual_bitop2_b32 v34, s54, v4 bitop3:0x54
	v_cmp_le_i64_e32 vcc_lo, s[78:79], v[34:35]
	s_and_saveexec_b32 s56, vcc_lo
	s_delay_alu instid0(SALU_CYCLE_1)
	s_xor_b32 vcc_lo, exec_lo, s56
; %bb.1015:                             ;   in Loop: Header=BB72_1010 Depth=2
	ds_store_b64 v86, v[20:21]
                                        ; implicit-def: $vgpr34_vgpr35
; %bb.1016:                             ;   in Loop: Header=BB72_1010 Depth=2
	s_and_not1_saveexec_b32 s56, vcc_lo
	s_cbranch_execz .LBB72_1018
; %bb.1017:                             ;   in Loop: Header=BB72_1010 Depth=2
	v_mul_u64_e32 v[34:35], s[72:73], v[34:35]
	s_delay_alu instid0(VALU_DEP_1)
	v_lshl_add_u64 v[34:35], v[34:35], 3, s[86:87]
	global_load_b64 v[34:35], v[34:35], off
	s_wait_loadcnt 0x0
	ds_store_b64 v86, v[34:35]
.LBB72_1018:                            ;   in Loop: Header=BB72_1010 Depth=2
	s_or_b32 exec_lo, exec_lo, s55
	v_add_nc_u32_e32 v36, s54, v41
	s_cmp_lg_u32 s53, s69
	s_wait_dscnt 0x0
	s_cselect_b32 s54, -1, 0
	s_barrier_signal -1
	v_ashrrev_i32_e32 v37, 31, v36
	v_cmp_gt_i32_e32 vcc_lo, s78, v36
	s_barrier_wait -1
	s_delay_alu instid0(VALU_DEP_2) | instskip(SKIP_2) | instid1(SALU_CYCLE_1)
	v_lshl_add_u64 v[34:35], v[36:37], 3, v[30:31]
	v_cndmask_b32_e64 v37, 0, 1, s54
	s_and_b32 s55, vcc_lo, s5
	s_and_saveexec_b32 s53, s55
	s_cbranch_execz .LBB72_1024
; %bb.1019:                             ;   in Loop: Header=BB72_1010 Depth=2
	v_mov_b32_e32 v38, v22
	s_and_not1_b32 vcc_lo, exec_lo, s54
	s_cbranch_vccnz .LBB72_1021
; %bb.1020:                             ;   in Loop: Header=BB72_1010 Depth=2
	global_load_b32 v38, v[34:35], off
.LBB72_1021:                            ;   in Loop: Header=BB72_1010 Depth=2
	v_cmp_ne_u32_e32 vcc_lo, 1, v37
	v_mov_b32_e32 v40, v23
	s_cbranch_vccnz .LBB72_1023
; %bb.1022:                             ;   in Loop: Header=BB72_1010 Depth=2
	global_load_b32 v40, v[34:35], off offset:4
.LBB72_1023:                            ;   in Loop: Header=BB72_1010 Depth=2
	ds_load_b64 v[96:97], v81
	s_wait_loadcnt_dscnt 0x0
	v_pk_mul_f32 v[98:99], v[40:41], v[96:97] op_sel:[0,1] op_sel_hi:[0,0]
	s_delay_alu instid0(VALU_DEP_1) | instskip(SKIP_1) | instid1(VALU_DEP_2)
	v_pk_fma_f32 v[100:101], v[38:39], v[96:97], v[98:99] op_sel_hi:[0,1,1] neg_lo:[0,0,1] neg_hi:[0,0,1]
	v_pk_fma_f32 v[38:39], v[38:39], v[96:97], v[98:99]
	v_mov_b32_e32 v39, v101
	s_delay_alu instid0(VALU_DEP_1)
	v_pk_add_f32 v[32:33], v[32:33], v[38:39]
.LBB72_1024:                            ;   in Loop: Header=BB72_1010 Depth=2
	s_or_b32 exec_lo, exec_lo, s53
	v_add_nc_u32_e32 v38, 16, v36
	s_delay_alu instid0(VALU_DEP_1) | instskip(SKIP_1) | instid1(SALU_CYCLE_1)
	v_cmp_gt_i32_e32 vcc_lo, s78, v38
	s_and_b32 s54, vcc_lo, s5
	s_and_saveexec_b32 s53, s54
	s_cbranch_execz .LBB72_1030
; %bb.1025:                             ;   in Loop: Header=BB72_1010 Depth=2
	v_cmp_ne_u32_e32 vcc_lo, 1, v37
	v_mov_b32_e32 v38, v24
	s_cbranch_vccnz .LBB72_1027
; %bb.1026:                             ;   in Loop: Header=BB72_1010 Depth=2
	global_load_b32 v38, v[34:35], off offset:128
.LBB72_1027:                            ;   in Loop: Header=BB72_1010 Depth=2
	v_cmp_ne_u32_e32 vcc_lo, 1, v37
	v_mov_b32_e32 v39, v25
	s_cbranch_vccnz .LBB72_1029
; %bb.1028:                             ;   in Loop: Header=BB72_1010 Depth=2
	global_load_b32 v39, v[34:35], off offset:132
.LBB72_1029:                            ;   in Loop: Header=BB72_1010 Depth=2
	ds_load_b64 v[96:97], v81 offset:128
	s_wait_loadcnt 0x0
	v_dual_mov_b32 v98, v39 :: v_dual_mov_b32 v99, v38
	s_wait_dscnt 0x0
	v_dual_mul_f32 v40, v39, v96 :: v_dual_mul_f32 v100, v39, v97
	s_delay_alu instid0(VALU_DEP_1) | instskip(NEXT) | instid1(VALU_DEP_2)
	v_pk_fma_f32 v[98:99], v[98:99], v[96:97], v[40:41] op_sel_hi:[1,1,0] neg_lo:[0,0,1] neg_hi:[0,0,1]
	v_pk_fma_f32 v[38:39], v[38:39], v[96:97], v[100:101] op_sel_hi:[1,1,0]
	s_delay_alu instid0(VALU_DEP_2) | instskip(NEXT) | instid1(VALU_DEP_1)
	v_mov_b32_e32 v39, v99
	v_pk_add_f32 v[32:33], v[32:33], v[38:39]
.LBB72_1030:                            ;   in Loop: Header=BB72_1010 Depth=2
	s_or_b32 exec_lo, exec_lo, s53
	v_add_nc_u32_e32 v38, 32, v36
	s_delay_alu instid0(VALU_DEP_1) | instskip(SKIP_1) | instid1(SALU_CYCLE_1)
	v_cmp_gt_i32_e32 vcc_lo, s78, v38
	s_and_b32 s54, vcc_lo, s5
	s_and_saveexec_b32 s53, s54
	s_cbranch_execz .LBB72_1036
; %bb.1031:                             ;   in Loop: Header=BB72_1010 Depth=2
	v_cmp_ne_u32_e32 vcc_lo, 1, v37
	v_mov_b32_e32 v38, v26
	s_cbranch_vccnz .LBB72_1033
; %bb.1032:                             ;   in Loop: Header=BB72_1010 Depth=2
	global_load_b32 v38, v[34:35], off offset:256
.LBB72_1033:                            ;   in Loop: Header=BB72_1010 Depth=2
	v_cmp_ne_u32_e32 vcc_lo, 1, v37
	v_mov_b32_e32 v40, v27
	s_cbranch_vccnz .LBB72_1035
; %bb.1034:                             ;   in Loop: Header=BB72_1010 Depth=2
	global_load_b32 v40, v[34:35], off offset:260
.LBB72_1035:                            ;   in Loop: Header=BB72_1010 Depth=2
	ds_load_b64 v[96:97], v81 offset:256
	s_wait_loadcnt_dscnt 0x0
	v_pk_mul_f32 v[98:99], v[40:41], v[96:97] op_sel:[0,1] op_sel_hi:[0,0]
	s_delay_alu instid0(VALU_DEP_1) | instskip(SKIP_1) | instid1(VALU_DEP_2)
	v_pk_fma_f32 v[100:101], v[38:39], v[96:97], v[98:99] op_sel_hi:[0,1,1] neg_lo:[0,0,1] neg_hi:[0,0,1]
	v_pk_fma_f32 v[38:39], v[38:39], v[96:97], v[98:99]
	v_mov_b32_e32 v39, v101
	s_delay_alu instid0(VALU_DEP_1)
	v_pk_add_f32 v[32:33], v[32:33], v[38:39]
.LBB72_1036:                            ;   in Loop: Header=BB72_1010 Depth=2
	s_or_b32 exec_lo, exec_lo, s53
	v_add_nc_u32_e32 v36, 48, v36
	s_delay_alu instid0(VALU_DEP_1) | instskip(SKIP_1) | instid1(SALU_CYCLE_1)
	v_cmp_gt_i32_e32 vcc_lo, s78, v36
	s_and_b32 s54, vcc_lo, s5
	s_and_saveexec_b32 s53, s54
	s_cbranch_execz .LBB72_1009
; %bb.1037:                             ;   in Loop: Header=BB72_1010 Depth=2
	v_cmp_ne_u32_e32 vcc_lo, 1, v37
	v_mov_b32_e32 v36, v28
	s_cbranch_vccnz .LBB72_1039
; %bb.1038:                             ;   in Loop: Header=BB72_1010 Depth=2
	global_load_b32 v36, v[34:35], off offset:384
.LBB72_1039:                            ;   in Loop: Header=BB72_1010 Depth=2
	v_cmp_ne_u32_e32 vcc_lo, 1, v37
	v_mov_b32_e32 v38, v29
	s_cbranch_vccnz .LBB72_1008
; %bb.1040:                             ;   in Loop: Header=BB72_1010 Depth=2
	global_load_b32 v38, v[34:35], off offset:388
	s_branch .LBB72_1008
.LBB72_1041:                            ;   in Loop: Header=BB72_3 Depth=1
	ds_store_b64 v87, v[32:33]
	s_wait_dscnt 0x0
	s_barrier_signal -1
	s_barrier_wait -1
	s_and_saveexec_b32 s53, s1
	s_cbranch_execz .LBB72_1043
; %bb.1042:                             ;   in Loop: Header=BB72_3 Depth=1
	ds_load_2addr_stride64_b64 v[34:37], v88 offset0:1 offset1:2
	ds_load_2addr_stride64_b64 v[96:99], v88 offset0:3 offset1:4
	;; [unrolled: 1-line block ×3, first 2 shown]
	s_wait_dscnt 0x2
	v_pk_add_f32 v[30:31], v[32:33], v[34:35]
	s_delay_alu instid0(VALU_DEP_1) | instskip(SKIP_3) | instid1(VALU_DEP_1)
	v_pk_add_f32 v[34:35], v[30:31], v[36:37]
	ds_load_2addr_stride64_b64 v[30:33], v88 offset0:7 offset1:8
	s_wait_dscnt 0x2
	v_pk_add_f32 v[34:35], v[34:35], v[96:97]
	v_pk_add_f32 v[38:39], v[34:35], v[98:99]
	ds_load_2addr_stride64_b64 v[34:37], v88 offset0:9 offset1:10
	ds_load_2addr_stride64_b64 v[96:99], v88 offset0:11 offset1:12
	s_wait_dscnt 0x3
	v_pk_add_f32 v[38:39], v[38:39], v[100:101]
	s_delay_alu instid0(VALU_DEP_1) | instskip(SKIP_1) | instid1(VALU_DEP_1)
	v_pk_add_f32 v[38:39], v[38:39], v[102:103]
	s_wait_dscnt 0x2
	v_pk_add_f32 v[30:31], v[38:39], v[30:31]
	s_delay_alu instid0(VALU_DEP_1) | instskip(SKIP_3) | instid1(VALU_DEP_1)
	v_pk_add_f32 v[38:39], v[30:31], v[32:33]
	ds_load_2addr_stride64_b64 v[30:33], v88 offset0:13 offset1:14
	s_wait_dscnt 0x2
	v_pk_add_f32 v[34:35], v[38:39], v[34:35]
	v_pk_add_f32 v[34:35], v[34:35], v[36:37]
	ds_load_b64 v[36:37], v88 offset:7680
	s_wait_dscnt 0x2
	v_pk_add_f32 v[34:35], v[34:35], v[96:97]
	s_delay_alu instid0(VALU_DEP_1) | instskip(SKIP_1) | instid1(VALU_DEP_1)
	v_pk_add_f32 v[34:35], v[34:35], v[98:99]
	s_wait_dscnt 0x1
	v_pk_add_f32 v[30:31], v[34:35], v[30:31]
	s_delay_alu instid0(VALU_DEP_1) | instskip(SKIP_1) | instid1(VALU_DEP_1)
	v_pk_add_f32 v[30:31], v[30:31], v[32:33]
	s_wait_dscnt 0x0
	v_pk_add_f32 v[30:31], v[30:31], v[36:37]
	s_delay_alu instid0(VALU_DEP_1) | instskip(NEXT) | instid1(VALU_DEP_2)
	v_cndmask_b32_e64 v33, -v31, 0, s70
	v_cndmask_b32_e64 v32, -v30, 0, s70
.LBB72_1043:                            ;   in Loop: Header=BB72_3 Depth=1
	s_or_b32 exec_lo, exec_lo, s53
	s_delay_alu instid0(SALU_CYCLE_1)
	s_and_not1_b32 vcc_lo, exec_lo, s95
	s_cbranch_vccnz .LBB72_1053
; %bb.1044:                             ;   in Loop: Header=BB72_3 Depth=1
	s_and_saveexec_b32 s53, s1
; %bb.1045:                             ;   in Loop: Header=BB72_3 Depth=1
	ds_store_b64 v90, v[32:33]
; %bb.1046:                             ;   in Loop: Header=BB72_3 Depth=1
	s_or_b32 exec_lo, exec_lo, s53
	v_mov_b64_e32 v[30:31], 0
	s_wait_dscnt 0x0
	s_barrier_signal -1
	s_barrier_wait -1
	s_and_saveexec_b32 s53, s6
	s_cbranch_execnz .LBB72_1117
; %bb.1047:                             ;   in Loop: Header=BB72_3 Depth=1
	s_or_b32 exec_lo, exec_lo, s53
	s_and_saveexec_b32 s53, s7
	s_cbranch_execnz .LBB72_1118
.LBB72_1048:                            ;   in Loop: Header=BB72_3 Depth=1
	s_or_b32 exec_lo, exec_lo, s53
	s_and_saveexec_b32 s53, s8
	s_cbranch_execnz .LBB72_1119
.LBB72_1049:                            ;   in Loop: Header=BB72_3 Depth=1
	s_or_b32 exec_lo, exec_lo, s53
	s_and_saveexec_b32 s53, s9
	s_cbranch_execz .LBB72_1051
.LBB72_1050:                            ;   in Loop: Header=BB72_3 Depth=1
	ds_load_b64 v[34:35], v89 offset:24576
	ds_load_b64 v[36:37], v81 offset:384
	s_wait_dscnt 0x0
	v_pk_mul_f32 v[38:39], v[36:37], v[34:35] op_sel:[1,1] op_sel_hi:[0,1]
	s_delay_alu instid0(VALU_DEP_1) | instskip(SKIP_1) | instid1(VALU_DEP_2)
	v_pk_fma_f32 v[96:97], v[36:37], v[34:35], v[38:39] op_sel_hi:[1,0,1]
	v_pk_fma_f32 v[34:35], v[36:37], v[34:35], v[38:39] neg_lo:[0,0,1] neg_hi:[0,0,1]
	v_mov_b32_e32 v35, v97
	s_delay_alu instid0(VALU_DEP_1)
	v_pk_add_f32 v[30:31], v[30:31], v[34:35]
.LBB72_1051:                            ;   in Loop: Header=BB72_3 Depth=1
	s_or_b32 exec_lo, exec_lo, s53
	s_mov_b32 s88, 0
	s_mov_b32 s64, 0
	ds_store_b64 v87, v[30:31]
	s_wait_dscnt 0x0
	s_barrier_signal -1
	s_barrier_wait -1
                                        ; implicit-def: $vgpr34_vgpr35
	s_and_saveexec_b32 s53, s1
	s_cbranch_execz .LBB72_1120
; %bb.1052:                             ;   in Loop: Header=BB72_3 Depth=1
	ds_load_2addr_stride64_b64 v[34:37], v88 offset0:1 offset1:2
	ds_load_2addr_stride64_b64 v[96:99], v88 offset0:3 offset1:4
	;; [unrolled: 1-line block ×3, first 2 shown]
	ds_load_b64 v[38:39], v88 offset:7680
	s_mov_b32 s64, exec_lo
	s_wait_dscnt 0x3
	v_pk_add_f32 v[30:31], v[30:31], v[34:35]
	s_delay_alu instid0(VALU_DEP_1) | instskip(SKIP_3) | instid1(VALU_DEP_1)
	v_pk_add_f32 v[30:31], v[30:31], v[36:37]
	ds_load_2addr_stride64_b64 v[34:37], v88 offset0:7 offset1:8
	s_wait_dscnt 0x3
	v_pk_add_f32 v[30:31], v[30:31], v[96:97]
	v_pk_add_f32 v[30:31], v[30:31], v[98:99]
	ds_load_2addr_stride64_b64 v[96:99], v88 offset0:9 offset1:10
	s_wait_dscnt 0x3
	v_pk_add_f32 v[30:31], v[30:31], v[100:101]
	s_delay_alu instid0(VALU_DEP_1) | instskip(SKIP_3) | instid1(VALU_DEP_1)
	v_pk_add_f32 v[30:31], v[30:31], v[102:103]
	ds_load_2addr_stride64_b64 v[100:103], v88 offset0:11 offset1:12
	s_wait_dscnt 0x2
	v_pk_add_f32 v[30:31], v[30:31], v[34:35]
	v_pk_add_f32 v[30:31], v[30:31], v[36:37]
	ds_load_2addr_stride64_b64 v[34:37], v88 offset0:13 offset1:14
	s_wait_dscnt 0x2
	v_pk_add_f32 v[30:31], v[30:31], v[96:97]
	s_delay_alu instid0(VALU_DEP_1) | instskip(SKIP_1) | instid1(VALU_DEP_1)
	v_pk_add_f32 v[30:31], v[30:31], v[98:99]
	s_wait_dscnt 0x1
	v_pk_add_f32 v[30:31], v[30:31], v[100:101]
	s_delay_alu instid0(VALU_DEP_1) | instskip(SKIP_1) | instid1(VALU_DEP_1)
	v_pk_add_f32 v[30:31], v[30:31], v[102:103]
	s_wait_dscnt 0x0
	v_pk_add_f32 v[30:31], v[30:31], v[34:35]
	s_delay_alu instid0(VALU_DEP_1) | instskip(NEXT) | instid1(VALU_DEP_1)
	v_pk_add_f32 v[30:31], v[30:31], v[36:37]
	v_pk_add_f32 v[34:35], v[30:31], v[38:39]
	s_or_b32 exec_lo, exec_lo, s53
	s_delay_alu instid0(SALU_CYCLE_1)
	s_and_b32 vcc_lo, exec_lo, s88
	s_cbranch_vccnz .LBB72_1054
	s_branch .LBB72_1121
.LBB72_1053:                            ;   in Loop: Header=BB72_3 Depth=1
	s_mov_b32 s64, 0
                                        ; implicit-def: $vgpr34_vgpr35
	s_cbranch_execz .LBB72_1121
.LBB72_1054:                            ;   in Loop: Header=BB72_3 Depth=1
	v_dual_mov_b32 v30, v93 :: v_dual_mov_b32 v31, v92
	s_mov_b32 s88, 63
	s_branch .LBB72_1056
.LBB72_1055:                            ;   in Loop: Header=BB72_1056 Depth=2
	s_or_b32 exec_lo, exec_lo, s53
	v_add_nc_u32_e32 v31, 0xfffffc00, v31
	v_add_nc_u32_e32 v30, 2, v30
	s_add_co_i32 s88, s88, -2
	s_cmp_lg_u32 s89, 0
	s_barrier_signal -1
	s_barrier_wait -1
	s_cbranch_scc0 .LBB72_1064
.LBB72_1056:                            ;   Parent Loop BB72_3 Depth=1
                                        ; =>  This Inner Loop Header: Depth=2
	s_delay_alu instid0(VALU_DEP_1) | instskip(SKIP_2) | instid1(SALU_CYCLE_1)
	v_cmp_eq_u32_e32 vcc_lo, 0, v30
	v_add_nc_u32_e32 v34, v80, v44
	s_and_b32 s54, s1, vcc_lo
	s_and_saveexec_b32 s53, s54
	s_cbranch_execz .LBB72_1058
; %bb.1057:                             ;   in Loop: Header=BB72_1056 Depth=2
	ds_load_b64 v[36:37], v34
	s_wait_dscnt 0x0
	v_pk_mul_f32 v[38:39], v[32:33], v[36:37] op_sel:[1,1] op_sel_hi:[1,0]
	s_delay_alu instid0(VALU_DEP_1) | instskip(SKIP_1) | instid1(VALU_DEP_2)
	v_pk_fma_f32 v[96:97], v[32:33], v[36:37], v[38:39] op_sel_hi:[0,1,1]
	v_pk_fma_f32 v[36:37], v[32:33], v[36:37], v[38:39] neg_lo:[0,0,1] neg_hi:[0,0,1]
	v_mov_b32_e32 v37, v97
	s_delay_alu instid0(VALU_DEP_1)
	v_mov_b64_e32 v[32:33], v[36:37]
	ds_store_b64 v5, v[36:37] offset:41472
.LBB72_1058:                            ;   in Loop: Header=BB72_1056 Depth=2
	s_or_b32 exec_lo, exec_lo, s53
	v_cmp_gt_u32_e32 vcc_lo, s88, v2
	s_wait_dscnt 0x0
	s_barrier_signal -1
	s_barrier_wait -1
	s_and_b32 s54, s1, vcc_lo
	s_delay_alu instid0(SALU_CYCLE_1)
	s_and_saveexec_b32 s53, s54
	s_cbranch_execz .LBB72_1060
; %bb.1059:                             ;   in Loop: Header=BB72_1056 Depth=2
	ds_load_b64 v[36:37], v31 offset:512
	ds_load_b64 v[38:39], v5 offset:41472
	s_wait_dscnt 0x0
	v_pk_mul_f32 v[96:97], v[38:39], v[36:37] op_sel:[1,1] op_sel_hi:[0,1]
	s_delay_alu instid0(VALU_DEP_1) | instskip(SKIP_1) | instid1(VALU_DEP_2)
	v_pk_fma_f32 v[98:99], v[38:39], v[36:37], v[96:97] op_sel_hi:[1,0,1]
	v_pk_fma_f32 v[36:37], v[38:39], v[36:37], v[96:97] neg_lo:[0,0,1] neg_hi:[0,0,1]
	v_mov_b32_e32 v37, v99
	s_delay_alu instid0(VALU_DEP_1)
	v_pk_add_f32 v[32:33], v[32:33], v[36:37]
.LBB72_1060:                            ;   in Loop: Header=BB72_1056 Depth=2
	s_or_b32 exec_lo, exec_lo, s53
	s_add_co_i32 s89, s88, -1
	s_delay_alu instid0(SALU_CYCLE_1) | instskip(SKIP_3) | instid1(SALU_CYCLE_1)
	v_cmp_eq_u32_e32 vcc_lo, s89, v2
	s_barrier_signal -1
	s_barrier_wait -1
	s_and_b32 s54, s1, vcc_lo
	s_and_saveexec_b32 s53, s54
	s_cbranch_execz .LBB72_1062
; %bb.1061:                             ;   in Loop: Header=BB72_1056 Depth=2
	ds_load_b64 v[34:35], v34
	s_wait_dscnt 0x0
	v_pk_mul_f32 v[36:37], v[32:33], v[34:35] op_sel:[1,1] op_sel_hi:[1,0]
	s_delay_alu instid0(VALU_DEP_1) | instskip(SKIP_1) | instid1(VALU_DEP_2)
	v_pk_fma_f32 v[38:39], v[32:33], v[34:35], v[36:37] op_sel_hi:[0,1,1]
	v_pk_fma_f32 v[34:35], v[32:33], v[34:35], v[36:37] neg_lo:[0,0,1] neg_hi:[0,0,1]
	v_mov_b32_e32 v35, v39
	s_delay_alu instid0(VALU_DEP_1)
	v_mov_b64_e32 v[32:33], v[34:35]
	ds_store_b64 v5, v[34:35] offset:41472
.LBB72_1062:                            ;   in Loop: Header=BB72_1056 Depth=2
	s_or_b32 exec_lo, exec_lo, s53
	v_cmp_gt_u32_e32 vcc_lo, s89, v2
	s_wait_dscnt 0x0
	s_barrier_signal -1
	s_barrier_wait -1
	s_and_b32 s54, s1, vcc_lo
	s_delay_alu instid0(SALU_CYCLE_1)
	s_and_saveexec_b32 s53, s54
	s_cbranch_execz .LBB72_1055
; %bb.1063:                             ;   in Loop: Header=BB72_1056 Depth=2
	ds_load_b64 v[34:35], v31
	ds_load_b64 v[36:37], v5 offset:41472
	s_wait_dscnt 0x0
	v_pk_mul_f32 v[38:39], v[36:37], v[34:35] op_sel:[1,1] op_sel_hi:[0,1]
	s_delay_alu instid0(VALU_DEP_1) | instskip(SKIP_1) | instid1(VALU_DEP_2)
	v_pk_fma_f32 v[96:97], v[36:37], v[34:35], v[38:39] op_sel_hi:[1,0,1]
	v_pk_fma_f32 v[34:35], v[36:37], v[34:35], v[38:39] neg_lo:[0,0,1] neg_hi:[0,0,1]
	v_mov_b32_e32 v35, v97
	s_delay_alu instid0(VALU_DEP_1)
	v_pk_add_f32 v[32:33], v[32:33], v[34:35]
	s_branch .LBB72_1055
.LBB72_1064:                            ;   in Loop: Header=BB72_3 Depth=1
	s_and_b32 vcc_lo, exec_lo, s93
	s_mov_b32 s53, -1
	s_cbranch_vccnz .LBB72_1122
; %bb.1065:                             ;   in Loop: Header=BB72_3 Depth=1
	s_and_not1_b32 vcc_lo, exec_lo, s53
	s_cbranch_vccz .LBB72_1123
.LBB72_1066:                            ;   in Loop: Header=BB72_3 Depth=1
	s_and_saveexec_b32 s53, s64
	s_cbranch_execz .LBB72_1068
.LBB72_1067:                            ;   in Loop: Header=BB72_3 Depth=1
	v_lshl_add_u64 v[30:31], v[0:1], 3, s[86:87]
	global_store_b64 v[30:31], v[32:33], off
.LBB72_1068:                            ;   in Loop: Header=BB72_3 Depth=1
	s_wait_xcnt 0x0
	s_or_b32 exec_lo, exec_lo, s53
	global_wb scope:SCOPE_DEV
	s_wait_storecnt 0x0
	global_inv scope:SCOPE_DEV
	s_wait_loadcnt 0x0
	s_barrier_signal -1
	s_barrier_wait -1
	s_and_saveexec_b32 s53, s36
	s_cbranch_execz .LBB72_2
; %bb.1069:                             ;   in Loop: Header=BB72_3 Depth=1
	s_lshl_b64 s[54:55], s[76:77], 2
	s_delay_alu instid0(SALU_CYCLE_1)
	s_add_nc_u64 s[54:55], s[80:81], s[54:55]
	global_load_b32 v30, v5, s[54:55]
	s_wait_loadcnt 0x0
	v_add_nc_u32_e32 v30, 1, v30
	global_store_b32 v5, v30, s[54:55]
	s_branch .LBB72_2
.LBB72_1070:                            ;   in Loop: Header=BB72_3 Depth=1
	s_mov_b32 s53, exec_lo
	v_readlane_b32 s54, v106, 20
	s_and_b32 s54, s53, s54
	s_delay_alu instid0(SALU_CYCLE_1)
	s_xor_b32 s53, s54, s53
	s_mov_b32 exec_lo, s54
	s_cbranch_execz .LBB72_1074
; %bb.1071:                             ;   in Loop: Header=BB72_3 Depth=1
	s_mov_b32 s54, exec_lo
	v_readlane_b32 s55, v105, 11
	s_and_b32 s55, s54, s55
	s_delay_alu instid0(SALU_CYCLE_1)
	s_mov_b32 exec_lo, s55
; %bb.1072:                             ;   in Loop: Header=BB72_3 Depth=1
	ds_store_b64 v75, v[20:21]
; %bb.1073:                             ;   in Loop: Header=BB72_3 Depth=1
	s_or_b32 exec_lo, exec_lo, s54
.LBB72_1074:                            ;   in Loop: Header=BB72_3 Depth=1
	s_and_not1_saveexec_b32 s88, s53
	s_cbranch_execz .LBB72_1080
; %bb.1075:                             ;   in Loop: Header=BB72_3 Depth=1
	v_lshl_add_u64 v[32:33], v[12:13], 3, s[86:87]
                                        ; implicit-def: $vgpr34_vgpr35
	global_load_b64 v[32:33], v[32:33], off
	s_wait_loadcnt 0x0
	v_cmp_ngt_f32_e64 s53, |v32|, |v33|
	s_and_saveexec_b32 s54, s53
	s_delay_alu instid0(SALU_CYCLE_1)
	s_xor_b32 s53, exec_lo, s54
	s_cbranch_execz .LBB72_1077
; %bb.1076:                             ;   in Loop: Header=BB72_3 Depth=1
	v_div_scale_f32 v34, null, -v33, -v33, v32
	v_div_scale_f32 v37, vcc_lo, v32, -v33, v32
	s_delay_alu instid0(VALU_DEP_2) | instskip(SKIP_1) | instid1(TRANS32_DEP_1)
	v_rcp_f32_e32 v35, v34
	v_nop
	v_fma_f32 v36, -v34, v35, 1.0
	s_delay_alu instid0(VALU_DEP_1) | instskip(NEXT) | instid1(VALU_DEP_1)
	v_fmac_f32_e32 v35, v36, v35
	v_mul_f32_e32 v36, v37, v35
	s_delay_alu instid0(VALU_DEP_1) | instskip(NEXT) | instid1(VALU_DEP_1)
	v_fma_f32 v38, -v34, v36, v37
	v_fmac_f32_e32 v36, v38, v35
	s_delay_alu instid0(VALU_DEP_1) | instskip(NEXT) | instid1(VALU_DEP_1)
	v_fma_f32 v34, -v34, v36, v37
	v_div_fmas_f32 v34, v34, v35, v36
	s_delay_alu instid0(VALU_DEP_1) | instskip(NEXT) | instid1(VALU_DEP_1)
	v_div_fixup_f32 v34, v34, -v33, v32
	v_fma_f32 v32, v32, v34, -v33
	s_delay_alu instid0(VALU_DEP_1) | instskip(SKIP_1) | instid1(VALU_DEP_2)
	v_div_scale_f32 v33, null, v32, v32, 1.0
	v_div_scale_f32 v37, vcc_lo, 1.0, v32, 1.0
	v_rcp_f32_e32 v35, v33
	v_nop
	s_delay_alu instid0(TRANS32_DEP_1) | instskip(NEXT) | instid1(VALU_DEP_1)
	v_fma_f32 v36, -v33, v35, 1.0
	v_fmac_f32_e32 v35, v36, v35
	s_delay_alu instid0(VALU_DEP_1) | instskip(NEXT) | instid1(VALU_DEP_1)
	v_mul_f32_e32 v36, v37, v35
	v_fma_f32 v38, -v33, v36, v37
	s_delay_alu instid0(VALU_DEP_1) | instskip(NEXT) | instid1(VALU_DEP_1)
	v_fmac_f32_e32 v36, v38, v35
	v_fma_f32 v33, -v33, v36, v37
	s_delay_alu instid0(VALU_DEP_1) | instskip(NEXT) | instid1(VALU_DEP_1)
	v_div_fmas_f32 v33, v33, v35, v36
	v_div_fixup_f32 v32, v33, v32, 1.0
	s_delay_alu instid0(VALU_DEP_1)
	v_mul_f32_e32 v34, v34, v32
	v_xor_b32_e32 v35, 0x80000000, v32
                                        ; implicit-def: $vgpr32_vgpr33
.LBB72_1077:                            ;   in Loop: Header=BB72_3 Depth=1
	s_and_not1_saveexec_b32 s53, s53
	s_cbranch_execz .LBB72_1079
; %bb.1078:                             ;   in Loop: Header=BB72_3 Depth=1
	v_div_scale_f32 v34, null, v32, v32, -v33
	v_div_scale_f32 v37, vcc_lo, -v33, v32, -v33
	s_delay_alu instid0(VALU_DEP_2) | instskip(SKIP_1) | instid1(TRANS32_DEP_1)
	v_rcp_f32_e32 v35, v34
	v_nop
	v_fma_f32 v36, -v34, v35, 1.0
	s_delay_alu instid0(VALU_DEP_1) | instskip(NEXT) | instid1(VALU_DEP_1)
	v_fmac_f32_e32 v35, v36, v35
	v_mul_f32_e32 v36, v37, v35
	s_delay_alu instid0(VALU_DEP_1) | instskip(NEXT) | instid1(VALU_DEP_1)
	v_fma_f32 v38, -v34, v36, v37
	v_fmac_f32_e32 v36, v38, v35
	s_delay_alu instid0(VALU_DEP_1) | instskip(NEXT) | instid1(VALU_DEP_1)
	v_fma_f32 v34, -v34, v36, v37
	v_div_fmas_f32 v34, v34, v35, v36
	s_delay_alu instid0(VALU_DEP_1) | instskip(NEXT) | instid1(VALU_DEP_1)
	v_div_fixup_f32 v35, v34, v32, -v33
	v_fma_f32 v32, -v33, v35, v32
	s_delay_alu instid0(VALU_DEP_1) | instskip(NEXT) | instid1(VALU_DEP_1)
	v_div_scale_f32 v33, null, v32, v32, 1.0
	v_rcp_f32_e32 v34, v33
	v_nop
	s_delay_alu instid0(TRANS32_DEP_1) | instskip(NEXT) | instid1(VALU_DEP_1)
	v_fma_f32 v36, -v33, v34, 1.0
	v_fmac_f32_e32 v34, v36, v34
	v_div_scale_f32 v36, vcc_lo, 1.0, v32, 1.0
	s_delay_alu instid0(VALU_DEP_1) | instskip(NEXT) | instid1(VALU_DEP_1)
	v_mul_f32_e32 v37, v36, v34
	v_fma_f32 v38, -v33, v37, v36
	s_delay_alu instid0(VALU_DEP_1) | instskip(NEXT) | instid1(VALU_DEP_1)
	v_fmac_f32_e32 v37, v38, v34
	v_fma_f32 v33, -v33, v37, v36
	s_delay_alu instid0(VALU_DEP_1) | instskip(NEXT) | instid1(VALU_DEP_1)
	v_div_fmas_f32 v33, v33, v34, v37
	v_div_fixup_f32 v34, v33, v32, 1.0
	s_delay_alu instid0(VALU_DEP_1)
	v_mul_f32_e64 v35, v35, -v34
.LBB72_1079:                            ;   in Loop: Header=BB72_3 Depth=1
	s_or_b32 exec_lo, exec_lo, s53
	ds_store_b64 v75, v[34:35]
.LBB72_1080:                            ;   in Loop: Header=BB72_3 Depth=1
	s_or_b32 exec_lo, exec_lo, s88
	s_and_not1_saveexec_b32 s53, s64
	s_cbranch_execz .LBB72_16
.LBB72_1081:                            ;   in Loop: Header=BB72_3 Depth=1
	v_lshl_add_u64 v[32:33], v[12:13], 3, s[86:87]
	global_load_b64 v[32:33], v[32:33], off
	s_wait_loadcnt 0x0
	v_xor_b32_e32 v32, 0x80000000, v32
	ds_store_b64 v75, v[32:33]
	s_or_b32 exec_lo, exec_lo, s53
	s_and_saveexec_b32 s53, s7
	s_delay_alu instid0(SALU_CYCLE_1)
	s_xor_b32 s64, exec_lo, s53
	s_cbranch_execz .LBB72_17
.LBB72_1082:                            ;   in Loop: Header=BB72_3 Depth=1
	s_mov_b32 s53, exec_lo
	v_readlane_b32 s54, v106, 22
	s_and_b32 s54, s53, s54
	s_delay_alu instid0(SALU_CYCLE_1)
	s_xor_b32 s53, s54, s53
	s_mov_b32 exec_lo, s54
	s_cbranch_execz .LBB72_1086
; %bb.1083:                             ;   in Loop: Header=BB72_3 Depth=1
	s_mov_b32 s54, exec_lo
	v_readlane_b32 s55, v105, 12
	s_and_b32 s55, s54, s55
	s_delay_alu instid0(SALU_CYCLE_1)
	s_mov_b32 exec_lo, s55
; %bb.1084:                             ;   in Loop: Header=BB72_3 Depth=1
	ds_store_b64 v76, v[20:21]
; %bb.1085:                             ;   in Loop: Header=BB72_3 Depth=1
	s_or_b32 exec_lo, exec_lo, s54
.LBB72_1086:                            ;   in Loop: Header=BB72_3 Depth=1
	s_and_not1_saveexec_b32 s88, s53
	s_cbranch_execz .LBB72_1092
; %bb.1087:                             ;   in Loop: Header=BB72_3 Depth=1
	v_lshl_add_u64 v[32:33], v[14:15], 3, s[86:87]
                                        ; implicit-def: $vgpr34_vgpr35
	global_load_b64 v[32:33], v[32:33], off
	s_wait_loadcnt 0x0
	v_cmp_ngt_f32_e64 s53, |v32|, |v33|
	s_and_saveexec_b32 s54, s53
	s_delay_alu instid0(SALU_CYCLE_1)
	s_xor_b32 s53, exec_lo, s54
	s_cbranch_execz .LBB72_1089
; %bb.1088:                             ;   in Loop: Header=BB72_3 Depth=1
	v_div_scale_f32 v34, null, -v33, -v33, v32
	v_div_scale_f32 v37, vcc_lo, v32, -v33, v32
	s_delay_alu instid0(VALU_DEP_2) | instskip(SKIP_1) | instid1(TRANS32_DEP_1)
	v_rcp_f32_e32 v35, v34
	v_nop
	v_fma_f32 v36, -v34, v35, 1.0
	s_delay_alu instid0(VALU_DEP_1) | instskip(NEXT) | instid1(VALU_DEP_1)
	v_fmac_f32_e32 v35, v36, v35
	v_mul_f32_e32 v36, v37, v35
	s_delay_alu instid0(VALU_DEP_1) | instskip(NEXT) | instid1(VALU_DEP_1)
	v_fma_f32 v38, -v34, v36, v37
	v_fmac_f32_e32 v36, v38, v35
	s_delay_alu instid0(VALU_DEP_1) | instskip(NEXT) | instid1(VALU_DEP_1)
	v_fma_f32 v34, -v34, v36, v37
	v_div_fmas_f32 v34, v34, v35, v36
	s_delay_alu instid0(VALU_DEP_1) | instskip(NEXT) | instid1(VALU_DEP_1)
	v_div_fixup_f32 v34, v34, -v33, v32
	v_fma_f32 v32, v32, v34, -v33
	s_delay_alu instid0(VALU_DEP_1) | instskip(SKIP_1) | instid1(VALU_DEP_2)
	v_div_scale_f32 v33, null, v32, v32, 1.0
	v_div_scale_f32 v37, vcc_lo, 1.0, v32, 1.0
	v_rcp_f32_e32 v35, v33
	v_nop
	s_delay_alu instid0(TRANS32_DEP_1) | instskip(NEXT) | instid1(VALU_DEP_1)
	v_fma_f32 v36, -v33, v35, 1.0
	v_fmac_f32_e32 v35, v36, v35
	s_delay_alu instid0(VALU_DEP_1) | instskip(NEXT) | instid1(VALU_DEP_1)
	v_mul_f32_e32 v36, v37, v35
	v_fma_f32 v38, -v33, v36, v37
	s_delay_alu instid0(VALU_DEP_1) | instskip(NEXT) | instid1(VALU_DEP_1)
	v_fmac_f32_e32 v36, v38, v35
	v_fma_f32 v33, -v33, v36, v37
	s_delay_alu instid0(VALU_DEP_1) | instskip(NEXT) | instid1(VALU_DEP_1)
	v_div_fmas_f32 v33, v33, v35, v36
	v_div_fixup_f32 v32, v33, v32, 1.0
	s_delay_alu instid0(VALU_DEP_1)
	v_mul_f32_e32 v34, v34, v32
	v_xor_b32_e32 v35, 0x80000000, v32
                                        ; implicit-def: $vgpr32_vgpr33
.LBB72_1089:                            ;   in Loop: Header=BB72_3 Depth=1
	s_and_not1_saveexec_b32 s53, s53
	s_cbranch_execz .LBB72_1091
; %bb.1090:                             ;   in Loop: Header=BB72_3 Depth=1
	v_div_scale_f32 v34, null, v32, v32, -v33
	v_div_scale_f32 v37, vcc_lo, -v33, v32, -v33
	s_delay_alu instid0(VALU_DEP_2) | instskip(SKIP_1) | instid1(TRANS32_DEP_1)
	v_rcp_f32_e32 v35, v34
	v_nop
	v_fma_f32 v36, -v34, v35, 1.0
	s_delay_alu instid0(VALU_DEP_1) | instskip(NEXT) | instid1(VALU_DEP_1)
	v_fmac_f32_e32 v35, v36, v35
	v_mul_f32_e32 v36, v37, v35
	s_delay_alu instid0(VALU_DEP_1) | instskip(NEXT) | instid1(VALU_DEP_1)
	v_fma_f32 v38, -v34, v36, v37
	v_fmac_f32_e32 v36, v38, v35
	s_delay_alu instid0(VALU_DEP_1) | instskip(NEXT) | instid1(VALU_DEP_1)
	v_fma_f32 v34, -v34, v36, v37
	v_div_fmas_f32 v34, v34, v35, v36
	s_delay_alu instid0(VALU_DEP_1) | instskip(NEXT) | instid1(VALU_DEP_1)
	v_div_fixup_f32 v35, v34, v32, -v33
	v_fma_f32 v32, -v33, v35, v32
	s_delay_alu instid0(VALU_DEP_1) | instskip(NEXT) | instid1(VALU_DEP_1)
	v_div_scale_f32 v33, null, v32, v32, 1.0
	v_rcp_f32_e32 v34, v33
	v_nop
	s_delay_alu instid0(TRANS32_DEP_1) | instskip(NEXT) | instid1(VALU_DEP_1)
	v_fma_f32 v36, -v33, v34, 1.0
	v_fmac_f32_e32 v34, v36, v34
	v_div_scale_f32 v36, vcc_lo, 1.0, v32, 1.0
	s_delay_alu instid0(VALU_DEP_1) | instskip(NEXT) | instid1(VALU_DEP_1)
	v_mul_f32_e32 v37, v36, v34
	v_fma_f32 v38, -v33, v37, v36
	s_delay_alu instid0(VALU_DEP_1) | instskip(NEXT) | instid1(VALU_DEP_1)
	v_fmac_f32_e32 v37, v38, v34
	v_fma_f32 v33, -v33, v37, v36
	s_delay_alu instid0(VALU_DEP_1) | instskip(NEXT) | instid1(VALU_DEP_1)
	v_div_fmas_f32 v33, v33, v34, v37
	v_div_fixup_f32 v34, v33, v32, 1.0
	s_delay_alu instid0(VALU_DEP_1)
	v_mul_f32_e64 v35, v35, -v34
.LBB72_1091:                            ;   in Loop: Header=BB72_3 Depth=1
	s_or_b32 exec_lo, exec_lo, s53
	ds_store_b64 v76, v[34:35]
.LBB72_1092:                            ;   in Loop: Header=BB72_3 Depth=1
	s_or_b32 exec_lo, exec_lo, s88
	s_and_not1_saveexec_b32 s53, s64
	s_cbranch_execz .LBB72_18
.LBB72_1093:                            ;   in Loop: Header=BB72_3 Depth=1
	v_lshl_add_u64 v[32:33], v[14:15], 3, s[86:87]
	global_load_b64 v[32:33], v[32:33], off
	s_wait_loadcnt 0x0
	v_xor_b32_e32 v32, 0x80000000, v32
	ds_store_b64 v76, v[32:33]
	s_or_b32 exec_lo, exec_lo, s53
	s_and_saveexec_b32 s53, s8
	s_delay_alu instid0(SALU_CYCLE_1)
	s_xor_b32 s64, exec_lo, s53
	s_cbranch_execz .LBB72_19
.LBB72_1094:                            ;   in Loop: Header=BB72_3 Depth=1
	s_mov_b32 s53, exec_lo
	v_readlane_b32 s54, v106, 24
	s_and_b32 s54, s53, s54
	s_delay_alu instid0(SALU_CYCLE_1)
	s_xor_b32 s53, s54, s53
	s_mov_b32 exec_lo, s54
	s_cbranch_execz .LBB72_1098
; %bb.1095:                             ;   in Loop: Header=BB72_3 Depth=1
	s_mov_b32 s54, exec_lo
	v_readlane_b32 s55, v105, 13
	s_and_b32 s55, s54, s55
	s_delay_alu instid0(SALU_CYCLE_1)
	s_mov_b32 exec_lo, s55
; %bb.1096:                             ;   in Loop: Header=BB72_3 Depth=1
	ds_store_b64 v77, v[20:21]
; %bb.1097:                             ;   in Loop: Header=BB72_3 Depth=1
	s_or_b32 exec_lo, exec_lo, s54
.LBB72_1098:                            ;   in Loop: Header=BB72_3 Depth=1
	s_and_not1_saveexec_b32 s88, s53
	s_cbranch_execz .LBB72_1104
; %bb.1099:                             ;   in Loop: Header=BB72_3 Depth=1
	v_lshl_add_u64 v[32:33], v[16:17], 3, s[86:87]
                                        ; implicit-def: $vgpr34_vgpr35
	global_load_b64 v[32:33], v[32:33], off
	s_wait_loadcnt 0x0
	v_cmp_ngt_f32_e64 s53, |v32|, |v33|
	s_and_saveexec_b32 s54, s53
	s_delay_alu instid0(SALU_CYCLE_1)
	s_xor_b32 s53, exec_lo, s54
	s_cbranch_execz .LBB72_1101
; %bb.1100:                             ;   in Loop: Header=BB72_3 Depth=1
	v_div_scale_f32 v34, null, -v33, -v33, v32
	v_div_scale_f32 v37, vcc_lo, v32, -v33, v32
	s_delay_alu instid0(VALU_DEP_2) | instskip(SKIP_1) | instid1(TRANS32_DEP_1)
	v_rcp_f32_e32 v35, v34
	v_nop
	v_fma_f32 v36, -v34, v35, 1.0
	s_delay_alu instid0(VALU_DEP_1) | instskip(NEXT) | instid1(VALU_DEP_1)
	v_fmac_f32_e32 v35, v36, v35
	v_mul_f32_e32 v36, v37, v35
	s_delay_alu instid0(VALU_DEP_1) | instskip(NEXT) | instid1(VALU_DEP_1)
	v_fma_f32 v38, -v34, v36, v37
	v_fmac_f32_e32 v36, v38, v35
	s_delay_alu instid0(VALU_DEP_1) | instskip(NEXT) | instid1(VALU_DEP_1)
	v_fma_f32 v34, -v34, v36, v37
	v_div_fmas_f32 v34, v34, v35, v36
	s_delay_alu instid0(VALU_DEP_1) | instskip(NEXT) | instid1(VALU_DEP_1)
	v_div_fixup_f32 v34, v34, -v33, v32
	v_fma_f32 v32, v32, v34, -v33
	s_delay_alu instid0(VALU_DEP_1) | instskip(SKIP_1) | instid1(VALU_DEP_2)
	v_div_scale_f32 v33, null, v32, v32, 1.0
	v_div_scale_f32 v37, vcc_lo, 1.0, v32, 1.0
	v_rcp_f32_e32 v35, v33
	v_nop
	s_delay_alu instid0(TRANS32_DEP_1) | instskip(NEXT) | instid1(VALU_DEP_1)
	v_fma_f32 v36, -v33, v35, 1.0
	v_fmac_f32_e32 v35, v36, v35
	s_delay_alu instid0(VALU_DEP_1) | instskip(NEXT) | instid1(VALU_DEP_1)
	v_mul_f32_e32 v36, v37, v35
	v_fma_f32 v38, -v33, v36, v37
	s_delay_alu instid0(VALU_DEP_1) | instskip(NEXT) | instid1(VALU_DEP_1)
	v_fmac_f32_e32 v36, v38, v35
	v_fma_f32 v33, -v33, v36, v37
	s_delay_alu instid0(VALU_DEP_1) | instskip(NEXT) | instid1(VALU_DEP_1)
	v_div_fmas_f32 v33, v33, v35, v36
	v_div_fixup_f32 v32, v33, v32, 1.0
	s_delay_alu instid0(VALU_DEP_1)
	v_mul_f32_e32 v34, v34, v32
	v_xor_b32_e32 v35, 0x80000000, v32
                                        ; implicit-def: $vgpr32_vgpr33
.LBB72_1101:                            ;   in Loop: Header=BB72_3 Depth=1
	s_and_not1_saveexec_b32 s53, s53
	s_cbranch_execz .LBB72_1103
; %bb.1102:                             ;   in Loop: Header=BB72_3 Depth=1
	v_div_scale_f32 v34, null, v32, v32, -v33
	v_div_scale_f32 v37, vcc_lo, -v33, v32, -v33
	s_delay_alu instid0(VALU_DEP_2) | instskip(SKIP_1) | instid1(TRANS32_DEP_1)
	v_rcp_f32_e32 v35, v34
	v_nop
	v_fma_f32 v36, -v34, v35, 1.0
	s_delay_alu instid0(VALU_DEP_1) | instskip(NEXT) | instid1(VALU_DEP_1)
	v_fmac_f32_e32 v35, v36, v35
	v_mul_f32_e32 v36, v37, v35
	s_delay_alu instid0(VALU_DEP_1) | instskip(NEXT) | instid1(VALU_DEP_1)
	v_fma_f32 v38, -v34, v36, v37
	v_fmac_f32_e32 v36, v38, v35
	s_delay_alu instid0(VALU_DEP_1) | instskip(NEXT) | instid1(VALU_DEP_1)
	v_fma_f32 v34, -v34, v36, v37
	v_div_fmas_f32 v34, v34, v35, v36
	s_delay_alu instid0(VALU_DEP_1) | instskip(NEXT) | instid1(VALU_DEP_1)
	v_div_fixup_f32 v35, v34, v32, -v33
	v_fma_f32 v32, -v33, v35, v32
	s_delay_alu instid0(VALU_DEP_1) | instskip(NEXT) | instid1(VALU_DEP_1)
	v_div_scale_f32 v33, null, v32, v32, 1.0
	v_rcp_f32_e32 v34, v33
	v_nop
	s_delay_alu instid0(TRANS32_DEP_1) | instskip(NEXT) | instid1(VALU_DEP_1)
	v_fma_f32 v36, -v33, v34, 1.0
	v_fmac_f32_e32 v34, v36, v34
	v_div_scale_f32 v36, vcc_lo, 1.0, v32, 1.0
	s_delay_alu instid0(VALU_DEP_1) | instskip(NEXT) | instid1(VALU_DEP_1)
	v_mul_f32_e32 v37, v36, v34
	v_fma_f32 v38, -v33, v37, v36
	s_delay_alu instid0(VALU_DEP_1) | instskip(NEXT) | instid1(VALU_DEP_1)
	v_fmac_f32_e32 v37, v38, v34
	v_fma_f32 v33, -v33, v37, v36
	s_delay_alu instid0(VALU_DEP_1) | instskip(NEXT) | instid1(VALU_DEP_1)
	v_div_fmas_f32 v33, v33, v34, v37
	v_div_fixup_f32 v34, v33, v32, 1.0
	s_delay_alu instid0(VALU_DEP_1)
	v_mul_f32_e64 v35, v35, -v34
.LBB72_1103:                            ;   in Loop: Header=BB72_3 Depth=1
	s_or_b32 exec_lo, exec_lo, s53
	ds_store_b64 v77, v[34:35]
.LBB72_1104:                            ;   in Loop: Header=BB72_3 Depth=1
	s_or_b32 exec_lo, exec_lo, s88
	s_and_not1_saveexec_b32 s53, s64
	s_cbranch_execz .LBB72_20
.LBB72_1105:                            ;   in Loop: Header=BB72_3 Depth=1
	v_lshl_add_u64 v[32:33], v[16:17], 3, s[86:87]
	global_load_b64 v[32:33], v[32:33], off
	s_wait_loadcnt 0x0
	v_xor_b32_e32 v32, 0x80000000, v32
	ds_store_b64 v77, v[32:33]
	s_or_b32 exec_lo, exec_lo, s53
	s_and_saveexec_b32 s53, s9
	s_delay_alu instid0(SALU_CYCLE_1)
	s_xor_b32 s64, exec_lo, s53
	s_cbranch_execz .LBB72_21
.LBB72_1106:                            ;   in Loop: Header=BB72_3 Depth=1
	s_mov_b32 s53, exec_lo
	v_readlane_b32 s54, v106, 26
	s_and_b32 s54, s53, s54
	s_delay_alu instid0(SALU_CYCLE_1)
	s_xor_b32 s53, s54, s53
	s_mov_b32 exec_lo, s54
	s_cbranch_execz .LBB72_1110
; %bb.1107:                             ;   in Loop: Header=BB72_3 Depth=1
	s_mov_b32 s54, exec_lo
	v_readlane_b32 s55, v105, 14
	s_and_b32 s55, s54, s55
	s_delay_alu instid0(SALU_CYCLE_1)
	s_mov_b32 exec_lo, s55
; %bb.1108:                             ;   in Loop: Header=BB72_3 Depth=1
	ds_store_b64 v78, v[20:21]
; %bb.1109:                             ;   in Loop: Header=BB72_3 Depth=1
	s_or_b32 exec_lo, exec_lo, s54
.LBB72_1110:                            ;   in Loop: Header=BB72_3 Depth=1
	s_and_not1_saveexec_b32 s88, s53
	s_cbranch_execz .LBB72_1116
; %bb.1111:                             ;   in Loop: Header=BB72_3 Depth=1
	v_lshl_add_u64 v[32:33], v[18:19], 3, s[86:87]
                                        ; implicit-def: $vgpr34_vgpr35
	global_load_b64 v[32:33], v[32:33], off
	s_wait_loadcnt 0x0
	v_cmp_ngt_f32_e64 s53, |v32|, |v33|
	s_and_saveexec_b32 s54, s53
	s_delay_alu instid0(SALU_CYCLE_1)
	s_xor_b32 s53, exec_lo, s54
	s_cbranch_execz .LBB72_1113
; %bb.1112:                             ;   in Loop: Header=BB72_3 Depth=1
	v_div_scale_f32 v34, null, -v33, -v33, v32
	v_div_scale_f32 v37, vcc_lo, v32, -v33, v32
	s_delay_alu instid0(VALU_DEP_2) | instskip(SKIP_1) | instid1(TRANS32_DEP_1)
	v_rcp_f32_e32 v35, v34
	v_nop
	v_fma_f32 v36, -v34, v35, 1.0
	s_delay_alu instid0(VALU_DEP_1) | instskip(NEXT) | instid1(VALU_DEP_1)
	v_fmac_f32_e32 v35, v36, v35
	v_mul_f32_e32 v36, v37, v35
	s_delay_alu instid0(VALU_DEP_1) | instskip(NEXT) | instid1(VALU_DEP_1)
	v_fma_f32 v38, -v34, v36, v37
	v_fmac_f32_e32 v36, v38, v35
	s_delay_alu instid0(VALU_DEP_1) | instskip(NEXT) | instid1(VALU_DEP_1)
	v_fma_f32 v34, -v34, v36, v37
	v_div_fmas_f32 v34, v34, v35, v36
	s_delay_alu instid0(VALU_DEP_1) | instskip(NEXT) | instid1(VALU_DEP_1)
	v_div_fixup_f32 v34, v34, -v33, v32
	v_fma_f32 v32, v32, v34, -v33
	s_delay_alu instid0(VALU_DEP_1) | instskip(SKIP_1) | instid1(VALU_DEP_2)
	v_div_scale_f32 v33, null, v32, v32, 1.0
	v_div_scale_f32 v37, vcc_lo, 1.0, v32, 1.0
	v_rcp_f32_e32 v35, v33
	v_nop
	s_delay_alu instid0(TRANS32_DEP_1) | instskip(NEXT) | instid1(VALU_DEP_1)
	v_fma_f32 v36, -v33, v35, 1.0
	v_fmac_f32_e32 v35, v36, v35
	s_delay_alu instid0(VALU_DEP_1) | instskip(NEXT) | instid1(VALU_DEP_1)
	v_mul_f32_e32 v36, v37, v35
	v_fma_f32 v38, -v33, v36, v37
	s_delay_alu instid0(VALU_DEP_1) | instskip(NEXT) | instid1(VALU_DEP_1)
	v_fmac_f32_e32 v36, v38, v35
	v_fma_f32 v33, -v33, v36, v37
	s_delay_alu instid0(VALU_DEP_1) | instskip(NEXT) | instid1(VALU_DEP_1)
	v_div_fmas_f32 v33, v33, v35, v36
	v_div_fixup_f32 v32, v33, v32, 1.0
	s_delay_alu instid0(VALU_DEP_1)
	v_mul_f32_e32 v34, v34, v32
	v_xor_b32_e32 v35, 0x80000000, v32
                                        ; implicit-def: $vgpr32_vgpr33
.LBB72_1113:                            ;   in Loop: Header=BB72_3 Depth=1
	s_and_not1_saveexec_b32 s53, s53
	s_cbranch_execz .LBB72_1115
; %bb.1114:                             ;   in Loop: Header=BB72_3 Depth=1
	v_div_scale_f32 v34, null, v32, v32, -v33
	v_div_scale_f32 v37, vcc_lo, -v33, v32, -v33
	s_delay_alu instid0(VALU_DEP_2) | instskip(SKIP_1) | instid1(TRANS32_DEP_1)
	v_rcp_f32_e32 v35, v34
	v_nop
	v_fma_f32 v36, -v34, v35, 1.0
	s_delay_alu instid0(VALU_DEP_1) | instskip(NEXT) | instid1(VALU_DEP_1)
	v_fmac_f32_e32 v35, v36, v35
	v_mul_f32_e32 v36, v37, v35
	s_delay_alu instid0(VALU_DEP_1) | instskip(NEXT) | instid1(VALU_DEP_1)
	v_fma_f32 v38, -v34, v36, v37
	v_fmac_f32_e32 v36, v38, v35
	s_delay_alu instid0(VALU_DEP_1) | instskip(NEXT) | instid1(VALU_DEP_1)
	v_fma_f32 v34, -v34, v36, v37
	v_div_fmas_f32 v34, v34, v35, v36
	s_delay_alu instid0(VALU_DEP_1) | instskip(NEXT) | instid1(VALU_DEP_1)
	v_div_fixup_f32 v35, v34, v32, -v33
	v_fma_f32 v32, -v33, v35, v32
	s_delay_alu instid0(VALU_DEP_1) | instskip(NEXT) | instid1(VALU_DEP_1)
	v_div_scale_f32 v33, null, v32, v32, 1.0
	v_rcp_f32_e32 v34, v33
	v_nop
	s_delay_alu instid0(TRANS32_DEP_1) | instskip(NEXT) | instid1(VALU_DEP_1)
	v_fma_f32 v36, -v33, v34, 1.0
	v_fmac_f32_e32 v34, v36, v34
	v_div_scale_f32 v36, vcc_lo, 1.0, v32, 1.0
	s_delay_alu instid0(VALU_DEP_1) | instskip(NEXT) | instid1(VALU_DEP_1)
	v_mul_f32_e32 v37, v36, v34
	v_fma_f32 v38, -v33, v37, v36
	s_delay_alu instid0(VALU_DEP_1) | instskip(NEXT) | instid1(VALU_DEP_1)
	v_fmac_f32_e32 v37, v38, v34
	v_fma_f32 v33, -v33, v37, v36
	s_delay_alu instid0(VALU_DEP_1) | instskip(NEXT) | instid1(VALU_DEP_1)
	v_div_fmas_f32 v33, v33, v34, v37
	v_div_fixup_f32 v34, v33, v32, 1.0
	s_delay_alu instid0(VALU_DEP_1)
	v_mul_f32_e64 v35, v35, -v34
.LBB72_1115:                            ;   in Loop: Header=BB72_3 Depth=1
	s_or_b32 exec_lo, exec_lo, s53
	ds_store_b64 v78, v[34:35]
.LBB72_1116:                            ;   in Loop: Header=BB72_3 Depth=1
	s_or_b32 exec_lo, exec_lo, s88
	s_and_not1_saveexec_b32 s53, s64
	s_cbranch_execnz .LBB72_22
	s_branch .LBB72_23
.LBB72_1117:                            ;   in Loop: Header=BB72_3 Depth=1
	ds_load_b64 v[30:31], v89
	ds_load_b64 v[34:35], v81
	s_wait_dscnt 0x0
	v_dual_mul_f32 v36, v35, v31 :: v_dual_mul_f32 v31, v34, v31
	s_delay_alu instid0(VALU_DEP_1) | instskip(NEXT) | instid1(VALU_DEP_1)
	v_dual_fma_f32 v34, v34, v30, -v36 :: v_dual_fmac_f32 v31, v35, v30
	v_dual_add_f32 v30, 0, v34 :: v_dual_add_f32 v31, 0, v31
	s_or_b32 exec_lo, exec_lo, s53
	s_and_saveexec_b32 s53, s7
	s_cbranch_execz .LBB72_1048
.LBB72_1118:                            ;   in Loop: Header=BB72_3 Depth=1
	ds_load_b64 v[34:35], v89 offset:8192
	ds_load_b64 v[36:37], v81 offset:128
	s_wait_dscnt 0x0
	v_dual_mul_f32 v38, v37, v35 :: v_dual_mul_f32 v39, v36, v35
	s_delay_alu instid0(VALU_DEP_1) | instskip(NEXT) | instid1(VALU_DEP_1)
	v_dual_fma_f32 v38, v36, v34, -v38 :: v_dual_fmac_f32 v39, v37, v34
	v_pk_add_f32 v[30:31], v[30:31], v[38:39]
	s_or_b32 exec_lo, exec_lo, s53
	s_and_saveexec_b32 s53, s8
	s_cbranch_execz .LBB72_1049
.LBB72_1119:                            ;   in Loop: Header=BB72_3 Depth=1
	ds_load_b64 v[34:35], v89 offset:16384
	ds_load_b64 v[36:37], v81 offset:256
	s_wait_dscnt 0x0
	v_pk_mul_f32 v[38:39], v[36:37], v[34:35] op_sel:[1,1] op_sel_hi:[0,1]
	s_delay_alu instid0(VALU_DEP_1) | instskip(SKIP_1) | instid1(VALU_DEP_2)
	v_pk_fma_f32 v[96:97], v[36:37], v[34:35], v[38:39] op_sel_hi:[1,0,1]
	v_pk_fma_f32 v[34:35], v[36:37], v[34:35], v[38:39] neg_lo:[0,0,1] neg_hi:[0,0,1]
	v_mov_b32_e32 v35, v97
	s_delay_alu instid0(VALU_DEP_1)
	v_pk_add_f32 v[30:31], v[30:31], v[34:35]
	s_or_b32 exec_lo, exec_lo, s53
	s_and_saveexec_b32 s53, s9
	s_cbranch_execnz .LBB72_1050
	s_branch .LBB72_1051
.LBB72_1120:                            ;   in Loop: Header=BB72_3 Depth=1
	s_or_b32 exec_lo, exec_lo, s53
	s_delay_alu instid0(SALU_CYCLE_1)
	s_and_b32 vcc_lo, exec_lo, s88
	s_cbranch_vccnz .LBB72_1054
.LBB72_1121:                            ;   in Loop: Header=BB72_3 Depth=1
	v_mov_b64_e32 v[32:33], v[34:35]
	s_and_saveexec_b32 s53, s64
	s_cbranch_execnz .LBB72_1067
	s_branch .LBB72_1068
.LBB72_1122:                            ;   in Loop: Header=BB72_3 Depth=1
	s_and_not1_b32 s54, s64, exec_lo
	s_and_b32 s55, s1, exec_lo
	s_delay_alu instid0(SALU_CYCLE_1)
	s_or_b32 s64, s54, s55
	s_cbranch_execnz .LBB72_1066
.LBB72_1123:                            ;   in Loop: Header=BB72_3 Depth=1
	v_readlane_b32 s54, v106, 11
	s_and_not1_b32 s53, s64, exec_lo
	s_and_b32 s54, s54, exec_lo
	s_delay_alu instid0(SALU_CYCLE_1) | instskip(NEXT) | instid1(SALU_CYCLE_1)
	s_or_b32 s64, s53, s54
	s_and_saveexec_b32 s53, s64
	s_cbranch_execnz .LBB72_1067
	s_branch .LBB72_1068
.LBB72_1124:                            ;   in Loop: Header=BB72_3 Depth=1
	ds_load_b64 v[34:35], v50 offset:544
	ds_load_b64 v[36:37], v45 offset:8
	s_wait_dscnt 0x0
	v_pk_mul_f32 v[38:39], v[36:37], v[34:35] op_sel:[0,1]
	s_delay_alu instid0(VALU_DEP_1) | instskip(SKIP_1) | instid1(VALU_DEP_2)
	v_pk_fma_f32 v[96:97], v[36:37], v[34:35], v[38:39] op_sel:[1,0,0] op_sel_hi:[0,0,1] neg_lo:[0,0,1] neg_hi:[0,0,1]
	v_pk_fma_f32 v[34:35], v[36:37], v[34:35], v[38:39] op_sel:[1,0,0] op_sel_hi:[0,1,1]
	v_mov_b32_e32 v35, v97
	s_delay_alu instid0(VALU_DEP_1)
	v_pk_add_f32 v[32:33], v[32:33], v[34:35]
	s_or_b32 exec_lo, exec_lo, s53
	s_and_saveexec_b32 s53, s17
	s_cbranch_execz .LBB72_104
.LBB72_1125:                            ;   in Loop: Header=BB72_3 Depth=1
	ds_load_b64 v[34:35], v49 offset:1056
	ds_load_b64 v[36:37], v45 offset:16
	s_wait_dscnt 0x0
	v_pk_mul_f32 v[38:39], v[36:37], v[34:35] op_sel:[0,1]
	s_delay_alu instid0(VALU_DEP_1) | instskip(SKIP_1) | instid1(VALU_DEP_2)
	v_pk_fma_f32 v[96:97], v[36:37], v[34:35], v[38:39] op_sel:[1,0,0] op_sel_hi:[0,0,1] neg_lo:[0,0,1] neg_hi:[0,0,1]
	v_pk_fma_f32 v[34:35], v[36:37], v[34:35], v[38:39] op_sel:[1,0,0] op_sel_hi:[0,1,1]
	v_mov_b32_e32 v35, v97
	s_delay_alu instid0(VALU_DEP_1)
	v_pk_add_f32 v[32:33], v[32:33], v[34:35]
	s_or_b32 exec_lo, exec_lo, s53
	s_and_saveexec_b32 s53, s0
	s_cbranch_execnz .LBB72_105
	s_branch .LBB72_106
.LBB72_1126:                            ;   in Loop: Header=BB72_3 Depth=1
	ds_load_b64 v[34:35], v60 offset:576
	ds_load_b64 v[36:37], v55 offset:8
	s_wait_dscnt 0x0
	v_dual_mul_f32 v38, v37, v35 :: v_dual_mul_f32 v35, v36, v35
	s_delay_alu instid0(VALU_DEP_1) | instskip(NEXT) | instid1(VALU_DEP_1)
	v_dual_fma_f32 v36, v36, v34, -v38 :: v_dual_fmac_f32 v35, v37, v34
	v_dual_add_f32 v33, v33, v36 :: v_dual_add_f32 v32, v32, v35
	s_or_b32 exec_lo, exec_lo, s53
	s_and_saveexec_b32 s53, s19
	s_cbranch_execz .LBB72_146
.LBB72_1127:                            ;   in Loop: Header=BB72_3 Depth=1
	ds_load_b64 v[34:35], v60 offset:1088
	ds_load_b64 v[36:37], v55 offset:16
	s_wait_dscnt 0x0
	v_dual_mul_f32 v38, v37, v35 :: v_dual_mul_f32 v35, v36, v35
	s_delay_alu instid0(VALU_DEP_1) | instskip(NEXT) | instid1(VALU_DEP_1)
	v_dual_fma_f32 v36, v36, v34, -v38 :: v_dual_fmac_f32 v35, v37, v34
	v_dual_add_f32 v33, v33, v36 :: v_dual_add_f32 v32, v32, v35
	s_or_b32 exec_lo, exec_lo, s53
	s_and_saveexec_b32 s53, s20
	s_cbranch_execz .LBB72_147
.LBB72_1128:                            ;   in Loop: Header=BB72_3 Depth=1
	ds_load_b64 v[34:35], v60 offset:1600
	ds_load_b64 v[36:37], v55 offset:24
	s_wait_dscnt 0x0
	v_dual_mul_f32 v38, v37, v35 :: v_dual_mul_f32 v35, v36, v35
	s_delay_alu instid0(VALU_DEP_1) | instskip(NEXT) | instid1(VALU_DEP_1)
	v_dual_fma_f32 v36, v36, v34, -v38 :: v_dual_fmac_f32 v35, v37, v34
	v_dual_add_f32 v33, v33, v36 :: v_dual_add_f32 v32, v32, v35
	s_or_b32 exec_lo, exec_lo, s53
	s_and_saveexec_b32 s53, s21
	s_cbranch_execz .LBB72_148
.LBB72_1129:                            ;   in Loop: Header=BB72_3 Depth=1
	ds_load_b64 v[34:35], v59 offset:2112
	ds_load_b64 v[36:37], v55 offset:32
	s_wait_dscnt 0x0
	v_dual_mul_f32 v39, v37, v35 :: v_dual_mul_f32 v38, v36, v35
	s_delay_alu instid0(VALU_DEP_1) | instskip(NEXT) | instid1(VALU_DEP_1)
	v_dual_fma_f32 v39, v36, v34, -v39 :: v_dual_fmac_f32 v38, v37, v34
	v_pk_add_f32 v[32:33], v[32:33], v[38:39]
	s_or_b32 exec_lo, exec_lo, s53
	s_and_saveexec_b32 s53, s22
	s_cbranch_execz .LBB72_149
.LBB72_1130:                            ;   in Loop: Header=BB72_3 Depth=1
	ds_load_b64 v[34:35], v60 offset:2624
	ds_load_b64 v[36:37], v55 offset:40
	s_wait_dscnt 0x0
	v_pk_mul_f32 v[38:39], v[36:37], v[34:35] op_sel:[0,1]
	s_delay_alu instid0(VALU_DEP_1) | instskip(SKIP_1) | instid1(VALU_DEP_2)
	v_pk_fma_f32 v[96:97], v[36:37], v[34:35], v[38:39] op_sel:[1,0,0] op_sel_hi:[0,0,1] neg_lo:[0,0,1] neg_hi:[0,0,1]
	v_pk_fma_f32 v[34:35], v[36:37], v[34:35], v[38:39] op_sel:[1,0,0] op_sel_hi:[0,1,1]
	v_mov_b32_e32 v35, v97
	s_delay_alu instid0(VALU_DEP_1)
	v_pk_add_f32 v[32:33], v[32:33], v[34:35]
	s_or_b32 exec_lo, exec_lo, s53
	s_and_saveexec_b32 s53, s2
	s_cbranch_execz .LBB72_150
.LBB72_1131:                            ;   in Loop: Header=BB72_3 Depth=1
	ds_load_b64 v[34:35], v59 offset:3136
	ds_load_b64 v[36:37], v55 offset:48
	s_wait_dscnt 0x0
	v_pk_mul_f32 v[38:39], v[36:37], v[34:35] op_sel:[0,1]
	s_delay_alu instid0(VALU_DEP_1) | instskip(SKIP_1) | instid1(VALU_DEP_2)
	v_pk_fma_f32 v[96:97], v[36:37], v[34:35], v[38:39] op_sel:[1,0,0] op_sel_hi:[0,0,1] neg_lo:[0,0,1] neg_hi:[0,0,1]
	v_pk_fma_f32 v[34:35], v[36:37], v[34:35], v[38:39] op_sel:[1,0,0] op_sel_hi:[0,1,1]
	v_mov_b32_e32 v35, v97
	s_delay_alu instid0(VALU_DEP_1)
	v_pk_add_f32 v[32:33], v[32:33], v[34:35]
	s_or_b32 exec_lo, exec_lo, s53
	s_and_saveexec_b32 s53, s17
	s_cbranch_execnz .LBB72_151
	s_branch .LBB72_152
.LBB72_1132:                            ;   in Loop: Header=BB72_3 Depth=1
	ds_load_b64 v[34:35], v50 offset:4704
	ds_load_b64 v[36:37], v45 offset:4168
	s_wait_dscnt 0x0
	v_pk_mul_f32 v[38:39], v[36:37], v[34:35] op_sel:[0,1]
	s_delay_alu instid0(VALU_DEP_1) | instskip(SKIP_1) | instid1(VALU_DEP_2)
	v_pk_fma_f32 v[96:97], v[36:37], v[34:35], v[38:39] op_sel:[1,0,0] op_sel_hi:[0,0,1] neg_lo:[0,0,1] neg_hi:[0,0,1]
	v_pk_fma_f32 v[34:35], v[36:37], v[34:35], v[38:39] op_sel:[1,0,0] op_sel_hi:[0,1,1]
	v_mov_b32_e32 v35, v97
	s_delay_alu instid0(VALU_DEP_1)
	v_pk_add_f32 v[32:33], v[32:33], v[34:35]
	s_or_b32 exec_lo, exec_lo, s53
	s_and_saveexec_b32 s53, s17
	s_cbranch_execz .LBB72_208
.LBB72_1133:                            ;   in Loop: Header=BB72_3 Depth=1
	ds_load_b64 v[34:35], v49 offset:5216
	ds_load_b64 v[36:37], v45 offset:4176
	s_wait_dscnt 0x0
	v_pk_mul_f32 v[38:39], v[36:37], v[34:35] op_sel:[0,1]
	s_delay_alu instid0(VALU_DEP_1) | instskip(SKIP_1) | instid1(VALU_DEP_2)
	v_pk_fma_f32 v[96:97], v[36:37], v[34:35], v[38:39] op_sel:[1,0,0] op_sel_hi:[0,0,1] neg_lo:[0,0,1] neg_hi:[0,0,1]
	v_pk_fma_f32 v[34:35], v[36:37], v[34:35], v[38:39] op_sel:[1,0,0] op_sel_hi:[0,1,1]
	v_mov_b32_e32 v35, v97
	s_delay_alu instid0(VALU_DEP_1)
	v_pk_add_f32 v[32:33], v[32:33], v[34:35]
	s_or_b32 exec_lo, exec_lo, s53
	s_and_saveexec_b32 s53, s0
	s_cbranch_execnz .LBB72_209
	s_branch .LBB72_210
.LBB72_1134:                            ;   in Loop: Header=BB72_3 Depth=1
	ds_load_b64 v[34:35], v69 offset:5760
	ds_load_b64 v[36:37], v64 offset:88
	s_wait_dscnt 0x0
	v_dual_mul_f32 v38, v37, v35 :: v_dual_mul_f32 v35, v36, v35
	s_delay_alu instid0(VALU_DEP_1) | instskip(NEXT) | instid1(VALU_DEP_1)
	v_dual_fma_f32 v36, v36, v34, -v38 :: v_dual_fmac_f32 v35, v37, v34
	v_dual_add_f32 v33, v33, v36 :: v_dual_add_f32 v32, v32, v35
	s_or_b32 exec_lo, exec_lo, s53
	s_and_saveexec_b32 s53, s3
	s_cbranch_execz .LBB72_270
.LBB72_1135:                            ;   in Loop: Header=BB72_3 Depth=1
	ds_load_b64 v[34:35], v68 offset:6272
	ds_load_b64 v[36:37], v64 offset:96
	s_wait_dscnt 0x0
	v_dual_mul_f32 v39, v37, v35 :: v_dual_mul_f32 v38, v36, v35
	s_delay_alu instid0(VALU_DEP_1) | instskip(NEXT) | instid1(VALU_DEP_1)
	v_dual_fma_f32 v39, v36, v34, -v39 :: v_dual_fmac_f32 v38, v37, v34
	v_pk_add_f32 v[32:33], v[32:33], v[38:39]
	s_or_b32 exec_lo, exec_lo, s53
	s_and_saveexec_b32 s53, s19
	s_cbranch_execz .LBB72_271
.LBB72_1136:                            ;   in Loop: Header=BB72_3 Depth=1
	ds_load_b64 v[34:35], v69 offset:6784
	ds_load_b64 v[36:37], v64 offset:104
	s_wait_dscnt 0x0
	v_pk_mul_f32 v[38:39], v[36:37], v[34:35] op_sel:[0,1]
	s_delay_alu instid0(VALU_DEP_1) | instskip(SKIP_1) | instid1(VALU_DEP_2)
	v_pk_fma_f32 v[96:97], v[36:37], v[34:35], v[38:39] op_sel:[1,0,0] op_sel_hi:[0,0,1] neg_lo:[0,0,1] neg_hi:[0,0,1]
	v_pk_fma_f32 v[34:35], v[36:37], v[34:35], v[38:39] op_sel:[1,0,0] op_sel_hi:[0,1,1]
	v_mov_b32_e32 v35, v97
	s_delay_alu instid0(VALU_DEP_1)
	v_pk_add_f32 v[32:33], v[32:33], v[34:35]
	s_or_b32 exec_lo, exec_lo, s53
	s_and_saveexec_b32 s53, s21
	s_cbranch_execz .LBB72_272
.LBB72_1137:                            ;   in Loop: Header=BB72_3 Depth=1
	ds_load_b64 v[34:35], v68 offset:7296
	ds_load_b64 v[36:37], v64 offset:112
	s_wait_dscnt 0x0
	v_pk_mul_f32 v[38:39], v[36:37], v[34:35] op_sel:[0,1]
	s_delay_alu instid0(VALU_DEP_1) | instskip(SKIP_1) | instid1(VALU_DEP_2)
	v_pk_fma_f32 v[96:97], v[36:37], v[34:35], v[38:39] op_sel:[1,0,0] op_sel_hi:[0,0,1] neg_lo:[0,0,1] neg_hi:[0,0,1]
	v_pk_fma_f32 v[34:35], v[36:37], v[34:35], v[38:39] op_sel:[1,0,0] op_sel_hi:[0,1,1]
	v_mov_b32_e32 v35, v97
	s_delay_alu instid0(VALU_DEP_1)
	v_pk_add_f32 v[32:33], v[32:33], v[34:35]
	s_or_b32 exec_lo, exec_lo, s53
	s_and_saveexec_b32 s53, s2
	s_cbranch_execnz .LBB72_273
	s_branch .LBB72_274
.LBB72_1138:                            ;   in Loop: Header=BB72_3 Depth=1
	ds_load_b64 v[34:35], v50 offset:8864
	ds_load_b64 v[36:37], v45 offset:8328
	s_wait_dscnt 0x0
	v_pk_mul_f32 v[38:39], v[36:37], v[34:35] op_sel:[0,1]
	s_delay_alu instid0(VALU_DEP_1) | instskip(SKIP_1) | instid1(VALU_DEP_2)
	v_pk_fma_f32 v[96:97], v[36:37], v[34:35], v[38:39] op_sel:[1,0,0] op_sel_hi:[0,0,1] neg_lo:[0,0,1] neg_hi:[0,0,1]
	v_pk_fma_f32 v[34:35], v[36:37], v[34:35], v[38:39] op_sel:[1,0,0] op_sel_hi:[0,1,1]
	v_mov_b32_e32 v35, v97
	s_delay_alu instid0(VALU_DEP_1)
	v_pk_add_f32 v[32:33], v[32:33], v[34:35]
	s_or_b32 exec_lo, exec_lo, s53
	s_and_saveexec_b32 s53, s17
	s_cbranch_execz .LBB72_362
.LBB72_1139:                            ;   in Loop: Header=BB72_3 Depth=1
	ds_load_b64 v[34:35], v49 offset:9376
	ds_load_b64 v[36:37], v45 offset:8336
	s_wait_dscnt 0x0
	v_pk_mul_f32 v[38:39], v[36:37], v[34:35] op_sel:[0,1]
	s_delay_alu instid0(VALU_DEP_1) | instskip(SKIP_1) | instid1(VALU_DEP_2)
	v_pk_fma_f32 v[96:97], v[36:37], v[34:35], v[38:39] op_sel:[1,0,0] op_sel_hi:[0,0,1] neg_lo:[0,0,1] neg_hi:[0,0,1]
	v_pk_fma_f32 v[34:35], v[36:37], v[34:35], v[38:39] op_sel:[1,0,0] op_sel_hi:[0,1,1]
	v_mov_b32_e32 v35, v97
	s_delay_alu instid0(VALU_DEP_1)
	v_pk_add_f32 v[32:33], v[32:33], v[34:35]
	s_or_b32 exec_lo, exec_lo, s53
	s_and_saveexec_b32 s53, s0
	s_cbranch_execnz .LBB72_363
	s_branch .LBB72_364
.LBB72_1140:                            ;   in Loop: Header=BB72_3 Depth=1
	ds_load_b64 v[34:35], v60 offset:8896
	ds_load_b64 v[36:37], v55 offset:8328
	s_wait_dscnt 0x0
	v_dual_mul_f32 v38, v37, v35 :: v_dual_mul_f32 v35, v36, v35
	s_delay_alu instid0(VALU_DEP_1) | instskip(NEXT) | instid1(VALU_DEP_1)
	v_dual_fma_f32 v36, v36, v34, -v38 :: v_dual_fmac_f32 v35, v37, v34
	v_dual_add_f32 v33, v33, v36 :: v_dual_add_f32 v32, v32, v35
	s_or_b32 exec_lo, exec_lo, s53
	s_and_saveexec_b32 s53, s19
	s_cbranch_execz .LBB72_404
.LBB72_1141:                            ;   in Loop: Header=BB72_3 Depth=1
	ds_load_b64 v[34:35], v60 offset:9408
	ds_load_b64 v[36:37], v55 offset:8336
	s_wait_dscnt 0x0
	v_dual_mul_f32 v38, v37, v35 :: v_dual_mul_f32 v35, v36, v35
	s_delay_alu instid0(VALU_DEP_1) | instskip(NEXT) | instid1(VALU_DEP_1)
	v_dual_fma_f32 v36, v36, v34, -v38 :: v_dual_fmac_f32 v35, v37, v34
	v_dual_add_f32 v33, v33, v36 :: v_dual_add_f32 v32, v32, v35
	s_or_b32 exec_lo, exec_lo, s53
	s_and_saveexec_b32 s53, s20
	s_cbranch_execz .LBB72_405
.LBB72_1142:                            ;   in Loop: Header=BB72_3 Depth=1
	ds_load_b64 v[34:35], v60 offset:9920
	ds_load_b64 v[36:37], v55 offset:8344
	s_wait_dscnt 0x0
	v_dual_mul_f32 v38, v37, v35 :: v_dual_mul_f32 v35, v36, v35
	s_delay_alu instid0(VALU_DEP_1) | instskip(NEXT) | instid1(VALU_DEP_1)
	v_dual_fma_f32 v36, v36, v34, -v38 :: v_dual_fmac_f32 v35, v37, v34
	v_dual_add_f32 v33, v33, v36 :: v_dual_add_f32 v32, v32, v35
	s_or_b32 exec_lo, exec_lo, s53
	s_and_saveexec_b32 s53, s21
	s_cbranch_execz .LBB72_406
.LBB72_1143:                            ;   in Loop: Header=BB72_3 Depth=1
	ds_load_b64 v[34:35], v59 offset:10432
	ds_load_b64 v[36:37], v55 offset:8352
	s_wait_dscnt 0x0
	v_dual_mul_f32 v39, v37, v35 :: v_dual_mul_f32 v38, v36, v35
	s_delay_alu instid0(VALU_DEP_1) | instskip(NEXT) | instid1(VALU_DEP_1)
	v_dual_fma_f32 v39, v36, v34, -v39 :: v_dual_fmac_f32 v38, v37, v34
	v_pk_add_f32 v[32:33], v[32:33], v[38:39]
	s_or_b32 exec_lo, exec_lo, s53
	s_and_saveexec_b32 s53, s22
	s_cbranch_execz .LBB72_407
.LBB72_1144:                            ;   in Loop: Header=BB72_3 Depth=1
	ds_load_b64 v[34:35], v60 offset:10944
	ds_load_b64 v[36:37], v55 offset:8360
	s_wait_dscnt 0x0
	v_pk_mul_f32 v[38:39], v[36:37], v[34:35] op_sel:[0,1]
	s_delay_alu instid0(VALU_DEP_1) | instskip(SKIP_1) | instid1(VALU_DEP_2)
	v_pk_fma_f32 v[96:97], v[36:37], v[34:35], v[38:39] op_sel:[1,0,0] op_sel_hi:[0,0,1] neg_lo:[0,0,1] neg_hi:[0,0,1]
	v_pk_fma_f32 v[34:35], v[36:37], v[34:35], v[38:39] op_sel:[1,0,0] op_sel_hi:[0,1,1]
	v_mov_b32_e32 v35, v97
	s_delay_alu instid0(VALU_DEP_1)
	v_pk_add_f32 v[32:33], v[32:33], v[34:35]
	s_or_b32 exec_lo, exec_lo, s53
	s_and_saveexec_b32 s53, s2
	s_cbranch_execz .LBB72_408
.LBB72_1145:                            ;   in Loop: Header=BB72_3 Depth=1
	ds_load_b64 v[34:35], v59 offset:11456
	ds_load_b64 v[36:37], v55 offset:8368
	s_wait_dscnt 0x0
	v_pk_mul_f32 v[38:39], v[36:37], v[34:35] op_sel:[0,1]
	s_delay_alu instid0(VALU_DEP_1) | instskip(SKIP_1) | instid1(VALU_DEP_2)
	v_pk_fma_f32 v[96:97], v[36:37], v[34:35], v[38:39] op_sel:[1,0,0] op_sel_hi:[0,0,1] neg_lo:[0,0,1] neg_hi:[0,0,1]
	v_pk_fma_f32 v[34:35], v[36:37], v[34:35], v[38:39] op_sel:[1,0,0] op_sel_hi:[0,1,1]
	v_mov_b32_e32 v35, v97
	s_delay_alu instid0(VALU_DEP_1)
	v_pk_add_f32 v[32:33], v[32:33], v[34:35]
	s_or_b32 exec_lo, exec_lo, s53
	s_and_saveexec_b32 s53, s17
	s_cbranch_execnz .LBB72_409
	s_branch .LBB72_410
.LBB72_1146:                            ;   in Loop: Header=BB72_3 Depth=1
	ds_load_b64 v[34:35], v50 offset:13024
	ds_load_b64 v[36:37], v45 offset:12488
	s_wait_dscnt 0x0
	v_pk_mul_f32 v[38:39], v[36:37], v[34:35] op_sel:[0,1]
	s_delay_alu instid0(VALU_DEP_1) | instskip(SKIP_1) | instid1(VALU_DEP_2)
	v_pk_fma_f32 v[96:97], v[36:37], v[34:35], v[38:39] op_sel:[1,0,0] op_sel_hi:[0,0,1] neg_lo:[0,0,1] neg_hi:[0,0,1]
	v_pk_fma_f32 v[34:35], v[36:37], v[34:35], v[38:39] op_sel:[1,0,0] op_sel_hi:[0,1,1]
	v_mov_b32_e32 v35, v97
	s_delay_alu instid0(VALU_DEP_1)
	v_pk_add_f32 v[32:33], v[32:33], v[34:35]
	s_or_b32 exec_lo, exec_lo, s53
	s_and_saveexec_b32 s53, s17
	s_cbranch_execz .LBB72_466
.LBB72_1147:                            ;   in Loop: Header=BB72_3 Depth=1
	ds_load_b64 v[34:35], v49 offset:13536
	ds_load_b64 v[36:37], v45 offset:12496
	s_wait_dscnt 0x0
	v_pk_mul_f32 v[38:39], v[36:37], v[34:35] op_sel:[0,1]
	s_delay_alu instid0(VALU_DEP_1) | instskip(SKIP_1) | instid1(VALU_DEP_2)
	v_pk_fma_f32 v[96:97], v[36:37], v[34:35], v[38:39] op_sel:[1,0,0] op_sel_hi:[0,0,1] neg_lo:[0,0,1] neg_hi:[0,0,1]
	v_pk_fma_f32 v[34:35], v[36:37], v[34:35], v[38:39] op_sel:[1,0,0] op_sel_hi:[0,1,1]
	v_mov_b32_e32 v35, v97
	s_delay_alu instid0(VALU_DEP_1)
	v_pk_add_f32 v[32:33], v[32:33], v[34:35]
	s_or_b32 exec_lo, exec_lo, s53
	s_and_saveexec_b32 s53, s0
	s_cbranch_execnz .LBB72_467
	s_branch .LBB72_468
.LBB72_1148:                            ;   in Loop: Header=BB72_3 Depth=1
	ds_load_b64 v[36:37], v35 offset:15104
	ds_load_b64 v[38:39], v34 offset:232
	s_wait_dscnt 0x0
	v_pk_mul_f32 v[96:97], v[38:39], v[36:37] op_sel:[1,1] op_sel_hi:[0,1]
	s_delay_alu instid0(VALU_DEP_1) | instskip(SKIP_1) | instid1(VALU_DEP_2)
	v_pk_fma_f32 v[98:99], v[38:39], v[36:37], v[96:97] op_sel_hi:[1,0,1]
	v_pk_fma_f32 v[36:37], v[38:39], v[36:37], v[96:97] neg_lo:[0,0,1] neg_hi:[0,0,1]
	v_mov_b32_e32 v37, v99
	s_delay_alu instid0(VALU_DEP_1)
	v_pk_add_f32 v[32:33], v[32:33], v[36:37]
	s_or_b32 exec_lo, exec_lo, s53
	s_and_saveexec_b32 s53, s3
	s_cbranch_execz .LBB72_564
.LBB72_1149:                            ;   in Loop: Header=BB72_3 Depth=1
	ds_load_b64 v[36:37], v35 offset:15616
	ds_load_b64 v[38:39], v34 offset:240
	s_wait_dscnt 0x0
	v_pk_mul_f32 v[96:97], v[38:39], v[36:37] op_sel:[1,1] op_sel_hi:[0,1]
	s_delay_alu instid0(VALU_DEP_1) | instskip(SKIP_1) | instid1(VALU_DEP_2)
	v_pk_fma_f32 v[98:99], v[38:39], v[36:37], v[96:97] op_sel_hi:[1,0,1]
	v_pk_fma_f32 v[36:37], v[38:39], v[36:37], v[96:97] neg_lo:[0,0,1] neg_hi:[0,0,1]
	v_mov_b32_e32 v37, v99
	s_delay_alu instid0(VALU_DEP_1)
	v_pk_add_f32 v[32:33], v[32:33], v[36:37]
	s_or_b32 exec_lo, exec_lo, s53
	s_and_saveexec_b32 s53, s21
	s_cbranch_execnz .LBB72_565
	s_branch .LBB72_566
.LBB72_1150:                            ;   in Loop: Header=BB72_3 Depth=1
	ds_load_b64 v[34:35], v50 offset:17184
	ds_load_b64 v[36:37], v45 offset:16648
	s_wait_dscnt 0x0
	v_pk_mul_f32 v[38:39], v[36:37], v[34:35] op_sel:[0,1]
	s_delay_alu instid0(VALU_DEP_1) | instskip(SKIP_1) | instid1(VALU_DEP_2)
	v_pk_fma_f32 v[96:97], v[36:37], v[34:35], v[38:39] op_sel:[1,0,0] op_sel_hi:[0,0,1] neg_lo:[0,0,1] neg_hi:[0,0,1]
	v_pk_fma_f32 v[34:35], v[36:37], v[34:35], v[38:39] op_sel:[1,0,0] op_sel_hi:[0,1,1]
	v_mov_b32_e32 v35, v97
	s_delay_alu instid0(VALU_DEP_1)
	v_pk_add_f32 v[32:33], v[32:33], v[34:35]
	s_or_b32 exec_lo, exec_lo, s53
	s_and_saveexec_b32 s53, s17
	s_cbranch_execz .LBB72_602
.LBB72_1151:                            ;   in Loop: Header=BB72_3 Depth=1
	ds_load_b64 v[34:35], v49 offset:17696
	ds_load_b64 v[36:37], v45 offset:16656
	s_wait_dscnt 0x0
	v_pk_mul_f32 v[38:39], v[36:37], v[34:35] op_sel:[0,1]
	s_delay_alu instid0(VALU_DEP_1) | instskip(SKIP_1) | instid1(VALU_DEP_2)
	v_pk_fma_f32 v[96:97], v[36:37], v[34:35], v[38:39] op_sel:[1,0,0] op_sel_hi:[0,0,1] neg_lo:[0,0,1] neg_hi:[0,0,1]
	v_pk_fma_f32 v[34:35], v[36:37], v[34:35], v[38:39] op_sel:[1,0,0] op_sel_hi:[0,1,1]
	v_mov_b32_e32 v35, v97
	s_delay_alu instid0(VALU_DEP_1)
	v_pk_add_f32 v[32:33], v[32:33], v[34:35]
	s_or_b32 exec_lo, exec_lo, s53
	s_and_saveexec_b32 s53, s0
	s_cbranch_execnz .LBB72_603
	s_branch .LBB72_604
.LBB72_1152:                            ;   in Loop: Header=BB72_3 Depth=1
	ds_load_b64 v[34:35], v60 offset:17216
	ds_load_b64 v[36:37], v55 offset:16648
	s_wait_dscnt 0x0
	v_dual_mul_f32 v38, v37, v35 :: v_dual_mul_f32 v35, v36, v35
	s_delay_alu instid0(VALU_DEP_1) | instskip(NEXT) | instid1(VALU_DEP_1)
	v_dual_fma_f32 v36, v36, v34, -v38 :: v_dual_fmac_f32 v35, v37, v34
	v_dual_add_f32 v33, v33, v36 :: v_dual_add_f32 v32, v32, v35
	s_or_b32 exec_lo, exec_lo, s53
	s_and_saveexec_b32 s53, s19
	s_cbranch_execz .LBB72_644
.LBB72_1153:                            ;   in Loop: Header=BB72_3 Depth=1
	ds_load_b64 v[34:35], v60 offset:17728
	ds_load_b64 v[36:37], v55 offset:16656
	s_wait_dscnt 0x0
	v_dual_mul_f32 v38, v37, v35 :: v_dual_mul_f32 v35, v36, v35
	s_delay_alu instid0(VALU_DEP_1) | instskip(NEXT) | instid1(VALU_DEP_1)
	v_dual_fma_f32 v36, v36, v34, -v38 :: v_dual_fmac_f32 v35, v37, v34
	v_dual_add_f32 v33, v33, v36 :: v_dual_add_f32 v32, v32, v35
	s_or_b32 exec_lo, exec_lo, s53
	s_and_saveexec_b32 s53, s20
	s_cbranch_execz .LBB72_645
.LBB72_1154:                            ;   in Loop: Header=BB72_3 Depth=1
	ds_load_b64 v[34:35], v60 offset:18240
	ds_load_b64 v[36:37], v55 offset:16664
	s_wait_dscnt 0x0
	v_dual_mul_f32 v38, v37, v35 :: v_dual_mul_f32 v35, v36, v35
	s_delay_alu instid0(VALU_DEP_1) | instskip(NEXT) | instid1(VALU_DEP_1)
	v_dual_fma_f32 v36, v36, v34, -v38 :: v_dual_fmac_f32 v35, v37, v34
	v_dual_add_f32 v33, v33, v36 :: v_dual_add_f32 v32, v32, v35
	s_or_b32 exec_lo, exec_lo, s53
	s_and_saveexec_b32 s53, s21
	s_cbranch_execz .LBB72_646
.LBB72_1155:                            ;   in Loop: Header=BB72_3 Depth=1
	ds_load_b64 v[34:35], v59 offset:18752
	ds_load_b64 v[36:37], v55 offset:16672
	s_wait_dscnt 0x0
	v_dual_mul_f32 v39, v37, v35 :: v_dual_mul_f32 v38, v36, v35
	s_delay_alu instid0(VALU_DEP_1) | instskip(NEXT) | instid1(VALU_DEP_1)
	v_dual_fma_f32 v39, v36, v34, -v39 :: v_dual_fmac_f32 v38, v37, v34
	v_pk_add_f32 v[32:33], v[32:33], v[38:39]
	s_or_b32 exec_lo, exec_lo, s53
	s_and_saveexec_b32 s53, s22
	s_cbranch_execz .LBB72_647
.LBB72_1156:                            ;   in Loop: Header=BB72_3 Depth=1
	ds_load_b64 v[34:35], v60 offset:19264
	ds_load_b64 v[36:37], v55 offset:16680
	s_wait_dscnt 0x0
	v_pk_mul_f32 v[38:39], v[36:37], v[34:35] op_sel:[0,1]
	s_delay_alu instid0(VALU_DEP_1) | instskip(SKIP_1) | instid1(VALU_DEP_2)
	v_pk_fma_f32 v[96:97], v[36:37], v[34:35], v[38:39] op_sel:[1,0,0] op_sel_hi:[0,0,1] neg_lo:[0,0,1] neg_hi:[0,0,1]
	v_pk_fma_f32 v[34:35], v[36:37], v[34:35], v[38:39] op_sel:[1,0,0] op_sel_hi:[0,1,1]
	v_mov_b32_e32 v35, v97
	s_delay_alu instid0(VALU_DEP_1)
	v_pk_add_f32 v[32:33], v[32:33], v[34:35]
	s_or_b32 exec_lo, exec_lo, s53
	s_and_saveexec_b32 s53, s2
	s_cbranch_execz .LBB72_648
.LBB72_1157:                            ;   in Loop: Header=BB72_3 Depth=1
	ds_load_b64 v[34:35], v59 offset:19776
	ds_load_b64 v[36:37], v55 offset:16688
	s_wait_dscnt 0x0
	v_pk_mul_f32 v[38:39], v[36:37], v[34:35] op_sel:[0,1]
	s_delay_alu instid0(VALU_DEP_1) | instskip(SKIP_1) | instid1(VALU_DEP_2)
	v_pk_fma_f32 v[96:97], v[36:37], v[34:35], v[38:39] op_sel:[1,0,0] op_sel_hi:[0,0,1] neg_lo:[0,0,1] neg_hi:[0,0,1]
	v_pk_fma_f32 v[34:35], v[36:37], v[34:35], v[38:39] op_sel:[1,0,0] op_sel_hi:[0,1,1]
	v_mov_b32_e32 v35, v97
	s_delay_alu instid0(VALU_DEP_1)
	v_pk_add_f32 v[32:33], v[32:33], v[34:35]
	s_or_b32 exec_lo, exec_lo, s53
	s_and_saveexec_b32 s53, s17
	s_cbranch_execnz .LBB72_649
	s_branch .LBB72_650
.LBB72_1158:                            ;   in Loop: Header=BB72_3 Depth=1
	ds_load_b64 v[34:35], v50 offset:21344
	ds_load_b64 v[36:37], v45 offset:20808
	s_wait_dscnt 0x0
	v_pk_mul_f32 v[38:39], v[36:37], v[34:35] op_sel:[0,1]
	s_delay_alu instid0(VALU_DEP_1) | instskip(SKIP_1) | instid1(VALU_DEP_2)
	v_pk_fma_f32 v[96:97], v[36:37], v[34:35], v[38:39] op_sel:[1,0,0] op_sel_hi:[0,0,1] neg_lo:[0,0,1] neg_hi:[0,0,1]
	v_pk_fma_f32 v[34:35], v[36:37], v[34:35], v[38:39] op_sel:[1,0,0] op_sel_hi:[0,1,1]
	v_mov_b32_e32 v35, v97
	s_delay_alu instid0(VALU_DEP_1)
	v_pk_add_f32 v[32:33], v[32:33], v[34:35]
	s_or_b32 exec_lo, exec_lo, s53
	s_and_saveexec_b32 s53, s17
	s_cbranch_execz .LBB72_706
.LBB72_1159:                            ;   in Loop: Header=BB72_3 Depth=1
	ds_load_b64 v[34:35], v49 offset:21856
	ds_load_b64 v[36:37], v45 offset:20816
	s_wait_dscnt 0x0
	v_pk_mul_f32 v[38:39], v[36:37], v[34:35] op_sel:[0,1]
	s_delay_alu instid0(VALU_DEP_1) | instskip(SKIP_1) | instid1(VALU_DEP_2)
	v_pk_fma_f32 v[96:97], v[36:37], v[34:35], v[38:39] op_sel:[1,0,0] op_sel_hi:[0,0,1] neg_lo:[0,0,1] neg_hi:[0,0,1]
	v_pk_fma_f32 v[34:35], v[36:37], v[34:35], v[38:39] op_sel:[1,0,0] op_sel_hi:[0,1,1]
	v_mov_b32_e32 v35, v97
	s_delay_alu instid0(VALU_DEP_1)
	v_pk_add_f32 v[32:33], v[32:33], v[34:35]
	s_or_b32 exec_lo, exec_lo, s53
	s_and_saveexec_b32 s53, s0
	s_cbranch_execnz .LBB72_707
	s_branch .LBB72_708
.LBB72_1160:                            ;   in Loop: Header=BB72_3 Depth=1
	ds_load_b64 v[34:35], v69 offset:22400
	ds_load_b64 v[36:37], v64 offset:16728
	s_wait_dscnt 0x0
	v_dual_mul_f32 v38, v37, v35 :: v_dual_mul_f32 v35, v36, v35
	s_delay_alu instid0(VALU_DEP_1) | instskip(NEXT) | instid1(VALU_DEP_1)
	v_dual_fma_f32 v36, v36, v34, -v38 :: v_dual_fmac_f32 v35, v37, v34
	v_dual_add_f32 v33, v33, v36 :: v_dual_add_f32 v32, v32, v35
	s_or_b32 exec_lo, exec_lo, s53
	s_and_saveexec_b32 s53, s3
	s_cbranch_execz .LBB72_768
.LBB72_1161:                            ;   in Loop: Header=BB72_3 Depth=1
	ds_load_b64 v[34:35], v68 offset:22912
	ds_load_b64 v[36:37], v64 offset:16736
	s_wait_dscnt 0x0
	v_dual_mul_f32 v39, v37, v35 :: v_dual_mul_f32 v38, v36, v35
	s_delay_alu instid0(VALU_DEP_1) | instskip(NEXT) | instid1(VALU_DEP_1)
	v_dual_fma_f32 v39, v36, v34, -v39 :: v_dual_fmac_f32 v38, v37, v34
	v_pk_add_f32 v[32:33], v[32:33], v[38:39]
	s_or_b32 exec_lo, exec_lo, s53
	s_and_saveexec_b32 s53, s19
	s_cbranch_execz .LBB72_769
.LBB72_1162:                            ;   in Loop: Header=BB72_3 Depth=1
	ds_load_b64 v[34:35], v69 offset:23424
	ds_load_b64 v[36:37], v64 offset:16744
	s_wait_dscnt 0x0
	v_pk_mul_f32 v[38:39], v[36:37], v[34:35] op_sel:[0,1]
	s_delay_alu instid0(VALU_DEP_1) | instskip(SKIP_1) | instid1(VALU_DEP_2)
	v_pk_fma_f32 v[96:97], v[36:37], v[34:35], v[38:39] op_sel:[1,0,0] op_sel_hi:[0,0,1] neg_lo:[0,0,1] neg_hi:[0,0,1]
	v_pk_fma_f32 v[34:35], v[36:37], v[34:35], v[38:39] op_sel:[1,0,0] op_sel_hi:[0,1,1]
	v_mov_b32_e32 v35, v97
	s_delay_alu instid0(VALU_DEP_1)
	v_pk_add_f32 v[32:33], v[32:33], v[34:35]
	s_or_b32 exec_lo, exec_lo, s53
	s_and_saveexec_b32 s53, s21
	s_cbranch_execz .LBB72_770
.LBB72_1163:                            ;   in Loop: Header=BB72_3 Depth=1
	ds_load_b64 v[34:35], v68 offset:23936
	ds_load_b64 v[36:37], v64 offset:16752
	s_wait_dscnt 0x0
	v_pk_mul_f32 v[38:39], v[36:37], v[34:35] op_sel:[0,1]
	s_delay_alu instid0(VALU_DEP_1) | instskip(SKIP_1) | instid1(VALU_DEP_2)
	v_pk_fma_f32 v[96:97], v[36:37], v[34:35], v[38:39] op_sel:[1,0,0] op_sel_hi:[0,0,1] neg_lo:[0,0,1] neg_hi:[0,0,1]
	v_pk_fma_f32 v[34:35], v[36:37], v[34:35], v[38:39] op_sel:[1,0,0] op_sel_hi:[0,1,1]
	v_mov_b32_e32 v35, v97
	s_delay_alu instid0(VALU_DEP_1)
	v_pk_add_f32 v[32:33], v[32:33], v[34:35]
	s_or_b32 exec_lo, exec_lo, s53
	s_and_saveexec_b32 s53, s2
	s_cbranch_execnz .LBB72_771
	s_branch .LBB72_772
.LBB72_1164:                            ;   in Loop: Header=BB72_3 Depth=1
	ds_load_b64 v[34:35], v50 offset:25504
	ds_load_b64 v[36:37], v45 offset:24968
	s_wait_dscnt 0x0
	v_pk_mul_f32 v[38:39], v[36:37], v[34:35] op_sel:[0,1]
	s_delay_alu instid0(VALU_DEP_1) | instskip(SKIP_1) | instid1(VALU_DEP_2)
	v_pk_fma_f32 v[96:97], v[36:37], v[34:35], v[38:39] op_sel:[1,0,0] op_sel_hi:[0,0,1] neg_lo:[0,0,1] neg_hi:[0,0,1]
	v_pk_fma_f32 v[34:35], v[36:37], v[34:35], v[38:39] op_sel:[1,0,0] op_sel_hi:[0,1,1]
	v_mov_b32_e32 v35, v97
	s_delay_alu instid0(VALU_DEP_1)
	v_pk_add_f32 v[32:33], v[32:33], v[34:35]
	s_or_b32 exec_lo, exec_lo, s53
	s_and_saveexec_b32 s53, s17
	s_cbranch_execz .LBB72_860
.LBB72_1165:                            ;   in Loop: Header=BB72_3 Depth=1
	ds_load_b64 v[34:35], v49 offset:26016
	ds_load_b64 v[36:37], v45 offset:24976
	s_wait_dscnt 0x0
	v_pk_mul_f32 v[38:39], v[36:37], v[34:35] op_sel:[0,1]
	s_delay_alu instid0(VALU_DEP_1) | instskip(SKIP_1) | instid1(VALU_DEP_2)
	v_pk_fma_f32 v[96:97], v[36:37], v[34:35], v[38:39] op_sel:[1,0,0] op_sel_hi:[0,0,1] neg_lo:[0,0,1] neg_hi:[0,0,1]
	v_pk_fma_f32 v[34:35], v[36:37], v[34:35], v[38:39] op_sel:[1,0,0] op_sel_hi:[0,1,1]
	v_mov_b32_e32 v35, v97
	s_delay_alu instid0(VALU_DEP_1)
	v_pk_add_f32 v[32:33], v[32:33], v[34:35]
	s_or_b32 exec_lo, exec_lo, s53
	s_and_saveexec_b32 s53, s0
	s_cbranch_execnz .LBB72_861
	s_branch .LBB72_862
.LBB72_1166:                            ;   in Loop: Header=BB72_3 Depth=1
	ds_load_b64 v[34:35], v60 offset:25536
	ds_load_b64 v[36:37], v55 offset:24968
	s_wait_dscnt 0x0
	v_dual_mul_f32 v38, v37, v35 :: v_dual_mul_f32 v35, v36, v35
	s_delay_alu instid0(VALU_DEP_1) | instskip(NEXT) | instid1(VALU_DEP_1)
	v_dual_fma_f32 v36, v36, v34, -v38 :: v_dual_fmac_f32 v35, v37, v34
	v_dual_add_f32 v33, v33, v36 :: v_dual_add_f32 v32, v32, v35
	s_or_b32 exec_lo, exec_lo, s53
	s_and_saveexec_b32 s53, s19
	s_cbranch_execz .LBB72_902
.LBB72_1167:                            ;   in Loop: Header=BB72_3 Depth=1
	ds_load_b64 v[34:35], v60 offset:26048
	ds_load_b64 v[36:37], v55 offset:24976
	s_wait_dscnt 0x0
	v_dual_mul_f32 v38, v37, v35 :: v_dual_mul_f32 v35, v36, v35
	s_delay_alu instid0(VALU_DEP_1) | instskip(NEXT) | instid1(VALU_DEP_1)
	v_dual_fma_f32 v36, v36, v34, -v38 :: v_dual_fmac_f32 v35, v37, v34
	v_dual_add_f32 v33, v33, v36 :: v_dual_add_f32 v32, v32, v35
	s_or_b32 exec_lo, exec_lo, s53
	s_and_saveexec_b32 s53, s20
	s_cbranch_execz .LBB72_903
.LBB72_1168:                            ;   in Loop: Header=BB72_3 Depth=1
	ds_load_b64 v[34:35], v60 offset:26560
	ds_load_b64 v[36:37], v55 offset:24984
	s_wait_dscnt 0x0
	v_dual_mul_f32 v38, v37, v35 :: v_dual_mul_f32 v35, v36, v35
	s_delay_alu instid0(VALU_DEP_1) | instskip(NEXT) | instid1(VALU_DEP_1)
	v_dual_fma_f32 v36, v36, v34, -v38 :: v_dual_fmac_f32 v35, v37, v34
	v_dual_add_f32 v33, v33, v36 :: v_dual_add_f32 v32, v32, v35
	s_or_b32 exec_lo, exec_lo, s53
	s_and_saveexec_b32 s53, s21
	s_cbranch_execz .LBB72_904
.LBB72_1169:                            ;   in Loop: Header=BB72_3 Depth=1
	ds_load_b64 v[34:35], v59 offset:27072
	ds_load_b64 v[36:37], v55 offset:24992
	s_wait_dscnt 0x0
	v_dual_mul_f32 v39, v37, v35 :: v_dual_mul_f32 v38, v36, v35
	s_delay_alu instid0(VALU_DEP_1) | instskip(NEXT) | instid1(VALU_DEP_1)
	v_dual_fma_f32 v39, v36, v34, -v39 :: v_dual_fmac_f32 v38, v37, v34
	v_pk_add_f32 v[32:33], v[32:33], v[38:39]
	s_or_b32 exec_lo, exec_lo, s53
	s_and_saveexec_b32 s53, s22
	s_cbranch_execz .LBB72_905
.LBB72_1170:                            ;   in Loop: Header=BB72_3 Depth=1
	ds_load_b64 v[34:35], v60 offset:27584
	ds_load_b64 v[36:37], v55 offset:25000
	s_wait_dscnt 0x0
	v_pk_mul_f32 v[38:39], v[36:37], v[34:35] op_sel:[0,1]
	s_delay_alu instid0(VALU_DEP_1) | instskip(SKIP_1) | instid1(VALU_DEP_2)
	v_pk_fma_f32 v[96:97], v[36:37], v[34:35], v[38:39] op_sel:[1,0,0] op_sel_hi:[0,0,1] neg_lo:[0,0,1] neg_hi:[0,0,1]
	v_pk_fma_f32 v[34:35], v[36:37], v[34:35], v[38:39] op_sel:[1,0,0] op_sel_hi:[0,1,1]
	v_mov_b32_e32 v35, v97
	s_delay_alu instid0(VALU_DEP_1)
	v_pk_add_f32 v[32:33], v[32:33], v[34:35]
	s_or_b32 exec_lo, exec_lo, s53
	s_and_saveexec_b32 s53, s2
	s_cbranch_execz .LBB72_906
.LBB72_1171:                            ;   in Loop: Header=BB72_3 Depth=1
	ds_load_b64 v[34:35], v59 offset:28096
	ds_load_b64 v[36:37], v55 offset:25008
	s_wait_dscnt 0x0
	v_pk_mul_f32 v[38:39], v[36:37], v[34:35] op_sel:[0,1]
	s_delay_alu instid0(VALU_DEP_1) | instskip(SKIP_1) | instid1(VALU_DEP_2)
	v_pk_fma_f32 v[96:97], v[36:37], v[34:35], v[38:39] op_sel:[1,0,0] op_sel_hi:[0,0,1] neg_lo:[0,0,1] neg_hi:[0,0,1]
	v_pk_fma_f32 v[34:35], v[36:37], v[34:35], v[38:39] op_sel:[1,0,0] op_sel_hi:[0,1,1]
	v_mov_b32_e32 v35, v97
	s_delay_alu instid0(VALU_DEP_1)
	v_pk_add_f32 v[32:33], v[32:33], v[34:35]
	s_or_b32 exec_lo, exec_lo, s53
	s_and_saveexec_b32 s53, s17
	s_cbranch_execnz .LBB72_907
	s_branch .LBB72_908
.LBB72_1172:                            ;   in Loop: Header=BB72_3 Depth=1
	ds_load_b64 v[34:35], v50 offset:29664
	ds_load_b64 v[36:37], v45 offset:29128
	s_wait_dscnt 0x0
	v_pk_mul_f32 v[38:39], v[36:37], v[34:35] op_sel:[0,1]
	s_delay_alu instid0(VALU_DEP_1) | instskip(SKIP_1) | instid1(VALU_DEP_2)
	v_pk_fma_f32 v[96:97], v[36:37], v[34:35], v[38:39] op_sel:[1,0,0] op_sel_hi:[0,0,1] neg_lo:[0,0,1] neg_hi:[0,0,1]
	v_pk_fma_f32 v[34:35], v[36:37], v[34:35], v[38:39] op_sel:[1,0,0] op_sel_hi:[0,1,1]
	v_mov_b32_e32 v35, v97
	s_delay_alu instid0(VALU_DEP_1)
	v_pk_add_f32 v[32:33], v[32:33], v[34:35]
	s_or_b32 exec_lo, exec_lo, s53
	s_and_saveexec_b32 s53, s17
	s_cbranch_execz .LBB72_964
.LBB72_1173:                            ;   in Loop: Header=BB72_3 Depth=1
	ds_load_b64 v[34:35], v49 offset:30176
	ds_load_b64 v[36:37], v45 offset:29136
	s_wait_dscnt 0x0
	v_pk_mul_f32 v[38:39], v[36:37], v[34:35] op_sel:[0,1]
	s_delay_alu instid0(VALU_DEP_1) | instskip(SKIP_1) | instid1(VALU_DEP_2)
	v_pk_fma_f32 v[96:97], v[36:37], v[34:35], v[38:39] op_sel:[1,0,0] op_sel_hi:[0,0,1] neg_lo:[0,0,1] neg_hi:[0,0,1]
	v_pk_fma_f32 v[34:35], v[36:37], v[34:35], v[38:39] op_sel:[1,0,0] op_sel_hi:[0,1,1]
	v_mov_b32_e32 v35, v97
	s_delay_alu instid0(VALU_DEP_1)
	v_pk_add_f32 v[32:33], v[32:33], v[34:35]
	s_or_b32 exec_lo, exec_lo, s53
	s_and_saveexec_b32 s53, s0
	s_cbranch_execnz .LBB72_965
	s_branch .LBB72_966
.LBB72_1174:
	s_endpgm
	.section	.rodata,"a",@progbits
	.p2align	6, 0x0
	.amdhsa_kernel _ZL19rocblas_trsv_deviceILi64ELi16ELb1ELb1ELb1ELb0E19rocblas_complex_numIfES1_PKS1_PS1_EviT7_lllT6_T8_lllPii
		.amdhsa_group_segment_fixed_size 41480
		.amdhsa_private_segment_fixed_size 0
		.amdhsa_kernarg_size 352
		.amdhsa_user_sgpr_count 2
		.amdhsa_user_sgpr_dispatch_ptr 0
		.amdhsa_user_sgpr_queue_ptr 0
		.amdhsa_user_sgpr_kernarg_segment_ptr 1
		.amdhsa_user_sgpr_dispatch_id 0
		.amdhsa_user_sgpr_kernarg_preload_length 0
		.amdhsa_user_sgpr_kernarg_preload_offset 0
		.amdhsa_user_sgpr_private_segment_size 0
		.amdhsa_wavefront_size32 1
		.amdhsa_uses_dynamic_stack 0
		.amdhsa_enable_private_segment 0
		.amdhsa_system_sgpr_workgroup_id_x 1
		.amdhsa_system_sgpr_workgroup_id_y 0
		.amdhsa_system_sgpr_workgroup_id_z 1
		.amdhsa_system_sgpr_workgroup_info 0
		.amdhsa_system_vgpr_workitem_id 1
		.amdhsa_next_free_vgpr 107
		.amdhsa_next_free_sgpr 105
		.amdhsa_named_barrier_count 0
		.amdhsa_reserve_vcc 1
		.amdhsa_float_round_mode_32 0
		.amdhsa_float_round_mode_16_64 0
		.amdhsa_float_denorm_mode_32 3
		.amdhsa_float_denorm_mode_16_64 3
		.amdhsa_fp16_overflow 0
		.amdhsa_memory_ordered 1
		.amdhsa_forward_progress 1
		.amdhsa_inst_pref_size 255
		.amdhsa_round_robin_scheduling 0
		.amdhsa_exception_fp_ieee_invalid_op 0
		.amdhsa_exception_fp_denorm_src 0
		.amdhsa_exception_fp_ieee_div_zero 0
		.amdhsa_exception_fp_ieee_overflow 0
		.amdhsa_exception_fp_ieee_underflow 0
		.amdhsa_exception_fp_ieee_inexact 0
		.amdhsa_exception_int_div_zero 0
	.end_amdhsa_kernel
	.section	.text._ZL19rocblas_trsv_deviceILi64ELi16ELb1ELb1ELb1ELb0E19rocblas_complex_numIfES1_PKS1_PS1_EviT7_lllT6_T8_lllPii,"axG",@progbits,_ZL19rocblas_trsv_deviceILi64ELi16ELb1ELb1ELb1ELb0E19rocblas_complex_numIfES1_PKS1_PS1_EviT7_lllT6_T8_lllPii,comdat
.Lfunc_end72:
	.size	_ZL19rocblas_trsv_deviceILi64ELi16ELb1ELb1ELb1ELb0E19rocblas_complex_numIfES1_PKS1_PS1_EviT7_lllT6_T8_lllPii, .Lfunc_end72-_ZL19rocblas_trsv_deviceILi64ELi16ELb1ELb1ELb1ELb0E19rocblas_complex_numIfES1_PKS1_PS1_EviT7_lllT6_T8_lllPii
                                        ; -- End function
	.set _ZL19rocblas_trsv_deviceILi64ELi16ELb1ELb1ELb1ELb0E19rocblas_complex_numIfES1_PKS1_PS1_EviT7_lllT6_T8_lllPii.num_vgpr, 107
	.set _ZL19rocblas_trsv_deviceILi64ELi16ELb1ELb1ELb1ELb0E19rocblas_complex_numIfES1_PKS1_PS1_EviT7_lllT6_T8_lllPii.num_agpr, 0
	.set _ZL19rocblas_trsv_deviceILi64ELi16ELb1ELb1ELb1ELb0E19rocblas_complex_numIfES1_PKS1_PS1_EviT7_lllT6_T8_lllPii.numbered_sgpr, 105
	.set _ZL19rocblas_trsv_deviceILi64ELi16ELb1ELb1ELb1ELb0E19rocblas_complex_numIfES1_PKS1_PS1_EviT7_lllT6_T8_lllPii.num_named_barrier, 0
	.set _ZL19rocblas_trsv_deviceILi64ELi16ELb1ELb1ELb1ELb0E19rocblas_complex_numIfES1_PKS1_PS1_EviT7_lllT6_T8_lllPii.private_seg_size, 0
	.set _ZL19rocblas_trsv_deviceILi64ELi16ELb1ELb1ELb1ELb0E19rocblas_complex_numIfES1_PKS1_PS1_EviT7_lllT6_T8_lllPii.uses_vcc, 1
	.set _ZL19rocblas_trsv_deviceILi64ELi16ELb1ELb1ELb1ELb0E19rocblas_complex_numIfES1_PKS1_PS1_EviT7_lllT6_T8_lllPii.uses_flat_scratch, 0
	.set _ZL19rocblas_trsv_deviceILi64ELi16ELb1ELb1ELb1ELb0E19rocblas_complex_numIfES1_PKS1_PS1_EviT7_lllT6_T8_lllPii.has_dyn_sized_stack, 0
	.set _ZL19rocblas_trsv_deviceILi64ELi16ELb1ELb1ELb1ELb0E19rocblas_complex_numIfES1_PKS1_PS1_EviT7_lllT6_T8_lllPii.has_recursion, 0
	.set _ZL19rocblas_trsv_deviceILi64ELi16ELb1ELb1ELb1ELb0E19rocblas_complex_numIfES1_PKS1_PS1_EviT7_lllT6_T8_lllPii.has_indirect_call, 0
	.section	.AMDGPU.csdata,"",@progbits
; Kernel info:
; codeLenInByte = 55068
; TotalNumSgprs: 107
; NumVgprs: 107
; ScratchSize: 0
; MemoryBound: 0
; FloatMode: 240
; IeeeMode: 1
; LDSByteSize: 41480 bytes/workgroup (compile time only)
; SGPRBlocks: 0
; VGPRBlocks: 6
; NumSGPRsForWavesPerEU: 107
; NumVGPRsForWavesPerEU: 107
; NamedBarCnt: 0
; Occupancy: 9
; WaveLimiterHint : 0
; COMPUTE_PGM_RSRC2:SCRATCH_EN: 0
; COMPUTE_PGM_RSRC2:USER_SGPR: 2
; COMPUTE_PGM_RSRC2:TRAP_HANDLER: 0
; COMPUTE_PGM_RSRC2:TGID_X_EN: 1
; COMPUTE_PGM_RSRC2:TGID_Y_EN: 0
; COMPUTE_PGM_RSRC2:TGID_Z_EN: 1
; COMPUTE_PGM_RSRC2:TIDIG_COMP_CNT: 1
	.section	.text._ZL19rocblas_trsv_deviceILi32ELi16ELb0ELb0ELb0ELb1E19rocblas_complex_numIdEPKS1_S3_PS1_EviT7_lllT6_T8_lllPii,"axG",@progbits,_ZL19rocblas_trsv_deviceILi32ELi16ELb0ELb0ELb0ELb1E19rocblas_complex_numIdEPKS1_S3_PS1_EviT7_lllT6_T8_lllPii,comdat
	.globl	_ZL19rocblas_trsv_deviceILi32ELi16ELb0ELb0ELb0ELb1E19rocblas_complex_numIdEPKS1_S3_PS1_EviT7_lllT6_T8_lllPii ; -- Begin function _ZL19rocblas_trsv_deviceILi32ELi16ELb0ELb0ELb0ELb1E19rocblas_complex_numIdEPKS1_S3_PS1_EviT7_lllT6_T8_lllPii
	.p2align	8
	.type	_ZL19rocblas_trsv_deviceILi32ELi16ELb0ELb0ELb0ELb1E19rocblas_complex_numIdEPKS1_S3_PS1_EviT7_lllT6_T8_lllPii,@function
_ZL19rocblas_trsv_deviceILi32ELi16ELb0ELb0ELb0ELb1E19rocblas_complex_numIdEPKS1_S3_PS1_EviT7_lllT6_T8_lllPii: ; @_ZL19rocblas_trsv_deviceILi32ELi16ELb0ELb0ELb0ELb1E19rocblas_complex_numIdEPKS1_S3_PS1_EviT7_lllT6_T8_lllPii
; %bb.0:
	s_load_b32 s35, s[0:1], 0x58
	s_bfe_u32 s2, ttmp6, 0x40014
	s_lshr_b32 s3, ttmp7, 16
	s_add_co_i32 s2, s2, 1
	s_bfe_u32 s5, ttmp6, 0x40008
	s_mul_i32 s2, s3, s2
	s_getreg_b32 s4, hwreg(HW_REG_IB_STS2, 6, 4)
	s_add_co_i32 s5, s5, s2
	s_cmp_eq_u32 s4, 0
	s_mov_b32 s57, 0
	s_cselect_b32 s56, s3, s5
	s_wait_kmcnt 0x0
	s_cmp_ge_u32 s56, s35
	s_cbranch_scc1 .LBB73_512
; %bb.1:
	s_clause 0x3
	s_load_b512 s[36:51], s[0:1], 0x8
	s_load_b32 s2, s[0:1], 0x6c
	s_load_b32 s67, s[0:1], 0x60
	;; [unrolled: 1-line block ×3, first 2 shown]
	s_bfe_u32 s3, ttmp6, 0x4000c
	s_and_b32 s5, ttmp6, 15
	s_add_co_i32 s3, s3, 1
	s_load_b128 s[52:55], s[0:1], 0x48
	s_mul_i32 s3, ttmp9, s3
	v_bfe_u32 v22, v0, 10, 10
	s_add_co_i32 s3, s5, s3
	v_and_b32_e32 v24, 0x3ff, v0
	v_dual_mov_b32 v2, 0 :: v_dual_bitop2_b32 v5, 1, v0 bitop3:0x40
	v_dual_lshrrev_b32 v1, 10, v0 :: v_dual_bitop2_b32 v11, 3, v0 bitop3:0x40
	s_delay_alu instid0(VALU_DEP_3) | instskip(SKIP_1) | instid1(VALU_DEP_4)
	v_lshl_add_u32 v3, v22, 5, v24
	v_and_b32_e32 v13, 15, v0
	v_cmp_eq_u32_e32 vcc_lo, 1, v5
                                        ; implicit-def: $vgpr74 : SGPR spill to VGPR lane
	v_lshl_add_u32 v60, v22, 4, 0x6000
	s_wait_kmcnt 0x0
	s_lshl_b64 s[10:11], s[38:39], 4
	s_lshl_b64 s[8:9], s[48:49], 4
	s_cmp_eq_u32 s4, 0
	v_cmp_eq_u32_e64 s4, 0, v11
	s_cselect_b32 s66, ttmp9, s3
	s_add_co_i32 s0, s58, -1
	s_ashr_i32 s59, s58, 31
	s_and_b32 s1, s2, 0xffff
	s_ashr_i32 s2, s0, 31
	s_lshr_b32 s3, s59, 27
	s_lshr_b32 s2, s2, 27
	s_add_co_i32 s3, s58, s3
	s_add_co_i32 s67, s67, -1
	s_add_co_i32 s0, s0, s2
	s_and_not1_b32 s3, s3, 31
	s_sub_co_i32 s102, s67, s66
	s_ashr_i32 s0, s0, 5
	s_sub_co_i32 s7, s58, s3
	s_cmp_eq_u32 s0, s102
	v_mad_u32_u24 v26, v22, s1, v24
	s_cselect_b32 s0, -1, 0
	s_cmp_lg_u32 s7, 0
	v_lshrrev_b32_e32 v15, 1, v3
	s_cselect_b32 s2, -1, 0
	v_bitop3_b32 v14, v0, v1, 0x3ff bitop3:0xa8
	s_and_b32 s16, s2, s0
	v_cmp_gt_u32_e64 s0, 4, v3
	s_xor_b32 s68, s16, -1
	s_cmp_lg_u32 s66, 0
	s_add_nc_u64 s[2:3], s[40:41], 1
	s_cselect_b32 s69, -1, 0
	s_lshl_b32 s14, s102, 5
	s_delay_alu instid0(SALU_CYCLE_1)
	v_dual_mov_b32 v27, v2 :: v_dual_add_nc_u32 v10, s14, v22
	s_ashr_i32 s15, s14, 31
	s_cmp_gt_i32 s66, 4
	s_mul_u64 s[12:13], s[2:3], s[14:15]
	s_cselect_b32 s1, -1, 0
	v_cmp_eq_u32_e64 s2, 0, v5
	s_and_b32 s70, s1, s68
	v_cmp_gt_u32_e64 s1, 16, v3
	v_cmp_eq_u32_e64 s3, 3, v11
	s_and_b32 s71, vcc_lo, s0
	v_cmp_ne_u32_e32 vcc_lo, 3, v11
	s_and_b32 s72, s2, s0
	v_cmp_eq_u32_e64 s2, 2, v11
	s_and_b32 s73, s3, s1
	v_cmp_gt_u32_e64 s3, 2, v11
	s_and_b32 s74, vcc_lo, s1
	v_cmp_eq_u32_e32 vcc_lo, 1, v11
	v_dual_add_nc_u32 v8, 32, v10 :: v_dual_bitop2_b32 v12, 7, v0 bitop3:0x40
	s_and_b32 s75, s2, s1
	s_and_b32 s76, s3, s1
	s_and_b32 s77, vcc_lo, s1
	v_cmp_gt_u32_e64 s2, 64, v3
	v_cmp_eq_u32_e32 vcc_lo, 7, v12
	v_cmp_ne_u32_e64 s3, 7, v12
	v_cmp_eq_u32_e64 s5, 6, v12
	s_and_b32 s78, s4, s1
	v_cmp_eq_u32_e64 s4, 4, v12
	s_and_b32 s79, vcc_lo, s2
	s_and_b32 s80, s3, s2
	v_cmp_eq_u32_e32 vcc_lo, 5, v12
	v_cmp_gt_u32_e64 s3, 5, v12
	s_and_b32 s81, s5, s2
	v_cmp_gt_u32_e64 s5, 4, v12
	s_and_b32 s85, s4, s2
	s_and_b32 s83, vcc_lo, s2
	s_and_b32 s84, s3, s2
	v_cmp_gt_u32_e32 vcc_lo, 3, v12
	v_cmp_eq_u32_e64 s3, 2, v12
	s_and_b32 s86, s5, s2
	v_cmp_gt_u32_e64 s4, 2, v12
	v_cmp_eq_u32_e64 s5, 1, v12
	s_and_b32 s88, vcc_lo, s2
	s_and_b32 s89, s3, s2
	v_cmp_gt_u32_e64 s3, 0x100, v3
	v_cmp_eq_u32_e32 vcc_lo, 15, v13
	s_and_b32 s90, s4, s2
	s_and_b32 s91, s5, s2
	v_cmp_ne_u32_e64 s4, 15, v13
	v_cmp_gt_u32_e64 s6, 6, v12
	s_and_b32 s5, vcc_lo, s3
	v_cmp_eq_u32_e32 vcc_lo, 14, v13
	v_writelane_b32 v74, s5, 0
	s_and_b32 s4, s4, s3
	s_and_b32 s82, s6, s2
	v_cmp_eq_u32_e64 s6, 3, v12
	v_cmp_gt_u32_e64 s5, 14, v13
	v_writelane_b32 v74, s4, 1
	s_and_b32 s17, vcc_lo, s3
	v_cmp_eq_u32_e64 s4, 13, v13
	s_and_b32 s87, s6, s2
	v_cmp_eq_u32_e64 s6, 0, v12
	v_writelane_b32 v74, s17, 2
	s_and_b32 s5, s5, s3
	s_and_b32 s4, s4, s3
	v_cmp_eq_u32_e32 vcc_lo, 12, v13
	s_and_b32 s92, s6, s2
	v_writelane_b32 v74, s5, 3
	v_cmp_gt_u32_e64 s6, 13, v13
	v_cmp_eq_u32_e64 s5, 11, v13
	v_dual_add_nc_u32 v28, s14, v24 :: v_dual_add_nc_u32 v4, 16, v22
	v_writelane_b32 v74, s4, 4
	s_and_b32 s4, s6, s3
	s_and_b32 s6, vcc_lo, s3
	v_cmp_gt_u32_e32 vcc_lo, 11, v13
	v_add_nc_u64_e32 v[6:7], s[14:15], v[26:27]
	v_writelane_b32 v74, s4, 5
	v_cmp_gt_u32_e64 s4, 12, v13
	v_dual_ashrrev_i32 v9, 31, v8 :: v_dual_lshlrev_b32 v16, 9, v15
	v_ashrrev_i32_e32 v29, 31, v28
	v_writelane_b32 v74, s6, 6
	s_and_b32 s4, s4, s3
	v_cmp_eq_u32_e64 s6, 10, v13
	v_mul_u64_e32 v[0:1], s[40:41], v[8:9]
	v_lshrrev_b32_e32 v9, 2, v3
	v_writelane_b32 v74, s4, 7
	s_and_b32 s4, s5, s3
	s_and_b32 s5, vcc_lo, s3
	v_cmp_eq_u32_e32 vcc_lo, 9, v13
	v_cmp_gt_u32_e64 s18, 0xf0, v3
	v_writelane_b32 v74, s4, 8
	v_cmp_gt_u32_e64 s4, 10, v13
	v_dual_lshlrev_b32 v27, 4, v5 :: v_dual_sub_nc_u32 v44, 0, v16
	s_and_b32 s17, vcc_lo, s3
	v_writelane_b32 v74, s5, 9
	s_and_b32 s5, s6, s3
	s_and_b32 s4, s4, s3
	v_cmp_gt_u32_e64 s6, 8, v13
	v_cmp_eq_u32_e32 vcc_lo, 7, v13
	v_writelane_b32 v74, s5, 10
	v_cmp_gt_u32_e64 s5, 9, v13
	v_dual_lshlrev_b32 v45, 4, v24 :: v_dual_lshlrev_b32 v5, 9, v9
	v_dual_lshlrev_b32 v46, 4, v11 :: v_dual_sub_nc_u32 v47, v27, v16
	v_writelane_b32 v74, s4, 11
	v_cmp_eq_u32_e64 s4, 8, v13
	s_and_b32 s5, s5, s3
	v_dual_lshrrev_b32 v11, 3, v3 :: v_dual_sub_nc_u32 v49, 0, v5
	v_writelane_b32 v74, s17, 12
	s_and_b32 s4, s4, s3
	v_dual_sub_nc_u32 v50, v46, v5 :: v_dual_lshlrev_b32 v5, 5, v3
	v_lshl_add_u32 v48, v9, 4, 0x4000
	v_writelane_b32 v74, s5, 13
	v_cmp_eq_u32_e64 s5, 6, v13
	v_lshl_add_u32 v51, v11, 4, 0x4000
	v_dual_lshlrev_b32 v9, 9, v11 :: v_dual_lshlrev_b32 v52, 4, v12
	v_writelane_b32 v74, s4, 14
	s_and_b32 s4, s6, s3
	s_and_b32 s6, vcc_lo, s3
	v_cmp_gt_u32_e32 vcc_lo, 6, v13
	v_and_b32_e32 v11, 0x7ff0, v3
	v_writelane_b32 v74, s4, 15
	v_cmp_gt_u32_e64 s4, 7, v13
	v_and_b32_e32 v5, 0xfffffe00, v5
	s_and_b32 s23, vcc_lo, s3
	v_cmp_eq_u32_e32 vcc_lo, 4, v13
	v_writelane_b32 v74, s6, 16
	s_and_b32 s4, s4, s3
	v_cmp_eq_u32_e64 s6, 5, v13
	v_lshlrev_b32_e32 v53, 4, v13
	s_and_b32 s26, vcc_lo, s3
	v_writelane_b32 v74, s4, 17
	s_and_b32 s4, s5, s3
	s_and_b32 s24, s6, s3
	v_cmp_gt_u32_e64 s6, 3, v13
	v_cmp_gt_u32_e64 s5, 4, v13
	v_writelane_b32 v74, s4, 18
	v_cmp_gt_u32_e64 s4, 5, v13
	v_cmp_eq_u32_e32 vcc_lo, 2, v13
	s_and_b32 s94, s6, s3
	v_cmp_le_i32_e64 s6, s7, v24
	s_and_b32 s27, s5, s3
	s_and_b32 s25, s4, s3
	v_cmp_eq_u32_e64 s4, 3, v13
	v_cmp_eq_u32_e64 s5, 1, v13
	s_and_b32 s95, vcc_lo, s3
	v_cmp_eq_u32_e32 vcc_lo, 0, v13
	s_and_b32 s97, s6, s16
	s_and_b32 s93, s4, s3
	v_cmp_gt_u32_e64 s4, 2, v13
	s_and_b32 s98, s5, s3
	s_xor_b32 s5, s97, -1
	s_and_b32 s99, vcc_lo, s3
	v_cmp_le_i32_e32 vcc_lo, s7, v22
	s_and_b32 s96, s4, s3
	v_cmp_eq_u32_e64 s4, 0, v22
	v_dual_sub_nc_u32 v54, 0, v9 :: v_dual_sub_nc_u32 v55, v52, v9
	v_dual_mov_b32 v23, v2 :: v_dual_add_nc_u32 v56, 0x4000, v11
	s_and_b32 s100, s4, s5
	s_cmp_gt_i32 s66, 0
	v_cmp_le_i32_e64 s5, s7, v4
	s_cselect_b32 s101, -1, 0
	s_or_b32 s14, vcc_lo, s6
	v_cmp_gt_i32_e32 vcc_lo, s7, v24
	v_add_nc_u32_e32 v62, 0x4000, v45
	s_or_b32 s15, s5, s6
	v_dual_add_nc_u32 v9, 48, v10 :: v_dual_sub_nc_u32 v57, 0, v5
	v_sub_nc_u32_e32 v58, v53, v5
	s_and_b32 s5, s4, vcc_lo
	v_mov_b32_e32 v5, v2
	v_writelane_b32 v74, s5, 19
	v_mul_u64_e32 v[30:31], s[50:51], v[28:29]
	v_mul_u64_e32 v[32:33], s[50:51], v[6:7]
	;; [unrolled: 1-line block ×4, first 2 shown]
	v_writelane_b32 v74, s18, 20
	v_cmp_gt_u32_e64 s18, 0xe0, v3
	s_add_nc_u64 s[46:47], s[46:47], s[8:9]
	v_dual_mov_b32 v39, v2 :: v_dual_bitop2_b32 v12, v4, v24 bitop3:0x54
	v_cmp_gt_i32_e64 s5, s58, v28
	v_writelane_b32 v74, s18, 21
	v_cmp_gt_u32_e64 s18, 0xd0, v3
	v_cmp_gt_i32_e64 s8, s58, v9
	v_cmp_le_u32_e64 s6, v22, v24
	v_cmp_le_u32_e64 s7, v4, v24
	v_cmp_gt_i32_e32 vcc_lo, s58, v8
	v_writelane_b32 v74, s18, 22
	v_cmp_gt_u32_e64 s18, 0xc0, v3
	s_add_nc_u64 s[48:49], s[36:37], s[10:11]
	v_lshl_add_u32 v25, v15, 4, 0x4000
	v_lshl_add_u32 v59, v26, 4, 0x6000
	;; [unrolled: 1-line block ×3, first 2 shown]
	v_writelane_b32 v74, s18, 23
	v_cmp_gt_u32_e64 s18, 0xb0, v3
	v_lshl_add_u32 v63, v22, 9, v45
	v_dual_add_nc_u32 v64, v60, v45 :: v_dual_lshlrev_b32 v38, 4, v24
	v_lshl_add_u32 v65, v4, 9, v45
	s_delay_alu instid0(VALU_DEP_4)
	v_writelane_b32 v74, s18, 24
	v_cmp_gt_u32_e64 s18, 0xa0, v3
	s_and_b32 s104, s5, s8
	v_add_nc_u32_e32 v23, 0x3c00, v45
	s_or_b32 vcc_hi, s14, s6
	v_subrev_nc_u32_e32 v66, 31, v24
	v_writelane_b32 v74, s18, 25
	v_cmp_gt_u32_e64 s18, 0x90, v3
	s_or_b32 s17, s15, s7
	s_lshl_b64 s[60:61], s[12:13], 4
	v_cmp_eq_u32_e64 s8, 0, v14
	v_cmp_gt_u32_e64 s9, 2, v3
	v_writelane_b32 v74, s18, 26
	v_cmp_gt_u32_e64 s18, 0x80, v3
	v_cmp_gt_u32_e64 s10, 12, v3
	;; [unrolled: 1-line block ×5, first 2 shown]
	v_writelane_b32 v74, s18, 27
	v_cmp_gt_u32_e64 s18, 0x70, v3
	v_cmp_gt_u32_e64 s14, 40, v3
	;; [unrolled: 1-line block ×4, first 2 shown]
	v_cmp_eq_u32_e64 s28, 0, v26
	v_writelane_b32 v74, s18, 28
	v_cmp_gt_u32_e64 s18, 0x60, v3
	v_cmp_gt_u32_e64 s29, 32, v26
	v_cmp_le_u32_e64 s30, v24, v22
	v_cmp_le_u32_e64 s31, v24, v4
	v_cmp_gt_u32_e64 s33, 32, v14
	v_writelane_b32 v74, s18, 29
	v_cmp_gt_u32_e64 s18, 0x50, v3
	v_cmp_gt_u32_e64 s34, 32, v12
	s_add_co_i32 s102, s102, 1
	s_and_b32 s103, s5, vcc_lo
	s_lshl_b64 s[62:63], s[40:41], 8
	s_mov_b32 s37, 0x3ff00000
                                        ; implicit-def: $vgpr6_vgpr7
                                        ; implicit-def: $vgpr10_vgpr11
	v_writelane_b32 v74, s18, 30
	s_branch .LBB73_3
.LBB73_2:                               ;   in Loop: Header=BB73_3 Depth=1
	s_wait_xcnt 0x0
	s_or_b32 exec_lo, exec_lo, s18
	s_add_co_i32 s56, s56, 0x10000
	global_wb scope:SCOPE_DEV
	s_wait_storecnt 0x0
	global_inv scope:SCOPE_DEV
	s_cmp_lt_u32 s56, s35
	s_cbranch_scc0 .LBB73_512
.LBB73_3:                               ; =>This Loop Header: Depth=1
                                        ;     Child Loop BB73_427 Depth 2
                                        ;       Child Loop BB73_429 Depth 3
                                        ;     Child Loop BB73_460 Depth 2
	global_load_b128 v[14:17], v2, s[44:45]
	s_mul_u64 s[18:19], s[42:43], s[56:57]
	s_and_not1_b32 vcc_lo, exec_lo, s69
	s_lshl_b64 s[18:19], s[18:19], 4
	s_delay_alu instid0(SALU_CYCLE_1)
	s_add_nc_u64 s[64:65], s[48:49], s[18:19]
	s_cbranch_vccnz .LBB73_9
; %bb.4:                                ;   in Loop: Header=BB73_3 Depth=1
	v_lshl_add_u64 v[4:5], v[0:1], 4, s[64:65]
	v_mov_b64_e32 v[12:13], 0
	v_mov_b64_e32 v[6:7], 0
	;; [unrolled: 1-line block ×3, first 2 shown]
	s_wait_loadcnt 0x0
	v_lshl_add_u64 v[4:5], v[28:29], 4, v[4:5]
	s_barrier_signal -1
	s_barrier_wait -1
	s_wait_xcnt 0x0
	s_and_saveexec_b32 s18, s103
	s_cbranch_execz .LBB73_6
; %bb.5:                                ;   in Loop: Header=BB73_3 Depth=1
	global_load_b128 v[6:9], v[4:5], off
.LBB73_6:                               ;   in Loop: Header=BB73_3 Depth=1
	s_wait_xcnt 0x0
	s_or_b32 exec_lo, exec_lo, s18
	v_mov_b64_e32 v[10:11], 0
	s_wait_loadcnt 0x0
	s_barrier_signal -1
	s_barrier_wait -1
	s_and_saveexec_b32 s18, s104
	s_cbranch_execz .LBB73_8
; %bb.7:                                ;   in Loop: Header=BB73_3 Depth=1
	v_add_nc_u64_e32 v[4:5], s[62:63], v[4:5]
	global_load_b128 v[10:13], v[4:5], off
.LBB73_8:                               ;   in Loop: Header=BB73_3 Depth=1
	s_wait_xcnt 0x0
	s_or_b32 exec_lo, exec_lo, s18
.LBB73_9:                               ;   in Loop: Header=BB73_3 Depth=1
	s_add_nc_u64 s[18:19], s[64:65], s[60:61]
	s_and_not1_b32 vcc_lo, exec_lo, s68
	v_add_nc_u64_e32 v[40:41], s[18:19], v[38:39]
	s_mov_b32 s18, -1
	s_cbranch_vccnz .LBB73_18
; %bb.10:                               ;   in Loop: Header=BB73_3 Depth=1
	s_mov_b32 s18, 0
	s_wait_xcnt 0x0
	s_and_saveexec_b32 s19, s6
	s_delay_alu instid0(SALU_CYCLE_1)
	s_xor_b32 s19, exec_lo, s19
; %bb.11:                               ;   in Loop: Header=BB73_3 Depth=1
	s_and_b32 s18, s33, exec_lo
; %bb.12:                               ;   in Loop: Header=BB73_3 Depth=1
	s_or_saveexec_b32 s19, s19
	v_mov_b64_e32 v[20:21], 0
	v_mov_b64_e32 v[18:19], 0
	s_xor_b32 exec_lo, exec_lo, s19
	s_cbranch_execnz .LBB73_474
; %bb.13:                               ;   in Loop: Header=BB73_3 Depth=1
	s_or_b32 exec_lo, exec_lo, s19
	s_and_saveexec_b32 s19, s18
	s_cbranch_execnz .LBB73_475
.LBB73_14:                              ;   in Loop: Header=BB73_3 Depth=1
	s_or_b32 exec_lo, exec_lo, s19
	s_and_saveexec_b32 s18, s7
	s_delay_alu instid0(SALU_CYCLE_1)
	s_xor_b32 s18, exec_lo, s18
	s_cbranch_execnz .LBB73_476
.LBB73_15:                              ;   in Loop: Header=BB73_3 Depth=1
	s_and_not1_saveexec_b32 s18, s18
	s_cbranch_execz .LBB73_17
.LBB73_16:                              ;   in Loop: Header=BB73_3 Depth=1
	v_lshl_add_u64 v[4:5], v[36:37], 4, v[40:41]
	global_load_b128 v[18:21], v[4:5], off
	s_wait_loadcnt 0x0
	v_xor_b32_e32 v19, 0x80000000, v19
	v_xor_b32_e32 v21, 0x80000000, v21
	ds_store_b128 v65, v[18:21]
.LBB73_17:                              ;   in Loop: Header=BB73_3 Depth=1
	s_or_b32 exec_lo, exec_lo, s18
	s_mov_b32 s18, 0
.LBB73_18:                              ;   in Loop: Header=BB73_3 Depth=1
	s_delay_alu instid0(SALU_CYCLE_1)
	s_and_b32 vcc_lo, exec_lo, s18
	s_cbranch_vccz .LBB73_27
; %bb.19:                               ;   in Loop: Header=BB73_3 Depth=1
	s_mov_b32 s18, 0
	s_wait_xcnt 0x0
	s_and_saveexec_b32 s19, vcc_hi
	s_delay_alu instid0(SALU_CYCLE_1)
	s_xor_b32 s19, exec_lo, s19
; %bb.20:                               ;   in Loop: Header=BB73_3 Depth=1
	s_and_b32 s18, s33, exec_lo
; %bb.21:                               ;   in Loop: Header=BB73_3 Depth=1
	s_or_saveexec_b32 s19, s19
	v_mov_b64_e32 v[20:21], 0
	v_mov_b64_e32 v[18:19], 0
	s_xor_b32 exec_lo, exec_lo, s19
	s_cbranch_execnz .LBB73_479
; %bb.22:                               ;   in Loop: Header=BB73_3 Depth=1
	s_or_b32 exec_lo, exec_lo, s19
	s_and_saveexec_b32 s19, s18
	s_cbranch_execnz .LBB73_480
.LBB73_23:                              ;   in Loop: Header=BB73_3 Depth=1
	s_or_b32 exec_lo, exec_lo, s19
	s_and_saveexec_b32 s18, s17
	s_delay_alu instid0(SALU_CYCLE_1)
	s_xor_b32 s18, exec_lo, s18
	s_cbranch_execnz .LBB73_481
.LBB73_24:                              ;   in Loop: Header=BB73_3 Depth=1
	s_and_not1_saveexec_b32 s18, s18
	s_cbranch_execz .LBB73_26
.LBB73_25:                              ;   in Loop: Header=BB73_3 Depth=1
	v_lshl_add_u64 v[4:5], v[36:37], 4, v[40:41]
	global_load_b128 v[18:21], v[4:5], off
	s_wait_loadcnt 0x0
	v_xor_b32_e32 v19, 0x80000000, v19
	v_xor_b32_e32 v21, 0x80000000, v21
	ds_store_b128 v65, v[18:21]
.LBB73_26:                              ;   in Loop: Header=BB73_3 Depth=1
	s_or_b32 exec_lo, exec_lo, s18
.LBB73_27:                              ;   in Loop: Header=BB73_3 Depth=1
	s_delay_alu instid0(SALU_CYCLE_1)
	s_and_not1_b32 vcc_lo, exec_lo, s70
	s_wait_loadcnt_dscnt 0x0
	s_barrier_signal -1
	s_barrier_wait -1
	s_cbranch_vccnz .LBB73_421
; %bb.28:                               ;   in Loop: Header=BB73_3 Depth=1
	s_and_saveexec_b32 s18, s8
	s_cbranch_execz .LBB73_30
; %bb.29:                               ;   in Loop: Header=BB73_3 Depth=1
	s_mov_b32 s36, s57
	s_mov_b32 s38, s57
	;; [unrolled: 1-line block ×3, first 2 shown]
	v_mov_b64_e32 v[18:19], s[36:37]
	v_mov_b64_e32 v[20:21], s[38:39]
	ds_store_b128 v2, v[18:21] offset:15840
	ds_store_b128 v2, v[18:21] offset:16368
.LBB73_30:                              ;   in Loop: Header=BB73_3 Depth=1
	s_or_b32 exec_lo, exec_lo, s18
	v_mov_b64_e32 v[18:19], 0
	v_mov_b64_e32 v[20:21], 0
	s_wait_dscnt 0x0
	s_barrier_signal -1
	s_barrier_wait -1
	global_wb scope:SCOPE_DEV
	s_wait_storecnt 0x0
	global_inv scope:SCOPE_DEV
	s_and_saveexec_b32 s36, s0
	s_cbranch_execz .LBB73_34
; %bb.31:                               ;   in Loop: Header=BB73_3 Depth=1
	ds_load_b128 v[18:21], v44 offset:16352
	ds_load_b128 v[40:43], v27 offset:15808
	s_wait_dscnt 0x0
	v_mul_f64_e32 v[4:5], v[20:21], v[42:43]
	v_mul_f64_e32 v[42:43], v[18:19], v[42:43]
	s_delay_alu instid0(VALU_DEP_2) | instskip(NEXT) | instid1(VALU_DEP_2)
	v_fma_f64 v[4:5], v[18:19], v[40:41], -v[4:5]
	v_fmac_f64_e32 v[42:43], v[20:21], v[40:41]
	s_delay_alu instid0(VALU_DEP_2) | instskip(NEXT) | instid1(VALU_DEP_2)
	v_add_f64_e32 v[18:19], 0, v[4:5]
	v_add_f64_e32 v[20:21], 0, v[42:43]
	s_and_saveexec_b32 s18, s9
	s_cbranch_execz .LBB73_33
; %bb.32:                               ;   in Loop: Header=BB73_3 Depth=1
	ds_load_b128 v[40:43], v2 offset:16368
	ds_load_b128 v[68:71], v45 offset:16320
	s_wait_dscnt 0x0
	v_mul_f64_e32 v[4:5], v[42:43], v[70:71]
	v_mul_f64_e32 v[70:71], v[40:41], v[70:71]
	s_delay_alu instid0(VALU_DEP_2) | instskip(NEXT) | instid1(VALU_DEP_2)
	v_fma_f64 v[4:5], v[40:41], v[68:69], -v[4:5]
	v_fmac_f64_e32 v[70:71], v[42:43], v[68:69]
	s_delay_alu instid0(VALU_DEP_2) | instskip(NEXT) | instid1(VALU_DEP_2)
	v_add_f64_e32 v[18:19], v[18:19], v[4:5]
	v_add_f64_e32 v[20:21], v[20:21], v[70:71]
.LBB73_33:                              ;   in Loop: Header=BB73_3 Depth=1
	s_or_b32 exec_lo, exec_lo, s18
.LBB73_34:                              ;   in Loop: Header=BB73_3 Depth=1
	s_delay_alu instid0(SALU_CYCLE_1)
	s_or_b32 exec_lo, exec_lo, s36
	s_and_saveexec_b32 s18, s71
	s_cbranch_execz .LBB73_36
; %bb.35:                               ;   in Loop: Header=BB73_3 Depth=1
	s_delay_alu instid0(VALU_DEP_2) | instskip(NEXT) | instid1(VALU_DEP_2)
	v_xor_b32_e32 v41, 0x80000000, v19
	v_xor_b32_e32 v43, 0x80000000, v21
	s_delay_alu instid0(VALU_DEP_3)
	v_dual_mov_b32 v40, v18 :: v_dual_mov_b32 v42, v20
	ds_store_b128 v25, v[40:43]
.LBB73_36:                              ;   in Loop: Header=BB73_3 Depth=1
	s_or_b32 exec_lo, exec_lo, s18
	s_wait_loadcnt_dscnt 0x0
	s_barrier_signal -1
	s_barrier_wait -1
	s_and_saveexec_b32 s18, s72
	s_cbranch_execz .LBB73_38
; %bb.37:                               ;   in Loop: Header=BB73_3 Depth=1
	ds_load_b128 v[40:43], v25
	ds_load_b128 v[68:71], v2 offset:15296
	s_wait_dscnt 0x0
	v_mul_f64_e32 v[4:5], v[40:41], v[68:69]
	v_mul_f64_e32 v[40:41], v[40:41], v[70:71]
	s_delay_alu instid0(VALU_DEP_2) | instskip(NEXT) | instid1(VALU_DEP_2)
	v_fma_f64 v[4:5], v[42:43], v[70:71], -v[4:5]
	v_fmac_f64_e32 v[40:41], v[42:43], v[68:69]
	s_delay_alu instid0(VALU_DEP_2) | instskip(NEXT) | instid1(VALU_DEP_2)
	v_add_f64_e32 v[18:19], v[18:19], v[4:5]
	v_add_f64_e64 v[20:21], v[20:21], -v[40:41]
.LBB73_38:                              ;   in Loop: Header=BB73_3 Depth=1
	s_or_b32 exec_lo, exec_lo, s18
	s_barrier_signal -1
	s_barrier_wait -1
	s_and_saveexec_b32 s18, s72
	s_cbranch_execz .LBB73_40
; %bb.39:                               ;   in Loop: Header=BB73_3 Depth=1
	s_delay_alu instid0(VALU_DEP_2) | instskip(NEXT) | instid1(VALU_DEP_2)
	v_xor_b32_e32 v41, 0x80000000, v19
	v_xor_b32_e32 v43, 0x80000000, v21
	s_delay_alu instid0(VALU_DEP_3)
	v_dual_mov_b32 v40, v18 :: v_dual_mov_b32 v42, v20
	ds_store_b128 v25, v[40:43]
.LBB73_40:                              ;   in Loop: Header=BB73_3 Depth=1
	s_or_b32 exec_lo, exec_lo, s18
	s_wait_dscnt 0x0
	s_barrier_signal -1
	s_barrier_wait -1
	s_barrier_signal -1
	s_barrier_wait -1
	s_and_saveexec_b32 s18, s0
; %bb.41:                               ;   in Loop: Header=BB73_3 Depth=1
	ds_store_b128 v47, v[18:21] offset:16320
; %bb.42:                               ;   in Loop: Header=BB73_3 Depth=1
	s_or_b32 exec_lo, exec_lo, s18
	s_wait_dscnt 0x0
	s_barrier_signal -1
	s_barrier_wait -1
	s_barrier_signal -1
	s_barrier_wait -1
	s_and_saveexec_b32 s18, s8
	s_cbranch_execz .LBB73_44
; %bb.43:                               ;   in Loop: Header=BB73_3 Depth=1
	s_mov_b32 s36, s57
	s_mov_b32 s38, s57
	s_mov_b32 s39, s57
	v_mov_b64_e32 v[18:19], s[36:37]
	v_mov_b64_e32 v[20:21], s[38:39]
	ds_store_b128 v2, v[18:21] offset:14784
	ds_store_b128 v2, v[18:21] offset:15312
.LBB73_44:                              ;   in Loop: Header=BB73_3 Depth=1
	s_or_b32 exec_lo, exec_lo, s18
	v_mov_b64_e32 v[20:21], 0
	v_mov_b64_e32 v[18:19], 0
	s_wait_dscnt 0x0
	s_barrier_signal -1
	s_barrier_wait -1
	global_wb scope:SCOPE_DEV
	s_wait_storecnt 0x0
	global_inv scope:SCOPE_DEV
	s_and_saveexec_b32 s36, s1
	s_cbranch_execz .LBB73_50
; %bb.45:                               ;   in Loop: Header=BB73_3 Depth=1
	ds_load_b128 v[18:21], v49 offset:16320
	ds_load_b128 v[40:43], v46 offset:14720
	s_wait_dscnt 0x0
	v_mul_f64_e32 v[4:5], v[20:21], v[42:43]
	v_mul_f64_e32 v[42:43], v[18:19], v[42:43]
	s_delay_alu instid0(VALU_DEP_2) | instskip(NEXT) | instid1(VALU_DEP_2)
	v_fma_f64 v[4:5], v[18:19], v[40:41], -v[4:5]
	v_fmac_f64_e32 v[42:43], v[20:21], v[40:41]
	s_delay_alu instid0(VALU_DEP_2) | instskip(NEXT) | instid1(VALU_DEP_2)
	v_add_f64_e32 v[18:19], 0, v[4:5]
	v_add_f64_e32 v[20:21], 0, v[42:43]
	s_and_saveexec_b32 s18, s10
	s_cbranch_execnz .LBB73_488
; %bb.46:                               ;   in Loop: Header=BB73_3 Depth=1
	s_or_b32 exec_lo, exec_lo, s18
	s_and_saveexec_b32 s18, s11
	s_cbranch_execnz .LBB73_489
.LBB73_47:                              ;   in Loop: Header=BB73_3 Depth=1
	s_or_b32 exec_lo, exec_lo, s18
	s_and_saveexec_b32 s18, s0
	s_cbranch_execz .LBB73_49
.LBB73_48:                              ;   in Loop: Header=BB73_3 Depth=1
	ds_load_b128 v[40:43], v2 offset:16368
	ds_load_b128 v[68:71], v45 offset:16256
	s_wait_dscnt 0x0
	v_mul_f64_e32 v[4:5], v[42:43], v[70:71]
	v_mul_f64_e32 v[70:71], v[40:41], v[70:71]
	s_delay_alu instid0(VALU_DEP_2) | instskip(NEXT) | instid1(VALU_DEP_2)
	v_fma_f64 v[4:5], v[40:41], v[68:69], -v[4:5]
	v_fmac_f64_e32 v[70:71], v[42:43], v[68:69]
	s_delay_alu instid0(VALU_DEP_2) | instskip(NEXT) | instid1(VALU_DEP_2)
	v_add_f64_e32 v[18:19], v[18:19], v[4:5]
	v_add_f64_e32 v[20:21], v[20:21], v[70:71]
.LBB73_49:                              ;   in Loop: Header=BB73_3 Depth=1
	s_or_b32 exec_lo, exec_lo, s18
.LBB73_50:                              ;   in Loop: Header=BB73_3 Depth=1
	s_delay_alu instid0(SALU_CYCLE_1)
	s_or_b32 exec_lo, exec_lo, s36
	s_and_saveexec_b32 s18, s73
	s_cbranch_execz .LBB73_52
; %bb.51:                               ;   in Loop: Header=BB73_3 Depth=1
	s_delay_alu instid0(VALU_DEP_1) | instskip(NEXT) | instid1(VALU_DEP_3)
	v_xor_b32_e32 v43, 0x80000000, v21
	v_xor_b32_e32 v41, 0x80000000, v19
	s_delay_alu instid0(VALU_DEP_3)
	v_dual_mov_b32 v40, v18 :: v_dual_mov_b32 v42, v20
	ds_store_b128 v48, v[40:43]
.LBB73_52:                              ;   in Loop: Header=BB73_3 Depth=1
	s_or_b32 exec_lo, exec_lo, s18
	s_wait_loadcnt_dscnt 0x0
	s_barrier_signal -1
	s_barrier_wait -1
	s_and_saveexec_b32 s18, s74
	s_cbranch_execz .LBB73_54
; %bb.53:                               ;   in Loop: Header=BB73_3 Depth=1
	ds_load_b128 v[40:43], v48
	ds_load_b128 v[68:71], v46 offset:14208
	s_wait_dscnt 0x0
	v_mul_f64_e32 v[4:5], v[42:43], v[70:71]
	v_mul_f64_e32 v[70:71], v[40:41], v[70:71]
	s_delay_alu instid0(VALU_DEP_2) | instskip(NEXT) | instid1(VALU_DEP_2)
	v_fma_f64 v[4:5], v[40:41], v[68:69], -v[4:5]
	v_fmac_f64_e32 v[70:71], v[42:43], v[68:69]
	s_delay_alu instid0(VALU_DEP_2) | instskip(NEXT) | instid1(VALU_DEP_2)
	v_add_f64_e64 v[18:19], v[18:19], -v[4:5]
	v_add_f64_e64 v[20:21], v[20:21], -v[70:71]
.LBB73_54:                              ;   in Loop: Header=BB73_3 Depth=1
	s_or_b32 exec_lo, exec_lo, s18
	s_barrier_signal -1
	s_barrier_wait -1
	s_and_saveexec_b32 s18, s75
	s_cbranch_execz .LBB73_56
; %bb.55:                               ;   in Loop: Header=BB73_3 Depth=1
	s_delay_alu instid0(VALU_DEP_1) | instskip(NEXT) | instid1(VALU_DEP_3)
	v_xor_b32_e32 v43, 0x80000000, v21
	v_xor_b32_e32 v41, 0x80000000, v19
	s_delay_alu instid0(VALU_DEP_3)
	v_dual_mov_b32 v40, v18 :: v_dual_mov_b32 v42, v20
	ds_store_b128 v48, v[40:43]
.LBB73_56:                              ;   in Loop: Header=BB73_3 Depth=1
	s_or_b32 exec_lo, exec_lo, s18
	s_wait_dscnt 0x0
	s_barrier_signal -1
	s_barrier_wait -1
	s_and_saveexec_b32 s18, s76
	s_cbranch_execz .LBB73_58
; %bb.57:                               ;   in Loop: Header=BB73_3 Depth=1
	ds_load_b128 v[40:43], v48
	ds_load_b128 v[68:71], v46 offset:13696
	s_wait_dscnt 0x0
	v_mul_f64_e32 v[4:5], v[42:43], v[70:71]
	v_mul_f64_e32 v[70:71], v[40:41], v[70:71]
	s_delay_alu instid0(VALU_DEP_2) | instskip(NEXT) | instid1(VALU_DEP_2)
	v_fma_f64 v[4:5], v[40:41], v[68:69], -v[4:5]
	v_fmac_f64_e32 v[70:71], v[42:43], v[68:69]
	s_delay_alu instid0(VALU_DEP_2) | instskip(NEXT) | instid1(VALU_DEP_2)
	v_add_f64_e64 v[18:19], v[18:19], -v[4:5]
	v_add_f64_e64 v[20:21], v[20:21], -v[70:71]
.LBB73_58:                              ;   in Loop: Header=BB73_3 Depth=1
	s_or_b32 exec_lo, exec_lo, s18
	s_barrier_signal -1
	s_barrier_wait -1
	s_and_saveexec_b32 s18, s77
	s_cbranch_execz .LBB73_60
; %bb.59:                               ;   in Loop: Header=BB73_3 Depth=1
	s_delay_alu instid0(VALU_DEP_1) | instskip(NEXT) | instid1(VALU_DEP_3)
	v_xor_b32_e32 v43, 0x80000000, v21
	v_xor_b32_e32 v41, 0x80000000, v19
	s_delay_alu instid0(VALU_DEP_3)
	v_dual_mov_b32 v40, v18 :: v_dual_mov_b32 v42, v20
	ds_store_b128 v48, v[40:43]
.LBB73_60:                              ;   in Loop: Header=BB73_3 Depth=1
	s_or_b32 exec_lo, exec_lo, s18
	s_wait_dscnt 0x0
	;; [unrolled: 32-line block ×3, first 2 shown]
	s_barrier_signal -1
	s_barrier_wait -1
	s_barrier_signal -1
	s_barrier_wait -1
	s_and_saveexec_b32 s18, s1
; %bb.65:                               ;   in Loop: Header=BB73_3 Depth=1
	ds_store_b128 v50, v[18:21] offset:16256
; %bb.66:                               ;   in Loop: Header=BB73_3 Depth=1
	s_or_b32 exec_lo, exec_lo, s18
	s_wait_dscnt 0x0
	s_barrier_signal -1
	s_barrier_wait -1
	s_barrier_signal -1
	s_barrier_wait -1
	s_and_saveexec_b32 s18, s8
	s_cbranch_execz .LBB73_68
; %bb.67:                               ;   in Loop: Header=BB73_3 Depth=1
	s_mov_b32 s36, s57
	s_mov_b32 s38, s57
	;; [unrolled: 1-line block ×3, first 2 shown]
	v_mov_b64_e32 v[18:19], s[36:37]
	v_mov_b64_e32 v[20:21], s[38:39]
	ds_store_b128 v2, v[18:21] offset:13728
	ds_store_b128 v2, v[18:21] offset:14256
.LBB73_68:                              ;   in Loop: Header=BB73_3 Depth=1
	s_or_b32 exec_lo, exec_lo, s18
	v_mov_b64_e32 v[18:19], 0
	v_mov_b64_e32 v[20:21], 0
	s_wait_dscnt 0x0
	s_barrier_signal -1
	s_barrier_wait -1
	global_wb scope:SCOPE_DEV
	s_wait_storecnt 0x0
	global_inv scope:SCOPE_DEV
	s_and_saveexec_b32 s36, s0
	s_cbranch_execz .LBB73_72
; %bb.69:                               ;   in Loop: Header=BB73_3 Depth=1
	ds_load_b128 v[18:21], v44 offset:14240
	ds_load_b128 v[40:43], v27 offset:13696
	s_wait_dscnt 0x0
	v_mul_f64_e32 v[4:5], v[20:21], v[42:43]
	v_mul_f64_e32 v[42:43], v[18:19], v[42:43]
	s_delay_alu instid0(VALU_DEP_2) | instskip(NEXT) | instid1(VALU_DEP_2)
	v_fma_f64 v[4:5], v[18:19], v[40:41], -v[4:5]
	v_fmac_f64_e32 v[42:43], v[20:21], v[40:41]
	s_delay_alu instid0(VALU_DEP_2) | instskip(NEXT) | instid1(VALU_DEP_2)
	v_add_f64_e32 v[18:19], 0, v[4:5]
	v_add_f64_e32 v[20:21], 0, v[42:43]
	s_and_saveexec_b32 s18, s9
	s_cbranch_execz .LBB73_71
; %bb.70:                               ;   in Loop: Header=BB73_3 Depth=1
	ds_load_b128 v[40:43], v2 offset:14256
	ds_load_b128 v[68:71], v45 offset:14208
	s_wait_dscnt 0x0
	v_mul_f64_e32 v[4:5], v[42:43], v[70:71]
	v_mul_f64_e32 v[70:71], v[40:41], v[70:71]
	s_delay_alu instid0(VALU_DEP_2) | instskip(NEXT) | instid1(VALU_DEP_2)
	v_fma_f64 v[4:5], v[40:41], v[68:69], -v[4:5]
	v_fmac_f64_e32 v[70:71], v[42:43], v[68:69]
	s_delay_alu instid0(VALU_DEP_2) | instskip(NEXT) | instid1(VALU_DEP_2)
	v_add_f64_e32 v[18:19], v[18:19], v[4:5]
	v_add_f64_e32 v[20:21], v[20:21], v[70:71]
.LBB73_71:                              ;   in Loop: Header=BB73_3 Depth=1
	s_or_b32 exec_lo, exec_lo, s18
.LBB73_72:                              ;   in Loop: Header=BB73_3 Depth=1
	s_delay_alu instid0(SALU_CYCLE_1)
	s_or_b32 exec_lo, exec_lo, s36
	s_and_saveexec_b32 s18, s71
	s_cbranch_execz .LBB73_74
; %bb.73:                               ;   in Loop: Header=BB73_3 Depth=1
	s_delay_alu instid0(VALU_DEP_2) | instskip(NEXT) | instid1(VALU_DEP_2)
	v_xor_b32_e32 v41, 0x80000000, v19
	v_xor_b32_e32 v43, 0x80000000, v21
	s_delay_alu instid0(VALU_DEP_3)
	v_dual_mov_b32 v40, v18 :: v_dual_mov_b32 v42, v20
	ds_store_b128 v25, v[40:43]
.LBB73_74:                              ;   in Loop: Header=BB73_3 Depth=1
	s_or_b32 exec_lo, exec_lo, s18
	s_wait_loadcnt_dscnt 0x0
	s_barrier_signal -1
	s_barrier_wait -1
	s_and_saveexec_b32 s18, s72
	s_cbranch_execz .LBB73_76
; %bb.75:                               ;   in Loop: Header=BB73_3 Depth=1
	ds_load_b128 v[40:43], v25
	ds_load_b128 v[68:71], v2 offset:13184
	s_wait_dscnt 0x0
	v_mul_f64_e32 v[4:5], v[40:41], v[68:69]
	v_mul_f64_e32 v[40:41], v[40:41], v[70:71]
	s_delay_alu instid0(VALU_DEP_2) | instskip(NEXT) | instid1(VALU_DEP_2)
	v_fma_f64 v[4:5], v[42:43], v[70:71], -v[4:5]
	v_fmac_f64_e32 v[40:41], v[42:43], v[68:69]
	s_delay_alu instid0(VALU_DEP_2) | instskip(NEXT) | instid1(VALU_DEP_2)
	v_add_f64_e32 v[18:19], v[18:19], v[4:5]
	v_add_f64_e64 v[20:21], v[20:21], -v[40:41]
.LBB73_76:                              ;   in Loop: Header=BB73_3 Depth=1
	s_or_b32 exec_lo, exec_lo, s18
	s_barrier_signal -1
	s_barrier_wait -1
	s_and_saveexec_b32 s18, s72
	s_cbranch_execz .LBB73_78
; %bb.77:                               ;   in Loop: Header=BB73_3 Depth=1
	s_delay_alu instid0(VALU_DEP_2) | instskip(NEXT) | instid1(VALU_DEP_2)
	v_xor_b32_e32 v41, 0x80000000, v19
	v_xor_b32_e32 v43, 0x80000000, v21
	s_delay_alu instid0(VALU_DEP_3)
	v_dual_mov_b32 v40, v18 :: v_dual_mov_b32 v42, v20
	ds_store_b128 v25, v[40:43]
.LBB73_78:                              ;   in Loop: Header=BB73_3 Depth=1
	s_or_b32 exec_lo, exec_lo, s18
	s_wait_dscnt 0x0
	s_barrier_signal -1
	s_barrier_wait -1
	s_barrier_signal -1
	s_barrier_wait -1
	s_and_saveexec_b32 s18, s0
; %bb.79:                               ;   in Loop: Header=BB73_3 Depth=1
	ds_store_b128 v47, v[18:21] offset:14208
; %bb.80:                               ;   in Loop: Header=BB73_3 Depth=1
	s_or_b32 exec_lo, exec_lo, s18
	s_wait_dscnt 0x0
	s_barrier_signal -1
	s_barrier_wait -1
	s_barrier_signal -1
	s_barrier_wait -1
	s_and_saveexec_b32 s18, s8
	s_cbranch_execz .LBB73_82
; %bb.81:                               ;   in Loop: Header=BB73_3 Depth=1
	s_mov_b32 s36, s57
	s_mov_b32 s38, s57
	;; [unrolled: 1-line block ×3, first 2 shown]
	v_mov_b64_e32 v[18:19], s[36:37]
	v_mov_b64_e32 v[20:21], s[38:39]
	ds_store_b128 v2, v[18:21] offset:12672
	ds_store_b128 v2, v[18:21] offset:13200
.LBB73_82:                              ;   in Loop: Header=BB73_3 Depth=1
	s_or_b32 exec_lo, exec_lo, s18
	v_mov_b64_e32 v[20:21], 0
	v_mov_b64_e32 v[18:19], 0
	s_wait_dscnt 0x0
	s_barrier_signal -1
	s_barrier_wait -1
	global_wb scope:SCOPE_DEV
	s_wait_storecnt 0x0
	global_inv scope:SCOPE_DEV
	s_and_saveexec_b32 s36, s2
	s_cbranch_execz .LBB73_92
; %bb.83:                               ;   in Loop: Header=BB73_3 Depth=1
	ds_load_b128 v[18:21], v54 offset:16256
	ds_load_b128 v[40:43], v52 offset:12544
	s_wait_dscnt 0x0
	v_mul_f64_e32 v[4:5], v[20:21], v[42:43]
	v_mul_f64_e32 v[42:43], v[18:19], v[42:43]
	s_delay_alu instid0(VALU_DEP_2) | instskip(NEXT) | instid1(VALU_DEP_2)
	v_fma_f64 v[4:5], v[18:19], v[40:41], -v[4:5]
	v_fmac_f64_e32 v[42:43], v[20:21], v[40:41]
	s_delay_alu instid0(VALU_DEP_2) | instskip(NEXT) | instid1(VALU_DEP_2)
	v_add_f64_e32 v[18:19], 0, v[4:5]
	v_add_f64_e32 v[20:21], 0, v[42:43]
	s_and_saveexec_b32 s18, s12
	s_cbranch_execnz .LBB73_490
; %bb.84:                               ;   in Loop: Header=BB73_3 Depth=1
	s_or_b32 exec_lo, exec_lo, s18
	s_and_saveexec_b32 s18, s13
	s_cbranch_execnz .LBB73_491
.LBB73_85:                              ;   in Loop: Header=BB73_3 Depth=1
	s_or_b32 exec_lo, exec_lo, s18
	s_and_saveexec_b32 s18, s14
	s_cbranch_execnz .LBB73_492
.LBB73_86:                              ;   in Loop: Header=BB73_3 Depth=1
	s_or_b32 exec_lo, exec_lo, s18
	s_and_saveexec_b32 s18, s15
	s_cbranch_execnz .LBB73_493
.LBB73_87:                              ;   in Loop: Header=BB73_3 Depth=1
	s_or_b32 exec_lo, exec_lo, s18
	s_and_saveexec_b32 s18, s16
	s_cbranch_execnz .LBB73_494
.LBB73_88:                              ;   in Loop: Header=BB73_3 Depth=1
	s_or_b32 exec_lo, exec_lo, s18
	s_and_saveexec_b32 s18, s1
	s_cbranch_execnz .LBB73_495
.LBB73_89:                              ;   in Loop: Header=BB73_3 Depth=1
	s_or_b32 exec_lo, exec_lo, s18
	s_and_saveexec_b32 s18, s11
	s_cbranch_execz .LBB73_91
.LBB73_90:                              ;   in Loop: Header=BB73_3 Depth=1
	ds_load_b128 v[40:43], v2 offset:16368
	ds_load_b128 v[68:71], v45 offset:16128
	s_wait_dscnt 0x0
	v_mul_f64_e32 v[4:5], v[42:43], v[70:71]
	v_mul_f64_e32 v[70:71], v[40:41], v[70:71]
	s_delay_alu instid0(VALU_DEP_2) | instskip(NEXT) | instid1(VALU_DEP_2)
	v_fma_f64 v[4:5], v[40:41], v[68:69], -v[4:5]
	v_fmac_f64_e32 v[70:71], v[42:43], v[68:69]
	s_delay_alu instid0(VALU_DEP_2) | instskip(NEXT) | instid1(VALU_DEP_2)
	v_add_f64_e32 v[18:19], v[18:19], v[4:5]
	v_add_f64_e32 v[20:21], v[20:21], v[70:71]
.LBB73_91:                              ;   in Loop: Header=BB73_3 Depth=1
	s_or_b32 exec_lo, exec_lo, s18
.LBB73_92:                              ;   in Loop: Header=BB73_3 Depth=1
	s_delay_alu instid0(SALU_CYCLE_1)
	s_or_b32 exec_lo, exec_lo, s36
	s_and_saveexec_b32 s18, s79
	s_cbranch_execz .LBB73_94
; %bb.93:                               ;   in Loop: Header=BB73_3 Depth=1
	s_delay_alu instid0(VALU_DEP_2) | instskip(NEXT) | instid1(VALU_DEP_2)
	v_xor_b32_e32 v41, 0x80000000, v19
	v_xor_b32_e32 v43, 0x80000000, v21
	s_delay_alu instid0(VALU_DEP_3)
	v_dual_mov_b32 v40, v18 :: v_dual_mov_b32 v42, v20
	ds_store_b128 v51, v[40:43]
.LBB73_94:                              ;   in Loop: Header=BB73_3 Depth=1
	s_or_b32 exec_lo, exec_lo, s18
	s_wait_loadcnt_dscnt 0x0
	s_barrier_signal -1
	s_barrier_wait -1
	s_and_saveexec_b32 s18, s80
	s_cbranch_execz .LBB73_96
; %bb.95:                               ;   in Loop: Header=BB73_3 Depth=1
	ds_load_b128 v[40:43], v51
	ds_load_b128 v[68:71], v52 offset:12032
	s_wait_dscnt 0x0
	v_mul_f64_e32 v[4:5], v[42:43], v[70:71]
	v_mul_f64_e32 v[70:71], v[40:41], v[70:71]
	s_delay_alu instid0(VALU_DEP_2) | instskip(NEXT) | instid1(VALU_DEP_2)
	v_fma_f64 v[4:5], v[40:41], v[68:69], -v[4:5]
	v_fmac_f64_e32 v[70:71], v[42:43], v[68:69]
	s_delay_alu instid0(VALU_DEP_2) | instskip(NEXT) | instid1(VALU_DEP_2)
	v_add_f64_e64 v[18:19], v[18:19], -v[4:5]
	v_add_f64_e64 v[20:21], v[20:21], -v[70:71]
.LBB73_96:                              ;   in Loop: Header=BB73_3 Depth=1
	s_or_b32 exec_lo, exec_lo, s18
	s_barrier_signal -1
	s_barrier_wait -1
	s_and_saveexec_b32 s18, s81
	s_cbranch_execz .LBB73_98
; %bb.97:                               ;   in Loop: Header=BB73_3 Depth=1
	s_delay_alu instid0(VALU_DEP_2) | instskip(NEXT) | instid1(VALU_DEP_2)
	v_xor_b32_e32 v41, 0x80000000, v19
	v_xor_b32_e32 v43, 0x80000000, v21
	s_delay_alu instid0(VALU_DEP_3)
	v_dual_mov_b32 v40, v18 :: v_dual_mov_b32 v42, v20
	ds_store_b128 v51, v[40:43]
.LBB73_98:                              ;   in Loop: Header=BB73_3 Depth=1
	s_or_b32 exec_lo, exec_lo, s18
	s_wait_dscnt 0x0
	s_barrier_signal -1
	s_barrier_wait -1
	s_and_saveexec_b32 s18, s82
	s_cbranch_execz .LBB73_100
; %bb.99:                               ;   in Loop: Header=BB73_3 Depth=1
	ds_load_b128 v[40:43], v51
	ds_load_b128 v[68:71], v52 offset:11520
	s_wait_dscnt 0x0
	v_mul_f64_e32 v[4:5], v[42:43], v[70:71]
	v_mul_f64_e32 v[70:71], v[40:41], v[70:71]
	s_delay_alu instid0(VALU_DEP_2) | instskip(NEXT) | instid1(VALU_DEP_2)
	v_fma_f64 v[4:5], v[40:41], v[68:69], -v[4:5]
	v_fmac_f64_e32 v[70:71], v[42:43], v[68:69]
	s_delay_alu instid0(VALU_DEP_2) | instskip(NEXT) | instid1(VALU_DEP_2)
	v_add_f64_e64 v[18:19], v[18:19], -v[4:5]
	v_add_f64_e64 v[20:21], v[20:21], -v[70:71]
.LBB73_100:                             ;   in Loop: Header=BB73_3 Depth=1
	s_or_b32 exec_lo, exec_lo, s18
	s_barrier_signal -1
	s_barrier_wait -1
	s_and_saveexec_b32 s18, s83
	s_cbranch_execz .LBB73_102
; %bb.101:                              ;   in Loop: Header=BB73_3 Depth=1
	s_delay_alu instid0(VALU_DEP_2) | instskip(NEXT) | instid1(VALU_DEP_2)
	v_xor_b32_e32 v41, 0x80000000, v19
	v_xor_b32_e32 v43, 0x80000000, v21
	s_delay_alu instid0(VALU_DEP_3)
	v_dual_mov_b32 v40, v18 :: v_dual_mov_b32 v42, v20
	ds_store_b128 v51, v[40:43]
.LBB73_102:                             ;   in Loop: Header=BB73_3 Depth=1
	s_or_b32 exec_lo, exec_lo, s18
	s_wait_dscnt 0x0
	s_barrier_signal -1
	s_barrier_wait -1
	s_and_saveexec_b32 s18, s84
	s_cbranch_execz .LBB73_104
; %bb.103:                              ;   in Loop: Header=BB73_3 Depth=1
	ds_load_b128 v[40:43], v51
	ds_load_b128 v[68:71], v52 offset:11008
	s_wait_dscnt 0x0
	v_mul_f64_e32 v[4:5], v[42:43], v[70:71]
	v_mul_f64_e32 v[70:71], v[40:41], v[70:71]
	s_delay_alu instid0(VALU_DEP_2) | instskip(NEXT) | instid1(VALU_DEP_2)
	v_fma_f64 v[4:5], v[40:41], v[68:69], -v[4:5]
	v_fmac_f64_e32 v[70:71], v[42:43], v[68:69]
	s_delay_alu instid0(VALU_DEP_2) | instskip(NEXT) | instid1(VALU_DEP_2)
	v_add_f64_e64 v[18:19], v[18:19], -v[4:5]
	v_add_f64_e64 v[20:21], v[20:21], -v[70:71]
.LBB73_104:                             ;   in Loop: Header=BB73_3 Depth=1
	s_or_b32 exec_lo, exec_lo, s18
	s_barrier_signal -1
	s_barrier_wait -1
	s_and_saveexec_b32 s18, s85
	s_cbranch_execz .LBB73_106
; %bb.105:                              ;   in Loop: Header=BB73_3 Depth=1
	s_delay_alu instid0(VALU_DEP_2) | instskip(NEXT) | instid1(VALU_DEP_2)
	v_xor_b32_e32 v41, 0x80000000, v19
	v_xor_b32_e32 v43, 0x80000000, v21
	s_delay_alu instid0(VALU_DEP_3)
	v_dual_mov_b32 v40, v18 :: v_dual_mov_b32 v42, v20
	ds_store_b128 v51, v[40:43]
.LBB73_106:                             ;   in Loop: Header=BB73_3 Depth=1
	s_or_b32 exec_lo, exec_lo, s18
	s_wait_dscnt 0x0
	s_barrier_signal -1
	s_barrier_wait -1
	s_and_saveexec_b32 s18, s86
	s_cbranch_execz .LBB73_108
; %bb.107:                              ;   in Loop: Header=BB73_3 Depth=1
	ds_load_b128 v[40:43], v51
	ds_load_b128 v[68:71], v52 offset:10496
	s_wait_dscnt 0x0
	v_mul_f64_e32 v[4:5], v[42:43], v[70:71]
	v_mul_f64_e32 v[70:71], v[40:41], v[70:71]
	s_delay_alu instid0(VALU_DEP_2) | instskip(NEXT) | instid1(VALU_DEP_2)
	v_fma_f64 v[4:5], v[40:41], v[68:69], -v[4:5]
	v_fmac_f64_e32 v[70:71], v[42:43], v[68:69]
	s_delay_alu instid0(VALU_DEP_2) | instskip(NEXT) | instid1(VALU_DEP_2)
	v_add_f64_e64 v[18:19], v[18:19], -v[4:5]
	v_add_f64_e64 v[20:21], v[20:21], -v[70:71]
.LBB73_108:                             ;   in Loop: Header=BB73_3 Depth=1
	;; [unrolled: 32-line block ×5, first 2 shown]
	s_or_b32 exec_lo, exec_lo, s18
	s_barrier_signal -1
	s_barrier_wait -1
	s_and_saveexec_b32 s18, s92
	s_cbranch_execz .LBB73_122
; %bb.121:                              ;   in Loop: Header=BB73_3 Depth=1
	s_delay_alu instid0(VALU_DEP_2) | instskip(NEXT) | instid1(VALU_DEP_2)
	v_xor_b32_e32 v41, 0x80000000, v19
	v_xor_b32_e32 v43, 0x80000000, v21
	s_delay_alu instid0(VALU_DEP_3)
	v_dual_mov_b32 v40, v18 :: v_dual_mov_b32 v42, v20
	ds_store_b128 v51, v[40:43]
.LBB73_122:                             ;   in Loop: Header=BB73_3 Depth=1
	s_or_b32 exec_lo, exec_lo, s18
	s_wait_dscnt 0x0
	s_barrier_signal -1
	s_barrier_wait -1
	s_barrier_signal -1
	s_barrier_wait -1
	s_and_saveexec_b32 s18, s2
; %bb.123:                              ;   in Loop: Header=BB73_3 Depth=1
	ds_store_b128 v55, v[18:21] offset:16128
; %bb.124:                              ;   in Loop: Header=BB73_3 Depth=1
	s_or_b32 exec_lo, exec_lo, s18
	s_wait_dscnt 0x0
	s_barrier_signal -1
	s_barrier_wait -1
	s_barrier_signal -1
	s_barrier_wait -1
	s_and_saveexec_b32 s18, s8
	s_cbranch_execz .LBB73_126
; %bb.125:                              ;   in Loop: Header=BB73_3 Depth=1
	s_mov_b32 s36, s57
	s_mov_b32 s38, s57
	;; [unrolled: 1-line block ×3, first 2 shown]
	v_mov_b64_e32 v[18:19], s[36:37]
	v_mov_b64_e32 v[20:21], s[38:39]
	ds_store_b128 v2, v[18:21] offset:11616
	ds_store_b128 v2, v[18:21] offset:12144
.LBB73_126:                             ;   in Loop: Header=BB73_3 Depth=1
	s_or_b32 exec_lo, exec_lo, s18
	v_mov_b64_e32 v[18:19], 0
	v_mov_b64_e32 v[20:21], 0
	s_wait_dscnt 0x0
	s_barrier_signal -1
	s_barrier_wait -1
	global_wb scope:SCOPE_DEV
	s_wait_storecnt 0x0
	global_inv scope:SCOPE_DEV
	s_and_saveexec_b32 s36, s0
	s_cbranch_execz .LBB73_130
; %bb.127:                              ;   in Loop: Header=BB73_3 Depth=1
	ds_load_b128 v[18:21], v44 offset:12128
	ds_load_b128 v[40:43], v27 offset:11584
	s_wait_dscnt 0x0
	v_mul_f64_e32 v[4:5], v[20:21], v[42:43]
	v_mul_f64_e32 v[42:43], v[18:19], v[42:43]
	s_delay_alu instid0(VALU_DEP_2) | instskip(NEXT) | instid1(VALU_DEP_2)
	v_fma_f64 v[4:5], v[18:19], v[40:41], -v[4:5]
	v_fmac_f64_e32 v[42:43], v[20:21], v[40:41]
	s_delay_alu instid0(VALU_DEP_2) | instskip(NEXT) | instid1(VALU_DEP_2)
	v_add_f64_e32 v[18:19], 0, v[4:5]
	v_add_f64_e32 v[20:21], 0, v[42:43]
	s_and_saveexec_b32 s18, s9
	s_cbranch_execz .LBB73_129
; %bb.128:                              ;   in Loop: Header=BB73_3 Depth=1
	ds_load_b128 v[40:43], v2 offset:12144
	ds_load_b128 v[68:71], v45 offset:12096
	s_wait_dscnt 0x0
	v_mul_f64_e32 v[4:5], v[42:43], v[70:71]
	v_mul_f64_e32 v[70:71], v[40:41], v[70:71]
	s_delay_alu instid0(VALU_DEP_2) | instskip(NEXT) | instid1(VALU_DEP_2)
	v_fma_f64 v[4:5], v[40:41], v[68:69], -v[4:5]
	v_fmac_f64_e32 v[70:71], v[42:43], v[68:69]
	s_delay_alu instid0(VALU_DEP_2) | instskip(NEXT) | instid1(VALU_DEP_2)
	v_add_f64_e32 v[18:19], v[18:19], v[4:5]
	v_add_f64_e32 v[20:21], v[20:21], v[70:71]
.LBB73_129:                             ;   in Loop: Header=BB73_3 Depth=1
	s_or_b32 exec_lo, exec_lo, s18
.LBB73_130:                             ;   in Loop: Header=BB73_3 Depth=1
	s_delay_alu instid0(SALU_CYCLE_1)
	s_or_b32 exec_lo, exec_lo, s36
	s_and_saveexec_b32 s18, s71
	s_cbranch_execz .LBB73_132
; %bb.131:                              ;   in Loop: Header=BB73_3 Depth=1
	s_delay_alu instid0(VALU_DEP_2) | instskip(NEXT) | instid1(VALU_DEP_2)
	v_xor_b32_e32 v41, 0x80000000, v19
	v_xor_b32_e32 v43, 0x80000000, v21
	s_delay_alu instid0(VALU_DEP_3)
	v_dual_mov_b32 v40, v18 :: v_dual_mov_b32 v42, v20
	ds_store_b128 v25, v[40:43]
.LBB73_132:                             ;   in Loop: Header=BB73_3 Depth=1
	s_or_b32 exec_lo, exec_lo, s18
	s_wait_loadcnt_dscnt 0x0
	s_barrier_signal -1
	s_barrier_wait -1
	s_and_saveexec_b32 s18, s72
	s_cbranch_execz .LBB73_134
; %bb.133:                              ;   in Loop: Header=BB73_3 Depth=1
	ds_load_b128 v[40:43], v25
	ds_load_b128 v[68:71], v2 offset:11072
	s_wait_dscnt 0x0
	v_mul_f64_e32 v[4:5], v[40:41], v[68:69]
	v_mul_f64_e32 v[40:41], v[40:41], v[70:71]
	s_delay_alu instid0(VALU_DEP_2) | instskip(NEXT) | instid1(VALU_DEP_2)
	v_fma_f64 v[4:5], v[42:43], v[70:71], -v[4:5]
	v_fmac_f64_e32 v[40:41], v[42:43], v[68:69]
	s_delay_alu instid0(VALU_DEP_2) | instskip(NEXT) | instid1(VALU_DEP_2)
	v_add_f64_e32 v[18:19], v[18:19], v[4:5]
	v_add_f64_e64 v[20:21], v[20:21], -v[40:41]
.LBB73_134:                             ;   in Loop: Header=BB73_3 Depth=1
	s_or_b32 exec_lo, exec_lo, s18
	s_barrier_signal -1
	s_barrier_wait -1
	s_and_saveexec_b32 s18, s72
	s_cbranch_execz .LBB73_136
; %bb.135:                              ;   in Loop: Header=BB73_3 Depth=1
	s_delay_alu instid0(VALU_DEP_2) | instskip(NEXT) | instid1(VALU_DEP_2)
	v_xor_b32_e32 v41, 0x80000000, v19
	v_xor_b32_e32 v43, 0x80000000, v21
	s_delay_alu instid0(VALU_DEP_3)
	v_dual_mov_b32 v40, v18 :: v_dual_mov_b32 v42, v20
	ds_store_b128 v25, v[40:43]
.LBB73_136:                             ;   in Loop: Header=BB73_3 Depth=1
	s_or_b32 exec_lo, exec_lo, s18
	s_wait_dscnt 0x0
	s_barrier_signal -1
	s_barrier_wait -1
	s_barrier_signal -1
	s_barrier_wait -1
	s_and_saveexec_b32 s18, s0
; %bb.137:                              ;   in Loop: Header=BB73_3 Depth=1
	ds_store_b128 v47, v[18:21] offset:12096
; %bb.138:                              ;   in Loop: Header=BB73_3 Depth=1
	s_or_b32 exec_lo, exec_lo, s18
	s_wait_dscnt 0x0
	s_barrier_signal -1
	s_barrier_wait -1
	s_barrier_signal -1
	s_barrier_wait -1
	s_and_saveexec_b32 s18, s8
	s_cbranch_execz .LBB73_140
; %bb.139:                              ;   in Loop: Header=BB73_3 Depth=1
	s_mov_b32 s36, s57
	s_mov_b32 s38, s57
	;; [unrolled: 1-line block ×3, first 2 shown]
	v_mov_b64_e32 v[18:19], s[36:37]
	v_mov_b64_e32 v[20:21], s[38:39]
	ds_store_b128 v2, v[18:21] offset:10560
	ds_store_b128 v2, v[18:21] offset:11088
.LBB73_140:                             ;   in Loop: Header=BB73_3 Depth=1
	s_or_b32 exec_lo, exec_lo, s18
	v_mov_b64_e32 v[20:21], 0
	v_mov_b64_e32 v[18:19], 0
	s_wait_dscnt 0x0
	s_barrier_signal -1
	s_barrier_wait -1
	global_wb scope:SCOPE_DEV
	s_wait_storecnt 0x0
	global_inv scope:SCOPE_DEV
	s_and_saveexec_b32 s36, s1
	s_cbranch_execz .LBB73_146
; %bb.141:                              ;   in Loop: Header=BB73_3 Depth=1
	ds_load_b128 v[18:21], v49 offset:12096
	ds_load_b128 v[40:43], v46 offset:10496
	s_wait_dscnt 0x0
	v_mul_f64_e32 v[4:5], v[20:21], v[42:43]
	v_mul_f64_e32 v[42:43], v[18:19], v[42:43]
	s_delay_alu instid0(VALU_DEP_2) | instskip(NEXT) | instid1(VALU_DEP_2)
	v_fma_f64 v[4:5], v[18:19], v[40:41], -v[4:5]
	v_fmac_f64_e32 v[42:43], v[20:21], v[40:41]
	s_delay_alu instid0(VALU_DEP_2) | instskip(NEXT) | instid1(VALU_DEP_2)
	v_add_f64_e32 v[18:19], 0, v[4:5]
	v_add_f64_e32 v[20:21], 0, v[42:43]
	s_and_saveexec_b32 s18, s10
	s_cbranch_execnz .LBB73_496
; %bb.142:                              ;   in Loop: Header=BB73_3 Depth=1
	s_or_b32 exec_lo, exec_lo, s18
	s_and_saveexec_b32 s18, s11
	s_cbranch_execnz .LBB73_497
.LBB73_143:                             ;   in Loop: Header=BB73_3 Depth=1
	s_or_b32 exec_lo, exec_lo, s18
	s_and_saveexec_b32 s18, s0
	s_cbranch_execz .LBB73_145
.LBB73_144:                             ;   in Loop: Header=BB73_3 Depth=1
	ds_load_b128 v[40:43], v2 offset:12144
	ds_load_b128 v[68:71], v45 offset:12032
	s_wait_dscnt 0x0
	v_mul_f64_e32 v[4:5], v[42:43], v[70:71]
	v_mul_f64_e32 v[70:71], v[40:41], v[70:71]
	s_delay_alu instid0(VALU_DEP_2) | instskip(NEXT) | instid1(VALU_DEP_2)
	v_fma_f64 v[4:5], v[40:41], v[68:69], -v[4:5]
	v_fmac_f64_e32 v[70:71], v[42:43], v[68:69]
	s_delay_alu instid0(VALU_DEP_2) | instskip(NEXT) | instid1(VALU_DEP_2)
	v_add_f64_e32 v[18:19], v[18:19], v[4:5]
	v_add_f64_e32 v[20:21], v[20:21], v[70:71]
.LBB73_145:                             ;   in Loop: Header=BB73_3 Depth=1
	s_or_b32 exec_lo, exec_lo, s18
.LBB73_146:                             ;   in Loop: Header=BB73_3 Depth=1
	s_delay_alu instid0(SALU_CYCLE_1)
	s_or_b32 exec_lo, exec_lo, s36
	s_and_saveexec_b32 s18, s73
	s_cbranch_execz .LBB73_148
; %bb.147:                              ;   in Loop: Header=BB73_3 Depth=1
	s_delay_alu instid0(VALU_DEP_1) | instskip(NEXT) | instid1(VALU_DEP_3)
	v_xor_b32_e32 v43, 0x80000000, v21
	v_xor_b32_e32 v41, 0x80000000, v19
	s_delay_alu instid0(VALU_DEP_3)
	v_dual_mov_b32 v40, v18 :: v_dual_mov_b32 v42, v20
	ds_store_b128 v48, v[40:43]
.LBB73_148:                             ;   in Loop: Header=BB73_3 Depth=1
	s_or_b32 exec_lo, exec_lo, s18
	s_wait_loadcnt_dscnt 0x0
	s_barrier_signal -1
	s_barrier_wait -1
	s_and_saveexec_b32 s18, s74
	s_cbranch_execz .LBB73_150
; %bb.149:                              ;   in Loop: Header=BB73_3 Depth=1
	ds_load_b128 v[40:43], v48
	ds_load_b128 v[68:71], v46 offset:9984
	s_wait_dscnt 0x0
	v_mul_f64_e32 v[4:5], v[42:43], v[70:71]
	v_mul_f64_e32 v[70:71], v[40:41], v[70:71]
	s_delay_alu instid0(VALU_DEP_2) | instskip(NEXT) | instid1(VALU_DEP_2)
	v_fma_f64 v[4:5], v[40:41], v[68:69], -v[4:5]
	v_fmac_f64_e32 v[70:71], v[42:43], v[68:69]
	s_delay_alu instid0(VALU_DEP_2) | instskip(NEXT) | instid1(VALU_DEP_2)
	v_add_f64_e64 v[18:19], v[18:19], -v[4:5]
	v_add_f64_e64 v[20:21], v[20:21], -v[70:71]
.LBB73_150:                             ;   in Loop: Header=BB73_3 Depth=1
	s_or_b32 exec_lo, exec_lo, s18
	s_barrier_signal -1
	s_barrier_wait -1
	s_and_saveexec_b32 s18, s75
	s_cbranch_execz .LBB73_152
; %bb.151:                              ;   in Loop: Header=BB73_3 Depth=1
	s_delay_alu instid0(VALU_DEP_1) | instskip(NEXT) | instid1(VALU_DEP_3)
	v_xor_b32_e32 v43, 0x80000000, v21
	v_xor_b32_e32 v41, 0x80000000, v19
	s_delay_alu instid0(VALU_DEP_3)
	v_dual_mov_b32 v40, v18 :: v_dual_mov_b32 v42, v20
	ds_store_b128 v48, v[40:43]
.LBB73_152:                             ;   in Loop: Header=BB73_3 Depth=1
	s_or_b32 exec_lo, exec_lo, s18
	s_wait_dscnt 0x0
	s_barrier_signal -1
	s_barrier_wait -1
	s_and_saveexec_b32 s18, s76
	s_cbranch_execz .LBB73_154
; %bb.153:                              ;   in Loop: Header=BB73_3 Depth=1
	ds_load_b128 v[40:43], v48
	ds_load_b128 v[68:71], v46 offset:9472
	s_wait_dscnt 0x0
	v_mul_f64_e32 v[4:5], v[42:43], v[70:71]
	v_mul_f64_e32 v[70:71], v[40:41], v[70:71]
	s_delay_alu instid0(VALU_DEP_2) | instskip(NEXT) | instid1(VALU_DEP_2)
	v_fma_f64 v[4:5], v[40:41], v[68:69], -v[4:5]
	v_fmac_f64_e32 v[70:71], v[42:43], v[68:69]
	s_delay_alu instid0(VALU_DEP_2) | instskip(NEXT) | instid1(VALU_DEP_2)
	v_add_f64_e64 v[18:19], v[18:19], -v[4:5]
	v_add_f64_e64 v[20:21], v[20:21], -v[70:71]
.LBB73_154:                             ;   in Loop: Header=BB73_3 Depth=1
	s_or_b32 exec_lo, exec_lo, s18
	s_barrier_signal -1
	s_barrier_wait -1
	s_and_saveexec_b32 s18, s77
	s_cbranch_execz .LBB73_156
; %bb.155:                              ;   in Loop: Header=BB73_3 Depth=1
	s_delay_alu instid0(VALU_DEP_1) | instskip(NEXT) | instid1(VALU_DEP_3)
	v_xor_b32_e32 v43, 0x80000000, v21
	v_xor_b32_e32 v41, 0x80000000, v19
	s_delay_alu instid0(VALU_DEP_3)
	v_dual_mov_b32 v40, v18 :: v_dual_mov_b32 v42, v20
	ds_store_b128 v48, v[40:43]
.LBB73_156:                             ;   in Loop: Header=BB73_3 Depth=1
	s_or_b32 exec_lo, exec_lo, s18
	s_wait_dscnt 0x0
	;; [unrolled: 32-line block ×3, first 2 shown]
	s_barrier_signal -1
	s_barrier_wait -1
	s_barrier_signal -1
	s_barrier_wait -1
	s_and_saveexec_b32 s18, s1
; %bb.161:                              ;   in Loop: Header=BB73_3 Depth=1
	ds_store_b128 v50, v[18:21] offset:12032
; %bb.162:                              ;   in Loop: Header=BB73_3 Depth=1
	s_or_b32 exec_lo, exec_lo, s18
	s_wait_dscnt 0x0
	s_barrier_signal -1
	s_barrier_wait -1
	s_barrier_signal -1
	s_barrier_wait -1
	s_and_saveexec_b32 s18, s8
	s_cbranch_execz .LBB73_164
; %bb.163:                              ;   in Loop: Header=BB73_3 Depth=1
	s_mov_b32 s36, s57
	s_mov_b32 s38, s57
	;; [unrolled: 1-line block ×3, first 2 shown]
	v_mov_b64_e32 v[18:19], s[36:37]
	v_mov_b64_e32 v[20:21], s[38:39]
	ds_store_b128 v2, v[18:21] offset:9504
	ds_store_b128 v2, v[18:21] offset:10032
.LBB73_164:                             ;   in Loop: Header=BB73_3 Depth=1
	s_or_b32 exec_lo, exec_lo, s18
	v_mov_b64_e32 v[18:19], 0
	v_mov_b64_e32 v[20:21], 0
	s_wait_dscnt 0x0
	s_barrier_signal -1
	s_barrier_wait -1
	global_wb scope:SCOPE_DEV
	s_wait_storecnt 0x0
	global_inv scope:SCOPE_DEV
	s_and_saveexec_b32 s36, s0
	s_cbranch_execz .LBB73_168
; %bb.165:                              ;   in Loop: Header=BB73_3 Depth=1
	ds_load_b128 v[18:21], v44 offset:10016
	ds_load_b128 v[40:43], v27 offset:9472
	s_wait_dscnt 0x0
	v_mul_f64_e32 v[4:5], v[20:21], v[42:43]
	v_mul_f64_e32 v[42:43], v[18:19], v[42:43]
	s_delay_alu instid0(VALU_DEP_2) | instskip(NEXT) | instid1(VALU_DEP_2)
	v_fma_f64 v[4:5], v[18:19], v[40:41], -v[4:5]
	v_fmac_f64_e32 v[42:43], v[20:21], v[40:41]
	s_delay_alu instid0(VALU_DEP_2) | instskip(NEXT) | instid1(VALU_DEP_2)
	v_add_f64_e32 v[18:19], 0, v[4:5]
	v_add_f64_e32 v[20:21], 0, v[42:43]
	s_and_saveexec_b32 s18, s9
	s_cbranch_execz .LBB73_167
; %bb.166:                              ;   in Loop: Header=BB73_3 Depth=1
	ds_load_b128 v[40:43], v2 offset:10032
	ds_load_b128 v[68:71], v45 offset:9984
	s_wait_dscnt 0x0
	v_mul_f64_e32 v[4:5], v[42:43], v[70:71]
	v_mul_f64_e32 v[70:71], v[40:41], v[70:71]
	s_delay_alu instid0(VALU_DEP_2) | instskip(NEXT) | instid1(VALU_DEP_2)
	v_fma_f64 v[4:5], v[40:41], v[68:69], -v[4:5]
	v_fmac_f64_e32 v[70:71], v[42:43], v[68:69]
	s_delay_alu instid0(VALU_DEP_2) | instskip(NEXT) | instid1(VALU_DEP_2)
	v_add_f64_e32 v[18:19], v[18:19], v[4:5]
	v_add_f64_e32 v[20:21], v[20:21], v[70:71]
.LBB73_167:                             ;   in Loop: Header=BB73_3 Depth=1
	s_or_b32 exec_lo, exec_lo, s18
.LBB73_168:                             ;   in Loop: Header=BB73_3 Depth=1
	s_delay_alu instid0(SALU_CYCLE_1)
	s_or_b32 exec_lo, exec_lo, s36
	s_and_saveexec_b32 s18, s71
	s_cbranch_execz .LBB73_170
; %bb.169:                              ;   in Loop: Header=BB73_3 Depth=1
	s_delay_alu instid0(VALU_DEP_2) | instskip(NEXT) | instid1(VALU_DEP_2)
	v_xor_b32_e32 v41, 0x80000000, v19
	v_xor_b32_e32 v43, 0x80000000, v21
	s_delay_alu instid0(VALU_DEP_3)
	v_dual_mov_b32 v40, v18 :: v_dual_mov_b32 v42, v20
	ds_store_b128 v25, v[40:43]
.LBB73_170:                             ;   in Loop: Header=BB73_3 Depth=1
	s_or_b32 exec_lo, exec_lo, s18
	s_wait_loadcnt_dscnt 0x0
	s_barrier_signal -1
	s_barrier_wait -1
	s_and_saveexec_b32 s18, s72
	s_cbranch_execz .LBB73_172
; %bb.171:                              ;   in Loop: Header=BB73_3 Depth=1
	ds_load_b128 v[40:43], v25
	ds_load_b128 v[68:71], v2 offset:8960
	s_wait_dscnt 0x0
	v_mul_f64_e32 v[4:5], v[40:41], v[68:69]
	v_mul_f64_e32 v[40:41], v[40:41], v[70:71]
	s_delay_alu instid0(VALU_DEP_2) | instskip(NEXT) | instid1(VALU_DEP_2)
	v_fma_f64 v[4:5], v[42:43], v[70:71], -v[4:5]
	v_fmac_f64_e32 v[40:41], v[42:43], v[68:69]
	s_delay_alu instid0(VALU_DEP_2) | instskip(NEXT) | instid1(VALU_DEP_2)
	v_add_f64_e32 v[18:19], v[18:19], v[4:5]
	v_add_f64_e64 v[20:21], v[20:21], -v[40:41]
.LBB73_172:                             ;   in Loop: Header=BB73_3 Depth=1
	s_or_b32 exec_lo, exec_lo, s18
	s_barrier_signal -1
	s_barrier_wait -1
	s_and_saveexec_b32 s18, s72
	s_cbranch_execz .LBB73_174
; %bb.173:                              ;   in Loop: Header=BB73_3 Depth=1
	s_delay_alu instid0(VALU_DEP_2) | instskip(NEXT) | instid1(VALU_DEP_2)
	v_xor_b32_e32 v41, 0x80000000, v19
	v_xor_b32_e32 v43, 0x80000000, v21
	s_delay_alu instid0(VALU_DEP_3)
	v_dual_mov_b32 v40, v18 :: v_dual_mov_b32 v42, v20
	ds_store_b128 v25, v[40:43]
.LBB73_174:                             ;   in Loop: Header=BB73_3 Depth=1
	s_or_b32 exec_lo, exec_lo, s18
	s_wait_dscnt 0x0
	s_barrier_signal -1
	s_barrier_wait -1
	s_barrier_signal -1
	s_barrier_wait -1
	s_and_saveexec_b32 s18, s0
; %bb.175:                              ;   in Loop: Header=BB73_3 Depth=1
	ds_store_b128 v47, v[18:21] offset:9984
; %bb.176:                              ;   in Loop: Header=BB73_3 Depth=1
	s_or_b32 exec_lo, exec_lo, s18
	s_wait_dscnt 0x0
	s_barrier_signal -1
	s_barrier_wait -1
	s_barrier_signal -1
	s_barrier_wait -1
	s_and_saveexec_b32 s18, s8
	s_cbranch_execz .LBB73_178
; %bb.177:                              ;   in Loop: Header=BB73_3 Depth=1
	s_mov_b32 s36, s57
	s_mov_b32 s38, s57
	;; [unrolled: 1-line block ×3, first 2 shown]
	v_mov_b64_e32 v[18:19], s[36:37]
	v_mov_b64_e32 v[20:21], s[38:39]
	ds_store_b128 v2, v[18:21] offset:8448
	ds_store_b128 v2, v[18:21] offset:8976
.LBB73_178:                             ;   in Loop: Header=BB73_3 Depth=1
	s_or_b32 exec_lo, exec_lo, s18
	v_mov_b64_e32 v[20:21], 0
	v_mov_b64_e32 v[18:19], 0
	s_wait_dscnt 0x0
	s_barrier_signal -1
	s_barrier_wait -1
	global_wb scope:SCOPE_DEV
	s_wait_storecnt 0x0
	global_inv scope:SCOPE_DEV
	s_and_saveexec_b32 s36, s3
	s_cbranch_execz .LBB73_206
; %bb.179:                              ;   in Loop: Header=BB73_3 Depth=1
	ds_load_b128 v[18:21], v57 offset:16128
	ds_load_b128 v[40:43], v53 offset:8192
	s_wait_dscnt 0x0
	v_mul_f64_e32 v[4:5], v[20:21], v[42:43]
	v_mul_f64_e32 v[42:43], v[18:19], v[42:43]
	s_delay_alu instid0(VALU_DEP_2) | instskip(NEXT) | instid1(VALU_DEP_2)
	v_fma_f64 v[4:5], v[18:19], v[40:41], -v[4:5]
	v_fmac_f64_e32 v[42:43], v[20:21], v[40:41]
	s_delay_alu instid0(VALU_DEP_2) | instskip(NEXT) | instid1(VALU_DEP_2)
	v_add_f64_e32 v[18:19], 0, v[4:5]
	v_add_f64_e32 v[20:21], 0, v[42:43]
	s_mov_b32 s18, exec_lo
	v_readlane_b32 s19, v74, 20
	s_and_b32 s19, s18, s19
	s_delay_alu instid0(SALU_CYCLE_1)
	s_mov_b32 exec_lo, s19
	s_cbranch_execz .LBB73_181
; %bb.180:                              ;   in Loop: Header=BB73_3 Depth=1
	ds_load_b128 v[40:43], v57 offset:16144
	ds_load_b128 v[68:71], v53 offset:8704
	s_wait_dscnt 0x0
	v_mul_f64_e32 v[4:5], v[42:43], v[70:71]
	v_mul_f64_e32 v[70:71], v[40:41], v[70:71]
	s_delay_alu instid0(VALU_DEP_2) | instskip(NEXT) | instid1(VALU_DEP_2)
	v_fma_f64 v[4:5], v[40:41], v[68:69], -v[4:5]
	v_fmac_f64_e32 v[70:71], v[42:43], v[68:69]
	s_delay_alu instid0(VALU_DEP_2) | instskip(NEXT) | instid1(VALU_DEP_2)
	v_add_f64_e32 v[18:19], v[18:19], v[4:5]
	v_add_f64_e32 v[20:21], v[20:21], v[70:71]
.LBB73_181:                             ;   in Loop: Header=BB73_3 Depth=1
	s_or_b32 exec_lo, exec_lo, s18
	s_delay_alu instid0(SALU_CYCLE_1) | instskip(SKIP_2) | instid1(SALU_CYCLE_1)
	s_mov_b32 s18, exec_lo
	v_readlane_b32 s19, v74, 21
	s_and_b32 s19, s18, s19
	s_mov_b32 exec_lo, s19
	s_cbranch_execz .LBB73_183
; %bb.182:                              ;   in Loop: Header=BB73_3 Depth=1
	ds_load_b128 v[40:43], v57 offset:16160
	ds_load_b128 v[68:71], v53 offset:9216
	s_wait_dscnt 0x0
	v_mul_f64_e32 v[4:5], v[42:43], v[70:71]
	v_mul_f64_e32 v[70:71], v[40:41], v[70:71]
	s_delay_alu instid0(VALU_DEP_2) | instskip(NEXT) | instid1(VALU_DEP_2)
	v_fma_f64 v[4:5], v[40:41], v[68:69], -v[4:5]
	v_fmac_f64_e32 v[70:71], v[42:43], v[68:69]
	s_delay_alu instid0(VALU_DEP_2) | instskip(NEXT) | instid1(VALU_DEP_2)
	v_add_f64_e32 v[18:19], v[18:19], v[4:5]
	v_add_f64_e32 v[20:21], v[20:21], v[70:71]
.LBB73_183:                             ;   in Loop: Header=BB73_3 Depth=1
	s_or_b32 exec_lo, exec_lo, s18
	s_delay_alu instid0(SALU_CYCLE_1) | instskip(SKIP_2) | instid1(SALU_CYCLE_1)
	s_mov_b32 s18, exec_lo
	v_readlane_b32 s19, v74, 22
	s_and_b32 s19, s18, s19
	;; [unrolled: 20-line block ×10, first 2 shown]
	s_mov_b32 exec_lo, s19
	s_cbranch_execnz .LBB73_498
; %bb.200:                              ;   in Loop: Header=BB73_3 Depth=1
	s_or_b32 exec_lo, exec_lo, s18
	s_and_saveexec_b32 s18, s2
	s_cbranch_execnz .LBB73_499
.LBB73_201:                             ;   in Loop: Header=BB73_3 Depth=1
	s_or_b32 exec_lo, exec_lo, s18
	s_and_saveexec_b32 s18, s13
	s_cbranch_execnz .LBB73_500
.LBB73_202:                             ;   in Loop: Header=BB73_3 Depth=1
	s_or_b32 exec_lo, exec_lo, s18
	s_and_saveexec_b32 s18, s15
	s_cbranch_execnz .LBB73_501
.LBB73_203:                             ;   in Loop: Header=BB73_3 Depth=1
	s_or_b32 exec_lo, exec_lo, s18
	s_and_saveexec_b32 s18, s1
	s_cbranch_execz .LBB73_205
.LBB73_204:                             ;   in Loop: Header=BB73_3 Depth=1
	ds_load_b128 v[40:43], v2 offset:16368
	ds_load_b128 v[68:71], v45 offset:15872
	s_wait_dscnt 0x0
	v_mul_f64_e32 v[4:5], v[42:43], v[70:71]
	v_mul_f64_e32 v[70:71], v[40:41], v[70:71]
	s_delay_alu instid0(VALU_DEP_2) | instskip(NEXT) | instid1(VALU_DEP_2)
	v_fma_f64 v[4:5], v[40:41], v[68:69], -v[4:5]
	v_fmac_f64_e32 v[70:71], v[42:43], v[68:69]
	s_delay_alu instid0(VALU_DEP_2) | instskip(NEXT) | instid1(VALU_DEP_2)
	v_add_f64_e32 v[18:19], v[18:19], v[4:5]
	v_add_f64_e32 v[20:21], v[20:21], v[70:71]
.LBB73_205:                             ;   in Loop: Header=BB73_3 Depth=1
	s_or_b32 exec_lo, exec_lo, s18
.LBB73_206:                             ;   in Loop: Header=BB73_3 Depth=1
	s_delay_alu instid0(SALU_CYCLE_1) | instskip(NEXT) | instid1(SALU_CYCLE_1)
	s_or_b32 exec_lo, exec_lo, s36
	s_mov_b32 s18, exec_lo
	v_readlane_b32 s19, v74, 0
	s_and_b32 s19, s18, s19
	s_delay_alu instid0(SALU_CYCLE_1)
	s_mov_b32 exec_lo, s19
	s_cbranch_execz .LBB73_208
; %bb.207:                              ;   in Loop: Header=BB73_3 Depth=1
	v_xor_b32_e32 v43, 0x80000000, v21
	v_xor_b32_e32 v41, 0x80000000, v19
	v_dual_mov_b32 v40, v18 :: v_dual_mov_b32 v42, v20
	ds_store_b128 v56, v[40:43]
.LBB73_208:                             ;   in Loop: Header=BB73_3 Depth=1
	s_or_b32 exec_lo, exec_lo, s18
	s_wait_loadcnt_dscnt 0x0
	s_barrier_signal -1
	s_barrier_wait -1
	s_mov_b32 s18, exec_lo
	v_readlane_b32 s19, v74, 1
	s_and_b32 s19, s18, s19
	s_delay_alu instid0(SALU_CYCLE_1)
	s_mov_b32 exec_lo, s19
	s_cbranch_execz .LBB73_210
; %bb.209:                              ;   in Loop: Header=BB73_3 Depth=1
	ds_load_b128 v[40:43], v56
	ds_load_b128 v[68:71], v53 offset:7680
	s_wait_dscnt 0x0
	v_mul_f64_e32 v[4:5], v[42:43], v[70:71]
	v_mul_f64_e32 v[70:71], v[40:41], v[70:71]
	s_delay_alu instid0(VALU_DEP_2) | instskip(NEXT) | instid1(VALU_DEP_2)
	v_fma_f64 v[4:5], v[40:41], v[68:69], -v[4:5]
	v_fmac_f64_e32 v[70:71], v[42:43], v[68:69]
	s_delay_alu instid0(VALU_DEP_2) | instskip(NEXT) | instid1(VALU_DEP_2)
	v_add_f64_e64 v[18:19], v[18:19], -v[4:5]
	v_add_f64_e64 v[20:21], v[20:21], -v[70:71]
.LBB73_210:                             ;   in Loop: Header=BB73_3 Depth=1
	s_or_b32 exec_lo, exec_lo, s18
	s_barrier_signal -1
	s_barrier_wait -1
	s_mov_b32 s18, exec_lo
	v_readlane_b32 s19, v74, 2
	s_and_b32 s19, s18, s19
	s_delay_alu instid0(SALU_CYCLE_1)
	s_mov_b32 exec_lo, s19
	s_cbranch_execz .LBB73_212
; %bb.211:                              ;   in Loop: Header=BB73_3 Depth=1
	v_xor_b32_e32 v43, 0x80000000, v21
	v_xor_b32_e32 v41, 0x80000000, v19
	v_dual_mov_b32 v40, v18 :: v_dual_mov_b32 v42, v20
	ds_store_b128 v56, v[40:43]
.LBB73_212:                             ;   in Loop: Header=BB73_3 Depth=1
	s_or_b32 exec_lo, exec_lo, s18
	s_wait_dscnt 0x0
	s_barrier_signal -1
	s_barrier_wait -1
	s_mov_b32 s18, exec_lo
	v_readlane_b32 s19, v74, 3
	s_and_b32 s19, s18, s19
	s_delay_alu instid0(SALU_CYCLE_1)
	s_mov_b32 exec_lo, s19
	s_cbranch_execz .LBB73_214
; %bb.213:                              ;   in Loop: Header=BB73_3 Depth=1
	ds_load_b128 v[40:43], v56
	ds_load_b128 v[68:71], v53 offset:7168
	s_wait_dscnt 0x0
	v_mul_f64_e32 v[4:5], v[42:43], v[70:71]
	v_mul_f64_e32 v[70:71], v[40:41], v[70:71]
	s_delay_alu instid0(VALU_DEP_2) | instskip(NEXT) | instid1(VALU_DEP_2)
	v_fma_f64 v[4:5], v[40:41], v[68:69], -v[4:5]
	v_fmac_f64_e32 v[70:71], v[42:43], v[68:69]
	s_delay_alu instid0(VALU_DEP_2) | instskip(NEXT) | instid1(VALU_DEP_2)
	v_add_f64_e64 v[18:19], v[18:19], -v[4:5]
	v_add_f64_e64 v[20:21], v[20:21], -v[70:71]
.LBB73_214:                             ;   in Loop: Header=BB73_3 Depth=1
	s_or_b32 exec_lo, exec_lo, s18
	s_barrier_signal -1
	s_barrier_wait -1
	s_mov_b32 s18, exec_lo
	v_readlane_b32 s19, v74, 4
	s_and_b32 s19, s18, s19
	s_delay_alu instid0(SALU_CYCLE_1)
	s_mov_b32 exec_lo, s19
	s_cbranch_execz .LBB73_216
; %bb.215:                              ;   in Loop: Header=BB73_3 Depth=1
	v_xor_b32_e32 v43, 0x80000000, v21
	v_xor_b32_e32 v41, 0x80000000, v19
	v_dual_mov_b32 v40, v18 :: v_dual_mov_b32 v42, v20
	ds_store_b128 v56, v[40:43]
.LBB73_216:                             ;   in Loop: Header=BB73_3 Depth=1
	s_or_b32 exec_lo, exec_lo, s18
	s_wait_dscnt 0x0
	;; [unrolled: 38-line block ×9, first 2 shown]
	s_barrier_signal -1
	s_barrier_wait -1
	s_and_saveexec_b32 s18, s23
	s_cbranch_execz .LBB73_246
; %bb.245:                              ;   in Loop: Header=BB73_3 Depth=1
	ds_load_b128 v[40:43], v56
	ds_load_b128 v[68:71], v53 offset:3072
	s_wait_dscnt 0x0
	v_mul_f64_e32 v[4:5], v[42:43], v[70:71]
	v_mul_f64_e32 v[70:71], v[40:41], v[70:71]
	s_delay_alu instid0(VALU_DEP_2) | instskip(NEXT) | instid1(VALU_DEP_2)
	v_fma_f64 v[4:5], v[40:41], v[68:69], -v[4:5]
	v_fmac_f64_e32 v[70:71], v[42:43], v[68:69]
	s_delay_alu instid0(VALU_DEP_2) | instskip(NEXT) | instid1(VALU_DEP_2)
	v_add_f64_e64 v[18:19], v[18:19], -v[4:5]
	v_add_f64_e64 v[20:21], v[20:21], -v[70:71]
.LBB73_246:                             ;   in Loop: Header=BB73_3 Depth=1
	s_or_b32 exec_lo, exec_lo, s18
	s_barrier_signal -1
	s_barrier_wait -1
	s_and_saveexec_b32 s18, s24
	s_cbranch_execz .LBB73_248
; %bb.247:                              ;   in Loop: Header=BB73_3 Depth=1
	s_delay_alu instid0(VALU_DEP_1) | instskip(NEXT) | instid1(VALU_DEP_3)
	v_xor_b32_e32 v43, 0x80000000, v21
	v_xor_b32_e32 v41, 0x80000000, v19
	s_delay_alu instid0(VALU_DEP_3)
	v_dual_mov_b32 v40, v18 :: v_dual_mov_b32 v42, v20
	ds_store_b128 v56, v[40:43]
.LBB73_248:                             ;   in Loop: Header=BB73_3 Depth=1
	s_or_b32 exec_lo, exec_lo, s18
	s_wait_dscnt 0x0
	s_barrier_signal -1
	s_barrier_wait -1
	s_and_saveexec_b32 s18, s25
	s_cbranch_execz .LBB73_250
; %bb.249:                              ;   in Loop: Header=BB73_3 Depth=1
	ds_load_b128 v[40:43], v56
	ds_load_b128 v[68:71], v53 offset:2560
	s_wait_dscnt 0x0
	v_mul_f64_e32 v[4:5], v[42:43], v[70:71]
	v_mul_f64_e32 v[70:71], v[40:41], v[70:71]
	s_delay_alu instid0(VALU_DEP_2) | instskip(NEXT) | instid1(VALU_DEP_2)
	v_fma_f64 v[4:5], v[40:41], v[68:69], -v[4:5]
	v_fmac_f64_e32 v[70:71], v[42:43], v[68:69]
	s_delay_alu instid0(VALU_DEP_2) | instskip(NEXT) | instid1(VALU_DEP_2)
	v_add_f64_e64 v[18:19], v[18:19], -v[4:5]
	v_add_f64_e64 v[20:21], v[20:21], -v[70:71]
.LBB73_250:                             ;   in Loop: Header=BB73_3 Depth=1
	s_or_b32 exec_lo, exec_lo, s18
	s_barrier_signal -1
	s_barrier_wait -1
	s_and_saveexec_b32 s18, s26
	s_cbranch_execz .LBB73_252
; %bb.251:                              ;   in Loop: Header=BB73_3 Depth=1
	s_delay_alu instid0(VALU_DEP_1) | instskip(NEXT) | instid1(VALU_DEP_3)
	v_xor_b32_e32 v43, 0x80000000, v21
	v_xor_b32_e32 v41, 0x80000000, v19
	s_delay_alu instid0(VALU_DEP_3)
	v_dual_mov_b32 v40, v18 :: v_dual_mov_b32 v42, v20
	ds_store_b128 v56, v[40:43]
.LBB73_252:                             ;   in Loop: Header=BB73_3 Depth=1
	s_or_b32 exec_lo, exec_lo, s18
	s_wait_dscnt 0x0
	;; [unrolled: 32-line block ×6, first 2 shown]
	s_barrier_signal -1
	s_barrier_wait -1
	s_barrier_signal -1
	s_barrier_wait -1
	s_and_saveexec_b32 s18, s3
; %bb.269:                              ;   in Loop: Header=BB73_3 Depth=1
	ds_store_b128 v58, v[18:21] offset:15872
; %bb.270:                              ;   in Loop: Header=BB73_3 Depth=1
	s_or_b32 exec_lo, exec_lo, s18
	s_wait_dscnt 0x0
	s_barrier_signal -1
	s_barrier_wait -1
	s_barrier_signal -1
	s_barrier_wait -1
	s_and_saveexec_b32 s18, s8
	s_cbranch_execz .LBB73_272
; %bb.271:                              ;   in Loop: Header=BB73_3 Depth=1
	s_mov_b32 s36, s57
	s_mov_b32 s38, s57
	s_mov_b32 s39, s57
	v_mov_b64_e32 v[18:19], s[36:37]
	v_mov_b64_e32 v[20:21], s[38:39]
	ds_store_b128 v2, v[18:21] offset:7392
	ds_store_b128 v2, v[18:21] offset:7920
.LBB73_272:                             ;   in Loop: Header=BB73_3 Depth=1
	s_or_b32 exec_lo, exec_lo, s18
	v_mov_b64_e32 v[18:19], 0
	v_mov_b64_e32 v[20:21], 0
	s_wait_dscnt 0x0
	s_barrier_signal -1
	s_barrier_wait -1
	global_wb scope:SCOPE_DEV
	s_wait_storecnt 0x0
	global_inv scope:SCOPE_DEV
	s_and_saveexec_b32 s36, s0
	s_cbranch_execz .LBB73_276
; %bb.273:                              ;   in Loop: Header=BB73_3 Depth=1
	ds_load_b128 v[18:21], v44 offset:7904
	ds_load_b128 v[40:43], v27 offset:7360
	s_wait_dscnt 0x0
	v_mul_f64_e32 v[4:5], v[20:21], v[42:43]
	v_mul_f64_e32 v[42:43], v[18:19], v[42:43]
	s_delay_alu instid0(VALU_DEP_2) | instskip(NEXT) | instid1(VALU_DEP_2)
	v_fma_f64 v[4:5], v[18:19], v[40:41], -v[4:5]
	v_fmac_f64_e32 v[42:43], v[20:21], v[40:41]
	s_delay_alu instid0(VALU_DEP_2) | instskip(NEXT) | instid1(VALU_DEP_2)
	v_add_f64_e32 v[18:19], 0, v[4:5]
	v_add_f64_e32 v[20:21], 0, v[42:43]
	s_and_saveexec_b32 s18, s9
	s_cbranch_execz .LBB73_275
; %bb.274:                              ;   in Loop: Header=BB73_3 Depth=1
	ds_load_b128 v[40:43], v2 offset:7920
	ds_load_b128 v[68:71], v45 offset:7872
	s_wait_dscnt 0x0
	v_mul_f64_e32 v[4:5], v[42:43], v[70:71]
	v_mul_f64_e32 v[70:71], v[40:41], v[70:71]
	s_delay_alu instid0(VALU_DEP_2) | instskip(NEXT) | instid1(VALU_DEP_2)
	v_fma_f64 v[4:5], v[40:41], v[68:69], -v[4:5]
	v_fmac_f64_e32 v[70:71], v[42:43], v[68:69]
	s_delay_alu instid0(VALU_DEP_2) | instskip(NEXT) | instid1(VALU_DEP_2)
	v_add_f64_e32 v[18:19], v[18:19], v[4:5]
	v_add_f64_e32 v[20:21], v[20:21], v[70:71]
.LBB73_275:                             ;   in Loop: Header=BB73_3 Depth=1
	s_or_b32 exec_lo, exec_lo, s18
.LBB73_276:                             ;   in Loop: Header=BB73_3 Depth=1
	s_delay_alu instid0(SALU_CYCLE_1)
	s_or_b32 exec_lo, exec_lo, s36
	s_and_saveexec_b32 s18, s71
	s_cbranch_execz .LBB73_278
; %bb.277:                              ;   in Loop: Header=BB73_3 Depth=1
	s_delay_alu instid0(VALU_DEP_2) | instskip(NEXT) | instid1(VALU_DEP_2)
	v_xor_b32_e32 v41, 0x80000000, v19
	v_xor_b32_e32 v43, 0x80000000, v21
	s_delay_alu instid0(VALU_DEP_3)
	v_dual_mov_b32 v40, v18 :: v_dual_mov_b32 v42, v20
	ds_store_b128 v25, v[40:43]
.LBB73_278:                             ;   in Loop: Header=BB73_3 Depth=1
	s_or_b32 exec_lo, exec_lo, s18
	s_wait_loadcnt_dscnt 0x0
	s_barrier_signal -1
	s_barrier_wait -1
	s_and_saveexec_b32 s18, s72
	s_cbranch_execz .LBB73_280
; %bb.279:                              ;   in Loop: Header=BB73_3 Depth=1
	ds_load_b128 v[40:43], v25
	ds_load_b128 v[68:71], v2 offset:6848
	s_wait_dscnt 0x0
	v_mul_f64_e32 v[4:5], v[40:41], v[68:69]
	v_mul_f64_e32 v[40:41], v[40:41], v[70:71]
	s_delay_alu instid0(VALU_DEP_2) | instskip(NEXT) | instid1(VALU_DEP_2)
	v_fma_f64 v[4:5], v[42:43], v[70:71], -v[4:5]
	v_fmac_f64_e32 v[40:41], v[42:43], v[68:69]
	s_delay_alu instid0(VALU_DEP_2) | instskip(NEXT) | instid1(VALU_DEP_2)
	v_add_f64_e32 v[18:19], v[18:19], v[4:5]
	v_add_f64_e64 v[20:21], v[20:21], -v[40:41]
.LBB73_280:                             ;   in Loop: Header=BB73_3 Depth=1
	s_or_b32 exec_lo, exec_lo, s18
	s_barrier_signal -1
	s_barrier_wait -1
	s_and_saveexec_b32 s18, s72
	s_cbranch_execz .LBB73_282
; %bb.281:                              ;   in Loop: Header=BB73_3 Depth=1
	s_delay_alu instid0(VALU_DEP_2) | instskip(NEXT) | instid1(VALU_DEP_2)
	v_xor_b32_e32 v41, 0x80000000, v19
	v_xor_b32_e32 v43, 0x80000000, v21
	s_delay_alu instid0(VALU_DEP_3)
	v_dual_mov_b32 v40, v18 :: v_dual_mov_b32 v42, v20
	ds_store_b128 v25, v[40:43]
.LBB73_282:                             ;   in Loop: Header=BB73_3 Depth=1
	s_or_b32 exec_lo, exec_lo, s18
	s_wait_dscnt 0x0
	s_barrier_signal -1
	s_barrier_wait -1
	s_barrier_signal -1
	s_barrier_wait -1
	s_and_saveexec_b32 s18, s0
; %bb.283:                              ;   in Loop: Header=BB73_3 Depth=1
	ds_store_b128 v47, v[18:21] offset:7872
; %bb.284:                              ;   in Loop: Header=BB73_3 Depth=1
	s_or_b32 exec_lo, exec_lo, s18
	s_wait_dscnt 0x0
	s_barrier_signal -1
	s_barrier_wait -1
	s_barrier_signal -1
	s_barrier_wait -1
	s_and_saveexec_b32 s18, s8
	s_cbranch_execz .LBB73_286
; %bb.285:                              ;   in Loop: Header=BB73_3 Depth=1
	s_mov_b32 s36, s57
	s_mov_b32 s38, s57
	;; [unrolled: 1-line block ×3, first 2 shown]
	v_mov_b64_e32 v[18:19], s[36:37]
	v_mov_b64_e32 v[20:21], s[38:39]
	ds_store_b128 v2, v[18:21] offset:6336
	ds_store_b128 v2, v[18:21] offset:6864
.LBB73_286:                             ;   in Loop: Header=BB73_3 Depth=1
	s_or_b32 exec_lo, exec_lo, s18
	v_mov_b64_e32 v[20:21], 0
	v_mov_b64_e32 v[18:19], 0
	s_wait_dscnt 0x0
	s_barrier_signal -1
	s_barrier_wait -1
	global_wb scope:SCOPE_DEV
	s_wait_storecnt 0x0
	global_inv scope:SCOPE_DEV
	s_and_saveexec_b32 s36, s1
	s_cbranch_execz .LBB73_292
; %bb.287:                              ;   in Loop: Header=BB73_3 Depth=1
	ds_load_b128 v[18:21], v49 offset:7872
	ds_load_b128 v[40:43], v46 offset:6272
	s_wait_dscnt 0x0
	v_mul_f64_e32 v[4:5], v[20:21], v[42:43]
	v_mul_f64_e32 v[42:43], v[18:19], v[42:43]
	s_delay_alu instid0(VALU_DEP_2) | instskip(NEXT) | instid1(VALU_DEP_2)
	v_fma_f64 v[4:5], v[18:19], v[40:41], -v[4:5]
	v_fmac_f64_e32 v[42:43], v[20:21], v[40:41]
	s_delay_alu instid0(VALU_DEP_2) | instskip(NEXT) | instid1(VALU_DEP_2)
	v_add_f64_e32 v[18:19], 0, v[4:5]
	v_add_f64_e32 v[20:21], 0, v[42:43]
	s_and_saveexec_b32 s18, s10
	s_cbranch_execnz .LBB73_502
; %bb.288:                              ;   in Loop: Header=BB73_3 Depth=1
	s_or_b32 exec_lo, exec_lo, s18
	s_and_saveexec_b32 s18, s11
	s_cbranch_execnz .LBB73_503
.LBB73_289:                             ;   in Loop: Header=BB73_3 Depth=1
	s_or_b32 exec_lo, exec_lo, s18
	s_and_saveexec_b32 s18, s0
	s_cbranch_execz .LBB73_291
.LBB73_290:                             ;   in Loop: Header=BB73_3 Depth=1
	ds_load_b128 v[40:43], v2 offset:7920
	ds_load_b128 v[68:71], v45 offset:7808
	s_wait_dscnt 0x0
	v_mul_f64_e32 v[4:5], v[42:43], v[70:71]
	v_mul_f64_e32 v[70:71], v[40:41], v[70:71]
	s_delay_alu instid0(VALU_DEP_2) | instskip(NEXT) | instid1(VALU_DEP_2)
	v_fma_f64 v[4:5], v[40:41], v[68:69], -v[4:5]
	v_fmac_f64_e32 v[70:71], v[42:43], v[68:69]
	s_delay_alu instid0(VALU_DEP_2) | instskip(NEXT) | instid1(VALU_DEP_2)
	v_add_f64_e32 v[18:19], v[18:19], v[4:5]
	v_add_f64_e32 v[20:21], v[20:21], v[70:71]
.LBB73_291:                             ;   in Loop: Header=BB73_3 Depth=1
	s_or_b32 exec_lo, exec_lo, s18
.LBB73_292:                             ;   in Loop: Header=BB73_3 Depth=1
	s_delay_alu instid0(SALU_CYCLE_1)
	s_or_b32 exec_lo, exec_lo, s36
	s_and_saveexec_b32 s18, s73
	s_cbranch_execz .LBB73_294
; %bb.293:                              ;   in Loop: Header=BB73_3 Depth=1
	s_delay_alu instid0(VALU_DEP_1) | instskip(NEXT) | instid1(VALU_DEP_3)
	v_xor_b32_e32 v43, 0x80000000, v21
	v_xor_b32_e32 v41, 0x80000000, v19
	s_delay_alu instid0(VALU_DEP_3)
	v_dual_mov_b32 v40, v18 :: v_dual_mov_b32 v42, v20
	ds_store_b128 v48, v[40:43]
.LBB73_294:                             ;   in Loop: Header=BB73_3 Depth=1
	s_or_b32 exec_lo, exec_lo, s18
	s_wait_loadcnt_dscnt 0x0
	s_barrier_signal -1
	s_barrier_wait -1
	s_and_saveexec_b32 s18, s74
	s_cbranch_execz .LBB73_296
; %bb.295:                              ;   in Loop: Header=BB73_3 Depth=1
	ds_load_b128 v[40:43], v48
	ds_load_b128 v[68:71], v46 offset:5760
	s_wait_dscnt 0x0
	v_mul_f64_e32 v[4:5], v[42:43], v[70:71]
	v_mul_f64_e32 v[70:71], v[40:41], v[70:71]
	s_delay_alu instid0(VALU_DEP_2) | instskip(NEXT) | instid1(VALU_DEP_2)
	v_fma_f64 v[4:5], v[40:41], v[68:69], -v[4:5]
	v_fmac_f64_e32 v[70:71], v[42:43], v[68:69]
	s_delay_alu instid0(VALU_DEP_2) | instskip(NEXT) | instid1(VALU_DEP_2)
	v_add_f64_e64 v[18:19], v[18:19], -v[4:5]
	v_add_f64_e64 v[20:21], v[20:21], -v[70:71]
.LBB73_296:                             ;   in Loop: Header=BB73_3 Depth=1
	s_or_b32 exec_lo, exec_lo, s18
	s_barrier_signal -1
	s_barrier_wait -1
	s_and_saveexec_b32 s18, s75
	s_cbranch_execz .LBB73_298
; %bb.297:                              ;   in Loop: Header=BB73_3 Depth=1
	s_delay_alu instid0(VALU_DEP_1) | instskip(NEXT) | instid1(VALU_DEP_3)
	v_xor_b32_e32 v43, 0x80000000, v21
	v_xor_b32_e32 v41, 0x80000000, v19
	s_delay_alu instid0(VALU_DEP_3)
	v_dual_mov_b32 v40, v18 :: v_dual_mov_b32 v42, v20
	ds_store_b128 v48, v[40:43]
.LBB73_298:                             ;   in Loop: Header=BB73_3 Depth=1
	s_or_b32 exec_lo, exec_lo, s18
	s_wait_dscnt 0x0
	s_barrier_signal -1
	s_barrier_wait -1
	s_and_saveexec_b32 s18, s76
	s_cbranch_execz .LBB73_300
; %bb.299:                              ;   in Loop: Header=BB73_3 Depth=1
	ds_load_b128 v[40:43], v48
	ds_load_b128 v[68:71], v46 offset:5248
	s_wait_dscnt 0x0
	v_mul_f64_e32 v[4:5], v[42:43], v[70:71]
	v_mul_f64_e32 v[70:71], v[40:41], v[70:71]
	s_delay_alu instid0(VALU_DEP_2) | instskip(NEXT) | instid1(VALU_DEP_2)
	v_fma_f64 v[4:5], v[40:41], v[68:69], -v[4:5]
	v_fmac_f64_e32 v[70:71], v[42:43], v[68:69]
	s_delay_alu instid0(VALU_DEP_2) | instskip(NEXT) | instid1(VALU_DEP_2)
	v_add_f64_e64 v[18:19], v[18:19], -v[4:5]
	v_add_f64_e64 v[20:21], v[20:21], -v[70:71]
.LBB73_300:                             ;   in Loop: Header=BB73_3 Depth=1
	s_or_b32 exec_lo, exec_lo, s18
	s_barrier_signal -1
	s_barrier_wait -1
	s_and_saveexec_b32 s18, s77
	s_cbranch_execz .LBB73_302
; %bb.301:                              ;   in Loop: Header=BB73_3 Depth=1
	s_delay_alu instid0(VALU_DEP_1) | instskip(NEXT) | instid1(VALU_DEP_3)
	v_xor_b32_e32 v43, 0x80000000, v21
	v_xor_b32_e32 v41, 0x80000000, v19
	s_delay_alu instid0(VALU_DEP_3)
	v_dual_mov_b32 v40, v18 :: v_dual_mov_b32 v42, v20
	ds_store_b128 v48, v[40:43]
.LBB73_302:                             ;   in Loop: Header=BB73_3 Depth=1
	s_or_b32 exec_lo, exec_lo, s18
	s_wait_dscnt 0x0
	;; [unrolled: 32-line block ×3, first 2 shown]
	s_barrier_signal -1
	s_barrier_wait -1
	s_barrier_signal -1
	s_barrier_wait -1
	s_and_saveexec_b32 s18, s1
; %bb.307:                              ;   in Loop: Header=BB73_3 Depth=1
	ds_store_b128 v50, v[18:21] offset:7808
; %bb.308:                              ;   in Loop: Header=BB73_3 Depth=1
	s_or_b32 exec_lo, exec_lo, s18
	s_wait_dscnt 0x0
	s_barrier_signal -1
	s_barrier_wait -1
	s_barrier_signal -1
	s_barrier_wait -1
	s_and_saveexec_b32 s18, s8
	s_cbranch_execz .LBB73_310
; %bb.309:                              ;   in Loop: Header=BB73_3 Depth=1
	s_mov_b32 s36, s57
	s_mov_b32 s38, s57
	;; [unrolled: 1-line block ×3, first 2 shown]
	v_mov_b64_e32 v[18:19], s[36:37]
	v_mov_b64_e32 v[20:21], s[38:39]
	ds_store_b128 v2, v[18:21] offset:5280
	ds_store_b128 v2, v[18:21] offset:5808
.LBB73_310:                             ;   in Loop: Header=BB73_3 Depth=1
	s_or_b32 exec_lo, exec_lo, s18
	v_mov_b64_e32 v[18:19], 0
	v_mov_b64_e32 v[20:21], 0
	s_wait_dscnt 0x0
	s_barrier_signal -1
	s_barrier_wait -1
	global_wb scope:SCOPE_DEV
	s_wait_storecnt 0x0
	global_inv scope:SCOPE_DEV
	s_and_saveexec_b32 s36, s0
	s_cbranch_execz .LBB73_314
; %bb.311:                              ;   in Loop: Header=BB73_3 Depth=1
	ds_load_b128 v[18:21], v44 offset:5792
	ds_load_b128 v[40:43], v27 offset:5248
	s_wait_dscnt 0x0
	v_mul_f64_e32 v[4:5], v[20:21], v[42:43]
	v_mul_f64_e32 v[42:43], v[18:19], v[42:43]
	s_delay_alu instid0(VALU_DEP_2) | instskip(NEXT) | instid1(VALU_DEP_2)
	v_fma_f64 v[4:5], v[18:19], v[40:41], -v[4:5]
	v_fmac_f64_e32 v[42:43], v[20:21], v[40:41]
	s_delay_alu instid0(VALU_DEP_2) | instskip(NEXT) | instid1(VALU_DEP_2)
	v_add_f64_e32 v[18:19], 0, v[4:5]
	v_add_f64_e32 v[20:21], 0, v[42:43]
	s_and_saveexec_b32 s18, s9
	s_cbranch_execz .LBB73_313
; %bb.312:                              ;   in Loop: Header=BB73_3 Depth=1
	ds_load_b128 v[40:43], v2 offset:5808
	ds_load_b128 v[68:71], v45 offset:5760
	s_wait_dscnt 0x0
	v_mul_f64_e32 v[4:5], v[42:43], v[70:71]
	v_mul_f64_e32 v[70:71], v[40:41], v[70:71]
	s_delay_alu instid0(VALU_DEP_2) | instskip(NEXT) | instid1(VALU_DEP_2)
	v_fma_f64 v[4:5], v[40:41], v[68:69], -v[4:5]
	v_fmac_f64_e32 v[70:71], v[42:43], v[68:69]
	s_delay_alu instid0(VALU_DEP_2) | instskip(NEXT) | instid1(VALU_DEP_2)
	v_add_f64_e32 v[18:19], v[18:19], v[4:5]
	v_add_f64_e32 v[20:21], v[20:21], v[70:71]
.LBB73_313:                             ;   in Loop: Header=BB73_3 Depth=1
	s_or_b32 exec_lo, exec_lo, s18
.LBB73_314:                             ;   in Loop: Header=BB73_3 Depth=1
	s_delay_alu instid0(SALU_CYCLE_1)
	s_or_b32 exec_lo, exec_lo, s36
	s_and_saveexec_b32 s18, s71
	s_cbranch_execz .LBB73_316
; %bb.315:                              ;   in Loop: Header=BB73_3 Depth=1
	s_delay_alu instid0(VALU_DEP_2) | instskip(NEXT) | instid1(VALU_DEP_2)
	v_xor_b32_e32 v41, 0x80000000, v19
	v_xor_b32_e32 v43, 0x80000000, v21
	s_delay_alu instid0(VALU_DEP_3)
	v_dual_mov_b32 v40, v18 :: v_dual_mov_b32 v42, v20
	ds_store_b128 v25, v[40:43]
.LBB73_316:                             ;   in Loop: Header=BB73_3 Depth=1
	s_or_b32 exec_lo, exec_lo, s18
	s_wait_loadcnt_dscnt 0x0
	s_barrier_signal -1
	s_barrier_wait -1
	s_and_saveexec_b32 s18, s72
	s_cbranch_execz .LBB73_318
; %bb.317:                              ;   in Loop: Header=BB73_3 Depth=1
	ds_load_b128 v[40:43], v25
	ds_load_b128 v[68:71], v2 offset:4736
	s_wait_dscnt 0x0
	v_mul_f64_e32 v[4:5], v[40:41], v[68:69]
	v_mul_f64_e32 v[40:41], v[40:41], v[70:71]
	s_delay_alu instid0(VALU_DEP_2) | instskip(NEXT) | instid1(VALU_DEP_2)
	v_fma_f64 v[4:5], v[42:43], v[70:71], -v[4:5]
	v_fmac_f64_e32 v[40:41], v[42:43], v[68:69]
	s_delay_alu instid0(VALU_DEP_2) | instskip(NEXT) | instid1(VALU_DEP_2)
	v_add_f64_e32 v[18:19], v[18:19], v[4:5]
	v_add_f64_e64 v[20:21], v[20:21], -v[40:41]
.LBB73_318:                             ;   in Loop: Header=BB73_3 Depth=1
	s_or_b32 exec_lo, exec_lo, s18
	s_barrier_signal -1
	s_barrier_wait -1
	s_and_saveexec_b32 s18, s72
	s_cbranch_execz .LBB73_320
; %bb.319:                              ;   in Loop: Header=BB73_3 Depth=1
	s_delay_alu instid0(VALU_DEP_2) | instskip(NEXT) | instid1(VALU_DEP_2)
	v_xor_b32_e32 v41, 0x80000000, v19
	v_xor_b32_e32 v43, 0x80000000, v21
	s_delay_alu instid0(VALU_DEP_3)
	v_dual_mov_b32 v40, v18 :: v_dual_mov_b32 v42, v20
	ds_store_b128 v25, v[40:43]
.LBB73_320:                             ;   in Loop: Header=BB73_3 Depth=1
	s_or_b32 exec_lo, exec_lo, s18
	s_wait_dscnt 0x0
	s_barrier_signal -1
	s_barrier_wait -1
	s_barrier_signal -1
	s_barrier_wait -1
	s_and_saveexec_b32 s18, s0
; %bb.321:                              ;   in Loop: Header=BB73_3 Depth=1
	ds_store_b128 v47, v[18:21] offset:5760
; %bb.322:                              ;   in Loop: Header=BB73_3 Depth=1
	s_or_b32 exec_lo, exec_lo, s18
	s_wait_dscnt 0x0
	s_barrier_signal -1
	s_barrier_wait -1
	s_barrier_signal -1
	s_barrier_wait -1
	s_and_saveexec_b32 s18, s8
	s_cbranch_execz .LBB73_324
; %bb.323:                              ;   in Loop: Header=BB73_3 Depth=1
	s_mov_b32 s36, s57
	s_mov_b32 s38, s57
	;; [unrolled: 1-line block ×3, first 2 shown]
	v_mov_b64_e32 v[18:19], s[36:37]
	v_mov_b64_e32 v[20:21], s[38:39]
	ds_store_b128 v2, v[18:21] offset:4224
	ds_store_b128 v2, v[18:21] offset:4752
.LBB73_324:                             ;   in Loop: Header=BB73_3 Depth=1
	s_or_b32 exec_lo, exec_lo, s18
	v_mov_b64_e32 v[20:21], 0
	v_mov_b64_e32 v[18:19], 0
	s_wait_dscnt 0x0
	s_barrier_signal -1
	s_barrier_wait -1
	global_wb scope:SCOPE_DEV
	s_wait_storecnt 0x0
	global_inv scope:SCOPE_DEV
	s_and_saveexec_b32 s36, s2
	s_cbranch_execz .LBB73_334
; %bb.325:                              ;   in Loop: Header=BB73_3 Depth=1
	ds_load_b128 v[18:21], v54 offset:7808
	ds_load_b128 v[40:43], v52 offset:4096
	s_wait_dscnt 0x0
	v_mul_f64_e32 v[4:5], v[20:21], v[42:43]
	v_mul_f64_e32 v[42:43], v[18:19], v[42:43]
	s_delay_alu instid0(VALU_DEP_2) | instskip(NEXT) | instid1(VALU_DEP_2)
	v_fma_f64 v[4:5], v[18:19], v[40:41], -v[4:5]
	v_fmac_f64_e32 v[42:43], v[20:21], v[40:41]
	s_delay_alu instid0(VALU_DEP_2) | instskip(NEXT) | instid1(VALU_DEP_2)
	v_add_f64_e32 v[18:19], 0, v[4:5]
	v_add_f64_e32 v[20:21], 0, v[42:43]
	s_and_saveexec_b32 s18, s12
	s_cbranch_execnz .LBB73_504
; %bb.326:                              ;   in Loop: Header=BB73_3 Depth=1
	s_or_b32 exec_lo, exec_lo, s18
	s_and_saveexec_b32 s18, s13
	s_cbranch_execnz .LBB73_505
.LBB73_327:                             ;   in Loop: Header=BB73_3 Depth=1
	s_or_b32 exec_lo, exec_lo, s18
	s_and_saveexec_b32 s18, s14
	s_cbranch_execnz .LBB73_506
.LBB73_328:                             ;   in Loop: Header=BB73_3 Depth=1
	s_or_b32 exec_lo, exec_lo, s18
	s_and_saveexec_b32 s18, s15
	s_cbranch_execnz .LBB73_507
.LBB73_329:                             ;   in Loop: Header=BB73_3 Depth=1
	s_or_b32 exec_lo, exec_lo, s18
	s_and_saveexec_b32 s18, s16
	s_cbranch_execnz .LBB73_508
.LBB73_330:                             ;   in Loop: Header=BB73_3 Depth=1
	s_or_b32 exec_lo, exec_lo, s18
	s_and_saveexec_b32 s18, s1
	s_cbranch_execnz .LBB73_509
.LBB73_331:                             ;   in Loop: Header=BB73_3 Depth=1
	s_or_b32 exec_lo, exec_lo, s18
	s_and_saveexec_b32 s18, s11
	s_cbranch_execz .LBB73_333
.LBB73_332:                             ;   in Loop: Header=BB73_3 Depth=1
	ds_load_b128 v[40:43], v2 offset:7920
	ds_load_b128 v[68:71], v45 offset:7680
	s_wait_dscnt 0x0
	v_mul_f64_e32 v[4:5], v[42:43], v[70:71]
	v_mul_f64_e32 v[70:71], v[40:41], v[70:71]
	s_delay_alu instid0(VALU_DEP_2) | instskip(NEXT) | instid1(VALU_DEP_2)
	v_fma_f64 v[4:5], v[40:41], v[68:69], -v[4:5]
	v_fmac_f64_e32 v[70:71], v[42:43], v[68:69]
	s_delay_alu instid0(VALU_DEP_2) | instskip(NEXT) | instid1(VALU_DEP_2)
	v_add_f64_e32 v[18:19], v[18:19], v[4:5]
	v_add_f64_e32 v[20:21], v[20:21], v[70:71]
.LBB73_333:                             ;   in Loop: Header=BB73_3 Depth=1
	s_or_b32 exec_lo, exec_lo, s18
.LBB73_334:                             ;   in Loop: Header=BB73_3 Depth=1
	s_delay_alu instid0(SALU_CYCLE_1)
	s_or_b32 exec_lo, exec_lo, s36
	s_and_saveexec_b32 s18, s79
	s_cbranch_execz .LBB73_336
; %bb.335:                              ;   in Loop: Header=BB73_3 Depth=1
	s_delay_alu instid0(VALU_DEP_2) | instskip(NEXT) | instid1(VALU_DEP_2)
	v_xor_b32_e32 v41, 0x80000000, v19
	v_xor_b32_e32 v43, 0x80000000, v21
	s_delay_alu instid0(VALU_DEP_3)
	v_dual_mov_b32 v40, v18 :: v_dual_mov_b32 v42, v20
	ds_store_b128 v51, v[40:43]
.LBB73_336:                             ;   in Loop: Header=BB73_3 Depth=1
	s_or_b32 exec_lo, exec_lo, s18
	s_wait_loadcnt_dscnt 0x0
	s_barrier_signal -1
	s_barrier_wait -1
	s_and_saveexec_b32 s18, s80
	s_cbranch_execz .LBB73_338
; %bb.337:                              ;   in Loop: Header=BB73_3 Depth=1
	ds_load_b128 v[40:43], v51
	ds_load_b128 v[68:71], v52 offset:3584
	s_wait_dscnt 0x0
	v_mul_f64_e32 v[4:5], v[42:43], v[70:71]
	v_mul_f64_e32 v[70:71], v[40:41], v[70:71]
	s_delay_alu instid0(VALU_DEP_2) | instskip(NEXT) | instid1(VALU_DEP_2)
	v_fma_f64 v[4:5], v[40:41], v[68:69], -v[4:5]
	v_fmac_f64_e32 v[70:71], v[42:43], v[68:69]
	s_delay_alu instid0(VALU_DEP_2) | instskip(NEXT) | instid1(VALU_DEP_2)
	v_add_f64_e64 v[18:19], v[18:19], -v[4:5]
	v_add_f64_e64 v[20:21], v[20:21], -v[70:71]
.LBB73_338:                             ;   in Loop: Header=BB73_3 Depth=1
	s_or_b32 exec_lo, exec_lo, s18
	s_barrier_signal -1
	s_barrier_wait -1
	s_and_saveexec_b32 s18, s81
	s_cbranch_execz .LBB73_340
; %bb.339:                              ;   in Loop: Header=BB73_3 Depth=1
	s_delay_alu instid0(VALU_DEP_2) | instskip(NEXT) | instid1(VALU_DEP_2)
	v_xor_b32_e32 v41, 0x80000000, v19
	v_xor_b32_e32 v43, 0x80000000, v21
	s_delay_alu instid0(VALU_DEP_3)
	v_dual_mov_b32 v40, v18 :: v_dual_mov_b32 v42, v20
	ds_store_b128 v51, v[40:43]
.LBB73_340:                             ;   in Loop: Header=BB73_3 Depth=1
	s_or_b32 exec_lo, exec_lo, s18
	s_wait_dscnt 0x0
	s_barrier_signal -1
	s_barrier_wait -1
	s_and_saveexec_b32 s18, s82
	s_cbranch_execz .LBB73_342
; %bb.341:                              ;   in Loop: Header=BB73_3 Depth=1
	ds_load_b128 v[40:43], v51
	ds_load_b128 v[68:71], v52 offset:3072
	s_wait_dscnt 0x0
	v_mul_f64_e32 v[4:5], v[42:43], v[70:71]
	v_mul_f64_e32 v[70:71], v[40:41], v[70:71]
	s_delay_alu instid0(VALU_DEP_2) | instskip(NEXT) | instid1(VALU_DEP_2)
	v_fma_f64 v[4:5], v[40:41], v[68:69], -v[4:5]
	v_fmac_f64_e32 v[70:71], v[42:43], v[68:69]
	s_delay_alu instid0(VALU_DEP_2) | instskip(NEXT) | instid1(VALU_DEP_2)
	v_add_f64_e64 v[18:19], v[18:19], -v[4:5]
	v_add_f64_e64 v[20:21], v[20:21], -v[70:71]
.LBB73_342:                             ;   in Loop: Header=BB73_3 Depth=1
	s_or_b32 exec_lo, exec_lo, s18
	s_barrier_signal -1
	s_barrier_wait -1
	s_and_saveexec_b32 s18, s83
	s_cbranch_execz .LBB73_344
; %bb.343:                              ;   in Loop: Header=BB73_3 Depth=1
	s_delay_alu instid0(VALU_DEP_2) | instskip(NEXT) | instid1(VALU_DEP_2)
	v_xor_b32_e32 v41, 0x80000000, v19
	v_xor_b32_e32 v43, 0x80000000, v21
	s_delay_alu instid0(VALU_DEP_3)
	v_dual_mov_b32 v40, v18 :: v_dual_mov_b32 v42, v20
	ds_store_b128 v51, v[40:43]
.LBB73_344:                             ;   in Loop: Header=BB73_3 Depth=1
	s_or_b32 exec_lo, exec_lo, s18
	s_wait_dscnt 0x0
	;; [unrolled: 32-line block ×7, first 2 shown]
	s_barrier_signal -1
	s_barrier_wait -1
	s_barrier_signal -1
	s_barrier_wait -1
	s_and_saveexec_b32 s18, s2
; %bb.365:                              ;   in Loop: Header=BB73_3 Depth=1
	ds_store_b128 v55, v[18:21] offset:7680
; %bb.366:                              ;   in Loop: Header=BB73_3 Depth=1
	s_or_b32 exec_lo, exec_lo, s18
	s_wait_dscnt 0x0
	s_barrier_signal -1
	s_barrier_wait -1
	s_barrier_signal -1
	s_barrier_wait -1
	s_and_saveexec_b32 s18, s8
	s_cbranch_execz .LBB73_368
; %bb.367:                              ;   in Loop: Header=BB73_3 Depth=1
	s_mov_b32 s36, s57
	s_mov_b32 s38, s57
	s_mov_b32 s39, s57
	v_mov_b64_e32 v[18:19], s[36:37]
	v_mov_b64_e32 v[20:21], s[38:39]
	ds_store_b128 v2, v[18:21] offset:3168
	ds_store_b128 v2, v[18:21] offset:3696
.LBB73_368:                             ;   in Loop: Header=BB73_3 Depth=1
	s_or_b32 exec_lo, exec_lo, s18
	v_mov_b64_e32 v[18:19], 0
	v_mov_b64_e32 v[20:21], 0
	s_wait_dscnt 0x0
	s_barrier_signal -1
	s_barrier_wait -1
	global_wb scope:SCOPE_DEV
	s_wait_storecnt 0x0
	global_inv scope:SCOPE_DEV
	s_and_saveexec_b32 s36, s0
	s_cbranch_execz .LBB73_372
; %bb.369:                              ;   in Loop: Header=BB73_3 Depth=1
	ds_load_b128 v[18:21], v44 offset:3680
	ds_load_b128 v[40:43], v27 offset:3136
	s_wait_dscnt 0x0
	v_mul_f64_e32 v[4:5], v[20:21], v[42:43]
	v_mul_f64_e32 v[42:43], v[18:19], v[42:43]
	s_delay_alu instid0(VALU_DEP_2) | instskip(NEXT) | instid1(VALU_DEP_2)
	v_fma_f64 v[4:5], v[18:19], v[40:41], -v[4:5]
	v_fmac_f64_e32 v[42:43], v[20:21], v[40:41]
	s_delay_alu instid0(VALU_DEP_2) | instskip(NEXT) | instid1(VALU_DEP_2)
	v_add_f64_e32 v[18:19], 0, v[4:5]
	v_add_f64_e32 v[20:21], 0, v[42:43]
	s_and_saveexec_b32 s18, s9
	s_cbranch_execz .LBB73_371
; %bb.370:                              ;   in Loop: Header=BB73_3 Depth=1
	ds_load_b128 v[40:43], v2 offset:3696
	ds_load_b128 v[68:71], v45 offset:3648
	s_wait_dscnt 0x0
	v_mul_f64_e32 v[4:5], v[42:43], v[70:71]
	v_mul_f64_e32 v[70:71], v[40:41], v[70:71]
	s_delay_alu instid0(VALU_DEP_2) | instskip(NEXT) | instid1(VALU_DEP_2)
	v_fma_f64 v[4:5], v[40:41], v[68:69], -v[4:5]
	v_fmac_f64_e32 v[70:71], v[42:43], v[68:69]
	s_delay_alu instid0(VALU_DEP_2) | instskip(NEXT) | instid1(VALU_DEP_2)
	v_add_f64_e32 v[18:19], v[18:19], v[4:5]
	v_add_f64_e32 v[20:21], v[20:21], v[70:71]
.LBB73_371:                             ;   in Loop: Header=BB73_3 Depth=1
	s_or_b32 exec_lo, exec_lo, s18
.LBB73_372:                             ;   in Loop: Header=BB73_3 Depth=1
	s_delay_alu instid0(SALU_CYCLE_1)
	s_or_b32 exec_lo, exec_lo, s36
	s_and_saveexec_b32 s18, s71
	s_cbranch_execz .LBB73_374
; %bb.373:                              ;   in Loop: Header=BB73_3 Depth=1
	s_delay_alu instid0(VALU_DEP_2) | instskip(NEXT) | instid1(VALU_DEP_2)
	v_xor_b32_e32 v41, 0x80000000, v19
	v_xor_b32_e32 v43, 0x80000000, v21
	s_delay_alu instid0(VALU_DEP_3)
	v_dual_mov_b32 v40, v18 :: v_dual_mov_b32 v42, v20
	ds_store_b128 v25, v[40:43]
.LBB73_374:                             ;   in Loop: Header=BB73_3 Depth=1
	s_or_b32 exec_lo, exec_lo, s18
	s_wait_loadcnt_dscnt 0x0
	s_barrier_signal -1
	s_barrier_wait -1
	s_and_saveexec_b32 s18, s72
	s_cbranch_execz .LBB73_376
; %bb.375:                              ;   in Loop: Header=BB73_3 Depth=1
	ds_load_b128 v[40:43], v25
	ds_load_b128 v[68:71], v2 offset:2624
	s_wait_dscnt 0x0
	v_mul_f64_e32 v[4:5], v[40:41], v[68:69]
	v_mul_f64_e32 v[40:41], v[40:41], v[70:71]
	s_delay_alu instid0(VALU_DEP_2) | instskip(NEXT) | instid1(VALU_DEP_2)
	v_fma_f64 v[4:5], v[42:43], v[70:71], -v[4:5]
	v_fmac_f64_e32 v[40:41], v[42:43], v[68:69]
	s_delay_alu instid0(VALU_DEP_2) | instskip(NEXT) | instid1(VALU_DEP_2)
	v_add_f64_e32 v[18:19], v[18:19], v[4:5]
	v_add_f64_e64 v[20:21], v[20:21], -v[40:41]
.LBB73_376:                             ;   in Loop: Header=BB73_3 Depth=1
	s_or_b32 exec_lo, exec_lo, s18
	s_barrier_signal -1
	s_barrier_wait -1
	s_and_saveexec_b32 s18, s72
	s_cbranch_execz .LBB73_378
; %bb.377:                              ;   in Loop: Header=BB73_3 Depth=1
	s_delay_alu instid0(VALU_DEP_2) | instskip(NEXT) | instid1(VALU_DEP_2)
	v_xor_b32_e32 v41, 0x80000000, v19
	v_xor_b32_e32 v43, 0x80000000, v21
	s_delay_alu instid0(VALU_DEP_3)
	v_dual_mov_b32 v40, v18 :: v_dual_mov_b32 v42, v20
	ds_store_b128 v25, v[40:43]
.LBB73_378:                             ;   in Loop: Header=BB73_3 Depth=1
	s_or_b32 exec_lo, exec_lo, s18
	s_wait_dscnt 0x0
	s_barrier_signal -1
	s_barrier_wait -1
	s_barrier_signal -1
	s_barrier_wait -1
	s_and_saveexec_b32 s18, s0
; %bb.379:                              ;   in Loop: Header=BB73_3 Depth=1
	ds_store_b128 v47, v[18:21] offset:3648
; %bb.380:                              ;   in Loop: Header=BB73_3 Depth=1
	s_or_b32 exec_lo, exec_lo, s18
	s_wait_dscnt 0x0
	s_barrier_signal -1
	s_barrier_wait -1
	s_barrier_signal -1
	s_barrier_wait -1
	s_and_saveexec_b32 s18, s8
	s_cbranch_execz .LBB73_382
; %bb.381:                              ;   in Loop: Header=BB73_3 Depth=1
	s_mov_b32 s36, s57
	s_mov_b32 s38, s57
	;; [unrolled: 1-line block ×3, first 2 shown]
	v_mov_b64_e32 v[18:19], s[36:37]
	v_mov_b64_e32 v[20:21], s[38:39]
	ds_store_b128 v2, v[18:21] offset:2112
	ds_store_b128 v2, v[18:21] offset:2640
.LBB73_382:                             ;   in Loop: Header=BB73_3 Depth=1
	s_or_b32 exec_lo, exec_lo, s18
	v_mov_b64_e32 v[20:21], 0
	v_mov_b64_e32 v[18:19], 0
	s_wait_dscnt 0x0
	s_barrier_signal -1
	s_barrier_wait -1
	global_wb scope:SCOPE_DEV
	s_wait_storecnt 0x0
	global_inv scope:SCOPE_DEV
	s_and_saveexec_b32 s36, s1
	s_cbranch_execz .LBB73_388
; %bb.383:                              ;   in Loop: Header=BB73_3 Depth=1
	ds_load_b128 v[18:21], v49 offset:3648
	ds_load_b128 v[40:43], v46 offset:2048
	s_wait_dscnt 0x0
	v_mul_f64_e32 v[4:5], v[20:21], v[42:43]
	v_mul_f64_e32 v[42:43], v[18:19], v[42:43]
	s_delay_alu instid0(VALU_DEP_2) | instskip(NEXT) | instid1(VALU_DEP_2)
	v_fma_f64 v[4:5], v[18:19], v[40:41], -v[4:5]
	v_fmac_f64_e32 v[42:43], v[20:21], v[40:41]
	s_delay_alu instid0(VALU_DEP_2) | instskip(NEXT) | instid1(VALU_DEP_2)
	v_add_f64_e32 v[18:19], 0, v[4:5]
	v_add_f64_e32 v[20:21], 0, v[42:43]
	s_and_saveexec_b32 s18, s10
	s_cbranch_execnz .LBB73_510
; %bb.384:                              ;   in Loop: Header=BB73_3 Depth=1
	s_or_b32 exec_lo, exec_lo, s18
	s_and_saveexec_b32 s18, s11
	s_cbranch_execnz .LBB73_511
.LBB73_385:                             ;   in Loop: Header=BB73_3 Depth=1
	s_or_b32 exec_lo, exec_lo, s18
	s_and_saveexec_b32 s18, s0
	s_cbranch_execz .LBB73_387
.LBB73_386:                             ;   in Loop: Header=BB73_3 Depth=1
	ds_load_b128 v[40:43], v2 offset:3696
	ds_load_b128 v[68:71], v45 offset:3584
	s_wait_dscnt 0x0
	v_mul_f64_e32 v[4:5], v[42:43], v[70:71]
	v_mul_f64_e32 v[70:71], v[40:41], v[70:71]
	s_delay_alu instid0(VALU_DEP_2) | instskip(NEXT) | instid1(VALU_DEP_2)
	v_fma_f64 v[4:5], v[40:41], v[68:69], -v[4:5]
	v_fmac_f64_e32 v[70:71], v[42:43], v[68:69]
	s_delay_alu instid0(VALU_DEP_2) | instskip(NEXT) | instid1(VALU_DEP_2)
	v_add_f64_e32 v[18:19], v[18:19], v[4:5]
	v_add_f64_e32 v[20:21], v[20:21], v[70:71]
.LBB73_387:                             ;   in Loop: Header=BB73_3 Depth=1
	s_or_b32 exec_lo, exec_lo, s18
.LBB73_388:                             ;   in Loop: Header=BB73_3 Depth=1
	s_delay_alu instid0(SALU_CYCLE_1)
	s_or_b32 exec_lo, exec_lo, s36
	s_and_saveexec_b32 s18, s73
	s_cbranch_execz .LBB73_390
; %bb.389:                              ;   in Loop: Header=BB73_3 Depth=1
	s_delay_alu instid0(VALU_DEP_1) | instskip(NEXT) | instid1(VALU_DEP_3)
	v_xor_b32_e32 v43, 0x80000000, v21
	v_xor_b32_e32 v41, 0x80000000, v19
	s_delay_alu instid0(VALU_DEP_3)
	v_dual_mov_b32 v40, v18 :: v_dual_mov_b32 v42, v20
	ds_store_b128 v48, v[40:43]
.LBB73_390:                             ;   in Loop: Header=BB73_3 Depth=1
	s_or_b32 exec_lo, exec_lo, s18
	s_wait_loadcnt_dscnt 0x0
	s_barrier_signal -1
	s_barrier_wait -1
	s_and_saveexec_b32 s18, s74
	s_cbranch_execz .LBB73_392
; %bb.391:                              ;   in Loop: Header=BB73_3 Depth=1
	ds_load_b128 v[40:43], v48
	ds_load_b128 v[68:71], v46 offset:1536
	s_wait_dscnt 0x0
	v_mul_f64_e32 v[4:5], v[42:43], v[70:71]
	v_mul_f64_e32 v[70:71], v[40:41], v[70:71]
	s_delay_alu instid0(VALU_DEP_2) | instskip(NEXT) | instid1(VALU_DEP_2)
	v_fma_f64 v[4:5], v[40:41], v[68:69], -v[4:5]
	v_fmac_f64_e32 v[70:71], v[42:43], v[68:69]
	s_delay_alu instid0(VALU_DEP_2) | instskip(NEXT) | instid1(VALU_DEP_2)
	v_add_f64_e64 v[18:19], v[18:19], -v[4:5]
	v_add_f64_e64 v[20:21], v[20:21], -v[70:71]
.LBB73_392:                             ;   in Loop: Header=BB73_3 Depth=1
	s_or_b32 exec_lo, exec_lo, s18
	s_barrier_signal -1
	s_barrier_wait -1
	s_and_saveexec_b32 s18, s75
	s_cbranch_execz .LBB73_394
; %bb.393:                              ;   in Loop: Header=BB73_3 Depth=1
	s_delay_alu instid0(VALU_DEP_1) | instskip(NEXT) | instid1(VALU_DEP_3)
	v_xor_b32_e32 v43, 0x80000000, v21
	v_xor_b32_e32 v41, 0x80000000, v19
	s_delay_alu instid0(VALU_DEP_3)
	v_dual_mov_b32 v40, v18 :: v_dual_mov_b32 v42, v20
	ds_store_b128 v48, v[40:43]
.LBB73_394:                             ;   in Loop: Header=BB73_3 Depth=1
	s_or_b32 exec_lo, exec_lo, s18
	s_wait_dscnt 0x0
	s_barrier_signal -1
	s_barrier_wait -1
	s_and_saveexec_b32 s18, s76
	s_cbranch_execz .LBB73_396
; %bb.395:                              ;   in Loop: Header=BB73_3 Depth=1
	ds_load_b128 v[40:43], v48
	ds_load_b128 v[68:71], v46 offset:1024
	s_wait_dscnt 0x0
	v_mul_f64_e32 v[4:5], v[42:43], v[70:71]
	v_mul_f64_e32 v[70:71], v[40:41], v[70:71]
	s_delay_alu instid0(VALU_DEP_2) | instskip(NEXT) | instid1(VALU_DEP_2)
	v_fma_f64 v[4:5], v[40:41], v[68:69], -v[4:5]
	v_fmac_f64_e32 v[70:71], v[42:43], v[68:69]
	s_delay_alu instid0(VALU_DEP_2) | instskip(NEXT) | instid1(VALU_DEP_2)
	v_add_f64_e64 v[18:19], v[18:19], -v[4:5]
	v_add_f64_e64 v[20:21], v[20:21], -v[70:71]
.LBB73_396:                             ;   in Loop: Header=BB73_3 Depth=1
	s_or_b32 exec_lo, exec_lo, s18
	s_barrier_signal -1
	s_barrier_wait -1
	s_and_saveexec_b32 s18, s77
	s_cbranch_execz .LBB73_398
; %bb.397:                              ;   in Loop: Header=BB73_3 Depth=1
	s_delay_alu instid0(VALU_DEP_1) | instskip(NEXT) | instid1(VALU_DEP_3)
	v_xor_b32_e32 v43, 0x80000000, v21
	v_xor_b32_e32 v41, 0x80000000, v19
	s_delay_alu instid0(VALU_DEP_3)
	v_dual_mov_b32 v40, v18 :: v_dual_mov_b32 v42, v20
	ds_store_b128 v48, v[40:43]
.LBB73_398:                             ;   in Loop: Header=BB73_3 Depth=1
	s_or_b32 exec_lo, exec_lo, s18
	s_wait_dscnt 0x0
	;; [unrolled: 32-line block ×3, first 2 shown]
	s_barrier_signal -1
	s_barrier_wait -1
	s_barrier_signal -1
	s_barrier_wait -1
	s_and_saveexec_b32 s18, s1
; %bb.403:                              ;   in Loop: Header=BB73_3 Depth=1
	ds_store_b128 v50, v[18:21] offset:3584
; %bb.404:                              ;   in Loop: Header=BB73_3 Depth=1
	s_or_b32 exec_lo, exec_lo, s18
	s_wait_dscnt 0x0
	s_barrier_signal -1
	s_barrier_wait -1
	s_barrier_signal -1
	s_barrier_wait -1
	s_and_saveexec_b32 s18, s8
	s_cbranch_execz .LBB73_406
; %bb.405:                              ;   in Loop: Header=BB73_3 Depth=1
	s_mov_b32 s36, s57
	s_mov_b32 s38, s57
	;; [unrolled: 1-line block ×3, first 2 shown]
	v_mov_b64_e32 v[18:19], s[36:37]
	v_mov_b64_e32 v[20:21], s[38:39]
	ds_store_b128 v2, v[18:21] offset:1056
	ds_store_b128 v2, v[18:21] offset:1584
.LBB73_406:                             ;   in Loop: Header=BB73_3 Depth=1
	s_or_b32 exec_lo, exec_lo, s18
	v_mov_b64_e32 v[18:19], 0
	v_mov_b64_e32 v[20:21], 0
	s_wait_dscnt 0x0
	s_barrier_signal -1
	s_barrier_wait -1
	global_wb scope:SCOPE_DEV
	s_wait_storecnt 0x0
	global_inv scope:SCOPE_DEV
	s_and_saveexec_b32 s36, s0
	s_cbranch_execz .LBB73_410
; %bb.407:                              ;   in Loop: Header=BB73_3 Depth=1
	ds_load_b128 v[18:21], v44 offset:1568
	ds_load_b128 v[40:43], v27 offset:1024
	s_wait_dscnt 0x0
	v_mul_f64_e32 v[4:5], v[20:21], v[42:43]
	v_mul_f64_e32 v[42:43], v[18:19], v[42:43]
	s_delay_alu instid0(VALU_DEP_2) | instskip(NEXT) | instid1(VALU_DEP_2)
	v_fma_f64 v[4:5], v[18:19], v[40:41], -v[4:5]
	v_fmac_f64_e32 v[42:43], v[20:21], v[40:41]
	s_delay_alu instid0(VALU_DEP_2) | instskip(NEXT) | instid1(VALU_DEP_2)
	v_add_f64_e32 v[18:19], 0, v[4:5]
	v_add_f64_e32 v[20:21], 0, v[42:43]
	s_and_saveexec_b32 s18, s9
	s_cbranch_execz .LBB73_409
; %bb.408:                              ;   in Loop: Header=BB73_3 Depth=1
	ds_load_b128 v[40:43], v2 offset:1584
	ds_load_b128 v[68:71], v45 offset:1536
	s_wait_dscnt 0x0
	v_mul_f64_e32 v[4:5], v[42:43], v[70:71]
	v_mul_f64_e32 v[70:71], v[40:41], v[70:71]
	s_delay_alu instid0(VALU_DEP_2) | instskip(NEXT) | instid1(VALU_DEP_2)
	v_fma_f64 v[4:5], v[40:41], v[68:69], -v[4:5]
	v_fmac_f64_e32 v[70:71], v[42:43], v[68:69]
	s_delay_alu instid0(VALU_DEP_2) | instskip(NEXT) | instid1(VALU_DEP_2)
	v_add_f64_e32 v[18:19], v[18:19], v[4:5]
	v_add_f64_e32 v[20:21], v[20:21], v[70:71]
.LBB73_409:                             ;   in Loop: Header=BB73_3 Depth=1
	s_or_b32 exec_lo, exec_lo, s18
.LBB73_410:                             ;   in Loop: Header=BB73_3 Depth=1
	s_delay_alu instid0(SALU_CYCLE_1)
	s_or_b32 exec_lo, exec_lo, s36
	s_and_saveexec_b32 s18, s71
	s_cbranch_execz .LBB73_412
; %bb.411:                              ;   in Loop: Header=BB73_3 Depth=1
	s_delay_alu instid0(VALU_DEP_2) | instskip(NEXT) | instid1(VALU_DEP_2)
	v_xor_b32_e32 v41, 0x80000000, v19
	v_xor_b32_e32 v43, 0x80000000, v21
	s_delay_alu instid0(VALU_DEP_3)
	v_dual_mov_b32 v40, v18 :: v_dual_mov_b32 v42, v20
	ds_store_b128 v25, v[40:43]
.LBB73_412:                             ;   in Loop: Header=BB73_3 Depth=1
	s_or_b32 exec_lo, exec_lo, s18
	s_wait_loadcnt_dscnt 0x0
	s_barrier_signal -1
	s_barrier_wait -1
	s_and_saveexec_b32 s18, s72
	s_cbranch_execz .LBB73_414
; %bb.413:                              ;   in Loop: Header=BB73_3 Depth=1
	ds_load_b128 v[40:43], v25
	ds_load_b128 v[68:71], v2 offset:512
	s_wait_dscnt 0x0
	v_mul_f64_e32 v[4:5], v[40:41], v[68:69]
	v_mul_f64_e32 v[40:41], v[40:41], v[70:71]
	s_delay_alu instid0(VALU_DEP_2) | instskip(NEXT) | instid1(VALU_DEP_2)
	v_fma_f64 v[4:5], v[42:43], v[70:71], -v[4:5]
	v_fmac_f64_e32 v[40:41], v[42:43], v[68:69]
	s_delay_alu instid0(VALU_DEP_2) | instskip(NEXT) | instid1(VALU_DEP_2)
	v_add_f64_e32 v[18:19], v[18:19], v[4:5]
	v_add_f64_e64 v[20:21], v[20:21], -v[40:41]
.LBB73_414:                             ;   in Loop: Header=BB73_3 Depth=1
	s_or_b32 exec_lo, exec_lo, s18
	s_barrier_signal -1
	s_barrier_wait -1
	s_and_saveexec_b32 s18, s72
	s_cbranch_execz .LBB73_416
; %bb.415:                              ;   in Loop: Header=BB73_3 Depth=1
	s_delay_alu instid0(VALU_DEP_2) | instskip(NEXT) | instid1(VALU_DEP_2)
	v_xor_b32_e32 v41, 0x80000000, v19
	v_xor_b32_e32 v43, 0x80000000, v21
	s_delay_alu instid0(VALU_DEP_3)
	v_dual_mov_b32 v40, v18 :: v_dual_mov_b32 v42, v20
	ds_store_b128 v25, v[40:43]
.LBB73_416:                             ;   in Loop: Header=BB73_3 Depth=1
	s_or_b32 exec_lo, exec_lo, s18
	s_wait_dscnt 0x0
	s_barrier_signal -1
	s_barrier_wait -1
	s_barrier_signal -1
	s_barrier_wait -1
	s_and_saveexec_b32 s18, s0
; %bb.417:                              ;   in Loop: Header=BB73_3 Depth=1
	ds_store_b128 v47, v[18:21] offset:1536
; %bb.418:                              ;   in Loop: Header=BB73_3 Depth=1
	s_or_b32 exec_lo, exec_lo, s18
	s_wait_dscnt 0x0
	s_barrier_signal -1
	s_barrier_wait -1
	s_barrier_signal -1
	s_barrier_wait -1
	s_and_saveexec_b32 s18, s8
	s_cbranch_execz .LBB73_420
; %bb.419:                              ;   in Loop: Header=BB73_3 Depth=1
	s_mov_b32 s36, s57
	s_mov_b32 s38, s57
	;; [unrolled: 1-line block ×3, first 2 shown]
	v_mov_b64_e32 v[18:19], s[36:37]
	v_mov_b64_e32 v[20:21], s[38:39]
	ds_store_b128 v2, v[18:21]
	ds_store_b128 v2, v[18:21] offset:528
.LBB73_420:                             ;   in Loop: Header=BB73_3 Depth=1
	s_or_b32 exec_lo, exec_lo, s18
.LBB73_421:                             ;   in Loop: Header=BB73_3 Depth=1
	v_mov_b64_e32 v[18:19], 0
	s_mul_u64 s[18:19], s[52:53], s[56:57]
	s_wait_dscnt 0x0
	s_lshl_b64 s[18:19], s[18:19], 4
	s_barrier_signal -1
	s_add_nc_u64 s[38:39], s[46:47], s[18:19]
	s_barrier_wait -1
	v_mov_b64_e32 v[20:21], v[18:19]
	s_and_saveexec_b32 s18, s100
	s_cbranch_execz .LBB73_423
; %bb.422:                              ;   in Loop: Header=BB73_3 Depth=1
	v_lshl_add_u64 v[4:5], v[30:31], 4, s[38:39]
	global_load_b128 v[40:43], v[4:5], off
	s_wait_loadcnt 0x0
	v_mul_f64_e32 v[4:5], v[14:15], v[40:41]
	v_mul_f64_e32 v[14:15], v[14:15], v[42:43]
	s_delay_alu instid0(VALU_DEP_2) | instskip(NEXT) | instid1(VALU_DEP_2)
	v_fma_f64 v[18:19], v[16:17], v[42:43], -v[4:5]
	v_fma_f64 v[20:21], v[40:41], -v[16:17], -v[14:15]
.LBB73_423:                             ;   in Loop: Header=BB73_3 Depth=1
	s_or_b32 exec_lo, exec_lo, s18
	s_delay_alu instid0(SALU_CYCLE_1)
	s_and_not1_b32 vcc_lo, exec_lo, s101
	s_cbranch_vccnz .LBB73_446
; %bb.424:                              ;   in Loop: Header=BB73_3 Depth=1
	v_lshl_add_u64 v[14:15], v[28:29], 4, s[64:65]
	v_mov_b32_e32 v67, -1
	s_lshl_b64 s[18:19], s[56:57], 2
	s_mov_b32 s36, 0
	s_add_nc_u64 s[64:65], s[54:55], s[18:19]
	s_branch .LBB73_427
.LBB73_425:                             ;   in Loop: Header=BB73_427 Depth=2
	ds_load_b128 v[68:71], v60 offset:256
	s_wait_loadcnt_dscnt 0x0
	v_mul_f64_e32 v[16:17], v[40:41], v[70:71]
	v_mul_f64_e32 v[42:43], v[4:5], v[70:71]
	s_delay_alu instid0(VALU_DEP_2) | instskip(NEXT) | instid1(VALU_DEP_2)
	v_fma_f64 v[4:5], v[4:5], v[68:69], -v[16:17]
	v_fmac_f64_e32 v[42:43], v[40:41], v[68:69]
	s_delay_alu instid0(VALU_DEP_2) | instskip(NEXT) | instid1(VALU_DEP_2)
	v_add_f64_e32 v[18:19], v[18:19], v[4:5]
	v_add_f64_e32 v[20:21], v[20:21], v[42:43]
.LBB73_426:                             ;   in Loop: Header=BB73_427 Depth=2
	s_or_b32 exec_lo, exec_lo, s18
	s_add_co_i32 s36, s36, 1
	s_delay_alu instid0(SALU_CYCLE_1)
	s_cmp_eq_u32 s36, s66
	s_cbranch_scc1 .LBB73_446
.LBB73_427:                             ;   Parent Loop BB73_3 Depth=1
                                        ; =>  This Loop Header: Depth=2
                                        ;       Child Loop BB73_429 Depth 3
	v_cmp_gt_i32_e32 vcc_lo, s36, v67
	s_and_b32 s19, s28, vcc_lo
	s_delay_alu instid0(SALU_CYCLE_1)
	s_and_saveexec_b32 s18, s19
	s_cbranch_execz .LBB73_430
; %bb.428:                              ;   in Loop: Header=BB73_427 Depth=2
	global_load_b32 v67, v2, s[64:65]
	s_wait_loadcnt 0x0
	v_cmp_le_i32_e32 vcc_lo, s36, v67
	s_cbranch_vccnz .LBB73_430
.LBB73_429:                             ;   Parent Loop BB73_3 Depth=1
                                        ;     Parent Loop BB73_427 Depth=2
                                        ; =>    This Inner Loop Header: Depth=3
	global_wb scope:SCOPE_DEV
	s_wait_storecnt 0x0
	global_inv scope:SCOPE_DEV
	global_load_b32 v67, v2, s[64:65]
	s_wait_loadcnt 0x0
	v_cmp_gt_i32_e32 vcc_lo, s36, v67
	s_cbranch_vccnz .LBB73_429
.LBB73_430:                             ;   in Loop: Header=BB73_427 Depth=2
	s_or_b32 exec_lo, exec_lo, s18
	s_sub_co_i32 s18, s67, s36
	global_wb scope:SCOPE_DEV
	s_wait_storecnt 0x0
	global_inv scope:SCOPE_DEV
	s_lshl_b32 s19, s18, 5
	s_wait_loadcnt 0x0
	s_barrier_signal -1
	s_barrier_wait -1
	s_and_saveexec_b32 s20, s29
	s_cbranch_execz .LBB73_435
; %bb.431:                              ;   in Loop: Header=BB73_427 Depth=2
	s_ashr_i32 vcc_lo, s19, 31
	s_delay_alu instid0(SALU_CYCLE_1) | instskip(NEXT) | instid1(VALU_DEP_1)
	v_dual_mov_b32 v5, vcc_lo :: v_dual_bitop2_b32 v4, s19, v26 bitop3:0x54
	v_cmp_le_i64_e32 vcc_lo, s[58:59], v[4:5]
	s_and_saveexec_b32 s21, vcc_lo
	s_delay_alu instid0(SALU_CYCLE_1)
	s_xor_b32 vcc_lo, exec_lo, s21
; %bb.432:                              ;   in Loop: Header=BB73_427 Depth=2
	v_dual_mov_b32 v3, v2 :: v_dual_mov_b32 v4, v2
	v_mov_b32_e32 v5, v2
	ds_store_b128 v59, v[2:5]
                                        ; implicit-def: $vgpr4_vgpr5
; %bb.433:                              ;   in Loop: Header=BB73_427 Depth=2
	s_and_not1_saveexec_b32 s21, vcc_lo
	s_cbranch_execz .LBB73_435
; %bb.434:                              ;   in Loop: Header=BB73_427 Depth=2
	v_mul_u64_e32 v[4:5], s[50:51], v[4:5]
	s_delay_alu instid0(VALU_DEP_1)
	v_lshl_add_u64 v[4:5], v[4:5], 4, s[38:39]
	global_load_b128 v[40:43], v[4:5], off
	s_wait_loadcnt 0x0
	ds_store_2addr_b64 v59, v[40:41], v[42:43] offset1:1
.LBB73_435:                             ;   in Loop: Header=BB73_427 Depth=2
	s_or_b32 exec_lo, exec_lo, s20
	v_add_nc_u32_e32 v4, s19, v22
	s_cmp_lg_u32 s18, s102
	s_wait_dscnt 0x0
	s_cselect_b32 s19, -1, 0
	s_barrier_signal -1
	v_ashrrev_i32_e32 v5, 31, v4
	v_cmp_gt_i32_e32 vcc_lo, s58, v4
	v_cndmask_b32_e64 v3, 0, 1, s19
	s_barrier_wait -1
	s_delay_alu instid0(VALU_DEP_3) | instskip(SKIP_1) | instid1(VALU_DEP_1)
	v_mul_u64_e32 v[16:17], s[40:41], v[4:5]
	s_and_b32 s20, s5, vcc_lo
	v_lshl_add_u64 v[16:17], v[16:17], 4, v[14:15]
	s_and_saveexec_b32 s18, s20
	s_cbranch_execz .LBB73_441
; %bb.436:                              ;   in Loop: Header=BB73_427 Depth=2
	v_mov_b64_e32 v[40:41], v[6:7]
	s_and_not1_b32 vcc_lo, exec_lo, s19
	s_cbranch_vccnz .LBB73_438
; %bb.437:                              ;   in Loop: Header=BB73_427 Depth=2
	global_load_b64 v[40:41], v[16:17], off
.LBB73_438:                             ;   in Loop: Header=BB73_427 Depth=2
	v_cmp_ne_u32_e32 vcc_lo, 1, v3
	v_mov_b64_e32 v[42:43], v[8:9]
	s_cbranch_vccnz .LBB73_440
; %bb.439:                              ;   in Loop: Header=BB73_427 Depth=2
	global_load_b64 v[42:43], v[16:17], off offset:8
.LBB73_440:                             ;   in Loop: Header=BB73_427 Depth=2
	ds_load_b128 v[68:71], v60
	s_wait_loadcnt_dscnt 0x0
	v_mul_f64_e32 v[72:73], v[42:43], v[70:71]
	v_mul_f64_e32 v[70:71], v[40:41], v[70:71]
	s_delay_alu instid0(VALU_DEP_2) | instskip(NEXT) | instid1(VALU_DEP_2)
	v_fma_f64 v[40:41], v[40:41], v[68:69], -v[72:73]
	v_fmac_f64_e32 v[70:71], v[42:43], v[68:69]
	s_delay_alu instid0(VALU_DEP_2) | instskip(NEXT) | instid1(VALU_DEP_2)
	v_add_f64_e32 v[18:19], v[18:19], v[40:41]
	v_add_f64_e32 v[20:21], v[20:21], v[70:71]
.LBB73_441:                             ;   in Loop: Header=BB73_427 Depth=2
	s_or_b32 exec_lo, exec_lo, s18
	v_add_nc_u32_e32 v4, 16, v4
	s_delay_alu instid0(VALU_DEP_1) | instskip(SKIP_1) | instid1(SALU_CYCLE_1)
	v_cmp_gt_i32_e32 vcc_lo, s58, v4
	s_and_b32 s19, s5, vcc_lo
	s_and_saveexec_b32 s18, s19
	s_cbranch_execz .LBB73_426
; %bb.442:                              ;   in Loop: Header=BB73_427 Depth=2
	v_cmp_ne_u32_e32 vcc_lo, 1, v3
	v_add_nc_u64_e32 v[16:17], s[62:63], v[16:17]
	v_mov_b64_e32 v[4:5], v[10:11]
	s_cbranch_vccnz .LBB73_444
; %bb.443:                              ;   in Loop: Header=BB73_427 Depth=2
	global_load_b64 v[4:5], v[16:17], off
.LBB73_444:                             ;   in Loop: Header=BB73_427 Depth=2
	v_cmp_ne_u32_e32 vcc_lo, 1, v3
	v_mov_b64_e32 v[40:41], v[12:13]
	s_cbranch_vccnz .LBB73_425
; %bb.445:                              ;   in Loop: Header=BB73_427 Depth=2
	global_load_b64 v[40:41], v[16:17], off offset:8
	s_branch .LBB73_425
.LBB73_446:                             ;   in Loop: Header=BB73_3 Depth=1
	ds_store_b128 v61, v[18:21]
	s_wait_dscnt 0x0
	s_barrier_signal -1
	s_barrier_wait -1
	s_and_saveexec_b32 s36, s4
	s_cbranch_execz .LBB73_448
; %bb.447:                              ;   in Loop: Header=BB73_3 Depth=1
	ds_load_b128 v[14:17], v62 offset:512
	ds_load_b128 v[40:43], v62 offset:1024
	s_wait_dscnt 0x1
	v_add_f64_e32 v[4:5], v[18:19], v[14:15]
	v_add_f64_e32 v[14:15], v[20:21], v[16:17]
	s_wait_dscnt 0x0
	s_delay_alu instid0(VALU_DEP_2) | instskip(NEXT) | instid1(VALU_DEP_2)
	v_add_f64_e32 v[4:5], v[4:5], v[40:41]
	v_add_f64_e32 v[40:41], v[14:15], v[42:43]
	ds_load_b128 v[14:17], v62 offset:1536
	ds_load_b128 v[18:21], v62 offset:2048
	s_wait_dscnt 0x1
	v_add_f64_e32 v[4:5], v[4:5], v[14:15]
	v_add_f64_e32 v[14:15], v[40:41], v[16:17]
	s_wait_dscnt 0x0
	s_delay_alu instid0(VALU_DEP_2) | instskip(NEXT) | instid1(VALU_DEP_2)
	v_add_f64_e32 v[4:5], v[4:5], v[18:19]
	v_add_f64_e32 v[40:41], v[14:15], v[20:21]
	;; [unrolled: 9-line block ×7, first 2 shown]
	ds_load_b128 v[14:17], v62 offset:7680
	s_wait_dscnt 0x0
	v_add_f64_e32 v[4:5], v[4:5], v[14:15]
	v_add_f64_e32 v[14:15], v[18:19], v[16:17]
	s_delay_alu instid0(VALU_DEP_2) | instskip(NEXT) | instid1(VALU_DEP_2)
	v_xor_b32_e32 v3, 0x80000000, v5
	v_xor_b32_e32 v5, 0x80000000, v15
	s_delay_alu instid0(VALU_DEP_4) | instskip(NEXT) | instid1(VALU_DEP_4)
	v_cndmask_b32_e64 v18, v4, 0, s97
	v_cndmask_b32_e64 v20, v14, 0, s97
	s_delay_alu instid0(VALU_DEP_4) | instskip(NEXT) | instid1(VALU_DEP_4)
	v_cndmask_b32_e64 v19, v3, 0, s97
	v_cndmask_b32_e64 v21, v5, 0, s97
.LBB73_448:                             ;   in Loop: Header=BB73_3 Depth=1
	s_or_b32 exec_lo, exec_lo, s36
	s_delay_alu instid0(SALU_CYCLE_1)
	s_and_not1_b32 vcc_lo, exec_lo, s70
	s_cbranch_vccnz .LBB73_457
; %bb.449:                              ;   in Loop: Header=BB73_3 Depth=1
	s_and_saveexec_b32 s18, s4
; %bb.450:                              ;   in Loop: Header=BB73_3 Depth=1
	ds_store_b128 v64, v[18:21]
; %bb.451:                              ;   in Loop: Header=BB73_3 Depth=1
	s_or_b32 exec_lo, exec_lo, s18
	v_mov_b64_e32 v[14:15], 0
	v_mov_b64_e32 v[16:17], 0
	s_wait_dscnt 0x0
	s_barrier_signal -1
	s_barrier_wait -1
	s_and_saveexec_b32 s18, s30
	s_cbranch_execz .LBB73_453
; %bb.452:                              ;   in Loop: Header=BB73_3 Depth=1
	ds_load_b128 v[14:17], v60
	ds_load_b128 v[40:43], v63
	s_wait_dscnt 0x0
	v_mul_f64_e32 v[4:5], v[16:17], v[42:43]
	v_mul_f64_e32 v[42:43], v[14:15], v[42:43]
	s_delay_alu instid0(VALU_DEP_2) | instskip(NEXT) | instid1(VALU_DEP_2)
	v_fma_f64 v[4:5], v[14:15], v[40:41], -v[4:5]
	v_fmac_f64_e32 v[42:43], v[16:17], v[40:41]
	s_delay_alu instid0(VALU_DEP_2) | instskip(NEXT) | instid1(VALU_DEP_2)
	v_add_f64_e32 v[14:15], 0, v[4:5]
	v_add_f64_e32 v[16:17], 0, v[42:43]
.LBB73_453:                             ;   in Loop: Header=BB73_3 Depth=1
	s_or_b32 exec_lo, exec_lo, s18
	s_and_saveexec_b32 s18, s31
	s_cbranch_execz .LBB73_455
; %bb.454:                              ;   in Loop: Header=BB73_3 Depth=1
	ds_load_b128 v[40:43], v60 offset:256
	ds_load_b128 v[68:71], v63 offset:8192
	s_wait_dscnt 0x0
	v_mul_f64_e32 v[4:5], v[42:43], v[70:71]
	v_mul_f64_e32 v[70:71], v[40:41], v[70:71]
	s_delay_alu instid0(VALU_DEP_2) | instskip(NEXT) | instid1(VALU_DEP_2)
	v_fma_f64 v[4:5], v[40:41], v[68:69], -v[4:5]
	v_fmac_f64_e32 v[70:71], v[42:43], v[68:69]
	s_delay_alu instid0(VALU_DEP_2) | instskip(NEXT) | instid1(VALU_DEP_2)
	v_add_f64_e32 v[14:15], v[14:15], v[4:5]
	v_add_f64_e32 v[16:17], v[16:17], v[70:71]
.LBB73_455:                             ;   in Loop: Header=BB73_3 Depth=1
	s_or_b32 exec_lo, exec_lo, s18
	s_mov_b32 s64, 0
	s_mov_b32 s36, 0
	ds_store_b128 v61, v[14:17]
	s_wait_dscnt 0x0
	s_barrier_signal -1
	s_barrier_wait -1
                                        ; implicit-def: $vgpr4_vgpr5
                                        ; implicit-def: $vgpr40_vgpr41
	s_and_saveexec_b32 s65, s4
	s_cbranch_execz .LBB73_484
; %bb.456:                              ;   in Loop: Header=BB73_3 Depth=1
	ds_load_b128 v[40:43], v62 offset:512
	ds_load_b128 v[68:71], v62 offset:1024
	s_mov_b32 s36, exec_lo
	s_wait_dscnt 0x1
	v_add_f64_e32 v[4:5], v[14:15], v[40:41]
	v_add_f64_e32 v[14:15], v[16:17], v[42:43]
	s_wait_dscnt 0x0
	s_delay_alu instid0(VALU_DEP_2) | instskip(NEXT) | instid1(VALU_DEP_2)
	v_add_f64_e32 v[4:5], v[4:5], v[68:69]
	v_add_f64_e32 v[68:69], v[14:15], v[70:71]
	ds_load_b128 v[14:17], v62 offset:1536
	ds_load_b128 v[40:43], v62 offset:2048
	s_wait_dscnt 0x1
	v_add_f64_e32 v[4:5], v[4:5], v[14:15]
	v_add_f64_e32 v[14:15], v[68:69], v[16:17]
	s_wait_dscnt 0x0
	s_delay_alu instid0(VALU_DEP_2) | instskip(NEXT) | instid1(VALU_DEP_2)
	v_add_f64_e32 v[4:5], v[4:5], v[40:41]
	v_add_f64_e32 v[68:69], v[14:15], v[42:43]
	ds_load_b128 v[14:17], v62 offset:2560
	ds_load_b128 v[40:43], v62 offset:3072
	;; [unrolled: 9-line block ×6, first 2 shown]
	s_wait_dscnt 0x1
	v_add_f64_e32 v[4:5], v[4:5], v[14:15]
	v_add_f64_e32 v[14:15], v[68:69], v[16:17]
	s_wait_dscnt 0x0
	s_delay_alu instid0(VALU_DEP_2) | instskip(NEXT) | instid1(VALU_DEP_2)
	v_add_f64_e32 v[4:5], v[4:5], v[40:41]
	v_add_f64_e32 v[42:43], v[14:15], v[42:43]
	ds_load_b128 v[14:17], v62 offset:7680
	s_wait_dscnt 0x0
	v_add_f64_e32 v[40:41], v[4:5], v[14:15]
	v_add_f64_e32 v[4:5], v[42:43], v[16:17]
	s_or_b32 exec_lo, exec_lo, s65
	s_delay_alu instid0(SALU_CYCLE_1)
	s_and_b32 vcc_lo, exec_lo, s64
	s_cbranch_vccnz .LBB73_458
	s_branch .LBB73_485
.LBB73_457:                             ;   in Loop: Header=BB73_3 Depth=1
	s_mov_b32 s36, 0
                                        ; implicit-def: $vgpr4_vgpr5
                                        ; implicit-def: $vgpr40_vgpr41
	s_cbranch_execz .LBB73_485
.LBB73_458:                             ;   in Loop: Header=BB73_3 Depth=1
	v_dual_mov_b32 v3, v66 :: v_dual_mov_b32 v4, v23
	s_mov_b32 s64, 31
	s_branch .LBB73_460
.LBB73_459:                             ;   in Loop: Header=BB73_460 Depth=2
	s_or_b32 exec_lo, exec_lo, s18
	v_add_nc_u32_e32 v4, 0xfffffc00, v4
	v_add_nc_u32_e32 v3, 2, v3
	s_add_co_i32 s64, s64, -2
	s_cmp_lg_u32 s65, 0
	s_barrier_signal -1
	s_barrier_wait -1
	s_cbranch_scc0 .LBB73_468
.LBB73_460:                             ;   Parent Loop BB73_3 Depth=1
                                        ; =>  This Inner Loop Header: Depth=2
	s_delay_alu instid0(VALU_DEP_1) | instskip(SKIP_1) | instid1(SALU_CYCLE_1)
	v_cmp_eq_u32_e32 vcc_lo, 0, v3
	s_and_b32 s19, s4, vcc_lo
	s_and_saveexec_b32 s18, s19
; %bb.461:                              ;   in Loop: Header=BB73_460 Depth=2
	ds_store_b128 v2, v[18:21] offset:25088
; %bb.462:                              ;   in Loop: Header=BB73_460 Depth=2
	s_or_b32 exec_lo, exec_lo, s18
	v_cmp_gt_u32_e32 vcc_lo, s64, v24
	s_wait_dscnt 0x0
	s_barrier_signal -1
	s_barrier_wait -1
	s_and_b32 s19, s4, vcc_lo
	s_delay_alu instid0(SALU_CYCLE_1)
	s_and_saveexec_b32 s18, s19
	s_cbranch_execz .LBB73_464
; %bb.463:                              ;   in Loop: Header=BB73_460 Depth=2
	ds_load_b128 v[14:17], v2 offset:25088
	ds_load_b128 v[40:43], v4 offset:512
	s_wait_dscnt 0x0
	v_mul_f64_e32 v[68:69], v[16:17], v[42:43]
	v_mul_f64_e32 v[42:43], v[14:15], v[42:43]
	s_delay_alu instid0(VALU_DEP_2) | instskip(NEXT) | instid1(VALU_DEP_2)
	v_fma_f64 v[14:15], v[14:15], v[40:41], -v[68:69]
	v_fmac_f64_e32 v[42:43], v[16:17], v[40:41]
	s_delay_alu instid0(VALU_DEP_2) | instskip(NEXT) | instid1(VALU_DEP_2)
	v_add_f64_e32 v[18:19], v[18:19], v[14:15]
	v_add_f64_e32 v[20:21], v[20:21], v[42:43]
.LBB73_464:                             ;   in Loop: Header=BB73_460 Depth=2
	s_or_b32 exec_lo, exec_lo, s18
	s_add_co_i32 s65, s64, -1
	s_delay_alu instid0(SALU_CYCLE_1) | instskip(SKIP_3) | instid1(SALU_CYCLE_1)
	v_cmp_eq_u32_e32 vcc_lo, s65, v24
	s_barrier_signal -1
	s_barrier_wait -1
	s_and_b32 s19, s4, vcc_lo
	s_and_saveexec_b32 s18, s19
; %bb.465:                              ;   in Loop: Header=BB73_460 Depth=2
	ds_store_b128 v2, v[18:21] offset:25088
; %bb.466:                              ;   in Loop: Header=BB73_460 Depth=2
	s_or_b32 exec_lo, exec_lo, s18
	v_cmp_gt_u32_e32 vcc_lo, s65, v24
	s_wait_dscnt 0x0
	s_barrier_signal -1
	s_barrier_wait -1
	s_and_b32 s19, s4, vcc_lo
	s_delay_alu instid0(SALU_CYCLE_1)
	s_and_saveexec_b32 s18, s19
	s_cbranch_execz .LBB73_459
; %bb.467:                              ;   in Loop: Header=BB73_460 Depth=2
	ds_load_b128 v[14:17], v2 offset:25088
	ds_load_b128 v[40:43], v4
	s_wait_dscnt 0x0
	v_mul_f64_e32 v[68:69], v[16:17], v[42:43]
	v_mul_f64_e32 v[42:43], v[14:15], v[42:43]
	s_delay_alu instid0(VALU_DEP_2) | instskip(NEXT) | instid1(VALU_DEP_2)
	v_fma_f64 v[14:15], v[14:15], v[40:41], -v[68:69]
	v_fmac_f64_e32 v[42:43], v[16:17], v[40:41]
	s_delay_alu instid0(VALU_DEP_2) | instskip(NEXT) | instid1(VALU_DEP_2)
	v_add_f64_e32 v[18:19], v[18:19], v[14:15]
	v_add_f64_e32 v[20:21], v[20:21], v[42:43]
	s_branch .LBB73_459
.LBB73_468:                             ;   in Loop: Header=BB73_3 Depth=1
	s_and_b32 vcc_lo, exec_lo, s68
	s_mov_b32 s18, -1
	s_cbranch_vccnz .LBB73_486
; %bb.469:                              ;   in Loop: Header=BB73_3 Depth=1
	s_and_not1_b32 vcc_lo, exec_lo, s18
	s_cbranch_vccz .LBB73_487
.LBB73_470:                             ;   in Loop: Header=BB73_3 Depth=1
	s_and_saveexec_b32 s18, s36
	s_cbranch_execz .LBB73_472
.LBB73_471:                             ;   in Loop: Header=BB73_3 Depth=1
	v_lshl_add_u64 v[4:5], v[32:33], 4, s[38:39]
	global_store_b128 v[4:5], v[18:21], off
.LBB73_472:                             ;   in Loop: Header=BB73_3 Depth=1
	s_wait_xcnt 0x0
	s_or_b32 exec_lo, exec_lo, s18
	global_wb scope:SCOPE_DEV
	s_wait_storecnt 0x0
	global_inv scope:SCOPE_DEV
	s_wait_loadcnt 0x0
	s_barrier_signal -1
	s_barrier_wait -1
	s_and_saveexec_b32 s18, s28
	s_cbranch_execz .LBB73_2
; %bb.473:                              ;   in Loop: Header=BB73_3 Depth=1
	s_lshl_b64 s[38:39], s[56:57], 2
	s_delay_alu instid0(SALU_CYCLE_1)
	s_add_nc_u64 s[38:39], s[54:55], s[38:39]
	global_load_b32 v3, v2, s[38:39]
	s_wait_loadcnt 0x0
	v_add_nc_u32_e32 v3, 1, v3
	global_store_b32 v2, v3, s[38:39]
	s_branch .LBB73_2
.LBB73_474:                             ;   in Loop: Header=BB73_3 Depth=1
	v_lshl_add_u64 v[4:5], v[34:35], 4, v[40:41]
	s_or_b32 s18, s18, exec_lo
	global_load_b128 v[18:21], v[4:5], off
	s_wait_loadcnt 0x0
	v_xor_b32_e32 v19, 0x80000000, v19
	v_xor_b32_e32 v21, 0x80000000, v21
	s_or_b32 exec_lo, exec_lo, s19
	s_and_saveexec_b32 s19, s18
	s_cbranch_execz .LBB73_14
.LBB73_475:                             ;   in Loop: Header=BB73_3 Depth=1
	ds_store_b128 v63, v[18:21]
	s_or_b32 exec_lo, exec_lo, s19
	s_and_saveexec_b32 s18, s7
	s_delay_alu instid0(SALU_CYCLE_1)
	s_xor_b32 s18, exec_lo, s18
	s_cbranch_execz .LBB73_15
.LBB73_476:                             ;   in Loop: Header=BB73_3 Depth=1
	s_and_saveexec_b32 s19, s34
; %bb.477:                              ;   in Loop: Header=BB73_3 Depth=1
	v_dual_mov_b32 v3, v2 :: v_dual_mov_b32 v4, v2
	v_mov_b32_e32 v5, v2
	ds_store_b128 v65, v[2:5]
; %bb.478:                              ;   in Loop: Header=BB73_3 Depth=1
	s_or_b32 exec_lo, exec_lo, s19
	s_and_not1_saveexec_b32 s18, s18
	s_cbranch_execnz .LBB73_16
	s_branch .LBB73_17
.LBB73_479:                             ;   in Loop: Header=BB73_3 Depth=1
	v_lshl_add_u64 v[4:5], v[34:35], 4, v[40:41]
	s_or_b32 s18, s18, exec_lo
	global_load_b128 v[18:21], v[4:5], off
	s_wait_loadcnt 0x0
	v_xor_b32_e32 v19, 0x80000000, v19
	v_xor_b32_e32 v21, 0x80000000, v21
	s_or_b32 exec_lo, exec_lo, s19
	s_and_saveexec_b32 s19, s18
	s_cbranch_execz .LBB73_23
.LBB73_480:                             ;   in Loop: Header=BB73_3 Depth=1
	ds_store_b128 v63, v[18:21]
	s_or_b32 exec_lo, exec_lo, s19
	s_and_saveexec_b32 s18, s17
	s_delay_alu instid0(SALU_CYCLE_1)
	s_xor_b32 s18, exec_lo, s18
	s_cbranch_execz .LBB73_24
.LBB73_481:                             ;   in Loop: Header=BB73_3 Depth=1
	s_and_saveexec_b32 s19, s34
; %bb.482:                              ;   in Loop: Header=BB73_3 Depth=1
	v_dual_mov_b32 v3, v2 :: v_dual_mov_b32 v4, v2
	v_mov_b32_e32 v5, v2
	ds_store_b128 v65, v[2:5]
; %bb.483:                              ;   in Loop: Header=BB73_3 Depth=1
	s_or_b32 exec_lo, exec_lo, s19
                                        ; implicit-def: $vgpr40_vgpr41
	s_and_not1_saveexec_b32 s18, s18
	s_cbranch_execnz .LBB73_25
	s_branch .LBB73_26
.LBB73_484:                             ;   in Loop: Header=BB73_3 Depth=1
	s_or_b32 exec_lo, exec_lo, s65
	s_delay_alu instid0(SALU_CYCLE_1)
	s_and_b32 vcc_lo, exec_lo, s64
	s_cbranch_vccnz .LBB73_458
.LBB73_485:                             ;   in Loop: Header=BB73_3 Depth=1
	s_delay_alu instid0(VALU_DEP_1) | instskip(NEXT) | instid1(VALU_DEP_3)
	v_mov_b64_e32 v[20:21], v[4:5]
	v_mov_b64_e32 v[18:19], v[40:41]
	s_and_saveexec_b32 s18, s36
	s_cbranch_execnz .LBB73_471
	s_branch .LBB73_472
.LBB73_486:                             ;   in Loop: Header=BB73_3 Depth=1
	s_and_not1_b32 s19, s36, exec_lo
	s_and_b32 s20, s4, exec_lo
	s_delay_alu instid0(SALU_CYCLE_1)
	s_or_b32 s36, s19, s20
	s_cbranch_execnz .LBB73_470
.LBB73_487:                             ;   in Loop: Header=BB73_3 Depth=1
	v_readlane_b32 s19, v74, 19
	s_and_not1_b32 s18, s36, exec_lo
	s_and_b32 s19, s19, exec_lo
	s_delay_alu instid0(SALU_CYCLE_1) | instskip(NEXT) | instid1(SALU_CYCLE_1)
	s_or_b32 s36, s18, s19
	s_and_saveexec_b32 s18, s36
	s_cbranch_execnz .LBB73_471
	s_branch .LBB73_472
.LBB73_488:                             ;   in Loop: Header=BB73_3 Depth=1
	ds_load_b128 v[40:43], v49 offset:16336
	ds_load_b128 v[68:71], v46 offset:15232
	s_wait_dscnt 0x0
	v_mul_f64_e32 v[4:5], v[42:43], v[70:71]
	v_mul_f64_e32 v[70:71], v[40:41], v[70:71]
	s_delay_alu instid0(VALU_DEP_2) | instskip(NEXT) | instid1(VALU_DEP_2)
	v_fma_f64 v[4:5], v[40:41], v[68:69], -v[4:5]
	v_fmac_f64_e32 v[70:71], v[42:43], v[68:69]
	s_delay_alu instid0(VALU_DEP_2) | instskip(NEXT) | instid1(VALU_DEP_2)
	v_add_f64_e32 v[18:19], v[18:19], v[4:5]
	v_add_f64_e32 v[20:21], v[20:21], v[70:71]
	s_or_b32 exec_lo, exec_lo, s18
	s_and_saveexec_b32 s18, s11
	s_cbranch_execz .LBB73_47
.LBB73_489:                             ;   in Loop: Header=BB73_3 Depth=1
	ds_load_b128 v[40:43], v49 offset:16352
	ds_load_b128 v[68:71], v46 offset:15744
	s_wait_dscnt 0x0
	v_mul_f64_e32 v[4:5], v[42:43], v[70:71]
	v_mul_f64_e32 v[70:71], v[40:41], v[70:71]
	s_delay_alu instid0(VALU_DEP_2) | instskip(NEXT) | instid1(VALU_DEP_2)
	v_fma_f64 v[4:5], v[40:41], v[68:69], -v[4:5]
	v_fmac_f64_e32 v[70:71], v[42:43], v[68:69]
	s_delay_alu instid0(VALU_DEP_2) | instskip(NEXT) | instid1(VALU_DEP_2)
	v_add_f64_e32 v[18:19], v[18:19], v[4:5]
	v_add_f64_e32 v[20:21], v[20:21], v[70:71]
	s_or_b32 exec_lo, exec_lo, s18
	s_and_saveexec_b32 s18, s0
	s_cbranch_execnz .LBB73_48
	s_branch .LBB73_49
.LBB73_490:                             ;   in Loop: Header=BB73_3 Depth=1
	ds_load_b128 v[40:43], v54 offset:16272
	ds_load_b128 v[68:71], v52 offset:13056
	s_wait_dscnt 0x0
	v_mul_f64_e32 v[4:5], v[42:43], v[70:71]
	v_mul_f64_e32 v[70:71], v[40:41], v[70:71]
	s_delay_alu instid0(VALU_DEP_2) | instskip(NEXT) | instid1(VALU_DEP_2)
	v_fma_f64 v[4:5], v[40:41], v[68:69], -v[4:5]
	v_fmac_f64_e32 v[70:71], v[42:43], v[68:69]
	s_delay_alu instid0(VALU_DEP_2) | instskip(NEXT) | instid1(VALU_DEP_2)
	v_add_f64_e32 v[18:19], v[18:19], v[4:5]
	v_add_f64_e32 v[20:21], v[20:21], v[70:71]
	s_or_b32 exec_lo, exec_lo, s18
	s_and_saveexec_b32 s18, s13
	s_cbranch_execz .LBB73_85
.LBB73_491:                             ;   in Loop: Header=BB73_3 Depth=1
	ds_load_b128 v[40:43], v54 offset:16288
	ds_load_b128 v[68:71], v52 offset:13568
	s_wait_dscnt 0x0
	v_mul_f64_e32 v[4:5], v[42:43], v[70:71]
	v_mul_f64_e32 v[70:71], v[40:41], v[70:71]
	s_delay_alu instid0(VALU_DEP_2) | instskip(NEXT) | instid1(VALU_DEP_2)
	v_fma_f64 v[4:5], v[40:41], v[68:69], -v[4:5]
	v_fmac_f64_e32 v[70:71], v[42:43], v[68:69]
	s_delay_alu instid0(VALU_DEP_2) | instskip(NEXT) | instid1(VALU_DEP_2)
	v_add_f64_e32 v[18:19], v[18:19], v[4:5]
	v_add_f64_e32 v[20:21], v[20:21], v[70:71]
	s_or_b32 exec_lo, exec_lo, s18
	s_and_saveexec_b32 s18, s14
	s_cbranch_execz .LBB73_86
.LBB73_492:                             ;   in Loop: Header=BB73_3 Depth=1
	ds_load_b128 v[40:43], v54 offset:16304
	ds_load_b128 v[68:71], v52 offset:14080
	s_wait_dscnt 0x0
	v_mul_f64_e32 v[4:5], v[42:43], v[70:71]
	v_mul_f64_e32 v[70:71], v[40:41], v[70:71]
	s_delay_alu instid0(VALU_DEP_2) | instskip(NEXT) | instid1(VALU_DEP_2)
	v_fma_f64 v[4:5], v[40:41], v[68:69], -v[4:5]
	v_fmac_f64_e32 v[70:71], v[42:43], v[68:69]
	s_delay_alu instid0(VALU_DEP_2) | instskip(NEXT) | instid1(VALU_DEP_2)
	v_add_f64_e32 v[18:19], v[18:19], v[4:5]
	v_add_f64_e32 v[20:21], v[20:21], v[70:71]
	s_or_b32 exec_lo, exec_lo, s18
	s_and_saveexec_b32 s18, s15
	s_cbranch_execz .LBB73_87
.LBB73_493:                             ;   in Loop: Header=BB73_3 Depth=1
	ds_load_b128 v[40:43], v54 offset:16320
	ds_load_b128 v[68:71], v52 offset:14592
	s_wait_dscnt 0x0
	v_mul_f64_e32 v[4:5], v[42:43], v[70:71]
	v_mul_f64_e32 v[70:71], v[40:41], v[70:71]
	s_delay_alu instid0(VALU_DEP_2) | instskip(NEXT) | instid1(VALU_DEP_2)
	v_fma_f64 v[4:5], v[40:41], v[68:69], -v[4:5]
	v_fmac_f64_e32 v[70:71], v[42:43], v[68:69]
	s_delay_alu instid0(VALU_DEP_2) | instskip(NEXT) | instid1(VALU_DEP_2)
	v_add_f64_e32 v[18:19], v[18:19], v[4:5]
	v_add_f64_e32 v[20:21], v[20:21], v[70:71]
	s_or_b32 exec_lo, exec_lo, s18
	s_and_saveexec_b32 s18, s16
	s_cbranch_execz .LBB73_88
.LBB73_494:                             ;   in Loop: Header=BB73_3 Depth=1
	ds_load_b128 v[40:43], v54 offset:16336
	ds_load_b128 v[68:71], v52 offset:15104
	s_wait_dscnt 0x0
	v_mul_f64_e32 v[4:5], v[42:43], v[70:71]
	v_mul_f64_e32 v[70:71], v[40:41], v[70:71]
	s_delay_alu instid0(VALU_DEP_2) | instskip(NEXT) | instid1(VALU_DEP_2)
	v_fma_f64 v[4:5], v[40:41], v[68:69], -v[4:5]
	v_fmac_f64_e32 v[70:71], v[42:43], v[68:69]
	s_delay_alu instid0(VALU_DEP_2) | instskip(NEXT) | instid1(VALU_DEP_2)
	v_add_f64_e32 v[18:19], v[18:19], v[4:5]
	v_add_f64_e32 v[20:21], v[20:21], v[70:71]
	s_or_b32 exec_lo, exec_lo, s18
	s_and_saveexec_b32 s18, s1
	s_cbranch_execz .LBB73_89
.LBB73_495:                             ;   in Loop: Header=BB73_3 Depth=1
	ds_load_b128 v[40:43], v54 offset:16352
	ds_load_b128 v[68:71], v52 offset:15616
	s_wait_dscnt 0x0
	v_mul_f64_e32 v[4:5], v[42:43], v[70:71]
	v_mul_f64_e32 v[70:71], v[40:41], v[70:71]
	s_delay_alu instid0(VALU_DEP_2) | instskip(NEXT) | instid1(VALU_DEP_2)
	v_fma_f64 v[4:5], v[40:41], v[68:69], -v[4:5]
	v_fmac_f64_e32 v[70:71], v[42:43], v[68:69]
	s_delay_alu instid0(VALU_DEP_2) | instskip(NEXT) | instid1(VALU_DEP_2)
	v_add_f64_e32 v[18:19], v[18:19], v[4:5]
	v_add_f64_e32 v[20:21], v[20:21], v[70:71]
	s_or_b32 exec_lo, exec_lo, s18
	s_and_saveexec_b32 s18, s11
	s_cbranch_execnz .LBB73_90
	s_branch .LBB73_91
.LBB73_496:                             ;   in Loop: Header=BB73_3 Depth=1
	ds_load_b128 v[40:43], v49 offset:12112
	ds_load_b128 v[68:71], v46 offset:11008
	s_wait_dscnt 0x0
	v_mul_f64_e32 v[4:5], v[42:43], v[70:71]
	v_mul_f64_e32 v[70:71], v[40:41], v[70:71]
	s_delay_alu instid0(VALU_DEP_2) | instskip(NEXT) | instid1(VALU_DEP_2)
	v_fma_f64 v[4:5], v[40:41], v[68:69], -v[4:5]
	v_fmac_f64_e32 v[70:71], v[42:43], v[68:69]
	s_delay_alu instid0(VALU_DEP_2) | instskip(NEXT) | instid1(VALU_DEP_2)
	v_add_f64_e32 v[18:19], v[18:19], v[4:5]
	v_add_f64_e32 v[20:21], v[20:21], v[70:71]
	s_or_b32 exec_lo, exec_lo, s18
	s_and_saveexec_b32 s18, s11
	s_cbranch_execz .LBB73_143
.LBB73_497:                             ;   in Loop: Header=BB73_3 Depth=1
	ds_load_b128 v[40:43], v49 offset:12128
	ds_load_b128 v[68:71], v46 offset:11520
	s_wait_dscnt 0x0
	v_mul_f64_e32 v[4:5], v[42:43], v[70:71]
	v_mul_f64_e32 v[70:71], v[40:41], v[70:71]
	s_delay_alu instid0(VALU_DEP_2) | instskip(NEXT) | instid1(VALU_DEP_2)
	v_fma_f64 v[4:5], v[40:41], v[68:69], -v[4:5]
	v_fmac_f64_e32 v[70:71], v[42:43], v[68:69]
	s_delay_alu instid0(VALU_DEP_2) | instskip(NEXT) | instid1(VALU_DEP_2)
	v_add_f64_e32 v[18:19], v[18:19], v[4:5]
	v_add_f64_e32 v[20:21], v[20:21], v[70:71]
	s_or_b32 exec_lo, exec_lo, s18
	s_and_saveexec_b32 s18, s0
	s_cbranch_execnz .LBB73_144
	s_branch .LBB73_145
.LBB73_498:                             ;   in Loop: Header=BB73_3 Depth=1
	ds_load_b128 v[40:43], v57 offset:16304
	ds_load_b128 v[68:71], v53 offset:13824
	s_wait_dscnt 0x0
	v_mul_f64_e32 v[4:5], v[42:43], v[70:71]
	v_mul_f64_e32 v[70:71], v[40:41], v[70:71]
	s_delay_alu instid0(VALU_DEP_2) | instskip(NEXT) | instid1(VALU_DEP_2)
	v_fma_f64 v[4:5], v[40:41], v[68:69], -v[4:5]
	v_fmac_f64_e32 v[70:71], v[42:43], v[68:69]
	s_delay_alu instid0(VALU_DEP_2) | instskip(NEXT) | instid1(VALU_DEP_2)
	v_add_f64_e32 v[18:19], v[18:19], v[4:5]
	v_add_f64_e32 v[20:21], v[20:21], v[70:71]
	s_or_b32 exec_lo, exec_lo, s18
	s_and_saveexec_b32 s18, s2
	s_cbranch_execz .LBB73_201
.LBB73_499:                             ;   in Loop: Header=BB73_3 Depth=1
	ds_load_b128 v[40:43], v57 offset:16320
	ds_load_b128 v[68:71], v53 offset:14336
	s_wait_dscnt 0x0
	v_mul_f64_e32 v[4:5], v[42:43], v[70:71]
	v_mul_f64_e32 v[70:71], v[40:41], v[70:71]
	s_delay_alu instid0(VALU_DEP_2) | instskip(NEXT) | instid1(VALU_DEP_2)
	v_fma_f64 v[4:5], v[40:41], v[68:69], -v[4:5]
	v_fmac_f64_e32 v[70:71], v[42:43], v[68:69]
	s_delay_alu instid0(VALU_DEP_2) | instskip(NEXT) | instid1(VALU_DEP_2)
	v_add_f64_e32 v[18:19], v[18:19], v[4:5]
	v_add_f64_e32 v[20:21], v[20:21], v[70:71]
	s_or_b32 exec_lo, exec_lo, s18
	s_and_saveexec_b32 s18, s13
	s_cbranch_execz .LBB73_202
.LBB73_500:                             ;   in Loop: Header=BB73_3 Depth=1
	ds_load_b128 v[40:43], v57 offset:16336
	ds_load_b128 v[68:71], v53 offset:14848
	s_wait_dscnt 0x0
	v_mul_f64_e32 v[4:5], v[42:43], v[70:71]
	v_mul_f64_e32 v[70:71], v[40:41], v[70:71]
	s_delay_alu instid0(VALU_DEP_2) | instskip(NEXT) | instid1(VALU_DEP_2)
	v_fma_f64 v[4:5], v[40:41], v[68:69], -v[4:5]
	v_fmac_f64_e32 v[70:71], v[42:43], v[68:69]
	s_delay_alu instid0(VALU_DEP_2) | instskip(NEXT) | instid1(VALU_DEP_2)
	v_add_f64_e32 v[18:19], v[18:19], v[4:5]
	v_add_f64_e32 v[20:21], v[20:21], v[70:71]
	s_or_b32 exec_lo, exec_lo, s18
	s_and_saveexec_b32 s18, s15
	s_cbranch_execz .LBB73_203
.LBB73_501:                             ;   in Loop: Header=BB73_3 Depth=1
	ds_load_b128 v[40:43], v57 offset:16352
	ds_load_b128 v[68:71], v53 offset:15360
	s_wait_dscnt 0x0
	v_mul_f64_e32 v[4:5], v[42:43], v[70:71]
	v_mul_f64_e32 v[70:71], v[40:41], v[70:71]
	s_delay_alu instid0(VALU_DEP_2) | instskip(NEXT) | instid1(VALU_DEP_2)
	v_fma_f64 v[4:5], v[40:41], v[68:69], -v[4:5]
	v_fmac_f64_e32 v[70:71], v[42:43], v[68:69]
	s_delay_alu instid0(VALU_DEP_2) | instskip(NEXT) | instid1(VALU_DEP_2)
	v_add_f64_e32 v[18:19], v[18:19], v[4:5]
	v_add_f64_e32 v[20:21], v[20:21], v[70:71]
	s_or_b32 exec_lo, exec_lo, s18
	s_and_saveexec_b32 s18, s1
	s_cbranch_execnz .LBB73_204
	s_branch .LBB73_205
.LBB73_502:                             ;   in Loop: Header=BB73_3 Depth=1
	ds_load_b128 v[40:43], v49 offset:7888
	ds_load_b128 v[68:71], v46 offset:6784
	s_wait_dscnt 0x0
	v_mul_f64_e32 v[4:5], v[42:43], v[70:71]
	v_mul_f64_e32 v[70:71], v[40:41], v[70:71]
	s_delay_alu instid0(VALU_DEP_2) | instskip(NEXT) | instid1(VALU_DEP_2)
	v_fma_f64 v[4:5], v[40:41], v[68:69], -v[4:5]
	v_fmac_f64_e32 v[70:71], v[42:43], v[68:69]
	s_delay_alu instid0(VALU_DEP_2) | instskip(NEXT) | instid1(VALU_DEP_2)
	v_add_f64_e32 v[18:19], v[18:19], v[4:5]
	v_add_f64_e32 v[20:21], v[20:21], v[70:71]
	s_or_b32 exec_lo, exec_lo, s18
	s_and_saveexec_b32 s18, s11
	s_cbranch_execz .LBB73_289
.LBB73_503:                             ;   in Loop: Header=BB73_3 Depth=1
	ds_load_b128 v[40:43], v49 offset:7904
	ds_load_b128 v[68:71], v46 offset:7296
	s_wait_dscnt 0x0
	v_mul_f64_e32 v[4:5], v[42:43], v[70:71]
	v_mul_f64_e32 v[70:71], v[40:41], v[70:71]
	s_delay_alu instid0(VALU_DEP_2) | instskip(NEXT) | instid1(VALU_DEP_2)
	v_fma_f64 v[4:5], v[40:41], v[68:69], -v[4:5]
	v_fmac_f64_e32 v[70:71], v[42:43], v[68:69]
	s_delay_alu instid0(VALU_DEP_2) | instskip(NEXT) | instid1(VALU_DEP_2)
	v_add_f64_e32 v[18:19], v[18:19], v[4:5]
	v_add_f64_e32 v[20:21], v[20:21], v[70:71]
	s_or_b32 exec_lo, exec_lo, s18
	s_and_saveexec_b32 s18, s0
	s_cbranch_execnz .LBB73_290
	s_branch .LBB73_291
.LBB73_504:                             ;   in Loop: Header=BB73_3 Depth=1
	ds_load_b128 v[40:43], v54 offset:7824
	ds_load_b128 v[68:71], v52 offset:4608
	s_wait_dscnt 0x0
	v_mul_f64_e32 v[4:5], v[42:43], v[70:71]
	v_mul_f64_e32 v[70:71], v[40:41], v[70:71]
	s_delay_alu instid0(VALU_DEP_2) | instskip(NEXT) | instid1(VALU_DEP_2)
	v_fma_f64 v[4:5], v[40:41], v[68:69], -v[4:5]
	v_fmac_f64_e32 v[70:71], v[42:43], v[68:69]
	s_delay_alu instid0(VALU_DEP_2) | instskip(NEXT) | instid1(VALU_DEP_2)
	v_add_f64_e32 v[18:19], v[18:19], v[4:5]
	v_add_f64_e32 v[20:21], v[20:21], v[70:71]
	s_or_b32 exec_lo, exec_lo, s18
	s_and_saveexec_b32 s18, s13
	s_cbranch_execz .LBB73_327
.LBB73_505:                             ;   in Loop: Header=BB73_3 Depth=1
	ds_load_b128 v[40:43], v54 offset:7840
	ds_load_b128 v[68:71], v52 offset:5120
	s_wait_dscnt 0x0
	v_mul_f64_e32 v[4:5], v[42:43], v[70:71]
	v_mul_f64_e32 v[70:71], v[40:41], v[70:71]
	s_delay_alu instid0(VALU_DEP_2) | instskip(NEXT) | instid1(VALU_DEP_2)
	v_fma_f64 v[4:5], v[40:41], v[68:69], -v[4:5]
	v_fmac_f64_e32 v[70:71], v[42:43], v[68:69]
	s_delay_alu instid0(VALU_DEP_2) | instskip(NEXT) | instid1(VALU_DEP_2)
	v_add_f64_e32 v[18:19], v[18:19], v[4:5]
	v_add_f64_e32 v[20:21], v[20:21], v[70:71]
	s_or_b32 exec_lo, exec_lo, s18
	s_and_saveexec_b32 s18, s14
	s_cbranch_execz .LBB73_328
.LBB73_506:                             ;   in Loop: Header=BB73_3 Depth=1
	ds_load_b128 v[40:43], v54 offset:7856
	ds_load_b128 v[68:71], v52 offset:5632
	s_wait_dscnt 0x0
	v_mul_f64_e32 v[4:5], v[42:43], v[70:71]
	v_mul_f64_e32 v[70:71], v[40:41], v[70:71]
	s_delay_alu instid0(VALU_DEP_2) | instskip(NEXT) | instid1(VALU_DEP_2)
	v_fma_f64 v[4:5], v[40:41], v[68:69], -v[4:5]
	v_fmac_f64_e32 v[70:71], v[42:43], v[68:69]
	s_delay_alu instid0(VALU_DEP_2) | instskip(NEXT) | instid1(VALU_DEP_2)
	v_add_f64_e32 v[18:19], v[18:19], v[4:5]
	v_add_f64_e32 v[20:21], v[20:21], v[70:71]
	s_or_b32 exec_lo, exec_lo, s18
	s_and_saveexec_b32 s18, s15
	s_cbranch_execz .LBB73_329
.LBB73_507:                             ;   in Loop: Header=BB73_3 Depth=1
	ds_load_b128 v[40:43], v54 offset:7872
	ds_load_b128 v[68:71], v52 offset:6144
	s_wait_dscnt 0x0
	v_mul_f64_e32 v[4:5], v[42:43], v[70:71]
	v_mul_f64_e32 v[70:71], v[40:41], v[70:71]
	s_delay_alu instid0(VALU_DEP_2) | instskip(NEXT) | instid1(VALU_DEP_2)
	v_fma_f64 v[4:5], v[40:41], v[68:69], -v[4:5]
	v_fmac_f64_e32 v[70:71], v[42:43], v[68:69]
	s_delay_alu instid0(VALU_DEP_2) | instskip(NEXT) | instid1(VALU_DEP_2)
	v_add_f64_e32 v[18:19], v[18:19], v[4:5]
	v_add_f64_e32 v[20:21], v[20:21], v[70:71]
	s_or_b32 exec_lo, exec_lo, s18
	s_and_saveexec_b32 s18, s16
	s_cbranch_execz .LBB73_330
.LBB73_508:                             ;   in Loop: Header=BB73_3 Depth=1
	ds_load_b128 v[40:43], v54 offset:7888
	ds_load_b128 v[68:71], v52 offset:6656
	s_wait_dscnt 0x0
	v_mul_f64_e32 v[4:5], v[42:43], v[70:71]
	v_mul_f64_e32 v[70:71], v[40:41], v[70:71]
	s_delay_alu instid0(VALU_DEP_2) | instskip(NEXT) | instid1(VALU_DEP_2)
	v_fma_f64 v[4:5], v[40:41], v[68:69], -v[4:5]
	v_fmac_f64_e32 v[70:71], v[42:43], v[68:69]
	s_delay_alu instid0(VALU_DEP_2) | instskip(NEXT) | instid1(VALU_DEP_2)
	v_add_f64_e32 v[18:19], v[18:19], v[4:5]
	v_add_f64_e32 v[20:21], v[20:21], v[70:71]
	s_or_b32 exec_lo, exec_lo, s18
	s_and_saveexec_b32 s18, s1
	s_cbranch_execz .LBB73_331
.LBB73_509:                             ;   in Loop: Header=BB73_3 Depth=1
	ds_load_b128 v[40:43], v54 offset:7904
	ds_load_b128 v[68:71], v52 offset:7168
	s_wait_dscnt 0x0
	v_mul_f64_e32 v[4:5], v[42:43], v[70:71]
	v_mul_f64_e32 v[70:71], v[40:41], v[70:71]
	s_delay_alu instid0(VALU_DEP_2) | instskip(NEXT) | instid1(VALU_DEP_2)
	v_fma_f64 v[4:5], v[40:41], v[68:69], -v[4:5]
	v_fmac_f64_e32 v[70:71], v[42:43], v[68:69]
	s_delay_alu instid0(VALU_DEP_2) | instskip(NEXT) | instid1(VALU_DEP_2)
	v_add_f64_e32 v[18:19], v[18:19], v[4:5]
	v_add_f64_e32 v[20:21], v[20:21], v[70:71]
	s_or_b32 exec_lo, exec_lo, s18
	s_and_saveexec_b32 s18, s11
	s_cbranch_execnz .LBB73_332
	s_branch .LBB73_333
.LBB73_510:                             ;   in Loop: Header=BB73_3 Depth=1
	ds_load_b128 v[40:43], v49 offset:3664
	ds_load_b128 v[68:71], v46 offset:2560
	s_wait_dscnt 0x0
	v_mul_f64_e32 v[4:5], v[42:43], v[70:71]
	v_mul_f64_e32 v[70:71], v[40:41], v[70:71]
	s_delay_alu instid0(VALU_DEP_2) | instskip(NEXT) | instid1(VALU_DEP_2)
	v_fma_f64 v[4:5], v[40:41], v[68:69], -v[4:5]
	v_fmac_f64_e32 v[70:71], v[42:43], v[68:69]
	s_delay_alu instid0(VALU_DEP_2) | instskip(NEXT) | instid1(VALU_DEP_2)
	v_add_f64_e32 v[18:19], v[18:19], v[4:5]
	v_add_f64_e32 v[20:21], v[20:21], v[70:71]
	s_or_b32 exec_lo, exec_lo, s18
	s_and_saveexec_b32 s18, s11
	s_cbranch_execz .LBB73_385
.LBB73_511:                             ;   in Loop: Header=BB73_3 Depth=1
	ds_load_b128 v[40:43], v49 offset:3680
	ds_load_b128 v[68:71], v46 offset:3072
	s_wait_dscnt 0x0
	v_mul_f64_e32 v[4:5], v[42:43], v[70:71]
	v_mul_f64_e32 v[70:71], v[40:41], v[70:71]
	s_delay_alu instid0(VALU_DEP_2) | instskip(NEXT) | instid1(VALU_DEP_2)
	v_fma_f64 v[4:5], v[40:41], v[68:69], -v[4:5]
	v_fmac_f64_e32 v[70:71], v[42:43], v[68:69]
	s_delay_alu instid0(VALU_DEP_2) | instskip(NEXT) | instid1(VALU_DEP_2)
	v_add_f64_e32 v[18:19], v[18:19], v[4:5]
	v_add_f64_e32 v[20:21], v[20:21], v[70:71]
	s_or_b32 exec_lo, exec_lo, s18
	s_and_saveexec_b32 s18, s0
	s_cbranch_execnz .LBB73_386
	s_branch .LBB73_387
.LBB73_512:
	s_endpgm
	.section	.rodata,"a",@progbits
	.p2align	6, 0x0
	.amdhsa_kernel _ZL19rocblas_trsv_deviceILi32ELi16ELb0ELb0ELb0ELb1E19rocblas_complex_numIdEPKS1_S3_PS1_EviT7_lllT6_T8_lllPii
		.amdhsa_group_segment_fixed_size 25104
		.amdhsa_private_segment_fixed_size 0
		.amdhsa_kernarg_size 352
		.amdhsa_user_sgpr_count 2
		.amdhsa_user_sgpr_dispatch_ptr 0
		.amdhsa_user_sgpr_queue_ptr 0
		.amdhsa_user_sgpr_kernarg_segment_ptr 1
		.amdhsa_user_sgpr_dispatch_id 0
		.amdhsa_user_sgpr_kernarg_preload_length 0
		.amdhsa_user_sgpr_kernarg_preload_offset 0
		.amdhsa_user_sgpr_private_segment_size 0
		.amdhsa_wavefront_size32 1
		.amdhsa_uses_dynamic_stack 0
		.amdhsa_enable_private_segment 0
		.amdhsa_system_sgpr_workgroup_id_x 1
		.amdhsa_system_sgpr_workgroup_id_y 0
		.amdhsa_system_sgpr_workgroup_id_z 1
		.amdhsa_system_sgpr_workgroup_info 0
		.amdhsa_system_vgpr_workitem_id 1
		.amdhsa_next_free_vgpr 75
		.amdhsa_next_free_sgpr 105
		.amdhsa_named_barrier_count 0
		.amdhsa_reserve_vcc 1
		.amdhsa_float_round_mode_32 0
		.amdhsa_float_round_mode_16_64 0
		.amdhsa_float_denorm_mode_32 3
		.amdhsa_float_denorm_mode_16_64 3
		.amdhsa_fp16_overflow 0
		.amdhsa_memory_ordered 1
		.amdhsa_forward_progress 1
		.amdhsa_inst_pref_size 163
		.amdhsa_round_robin_scheduling 0
		.amdhsa_exception_fp_ieee_invalid_op 0
		.amdhsa_exception_fp_denorm_src 0
		.amdhsa_exception_fp_ieee_div_zero 0
		.amdhsa_exception_fp_ieee_overflow 0
		.amdhsa_exception_fp_ieee_underflow 0
		.amdhsa_exception_fp_ieee_inexact 0
		.amdhsa_exception_int_div_zero 0
	.end_amdhsa_kernel
	.section	.text._ZL19rocblas_trsv_deviceILi32ELi16ELb0ELb0ELb0ELb1E19rocblas_complex_numIdEPKS1_S3_PS1_EviT7_lllT6_T8_lllPii,"axG",@progbits,_ZL19rocblas_trsv_deviceILi32ELi16ELb0ELb0ELb0ELb1E19rocblas_complex_numIdEPKS1_S3_PS1_EviT7_lllT6_T8_lllPii,comdat
.Lfunc_end73:
	.size	_ZL19rocblas_trsv_deviceILi32ELi16ELb0ELb0ELb0ELb1E19rocblas_complex_numIdEPKS1_S3_PS1_EviT7_lllT6_T8_lllPii, .Lfunc_end73-_ZL19rocblas_trsv_deviceILi32ELi16ELb0ELb0ELb0ELb1E19rocblas_complex_numIdEPKS1_S3_PS1_EviT7_lllT6_T8_lllPii
                                        ; -- End function
	.set _ZL19rocblas_trsv_deviceILi32ELi16ELb0ELb0ELb0ELb1E19rocblas_complex_numIdEPKS1_S3_PS1_EviT7_lllT6_T8_lllPii.num_vgpr, 75
	.set _ZL19rocblas_trsv_deviceILi32ELi16ELb0ELb0ELb0ELb1E19rocblas_complex_numIdEPKS1_S3_PS1_EviT7_lllT6_T8_lllPii.num_agpr, 0
	.set _ZL19rocblas_trsv_deviceILi32ELi16ELb0ELb0ELb0ELb1E19rocblas_complex_numIdEPKS1_S3_PS1_EviT7_lllT6_T8_lllPii.numbered_sgpr, 105
	.set _ZL19rocblas_trsv_deviceILi32ELi16ELb0ELb0ELb0ELb1E19rocblas_complex_numIdEPKS1_S3_PS1_EviT7_lllT6_T8_lllPii.num_named_barrier, 0
	.set _ZL19rocblas_trsv_deviceILi32ELi16ELb0ELb0ELb0ELb1E19rocblas_complex_numIdEPKS1_S3_PS1_EviT7_lllT6_T8_lllPii.private_seg_size, 0
	.set _ZL19rocblas_trsv_deviceILi32ELi16ELb0ELb0ELb0ELb1E19rocblas_complex_numIdEPKS1_S3_PS1_EviT7_lllT6_T8_lllPii.uses_vcc, 1
	.set _ZL19rocblas_trsv_deviceILi32ELi16ELb0ELb0ELb0ELb1E19rocblas_complex_numIdEPKS1_S3_PS1_EviT7_lllT6_T8_lllPii.uses_flat_scratch, 0
	.set _ZL19rocblas_trsv_deviceILi32ELi16ELb0ELb0ELb0ELb1E19rocblas_complex_numIdEPKS1_S3_PS1_EviT7_lllT6_T8_lllPii.has_dyn_sized_stack, 0
	.set _ZL19rocblas_trsv_deviceILi32ELi16ELb0ELb0ELb0ELb1E19rocblas_complex_numIdEPKS1_S3_PS1_EviT7_lllT6_T8_lllPii.has_recursion, 0
	.set _ZL19rocblas_trsv_deviceILi32ELi16ELb0ELb0ELb0ELb1E19rocblas_complex_numIdEPKS1_S3_PS1_EviT7_lllT6_T8_lllPii.has_indirect_call, 0
	.section	.AMDGPU.csdata,"",@progbits
; Kernel info:
; codeLenInByte = 20840
; TotalNumSgprs: 107
; NumVgprs: 75
; ScratchSize: 0
; MemoryBound: 1
; FloatMode: 240
; IeeeMode: 1
; LDSByteSize: 25104 bytes/workgroup (compile time only)
; SGPRBlocks: 0
; VGPRBlocks: 4
; NumSGPRsForWavesPerEU: 107
; NumVGPRsForWavesPerEU: 75
; NamedBarCnt: 0
; Occupancy: 12
; WaveLimiterHint : 0
; COMPUTE_PGM_RSRC2:SCRATCH_EN: 0
; COMPUTE_PGM_RSRC2:USER_SGPR: 2
; COMPUTE_PGM_RSRC2:TRAP_HANDLER: 0
; COMPUTE_PGM_RSRC2:TGID_X_EN: 1
; COMPUTE_PGM_RSRC2:TGID_Y_EN: 0
; COMPUTE_PGM_RSRC2:TGID_Z_EN: 1
; COMPUTE_PGM_RSRC2:TIDIG_COMP_CNT: 1
	.section	.text._ZL19rocblas_trsv_deviceILi32ELi16ELb0ELb1ELb0ELb1E19rocblas_complex_numIdEPKS1_S3_PS1_EviT7_lllT6_T8_lllPii,"axG",@progbits,_ZL19rocblas_trsv_deviceILi32ELi16ELb0ELb1ELb0ELb1E19rocblas_complex_numIdEPKS1_S3_PS1_EviT7_lllT6_T8_lllPii,comdat
	.globl	_ZL19rocblas_trsv_deviceILi32ELi16ELb0ELb1ELb0ELb1E19rocblas_complex_numIdEPKS1_S3_PS1_EviT7_lllT6_T8_lllPii ; -- Begin function _ZL19rocblas_trsv_deviceILi32ELi16ELb0ELb1ELb0ELb1E19rocblas_complex_numIdEPKS1_S3_PS1_EviT7_lllT6_T8_lllPii
	.p2align	8
	.type	_ZL19rocblas_trsv_deviceILi32ELi16ELb0ELb1ELb0ELb1E19rocblas_complex_numIdEPKS1_S3_PS1_EviT7_lllT6_T8_lllPii,@function
_ZL19rocblas_trsv_deviceILi32ELi16ELb0ELb1ELb0ELb1E19rocblas_complex_numIdEPKS1_S3_PS1_EviT7_lllT6_T8_lllPii: ; @_ZL19rocblas_trsv_deviceILi32ELi16ELb0ELb1ELb0ELb1E19rocblas_complex_numIdEPKS1_S3_PS1_EviT7_lllT6_T8_lllPii
; %bb.0:
	s_load_b32 s58, s[0:1], 0x58
	s_bfe_u32 s2, ttmp6, 0x40014
	s_lshr_b32 s3, ttmp7, 16
	s_add_co_i32 s2, s2, 1
	s_bfe_u32 s5, ttmp6, 0x40008
	s_mul_i32 s4, s3, s2
	s_getreg_b32 s2, hwreg(HW_REG_IB_STS2, 6, 4)
	s_add_co_i32 s5, s5, s4
	s_cmp_eq_u32 s2, 0
	s_mov_b32 s35, 0
	s_cselect_b32 s34, s3, s5
	s_wait_kmcnt 0x0
	s_cmp_ge_u32 s34, s58
	s_cbranch_scc1 .LBB74_542
; %bb.1:
	s_clause 0x2
	s_load_b512 s[36:51], s[0:1], 0x8
	s_load_b32 s3, s[0:1], 0x6c
	s_load_b32 s59, s[0:1], 0x0
	s_bfe_u32 s5, ttmp6, 0x4000c
	s_and_b32 s4, ttmp6, 15
	s_add_co_i32 s5, s5, 1
	s_load_b128 s[52:55], s[0:1], 0x48
	s_wait_xcnt 0x0
	s_mul_i32 s0, ttmp9, s5
	v_and_b32_e32 v24, 0x3ff, v0
	s_add_co_i32 s4, s4, s0
	v_bfe_u32 v22, v0, 10, 10
	v_dual_mov_b32 v3, 0 :: v_dual_bitop2_b32 v14, 7, v0 bitop3:0x40
	v_lshrrev_b32_e32 v21, 10, v0
	s_delay_alu instid0(VALU_DEP_3) | instskip(NEXT) | instid1(VALU_DEP_3)
	v_dual_lshlrev_b32 v1, 5, v24 :: v_dual_add_nc_u32 v4, 16, v22
	v_mov_b32_e32 v27, v3
	v_lshl_add_u32 v12, v22, 5, v24
	v_cmp_gt_u32_e64 s6, 6, v14
                                        ; implicit-def: $vgpr208 : SGPR spill to VGPR lane
	v_cmp_gt_u32_e64 s7, 8, v24
	s_wait_kmcnt 0x0
	s_lshl_b64 s[12:13], s[38:39], 4
	s_lshl_b64 s[14:15], s[48:49], 4
	s_cmp_eq_u32 s2, 0
	v_lshl_add_u32 v7, v4, 5, v24
	s_cselect_b32 s60, ttmp9, s4
	s_add_co_i32 s1, s59, -1
	s_ashr_i32 s2, s59, 31
	s_and_b32 s0, s3, 0xffff
	s_ashr_i32 s3, s1, 31
	s_lshr_b32 s2, s2, 27
	s_lshr_b32 s3, s3, 27
	s_add_co_i32 s2, s59, s2
	s_add_co_i32 s1, s1, s3
	s_and_not1_b32 s2, s2, 31
	s_ashr_i32 s1, s1, 5
	s_sub_co_i32 s9, s59, s2
	s_cmp_eq_u32 s1, s60
	v_mad_u32_u24 v26, v22, s0, v24
	s_cselect_b32 s1, -1, 0
	s_cmp_lg_u32 s9, 0
	v_sub_co_u32 v25, s2, s60, 1
	s_cselect_b32 s0, -1, 0
	s_lshl_b32 s16, s60, 5
	s_and_b32 s27, s0, s1
	v_dual_add_nc_u32 v2, v22, v1 :: v_dual_add_nc_u32 v5, s16, v22
	s_xor_b32 s61, s2, -1
	s_xor_b32 s62, s27, -1
	s_cmp_lt_i32 s60, 5
	v_dual_add_nc_u32 v1, v4, v1 :: v_dual_add_nc_u32 v6, s16, v24
	s_cselect_b32 vcc_lo, -1, 0
	s_add_nc_u64 s[0:1], s[40:41], 1
	v_cndmask_b32_e32 v10, v12, v2, vcc_lo
	s_or_b32 vcc_lo, vcc_lo, s27
	s_ashr_i32 s17, s16, 31
	v_dual_cndmask_b32 v11, v7, v1, vcc_lo :: v_dual_bitop2_b32 v1, 1, v0 bitop3:0x40
	v_add_nc_u32_e32 v2, s16, v26
	s_xor_b32 s63, vcc_lo, -1
	s_mul_u64 s[10:11], s[0:1], s[16:17]
	v_cmp_gt_u32_e64 s0, 4, v12
	v_cmp_eq_u32_e32 vcc_lo, 1, v1
	v_dual_ashrrev_i32 v7, 31, v6 :: v_dual_bitop2_b32 v13, 3, v0 bitop3:0x40
	v_cmp_eq_u32_e64 s3, 0, v1
	v_cmp_gt_u32_e64 s2, 16, v12
	s_and_b32 s64, vcc_lo, s0
	v_cmp_eq_u32_e32 vcc_lo, 3, v13
	v_cmp_eq_u32_e64 s1, 0, v22
	v_cmp_gt_u32_e64 s4, 2, v24
	s_and_b32 s65, s3, s0
	v_cmp_ne_u32_e64 s3, 3, v13
	s_and_b32 s67, vcc_lo, s2
	v_cmp_gt_u32_e32 vcc_lo, 2, v13
	s_and_b32 s66, s1, s4
	v_cmp_eq_u32_e64 s4, 2, v13
	s_and_b32 s68, s3, s2
	v_cmp_eq_u32_e64 s3, 0, v13
	s_and_b32 s70, vcc_lo, s2
	v_cmp_gt_u32_e32 vcc_lo, 4, v24
	s_and_b32 s69, s4, s2
	v_cmp_eq_u32_e64 s4, 7, v14
	s_and_b32 s72, s3, s2
	v_cmp_gt_u32_e64 s3, 64, v12
	s_and_b32 s73, s1, vcc_lo
	v_cmp_ne_u32_e32 vcc_lo, 7, v14
	v_cmp_eq_u32_e64 s5, 1, v13
	v_dual_lshrrev_b32 v16, 1, v12 :: v_dual_lshrrev_b32 v18, 2, v12
	s_and_b32 s74, s4, s3
	v_cmp_eq_u32_e64 s4, 5, v14
	s_and_b32 s75, vcc_lo, s3
	v_cmp_gt_u32_e32 vcc_lo, 5, v14
	s_and_b32 s71, s5, s2
	v_cmp_eq_u32_e64 s5, 6, v14
	s_and_b32 s78, s4, s3
	v_cmp_eq_u32_e64 s4, 4, v14
	s_and_b32 s79, vcc_lo, s3
	v_cmp_gt_u32_e32 vcc_lo, 3, v14
	v_add_nc_u64_e32 v[8:9], s[16:17], v[26:27]
	v_dual_lshlrev_b32 v27, 4, v24 :: v_dual_lshlrev_b32 v23, 9, v18
	v_lshrrev_b32_e32 v19, 3, v12
	s_and_b32 s76, s5, s3
	s_and_b32 s77, s6, s3
	v_cmp_gt_u32_e64 s5, 4, v14
	v_cmp_eq_u32_e64 s6, 3, v14
	s_and_b32 s80, s4, s3
	v_cmp_eq_u32_e64 s4, 2, v14
	s_and_b32 s83, vcc_lo, s3
	v_cmp_gt_u32_e32 vcc_lo, 2, v14
	v_dual_sub_nc_u32 v48, 0, v23 :: v_dual_lshlrev_b32 v17, 9, v16
	v_dual_lshlrev_b32 v34, 9, v19 :: v_dual_bitop2_b32 v15, 15, v0 bitop3:0x40
	s_and_b32 s81, s5, s3
	s_and_b32 s82, s6, s3
	v_cmp_eq_u32_e64 s5, 1, v14
	v_cmp_eq_u32_e64 s6, 0, v14
	s_and_b32 s84, s4, s3
	s_and_b32 s85, vcc_lo, s3
	v_cmp_gt_u32_e64 s4, 0x100, v12
	v_sub_nc_u32_e32 v44, 0, v17
	v_cmp_eq_u32_e32 vcc_lo, 15, v15
	s_and_b32 s86, s5, s3
	s_and_b32 s87, s6, s3
	v_cmp_ne_u32_e64 s5, 15, v15
	s_and_b32 s88, s1, s7
	s_and_b32 s6, vcc_lo, s4
	v_cmp_eq_u32_e32 vcc_lo, 14, v15
	v_writelane_b32 v208, s6, 0
	s_and_b32 s5, s5, s4
	v_cmp_gt_u32_e64 s6, 14, v15
	v_cmp_eq_u32_e64 s7, 13, v15
	s_and_b32 s8, vcc_lo, s4
	v_writelane_b32 v208, s5, 1
	v_cmp_gt_u32_e64 s5, 13, v15
	s_and_b32 s6, s6, s4
	v_cmp_eq_u32_e32 vcc_lo, 12, v15
	v_mad_u32_u24 v20, 0x1f0, v24, v27
	v_writelane_b32 v208, s8, 2
	s_and_b32 s5, s5, s4
	v_subrev_nc_u32_e32 v28, 32, v5
	s_and_b32 s8, vcc_lo, s4
	v_cmp_eq_u32_e32 vcc_lo, 10, v15
	v_writelane_b32 v208, s6, 3
	s_and_b32 s6, s7, s4
	v_cmp_gt_u32_e64 s7, 11, v15
	v_mad_i32_i24 v47, 0xfffffe10, v24, v20
	v_dual_sub_nc_u32 v49, 0, v34 :: v_dual_lshlrev_b32 v29, 5, v12
	v_writelane_b32 v208, s6, 4
	v_cmp_eq_u32_e64 s6, 11, v15
	s_delay_alu instid0(VALU_DEP_4)
	v_mad_u32_u24 v37, 0x1f0, v24, v47
	v_lshlrev_b32_e32 v178, 4, v1
	v_and_b32_e32 v35, 0xfffffe00, v29
	v_writelane_b32 v208, s5, 5
	v_cmp_gt_u32_e64 s5, 12, v15
	v_mad_i32_i24 v87, 0xfffffe10, v24, v37
	v_dual_ashrrev_i32 v29, 31, v28 :: v_dual_lshlrev_b32 v180, 4, v13
	v_lshlrev_b32_e32 v182, 4, v14
	v_writelane_b32 v208, s8, 6
	s_and_b32 s5, s5, s4
	v_mad_u32_u24 v38, 0x1f0, v24, v87
	v_dual_sub_nc_u32 v181, v178, v17 :: v_dual_lshlrev_b32 v184, 4, v15
	v_writelane_b32 v208, s5, 7
	s_and_b32 s5, s6, s4
	s_and_b32 s6, vcc_lo, s4
	v_cmp_eq_u32_e32 vcc_lo, 9, v15
	v_mad_i32_i24 v98, 0xfffffe10, v24, v38
	v_writelane_b32 v208, s5, 8
	s_and_b32 s5, s7, s4
	v_cmp_eq_u32_e64 s7, 8, v15
	s_and_b32 s8, vcc_lo, s4
	v_cmp_eq_u32_e32 vcc_lo, 7, v15
	v_writelane_b32 v208, s5, 9
	v_cmp_gt_u32_e64 s5, 10, v15
	s_and_b32 s103, s7, s4
	v_cmp_gt_u32_e64 s7, 6, v15
	s_and_b32 vcc_hi, vcc_lo, s4
	v_writelane_b32 v208, s6, 10
	s_and_b32 s5, s5, s4
	v_cmp_eq_u32_e32 vcc_lo, 5, v15
	v_cmp_gt_u32_e64 s6, 9, v15
	s_and_b32 s20, s7, s4
	v_writelane_b32 v208, s5, 11
	v_cmp_gt_u32_e64 s5, 8, v15
	s_and_b32 s21, vcc_lo, s4
	v_cmp_eq_u32_e32 vcc_lo, 4, v15
	s_and_b32 s102, s6, s4
	v_cmp_eq_u32_e64 s6, 6, v15
	s_and_b32 s104, s5, s4
	v_cmp_gt_u32_e64 s5, 7, v15
	s_and_b32 s23, vcc_lo, s4
	v_cmp_eq_u32_e32 vcc_lo, 2, v15
	s_and_b32 s19, s6, s4
	v_cmp_gt_u32_e64 s6, 4, v15
	s_and_b32 s18, s5, s4
	v_cmp_gt_u32_e64 s5, 5, v15
	s_and_b32 s89, vcc_lo, s4
	v_cmp_le_i32_e32 vcc_lo, s9, v24
	v_cmp_eq_u32_e64 s7, 3, v15
	s_and_b32 s24, s6, s4
	s_and_b32 s22, s5, s4
	v_cmp_gt_u32_e64 s5, 3, v15
	v_cmp_eq_u32_e64 s6, 1, v15
	s_and_b32 s92, vcc_lo, s27
	v_writelane_b32 v208, s8, 12
	s_and_b32 s25, s7, s4
	s_and_b32 s26, s5, s4
	v_cmp_gt_u32_e64 s5, 2, v15
	v_cmp_eq_u32_e64 s7, 0, v15
	v_cmp_gt_u32_e64 s8, 16, v24
	s_and_b32 s91, s6, s4
	v_cmp_le_i32_e64 s6, s9, v4
	s_and_b32 s90, s5, s4
	s_xor_b32 s5, s92, -1
	s_and_b32 s93, s7, s4
	s_and_b32 s95, s1, s5
	v_cmp_le_i32_e64 s5, s9, v22
	s_and_b32 s94, s1, s8
	s_cmp_gt_i32 s60, 0
	v_cmp_gt_u32_e64 s27, 0xf0, v12
	s_cselect_b32 s17, -1, 0
	s_or_b32 s7, s5, vcc_lo
	s_or_b32 s8, s6, vcc_lo
	v_cmp_gt_i32_e32 vcc_lo, s9, v24
	v_mad_u32_u24 v39, 0x1f0, v24, v98
	v_add_nc_u32_e32 v46, 0x3dd0, v20
	v_add_nc_u32_e32 v50, 0x3100, v20
	v_mul_u64_e32 v[30:31], s[40:41], v[6:7]
	s_and_b32 s5, s1, vcc_lo
	v_mul_u64_e32 v[32:33], s[50:51], v[6:7]
	v_writelane_b32 v208, s5, 13
	v_mad_i32_i24 v7, 0xfffffe10, v24, v39
	v_dual_lshlrev_b32 v40, 4, v22 :: v_dual_sub_nc_u32 v185, v180, v23
	v_sub_nc_u32_e32 v187, v182, v34
	v_writelane_b32 v208, s27, 14
	v_cmp_gt_u32_e64 s27, 0xe0, v12
	v_dual_sub_nc_u32 v189, v184, v35 :: v_dual_add_nc_u32 v13, -16, v5
	v_dual_mov_b32 v5, v3 :: v_dual_mov_b32 v23, v3
	s_delay_alu instid0(VALU_DEP_3) | instskip(SKIP_4) | instid1(VALU_DEP_4)
	v_writelane_b32 v208, s27, 15
	v_cmp_gt_u32_e64 s27, 0xd0, v12
	v_dual_sub_nc_u32 v58, 0, v35 :: v_dual_bitop2_b32 v36, -16, v12 bitop3:0x40
	v_add_nc_u32_e32 v96, 0x3580, v38
	v_add_nc_u32_e32 v97, 0x3590, v38
	v_writelane_b32 v208, s27, 16
	v_cmp_gt_u32_e64 s27, 0xc0, v12
	v_add_nc_u32_e32 v99, 0x2900, v38
	v_add_nc_u32_e32 v100, 0x2930, v38
	v_add_nc_u32_e32 v101, 0x2920, v38
	v_add_nc_u32_e32 v102, 0x2910, v38
	v_writelane_b32 v208, s27, 17
	v_cmp_gt_u32_e64 s27, 0xb0, v12
	v_add_nc_u32_e32 v103, 0x1480, v38
	v_add_nc_u32_e32 v104, 0x1490, v38
	;; [unrolled: 6-line block ×3, first 2 shown]
	v_add_nc_u32_e32 v109, 0x2510, v39
	v_add_nc_u32_e32 v110, 0x400, v39
	;; [unrolled: 1-line block ×4, first 2 shown]
	v_bitop3_b32 v21, v0, v21, 0x3ff bitop3:0xa8
	v_add_nc_u32_e32 v192, 0x810, v38
	v_dual_add_nc_u32 v193, v39, v40 :: v_dual_lshlrev_b32 v196, 4, v10
	v_add_nc_u32_e32 v194, 0x6000, v40
	v_mul_u64_e32 v[0:1], s[50:51], v[8:9]
	v_mul_u64_e32 v[34:35], s[40:41], v[4:5]
	;; [unrolled: 1-line block ×4, first 2 shown]
	v_writelane_b32 v208, s27, 19
	v_cmp_gt_u32_e64 s27, 0x90, v12
	v_cmp_gt_i32_e64 s5, s59, v6
	v_cmp_gt_i32_e64 s6, s59, v13
	v_dual_add_nc_u32 v172, 64, v87 :: v_dual_bitop2_b32 v42, v4, v24 bitop3:0x54
	s_delay_alu instid0(VALU_DEP_4)
	v_writelane_b32 v208, s27, 20
	v_cmp_gt_u32_e64 s27, 0x80, v12
	s_and_b32 s96, s6, s5
	v_cmp_ge_u32_e64 s6, v24, v22
	v_cmp_gt_i32_e32 vcc_lo, s59, v28
	v_add_nc_u32_e32 v45, 0x3dc0, v20
	v_writelane_b32 v208, s27, 21
	v_cmp_gt_u32_e64 s27, 0x70, v12
	s_or_b32 s97, s7, s6
	v_cmp_ge_u32_e64 s7, v24, v4
	v_add_nc_u32_e32 v51, 0x3110, v20
	v_add_nc_u32_e32 v52, 0x3120, v20
	v_writelane_b32 v208, s27, 22
	v_cmp_gt_u32_e64 s27, 0x60, v12
	v_add_nc_u32_e32 v53, 0x3130, v20
	v_add_nc_u32_e32 v54, 0x3140, v20
	;; [unrolled: 1-line block ×4, first 2 shown]
	v_writelane_b32 v208, s27, 23
	v_cmp_gt_u32_e64 s27, 0x50, v12
	v_add_nc_u32_e32 v57, 0x3170, v20
	v_add_nc_u32_e32 v59, 0x2000, v20
	;; [unrolled: 1-line block ×99, first 2 shown]
	v_lshl_add_u32 v176, v26, 4, 0x6000
	v_lshl_add_u32 v177, v12, 4, 0x4000
	s_add_nc_u64 s[48:49], s[36:37], s[12:13]
	s_add_nc_u64 s[46:47], s[46:47], s[14:15]
	v_lshl_add_u32 v179, v16, 4, 0x4000
	v_lshl_add_u32 v183, v18, 4, 0x4000
	;; [unrolled: 1-line block ×3, first 2 shown]
	v_add_nc_u32_e32 v188, 0x4000, v36
	v_add_nc_u32_e32 v190, 0x1070, v20
	;; [unrolled: 1-line block ×3, first 2 shown]
	v_lshl_add_u32 v195, v22, 9, v7
	v_dual_lshlrev_b32 v36, 4, v24 :: v_dual_lshlrev_b32 v197, 4, v11
	v_add_nc_u32_e32 v198, 0x4000, v27
	v_add_nc_u32_e32 v199, v194, v27
	s_or_b32 s98, s8, s7
	s_lshl_b64 s[40:41], s[10:11], 4
	v_mov_b32_e32 v37, v3
	v_cmp_gt_u32_e64 s8, 2, v12
	v_cmp_gt_u32_e64 s9, 12, v12
	;; [unrolled: 1-line block ×8, first 2 shown]
	v_writelane_b32 v208, s27, 24
	v_cmp_eq_u32_e64 s27, 0, v21
	v_cmp_gt_u32_e64 s28, 32, v21
	v_cmp_gt_u32_e64 s29, 32, v42
	v_cmp_eq_u32_e64 s30, 0, v26
	v_cmp_gt_u32_e64 s31, 32, v26
	s_and_b32 s16, vcc_lo, s5
	s_mov_b32 s37, 0x3ff00000
                                        ; implicit-def: $vgpr6_vgpr7
                                        ; implicit-def: $vgpr10_vgpr11
	s_branch .LBB74_3
.LBB74_2:                               ;   in Loop: Header=BB74_3 Depth=1
	s_wait_xcnt 0x0
	s_or_b32 exec_lo, exec_lo, s33
	s_add_co_i32 s34, s34, 0x10000
	global_wb scope:SCOPE_DEV
	s_wait_storecnt 0x0
	global_inv scope:SCOPE_DEV
	s_cmp_lt_u32 s34, s58
	s_cbranch_scc0 .LBB74_542
.LBB74_3:                               ; =>This Loop Header: Depth=1
                                        ;     Child Loop BB74_453 Depth 2
                                        ;       Child Loop BB74_455 Depth 3
                                        ;     Child Loop BB74_486 Depth 2
	global_load_b128 v[14:17], v3, s[44:45]
	s_mul_u64 s[38:39], s[42:43], s[34:35]
	s_and_not1_b32 vcc_lo, exec_lo, s61
	s_lshl_b64 s[38:39], s[38:39], 4
	s_delay_alu instid0(SALU_CYCLE_1) | instskip(NEXT) | instid1(SALU_CYCLE_1)
	s_add_nc_u64 s[38:39], s[48:49], s[38:39]
	v_lshl_add_u64 v[42:43], v[30:31], 4, s[38:39]
	s_cbranch_vccnz .LBB74_9
; %bb.4:                                ;   in Loop: Header=BB74_3 Depth=1
	v_mov_b64_e32 v[12:13], 0
	v_mov_b64_e32 v[6:7], 0
	;; [unrolled: 1-line block ×3, first 2 shown]
	v_lshl_add_u64 v[4:5], v[28:29], 4, v[42:43]
	s_wait_loadcnt 0x0
	s_barrier_signal -1
	s_barrier_wait -1
	s_wait_xcnt 0x0
	s_and_saveexec_b32 s33, s16
	s_cbranch_execz .LBB74_6
; %bb.5:                                ;   in Loop: Header=BB74_3 Depth=1
	global_load_b128 v[6:9], v[4:5], off
.LBB74_6:                               ;   in Loop: Header=BB74_3 Depth=1
	s_wait_xcnt 0x0
	s_or_b32 exec_lo, exec_lo, s33
	v_mov_b64_e32 v[10:11], 0
	s_wait_loadcnt 0x0
	s_barrier_signal -1
	s_barrier_wait -1
	s_and_saveexec_b32 s33, s96
	s_cbranch_execz .LBB74_8
; %bb.7:                                ;   in Loop: Header=BB74_3 Depth=1
	global_load_b128 v[10:13], v[4:5], off offset:256
.LBB74_8:                               ;   in Loop: Header=BB74_3 Depth=1
	s_wait_xcnt 0x0
	s_or_b32 exec_lo, exec_lo, s33
.LBB74_9:                               ;   in Loop: Header=BB74_3 Depth=1
	s_add_nc_u64 s[38:39], s[38:39], s[40:41]
	s_and_not1_b32 vcc_lo, exec_lo, s62
	v_add_nc_u64_e32 v[18:19], s[38:39], v[36:37]
	s_mov_b32 s33, -1
	s_cbranch_vccnz .LBB74_16
; %bb.10:                               ;   in Loop: Header=BB74_3 Depth=1
	s_wait_xcnt 0x0
	s_and_saveexec_b32 s33, s6
	s_delay_alu instid0(SALU_CYCLE_1)
	s_xor_b32 s33, exec_lo, s33
	s_cbranch_execnz .LBB74_499
; %bb.11:                               ;   in Loop: Header=BB74_3 Depth=1
	s_and_not1_saveexec_b32 s33, s33
	s_cbranch_execnz .LBB74_502
.LBB74_12:                              ;   in Loop: Header=BB74_3 Depth=1
	s_or_b32 exec_lo, exec_lo, s33
	s_and_saveexec_b32 s33, s7
	s_delay_alu instid0(SALU_CYCLE_1)
	s_xor_b32 s33, exec_lo, s33
	s_cbranch_execnz .LBB74_503
.LBB74_13:                              ;   in Loop: Header=BB74_3 Depth=1
	s_and_not1_saveexec_b32 s33, s33
	s_cbranch_execz .LBB74_15
.LBB74_14:                              ;   in Loop: Header=BB74_3 Depth=1
	v_lshl_add_u64 v[4:5], v[34:35], 4, v[18:19]
	global_load_b128 v[200:203], v[4:5], off
	s_wait_loadcnt 0x0
	v_xor_b32_e32 v201, 0x80000000, v201
	v_xor_b32_e32 v203, 0x80000000, v203
	ds_store_b128 v197, v[200:203]
.LBB74_15:                              ;   in Loop: Header=BB74_3 Depth=1
	s_or_b32 exec_lo, exec_lo, s33
	s_mov_b32 s33, 0
.LBB74_16:                              ;   in Loop: Header=BB74_3 Depth=1
	s_delay_alu instid0(SALU_CYCLE_1)
	s_and_b32 vcc_lo, exec_lo, s33
	s_cbranch_vccz .LBB74_23
; %bb.17:                               ;   in Loop: Header=BB74_3 Depth=1
	s_wait_xcnt 0x0
	s_and_saveexec_b32 s33, s97
	s_delay_alu instid0(SALU_CYCLE_1)
	s_xor_b32 s33, exec_lo, s33
	s_cbranch_execnz .LBB74_506
; %bb.18:                               ;   in Loop: Header=BB74_3 Depth=1
	s_and_not1_saveexec_b32 s33, s33
	s_cbranch_execnz .LBB74_509
.LBB74_19:                              ;   in Loop: Header=BB74_3 Depth=1
	s_or_b32 exec_lo, exec_lo, s33
	s_and_saveexec_b32 s33, s98
	s_delay_alu instid0(SALU_CYCLE_1)
	s_xor_b32 s33, exec_lo, s33
	s_cbranch_execnz .LBB74_510
.LBB74_20:                              ;   in Loop: Header=BB74_3 Depth=1
	s_and_not1_saveexec_b32 s33, s33
	s_cbranch_execz .LBB74_22
.LBB74_21:                              ;   in Loop: Header=BB74_3 Depth=1
	v_lshl_add_u64 v[4:5], v[34:35], 4, v[18:19]
	global_load_b128 v[18:21], v[4:5], off
	s_wait_loadcnt 0x0
	v_xor_b32_e32 v19, 0x80000000, v19
	v_xor_b32_e32 v21, 0x80000000, v21
	ds_store_b128 v197, v[18:21]
.LBB74_22:                              ;   in Loop: Header=BB74_3 Depth=1
	s_or_b32 exec_lo, exec_lo, s33
.LBB74_23:                              ;   in Loop: Header=BB74_3 Depth=1
	s_delay_alu instid0(SALU_CYCLE_1)
	s_and_not1_b32 vcc_lo, exec_lo, s63
	s_wait_loadcnt_dscnt 0x0
	s_barrier_signal -1
	s_barrier_wait -1
	s_cbranch_vccnz .LBB74_447
; %bb.24:                               ;   in Loop: Header=BB74_3 Depth=1
	s_and_saveexec_b32 s33, s27
	s_cbranch_execz .LBB74_26
; %bb.25:                               ;   in Loop: Header=BB74_3 Depth=1
	s_mov_b32 s36, s35
	s_mov_b32 s38, s35
	;; [unrolled: 1-line block ×3, first 2 shown]
	v_mov_b64_e32 v[18:19], s[36:37]
	v_mov_b64_e32 v[20:21], s[38:39]
	ds_store_b128 v3, v[18:21] offset:15840
	ds_store_b128 v3, v[18:21] offset:16368
	ds_load_b128 v[18:21], v3 offset:16352
	s_wait_dscnt 0x0
	ds_store_b128 v3, v[18:21] offset:15856
.LBB74_26:                              ;   in Loop: Header=BB74_3 Depth=1
	s_or_b32 exec_lo, exec_lo, s33
	v_mov_b64_e32 v[18:19], 0
	v_mov_b64_e32 v[20:21], 0
	s_wait_dscnt 0x0
	s_barrier_signal -1
	s_barrier_wait -1
	global_wb scope:SCOPE_DEV
	s_wait_storecnt 0x0
	global_inv scope:SCOPE_DEV
	s_and_saveexec_b32 s33, s0
	s_cbranch_execz .LBB74_30
; %bb.27:                               ;   in Loop: Header=BB74_3 Depth=1
	ds_load_b128 v[18:21], v44 offset:16352
	ds_load_b128 v[200:203], v178 offset:15808
	s_wait_dscnt 0x0
	v_mul_f64_e32 v[4:5], v[20:21], v[202:203]
	v_mul_f64_e32 v[202:203], v[18:19], v[202:203]
	s_delay_alu instid0(VALU_DEP_2) | instskip(NEXT) | instid1(VALU_DEP_2)
	v_fma_f64 v[4:5], v[18:19], v[200:201], -v[4:5]
	v_fmac_f64_e32 v[202:203], v[20:21], v[200:201]
	s_delay_alu instid0(VALU_DEP_2) | instskip(NEXT) | instid1(VALU_DEP_2)
	v_add_f64_e32 v[18:19], 0, v[4:5]
	v_add_f64_e32 v[20:21], 0, v[202:203]
	s_and_saveexec_b32 s36, s8
	s_cbranch_execz .LBB74_29
; %bb.28:                               ;   in Loop: Header=BB74_3 Depth=1
	ds_load_b128 v[200:203], v3 offset:16368
	ds_load_b128 v[204:207], v27 offset:16320
	s_wait_dscnt 0x0
	v_mul_f64_e32 v[4:5], v[202:203], v[206:207]
	s_delay_alu instid0(VALU_DEP_1) | instskip(SKIP_1) | instid1(VALU_DEP_2)
	v_fma_f64 v[4:5], v[200:201], v[204:205], -v[4:5]
	v_mul_f64_e32 v[200:201], v[200:201], v[206:207]
	v_add_f64_e32 v[18:19], v[18:19], v[4:5]
	s_delay_alu instid0(VALU_DEP_2) | instskip(NEXT) | instid1(VALU_DEP_1)
	v_fmac_f64_e32 v[200:201], v[202:203], v[204:205]
	v_add_f64_e32 v[20:21], v[20:21], v[200:201]
.LBB74_29:                              ;   in Loop: Header=BB74_3 Depth=1
	s_or_b32 exec_lo, exec_lo, s36
.LBB74_30:                              ;   in Loop: Header=BB74_3 Depth=1
	s_delay_alu instid0(SALU_CYCLE_1)
	s_or_b32 exec_lo, exec_lo, s33
	s_and_saveexec_b32 s33, s64
	s_cbranch_execz .LBB74_32
; %bb.31:                               ;   in Loop: Header=BB74_3 Depth=1
	s_delay_alu instid0(VALU_DEP_2) | instskip(NEXT) | instid1(VALU_DEP_2)
	v_xor_b32_e32 v201, 0x80000000, v19
	v_xor_b32_e32 v203, 0x80000000, v21
	s_delay_alu instid0(VALU_DEP_3)
	v_dual_mov_b32 v200, v18 :: v_dual_mov_b32 v202, v20
	ds_store_b128 v179, v[200:203]
.LBB74_32:                              ;   in Loop: Header=BB74_3 Depth=1
	s_or_b32 exec_lo, exec_lo, s33
	s_wait_loadcnt_dscnt 0x0
	s_barrier_signal -1
	s_barrier_wait -1
	s_and_saveexec_b32 s33, s65
	s_cbranch_execz .LBB74_34
; %bb.33:                               ;   in Loop: Header=BB74_3 Depth=1
	ds_load_b128 v[200:203], v179
	ds_load_b128 v[204:207], v3 offset:15296
	s_wait_dscnt 0x0
	v_mul_f64_e32 v[4:5], v[200:201], v[204:205]
	v_mul_f64_e32 v[200:201], v[200:201], v[206:207]
	s_delay_alu instid0(VALU_DEP_2) | instskip(NEXT) | instid1(VALU_DEP_2)
	v_fma_f64 v[4:5], v[202:203], v[206:207], -v[4:5]
	v_fmac_f64_e32 v[200:201], v[202:203], v[204:205]
	s_delay_alu instid0(VALU_DEP_2) | instskip(NEXT) | instid1(VALU_DEP_2)
	v_add_f64_e32 v[18:19], v[18:19], v[4:5]
	v_add_f64_e64 v[20:21], v[20:21], -v[200:201]
.LBB74_34:                              ;   in Loop: Header=BB74_3 Depth=1
	s_or_b32 exec_lo, exec_lo, s33
	s_barrier_signal -1
	s_barrier_wait -1
	s_and_saveexec_b32 s33, s65
	s_cbranch_execz .LBB74_36
; %bb.35:                               ;   in Loop: Header=BB74_3 Depth=1
	s_delay_alu instid0(VALU_DEP_2) | instskip(NEXT) | instid1(VALU_DEP_2)
	v_xor_b32_e32 v201, 0x80000000, v19
	v_xor_b32_e32 v203, 0x80000000, v21
	s_delay_alu instid0(VALU_DEP_3)
	v_dual_mov_b32 v200, v18 :: v_dual_mov_b32 v202, v20
	ds_store_b128 v179, v[200:203]
.LBB74_36:                              ;   in Loop: Header=BB74_3 Depth=1
	s_or_b32 exec_lo, exec_lo, s33
	s_wait_dscnt 0x0
	s_barrier_signal -1
	s_barrier_wait -1
	s_barrier_signal -1
	s_barrier_wait -1
	s_and_saveexec_b32 s33, s0
; %bb.37:                               ;   in Loop: Header=BB74_3 Depth=1
	ds_store_b128 v181, v[18:21] offset:16320
; %bb.38:                               ;   in Loop: Header=BB74_3 Depth=1
	s_or_b32 exec_lo, exec_lo, s33
	s_wait_dscnt 0x0
	s_barrier_signal -1
	s_barrier_wait -1
	s_barrier_signal -1
	s_barrier_wait -1
	s_and_saveexec_b32 s33, s66
	s_cbranch_execz .LBB74_40
; %bb.39:                               ;   in Loop: Header=BB74_3 Depth=1
	ds_load_b128 v[18:21], v45
	s_wait_dscnt 0x0
	ds_store_b128 v116, v[18:21]
	ds_load_b128 v[18:21], v46
	s_wait_dscnt 0x0
	ds_store_b128 v117, v[18:21]
.LBB74_40:                              ;   in Loop: Header=BB74_3 Depth=1
	s_or_b32 exec_lo, exec_lo, s33
	s_wait_dscnt 0x0
	s_barrier_signal -1
	s_barrier_wait -1
	s_and_saveexec_b32 s33, s27
	s_cbranch_execz .LBB74_42
; %bb.41:                               ;   in Loop: Header=BB74_3 Depth=1
	s_mov_b32 s36, s35
	s_mov_b32 s38, s35
	;; [unrolled: 1-line block ×3, first 2 shown]
	v_mov_b64_e32 v[18:19], s[36:37]
	v_mov_b64_e32 v[20:21], s[38:39]
	ds_store_b128 v3, v[18:21] offset:14784
	ds_store_b128 v3, v[18:21] offset:15312
	ds_load_b128 v[18:21], v3 offset:15296
	s_wait_dscnt 0x0
	ds_store_b128 v3, v[18:21] offset:14800
.LBB74_42:                              ;   in Loop: Header=BB74_3 Depth=1
	s_or_b32 exec_lo, exec_lo, s33
	v_mov_b64_e32 v[20:21], 0
	v_mov_b64_e32 v[18:19], 0
	s_wait_dscnt 0x0
	s_barrier_signal -1
	s_barrier_wait -1
	global_wb scope:SCOPE_DEV
	s_wait_storecnt 0x0
	global_inv scope:SCOPE_DEV
	s_and_saveexec_b32 s33, s2
	s_cbranch_execz .LBB74_48
; %bb.43:                               ;   in Loop: Header=BB74_3 Depth=1
	ds_load_b128 v[18:21], v48 offset:16320
	ds_load_b128 v[200:203], v180 offset:14720
	s_wait_dscnt 0x0
	v_mul_f64_e32 v[4:5], v[20:21], v[202:203]
	v_mul_f64_e32 v[202:203], v[18:19], v[202:203]
	s_delay_alu instid0(VALU_DEP_2) | instskip(NEXT) | instid1(VALU_DEP_2)
	v_fma_f64 v[4:5], v[18:19], v[200:201], -v[4:5]
	v_fmac_f64_e32 v[202:203], v[20:21], v[200:201]
	s_delay_alu instid0(VALU_DEP_2) | instskip(NEXT) | instid1(VALU_DEP_2)
	v_add_f64_e32 v[18:19], 0, v[4:5]
	v_add_f64_e32 v[20:21], 0, v[202:203]
	s_and_saveexec_b32 s36, s9
	s_cbranch_execnz .LBB74_518
; %bb.44:                               ;   in Loop: Header=BB74_3 Depth=1
	s_or_b32 exec_lo, exec_lo, s36
	s_and_saveexec_b32 s36, s10
	s_cbranch_execnz .LBB74_519
.LBB74_45:                              ;   in Loop: Header=BB74_3 Depth=1
	s_or_b32 exec_lo, exec_lo, s36
	s_and_saveexec_b32 s36, s0
	s_cbranch_execz .LBB74_47
.LBB74_46:                              ;   in Loop: Header=BB74_3 Depth=1
	ds_load_b128 v[200:203], v3 offset:16368
	ds_load_b128 v[204:207], v47 offset:16256
	s_wait_dscnt 0x0
	v_mul_f64_e32 v[4:5], v[202:203], v[206:207]
	s_delay_alu instid0(VALU_DEP_1) | instskip(SKIP_1) | instid1(VALU_DEP_2)
	v_fma_f64 v[4:5], v[200:201], v[204:205], -v[4:5]
	v_mul_f64_e32 v[200:201], v[200:201], v[206:207]
	v_add_f64_e32 v[18:19], v[18:19], v[4:5]
	s_delay_alu instid0(VALU_DEP_2) | instskip(NEXT) | instid1(VALU_DEP_1)
	v_fmac_f64_e32 v[200:201], v[202:203], v[204:205]
	v_add_f64_e32 v[20:21], v[20:21], v[200:201]
.LBB74_47:                              ;   in Loop: Header=BB74_3 Depth=1
	s_or_b32 exec_lo, exec_lo, s36
.LBB74_48:                              ;   in Loop: Header=BB74_3 Depth=1
	s_delay_alu instid0(SALU_CYCLE_1)
	s_or_b32 exec_lo, exec_lo, s33
	s_and_saveexec_b32 s33, s67
	s_cbranch_execz .LBB74_50
; %bb.49:                               ;   in Loop: Header=BB74_3 Depth=1
	s_delay_alu instid0(VALU_DEP_1) | instskip(NEXT) | instid1(VALU_DEP_3)
	v_xor_b32_e32 v203, 0x80000000, v21
	v_xor_b32_e32 v201, 0x80000000, v19
	s_delay_alu instid0(VALU_DEP_3)
	v_dual_mov_b32 v200, v18 :: v_dual_mov_b32 v202, v20
	ds_store_b128 v183, v[200:203]
.LBB74_50:                              ;   in Loop: Header=BB74_3 Depth=1
	s_or_b32 exec_lo, exec_lo, s33
	s_wait_loadcnt_dscnt 0x0
	s_barrier_signal -1
	s_barrier_wait -1
	s_and_saveexec_b32 s33, s68
	s_cbranch_execz .LBB74_52
; %bb.51:                               ;   in Loop: Header=BB74_3 Depth=1
	ds_load_b128 v[200:203], v183
	ds_load_b128 v[204:207], v180 offset:14208
	s_wait_dscnt 0x0
	v_mul_f64_e32 v[4:5], v[202:203], v[206:207]
	s_delay_alu instid0(VALU_DEP_1) | instskip(SKIP_1) | instid1(VALU_DEP_2)
	v_fma_f64 v[4:5], v[200:201], v[204:205], -v[4:5]
	v_mul_f64_e32 v[200:201], v[200:201], v[206:207]
	v_add_f64_e64 v[18:19], v[18:19], -v[4:5]
	s_delay_alu instid0(VALU_DEP_2) | instskip(NEXT) | instid1(VALU_DEP_1)
	v_fmac_f64_e32 v[200:201], v[202:203], v[204:205]
	v_add_f64_e64 v[20:21], v[20:21], -v[200:201]
.LBB74_52:                              ;   in Loop: Header=BB74_3 Depth=1
	s_or_b32 exec_lo, exec_lo, s33
	s_barrier_signal -1
	s_barrier_wait -1
	s_and_saveexec_b32 s33, s69
	s_cbranch_execz .LBB74_54
; %bb.53:                               ;   in Loop: Header=BB74_3 Depth=1
	s_delay_alu instid0(VALU_DEP_1) | instskip(NEXT) | instid1(VALU_DEP_3)
	v_xor_b32_e32 v203, 0x80000000, v21
	v_xor_b32_e32 v201, 0x80000000, v19
	s_delay_alu instid0(VALU_DEP_3)
	v_dual_mov_b32 v200, v18 :: v_dual_mov_b32 v202, v20
	ds_store_b128 v183, v[200:203]
.LBB74_54:                              ;   in Loop: Header=BB74_3 Depth=1
	s_or_b32 exec_lo, exec_lo, s33
	s_wait_dscnt 0x0
	s_barrier_signal -1
	s_barrier_wait -1
	s_and_saveexec_b32 s33, s70
	s_cbranch_execz .LBB74_56
; %bb.55:                               ;   in Loop: Header=BB74_3 Depth=1
	ds_load_b128 v[200:203], v183
	ds_load_b128 v[204:207], v180 offset:13696
	s_wait_dscnt 0x0
	v_mul_f64_e32 v[4:5], v[202:203], v[206:207]
	s_delay_alu instid0(VALU_DEP_1) | instskip(SKIP_1) | instid1(VALU_DEP_2)
	v_fma_f64 v[4:5], v[200:201], v[204:205], -v[4:5]
	v_mul_f64_e32 v[200:201], v[200:201], v[206:207]
	v_add_f64_e64 v[18:19], v[18:19], -v[4:5]
	s_delay_alu instid0(VALU_DEP_2) | instskip(NEXT) | instid1(VALU_DEP_1)
	v_fmac_f64_e32 v[200:201], v[202:203], v[204:205]
	v_add_f64_e64 v[20:21], v[20:21], -v[200:201]
.LBB74_56:                              ;   in Loop: Header=BB74_3 Depth=1
	s_or_b32 exec_lo, exec_lo, s33
	s_barrier_signal -1
	s_barrier_wait -1
	s_and_saveexec_b32 s33, s71
	s_cbranch_execz .LBB74_58
; %bb.57:                               ;   in Loop: Header=BB74_3 Depth=1
	s_delay_alu instid0(VALU_DEP_1) | instskip(NEXT) | instid1(VALU_DEP_3)
	v_xor_b32_e32 v203, 0x80000000, v21
	v_xor_b32_e32 v201, 0x80000000, v19
	s_delay_alu instid0(VALU_DEP_3)
	v_dual_mov_b32 v200, v18 :: v_dual_mov_b32 v202, v20
	ds_store_b128 v183, v[200:203]
.LBB74_58:                              ;   in Loop: Header=BB74_3 Depth=1
	s_or_b32 exec_lo, exec_lo, s33
	s_wait_dscnt 0x0
	;; [unrolled: 32-line block ×3, first 2 shown]
	s_barrier_signal -1
	s_barrier_wait -1
	s_barrier_signal -1
	s_barrier_wait -1
	s_and_saveexec_b32 s33, s2
; %bb.63:                               ;   in Loop: Header=BB74_3 Depth=1
	ds_store_b128 v185, v[18:21] offset:16256
; %bb.64:                               ;   in Loop: Header=BB74_3 Depth=1
	s_or_b32 exec_lo, exec_lo, s33
	s_wait_dscnt 0x0
	s_barrier_signal -1
	s_barrier_wait -1
	s_barrier_signal -1
	s_barrier_wait -1
	s_and_saveexec_b32 s33, s73
	s_cbranch_execz .LBB74_66
; %bb.65:                               ;   in Loop: Header=BB74_3 Depth=1
	ds_load_b128 v[18:21], v84
	s_wait_dscnt 0x0
	ds_store_b128 v118, v[18:21]
	ds_load_b128 v[18:21], v88
	s_wait_dscnt 0x0
	ds_store_b128 v121, v[18:21]
	;; [unrolled: 3-line block ×4, first 2 shown]
.LBB74_66:                              ;   in Loop: Header=BB74_3 Depth=1
	s_or_b32 exec_lo, exec_lo, s33
	s_wait_dscnt 0x0
	s_barrier_signal -1
	s_barrier_wait -1
	s_and_saveexec_b32 s33, s27
	s_cbranch_execz .LBB74_68
; %bb.67:                               ;   in Loop: Header=BB74_3 Depth=1
	s_mov_b32 s36, s35
	s_mov_b32 s38, s35
	;; [unrolled: 1-line block ×3, first 2 shown]
	v_mov_b64_e32 v[18:19], s[36:37]
	v_mov_b64_e32 v[20:21], s[38:39]
	ds_store_b128 v3, v[18:21] offset:13728
	ds_store_b128 v3, v[18:21] offset:14256
	ds_load_b128 v[18:21], v3 offset:14240
	s_wait_dscnt 0x0
	ds_store_b128 v3, v[18:21] offset:13744
.LBB74_68:                              ;   in Loop: Header=BB74_3 Depth=1
	s_or_b32 exec_lo, exec_lo, s33
	v_mov_b64_e32 v[18:19], 0
	v_mov_b64_e32 v[20:21], 0
	s_wait_dscnt 0x0
	s_barrier_signal -1
	s_barrier_wait -1
	global_wb scope:SCOPE_DEV
	s_wait_storecnt 0x0
	global_inv scope:SCOPE_DEV
	s_and_saveexec_b32 s33, s0
	s_cbranch_execz .LBB74_72
; %bb.69:                               ;   in Loop: Header=BB74_3 Depth=1
	ds_load_b128 v[18:21], v44 offset:14240
	ds_load_b128 v[200:203], v178 offset:13696
	s_wait_dscnt 0x0
	v_mul_f64_e32 v[4:5], v[20:21], v[202:203]
	v_mul_f64_e32 v[202:203], v[18:19], v[202:203]
	s_delay_alu instid0(VALU_DEP_2) | instskip(NEXT) | instid1(VALU_DEP_2)
	v_fma_f64 v[4:5], v[18:19], v[200:201], -v[4:5]
	v_fmac_f64_e32 v[202:203], v[20:21], v[200:201]
	s_delay_alu instid0(VALU_DEP_2) | instskip(NEXT) | instid1(VALU_DEP_2)
	v_add_f64_e32 v[18:19], 0, v[4:5]
	v_add_f64_e32 v[20:21], 0, v[202:203]
	s_and_saveexec_b32 s36, s8
	s_cbranch_execz .LBB74_71
; %bb.70:                               ;   in Loop: Header=BB74_3 Depth=1
	ds_load_b128 v[200:203], v3 offset:14256
	ds_load_b128 v[204:207], v87 offset:14208
	s_wait_dscnt 0x0
	v_mul_f64_e32 v[4:5], v[202:203], v[206:207]
	s_delay_alu instid0(VALU_DEP_1) | instskip(SKIP_1) | instid1(VALU_DEP_2)
	v_fma_f64 v[4:5], v[200:201], v[204:205], -v[4:5]
	v_mul_f64_e32 v[200:201], v[200:201], v[206:207]
	v_add_f64_e32 v[18:19], v[18:19], v[4:5]
	s_delay_alu instid0(VALU_DEP_2) | instskip(NEXT) | instid1(VALU_DEP_1)
	v_fmac_f64_e32 v[200:201], v[202:203], v[204:205]
	v_add_f64_e32 v[20:21], v[20:21], v[200:201]
.LBB74_71:                              ;   in Loop: Header=BB74_3 Depth=1
	s_or_b32 exec_lo, exec_lo, s36
.LBB74_72:                              ;   in Loop: Header=BB74_3 Depth=1
	s_delay_alu instid0(SALU_CYCLE_1)
	s_or_b32 exec_lo, exec_lo, s33
	s_and_saveexec_b32 s33, s64
	s_cbranch_execz .LBB74_74
; %bb.73:                               ;   in Loop: Header=BB74_3 Depth=1
	s_delay_alu instid0(VALU_DEP_2) | instskip(NEXT) | instid1(VALU_DEP_2)
	v_xor_b32_e32 v201, 0x80000000, v19
	v_xor_b32_e32 v203, 0x80000000, v21
	s_delay_alu instid0(VALU_DEP_3)
	v_dual_mov_b32 v200, v18 :: v_dual_mov_b32 v202, v20
	ds_store_b128 v179, v[200:203]
.LBB74_74:                              ;   in Loop: Header=BB74_3 Depth=1
	s_or_b32 exec_lo, exec_lo, s33
	s_wait_loadcnt_dscnt 0x0
	s_barrier_signal -1
	s_barrier_wait -1
	s_and_saveexec_b32 s33, s65
	s_cbranch_execz .LBB74_76
; %bb.75:                               ;   in Loop: Header=BB74_3 Depth=1
	ds_load_b128 v[200:203], v179
	ds_load_b128 v[204:207], v3 offset:13184
	s_wait_dscnt 0x0
	v_mul_f64_e32 v[4:5], v[200:201], v[204:205]
	v_mul_f64_e32 v[200:201], v[200:201], v[206:207]
	s_delay_alu instid0(VALU_DEP_2) | instskip(NEXT) | instid1(VALU_DEP_2)
	v_fma_f64 v[4:5], v[202:203], v[206:207], -v[4:5]
	v_fmac_f64_e32 v[200:201], v[202:203], v[204:205]
	s_delay_alu instid0(VALU_DEP_2) | instskip(NEXT) | instid1(VALU_DEP_2)
	v_add_f64_e32 v[18:19], v[18:19], v[4:5]
	v_add_f64_e64 v[20:21], v[20:21], -v[200:201]
.LBB74_76:                              ;   in Loop: Header=BB74_3 Depth=1
	s_or_b32 exec_lo, exec_lo, s33
	s_barrier_signal -1
	s_barrier_wait -1
	s_and_saveexec_b32 s33, s65
	s_cbranch_execz .LBB74_78
; %bb.77:                               ;   in Loop: Header=BB74_3 Depth=1
	s_delay_alu instid0(VALU_DEP_2) | instskip(NEXT) | instid1(VALU_DEP_2)
	v_xor_b32_e32 v201, 0x80000000, v19
	v_xor_b32_e32 v203, 0x80000000, v21
	s_delay_alu instid0(VALU_DEP_3)
	v_dual_mov_b32 v200, v18 :: v_dual_mov_b32 v202, v20
	ds_store_b128 v179, v[200:203]
.LBB74_78:                              ;   in Loop: Header=BB74_3 Depth=1
	s_or_b32 exec_lo, exec_lo, s33
	s_wait_dscnt 0x0
	s_barrier_signal -1
	s_barrier_wait -1
	s_barrier_signal -1
	s_barrier_wait -1
	s_and_saveexec_b32 s33, s0
; %bb.79:                               ;   in Loop: Header=BB74_3 Depth=1
	ds_store_b128 v181, v[18:21] offset:14208
; %bb.80:                               ;   in Loop: Header=BB74_3 Depth=1
	s_or_b32 exec_lo, exec_lo, s33
	s_wait_dscnt 0x0
	s_barrier_signal -1
	s_barrier_wait -1
	s_barrier_signal -1
	s_barrier_wait -1
	s_and_saveexec_b32 s33, s66
	s_cbranch_execz .LBB74_82
; %bb.81:                               ;   in Loop: Header=BB74_3 Depth=1
	ds_load_b128 v[18:21], v96
	s_wait_dscnt 0x0
	ds_store_b128 v122, v[18:21]
	ds_load_b128 v[18:21], v97
	s_wait_dscnt 0x0
	ds_store_b128 v123, v[18:21]
.LBB74_82:                              ;   in Loop: Header=BB74_3 Depth=1
	s_or_b32 exec_lo, exec_lo, s33
	s_wait_dscnt 0x0
	s_barrier_signal -1
	s_barrier_wait -1
	s_and_saveexec_b32 s33, s27
	s_cbranch_execz .LBB74_84
; %bb.83:                               ;   in Loop: Header=BB74_3 Depth=1
	s_mov_b32 s36, s35
	s_mov_b32 s38, s35
	;; [unrolled: 1-line block ×3, first 2 shown]
	v_mov_b64_e32 v[18:19], s[36:37]
	v_mov_b64_e32 v[20:21], s[38:39]
	ds_store_b128 v3, v[18:21] offset:12672
	ds_store_b128 v3, v[18:21] offset:13200
	ds_load_b128 v[18:21], v3 offset:13184
	s_wait_dscnt 0x0
	ds_store_b128 v3, v[18:21] offset:12688
.LBB74_84:                              ;   in Loop: Header=BB74_3 Depth=1
	s_or_b32 exec_lo, exec_lo, s33
	v_mov_b64_e32 v[20:21], 0
	v_mov_b64_e32 v[18:19], 0
	s_wait_dscnt 0x0
	s_barrier_signal -1
	s_barrier_wait -1
	global_wb scope:SCOPE_DEV
	s_wait_storecnt 0x0
	global_inv scope:SCOPE_DEV
	s_and_saveexec_b32 s33, s3
	s_cbranch_execz .LBB74_94
; %bb.85:                               ;   in Loop: Header=BB74_3 Depth=1
	ds_load_b128 v[18:21], v49 offset:16256
	ds_load_b128 v[200:203], v182 offset:12544
	s_wait_dscnt 0x0
	v_mul_f64_e32 v[4:5], v[20:21], v[202:203]
	v_mul_f64_e32 v[202:203], v[18:19], v[202:203]
	s_delay_alu instid0(VALU_DEP_2) | instskip(NEXT) | instid1(VALU_DEP_2)
	v_fma_f64 v[4:5], v[18:19], v[200:201], -v[4:5]
	v_fmac_f64_e32 v[202:203], v[20:21], v[200:201]
	s_delay_alu instid0(VALU_DEP_2) | instskip(NEXT) | instid1(VALU_DEP_2)
	v_add_f64_e32 v[18:19], 0, v[4:5]
	v_add_f64_e32 v[20:21], 0, v[202:203]
	s_and_saveexec_b32 s36, s11
	s_cbranch_execnz .LBB74_520
; %bb.86:                               ;   in Loop: Header=BB74_3 Depth=1
	s_or_b32 exec_lo, exec_lo, s36
	s_and_saveexec_b32 s36, s12
	s_cbranch_execnz .LBB74_521
.LBB74_87:                              ;   in Loop: Header=BB74_3 Depth=1
	s_or_b32 exec_lo, exec_lo, s36
	s_and_saveexec_b32 s36, s13
	s_cbranch_execnz .LBB74_522
.LBB74_88:                              ;   in Loop: Header=BB74_3 Depth=1
	s_or_b32 exec_lo, exec_lo, s36
	s_and_saveexec_b32 s36, s14
	s_cbranch_execnz .LBB74_523
.LBB74_89:                              ;   in Loop: Header=BB74_3 Depth=1
	s_or_b32 exec_lo, exec_lo, s36
	s_and_saveexec_b32 s36, s15
	s_cbranch_execnz .LBB74_524
.LBB74_90:                              ;   in Loop: Header=BB74_3 Depth=1
	s_or_b32 exec_lo, exec_lo, s36
	s_and_saveexec_b32 s36, s2
	s_cbranch_execnz .LBB74_525
.LBB74_91:                              ;   in Loop: Header=BB74_3 Depth=1
	s_or_b32 exec_lo, exec_lo, s36
	s_and_saveexec_b32 s36, s10
	s_cbranch_execz .LBB74_93
.LBB74_92:                              ;   in Loop: Header=BB74_3 Depth=1
	ds_load_b128 v[200:203], v3 offset:16368
	ds_load_b128 v[204:207], v27 offset:16128
	s_wait_dscnt 0x0
	v_mul_f64_e32 v[4:5], v[202:203], v[206:207]
	s_delay_alu instid0(VALU_DEP_1) | instskip(SKIP_1) | instid1(VALU_DEP_2)
	v_fma_f64 v[4:5], v[200:201], v[204:205], -v[4:5]
	v_mul_f64_e32 v[200:201], v[200:201], v[206:207]
	v_add_f64_e32 v[18:19], v[18:19], v[4:5]
	s_delay_alu instid0(VALU_DEP_2) | instskip(NEXT) | instid1(VALU_DEP_1)
	v_fmac_f64_e32 v[200:201], v[202:203], v[204:205]
	v_add_f64_e32 v[20:21], v[20:21], v[200:201]
.LBB74_93:                              ;   in Loop: Header=BB74_3 Depth=1
	s_or_b32 exec_lo, exec_lo, s36
.LBB74_94:                              ;   in Loop: Header=BB74_3 Depth=1
	s_delay_alu instid0(SALU_CYCLE_1)
	s_or_b32 exec_lo, exec_lo, s33
	s_and_saveexec_b32 s33, s74
	s_cbranch_execz .LBB74_96
; %bb.95:                               ;   in Loop: Header=BB74_3 Depth=1
	s_delay_alu instid0(VALU_DEP_2) | instskip(NEXT) | instid1(VALU_DEP_2)
	v_xor_b32_e32 v201, 0x80000000, v19
	v_xor_b32_e32 v203, 0x80000000, v21
	s_delay_alu instid0(VALU_DEP_3)
	v_dual_mov_b32 v200, v18 :: v_dual_mov_b32 v202, v20
	ds_store_b128 v186, v[200:203]
.LBB74_96:                              ;   in Loop: Header=BB74_3 Depth=1
	s_or_b32 exec_lo, exec_lo, s33
	s_wait_loadcnt_dscnt 0x0
	s_barrier_signal -1
	s_barrier_wait -1
	s_and_saveexec_b32 s33, s75
	s_cbranch_execz .LBB74_98
; %bb.97:                               ;   in Loop: Header=BB74_3 Depth=1
	ds_load_b128 v[200:203], v186
	ds_load_b128 v[204:207], v182 offset:12032
	s_wait_dscnt 0x0
	v_mul_f64_e32 v[4:5], v[202:203], v[206:207]
	s_delay_alu instid0(VALU_DEP_1) | instskip(SKIP_1) | instid1(VALU_DEP_2)
	v_fma_f64 v[4:5], v[200:201], v[204:205], -v[4:5]
	v_mul_f64_e32 v[200:201], v[200:201], v[206:207]
	v_add_f64_e64 v[18:19], v[18:19], -v[4:5]
	s_delay_alu instid0(VALU_DEP_2) | instskip(NEXT) | instid1(VALU_DEP_1)
	v_fmac_f64_e32 v[200:201], v[202:203], v[204:205]
	v_add_f64_e64 v[20:21], v[20:21], -v[200:201]
.LBB74_98:                              ;   in Loop: Header=BB74_3 Depth=1
	s_or_b32 exec_lo, exec_lo, s33
	s_barrier_signal -1
	s_barrier_wait -1
	s_and_saveexec_b32 s33, s76
	s_cbranch_execz .LBB74_100
; %bb.99:                               ;   in Loop: Header=BB74_3 Depth=1
	s_delay_alu instid0(VALU_DEP_2) | instskip(NEXT) | instid1(VALU_DEP_2)
	v_xor_b32_e32 v201, 0x80000000, v19
	v_xor_b32_e32 v203, 0x80000000, v21
	s_delay_alu instid0(VALU_DEP_3)
	v_dual_mov_b32 v200, v18 :: v_dual_mov_b32 v202, v20
	ds_store_b128 v186, v[200:203]
.LBB74_100:                             ;   in Loop: Header=BB74_3 Depth=1
	s_or_b32 exec_lo, exec_lo, s33
	s_wait_dscnt 0x0
	s_barrier_signal -1
	s_barrier_wait -1
	s_and_saveexec_b32 s33, s77
	s_cbranch_execz .LBB74_102
; %bb.101:                              ;   in Loop: Header=BB74_3 Depth=1
	ds_load_b128 v[200:203], v186
	ds_load_b128 v[204:207], v182 offset:11520
	s_wait_dscnt 0x0
	v_mul_f64_e32 v[4:5], v[202:203], v[206:207]
	s_delay_alu instid0(VALU_DEP_1) | instskip(SKIP_1) | instid1(VALU_DEP_2)
	v_fma_f64 v[4:5], v[200:201], v[204:205], -v[4:5]
	v_mul_f64_e32 v[200:201], v[200:201], v[206:207]
	v_add_f64_e64 v[18:19], v[18:19], -v[4:5]
	s_delay_alu instid0(VALU_DEP_2) | instskip(NEXT) | instid1(VALU_DEP_1)
	v_fmac_f64_e32 v[200:201], v[202:203], v[204:205]
	v_add_f64_e64 v[20:21], v[20:21], -v[200:201]
.LBB74_102:                             ;   in Loop: Header=BB74_3 Depth=1
	s_or_b32 exec_lo, exec_lo, s33
	s_barrier_signal -1
	s_barrier_wait -1
	s_and_saveexec_b32 s33, s78
	s_cbranch_execz .LBB74_104
; %bb.103:                              ;   in Loop: Header=BB74_3 Depth=1
	s_delay_alu instid0(VALU_DEP_2) | instskip(NEXT) | instid1(VALU_DEP_2)
	v_xor_b32_e32 v201, 0x80000000, v19
	v_xor_b32_e32 v203, 0x80000000, v21
	s_delay_alu instid0(VALU_DEP_3)
	v_dual_mov_b32 v200, v18 :: v_dual_mov_b32 v202, v20
	ds_store_b128 v186, v[200:203]
.LBB74_104:                             ;   in Loop: Header=BB74_3 Depth=1
	s_or_b32 exec_lo, exec_lo, s33
	s_wait_dscnt 0x0
	s_barrier_signal -1
	s_barrier_wait -1
	s_and_saveexec_b32 s33, s79
	s_cbranch_execz .LBB74_106
; %bb.105:                              ;   in Loop: Header=BB74_3 Depth=1
	ds_load_b128 v[200:203], v186
	ds_load_b128 v[204:207], v182 offset:11008
	s_wait_dscnt 0x0
	v_mul_f64_e32 v[4:5], v[202:203], v[206:207]
	s_delay_alu instid0(VALU_DEP_1) | instskip(SKIP_1) | instid1(VALU_DEP_2)
	v_fma_f64 v[4:5], v[200:201], v[204:205], -v[4:5]
	v_mul_f64_e32 v[200:201], v[200:201], v[206:207]
	v_add_f64_e64 v[18:19], v[18:19], -v[4:5]
	s_delay_alu instid0(VALU_DEP_2) | instskip(NEXT) | instid1(VALU_DEP_1)
	v_fmac_f64_e32 v[200:201], v[202:203], v[204:205]
	v_add_f64_e64 v[20:21], v[20:21], -v[200:201]
.LBB74_106:                             ;   in Loop: Header=BB74_3 Depth=1
	s_or_b32 exec_lo, exec_lo, s33
	s_barrier_signal -1
	s_barrier_wait -1
	s_and_saveexec_b32 s33, s80
	s_cbranch_execz .LBB74_108
; %bb.107:                              ;   in Loop: Header=BB74_3 Depth=1
	s_delay_alu instid0(VALU_DEP_2) | instskip(NEXT) | instid1(VALU_DEP_2)
	v_xor_b32_e32 v201, 0x80000000, v19
	v_xor_b32_e32 v203, 0x80000000, v21
	s_delay_alu instid0(VALU_DEP_3)
	v_dual_mov_b32 v200, v18 :: v_dual_mov_b32 v202, v20
	ds_store_b128 v186, v[200:203]
.LBB74_108:                             ;   in Loop: Header=BB74_3 Depth=1
	;; [unrolled: 32-line block ×6, first 2 shown]
	s_or_b32 exec_lo, exec_lo, s33
	s_wait_dscnt 0x0
	s_barrier_signal -1
	s_barrier_wait -1
	s_barrier_signal -1
	s_barrier_wait -1
	s_and_saveexec_b32 s33, s3
; %bb.125:                              ;   in Loop: Header=BB74_3 Depth=1
	ds_store_b128 v187, v[18:21] offset:16128
; %bb.126:                              ;   in Loop: Header=BB74_3 Depth=1
	s_or_b32 exec_lo, exec_lo, s33
	s_wait_dscnt 0x0
	s_barrier_signal -1
	s_barrier_wait -1
	s_barrier_signal -1
	s_barrier_wait -1
	s_and_saveexec_b32 s33, s88
	s_cbranch_execz .LBB74_128
; %bb.127:                              ;   in Loop: Header=BB74_3 Depth=1
	ds_load_b128 v[18:21], v50
	s_wait_dscnt 0x0
	ds_store_b128 v124, v[18:21]
	ds_load_b128 v[18:21], v51
	s_wait_dscnt 0x0
	ds_store_b128 v125, v[18:21]
	;; [unrolled: 3-line block ×8, first 2 shown]
.LBB74_128:                             ;   in Loop: Header=BB74_3 Depth=1
	s_or_b32 exec_lo, exec_lo, s33
	s_wait_dscnt 0x0
	s_barrier_signal -1
	s_barrier_wait -1
	s_and_saveexec_b32 s33, s27
	s_cbranch_execz .LBB74_130
; %bb.129:                              ;   in Loop: Header=BB74_3 Depth=1
	s_mov_b32 s36, s35
	s_mov_b32 s38, s35
	;; [unrolled: 1-line block ×3, first 2 shown]
	v_mov_b64_e32 v[18:19], s[36:37]
	v_mov_b64_e32 v[20:21], s[38:39]
	ds_store_b128 v3, v[18:21] offset:11616
	ds_store_b128 v3, v[18:21] offset:12144
	ds_load_b128 v[18:21], v3 offset:12128
	s_wait_dscnt 0x0
	ds_store_b128 v3, v[18:21] offset:11632
.LBB74_130:                             ;   in Loop: Header=BB74_3 Depth=1
	s_or_b32 exec_lo, exec_lo, s33
	v_mov_b64_e32 v[18:19], 0
	v_mov_b64_e32 v[20:21], 0
	s_wait_dscnt 0x0
	s_barrier_signal -1
	s_barrier_wait -1
	global_wb scope:SCOPE_DEV
	s_wait_storecnt 0x0
	global_inv scope:SCOPE_DEV
	s_and_saveexec_b32 s33, s0
	s_cbranch_execz .LBB74_134
; %bb.131:                              ;   in Loop: Header=BB74_3 Depth=1
	ds_load_b128 v[18:21], v44 offset:12128
	ds_load_b128 v[200:203], v178 offset:11584
	s_wait_dscnt 0x0
	v_mul_f64_e32 v[4:5], v[20:21], v[202:203]
	v_mul_f64_e32 v[202:203], v[18:19], v[202:203]
	s_delay_alu instid0(VALU_DEP_2) | instskip(NEXT) | instid1(VALU_DEP_2)
	v_fma_f64 v[4:5], v[18:19], v[200:201], -v[4:5]
	v_fmac_f64_e32 v[202:203], v[20:21], v[200:201]
	s_delay_alu instid0(VALU_DEP_2) | instskip(NEXT) | instid1(VALU_DEP_2)
	v_add_f64_e32 v[18:19], 0, v[4:5]
	v_add_f64_e32 v[20:21], 0, v[202:203]
	s_and_saveexec_b32 s36, s8
	s_cbranch_execz .LBB74_133
; %bb.132:                              ;   in Loop: Header=BB74_3 Depth=1
	ds_load_b128 v[200:203], v3 offset:12144
	ds_load_b128 v[204:207], v47 offset:12096
	s_wait_dscnt 0x0
	v_mul_f64_e32 v[4:5], v[202:203], v[206:207]
	s_delay_alu instid0(VALU_DEP_1) | instskip(SKIP_1) | instid1(VALU_DEP_2)
	v_fma_f64 v[4:5], v[200:201], v[204:205], -v[4:5]
	v_mul_f64_e32 v[200:201], v[200:201], v[206:207]
	v_add_f64_e32 v[18:19], v[18:19], v[4:5]
	s_delay_alu instid0(VALU_DEP_2) | instskip(NEXT) | instid1(VALU_DEP_1)
	v_fmac_f64_e32 v[200:201], v[202:203], v[204:205]
	v_add_f64_e32 v[20:21], v[20:21], v[200:201]
.LBB74_133:                             ;   in Loop: Header=BB74_3 Depth=1
	s_or_b32 exec_lo, exec_lo, s36
.LBB74_134:                             ;   in Loop: Header=BB74_3 Depth=1
	s_delay_alu instid0(SALU_CYCLE_1)
	s_or_b32 exec_lo, exec_lo, s33
	s_and_saveexec_b32 s33, s64
	s_cbranch_execz .LBB74_136
; %bb.135:                              ;   in Loop: Header=BB74_3 Depth=1
	s_delay_alu instid0(VALU_DEP_2) | instskip(NEXT) | instid1(VALU_DEP_2)
	v_xor_b32_e32 v201, 0x80000000, v19
	v_xor_b32_e32 v203, 0x80000000, v21
	s_delay_alu instid0(VALU_DEP_3)
	v_dual_mov_b32 v200, v18 :: v_dual_mov_b32 v202, v20
	ds_store_b128 v179, v[200:203]
.LBB74_136:                             ;   in Loop: Header=BB74_3 Depth=1
	s_or_b32 exec_lo, exec_lo, s33
	s_wait_loadcnt_dscnt 0x0
	s_barrier_signal -1
	s_barrier_wait -1
	s_and_saveexec_b32 s33, s65
	s_cbranch_execz .LBB74_138
; %bb.137:                              ;   in Loop: Header=BB74_3 Depth=1
	ds_load_b128 v[200:203], v179
	ds_load_b128 v[204:207], v3 offset:11072
	s_wait_dscnt 0x0
	v_mul_f64_e32 v[4:5], v[200:201], v[204:205]
	v_mul_f64_e32 v[200:201], v[200:201], v[206:207]
	s_delay_alu instid0(VALU_DEP_2) | instskip(NEXT) | instid1(VALU_DEP_2)
	v_fma_f64 v[4:5], v[202:203], v[206:207], -v[4:5]
	v_fmac_f64_e32 v[200:201], v[202:203], v[204:205]
	s_delay_alu instid0(VALU_DEP_2) | instskip(NEXT) | instid1(VALU_DEP_2)
	v_add_f64_e32 v[18:19], v[18:19], v[4:5]
	v_add_f64_e64 v[20:21], v[20:21], -v[200:201]
.LBB74_138:                             ;   in Loop: Header=BB74_3 Depth=1
	s_or_b32 exec_lo, exec_lo, s33
	s_barrier_signal -1
	s_barrier_wait -1
	s_and_saveexec_b32 s33, s65
	s_cbranch_execz .LBB74_140
; %bb.139:                              ;   in Loop: Header=BB74_3 Depth=1
	s_delay_alu instid0(VALU_DEP_2) | instskip(NEXT) | instid1(VALU_DEP_2)
	v_xor_b32_e32 v201, 0x80000000, v19
	v_xor_b32_e32 v203, 0x80000000, v21
	s_delay_alu instid0(VALU_DEP_3)
	v_dual_mov_b32 v200, v18 :: v_dual_mov_b32 v202, v20
	ds_store_b128 v179, v[200:203]
.LBB74_140:                             ;   in Loop: Header=BB74_3 Depth=1
	s_or_b32 exec_lo, exec_lo, s33
	s_wait_dscnt 0x0
	s_barrier_signal -1
	s_barrier_wait -1
	s_barrier_signal -1
	s_barrier_wait -1
	s_and_saveexec_b32 s33, s0
; %bb.141:                              ;   in Loop: Header=BB74_3 Depth=1
	ds_store_b128 v181, v[18:21] offset:12096
; %bb.142:                              ;   in Loop: Header=BB74_3 Depth=1
	s_or_b32 exec_lo, exec_lo, s33
	s_wait_dscnt 0x0
	s_barrier_signal -1
	s_barrier_wait -1
	s_barrier_signal -1
	s_barrier_wait -1
	s_and_saveexec_b32 s33, s66
	s_cbranch_execz .LBB74_144
; %bb.143:                              ;   in Loop: Header=BB74_3 Depth=1
	ds_load_b128 v[18:21], v89
	s_wait_dscnt 0x0
	ds_store_b128 v132, v[18:21]
	ds_load_b128 v[18:21], v90
	s_wait_dscnt 0x0
	ds_store_b128 v133, v[18:21]
.LBB74_144:                             ;   in Loop: Header=BB74_3 Depth=1
	s_or_b32 exec_lo, exec_lo, s33
	s_wait_dscnt 0x0
	s_barrier_signal -1
	s_barrier_wait -1
	s_and_saveexec_b32 s33, s27
	s_cbranch_execz .LBB74_146
; %bb.145:                              ;   in Loop: Header=BB74_3 Depth=1
	s_mov_b32 s36, s35
	s_mov_b32 s38, s35
	;; [unrolled: 1-line block ×3, first 2 shown]
	v_mov_b64_e32 v[18:19], s[36:37]
	v_mov_b64_e32 v[20:21], s[38:39]
	ds_store_b128 v3, v[18:21] offset:10560
	ds_store_b128 v3, v[18:21] offset:11088
	ds_load_b128 v[18:21], v3 offset:11072
	s_wait_dscnt 0x0
	ds_store_b128 v3, v[18:21] offset:10576
.LBB74_146:                             ;   in Loop: Header=BB74_3 Depth=1
	s_or_b32 exec_lo, exec_lo, s33
	v_mov_b64_e32 v[20:21], 0
	v_mov_b64_e32 v[18:19], 0
	s_wait_dscnt 0x0
	s_barrier_signal -1
	s_barrier_wait -1
	global_wb scope:SCOPE_DEV
	s_wait_storecnt 0x0
	global_inv scope:SCOPE_DEV
	s_and_saveexec_b32 s33, s2
	s_cbranch_execz .LBB74_152
; %bb.147:                              ;   in Loop: Header=BB74_3 Depth=1
	ds_load_b128 v[18:21], v48 offset:12096
	ds_load_b128 v[200:203], v180 offset:10496
	s_wait_dscnt 0x0
	v_mul_f64_e32 v[4:5], v[20:21], v[202:203]
	v_mul_f64_e32 v[202:203], v[18:19], v[202:203]
	s_delay_alu instid0(VALU_DEP_2) | instskip(NEXT) | instid1(VALU_DEP_2)
	v_fma_f64 v[4:5], v[18:19], v[200:201], -v[4:5]
	v_fmac_f64_e32 v[202:203], v[20:21], v[200:201]
	s_delay_alu instid0(VALU_DEP_2) | instskip(NEXT) | instid1(VALU_DEP_2)
	v_add_f64_e32 v[18:19], 0, v[4:5]
	v_add_f64_e32 v[20:21], 0, v[202:203]
	s_and_saveexec_b32 s36, s9
	s_cbranch_execnz .LBB74_526
; %bb.148:                              ;   in Loop: Header=BB74_3 Depth=1
	s_or_b32 exec_lo, exec_lo, s36
	s_and_saveexec_b32 s36, s10
	s_cbranch_execnz .LBB74_527
.LBB74_149:                             ;   in Loop: Header=BB74_3 Depth=1
	s_or_b32 exec_lo, exec_lo, s36
	s_and_saveexec_b32 s36, s0
	s_cbranch_execz .LBB74_151
.LBB74_150:                             ;   in Loop: Header=BB74_3 Depth=1
	ds_load_b128 v[200:203], v3 offset:12144
	ds_load_b128 v[204:207], v87 offset:12032
	s_wait_dscnt 0x0
	v_mul_f64_e32 v[4:5], v[202:203], v[206:207]
	s_delay_alu instid0(VALU_DEP_1) | instskip(SKIP_1) | instid1(VALU_DEP_2)
	v_fma_f64 v[4:5], v[200:201], v[204:205], -v[4:5]
	v_mul_f64_e32 v[200:201], v[200:201], v[206:207]
	v_add_f64_e32 v[18:19], v[18:19], v[4:5]
	s_delay_alu instid0(VALU_DEP_2) | instskip(NEXT) | instid1(VALU_DEP_1)
	v_fmac_f64_e32 v[200:201], v[202:203], v[204:205]
	v_add_f64_e32 v[20:21], v[20:21], v[200:201]
.LBB74_151:                             ;   in Loop: Header=BB74_3 Depth=1
	s_or_b32 exec_lo, exec_lo, s36
.LBB74_152:                             ;   in Loop: Header=BB74_3 Depth=1
	s_delay_alu instid0(SALU_CYCLE_1)
	s_or_b32 exec_lo, exec_lo, s33
	s_and_saveexec_b32 s33, s67
	s_cbranch_execz .LBB74_154
; %bb.153:                              ;   in Loop: Header=BB74_3 Depth=1
	s_delay_alu instid0(VALU_DEP_1) | instskip(NEXT) | instid1(VALU_DEP_3)
	v_xor_b32_e32 v203, 0x80000000, v21
	v_xor_b32_e32 v201, 0x80000000, v19
	s_delay_alu instid0(VALU_DEP_3)
	v_dual_mov_b32 v200, v18 :: v_dual_mov_b32 v202, v20
	ds_store_b128 v183, v[200:203]
.LBB74_154:                             ;   in Loop: Header=BB74_3 Depth=1
	s_or_b32 exec_lo, exec_lo, s33
	s_wait_loadcnt_dscnt 0x0
	s_barrier_signal -1
	s_barrier_wait -1
	s_and_saveexec_b32 s33, s68
	s_cbranch_execz .LBB74_156
; %bb.155:                              ;   in Loop: Header=BB74_3 Depth=1
	ds_load_b128 v[200:203], v183
	ds_load_b128 v[204:207], v180 offset:9984
	s_wait_dscnt 0x0
	v_mul_f64_e32 v[4:5], v[202:203], v[206:207]
	s_delay_alu instid0(VALU_DEP_1) | instskip(SKIP_1) | instid1(VALU_DEP_2)
	v_fma_f64 v[4:5], v[200:201], v[204:205], -v[4:5]
	v_mul_f64_e32 v[200:201], v[200:201], v[206:207]
	v_add_f64_e64 v[18:19], v[18:19], -v[4:5]
	s_delay_alu instid0(VALU_DEP_2) | instskip(NEXT) | instid1(VALU_DEP_1)
	v_fmac_f64_e32 v[200:201], v[202:203], v[204:205]
	v_add_f64_e64 v[20:21], v[20:21], -v[200:201]
.LBB74_156:                             ;   in Loop: Header=BB74_3 Depth=1
	s_or_b32 exec_lo, exec_lo, s33
	s_barrier_signal -1
	s_barrier_wait -1
	s_and_saveexec_b32 s33, s69
	s_cbranch_execz .LBB74_158
; %bb.157:                              ;   in Loop: Header=BB74_3 Depth=1
	s_delay_alu instid0(VALU_DEP_1) | instskip(NEXT) | instid1(VALU_DEP_3)
	v_xor_b32_e32 v203, 0x80000000, v21
	v_xor_b32_e32 v201, 0x80000000, v19
	s_delay_alu instid0(VALU_DEP_3)
	v_dual_mov_b32 v200, v18 :: v_dual_mov_b32 v202, v20
	ds_store_b128 v183, v[200:203]
.LBB74_158:                             ;   in Loop: Header=BB74_3 Depth=1
	s_or_b32 exec_lo, exec_lo, s33
	s_wait_dscnt 0x0
	s_barrier_signal -1
	s_barrier_wait -1
	s_and_saveexec_b32 s33, s70
	s_cbranch_execz .LBB74_160
; %bb.159:                              ;   in Loop: Header=BB74_3 Depth=1
	ds_load_b128 v[200:203], v183
	ds_load_b128 v[204:207], v180 offset:9472
	s_wait_dscnt 0x0
	v_mul_f64_e32 v[4:5], v[202:203], v[206:207]
	s_delay_alu instid0(VALU_DEP_1) | instskip(SKIP_1) | instid1(VALU_DEP_2)
	v_fma_f64 v[4:5], v[200:201], v[204:205], -v[4:5]
	v_mul_f64_e32 v[200:201], v[200:201], v[206:207]
	v_add_f64_e64 v[18:19], v[18:19], -v[4:5]
	s_delay_alu instid0(VALU_DEP_2) | instskip(NEXT) | instid1(VALU_DEP_1)
	v_fmac_f64_e32 v[200:201], v[202:203], v[204:205]
	v_add_f64_e64 v[20:21], v[20:21], -v[200:201]
.LBB74_160:                             ;   in Loop: Header=BB74_3 Depth=1
	s_or_b32 exec_lo, exec_lo, s33
	s_barrier_signal -1
	s_barrier_wait -1
	s_and_saveexec_b32 s33, s71
	s_cbranch_execz .LBB74_162
; %bb.161:                              ;   in Loop: Header=BB74_3 Depth=1
	s_delay_alu instid0(VALU_DEP_1) | instskip(NEXT) | instid1(VALU_DEP_3)
	v_xor_b32_e32 v203, 0x80000000, v21
	v_xor_b32_e32 v201, 0x80000000, v19
	s_delay_alu instid0(VALU_DEP_3)
	v_dual_mov_b32 v200, v18 :: v_dual_mov_b32 v202, v20
	ds_store_b128 v183, v[200:203]
.LBB74_162:                             ;   in Loop: Header=BB74_3 Depth=1
	s_or_b32 exec_lo, exec_lo, s33
	s_wait_dscnt 0x0
	;; [unrolled: 32-line block ×3, first 2 shown]
	s_barrier_signal -1
	s_barrier_wait -1
	s_barrier_signal -1
	s_barrier_wait -1
	s_and_saveexec_b32 s33, s2
; %bb.167:                              ;   in Loop: Header=BB74_3 Depth=1
	ds_store_b128 v185, v[18:21] offset:12032
; %bb.168:                              ;   in Loop: Header=BB74_3 Depth=1
	s_or_b32 exec_lo, exec_lo, s33
	s_wait_dscnt 0x0
	s_barrier_signal -1
	s_barrier_wait -1
	s_barrier_signal -1
	s_barrier_wait -1
	s_and_saveexec_b32 s33, s73
	s_cbranch_execz .LBB74_170
; %bb.169:                              ;   in Loop: Header=BB74_3 Depth=1
	ds_load_b128 v[18:21], v99
	s_wait_dscnt 0x0
	ds_store_b128 v134, v[18:21]
	ds_load_b128 v[18:21], v102
	s_wait_dscnt 0x0
	ds_store_b128 v137, v[18:21]
	;; [unrolled: 3-line block ×4, first 2 shown]
.LBB74_170:                             ;   in Loop: Header=BB74_3 Depth=1
	s_or_b32 exec_lo, exec_lo, s33
	s_wait_dscnt 0x0
	s_barrier_signal -1
	s_barrier_wait -1
	s_and_saveexec_b32 s33, s27
	s_cbranch_execz .LBB74_172
; %bb.171:                              ;   in Loop: Header=BB74_3 Depth=1
	s_mov_b32 s36, s35
	s_mov_b32 s38, s35
	s_mov_b32 s39, s35
	v_mov_b64_e32 v[18:19], s[36:37]
	v_mov_b64_e32 v[20:21], s[38:39]
	ds_store_b128 v3, v[18:21] offset:9504
	ds_store_b128 v3, v[18:21] offset:10032
	ds_load_b128 v[18:21], v3 offset:10016
	s_wait_dscnt 0x0
	ds_store_b128 v3, v[18:21] offset:9520
.LBB74_172:                             ;   in Loop: Header=BB74_3 Depth=1
	s_or_b32 exec_lo, exec_lo, s33
	v_mov_b64_e32 v[18:19], 0
	v_mov_b64_e32 v[20:21], 0
	s_wait_dscnt 0x0
	s_barrier_signal -1
	s_barrier_wait -1
	global_wb scope:SCOPE_DEV
	s_wait_storecnt 0x0
	global_inv scope:SCOPE_DEV
	s_and_saveexec_b32 s33, s0
	s_cbranch_execz .LBB74_176
; %bb.173:                              ;   in Loop: Header=BB74_3 Depth=1
	ds_load_b128 v[18:21], v44 offset:10016
	ds_load_b128 v[200:203], v178 offset:9472
	s_wait_dscnt 0x0
	v_mul_f64_e32 v[4:5], v[20:21], v[202:203]
	v_mul_f64_e32 v[202:203], v[18:19], v[202:203]
	s_delay_alu instid0(VALU_DEP_2) | instskip(NEXT) | instid1(VALU_DEP_2)
	v_fma_f64 v[4:5], v[18:19], v[200:201], -v[4:5]
	v_fmac_f64_e32 v[202:203], v[20:21], v[200:201]
	s_delay_alu instid0(VALU_DEP_2) | instskip(NEXT) | instid1(VALU_DEP_2)
	v_add_f64_e32 v[18:19], 0, v[4:5]
	v_add_f64_e32 v[20:21], 0, v[202:203]
	s_and_saveexec_b32 s36, s8
	s_cbranch_execz .LBB74_175
; %bb.174:                              ;   in Loop: Header=BB74_3 Depth=1
	ds_load_b128 v[200:203], v3 offset:10032
	ds_load_b128 v[204:207], v98 offset:9984
	s_wait_dscnt 0x0
	v_mul_f64_e32 v[4:5], v[202:203], v[206:207]
	s_delay_alu instid0(VALU_DEP_1) | instskip(SKIP_1) | instid1(VALU_DEP_2)
	v_fma_f64 v[4:5], v[200:201], v[204:205], -v[4:5]
	v_mul_f64_e32 v[200:201], v[200:201], v[206:207]
	v_add_f64_e32 v[18:19], v[18:19], v[4:5]
	s_delay_alu instid0(VALU_DEP_2) | instskip(NEXT) | instid1(VALU_DEP_1)
	v_fmac_f64_e32 v[200:201], v[202:203], v[204:205]
	v_add_f64_e32 v[20:21], v[20:21], v[200:201]
.LBB74_175:                             ;   in Loop: Header=BB74_3 Depth=1
	s_or_b32 exec_lo, exec_lo, s36
.LBB74_176:                             ;   in Loop: Header=BB74_3 Depth=1
	s_delay_alu instid0(SALU_CYCLE_1)
	s_or_b32 exec_lo, exec_lo, s33
	s_and_saveexec_b32 s33, s64
	s_cbranch_execz .LBB74_178
; %bb.177:                              ;   in Loop: Header=BB74_3 Depth=1
	s_delay_alu instid0(VALU_DEP_2) | instskip(NEXT) | instid1(VALU_DEP_2)
	v_xor_b32_e32 v201, 0x80000000, v19
	v_xor_b32_e32 v203, 0x80000000, v21
	s_delay_alu instid0(VALU_DEP_3)
	v_dual_mov_b32 v200, v18 :: v_dual_mov_b32 v202, v20
	ds_store_b128 v179, v[200:203]
.LBB74_178:                             ;   in Loop: Header=BB74_3 Depth=1
	s_or_b32 exec_lo, exec_lo, s33
	s_wait_loadcnt_dscnt 0x0
	s_barrier_signal -1
	s_barrier_wait -1
	s_and_saveexec_b32 s33, s65
	s_cbranch_execz .LBB74_180
; %bb.179:                              ;   in Loop: Header=BB74_3 Depth=1
	ds_load_b128 v[200:203], v179
	ds_load_b128 v[204:207], v3 offset:8960
	s_wait_dscnt 0x0
	v_mul_f64_e32 v[4:5], v[200:201], v[204:205]
	v_mul_f64_e32 v[200:201], v[200:201], v[206:207]
	s_delay_alu instid0(VALU_DEP_2) | instskip(NEXT) | instid1(VALU_DEP_2)
	v_fma_f64 v[4:5], v[202:203], v[206:207], -v[4:5]
	v_fmac_f64_e32 v[200:201], v[202:203], v[204:205]
	s_delay_alu instid0(VALU_DEP_2) | instskip(NEXT) | instid1(VALU_DEP_2)
	v_add_f64_e32 v[18:19], v[18:19], v[4:5]
	v_add_f64_e64 v[20:21], v[20:21], -v[200:201]
.LBB74_180:                             ;   in Loop: Header=BB74_3 Depth=1
	s_or_b32 exec_lo, exec_lo, s33
	s_barrier_signal -1
	s_barrier_wait -1
	s_and_saveexec_b32 s33, s65
	s_cbranch_execz .LBB74_182
; %bb.181:                              ;   in Loop: Header=BB74_3 Depth=1
	s_delay_alu instid0(VALU_DEP_2) | instskip(NEXT) | instid1(VALU_DEP_2)
	v_xor_b32_e32 v201, 0x80000000, v19
	v_xor_b32_e32 v203, 0x80000000, v21
	s_delay_alu instid0(VALU_DEP_3)
	v_dual_mov_b32 v200, v18 :: v_dual_mov_b32 v202, v20
	ds_store_b128 v179, v[200:203]
.LBB74_182:                             ;   in Loop: Header=BB74_3 Depth=1
	s_or_b32 exec_lo, exec_lo, s33
	s_wait_dscnt 0x0
	s_barrier_signal -1
	s_barrier_wait -1
	s_barrier_signal -1
	s_barrier_wait -1
	s_and_saveexec_b32 s33, s0
; %bb.183:                              ;   in Loop: Header=BB74_3 Depth=1
	ds_store_b128 v181, v[18:21] offset:9984
; %bb.184:                              ;   in Loop: Header=BB74_3 Depth=1
	s_or_b32 exec_lo, exec_lo, s33
	s_wait_dscnt 0x0
	s_barrier_signal -1
	s_barrier_wait -1
	s_barrier_signal -1
	s_barrier_wait -1
	s_and_saveexec_b32 s33, s66
	s_cbranch_execz .LBB74_186
; %bb.185:                              ;   in Loop: Header=BB74_3 Depth=1
	ds_load_b128 v[18:21], v108
	s_wait_dscnt 0x0
	ds_store_b128 v112, v[18:21]
	ds_load_b128 v[18:21], v109
	s_wait_dscnt 0x0
	ds_store_b128 v113, v[18:21]
.LBB74_186:                             ;   in Loop: Header=BB74_3 Depth=1
	s_or_b32 exec_lo, exec_lo, s33
	s_wait_dscnt 0x0
	s_barrier_signal -1
	s_barrier_wait -1
	s_and_saveexec_b32 s33, s27
	s_cbranch_execz .LBB74_188
; %bb.187:                              ;   in Loop: Header=BB74_3 Depth=1
	s_mov_b32 s36, s35
	s_mov_b32 s38, s35
	;; [unrolled: 1-line block ×3, first 2 shown]
	v_mov_b64_e32 v[18:19], s[36:37]
	v_mov_b64_e32 v[20:21], s[38:39]
	ds_store_b128 v3, v[18:21] offset:8448
	ds_store_b128 v3, v[18:21] offset:8976
	ds_load_b128 v[18:21], v3 offset:8960
	s_wait_dscnt 0x0
	ds_store_b128 v3, v[18:21] offset:8464
.LBB74_188:                             ;   in Loop: Header=BB74_3 Depth=1
	s_or_b32 exec_lo, exec_lo, s33
	v_mov_b64_e32 v[20:21], 0
	v_mov_b64_e32 v[18:19], 0
	s_wait_dscnt 0x0
	s_barrier_signal -1
	s_barrier_wait -1
	global_wb scope:SCOPE_DEV
	s_wait_storecnt 0x0
	global_inv scope:SCOPE_DEV
	s_and_saveexec_b32 s33, s4
	s_cbranch_execz .LBB74_216
; %bb.189:                              ;   in Loop: Header=BB74_3 Depth=1
	ds_load_b128 v[18:21], v58 offset:16128
	ds_load_b128 v[200:203], v184 offset:8192
	s_wait_dscnt 0x0
	v_mul_f64_e32 v[4:5], v[20:21], v[202:203]
	v_mul_f64_e32 v[202:203], v[18:19], v[202:203]
	s_delay_alu instid0(VALU_DEP_2) | instskip(NEXT) | instid1(VALU_DEP_2)
	v_fma_f64 v[4:5], v[18:19], v[200:201], -v[4:5]
	v_fmac_f64_e32 v[202:203], v[20:21], v[200:201]
	s_delay_alu instid0(VALU_DEP_2) | instskip(NEXT) | instid1(VALU_DEP_2)
	v_add_f64_e32 v[18:19], 0, v[4:5]
	v_add_f64_e32 v[20:21], 0, v[202:203]
	s_mov_b32 s36, exec_lo
	v_readlane_b32 s38, v208, 14
	s_and_b32 s38, s36, s38
	s_delay_alu instid0(SALU_CYCLE_1)
	s_mov_b32 exec_lo, s38
	s_cbranch_execz .LBB74_191
; %bb.190:                              ;   in Loop: Header=BB74_3 Depth=1
	ds_load_b128 v[200:203], v58 offset:16144
	ds_load_b128 v[204:207], v184 offset:8704
	s_wait_dscnt 0x0
	v_mul_f64_e32 v[4:5], v[202:203], v[206:207]
	s_delay_alu instid0(VALU_DEP_1) | instskip(SKIP_1) | instid1(VALU_DEP_2)
	v_fma_f64 v[4:5], v[200:201], v[204:205], -v[4:5]
	v_mul_f64_e32 v[200:201], v[200:201], v[206:207]
	v_add_f64_e32 v[18:19], v[18:19], v[4:5]
	s_delay_alu instid0(VALU_DEP_2) | instskip(NEXT) | instid1(VALU_DEP_1)
	v_fmac_f64_e32 v[200:201], v[202:203], v[204:205]
	v_add_f64_e32 v[20:21], v[20:21], v[200:201]
.LBB74_191:                             ;   in Loop: Header=BB74_3 Depth=1
	s_or_b32 exec_lo, exec_lo, s36
	s_delay_alu instid0(SALU_CYCLE_1) | instskip(SKIP_2) | instid1(SALU_CYCLE_1)
	s_mov_b32 s36, exec_lo
	v_readlane_b32 s38, v208, 15
	s_and_b32 s38, s36, s38
	s_mov_b32 exec_lo, s38
	s_cbranch_execz .LBB74_193
; %bb.192:                              ;   in Loop: Header=BB74_3 Depth=1
	ds_load_b128 v[200:203], v58 offset:16160
	ds_load_b128 v[204:207], v184 offset:9216
	s_wait_dscnt 0x0
	v_mul_f64_e32 v[4:5], v[202:203], v[206:207]
	s_delay_alu instid0(VALU_DEP_1) | instskip(SKIP_1) | instid1(VALU_DEP_2)
	v_fma_f64 v[4:5], v[200:201], v[204:205], -v[4:5]
	v_mul_f64_e32 v[200:201], v[200:201], v[206:207]
	v_add_f64_e32 v[18:19], v[18:19], v[4:5]
	s_delay_alu instid0(VALU_DEP_2) | instskip(NEXT) | instid1(VALU_DEP_1)
	v_fmac_f64_e32 v[200:201], v[202:203], v[204:205]
	v_add_f64_e32 v[20:21], v[20:21], v[200:201]
.LBB74_193:                             ;   in Loop: Header=BB74_3 Depth=1
	s_or_b32 exec_lo, exec_lo, s36
	s_delay_alu instid0(SALU_CYCLE_1) | instskip(SKIP_2) | instid1(SALU_CYCLE_1)
	s_mov_b32 s36, exec_lo
	v_readlane_b32 s38, v208, 16
	s_and_b32 s38, s36, s38
	;; [unrolled: 20-line block ×10, first 2 shown]
	s_mov_b32 exec_lo, s38
	s_cbranch_execnz .LBB74_528
; %bb.210:                              ;   in Loop: Header=BB74_3 Depth=1
	s_or_b32 exec_lo, exec_lo, s36
	s_and_saveexec_b32 s36, s3
	s_cbranch_execnz .LBB74_529
.LBB74_211:                             ;   in Loop: Header=BB74_3 Depth=1
	s_or_b32 exec_lo, exec_lo, s36
	s_and_saveexec_b32 s36, s12
	s_cbranch_execnz .LBB74_530
.LBB74_212:                             ;   in Loop: Header=BB74_3 Depth=1
	s_or_b32 exec_lo, exec_lo, s36
	s_and_saveexec_b32 s36, s14
	s_cbranch_execnz .LBB74_531
.LBB74_213:                             ;   in Loop: Header=BB74_3 Depth=1
	s_or_b32 exec_lo, exec_lo, s36
	s_and_saveexec_b32 s36, s2
	s_cbranch_execz .LBB74_215
.LBB74_214:                             ;   in Loop: Header=BB74_3 Depth=1
	ds_load_b128 v[200:203], v3 offset:16368
	ds_load_b128 v[204:207], v27 offset:15872
	s_wait_dscnt 0x0
	v_mul_f64_e32 v[4:5], v[202:203], v[206:207]
	s_delay_alu instid0(VALU_DEP_1) | instskip(SKIP_1) | instid1(VALU_DEP_2)
	v_fma_f64 v[4:5], v[200:201], v[204:205], -v[4:5]
	v_mul_f64_e32 v[200:201], v[200:201], v[206:207]
	v_add_f64_e32 v[18:19], v[18:19], v[4:5]
	s_delay_alu instid0(VALU_DEP_2) | instskip(NEXT) | instid1(VALU_DEP_1)
	v_fmac_f64_e32 v[200:201], v[202:203], v[204:205]
	v_add_f64_e32 v[20:21], v[20:21], v[200:201]
.LBB74_215:                             ;   in Loop: Header=BB74_3 Depth=1
	s_or_b32 exec_lo, exec_lo, s36
.LBB74_216:                             ;   in Loop: Header=BB74_3 Depth=1
	s_delay_alu instid0(SALU_CYCLE_1) | instskip(NEXT) | instid1(SALU_CYCLE_1)
	s_or_b32 exec_lo, exec_lo, s33
	s_mov_b32 s33, exec_lo
	v_readlane_b32 s36, v208, 0
	s_and_b32 s36, s33, s36
	s_delay_alu instid0(SALU_CYCLE_1)
	s_mov_b32 exec_lo, s36
	s_cbranch_execz .LBB74_218
; %bb.217:                              ;   in Loop: Header=BB74_3 Depth=1
	v_xor_b32_e32 v203, 0x80000000, v21
	v_xor_b32_e32 v201, 0x80000000, v19
	v_dual_mov_b32 v200, v18 :: v_dual_mov_b32 v202, v20
	ds_store_b128 v188, v[200:203]
.LBB74_218:                             ;   in Loop: Header=BB74_3 Depth=1
	s_or_b32 exec_lo, exec_lo, s33
	s_wait_loadcnt_dscnt 0x0
	s_barrier_signal -1
	s_barrier_wait -1
	s_mov_b32 s33, exec_lo
	v_readlane_b32 s36, v208, 1
	s_and_b32 s36, s33, s36
	s_delay_alu instid0(SALU_CYCLE_1)
	s_mov_b32 exec_lo, s36
	s_cbranch_execz .LBB74_220
; %bb.219:                              ;   in Loop: Header=BB74_3 Depth=1
	ds_load_b128 v[200:203], v188
	ds_load_b128 v[204:207], v184 offset:7680
	s_wait_dscnt 0x0
	v_mul_f64_e32 v[4:5], v[202:203], v[206:207]
	s_delay_alu instid0(VALU_DEP_1) | instskip(SKIP_1) | instid1(VALU_DEP_2)
	v_fma_f64 v[4:5], v[200:201], v[204:205], -v[4:5]
	v_mul_f64_e32 v[200:201], v[200:201], v[206:207]
	v_add_f64_e64 v[18:19], v[18:19], -v[4:5]
	s_delay_alu instid0(VALU_DEP_2) | instskip(NEXT) | instid1(VALU_DEP_1)
	v_fmac_f64_e32 v[200:201], v[202:203], v[204:205]
	v_add_f64_e64 v[20:21], v[20:21], -v[200:201]
.LBB74_220:                             ;   in Loop: Header=BB74_3 Depth=1
	s_or_b32 exec_lo, exec_lo, s33
	s_barrier_signal -1
	s_barrier_wait -1
	s_mov_b32 s33, exec_lo
	v_readlane_b32 s36, v208, 2
	s_and_b32 s36, s33, s36
	s_delay_alu instid0(SALU_CYCLE_1)
	s_mov_b32 exec_lo, s36
	s_cbranch_execz .LBB74_222
; %bb.221:                              ;   in Loop: Header=BB74_3 Depth=1
	v_xor_b32_e32 v203, 0x80000000, v21
	v_xor_b32_e32 v201, 0x80000000, v19
	v_dual_mov_b32 v200, v18 :: v_dual_mov_b32 v202, v20
	ds_store_b128 v188, v[200:203]
.LBB74_222:                             ;   in Loop: Header=BB74_3 Depth=1
	s_or_b32 exec_lo, exec_lo, s33
	s_wait_dscnt 0x0
	s_barrier_signal -1
	s_barrier_wait -1
	s_mov_b32 s33, exec_lo
	v_readlane_b32 s36, v208, 3
	s_and_b32 s36, s33, s36
	s_delay_alu instid0(SALU_CYCLE_1)
	s_mov_b32 exec_lo, s36
	s_cbranch_execz .LBB74_224
; %bb.223:                              ;   in Loop: Header=BB74_3 Depth=1
	ds_load_b128 v[200:203], v188
	ds_load_b128 v[204:207], v184 offset:7168
	s_wait_dscnt 0x0
	v_mul_f64_e32 v[4:5], v[202:203], v[206:207]
	s_delay_alu instid0(VALU_DEP_1) | instskip(SKIP_1) | instid1(VALU_DEP_2)
	v_fma_f64 v[4:5], v[200:201], v[204:205], -v[4:5]
	v_mul_f64_e32 v[200:201], v[200:201], v[206:207]
	v_add_f64_e64 v[18:19], v[18:19], -v[4:5]
	s_delay_alu instid0(VALU_DEP_2) | instskip(NEXT) | instid1(VALU_DEP_1)
	v_fmac_f64_e32 v[200:201], v[202:203], v[204:205]
	v_add_f64_e64 v[20:21], v[20:21], -v[200:201]
.LBB74_224:                             ;   in Loop: Header=BB74_3 Depth=1
	s_or_b32 exec_lo, exec_lo, s33
	s_barrier_signal -1
	s_barrier_wait -1
	s_mov_b32 s33, exec_lo
	v_readlane_b32 s36, v208, 4
	s_and_b32 s36, s33, s36
	s_delay_alu instid0(SALU_CYCLE_1)
	s_mov_b32 exec_lo, s36
	s_cbranch_execz .LBB74_226
; %bb.225:                              ;   in Loop: Header=BB74_3 Depth=1
	v_xor_b32_e32 v203, 0x80000000, v21
	v_xor_b32_e32 v201, 0x80000000, v19
	v_dual_mov_b32 v200, v18 :: v_dual_mov_b32 v202, v20
	ds_store_b128 v188, v[200:203]
.LBB74_226:                             ;   in Loop: Header=BB74_3 Depth=1
	s_or_b32 exec_lo, exec_lo, s33
	s_wait_dscnt 0x0
	;; [unrolled: 38-line block ×6, first 2 shown]
	s_barrier_signal -1
	s_barrier_wait -1
	s_and_saveexec_b32 s33, s102
	s_cbranch_execz .LBB74_244
; %bb.243:                              ;   in Loop: Header=BB74_3 Depth=1
	ds_load_b128 v[200:203], v188
	ds_load_b128 v[204:207], v184 offset:4608
	s_wait_dscnt 0x0
	v_mul_f64_e32 v[4:5], v[202:203], v[206:207]
	s_delay_alu instid0(VALU_DEP_1) | instskip(SKIP_1) | instid1(VALU_DEP_2)
	v_fma_f64 v[4:5], v[200:201], v[204:205], -v[4:5]
	v_mul_f64_e32 v[200:201], v[200:201], v[206:207]
	v_add_f64_e64 v[18:19], v[18:19], -v[4:5]
	s_delay_alu instid0(VALU_DEP_2) | instskip(NEXT) | instid1(VALU_DEP_1)
	v_fmac_f64_e32 v[200:201], v[202:203], v[204:205]
	v_add_f64_e64 v[20:21], v[20:21], -v[200:201]
.LBB74_244:                             ;   in Loop: Header=BB74_3 Depth=1
	s_or_b32 exec_lo, exec_lo, s33
	s_barrier_signal -1
	s_barrier_wait -1
	s_and_saveexec_b32 s33, s103
	s_cbranch_execz .LBB74_246
; %bb.245:                              ;   in Loop: Header=BB74_3 Depth=1
	s_delay_alu instid0(VALU_DEP_1) | instskip(NEXT) | instid1(VALU_DEP_4)
	v_xor_b32_e32 v203, 0x80000000, v21
	v_xor_b32_e32 v201, 0x80000000, v19
	s_delay_alu instid0(VALU_DEP_3)
	v_dual_mov_b32 v200, v18 :: v_dual_mov_b32 v202, v20
	ds_store_b128 v188, v[200:203]
.LBB74_246:                             ;   in Loop: Header=BB74_3 Depth=1
	s_or_b32 exec_lo, exec_lo, s33
	s_wait_dscnt 0x0
	s_barrier_signal -1
	s_barrier_wait -1
	s_and_saveexec_b32 s33, s104
	s_cbranch_execz .LBB74_248
; %bb.247:                              ;   in Loop: Header=BB74_3 Depth=1
	ds_load_b128 v[200:203], v188
	ds_load_b128 v[204:207], v184 offset:4096
	s_wait_dscnt 0x0
	v_mul_f64_e32 v[4:5], v[202:203], v[206:207]
	s_delay_alu instid0(VALU_DEP_1) | instskip(SKIP_1) | instid1(VALU_DEP_2)
	v_fma_f64 v[4:5], v[200:201], v[204:205], -v[4:5]
	v_mul_f64_e32 v[200:201], v[200:201], v[206:207]
	v_add_f64_e64 v[18:19], v[18:19], -v[4:5]
	s_delay_alu instid0(VALU_DEP_2) | instskip(NEXT) | instid1(VALU_DEP_1)
	v_fmac_f64_e32 v[200:201], v[202:203], v[204:205]
	v_add_f64_e64 v[20:21], v[20:21], -v[200:201]
.LBB74_248:                             ;   in Loop: Header=BB74_3 Depth=1
	s_or_b32 exec_lo, exec_lo, s33
	s_barrier_signal -1
	s_barrier_wait -1
	s_and_saveexec_b32 s33, vcc_hi
	s_cbranch_execz .LBB74_250
; %bb.249:                              ;   in Loop: Header=BB74_3 Depth=1
	s_delay_alu instid0(VALU_DEP_1) | instskip(NEXT) | instid1(VALU_DEP_4)
	v_xor_b32_e32 v203, 0x80000000, v21
	v_xor_b32_e32 v201, 0x80000000, v19
	s_delay_alu instid0(VALU_DEP_3)
	v_dual_mov_b32 v200, v18 :: v_dual_mov_b32 v202, v20
	ds_store_b128 v188, v[200:203]
.LBB74_250:                             ;   in Loop: Header=BB74_3 Depth=1
	s_or_b32 exec_lo, exec_lo, s33
	s_wait_dscnt 0x0
	s_barrier_signal -1
	s_barrier_wait -1
	s_and_saveexec_b32 s33, s18
	s_cbranch_execz .LBB74_252
; %bb.251:                              ;   in Loop: Header=BB74_3 Depth=1
	ds_load_b128 v[200:203], v188
	ds_load_b128 v[204:207], v184 offset:3584
	s_wait_dscnt 0x0
	v_mul_f64_e32 v[4:5], v[202:203], v[206:207]
	s_delay_alu instid0(VALU_DEP_1) | instskip(SKIP_1) | instid1(VALU_DEP_2)
	v_fma_f64 v[4:5], v[200:201], v[204:205], -v[4:5]
	v_mul_f64_e32 v[200:201], v[200:201], v[206:207]
	v_add_f64_e64 v[18:19], v[18:19], -v[4:5]
	s_delay_alu instid0(VALU_DEP_2) | instskip(NEXT) | instid1(VALU_DEP_1)
	v_fmac_f64_e32 v[200:201], v[202:203], v[204:205]
	v_add_f64_e64 v[20:21], v[20:21], -v[200:201]
.LBB74_252:                             ;   in Loop: Header=BB74_3 Depth=1
	s_or_b32 exec_lo, exec_lo, s33
	s_barrier_signal -1
	s_barrier_wait -1
	s_and_saveexec_b32 s33, s19
	s_cbranch_execz .LBB74_254
; %bb.253:                              ;   in Loop: Header=BB74_3 Depth=1
	s_delay_alu instid0(VALU_DEP_1) | instskip(NEXT) | instid1(VALU_DEP_4)
	v_xor_b32_e32 v203, 0x80000000, v21
	v_xor_b32_e32 v201, 0x80000000, v19
	s_delay_alu instid0(VALU_DEP_3)
	v_dual_mov_b32 v200, v18 :: v_dual_mov_b32 v202, v20
	ds_store_b128 v188, v[200:203]
.LBB74_254:                             ;   in Loop: Header=BB74_3 Depth=1
	s_or_b32 exec_lo, exec_lo, s33
	s_wait_dscnt 0x0
	s_barrier_signal -1
	s_barrier_wait -1
	s_and_saveexec_b32 s33, s20
	s_cbranch_execz .LBB74_256
; %bb.255:                              ;   in Loop: Header=BB74_3 Depth=1
	ds_load_b128 v[200:203], v188
	ds_load_b128 v[204:207], v184 offset:3072
	s_wait_dscnt 0x0
	v_mul_f64_e32 v[4:5], v[202:203], v[206:207]
	s_delay_alu instid0(VALU_DEP_1) | instskip(SKIP_1) | instid1(VALU_DEP_2)
	v_fma_f64 v[4:5], v[200:201], v[204:205], -v[4:5]
	v_mul_f64_e32 v[200:201], v[200:201], v[206:207]
	v_add_f64_e64 v[18:19], v[18:19], -v[4:5]
	s_delay_alu instid0(VALU_DEP_2) | instskip(NEXT) | instid1(VALU_DEP_1)
	v_fmac_f64_e32 v[200:201], v[202:203], v[204:205]
	v_add_f64_e64 v[20:21], v[20:21], -v[200:201]
.LBB74_256:                             ;   in Loop: Header=BB74_3 Depth=1
	s_or_b32 exec_lo, exec_lo, s33
	s_barrier_signal -1
	s_barrier_wait -1
	s_and_saveexec_b32 s33, s21
	;; [unrolled: 32-line block ×7, first 2 shown]
	s_cbranch_execz .LBB74_278
; %bb.277:                              ;   in Loop: Header=BB74_3 Depth=1
	s_delay_alu instid0(VALU_DEP_1) | instskip(NEXT) | instid1(VALU_DEP_4)
	v_xor_b32_e32 v203, 0x80000000, v21
	v_xor_b32_e32 v201, 0x80000000, v19
	s_delay_alu instid0(VALU_DEP_3)
	v_dual_mov_b32 v200, v18 :: v_dual_mov_b32 v202, v20
	ds_store_b128 v188, v[200:203]
.LBB74_278:                             ;   in Loop: Header=BB74_3 Depth=1
	s_or_b32 exec_lo, exec_lo, s33
	s_wait_dscnt 0x0
	s_barrier_signal -1
	s_barrier_wait -1
	s_barrier_signal -1
	s_barrier_wait -1
	s_and_saveexec_b32 s33, s4
; %bb.279:                              ;   in Loop: Header=BB74_3 Depth=1
	ds_store_b128 v189, v[18:21] offset:15872
; %bb.280:                              ;   in Loop: Header=BB74_3 Depth=1
	s_or_b32 exec_lo, exec_lo, s33
	s_wait_dscnt 0x0
	s_barrier_signal -1
	s_barrier_wait -1
	s_barrier_signal -1
	s_barrier_wait -1
	s_and_saveexec_b32 s33, s94
	s_cbranch_execz .LBB74_282
; %bb.281:                              ;   in Loop: Header=BB74_3 Depth=1
	ds_load_b128 v[18:21], v59
	s_wait_dscnt 0x0
	ds_store_b128 v138, v[18:21]
	ds_load_b128 v[18:21], v60
	s_wait_dscnt 0x0
	ds_store_b128 v139, v[18:21]
	;; [unrolled: 3-line block ×16, first 2 shown]
.LBB74_282:                             ;   in Loop: Header=BB74_3 Depth=1
	s_or_b32 exec_lo, exec_lo, s33
	s_wait_dscnt 0x0
	s_barrier_signal -1
	s_barrier_wait -1
	s_and_saveexec_b32 s33, s27
	s_cbranch_execz .LBB74_284
; %bb.283:                              ;   in Loop: Header=BB74_3 Depth=1
	s_mov_b32 s36, s35
	s_mov_b32 s38, s35
	;; [unrolled: 1-line block ×3, first 2 shown]
	v_mov_b64_e32 v[18:19], s[36:37]
	v_mov_b64_e32 v[20:21], s[38:39]
	ds_store_b128 v3, v[18:21] offset:7392
	ds_store_b128 v3, v[18:21] offset:7920
	ds_load_b128 v[18:21], v3 offset:7904
	s_wait_dscnt 0x0
	ds_store_b128 v3, v[18:21] offset:7408
.LBB74_284:                             ;   in Loop: Header=BB74_3 Depth=1
	s_or_b32 exec_lo, exec_lo, s33
	v_mov_b64_e32 v[18:19], 0
	v_mov_b64_e32 v[20:21], 0
	s_wait_dscnt 0x0
	s_barrier_signal -1
	s_barrier_wait -1
	global_wb scope:SCOPE_DEV
	s_wait_storecnt 0x0
	global_inv scope:SCOPE_DEV
	s_and_saveexec_b32 s33, s0
	s_cbranch_execz .LBB74_288
; %bb.285:                              ;   in Loop: Header=BB74_3 Depth=1
	ds_load_b128 v[18:21], v44 offset:7904
	ds_load_b128 v[200:203], v178 offset:7360
	s_wait_dscnt 0x0
	v_mul_f64_e32 v[4:5], v[20:21], v[202:203]
	v_mul_f64_e32 v[202:203], v[18:19], v[202:203]
	s_delay_alu instid0(VALU_DEP_2) | instskip(NEXT) | instid1(VALU_DEP_2)
	v_fma_f64 v[4:5], v[18:19], v[200:201], -v[4:5]
	v_fmac_f64_e32 v[202:203], v[20:21], v[200:201]
	s_delay_alu instid0(VALU_DEP_2) | instskip(NEXT) | instid1(VALU_DEP_2)
	v_add_f64_e32 v[18:19], 0, v[4:5]
	v_add_f64_e32 v[20:21], 0, v[202:203]
	s_and_saveexec_b32 s36, s8
	s_cbranch_execz .LBB74_287
; %bb.286:                              ;   in Loop: Header=BB74_3 Depth=1
	ds_load_b128 v[200:203], v3 offset:7920
	ds_load_b128 v[204:207], v27 offset:7872
	s_wait_dscnt 0x0
	v_mul_f64_e32 v[4:5], v[202:203], v[206:207]
	s_delay_alu instid0(VALU_DEP_1) | instskip(SKIP_1) | instid1(VALU_DEP_2)
	v_fma_f64 v[4:5], v[200:201], v[204:205], -v[4:5]
	v_mul_f64_e32 v[200:201], v[200:201], v[206:207]
	v_add_f64_e32 v[18:19], v[18:19], v[4:5]
	s_delay_alu instid0(VALU_DEP_2) | instskip(NEXT) | instid1(VALU_DEP_1)
	v_fmac_f64_e32 v[200:201], v[202:203], v[204:205]
	v_add_f64_e32 v[20:21], v[20:21], v[200:201]
.LBB74_287:                             ;   in Loop: Header=BB74_3 Depth=1
	s_or_b32 exec_lo, exec_lo, s36
.LBB74_288:                             ;   in Loop: Header=BB74_3 Depth=1
	s_delay_alu instid0(SALU_CYCLE_1)
	s_or_b32 exec_lo, exec_lo, s33
	s_and_saveexec_b32 s33, s64
	s_cbranch_execz .LBB74_290
; %bb.289:                              ;   in Loop: Header=BB74_3 Depth=1
	s_delay_alu instid0(VALU_DEP_2) | instskip(NEXT) | instid1(VALU_DEP_2)
	v_xor_b32_e32 v201, 0x80000000, v19
	v_xor_b32_e32 v203, 0x80000000, v21
	s_delay_alu instid0(VALU_DEP_3)
	v_dual_mov_b32 v200, v18 :: v_dual_mov_b32 v202, v20
	ds_store_b128 v179, v[200:203]
.LBB74_290:                             ;   in Loop: Header=BB74_3 Depth=1
	s_or_b32 exec_lo, exec_lo, s33
	s_wait_loadcnt_dscnt 0x0
	s_barrier_signal -1
	s_barrier_wait -1
	s_and_saveexec_b32 s33, s65
	s_cbranch_execz .LBB74_292
; %bb.291:                              ;   in Loop: Header=BB74_3 Depth=1
	ds_load_b128 v[200:203], v179
	ds_load_b128 v[204:207], v3 offset:6848
	s_wait_dscnt 0x0
	v_mul_f64_e32 v[4:5], v[200:201], v[204:205]
	v_mul_f64_e32 v[200:201], v[200:201], v[206:207]
	s_delay_alu instid0(VALU_DEP_2) | instskip(NEXT) | instid1(VALU_DEP_2)
	v_fma_f64 v[4:5], v[202:203], v[206:207], -v[4:5]
	v_fmac_f64_e32 v[200:201], v[202:203], v[204:205]
	s_delay_alu instid0(VALU_DEP_2) | instskip(NEXT) | instid1(VALU_DEP_2)
	v_add_f64_e32 v[18:19], v[18:19], v[4:5]
	v_add_f64_e64 v[20:21], v[20:21], -v[200:201]
.LBB74_292:                             ;   in Loop: Header=BB74_3 Depth=1
	s_or_b32 exec_lo, exec_lo, s33
	s_barrier_signal -1
	s_barrier_wait -1
	s_and_saveexec_b32 s33, s65
	s_cbranch_execz .LBB74_294
; %bb.293:                              ;   in Loop: Header=BB74_3 Depth=1
	s_delay_alu instid0(VALU_DEP_2) | instskip(NEXT) | instid1(VALU_DEP_2)
	v_xor_b32_e32 v201, 0x80000000, v19
	v_xor_b32_e32 v203, 0x80000000, v21
	s_delay_alu instid0(VALU_DEP_3)
	v_dual_mov_b32 v200, v18 :: v_dual_mov_b32 v202, v20
	ds_store_b128 v179, v[200:203]
.LBB74_294:                             ;   in Loop: Header=BB74_3 Depth=1
	s_or_b32 exec_lo, exec_lo, s33
	s_wait_dscnt 0x0
	s_barrier_signal -1
	s_barrier_wait -1
	s_barrier_signal -1
	s_barrier_wait -1
	s_and_saveexec_b32 s33, s0
; %bb.295:                              ;   in Loop: Header=BB74_3 Depth=1
	ds_store_b128 v181, v[18:21] offset:7872
; %bb.296:                              ;   in Loop: Header=BB74_3 Depth=1
	s_or_b32 exec_lo, exec_lo, s33
	s_wait_dscnt 0x0
	s_barrier_signal -1
	s_barrier_wait -1
	s_barrier_signal -1
	s_barrier_wait -1
	s_and_saveexec_b32 s33, s66
	s_cbranch_execz .LBB74_298
; %bb.297:                              ;   in Loop: Header=BB74_3 Depth=1
	ds_load_b128 v[18:21], v75
	s_wait_dscnt 0x0
	ds_store_b128 v154, v[18:21]
	ds_load_b128 v[18:21], v76
	s_wait_dscnt 0x0
	ds_store_b128 v155, v[18:21]
.LBB74_298:                             ;   in Loop: Header=BB74_3 Depth=1
	s_or_b32 exec_lo, exec_lo, s33
	s_wait_dscnt 0x0
	s_barrier_signal -1
	s_barrier_wait -1
	s_and_saveexec_b32 s33, s27
	s_cbranch_execz .LBB74_300
; %bb.299:                              ;   in Loop: Header=BB74_3 Depth=1
	s_mov_b32 s36, s35
	s_mov_b32 s38, s35
	;; [unrolled: 1-line block ×3, first 2 shown]
	v_mov_b64_e32 v[18:19], s[36:37]
	v_mov_b64_e32 v[20:21], s[38:39]
	ds_store_b128 v3, v[18:21] offset:6336
	ds_store_b128 v3, v[18:21] offset:6864
	ds_load_b128 v[18:21], v3 offset:6848
	s_wait_dscnt 0x0
	ds_store_b128 v3, v[18:21] offset:6352
.LBB74_300:                             ;   in Loop: Header=BB74_3 Depth=1
	s_or_b32 exec_lo, exec_lo, s33
	v_mov_b64_e32 v[20:21], 0
	v_mov_b64_e32 v[18:19], 0
	s_wait_dscnt 0x0
	s_barrier_signal -1
	s_barrier_wait -1
	global_wb scope:SCOPE_DEV
	s_wait_storecnt 0x0
	global_inv scope:SCOPE_DEV
	s_and_saveexec_b32 s33, s2
	s_cbranch_execz .LBB74_306
; %bb.301:                              ;   in Loop: Header=BB74_3 Depth=1
	ds_load_b128 v[18:21], v48 offset:7872
	ds_load_b128 v[200:203], v180 offset:6272
	s_wait_dscnt 0x0
	v_mul_f64_e32 v[4:5], v[20:21], v[202:203]
	v_mul_f64_e32 v[202:203], v[18:19], v[202:203]
	s_delay_alu instid0(VALU_DEP_2) | instskip(NEXT) | instid1(VALU_DEP_2)
	v_fma_f64 v[4:5], v[18:19], v[200:201], -v[4:5]
	v_fmac_f64_e32 v[202:203], v[20:21], v[200:201]
	s_delay_alu instid0(VALU_DEP_2) | instskip(NEXT) | instid1(VALU_DEP_2)
	v_add_f64_e32 v[18:19], 0, v[4:5]
	v_add_f64_e32 v[20:21], 0, v[202:203]
	s_and_saveexec_b32 s36, s9
	s_cbranch_execnz .LBB74_532
; %bb.302:                              ;   in Loop: Header=BB74_3 Depth=1
	s_or_b32 exec_lo, exec_lo, s36
	s_and_saveexec_b32 s36, s10
	s_cbranch_execnz .LBB74_533
.LBB74_303:                             ;   in Loop: Header=BB74_3 Depth=1
	s_or_b32 exec_lo, exec_lo, s36
	s_and_saveexec_b32 s36, s0
	s_cbranch_execz .LBB74_305
.LBB74_304:                             ;   in Loop: Header=BB74_3 Depth=1
	ds_load_b128 v[200:203], v3 offset:7920
	ds_load_b128 v[204:207], v47 offset:7808
	s_wait_dscnt 0x0
	v_mul_f64_e32 v[4:5], v[202:203], v[206:207]
	s_delay_alu instid0(VALU_DEP_1) | instskip(SKIP_1) | instid1(VALU_DEP_2)
	v_fma_f64 v[4:5], v[200:201], v[204:205], -v[4:5]
	v_mul_f64_e32 v[200:201], v[200:201], v[206:207]
	v_add_f64_e32 v[18:19], v[18:19], v[4:5]
	s_delay_alu instid0(VALU_DEP_2) | instskip(NEXT) | instid1(VALU_DEP_1)
	v_fmac_f64_e32 v[200:201], v[202:203], v[204:205]
	v_add_f64_e32 v[20:21], v[20:21], v[200:201]
.LBB74_305:                             ;   in Loop: Header=BB74_3 Depth=1
	s_or_b32 exec_lo, exec_lo, s36
.LBB74_306:                             ;   in Loop: Header=BB74_3 Depth=1
	s_delay_alu instid0(SALU_CYCLE_1)
	s_or_b32 exec_lo, exec_lo, s33
	s_and_saveexec_b32 s33, s67
	s_cbranch_execz .LBB74_308
; %bb.307:                              ;   in Loop: Header=BB74_3 Depth=1
	s_delay_alu instid0(VALU_DEP_1) | instskip(NEXT) | instid1(VALU_DEP_3)
	v_xor_b32_e32 v203, 0x80000000, v21
	v_xor_b32_e32 v201, 0x80000000, v19
	s_delay_alu instid0(VALU_DEP_3)
	v_dual_mov_b32 v200, v18 :: v_dual_mov_b32 v202, v20
	ds_store_b128 v183, v[200:203]
.LBB74_308:                             ;   in Loop: Header=BB74_3 Depth=1
	s_or_b32 exec_lo, exec_lo, s33
	s_wait_loadcnt_dscnt 0x0
	s_barrier_signal -1
	s_barrier_wait -1
	s_and_saveexec_b32 s33, s68
	s_cbranch_execz .LBB74_310
; %bb.309:                              ;   in Loop: Header=BB74_3 Depth=1
	ds_load_b128 v[200:203], v183
	ds_load_b128 v[204:207], v180 offset:5760
	s_wait_dscnt 0x0
	v_mul_f64_e32 v[4:5], v[202:203], v[206:207]
	s_delay_alu instid0(VALU_DEP_1) | instskip(SKIP_1) | instid1(VALU_DEP_2)
	v_fma_f64 v[4:5], v[200:201], v[204:205], -v[4:5]
	v_mul_f64_e32 v[200:201], v[200:201], v[206:207]
	v_add_f64_e64 v[18:19], v[18:19], -v[4:5]
	s_delay_alu instid0(VALU_DEP_2) | instskip(NEXT) | instid1(VALU_DEP_1)
	v_fmac_f64_e32 v[200:201], v[202:203], v[204:205]
	v_add_f64_e64 v[20:21], v[20:21], -v[200:201]
.LBB74_310:                             ;   in Loop: Header=BB74_3 Depth=1
	s_or_b32 exec_lo, exec_lo, s33
	s_barrier_signal -1
	s_barrier_wait -1
	s_and_saveexec_b32 s33, s69
	s_cbranch_execz .LBB74_312
; %bb.311:                              ;   in Loop: Header=BB74_3 Depth=1
	s_delay_alu instid0(VALU_DEP_1) | instskip(NEXT) | instid1(VALU_DEP_3)
	v_xor_b32_e32 v203, 0x80000000, v21
	v_xor_b32_e32 v201, 0x80000000, v19
	s_delay_alu instid0(VALU_DEP_3)
	v_dual_mov_b32 v200, v18 :: v_dual_mov_b32 v202, v20
	ds_store_b128 v183, v[200:203]
.LBB74_312:                             ;   in Loop: Header=BB74_3 Depth=1
	s_or_b32 exec_lo, exec_lo, s33
	s_wait_dscnt 0x0
	s_barrier_signal -1
	s_barrier_wait -1
	s_and_saveexec_b32 s33, s70
	s_cbranch_execz .LBB74_314
; %bb.313:                              ;   in Loop: Header=BB74_3 Depth=1
	ds_load_b128 v[200:203], v183
	ds_load_b128 v[204:207], v180 offset:5248
	s_wait_dscnt 0x0
	v_mul_f64_e32 v[4:5], v[202:203], v[206:207]
	s_delay_alu instid0(VALU_DEP_1) | instskip(SKIP_1) | instid1(VALU_DEP_2)
	v_fma_f64 v[4:5], v[200:201], v[204:205], -v[4:5]
	v_mul_f64_e32 v[200:201], v[200:201], v[206:207]
	v_add_f64_e64 v[18:19], v[18:19], -v[4:5]
	s_delay_alu instid0(VALU_DEP_2) | instskip(NEXT) | instid1(VALU_DEP_1)
	v_fmac_f64_e32 v[200:201], v[202:203], v[204:205]
	v_add_f64_e64 v[20:21], v[20:21], -v[200:201]
.LBB74_314:                             ;   in Loop: Header=BB74_3 Depth=1
	s_or_b32 exec_lo, exec_lo, s33
	s_barrier_signal -1
	s_barrier_wait -1
	s_and_saveexec_b32 s33, s71
	s_cbranch_execz .LBB74_316
; %bb.315:                              ;   in Loop: Header=BB74_3 Depth=1
	s_delay_alu instid0(VALU_DEP_1) | instskip(NEXT) | instid1(VALU_DEP_3)
	v_xor_b32_e32 v203, 0x80000000, v21
	v_xor_b32_e32 v201, 0x80000000, v19
	s_delay_alu instid0(VALU_DEP_3)
	v_dual_mov_b32 v200, v18 :: v_dual_mov_b32 v202, v20
	ds_store_b128 v183, v[200:203]
.LBB74_316:                             ;   in Loop: Header=BB74_3 Depth=1
	s_or_b32 exec_lo, exec_lo, s33
	s_wait_dscnt 0x0
	;; [unrolled: 32-line block ×3, first 2 shown]
	s_barrier_signal -1
	s_barrier_wait -1
	s_barrier_signal -1
	s_barrier_wait -1
	s_and_saveexec_b32 s33, s2
; %bb.321:                              ;   in Loop: Header=BB74_3 Depth=1
	ds_store_b128 v185, v[18:21] offset:7808
; %bb.322:                              ;   in Loop: Header=BB74_3 Depth=1
	s_or_b32 exec_lo, exec_lo, s33
	s_wait_dscnt 0x0
	s_barrier_signal -1
	s_barrier_wait -1
	s_barrier_signal -1
	s_barrier_wait -1
	s_and_saveexec_b32 s33, s73
	s_cbranch_execz .LBB74_324
; %bb.323:                              ;   in Loop: Header=BB74_3 Depth=1
	ds_load_b128 v[18:21], v91
	s_wait_dscnt 0x0
	ds_store_b128 v156, v[18:21]
	ds_load_b128 v[18:21], v94
	s_wait_dscnt 0x0
	ds_store_b128 v159, v[18:21]
	;; [unrolled: 3-line block ×4, first 2 shown]
.LBB74_324:                             ;   in Loop: Header=BB74_3 Depth=1
	s_or_b32 exec_lo, exec_lo, s33
	s_wait_dscnt 0x0
	s_barrier_signal -1
	s_barrier_wait -1
	s_and_saveexec_b32 s33, s27
	s_cbranch_execz .LBB74_326
; %bb.325:                              ;   in Loop: Header=BB74_3 Depth=1
	s_mov_b32 s36, s35
	s_mov_b32 s38, s35
	;; [unrolled: 1-line block ×3, first 2 shown]
	v_mov_b64_e32 v[18:19], s[36:37]
	v_mov_b64_e32 v[20:21], s[38:39]
	ds_store_b128 v3, v[18:21] offset:5280
	ds_store_b128 v3, v[18:21] offset:5808
	ds_load_b128 v[18:21], v3 offset:5792
	s_wait_dscnt 0x0
	ds_store_b128 v3, v[18:21] offset:5296
.LBB74_326:                             ;   in Loop: Header=BB74_3 Depth=1
	s_or_b32 exec_lo, exec_lo, s33
	v_mov_b64_e32 v[18:19], 0
	v_mov_b64_e32 v[20:21], 0
	s_wait_dscnt 0x0
	s_barrier_signal -1
	s_barrier_wait -1
	global_wb scope:SCOPE_DEV
	s_wait_storecnt 0x0
	global_inv scope:SCOPE_DEV
	s_and_saveexec_b32 s33, s0
	s_cbranch_execz .LBB74_330
; %bb.327:                              ;   in Loop: Header=BB74_3 Depth=1
	ds_load_b128 v[18:21], v44 offset:5792
	ds_load_b128 v[200:203], v178 offset:5248
	s_wait_dscnt 0x0
	v_mul_f64_e32 v[4:5], v[20:21], v[202:203]
	v_mul_f64_e32 v[202:203], v[18:19], v[202:203]
	s_delay_alu instid0(VALU_DEP_2) | instskip(NEXT) | instid1(VALU_DEP_2)
	v_fma_f64 v[4:5], v[18:19], v[200:201], -v[4:5]
	v_fmac_f64_e32 v[202:203], v[20:21], v[200:201]
	s_delay_alu instid0(VALU_DEP_2) | instskip(NEXT) | instid1(VALU_DEP_2)
	v_add_f64_e32 v[18:19], 0, v[4:5]
	v_add_f64_e32 v[20:21], 0, v[202:203]
	s_and_saveexec_b32 s36, s8
	s_cbranch_execz .LBB74_329
; %bb.328:                              ;   in Loop: Header=BB74_3 Depth=1
	ds_load_b128 v[200:203], v3 offset:5808
	ds_load_b128 v[204:207], v87 offset:5760
	s_wait_dscnt 0x0
	v_mul_f64_e32 v[4:5], v[202:203], v[206:207]
	s_delay_alu instid0(VALU_DEP_1) | instskip(SKIP_1) | instid1(VALU_DEP_2)
	v_fma_f64 v[4:5], v[200:201], v[204:205], -v[4:5]
	v_mul_f64_e32 v[200:201], v[200:201], v[206:207]
	v_add_f64_e32 v[18:19], v[18:19], v[4:5]
	s_delay_alu instid0(VALU_DEP_2) | instskip(NEXT) | instid1(VALU_DEP_1)
	v_fmac_f64_e32 v[200:201], v[202:203], v[204:205]
	v_add_f64_e32 v[20:21], v[20:21], v[200:201]
.LBB74_329:                             ;   in Loop: Header=BB74_3 Depth=1
	s_or_b32 exec_lo, exec_lo, s36
.LBB74_330:                             ;   in Loop: Header=BB74_3 Depth=1
	s_delay_alu instid0(SALU_CYCLE_1)
	s_or_b32 exec_lo, exec_lo, s33
	s_and_saveexec_b32 s33, s64
	s_cbranch_execz .LBB74_332
; %bb.331:                              ;   in Loop: Header=BB74_3 Depth=1
	s_delay_alu instid0(VALU_DEP_2) | instskip(NEXT) | instid1(VALU_DEP_2)
	v_xor_b32_e32 v201, 0x80000000, v19
	v_xor_b32_e32 v203, 0x80000000, v21
	s_delay_alu instid0(VALU_DEP_3)
	v_dual_mov_b32 v200, v18 :: v_dual_mov_b32 v202, v20
	ds_store_b128 v179, v[200:203]
.LBB74_332:                             ;   in Loop: Header=BB74_3 Depth=1
	s_or_b32 exec_lo, exec_lo, s33
	s_wait_loadcnt_dscnt 0x0
	s_barrier_signal -1
	s_barrier_wait -1
	s_and_saveexec_b32 s33, s65
	s_cbranch_execz .LBB74_334
; %bb.333:                              ;   in Loop: Header=BB74_3 Depth=1
	ds_load_b128 v[200:203], v179
	ds_load_b128 v[204:207], v3 offset:4736
	s_wait_dscnt 0x0
	v_mul_f64_e32 v[4:5], v[200:201], v[204:205]
	v_mul_f64_e32 v[200:201], v[200:201], v[206:207]
	s_delay_alu instid0(VALU_DEP_2) | instskip(NEXT) | instid1(VALU_DEP_2)
	v_fma_f64 v[4:5], v[202:203], v[206:207], -v[4:5]
	v_fmac_f64_e32 v[200:201], v[202:203], v[204:205]
	s_delay_alu instid0(VALU_DEP_2) | instskip(NEXT) | instid1(VALU_DEP_2)
	v_add_f64_e32 v[18:19], v[18:19], v[4:5]
	v_add_f64_e64 v[20:21], v[20:21], -v[200:201]
.LBB74_334:                             ;   in Loop: Header=BB74_3 Depth=1
	s_or_b32 exec_lo, exec_lo, s33
	s_barrier_signal -1
	s_barrier_wait -1
	s_and_saveexec_b32 s33, s65
	s_cbranch_execz .LBB74_336
; %bb.335:                              ;   in Loop: Header=BB74_3 Depth=1
	s_delay_alu instid0(VALU_DEP_2) | instskip(NEXT) | instid1(VALU_DEP_2)
	v_xor_b32_e32 v201, 0x80000000, v19
	v_xor_b32_e32 v203, 0x80000000, v21
	s_delay_alu instid0(VALU_DEP_3)
	v_dual_mov_b32 v200, v18 :: v_dual_mov_b32 v202, v20
	ds_store_b128 v179, v[200:203]
.LBB74_336:                             ;   in Loop: Header=BB74_3 Depth=1
	s_or_b32 exec_lo, exec_lo, s33
	s_wait_dscnt 0x0
	s_barrier_signal -1
	s_barrier_wait -1
	s_barrier_signal -1
	s_barrier_wait -1
	s_and_saveexec_b32 s33, s0
; %bb.337:                              ;   in Loop: Header=BB74_3 Depth=1
	ds_store_b128 v181, v[18:21] offset:5760
; %bb.338:                              ;   in Loop: Header=BB74_3 Depth=1
	s_or_b32 exec_lo, exec_lo, s33
	s_wait_dscnt 0x0
	s_barrier_signal -1
	s_barrier_wait -1
	s_barrier_signal -1
	s_barrier_wait -1
	s_and_saveexec_b32 s33, s66
	s_cbranch_execz .LBB74_340
; %bb.339:                              ;   in Loop: Header=BB74_3 Depth=1
	ds_load_b128 v[18:21], v103
	s_wait_dscnt 0x0
	ds_store_b128 v160, v[18:21]
	ds_load_b128 v[18:21], v104
	s_wait_dscnt 0x0
	ds_store_b128 v161, v[18:21]
.LBB74_340:                             ;   in Loop: Header=BB74_3 Depth=1
	s_or_b32 exec_lo, exec_lo, s33
	s_wait_dscnt 0x0
	s_barrier_signal -1
	s_barrier_wait -1
	s_and_saveexec_b32 s33, s27
	s_cbranch_execz .LBB74_342
; %bb.341:                              ;   in Loop: Header=BB74_3 Depth=1
	s_mov_b32 s36, s35
	s_mov_b32 s38, s35
	;; [unrolled: 1-line block ×3, first 2 shown]
	v_mov_b64_e32 v[18:19], s[36:37]
	v_mov_b64_e32 v[20:21], s[38:39]
	ds_store_b128 v3, v[18:21] offset:4224
	ds_store_b128 v3, v[18:21] offset:4752
	ds_load_b128 v[18:21], v3 offset:4736
	s_wait_dscnt 0x0
	ds_store_b128 v3, v[18:21] offset:4240
.LBB74_342:                             ;   in Loop: Header=BB74_3 Depth=1
	s_or_b32 exec_lo, exec_lo, s33
	v_mov_b64_e32 v[20:21], 0
	v_mov_b64_e32 v[18:19], 0
	s_wait_dscnt 0x0
	s_barrier_signal -1
	s_barrier_wait -1
	global_wb scope:SCOPE_DEV
	s_wait_storecnt 0x0
	global_inv scope:SCOPE_DEV
	s_and_saveexec_b32 s33, s3
	s_cbranch_execz .LBB74_352
; %bb.343:                              ;   in Loop: Header=BB74_3 Depth=1
	ds_load_b128 v[18:21], v49 offset:7808
	ds_load_b128 v[200:203], v182 offset:4096
	s_wait_dscnt 0x0
	v_mul_f64_e32 v[4:5], v[20:21], v[202:203]
	v_mul_f64_e32 v[202:203], v[18:19], v[202:203]
	s_delay_alu instid0(VALU_DEP_2) | instskip(NEXT) | instid1(VALU_DEP_2)
	v_fma_f64 v[4:5], v[18:19], v[200:201], -v[4:5]
	v_fmac_f64_e32 v[202:203], v[20:21], v[200:201]
	s_delay_alu instid0(VALU_DEP_2) | instskip(NEXT) | instid1(VALU_DEP_2)
	v_add_f64_e32 v[18:19], 0, v[4:5]
	v_add_f64_e32 v[20:21], 0, v[202:203]
	s_and_saveexec_b32 s36, s11
	s_cbranch_execnz .LBB74_534
; %bb.344:                              ;   in Loop: Header=BB74_3 Depth=1
	s_or_b32 exec_lo, exec_lo, s36
	s_and_saveexec_b32 s36, s12
	s_cbranch_execnz .LBB74_535
.LBB74_345:                             ;   in Loop: Header=BB74_3 Depth=1
	s_or_b32 exec_lo, exec_lo, s36
	s_and_saveexec_b32 s36, s13
	s_cbranch_execnz .LBB74_536
.LBB74_346:                             ;   in Loop: Header=BB74_3 Depth=1
	s_or_b32 exec_lo, exec_lo, s36
	s_and_saveexec_b32 s36, s14
	s_cbranch_execnz .LBB74_537
.LBB74_347:                             ;   in Loop: Header=BB74_3 Depth=1
	s_or_b32 exec_lo, exec_lo, s36
	s_and_saveexec_b32 s36, s15
	s_cbranch_execnz .LBB74_538
.LBB74_348:                             ;   in Loop: Header=BB74_3 Depth=1
	s_or_b32 exec_lo, exec_lo, s36
	s_and_saveexec_b32 s36, s2
	s_cbranch_execnz .LBB74_539
.LBB74_349:                             ;   in Loop: Header=BB74_3 Depth=1
	s_or_b32 exec_lo, exec_lo, s36
	s_and_saveexec_b32 s36, s10
	s_cbranch_execz .LBB74_351
.LBB74_350:                             ;   in Loop: Header=BB74_3 Depth=1
	ds_load_b128 v[200:203], v3 offset:7920
	ds_load_b128 v[204:207], v27 offset:7680
	s_wait_dscnt 0x0
	v_mul_f64_e32 v[4:5], v[202:203], v[206:207]
	s_delay_alu instid0(VALU_DEP_1) | instskip(SKIP_1) | instid1(VALU_DEP_2)
	v_fma_f64 v[4:5], v[200:201], v[204:205], -v[4:5]
	v_mul_f64_e32 v[200:201], v[200:201], v[206:207]
	v_add_f64_e32 v[18:19], v[18:19], v[4:5]
	s_delay_alu instid0(VALU_DEP_2) | instskip(NEXT) | instid1(VALU_DEP_1)
	v_fmac_f64_e32 v[200:201], v[202:203], v[204:205]
	v_add_f64_e32 v[20:21], v[20:21], v[200:201]
.LBB74_351:                             ;   in Loop: Header=BB74_3 Depth=1
	s_or_b32 exec_lo, exec_lo, s36
.LBB74_352:                             ;   in Loop: Header=BB74_3 Depth=1
	s_delay_alu instid0(SALU_CYCLE_1)
	s_or_b32 exec_lo, exec_lo, s33
	s_and_saveexec_b32 s33, s74
	s_cbranch_execz .LBB74_354
; %bb.353:                              ;   in Loop: Header=BB74_3 Depth=1
	s_delay_alu instid0(VALU_DEP_2) | instskip(NEXT) | instid1(VALU_DEP_2)
	v_xor_b32_e32 v201, 0x80000000, v19
	v_xor_b32_e32 v203, 0x80000000, v21
	s_delay_alu instid0(VALU_DEP_3)
	v_dual_mov_b32 v200, v18 :: v_dual_mov_b32 v202, v20
	ds_store_b128 v186, v[200:203]
.LBB74_354:                             ;   in Loop: Header=BB74_3 Depth=1
	s_or_b32 exec_lo, exec_lo, s33
	s_wait_loadcnt_dscnt 0x0
	s_barrier_signal -1
	s_barrier_wait -1
	s_and_saveexec_b32 s33, s75
	s_cbranch_execz .LBB74_356
; %bb.355:                              ;   in Loop: Header=BB74_3 Depth=1
	ds_load_b128 v[200:203], v186
	ds_load_b128 v[204:207], v182 offset:3584
	s_wait_dscnt 0x0
	v_mul_f64_e32 v[4:5], v[202:203], v[206:207]
	s_delay_alu instid0(VALU_DEP_1) | instskip(SKIP_1) | instid1(VALU_DEP_2)
	v_fma_f64 v[4:5], v[200:201], v[204:205], -v[4:5]
	v_mul_f64_e32 v[200:201], v[200:201], v[206:207]
	v_add_f64_e64 v[18:19], v[18:19], -v[4:5]
	s_delay_alu instid0(VALU_DEP_2) | instskip(NEXT) | instid1(VALU_DEP_1)
	v_fmac_f64_e32 v[200:201], v[202:203], v[204:205]
	v_add_f64_e64 v[20:21], v[20:21], -v[200:201]
.LBB74_356:                             ;   in Loop: Header=BB74_3 Depth=1
	s_or_b32 exec_lo, exec_lo, s33
	s_barrier_signal -1
	s_barrier_wait -1
	s_and_saveexec_b32 s33, s76
	s_cbranch_execz .LBB74_358
; %bb.357:                              ;   in Loop: Header=BB74_3 Depth=1
	s_delay_alu instid0(VALU_DEP_2) | instskip(NEXT) | instid1(VALU_DEP_2)
	v_xor_b32_e32 v201, 0x80000000, v19
	v_xor_b32_e32 v203, 0x80000000, v21
	s_delay_alu instid0(VALU_DEP_3)
	v_dual_mov_b32 v200, v18 :: v_dual_mov_b32 v202, v20
	ds_store_b128 v186, v[200:203]
.LBB74_358:                             ;   in Loop: Header=BB74_3 Depth=1
	s_or_b32 exec_lo, exec_lo, s33
	s_wait_dscnt 0x0
	s_barrier_signal -1
	s_barrier_wait -1
	s_and_saveexec_b32 s33, s77
	s_cbranch_execz .LBB74_360
; %bb.359:                              ;   in Loop: Header=BB74_3 Depth=1
	ds_load_b128 v[200:203], v186
	ds_load_b128 v[204:207], v182 offset:3072
	s_wait_dscnt 0x0
	v_mul_f64_e32 v[4:5], v[202:203], v[206:207]
	s_delay_alu instid0(VALU_DEP_1) | instskip(SKIP_1) | instid1(VALU_DEP_2)
	v_fma_f64 v[4:5], v[200:201], v[204:205], -v[4:5]
	v_mul_f64_e32 v[200:201], v[200:201], v[206:207]
	v_add_f64_e64 v[18:19], v[18:19], -v[4:5]
	s_delay_alu instid0(VALU_DEP_2) | instskip(NEXT) | instid1(VALU_DEP_1)
	v_fmac_f64_e32 v[200:201], v[202:203], v[204:205]
	v_add_f64_e64 v[20:21], v[20:21], -v[200:201]
.LBB74_360:                             ;   in Loop: Header=BB74_3 Depth=1
	s_or_b32 exec_lo, exec_lo, s33
	s_barrier_signal -1
	s_barrier_wait -1
	s_and_saveexec_b32 s33, s78
	s_cbranch_execz .LBB74_362
; %bb.361:                              ;   in Loop: Header=BB74_3 Depth=1
	s_delay_alu instid0(VALU_DEP_2) | instskip(NEXT) | instid1(VALU_DEP_2)
	v_xor_b32_e32 v201, 0x80000000, v19
	v_xor_b32_e32 v203, 0x80000000, v21
	s_delay_alu instid0(VALU_DEP_3)
	v_dual_mov_b32 v200, v18 :: v_dual_mov_b32 v202, v20
	ds_store_b128 v186, v[200:203]
.LBB74_362:                             ;   in Loop: Header=BB74_3 Depth=1
	s_or_b32 exec_lo, exec_lo, s33
	s_wait_dscnt 0x0
	;; [unrolled: 32-line block ×7, first 2 shown]
	s_barrier_signal -1
	s_barrier_wait -1
	s_barrier_signal -1
	s_barrier_wait -1
	s_and_saveexec_b32 s33, s3
; %bb.383:                              ;   in Loop: Header=BB74_3 Depth=1
	ds_store_b128 v187, v[18:21] offset:7680
; %bb.384:                              ;   in Loop: Header=BB74_3 Depth=1
	s_or_b32 exec_lo, exec_lo, s33
	s_wait_dscnt 0x0
	s_barrier_signal -1
	s_barrier_wait -1
	s_barrier_signal -1
	s_barrier_wait -1
	s_and_saveexec_b32 s33, s88
	s_cbranch_execz .LBB74_386
; %bb.385:                              ;   in Loop: Header=BB74_3 Depth=1
	ds_load_b128 v[18:21], v77
	s_wait_dscnt 0x0
	ds_store_b128 v162, v[18:21]
	ds_load_b128 v[18:21], v78
	s_wait_dscnt 0x0
	ds_store_b128 v163, v[18:21]
	ds_load_b128 v[18:21], v79
	s_wait_dscnt 0x0
	ds_store_b128 v164, v[18:21]
	ds_load_b128 v[18:21], v80
	s_wait_dscnt 0x0
	ds_store_b128 v165, v[18:21]
	ds_load_b128 v[18:21], v81
	s_wait_dscnt 0x0
	ds_store_b128 v166, v[18:21]
	ds_load_b128 v[18:21], v82
	s_wait_dscnt 0x0
	ds_store_b128 v167, v[18:21]
	ds_load_b128 v[18:21], v83
	s_wait_dscnt 0x0
	ds_store_b128 v168, v[18:21]
	ds_load_b128 v[18:21], v190
	s_wait_dscnt 0x0
	ds_store_b128 v169, v[18:21]
.LBB74_386:                             ;   in Loop: Header=BB74_3 Depth=1
	s_or_b32 exec_lo, exec_lo, s33
	s_wait_dscnt 0x0
	s_barrier_signal -1
	s_barrier_wait -1
	s_and_saveexec_b32 s33, s27
	s_cbranch_execz .LBB74_388
; %bb.387:                              ;   in Loop: Header=BB74_3 Depth=1
	s_mov_b32 s36, s35
	s_mov_b32 s38, s35
	;; [unrolled: 1-line block ×3, first 2 shown]
	v_mov_b64_e32 v[18:19], s[36:37]
	v_mov_b64_e32 v[20:21], s[38:39]
	ds_store_b128 v3, v[18:21] offset:3168
	ds_store_b128 v3, v[18:21] offset:3696
	ds_load_b128 v[18:21], v3 offset:3680
	s_wait_dscnt 0x0
	ds_store_b128 v3, v[18:21] offset:3184
.LBB74_388:                             ;   in Loop: Header=BB74_3 Depth=1
	s_or_b32 exec_lo, exec_lo, s33
	v_mov_b64_e32 v[18:19], 0
	v_mov_b64_e32 v[20:21], 0
	s_wait_dscnt 0x0
	s_barrier_signal -1
	s_barrier_wait -1
	global_wb scope:SCOPE_DEV
	s_wait_storecnt 0x0
	global_inv scope:SCOPE_DEV
	s_and_saveexec_b32 s33, s0
	s_cbranch_execz .LBB74_392
; %bb.389:                              ;   in Loop: Header=BB74_3 Depth=1
	ds_load_b128 v[18:21], v44 offset:3680
	ds_load_b128 v[200:203], v178 offset:3136
	s_wait_dscnt 0x0
	v_mul_f64_e32 v[4:5], v[20:21], v[202:203]
	v_mul_f64_e32 v[202:203], v[18:19], v[202:203]
	s_delay_alu instid0(VALU_DEP_2) | instskip(NEXT) | instid1(VALU_DEP_2)
	v_fma_f64 v[4:5], v[18:19], v[200:201], -v[4:5]
	v_fmac_f64_e32 v[202:203], v[20:21], v[200:201]
	s_delay_alu instid0(VALU_DEP_2) | instskip(NEXT) | instid1(VALU_DEP_2)
	v_add_f64_e32 v[18:19], 0, v[4:5]
	v_add_f64_e32 v[20:21], 0, v[202:203]
	s_and_saveexec_b32 s36, s8
	s_cbranch_execz .LBB74_391
; %bb.390:                              ;   in Loop: Header=BB74_3 Depth=1
	ds_load_b128 v[200:203], v3 offset:3696
	ds_load_b128 v[204:207], v47 offset:3648
	s_wait_dscnt 0x0
	v_mul_f64_e32 v[4:5], v[202:203], v[206:207]
	s_delay_alu instid0(VALU_DEP_1) | instskip(SKIP_1) | instid1(VALU_DEP_2)
	v_fma_f64 v[4:5], v[200:201], v[204:205], -v[4:5]
	v_mul_f64_e32 v[200:201], v[200:201], v[206:207]
	v_add_f64_e32 v[18:19], v[18:19], v[4:5]
	s_delay_alu instid0(VALU_DEP_2) | instskip(NEXT) | instid1(VALU_DEP_1)
	v_fmac_f64_e32 v[200:201], v[202:203], v[204:205]
	v_add_f64_e32 v[20:21], v[20:21], v[200:201]
.LBB74_391:                             ;   in Loop: Header=BB74_3 Depth=1
	s_or_b32 exec_lo, exec_lo, s36
.LBB74_392:                             ;   in Loop: Header=BB74_3 Depth=1
	s_delay_alu instid0(SALU_CYCLE_1)
	s_or_b32 exec_lo, exec_lo, s33
	s_and_saveexec_b32 s33, s64
	s_cbranch_execz .LBB74_394
; %bb.393:                              ;   in Loop: Header=BB74_3 Depth=1
	s_delay_alu instid0(VALU_DEP_2) | instskip(NEXT) | instid1(VALU_DEP_2)
	v_xor_b32_e32 v201, 0x80000000, v19
	v_xor_b32_e32 v203, 0x80000000, v21
	s_delay_alu instid0(VALU_DEP_3)
	v_dual_mov_b32 v200, v18 :: v_dual_mov_b32 v202, v20
	ds_store_b128 v179, v[200:203]
.LBB74_394:                             ;   in Loop: Header=BB74_3 Depth=1
	s_or_b32 exec_lo, exec_lo, s33
	s_wait_loadcnt_dscnt 0x0
	s_barrier_signal -1
	s_barrier_wait -1
	s_and_saveexec_b32 s33, s65
	s_cbranch_execz .LBB74_396
; %bb.395:                              ;   in Loop: Header=BB74_3 Depth=1
	ds_load_b128 v[200:203], v179
	ds_load_b128 v[204:207], v3 offset:2624
	s_wait_dscnt 0x0
	v_mul_f64_e32 v[4:5], v[200:201], v[204:205]
	v_mul_f64_e32 v[200:201], v[200:201], v[206:207]
	s_delay_alu instid0(VALU_DEP_2) | instskip(NEXT) | instid1(VALU_DEP_2)
	v_fma_f64 v[4:5], v[202:203], v[206:207], -v[4:5]
	v_fmac_f64_e32 v[200:201], v[202:203], v[204:205]
	s_delay_alu instid0(VALU_DEP_2) | instskip(NEXT) | instid1(VALU_DEP_2)
	v_add_f64_e32 v[18:19], v[18:19], v[4:5]
	v_add_f64_e64 v[20:21], v[20:21], -v[200:201]
.LBB74_396:                             ;   in Loop: Header=BB74_3 Depth=1
	s_or_b32 exec_lo, exec_lo, s33
	s_barrier_signal -1
	s_barrier_wait -1
	s_and_saveexec_b32 s33, s65
	s_cbranch_execz .LBB74_398
; %bb.397:                              ;   in Loop: Header=BB74_3 Depth=1
	s_delay_alu instid0(VALU_DEP_2) | instskip(NEXT) | instid1(VALU_DEP_2)
	v_xor_b32_e32 v201, 0x80000000, v19
	v_xor_b32_e32 v203, 0x80000000, v21
	s_delay_alu instid0(VALU_DEP_3)
	v_dual_mov_b32 v200, v18 :: v_dual_mov_b32 v202, v20
	ds_store_b128 v179, v[200:203]
.LBB74_398:                             ;   in Loop: Header=BB74_3 Depth=1
	s_or_b32 exec_lo, exec_lo, s33
	s_wait_dscnt 0x0
	s_barrier_signal -1
	s_barrier_wait -1
	s_barrier_signal -1
	s_barrier_wait -1
	s_and_saveexec_b32 s33, s0
; %bb.399:                              ;   in Loop: Header=BB74_3 Depth=1
	ds_store_b128 v181, v[18:21] offset:3648
; %bb.400:                              ;   in Loop: Header=BB74_3 Depth=1
	s_or_b32 exec_lo, exec_lo, s33
	s_wait_dscnt 0x0
	s_barrier_signal -1
	s_barrier_wait -1
	s_barrier_signal -1
	s_barrier_wait -1
	s_and_saveexec_b32 s33, s66
	s_cbranch_execz .LBB74_402
; %bb.401:                              ;   in Loop: Header=BB74_3 Depth=1
	ds_load_b128 v[18:21], v95
	s_wait_dscnt 0x0
	ds_store_b128 v170, v[18:21]
	ds_load_b128 v[18:21], v191
	s_wait_dscnt 0x0
	ds_store_b128 v171, v[18:21]
.LBB74_402:                             ;   in Loop: Header=BB74_3 Depth=1
	s_or_b32 exec_lo, exec_lo, s33
	s_wait_dscnt 0x0
	s_barrier_signal -1
	s_barrier_wait -1
	s_and_saveexec_b32 s33, s27
	s_cbranch_execz .LBB74_404
; %bb.403:                              ;   in Loop: Header=BB74_3 Depth=1
	s_mov_b32 s36, s35
	s_mov_b32 s38, s35
	;; [unrolled: 1-line block ×3, first 2 shown]
	v_mov_b64_e32 v[18:19], s[36:37]
	v_mov_b64_e32 v[20:21], s[38:39]
	ds_store_b128 v3, v[18:21] offset:2112
	ds_store_b128 v3, v[18:21] offset:2640
	ds_load_b128 v[18:21], v3 offset:2624
	s_wait_dscnt 0x0
	ds_store_b128 v3, v[18:21] offset:2128
.LBB74_404:                             ;   in Loop: Header=BB74_3 Depth=1
	s_or_b32 exec_lo, exec_lo, s33
	v_mov_b64_e32 v[20:21], 0
	v_mov_b64_e32 v[18:19], 0
	s_wait_dscnt 0x0
	s_barrier_signal -1
	s_barrier_wait -1
	global_wb scope:SCOPE_DEV
	s_wait_storecnt 0x0
	global_inv scope:SCOPE_DEV
	s_and_saveexec_b32 s33, s2
	s_cbranch_execz .LBB74_410
; %bb.405:                              ;   in Loop: Header=BB74_3 Depth=1
	ds_load_b128 v[18:21], v48 offset:3648
	ds_load_b128 v[200:203], v180 offset:2048
	s_wait_dscnt 0x0
	v_mul_f64_e32 v[4:5], v[20:21], v[202:203]
	v_mul_f64_e32 v[202:203], v[18:19], v[202:203]
	s_delay_alu instid0(VALU_DEP_2) | instskip(NEXT) | instid1(VALU_DEP_2)
	v_fma_f64 v[4:5], v[18:19], v[200:201], -v[4:5]
	v_fmac_f64_e32 v[202:203], v[20:21], v[200:201]
	s_delay_alu instid0(VALU_DEP_2) | instskip(NEXT) | instid1(VALU_DEP_2)
	v_add_f64_e32 v[18:19], 0, v[4:5]
	v_add_f64_e32 v[20:21], 0, v[202:203]
	s_and_saveexec_b32 s36, s9
	s_cbranch_execnz .LBB74_540
; %bb.406:                              ;   in Loop: Header=BB74_3 Depth=1
	s_or_b32 exec_lo, exec_lo, s36
	s_and_saveexec_b32 s36, s10
	s_cbranch_execnz .LBB74_541
.LBB74_407:                             ;   in Loop: Header=BB74_3 Depth=1
	s_or_b32 exec_lo, exec_lo, s36
	s_and_saveexec_b32 s36, s0
	s_cbranch_execz .LBB74_409
.LBB74_408:                             ;   in Loop: Header=BB74_3 Depth=1
	ds_load_b128 v[200:203], v3 offset:3696
	ds_load_b128 v[204:207], v87 offset:3584
	s_wait_dscnt 0x0
	v_mul_f64_e32 v[4:5], v[202:203], v[206:207]
	s_delay_alu instid0(VALU_DEP_1) | instskip(SKIP_1) | instid1(VALU_DEP_2)
	v_fma_f64 v[4:5], v[200:201], v[204:205], -v[4:5]
	v_mul_f64_e32 v[200:201], v[200:201], v[206:207]
	v_add_f64_e32 v[18:19], v[18:19], v[4:5]
	s_delay_alu instid0(VALU_DEP_2) | instskip(NEXT) | instid1(VALU_DEP_1)
	v_fmac_f64_e32 v[200:201], v[202:203], v[204:205]
	v_add_f64_e32 v[20:21], v[20:21], v[200:201]
.LBB74_409:                             ;   in Loop: Header=BB74_3 Depth=1
	s_or_b32 exec_lo, exec_lo, s36
.LBB74_410:                             ;   in Loop: Header=BB74_3 Depth=1
	s_delay_alu instid0(SALU_CYCLE_1)
	s_or_b32 exec_lo, exec_lo, s33
	s_and_saveexec_b32 s33, s67
	s_cbranch_execz .LBB74_412
; %bb.411:                              ;   in Loop: Header=BB74_3 Depth=1
	s_delay_alu instid0(VALU_DEP_1) | instskip(NEXT) | instid1(VALU_DEP_3)
	v_xor_b32_e32 v203, 0x80000000, v21
	v_xor_b32_e32 v201, 0x80000000, v19
	s_delay_alu instid0(VALU_DEP_3)
	v_dual_mov_b32 v200, v18 :: v_dual_mov_b32 v202, v20
	ds_store_b128 v183, v[200:203]
.LBB74_412:                             ;   in Loop: Header=BB74_3 Depth=1
	s_or_b32 exec_lo, exec_lo, s33
	s_wait_loadcnt_dscnt 0x0
	s_barrier_signal -1
	s_barrier_wait -1
	s_and_saveexec_b32 s33, s68
	s_cbranch_execz .LBB74_414
; %bb.413:                              ;   in Loop: Header=BB74_3 Depth=1
	ds_load_b128 v[200:203], v183
	ds_load_b128 v[204:207], v180 offset:1536
	s_wait_dscnt 0x0
	v_mul_f64_e32 v[4:5], v[202:203], v[206:207]
	s_delay_alu instid0(VALU_DEP_1) | instskip(SKIP_1) | instid1(VALU_DEP_2)
	v_fma_f64 v[4:5], v[200:201], v[204:205], -v[4:5]
	v_mul_f64_e32 v[200:201], v[200:201], v[206:207]
	v_add_f64_e64 v[18:19], v[18:19], -v[4:5]
	s_delay_alu instid0(VALU_DEP_2) | instskip(NEXT) | instid1(VALU_DEP_1)
	v_fmac_f64_e32 v[200:201], v[202:203], v[204:205]
	v_add_f64_e64 v[20:21], v[20:21], -v[200:201]
.LBB74_414:                             ;   in Loop: Header=BB74_3 Depth=1
	s_or_b32 exec_lo, exec_lo, s33
	s_barrier_signal -1
	s_barrier_wait -1
	s_and_saveexec_b32 s33, s69
	s_cbranch_execz .LBB74_416
; %bb.415:                              ;   in Loop: Header=BB74_3 Depth=1
	s_delay_alu instid0(VALU_DEP_1) | instskip(NEXT) | instid1(VALU_DEP_3)
	v_xor_b32_e32 v203, 0x80000000, v21
	v_xor_b32_e32 v201, 0x80000000, v19
	s_delay_alu instid0(VALU_DEP_3)
	v_dual_mov_b32 v200, v18 :: v_dual_mov_b32 v202, v20
	ds_store_b128 v183, v[200:203]
.LBB74_416:                             ;   in Loop: Header=BB74_3 Depth=1
	s_or_b32 exec_lo, exec_lo, s33
	s_wait_dscnt 0x0
	s_barrier_signal -1
	s_barrier_wait -1
	s_and_saveexec_b32 s33, s70
	s_cbranch_execz .LBB74_418
; %bb.417:                              ;   in Loop: Header=BB74_3 Depth=1
	ds_load_b128 v[200:203], v183
	ds_load_b128 v[204:207], v180 offset:1024
	s_wait_dscnt 0x0
	v_mul_f64_e32 v[4:5], v[202:203], v[206:207]
	s_delay_alu instid0(VALU_DEP_1) | instskip(SKIP_1) | instid1(VALU_DEP_2)
	v_fma_f64 v[4:5], v[200:201], v[204:205], -v[4:5]
	v_mul_f64_e32 v[200:201], v[200:201], v[206:207]
	v_add_f64_e64 v[18:19], v[18:19], -v[4:5]
	s_delay_alu instid0(VALU_DEP_2) | instskip(NEXT) | instid1(VALU_DEP_1)
	v_fmac_f64_e32 v[200:201], v[202:203], v[204:205]
	v_add_f64_e64 v[20:21], v[20:21], -v[200:201]
.LBB74_418:                             ;   in Loop: Header=BB74_3 Depth=1
	s_or_b32 exec_lo, exec_lo, s33
	s_barrier_signal -1
	s_barrier_wait -1
	s_and_saveexec_b32 s33, s71
	s_cbranch_execz .LBB74_420
; %bb.419:                              ;   in Loop: Header=BB74_3 Depth=1
	s_delay_alu instid0(VALU_DEP_1) | instskip(NEXT) | instid1(VALU_DEP_3)
	v_xor_b32_e32 v203, 0x80000000, v21
	v_xor_b32_e32 v201, 0x80000000, v19
	s_delay_alu instid0(VALU_DEP_3)
	v_dual_mov_b32 v200, v18 :: v_dual_mov_b32 v202, v20
	ds_store_b128 v183, v[200:203]
.LBB74_420:                             ;   in Loop: Header=BB74_3 Depth=1
	s_or_b32 exec_lo, exec_lo, s33
	s_wait_dscnt 0x0
	;; [unrolled: 32-line block ×3, first 2 shown]
	s_barrier_signal -1
	s_barrier_wait -1
	s_barrier_signal -1
	s_barrier_wait -1
	s_and_saveexec_b32 s33, s2
; %bb.425:                              ;   in Loop: Header=BB74_3 Depth=1
	ds_store_b128 v185, v[18:21] offset:3584
; %bb.426:                              ;   in Loop: Header=BB74_3 Depth=1
	s_or_b32 exec_lo, exec_lo, s33
	s_wait_dscnt 0x0
	s_barrier_signal -1
	s_barrier_wait -1
	s_barrier_signal -1
	s_barrier_wait -1
	s_and_saveexec_b32 s33, s73
	s_cbranch_execz .LBB74_428
; %bb.427:                              ;   in Loop: Header=BB74_3 Depth=1
	ds_load_b128 v[18:21], v105
	s_wait_dscnt 0x0
	ds_store_b128 v172, v[18:21]
	ds_load_b128 v[18:21], v192
	s_wait_dscnt 0x0
	ds_store_b128 v175, v[18:21]
	ds_load_b128 v[18:21], v107
	s_wait_dscnt 0x0
	ds_store_b128 v174, v[18:21]
	ds_load_b128 v[18:21], v106
	s_wait_dscnt 0x0
	ds_store_b128 v173, v[18:21]
.LBB74_428:                             ;   in Loop: Header=BB74_3 Depth=1
	s_or_b32 exec_lo, exec_lo, s33
	s_wait_dscnt 0x0
	s_barrier_signal -1
	s_barrier_wait -1
	s_and_saveexec_b32 s33, s27
	s_cbranch_execz .LBB74_430
; %bb.429:                              ;   in Loop: Header=BB74_3 Depth=1
	s_mov_b32 s36, s35
	s_mov_b32 s38, s35
	s_mov_b32 s39, s35
	v_mov_b64_e32 v[18:19], s[36:37]
	v_mov_b64_e32 v[20:21], s[38:39]
	ds_store_b128 v3, v[18:21] offset:1056
	ds_store_b128 v3, v[18:21] offset:1584
	ds_load_b128 v[18:21], v3 offset:1568
	s_wait_dscnt 0x0
	ds_store_b128 v3, v[18:21] offset:1072
.LBB74_430:                             ;   in Loop: Header=BB74_3 Depth=1
	s_or_b32 exec_lo, exec_lo, s33
	v_mov_b64_e32 v[18:19], 0
	v_mov_b64_e32 v[20:21], 0
	s_wait_dscnt 0x0
	s_barrier_signal -1
	s_barrier_wait -1
	global_wb scope:SCOPE_DEV
	s_wait_storecnt 0x0
	global_inv scope:SCOPE_DEV
	s_and_saveexec_b32 s33, s0
	s_cbranch_execz .LBB74_434
; %bb.431:                              ;   in Loop: Header=BB74_3 Depth=1
	ds_load_b128 v[18:21], v44 offset:1568
	ds_load_b128 v[200:203], v178 offset:1024
	s_wait_dscnt 0x0
	v_mul_f64_e32 v[4:5], v[20:21], v[202:203]
	v_mul_f64_e32 v[202:203], v[18:19], v[202:203]
	s_delay_alu instid0(VALU_DEP_2) | instskip(NEXT) | instid1(VALU_DEP_2)
	v_fma_f64 v[4:5], v[18:19], v[200:201], -v[4:5]
	v_fmac_f64_e32 v[202:203], v[20:21], v[200:201]
	s_delay_alu instid0(VALU_DEP_2) | instskip(NEXT) | instid1(VALU_DEP_2)
	v_add_f64_e32 v[18:19], 0, v[4:5]
	v_add_f64_e32 v[20:21], 0, v[202:203]
	s_and_saveexec_b32 s36, s8
	s_cbranch_execz .LBB74_433
; %bb.432:                              ;   in Loop: Header=BB74_3 Depth=1
	ds_load_b128 v[200:203], v3 offset:1584
	ds_load_b128 v[204:207], v98 offset:1536
	s_wait_dscnt 0x0
	v_mul_f64_e32 v[4:5], v[202:203], v[206:207]
	s_delay_alu instid0(VALU_DEP_1) | instskip(SKIP_1) | instid1(VALU_DEP_2)
	v_fma_f64 v[4:5], v[200:201], v[204:205], -v[4:5]
	v_mul_f64_e32 v[200:201], v[200:201], v[206:207]
	v_add_f64_e32 v[18:19], v[18:19], v[4:5]
	s_delay_alu instid0(VALU_DEP_2) | instskip(NEXT) | instid1(VALU_DEP_1)
	v_fmac_f64_e32 v[200:201], v[202:203], v[204:205]
	v_add_f64_e32 v[20:21], v[20:21], v[200:201]
.LBB74_433:                             ;   in Loop: Header=BB74_3 Depth=1
	s_or_b32 exec_lo, exec_lo, s36
.LBB74_434:                             ;   in Loop: Header=BB74_3 Depth=1
	s_delay_alu instid0(SALU_CYCLE_1)
	s_or_b32 exec_lo, exec_lo, s33
	s_and_saveexec_b32 s33, s64
	s_cbranch_execz .LBB74_436
; %bb.435:                              ;   in Loop: Header=BB74_3 Depth=1
	s_delay_alu instid0(VALU_DEP_2) | instskip(NEXT) | instid1(VALU_DEP_2)
	v_xor_b32_e32 v201, 0x80000000, v19
	v_xor_b32_e32 v203, 0x80000000, v21
	s_delay_alu instid0(VALU_DEP_3)
	v_dual_mov_b32 v200, v18 :: v_dual_mov_b32 v202, v20
	ds_store_b128 v179, v[200:203]
.LBB74_436:                             ;   in Loop: Header=BB74_3 Depth=1
	s_or_b32 exec_lo, exec_lo, s33
	s_wait_loadcnt_dscnt 0x0
	s_barrier_signal -1
	s_barrier_wait -1
	s_and_saveexec_b32 s33, s65
	s_cbranch_execz .LBB74_438
; %bb.437:                              ;   in Loop: Header=BB74_3 Depth=1
	ds_load_b128 v[200:203], v179
	ds_load_b128 v[204:207], v3 offset:512
	s_wait_dscnt 0x0
	v_mul_f64_e32 v[4:5], v[200:201], v[204:205]
	v_mul_f64_e32 v[200:201], v[200:201], v[206:207]
	s_delay_alu instid0(VALU_DEP_2) | instskip(NEXT) | instid1(VALU_DEP_2)
	v_fma_f64 v[4:5], v[202:203], v[206:207], -v[4:5]
	v_fmac_f64_e32 v[200:201], v[202:203], v[204:205]
	s_delay_alu instid0(VALU_DEP_2) | instskip(NEXT) | instid1(VALU_DEP_2)
	v_add_f64_e32 v[18:19], v[18:19], v[4:5]
	v_add_f64_e64 v[20:21], v[20:21], -v[200:201]
.LBB74_438:                             ;   in Loop: Header=BB74_3 Depth=1
	s_or_b32 exec_lo, exec_lo, s33
	s_barrier_signal -1
	s_barrier_wait -1
	s_and_saveexec_b32 s33, s65
	s_cbranch_execz .LBB74_440
; %bb.439:                              ;   in Loop: Header=BB74_3 Depth=1
	s_delay_alu instid0(VALU_DEP_2) | instskip(NEXT) | instid1(VALU_DEP_2)
	v_xor_b32_e32 v201, 0x80000000, v19
	v_xor_b32_e32 v203, 0x80000000, v21
	s_delay_alu instid0(VALU_DEP_3)
	v_dual_mov_b32 v200, v18 :: v_dual_mov_b32 v202, v20
	ds_store_b128 v179, v[200:203]
.LBB74_440:                             ;   in Loop: Header=BB74_3 Depth=1
	s_or_b32 exec_lo, exec_lo, s33
	s_wait_dscnt 0x0
	s_barrier_signal -1
	s_barrier_wait -1
	s_barrier_signal -1
	s_barrier_wait -1
	s_and_saveexec_b32 s33, s0
; %bb.441:                              ;   in Loop: Header=BB74_3 Depth=1
	ds_store_b128 v181, v[18:21] offset:1536
; %bb.442:                              ;   in Loop: Header=BB74_3 Depth=1
	s_or_b32 exec_lo, exec_lo, s33
	s_wait_dscnt 0x0
	s_barrier_signal -1
	s_barrier_wait -1
	s_barrier_signal -1
	s_barrier_wait -1
	s_and_saveexec_b32 s33, s66
	s_cbranch_execz .LBB74_444
; %bb.443:                              ;   in Loop: Header=BB74_3 Depth=1
	ds_load_b128 v[18:21], v110
	s_wait_dscnt 0x0
	ds_store_b128 v114, v[18:21]
	ds_load_b128 v[18:21], v111
	s_wait_dscnt 0x0
	ds_store_b128 v115, v[18:21]
.LBB74_444:                             ;   in Loop: Header=BB74_3 Depth=1
	s_or_b32 exec_lo, exec_lo, s33
	s_wait_dscnt 0x0
	s_barrier_signal -1
	s_barrier_wait -1
	s_and_saveexec_b32 s33, s27
	s_cbranch_execz .LBB74_446
; %bb.445:                              ;   in Loop: Header=BB74_3 Depth=1
	s_mov_b32 s36, s35
	s_mov_b32 s38, s35
	;; [unrolled: 1-line block ×3, first 2 shown]
	v_mov_b64_e32 v[18:19], s[36:37]
	v_mov_b64_e32 v[20:21], s[38:39]
	ds_store_b128 v3, v[18:21]
	ds_store_b128 v3, v[18:21] offset:528
	ds_load_b128 v[18:21], v3 offset:512
	s_wait_dscnt 0x0
	ds_store_b128 v3, v[18:21] offset:16
.LBB74_446:                             ;   in Loop: Header=BB74_3 Depth=1
	s_or_b32 exec_lo, exec_lo, s33
.LBB74_447:                             ;   in Loop: Header=BB74_3 Depth=1
	v_mov_b64_e32 v[18:19], 0
	s_mul_u64 s[38:39], s[52:53], s[34:35]
	s_wait_dscnt 0x0
	s_lshl_b64 s[38:39], s[38:39], 4
	s_barrier_signal -1
	s_add_nc_u64 s[38:39], s[46:47], s[38:39]
	s_barrier_wait -1
	v_mov_b64_e32 v[20:21], v[18:19]
	s_and_saveexec_b32 s33, s95
	s_cbranch_execz .LBB74_449
; %bb.448:                              ;   in Loop: Header=BB74_3 Depth=1
	v_lshl_add_u64 v[4:5], v[32:33], 4, s[38:39]
	global_load_b128 v[200:203], v[4:5], off
	s_wait_loadcnt 0x0
	v_mul_f64_e32 v[4:5], v[14:15], v[200:201]
	s_delay_alu instid0(VALU_DEP_1) | instskip(SKIP_1) | instid1(VALU_DEP_1)
	v_fma_f64 v[18:19], v[16:17], v[202:203], -v[4:5]
	v_mul_f64_e32 v[4:5], v[14:15], v[202:203]
	v_fma_f64 v[20:21], v[200:201], -v[16:17], -v[4:5]
.LBB74_449:                             ;   in Loop: Header=BB74_3 Depth=1
	s_or_b32 exec_lo, exec_lo, s33
	s_delay_alu instid0(SALU_CYCLE_1)
	s_and_not1_b32 vcc_lo, exec_lo, s17
	s_cbranch_vccnz .LBB74_472
; %bb.450:                              ;   in Loop: Header=BB74_3 Depth=1
	v_mov_b32_e32 v23, -1
	s_lshl_b64 s[56:57], s[34:35], 2
	s_mov_b32 s36, 0
	s_add_nc_u64 s[56:57], s[54:55], s[56:57]
	s_branch .LBB74_453
.LBB74_451:                             ;   in Loop: Header=BB74_453 Depth=2
	ds_load_b128 v[200:203], v194 offset:256
	s_wait_loadcnt_dscnt 0x0
	v_mul_f64_e32 v[4:5], v[16:17], v[202:203]
	s_delay_alu instid0(VALU_DEP_1) | instskip(SKIP_1) | instid1(VALU_DEP_2)
	v_fma_f64 v[4:5], v[14:15], v[200:201], -v[4:5]
	v_mul_f64_e32 v[14:15], v[14:15], v[202:203]
	v_add_f64_e32 v[18:19], v[18:19], v[4:5]
	s_delay_alu instid0(VALU_DEP_2) | instskip(NEXT) | instid1(VALU_DEP_1)
	v_fmac_f64_e32 v[14:15], v[16:17], v[200:201]
	v_add_f64_e32 v[20:21], v[20:21], v[14:15]
.LBB74_452:                             ;   in Loop: Header=BB74_453 Depth=2
	s_or_b32 exec_lo, exec_lo, s33
	s_add_co_i32 s36, s36, 1
	s_delay_alu instid0(SALU_CYCLE_1)
	s_cmp_eq_u32 s36, s60
	s_cbranch_scc1 .LBB74_472
.LBB74_453:                             ;   Parent Loop BB74_3 Depth=1
                                        ; =>  This Loop Header: Depth=2
                                        ;       Child Loop BB74_455 Depth 3
	v_cmp_gt_i32_e32 vcc_lo, s36, v23
	s_and_b32 s99, s30, vcc_lo
	s_delay_alu instid0(SALU_CYCLE_1)
	s_and_saveexec_b32 s33, s99
	s_cbranch_execz .LBB74_456
; %bb.454:                              ;   in Loop: Header=BB74_453 Depth=2
	global_load_b32 v23, v3, s[56:57]
	s_wait_loadcnt 0x0
	v_cmp_le_i32_e32 vcc_lo, s36, v23
	s_cbranch_vccnz .LBB74_456
.LBB74_455:                             ;   Parent Loop BB74_3 Depth=1
                                        ;     Parent Loop BB74_453 Depth=2
                                        ; =>    This Inner Loop Header: Depth=3
	global_wb scope:SCOPE_DEV
	s_wait_storecnt 0x0
	global_inv scope:SCOPE_DEV
	global_load_b32 v23, v3, s[56:57]
	s_wait_loadcnt 0x0
	v_cmp_gt_i32_e32 vcc_lo, s36, v23
	s_cbranch_vccnz .LBB74_455
.LBB74_456:                             ;   in Loop: Header=BB74_453 Depth=2
	s_or_b32 exec_lo, exec_lo, s33
	s_lshl_b32 s33, s36, 5
	global_wb scope:SCOPE_DEV
	s_wait_storecnt 0x0
	global_inv scope:SCOPE_DEV
	s_wait_loadcnt 0x0
	s_barrier_signal -1
	s_barrier_wait -1
	s_and_saveexec_b32 s99, s31
	s_cbranch_execz .LBB74_461
; %bb.457:                              ;   in Loop: Header=BB74_453 Depth=2
	v_or_b32_e32 v2, s33, v26
	s_delay_alu instid0(VALU_DEP_1) | instskip(SKIP_1) | instid1(SALU_CYCLE_1)
	v_cmp_le_i32_e32 vcc_lo, s59, v2
	s_and_saveexec_b32 s100, vcc_lo
	s_xor_b32 vcc_lo, exec_lo, s100
; %bb.458:                              ;   in Loop: Header=BB74_453 Depth=2
	v_dual_mov_b32 v2, v3 :: v_dual_mov_b32 v4, v3
	v_mov_b32_e32 v5, v3
	ds_store_b128 v176, v[2:5]
; %bb.459:                              ;   in Loop: Header=BB74_453 Depth=2
	s_and_not1_saveexec_b32 s100, vcc_lo
	s_cbranch_execz .LBB74_461
; %bb.460:                              ;   in Loop: Header=BB74_453 Depth=2
	v_mul_u64_e32 v[4:5], s[50:51], v[2:3]
	s_delay_alu instid0(VALU_DEP_1)
	v_lshl_add_u64 v[4:5], v[4:5], 4, s[38:39]
	global_load_b128 v[14:17], v[4:5], off
	s_wait_loadcnt 0x0
	ds_store_2addr_b64 v176, v[14:15], v[16:17] offset1:1
.LBB74_461:                             ;   in Loop: Header=BB74_453 Depth=2
	s_or_b32 exec_lo, exec_lo, s99
	v_add_nc_u32_e32 v2, s33, v22
	v_cmp_ne_u32_e32 vcc_lo, s36, v25
	s_wait_dscnt 0x0
	s_barrier_signal -1
	s_barrier_wait -1
	v_cmp_gt_i32_e64 s33, s59, v2
	v_lshl_add_u64 v[4:5], v[2:3], 4, v[42:43]
	v_cndmask_b32_e64 v200, 0, 1, vcc_lo
	s_and_b32 s99, s33, s5
	s_delay_alu instid0(SALU_CYCLE_1)
	s_and_saveexec_b32 s33, s99
	s_cbranch_execz .LBB74_467
; %bb.462:                              ;   in Loop: Header=BB74_453 Depth=2
	v_mov_b64_e32 v[14:15], v[6:7]
	s_and_not1_b32 vcc_lo, exec_lo, vcc_lo
	s_cbranch_vccnz .LBB74_464
; %bb.463:                              ;   in Loop: Header=BB74_453 Depth=2
	global_load_b64 v[14:15], v[4:5], off
.LBB74_464:                             ;   in Loop: Header=BB74_453 Depth=2
	v_cmp_ne_u32_e32 vcc_lo, 1, v200
	v_mov_b64_e32 v[16:17], v[8:9]
	s_cbranch_vccnz .LBB74_466
; %bb.465:                              ;   in Loop: Header=BB74_453 Depth=2
	global_load_b64 v[16:17], v[4:5], off offset:8
.LBB74_466:                             ;   in Loop: Header=BB74_453 Depth=2
	ds_load_b128 v[202:205], v194
	s_wait_loadcnt_dscnt 0x0
	v_mul_f64_e32 v[206:207], v[16:17], v[204:205]
	s_delay_alu instid0(VALU_DEP_1) | instskip(SKIP_1) | instid1(VALU_DEP_2)
	v_fma_f64 v[206:207], v[14:15], v[202:203], -v[206:207]
	v_mul_f64_e32 v[14:15], v[14:15], v[204:205]
	v_add_f64_e32 v[18:19], v[18:19], v[206:207]
	s_delay_alu instid0(VALU_DEP_2) | instskip(NEXT) | instid1(VALU_DEP_1)
	v_fmac_f64_e32 v[14:15], v[16:17], v[202:203]
	v_add_f64_e32 v[20:21], v[20:21], v[14:15]
.LBB74_467:                             ;   in Loop: Header=BB74_453 Depth=2
	s_or_b32 exec_lo, exec_lo, s33
	v_add_nc_u32_e32 v2, 16, v2
	s_delay_alu instid0(VALU_DEP_1) | instskip(SKIP_1) | instid1(SALU_CYCLE_1)
	v_cmp_gt_i32_e32 vcc_lo, s59, v2
	s_and_b32 s99, vcc_lo, s5
	s_and_saveexec_b32 s33, s99
	s_cbranch_execz .LBB74_452
; %bb.468:                              ;   in Loop: Header=BB74_453 Depth=2
	v_cmp_ne_u32_e32 vcc_lo, 1, v200
	v_mov_b64_e32 v[14:15], v[10:11]
	s_cbranch_vccnz .LBB74_470
; %bb.469:                              ;   in Loop: Header=BB74_453 Depth=2
	global_load_b64 v[14:15], v[4:5], off offset:256
.LBB74_470:                             ;   in Loop: Header=BB74_453 Depth=2
	v_cmp_ne_u32_e32 vcc_lo, 1, v200
	v_mov_b64_e32 v[16:17], v[12:13]
	s_cbranch_vccnz .LBB74_451
; %bb.471:                              ;   in Loop: Header=BB74_453 Depth=2
	global_load_b64 v[16:17], v[4:5], off offset:264
	s_branch .LBB74_451
.LBB74_472:                             ;   in Loop: Header=BB74_3 Depth=1
	ds_store_b128 v177, v[18:21]
	s_wait_dscnt 0x0
	s_barrier_signal -1
	s_barrier_wait -1
	s_and_saveexec_b32 s33, s1
	s_cbranch_execz .LBB74_474
; %bb.473:                              ;   in Loop: Header=BB74_3 Depth=1
	ds_load_b128 v[14:17], v198 offset:512
	s_wait_dscnt 0x0
	v_add_f64_e32 v[4:5], v[18:19], v[14:15]
	v_add_f64_e32 v[18:19], v[20:21], v[16:17]
	ds_load_b128 v[14:17], v198 offset:1024
	s_wait_dscnt 0x0
	v_add_f64_e32 v[4:5], v[4:5], v[14:15]
	v_add_f64_e32 v[18:19], v[18:19], v[16:17]
	;; [unrolled: 4-line block ×15, first 2 shown]
	s_delay_alu instid0(VALU_DEP_2) | instskip(NEXT) | instid1(VALU_DEP_2)
	v_xor_b32_e32 v2, 0x80000000, v5
	v_xor_b32_e32 v5, 0x80000000, v15
	s_delay_alu instid0(VALU_DEP_4) | instskip(NEXT) | instid1(VALU_DEP_4)
	v_cndmask_b32_e64 v18, v4, 0, s92
	v_cndmask_b32_e64 v20, v14, 0, s92
	s_delay_alu instid0(VALU_DEP_4) | instskip(NEXT) | instid1(VALU_DEP_4)
	v_cndmask_b32_e64 v19, v2, 0, s92
	v_cndmask_b32_e64 v21, v5, 0, s92
.LBB74_474:                             ;   in Loop: Header=BB74_3 Depth=1
	s_or_b32 exec_lo, exec_lo, s33
	s_delay_alu instid0(SALU_CYCLE_1)
	s_and_not1_b32 vcc_lo, exec_lo, s63
	s_cbranch_vccnz .LBB74_483
; %bb.475:                              ;   in Loop: Header=BB74_3 Depth=1
	s_and_saveexec_b32 s33, s1
; %bb.476:                              ;   in Loop: Header=BB74_3 Depth=1
	ds_store_b128 v199, v[18:21]
; %bb.477:                              ;   in Loop: Header=BB74_3 Depth=1
	s_or_b32 exec_lo, exec_lo, s33
	v_mov_b64_e32 v[14:15], 0
	v_mov_b64_e32 v[16:17], 0
	s_wait_dscnt 0x0
	s_barrier_signal -1
	s_barrier_wait -1
	s_and_saveexec_b32 s33, s6
	s_cbranch_execz .LBB74_479
; %bb.478:                              ;   in Loop: Header=BB74_3 Depth=1
	ds_load_b128 v[14:17], v194
	ds_load_b128 v[200:203], v195
	s_wait_dscnt 0x0
	v_mul_f64_e32 v[4:5], v[16:17], v[202:203]
	v_mul_f64_e32 v[42:43], v[14:15], v[202:203]
	s_delay_alu instid0(VALU_DEP_2) | instskip(NEXT) | instid1(VALU_DEP_2)
	v_fma_f64 v[4:5], v[14:15], v[200:201], -v[4:5]
	v_fmac_f64_e32 v[42:43], v[16:17], v[200:201]
	s_delay_alu instid0(VALU_DEP_2) | instskip(NEXT) | instid1(VALU_DEP_2)
	v_add_f64_e32 v[14:15], 0, v[4:5]
	v_add_f64_e32 v[16:17], 0, v[42:43]
.LBB74_479:                             ;   in Loop: Header=BB74_3 Depth=1
	s_or_b32 exec_lo, exec_lo, s33
	s_and_saveexec_b32 s33, s7
	s_cbranch_execz .LBB74_481
; %bb.480:                              ;   in Loop: Header=BB74_3 Depth=1
	ds_load_b128 v[200:203], v194 offset:256
	ds_load_b128 v[204:207], v195 offset:8192
	s_wait_dscnt 0x0
	v_mul_f64_e32 v[4:5], v[202:203], v[206:207]
	v_mul_f64_e32 v[42:43], v[200:201], v[206:207]
	s_delay_alu instid0(VALU_DEP_2) | instskip(NEXT) | instid1(VALU_DEP_2)
	v_fma_f64 v[4:5], v[200:201], v[204:205], -v[4:5]
	v_fmac_f64_e32 v[42:43], v[202:203], v[204:205]
	s_delay_alu instid0(VALU_DEP_2) | instskip(NEXT) | instid1(VALU_DEP_2)
	v_add_f64_e32 v[14:15], v[14:15], v[4:5]
	v_add_f64_e32 v[16:17], v[16:17], v[42:43]
.LBB74_481:                             ;   in Loop: Header=BB74_3 Depth=1
	s_or_b32 exec_lo, exec_lo, s33
	s_mov_b32 s36, 0
	s_mov_b32 s33, 0
	ds_store_b128 v177, v[14:17]
	s_wait_dscnt 0x0
	s_barrier_signal -1
	s_barrier_wait -1
                                        ; implicit-def: $vgpr4_vgpr5
                                        ; implicit-def: $vgpr42_vgpr43
	s_and_saveexec_b32 s56, s1
	s_cbranch_execz .LBB74_513
; %bb.482:                              ;   in Loop: Header=BB74_3 Depth=1
	ds_load_b128 v[200:203], v198 offset:512
	s_mov_b32 s33, exec_lo
	s_wait_dscnt 0x0
	v_add_f64_e32 v[4:5], v[14:15], v[200:201]
	v_add_f64_e32 v[42:43], v[16:17], v[202:203]
	ds_load_b128 v[14:17], v198 offset:1024
	s_wait_dscnt 0x0
	v_add_f64_e32 v[4:5], v[4:5], v[14:15]
	v_add_f64_e32 v[42:43], v[42:43], v[16:17]
	ds_load_b128 v[14:17], v198 offset:1536
	;; [unrolled: 4-line block ×14, first 2 shown]
	s_wait_dscnt 0x0
	v_add_f64_e32 v[42:43], v[4:5], v[14:15]
	v_add_f64_e32 v[4:5], v[200:201], v[16:17]
	s_or_b32 exec_lo, exec_lo, s56
	s_delay_alu instid0(SALU_CYCLE_1)
	s_and_b32 vcc_lo, exec_lo, s36
	s_cbranch_vccnz .LBB74_484
	s_branch .LBB74_514
.LBB74_483:                             ;   in Loop: Header=BB74_3 Depth=1
	s_mov_b32 s33, 0
                                        ; implicit-def: $vgpr4_vgpr5
                                        ; implicit-def: $vgpr42_vgpr43
	s_cbranch_execz .LBB74_514
.LBB74_484:                             ;   in Loop: Header=BB74_3 Depth=1
	v_dual_mov_b32 v2, v24 :: v_dual_mov_b32 v4, v27
	s_mov_b32 s36, 0
	s_branch .LBB74_486
.LBB74_485:                             ;   in Loop: Header=BB74_486 Depth=2
	s_or_b32 exec_lo, exec_lo, s56
	v_add_nc_u32_e32 v4, 0x400, v4
	v_add_nc_u32_e32 v2, -2, v2
	s_add_co_i32 s36, s36, 2
	s_delay_alu instid0(SALU_CYCLE_1)
	s_cmp_lg_u32 s36, 32
	s_barrier_signal -1
	s_barrier_wait -1
	s_cbranch_scc0 .LBB74_494
.LBB74_486:                             ;   Parent Loop BB74_3 Depth=1
                                        ; =>  This Inner Loop Header: Depth=2
	s_delay_alu instid0(VALU_DEP_1) | instskip(SKIP_1) | instid1(SALU_CYCLE_1)
	v_cmp_eq_u32_e32 vcc_lo, 0, v2
	s_and_b32 s57, s1, vcc_lo
	s_and_saveexec_b32 s56, s57
; %bb.487:                              ;   in Loop: Header=BB74_486 Depth=2
	ds_store_b128 v3, v[18:21] offset:25088
; %bb.488:                              ;   in Loop: Header=BB74_486 Depth=2
	s_or_b32 exec_lo, exec_lo, s56
	v_cmp_lt_u32_e32 vcc_lo, s36, v24
	s_wait_dscnt 0x0
	s_barrier_signal -1
	s_barrier_wait -1
	s_and_b32 s57, s1, vcc_lo
	s_delay_alu instid0(SALU_CYCLE_1)
	s_and_saveexec_b32 s56, s57
	s_cbranch_execz .LBB74_490
; %bb.489:                              ;   in Loop: Header=BB74_486 Depth=2
	ds_load_b128 v[14:17], v3 offset:25088
	ds_load_b128 v[200:203], v4
	s_wait_dscnt 0x0
	v_mul_f64_e32 v[42:43], v[16:17], v[202:203]
	s_delay_alu instid0(VALU_DEP_1) | instskip(SKIP_1) | instid1(VALU_DEP_2)
	v_fma_f64 v[42:43], v[14:15], v[200:201], -v[42:43]
	v_mul_f64_e32 v[14:15], v[14:15], v[202:203]
	v_add_f64_e32 v[18:19], v[18:19], v[42:43]
	s_delay_alu instid0(VALU_DEP_2) | instskip(NEXT) | instid1(VALU_DEP_1)
	v_fmac_f64_e32 v[14:15], v[16:17], v[200:201]
	v_add_f64_e32 v[20:21], v[20:21], v[14:15]
.LBB74_490:                             ;   in Loop: Header=BB74_486 Depth=2
	s_or_b32 exec_lo, exec_lo, s56
	s_or_b32 s56, s36, 1
	s_delay_alu instid0(SALU_CYCLE_1) | instskip(SKIP_3) | instid1(SALU_CYCLE_1)
	v_cmp_eq_u32_e32 vcc_lo, s56, v24
	s_barrier_signal -1
	s_barrier_wait -1
	s_and_b32 s99, s1, vcc_lo
	s_and_saveexec_b32 s57, s99
; %bb.491:                              ;   in Loop: Header=BB74_486 Depth=2
	ds_store_b128 v3, v[18:21] offset:25088
; %bb.492:                              ;   in Loop: Header=BB74_486 Depth=2
	s_or_b32 exec_lo, exec_lo, s57
	v_cmp_lt_u32_e32 vcc_lo, s56, v24
	s_wait_dscnt 0x0
	s_barrier_signal -1
	s_barrier_wait -1
	s_and_b32 s57, s1, vcc_lo
	s_delay_alu instid0(SALU_CYCLE_1)
	s_and_saveexec_b32 s56, s57
	s_cbranch_execz .LBB74_485
; %bb.493:                              ;   in Loop: Header=BB74_486 Depth=2
	ds_load_b128 v[14:17], v3 offset:25088
	ds_load_b128 v[200:203], v4 offset:512
	s_wait_dscnt 0x0
	v_mul_f64_e32 v[42:43], v[16:17], v[202:203]
	s_delay_alu instid0(VALU_DEP_1) | instskip(SKIP_1) | instid1(VALU_DEP_2)
	v_fma_f64 v[42:43], v[14:15], v[200:201], -v[42:43]
	v_mul_f64_e32 v[14:15], v[14:15], v[202:203]
	v_add_f64_e32 v[18:19], v[18:19], v[42:43]
	s_delay_alu instid0(VALU_DEP_2) | instskip(NEXT) | instid1(VALU_DEP_1)
	v_fmac_f64_e32 v[14:15], v[16:17], v[200:201]
	v_add_f64_e32 v[20:21], v[20:21], v[14:15]
	s_branch .LBB74_485
.LBB74_494:                             ;   in Loop: Header=BB74_3 Depth=1
	s_and_b32 vcc_lo, exec_lo, s62
	s_mov_b32 s36, -1
	s_cbranch_vccz .LBB74_496
; %bb.495:                              ;   in Loop: Header=BB74_3 Depth=1
	s_and_not1_b32 s33, s33, exec_lo
	s_and_b32 s56, s1, exec_lo
	s_mov_b32 s36, 0
	s_or_b32 s33, s33, s56
.LBB74_496:                             ;   in Loop: Header=BB74_3 Depth=1
	s_and_not1_b32 vcc_lo, exec_lo, s36
	s_cbranch_vccnz .LBB74_498
; %bb.497:                              ;   in Loop: Header=BB74_3 Depth=1
	v_readlane_b32 s36, v208, 13
	s_and_not1_b32 s33, s33, exec_lo
	s_and_b32 s36, s36, exec_lo
	s_delay_alu instid0(SALU_CYCLE_1)
	s_or_b32 s33, s33, s36
.LBB74_498:                             ;   in Loop: Header=BB74_3 Depth=1
	v_mov_b64_e32 v[4:5], v[0:1]
	s_and_saveexec_b32 s36, s33
	s_cbranch_execnz .LBB74_515
	s_branch .LBB74_516
.LBB74_499:                             ;   in Loop: Header=BB74_3 Depth=1
	s_and_saveexec_b32 s36, s28
; %bb.500:                              ;   in Loop: Header=BB74_3 Depth=1
	v_dual_mov_b32 v2, v3 :: v_dual_mov_b32 v4, v3
	v_mov_b32_e32 v5, v3
	ds_store_b128 v196, v[2:5]
; %bb.501:                              ;   in Loop: Header=BB74_3 Depth=1
	s_or_b32 exec_lo, exec_lo, s36
	s_and_not1_saveexec_b32 s33, s33
	s_cbranch_execz .LBB74_12
.LBB74_502:                             ;   in Loop: Header=BB74_3 Depth=1
	v_lshl_add_u64 v[4:5], v[40:41], 4, v[18:19]
	global_load_b128 v[200:203], v[4:5], off
	s_wait_loadcnt 0x0
	v_xor_b32_e32 v201, 0x80000000, v201
	v_xor_b32_e32 v203, 0x80000000, v203
	ds_store_b128 v196, v[200:203]
	s_or_b32 exec_lo, exec_lo, s33
	s_and_saveexec_b32 s33, s7
	s_delay_alu instid0(SALU_CYCLE_1)
	s_xor_b32 s33, exec_lo, s33
	s_cbranch_execz .LBB74_13
.LBB74_503:                             ;   in Loop: Header=BB74_3 Depth=1
	s_and_saveexec_b32 s36, s29
; %bb.504:                              ;   in Loop: Header=BB74_3 Depth=1
	v_dual_mov_b32 v2, v3 :: v_dual_mov_b32 v4, v3
	v_mov_b32_e32 v5, v3
	ds_store_b128 v197, v[2:5]
; %bb.505:                              ;   in Loop: Header=BB74_3 Depth=1
	s_or_b32 exec_lo, exec_lo, s36
	s_and_not1_saveexec_b32 s33, s33
	s_cbranch_execnz .LBB74_14
	s_branch .LBB74_15
.LBB74_506:                             ;   in Loop: Header=BB74_3 Depth=1
	s_and_saveexec_b32 s36, s28
; %bb.507:                              ;   in Loop: Header=BB74_3 Depth=1
	v_dual_mov_b32 v2, v3 :: v_dual_mov_b32 v4, v3
	v_mov_b32_e32 v5, v3
	ds_store_b128 v193, v[2:5]
; %bb.508:                              ;   in Loop: Header=BB74_3 Depth=1
	s_or_b32 exec_lo, exec_lo, s36
	s_and_not1_saveexec_b32 s33, s33
	s_cbranch_execz .LBB74_19
.LBB74_509:                             ;   in Loop: Header=BB74_3 Depth=1
	v_lshl_add_u64 v[4:5], v[40:41], 4, v[18:19]
	global_load_b128 v[200:203], v[4:5], off
	s_wait_loadcnt 0x0
	v_xor_b32_e32 v201, 0x80000000, v201
	v_xor_b32_e32 v203, 0x80000000, v203
	ds_store_b128 v193, v[200:203]
	s_or_b32 exec_lo, exec_lo, s33
	s_and_saveexec_b32 s33, s98
	s_delay_alu instid0(SALU_CYCLE_1)
	s_xor_b32 s33, exec_lo, s33
	s_cbranch_execz .LBB74_20
.LBB74_510:                             ;   in Loop: Header=BB74_3 Depth=1
	s_and_saveexec_b32 s36, s29
; %bb.511:                              ;   in Loop: Header=BB74_3 Depth=1
	v_dual_mov_b32 v2, v3 :: v_dual_mov_b32 v4, v3
	v_mov_b32_e32 v5, v3
	ds_store_b128 v197, v[2:5]
; %bb.512:                              ;   in Loop: Header=BB74_3 Depth=1
	s_or_b32 exec_lo, exec_lo, s36
                                        ; implicit-def: $vgpr18_vgpr19
	s_and_not1_saveexec_b32 s33, s33
	s_cbranch_execnz .LBB74_21
	s_branch .LBB74_22
.LBB74_513:                             ;   in Loop: Header=BB74_3 Depth=1
	s_or_b32 exec_lo, exec_lo, s56
	s_delay_alu instid0(SALU_CYCLE_1)
	s_and_b32 vcc_lo, exec_lo, s36
	s_cbranch_vccnz .LBB74_484
.LBB74_514:                             ;   in Loop: Header=BB74_3 Depth=1
	s_delay_alu instid0(VALU_DEP_1) | instskip(NEXT) | instid1(VALU_DEP_3)
	v_mov_b64_e32 v[20:21], v[4:5]
	v_mov_b64_e32 v[18:19], v[42:43]
	;; [unrolled: 1-line block ×3, first 2 shown]
	s_and_saveexec_b32 s36, s33
	s_cbranch_execz .LBB74_516
.LBB74_515:                             ;   in Loop: Header=BB74_3 Depth=1
	s_delay_alu instid0(VALU_DEP_1)
	v_lshl_add_u64 v[4:5], v[4:5], 4, s[38:39]
	global_store_b128 v[4:5], v[18:21], off
.LBB74_516:                             ;   in Loop: Header=BB74_3 Depth=1
	s_wait_xcnt 0x0
	s_or_b32 exec_lo, exec_lo, s36
	global_wb scope:SCOPE_DEV
	s_wait_storecnt 0x0
	global_inv scope:SCOPE_DEV
	s_wait_loadcnt 0x0
	s_barrier_signal -1
	s_barrier_wait -1
	s_and_saveexec_b32 s33, s30
	s_cbranch_execz .LBB74_2
; %bb.517:                              ;   in Loop: Header=BB74_3 Depth=1
	s_lshl_b64 s[38:39], s[34:35], 2
	s_delay_alu instid0(SALU_CYCLE_1)
	s_add_nc_u64 s[38:39], s[54:55], s[38:39]
	global_load_b32 v2, v3, s[38:39]
	s_wait_loadcnt 0x0
	v_add_nc_u32_e32 v2, 1, v2
	global_store_b32 v3, v2, s[38:39]
	s_branch .LBB74_2
.LBB74_518:                             ;   in Loop: Header=BB74_3 Depth=1
	ds_load_b128 v[200:203], v48 offset:16336
	ds_load_b128 v[204:207], v180 offset:15232
	s_wait_dscnt 0x0
	v_mul_f64_e32 v[4:5], v[202:203], v[206:207]
	s_delay_alu instid0(VALU_DEP_1) | instskip(SKIP_1) | instid1(VALU_DEP_2)
	v_fma_f64 v[4:5], v[200:201], v[204:205], -v[4:5]
	v_mul_f64_e32 v[200:201], v[200:201], v[206:207]
	v_add_f64_e32 v[18:19], v[18:19], v[4:5]
	s_delay_alu instid0(VALU_DEP_2) | instskip(NEXT) | instid1(VALU_DEP_1)
	v_fmac_f64_e32 v[200:201], v[202:203], v[204:205]
	v_add_f64_e32 v[20:21], v[20:21], v[200:201]
	s_or_b32 exec_lo, exec_lo, s36
	s_and_saveexec_b32 s36, s10
	s_cbranch_execz .LBB74_45
.LBB74_519:                             ;   in Loop: Header=BB74_3 Depth=1
	ds_load_b128 v[200:203], v48 offset:16352
	ds_load_b128 v[204:207], v180 offset:15744
	s_wait_dscnt 0x0
	v_mul_f64_e32 v[4:5], v[202:203], v[206:207]
	s_delay_alu instid0(VALU_DEP_1) | instskip(SKIP_1) | instid1(VALU_DEP_2)
	v_fma_f64 v[4:5], v[200:201], v[204:205], -v[4:5]
	v_mul_f64_e32 v[200:201], v[200:201], v[206:207]
	v_add_f64_e32 v[18:19], v[18:19], v[4:5]
	s_delay_alu instid0(VALU_DEP_2) | instskip(NEXT) | instid1(VALU_DEP_1)
	v_fmac_f64_e32 v[200:201], v[202:203], v[204:205]
	v_add_f64_e32 v[20:21], v[20:21], v[200:201]
	s_or_b32 exec_lo, exec_lo, s36
	s_and_saveexec_b32 s36, s0
	s_cbranch_execnz .LBB74_46
	s_branch .LBB74_47
.LBB74_520:                             ;   in Loop: Header=BB74_3 Depth=1
	ds_load_b128 v[200:203], v49 offset:16272
	ds_load_b128 v[204:207], v182 offset:13056
	s_wait_dscnt 0x0
	v_mul_f64_e32 v[4:5], v[202:203], v[206:207]
	s_delay_alu instid0(VALU_DEP_1) | instskip(SKIP_1) | instid1(VALU_DEP_2)
	v_fma_f64 v[4:5], v[200:201], v[204:205], -v[4:5]
	v_mul_f64_e32 v[200:201], v[200:201], v[206:207]
	v_add_f64_e32 v[18:19], v[18:19], v[4:5]
	s_delay_alu instid0(VALU_DEP_2) | instskip(NEXT) | instid1(VALU_DEP_1)
	v_fmac_f64_e32 v[200:201], v[202:203], v[204:205]
	v_add_f64_e32 v[20:21], v[20:21], v[200:201]
	s_or_b32 exec_lo, exec_lo, s36
	s_and_saveexec_b32 s36, s12
	s_cbranch_execz .LBB74_87
.LBB74_521:                             ;   in Loop: Header=BB74_3 Depth=1
	ds_load_b128 v[200:203], v49 offset:16288
	ds_load_b128 v[204:207], v182 offset:13568
	s_wait_dscnt 0x0
	v_mul_f64_e32 v[4:5], v[202:203], v[206:207]
	s_delay_alu instid0(VALU_DEP_1) | instskip(SKIP_1) | instid1(VALU_DEP_2)
	v_fma_f64 v[4:5], v[200:201], v[204:205], -v[4:5]
	v_mul_f64_e32 v[200:201], v[200:201], v[206:207]
	v_add_f64_e32 v[18:19], v[18:19], v[4:5]
	s_delay_alu instid0(VALU_DEP_2) | instskip(NEXT) | instid1(VALU_DEP_1)
	v_fmac_f64_e32 v[200:201], v[202:203], v[204:205]
	v_add_f64_e32 v[20:21], v[20:21], v[200:201]
	s_or_b32 exec_lo, exec_lo, s36
	s_and_saveexec_b32 s36, s13
	s_cbranch_execz .LBB74_88
.LBB74_522:                             ;   in Loop: Header=BB74_3 Depth=1
	ds_load_b128 v[200:203], v49 offset:16304
	ds_load_b128 v[204:207], v182 offset:14080
	s_wait_dscnt 0x0
	v_mul_f64_e32 v[4:5], v[202:203], v[206:207]
	s_delay_alu instid0(VALU_DEP_1) | instskip(SKIP_1) | instid1(VALU_DEP_2)
	v_fma_f64 v[4:5], v[200:201], v[204:205], -v[4:5]
	v_mul_f64_e32 v[200:201], v[200:201], v[206:207]
	v_add_f64_e32 v[18:19], v[18:19], v[4:5]
	s_delay_alu instid0(VALU_DEP_2) | instskip(NEXT) | instid1(VALU_DEP_1)
	v_fmac_f64_e32 v[200:201], v[202:203], v[204:205]
	v_add_f64_e32 v[20:21], v[20:21], v[200:201]
	s_or_b32 exec_lo, exec_lo, s36
	s_and_saveexec_b32 s36, s14
	s_cbranch_execz .LBB74_89
.LBB74_523:                             ;   in Loop: Header=BB74_3 Depth=1
	ds_load_b128 v[200:203], v49 offset:16320
	ds_load_b128 v[204:207], v182 offset:14592
	s_wait_dscnt 0x0
	v_mul_f64_e32 v[4:5], v[202:203], v[206:207]
	s_delay_alu instid0(VALU_DEP_1) | instskip(SKIP_1) | instid1(VALU_DEP_2)
	v_fma_f64 v[4:5], v[200:201], v[204:205], -v[4:5]
	v_mul_f64_e32 v[200:201], v[200:201], v[206:207]
	v_add_f64_e32 v[18:19], v[18:19], v[4:5]
	s_delay_alu instid0(VALU_DEP_2) | instskip(NEXT) | instid1(VALU_DEP_1)
	v_fmac_f64_e32 v[200:201], v[202:203], v[204:205]
	v_add_f64_e32 v[20:21], v[20:21], v[200:201]
	s_or_b32 exec_lo, exec_lo, s36
	s_and_saveexec_b32 s36, s15
	s_cbranch_execz .LBB74_90
.LBB74_524:                             ;   in Loop: Header=BB74_3 Depth=1
	ds_load_b128 v[200:203], v49 offset:16336
	ds_load_b128 v[204:207], v182 offset:15104
	s_wait_dscnt 0x0
	v_mul_f64_e32 v[4:5], v[202:203], v[206:207]
	s_delay_alu instid0(VALU_DEP_1) | instskip(SKIP_1) | instid1(VALU_DEP_2)
	v_fma_f64 v[4:5], v[200:201], v[204:205], -v[4:5]
	v_mul_f64_e32 v[200:201], v[200:201], v[206:207]
	v_add_f64_e32 v[18:19], v[18:19], v[4:5]
	s_delay_alu instid0(VALU_DEP_2) | instskip(NEXT) | instid1(VALU_DEP_1)
	v_fmac_f64_e32 v[200:201], v[202:203], v[204:205]
	v_add_f64_e32 v[20:21], v[20:21], v[200:201]
	s_or_b32 exec_lo, exec_lo, s36
	s_and_saveexec_b32 s36, s2
	s_cbranch_execz .LBB74_91
.LBB74_525:                             ;   in Loop: Header=BB74_3 Depth=1
	ds_load_b128 v[200:203], v49 offset:16352
	ds_load_b128 v[204:207], v182 offset:15616
	s_wait_dscnt 0x0
	v_mul_f64_e32 v[4:5], v[202:203], v[206:207]
	s_delay_alu instid0(VALU_DEP_1) | instskip(SKIP_1) | instid1(VALU_DEP_2)
	v_fma_f64 v[4:5], v[200:201], v[204:205], -v[4:5]
	v_mul_f64_e32 v[200:201], v[200:201], v[206:207]
	v_add_f64_e32 v[18:19], v[18:19], v[4:5]
	s_delay_alu instid0(VALU_DEP_2) | instskip(NEXT) | instid1(VALU_DEP_1)
	v_fmac_f64_e32 v[200:201], v[202:203], v[204:205]
	v_add_f64_e32 v[20:21], v[20:21], v[200:201]
	s_or_b32 exec_lo, exec_lo, s36
	s_and_saveexec_b32 s36, s10
	s_cbranch_execnz .LBB74_92
	s_branch .LBB74_93
.LBB74_526:                             ;   in Loop: Header=BB74_3 Depth=1
	ds_load_b128 v[200:203], v48 offset:12112
	ds_load_b128 v[204:207], v180 offset:11008
	s_wait_dscnt 0x0
	v_mul_f64_e32 v[4:5], v[202:203], v[206:207]
	s_delay_alu instid0(VALU_DEP_1) | instskip(SKIP_1) | instid1(VALU_DEP_2)
	v_fma_f64 v[4:5], v[200:201], v[204:205], -v[4:5]
	v_mul_f64_e32 v[200:201], v[200:201], v[206:207]
	v_add_f64_e32 v[18:19], v[18:19], v[4:5]
	s_delay_alu instid0(VALU_DEP_2) | instskip(NEXT) | instid1(VALU_DEP_1)
	v_fmac_f64_e32 v[200:201], v[202:203], v[204:205]
	v_add_f64_e32 v[20:21], v[20:21], v[200:201]
	s_or_b32 exec_lo, exec_lo, s36
	s_and_saveexec_b32 s36, s10
	s_cbranch_execz .LBB74_149
.LBB74_527:                             ;   in Loop: Header=BB74_3 Depth=1
	ds_load_b128 v[200:203], v48 offset:12128
	ds_load_b128 v[204:207], v180 offset:11520
	s_wait_dscnt 0x0
	v_mul_f64_e32 v[4:5], v[202:203], v[206:207]
	s_delay_alu instid0(VALU_DEP_1) | instskip(SKIP_1) | instid1(VALU_DEP_2)
	v_fma_f64 v[4:5], v[200:201], v[204:205], -v[4:5]
	v_mul_f64_e32 v[200:201], v[200:201], v[206:207]
	v_add_f64_e32 v[18:19], v[18:19], v[4:5]
	s_delay_alu instid0(VALU_DEP_2) | instskip(NEXT) | instid1(VALU_DEP_1)
	v_fmac_f64_e32 v[200:201], v[202:203], v[204:205]
	v_add_f64_e32 v[20:21], v[20:21], v[200:201]
	s_or_b32 exec_lo, exec_lo, s36
	s_and_saveexec_b32 s36, s0
	s_cbranch_execnz .LBB74_150
	s_branch .LBB74_151
.LBB74_528:                             ;   in Loop: Header=BB74_3 Depth=1
	ds_load_b128 v[200:203], v58 offset:16304
	ds_load_b128 v[204:207], v184 offset:13824
	s_wait_dscnt 0x0
	v_mul_f64_e32 v[4:5], v[202:203], v[206:207]
	s_delay_alu instid0(VALU_DEP_1) | instskip(SKIP_1) | instid1(VALU_DEP_2)
	v_fma_f64 v[4:5], v[200:201], v[204:205], -v[4:5]
	v_mul_f64_e32 v[200:201], v[200:201], v[206:207]
	v_add_f64_e32 v[18:19], v[18:19], v[4:5]
	s_delay_alu instid0(VALU_DEP_2) | instskip(NEXT) | instid1(VALU_DEP_1)
	v_fmac_f64_e32 v[200:201], v[202:203], v[204:205]
	v_add_f64_e32 v[20:21], v[20:21], v[200:201]
	s_or_b32 exec_lo, exec_lo, s36
	s_and_saveexec_b32 s36, s3
	s_cbranch_execz .LBB74_211
.LBB74_529:                             ;   in Loop: Header=BB74_3 Depth=1
	ds_load_b128 v[200:203], v58 offset:16320
	ds_load_b128 v[204:207], v184 offset:14336
	s_wait_dscnt 0x0
	v_mul_f64_e32 v[4:5], v[202:203], v[206:207]
	s_delay_alu instid0(VALU_DEP_1) | instskip(SKIP_1) | instid1(VALU_DEP_2)
	v_fma_f64 v[4:5], v[200:201], v[204:205], -v[4:5]
	v_mul_f64_e32 v[200:201], v[200:201], v[206:207]
	v_add_f64_e32 v[18:19], v[18:19], v[4:5]
	s_delay_alu instid0(VALU_DEP_2) | instskip(NEXT) | instid1(VALU_DEP_1)
	v_fmac_f64_e32 v[200:201], v[202:203], v[204:205]
	v_add_f64_e32 v[20:21], v[20:21], v[200:201]
	s_or_b32 exec_lo, exec_lo, s36
	s_and_saveexec_b32 s36, s12
	s_cbranch_execz .LBB74_212
.LBB74_530:                             ;   in Loop: Header=BB74_3 Depth=1
	ds_load_b128 v[200:203], v58 offset:16336
	ds_load_b128 v[204:207], v184 offset:14848
	s_wait_dscnt 0x0
	v_mul_f64_e32 v[4:5], v[202:203], v[206:207]
	s_delay_alu instid0(VALU_DEP_1) | instskip(SKIP_1) | instid1(VALU_DEP_2)
	v_fma_f64 v[4:5], v[200:201], v[204:205], -v[4:5]
	v_mul_f64_e32 v[200:201], v[200:201], v[206:207]
	v_add_f64_e32 v[18:19], v[18:19], v[4:5]
	s_delay_alu instid0(VALU_DEP_2) | instskip(NEXT) | instid1(VALU_DEP_1)
	v_fmac_f64_e32 v[200:201], v[202:203], v[204:205]
	v_add_f64_e32 v[20:21], v[20:21], v[200:201]
	s_or_b32 exec_lo, exec_lo, s36
	s_and_saveexec_b32 s36, s14
	s_cbranch_execz .LBB74_213
.LBB74_531:                             ;   in Loop: Header=BB74_3 Depth=1
	ds_load_b128 v[200:203], v58 offset:16352
	ds_load_b128 v[204:207], v184 offset:15360
	s_wait_dscnt 0x0
	v_mul_f64_e32 v[4:5], v[202:203], v[206:207]
	s_delay_alu instid0(VALU_DEP_1) | instskip(SKIP_1) | instid1(VALU_DEP_2)
	v_fma_f64 v[4:5], v[200:201], v[204:205], -v[4:5]
	v_mul_f64_e32 v[200:201], v[200:201], v[206:207]
	v_add_f64_e32 v[18:19], v[18:19], v[4:5]
	s_delay_alu instid0(VALU_DEP_2) | instskip(NEXT) | instid1(VALU_DEP_1)
	v_fmac_f64_e32 v[200:201], v[202:203], v[204:205]
	v_add_f64_e32 v[20:21], v[20:21], v[200:201]
	s_or_b32 exec_lo, exec_lo, s36
	s_and_saveexec_b32 s36, s2
	s_cbranch_execnz .LBB74_214
	s_branch .LBB74_215
.LBB74_532:                             ;   in Loop: Header=BB74_3 Depth=1
	ds_load_b128 v[200:203], v48 offset:7888
	ds_load_b128 v[204:207], v180 offset:6784
	s_wait_dscnt 0x0
	v_mul_f64_e32 v[4:5], v[202:203], v[206:207]
	s_delay_alu instid0(VALU_DEP_1) | instskip(SKIP_1) | instid1(VALU_DEP_2)
	v_fma_f64 v[4:5], v[200:201], v[204:205], -v[4:5]
	v_mul_f64_e32 v[200:201], v[200:201], v[206:207]
	v_add_f64_e32 v[18:19], v[18:19], v[4:5]
	s_delay_alu instid0(VALU_DEP_2) | instskip(NEXT) | instid1(VALU_DEP_1)
	v_fmac_f64_e32 v[200:201], v[202:203], v[204:205]
	v_add_f64_e32 v[20:21], v[20:21], v[200:201]
	s_or_b32 exec_lo, exec_lo, s36
	s_and_saveexec_b32 s36, s10
	s_cbranch_execz .LBB74_303
.LBB74_533:                             ;   in Loop: Header=BB74_3 Depth=1
	ds_load_b128 v[200:203], v48 offset:7904
	ds_load_b128 v[204:207], v180 offset:7296
	s_wait_dscnt 0x0
	v_mul_f64_e32 v[4:5], v[202:203], v[206:207]
	s_delay_alu instid0(VALU_DEP_1) | instskip(SKIP_1) | instid1(VALU_DEP_2)
	v_fma_f64 v[4:5], v[200:201], v[204:205], -v[4:5]
	v_mul_f64_e32 v[200:201], v[200:201], v[206:207]
	v_add_f64_e32 v[18:19], v[18:19], v[4:5]
	s_delay_alu instid0(VALU_DEP_2) | instskip(NEXT) | instid1(VALU_DEP_1)
	v_fmac_f64_e32 v[200:201], v[202:203], v[204:205]
	v_add_f64_e32 v[20:21], v[20:21], v[200:201]
	s_or_b32 exec_lo, exec_lo, s36
	s_and_saveexec_b32 s36, s0
	s_cbranch_execnz .LBB74_304
	s_branch .LBB74_305
.LBB74_534:                             ;   in Loop: Header=BB74_3 Depth=1
	ds_load_b128 v[200:203], v49 offset:7824
	ds_load_b128 v[204:207], v182 offset:4608
	s_wait_dscnt 0x0
	v_mul_f64_e32 v[4:5], v[202:203], v[206:207]
	s_delay_alu instid0(VALU_DEP_1) | instskip(SKIP_1) | instid1(VALU_DEP_2)
	v_fma_f64 v[4:5], v[200:201], v[204:205], -v[4:5]
	v_mul_f64_e32 v[200:201], v[200:201], v[206:207]
	v_add_f64_e32 v[18:19], v[18:19], v[4:5]
	s_delay_alu instid0(VALU_DEP_2) | instskip(NEXT) | instid1(VALU_DEP_1)
	v_fmac_f64_e32 v[200:201], v[202:203], v[204:205]
	v_add_f64_e32 v[20:21], v[20:21], v[200:201]
	s_or_b32 exec_lo, exec_lo, s36
	s_and_saveexec_b32 s36, s12
	s_cbranch_execz .LBB74_345
.LBB74_535:                             ;   in Loop: Header=BB74_3 Depth=1
	ds_load_b128 v[200:203], v49 offset:7840
	ds_load_b128 v[204:207], v182 offset:5120
	s_wait_dscnt 0x0
	v_mul_f64_e32 v[4:5], v[202:203], v[206:207]
	s_delay_alu instid0(VALU_DEP_1) | instskip(SKIP_1) | instid1(VALU_DEP_2)
	v_fma_f64 v[4:5], v[200:201], v[204:205], -v[4:5]
	v_mul_f64_e32 v[200:201], v[200:201], v[206:207]
	v_add_f64_e32 v[18:19], v[18:19], v[4:5]
	s_delay_alu instid0(VALU_DEP_2) | instskip(NEXT) | instid1(VALU_DEP_1)
	v_fmac_f64_e32 v[200:201], v[202:203], v[204:205]
	v_add_f64_e32 v[20:21], v[20:21], v[200:201]
	s_or_b32 exec_lo, exec_lo, s36
	s_and_saveexec_b32 s36, s13
	s_cbranch_execz .LBB74_346
.LBB74_536:                             ;   in Loop: Header=BB74_3 Depth=1
	ds_load_b128 v[200:203], v49 offset:7856
	ds_load_b128 v[204:207], v182 offset:5632
	s_wait_dscnt 0x0
	v_mul_f64_e32 v[4:5], v[202:203], v[206:207]
	s_delay_alu instid0(VALU_DEP_1) | instskip(SKIP_1) | instid1(VALU_DEP_2)
	v_fma_f64 v[4:5], v[200:201], v[204:205], -v[4:5]
	v_mul_f64_e32 v[200:201], v[200:201], v[206:207]
	v_add_f64_e32 v[18:19], v[18:19], v[4:5]
	s_delay_alu instid0(VALU_DEP_2) | instskip(NEXT) | instid1(VALU_DEP_1)
	v_fmac_f64_e32 v[200:201], v[202:203], v[204:205]
	v_add_f64_e32 v[20:21], v[20:21], v[200:201]
	s_or_b32 exec_lo, exec_lo, s36
	s_and_saveexec_b32 s36, s14
	s_cbranch_execz .LBB74_347
.LBB74_537:                             ;   in Loop: Header=BB74_3 Depth=1
	ds_load_b128 v[200:203], v49 offset:7872
	ds_load_b128 v[204:207], v182 offset:6144
	s_wait_dscnt 0x0
	v_mul_f64_e32 v[4:5], v[202:203], v[206:207]
	s_delay_alu instid0(VALU_DEP_1) | instskip(SKIP_1) | instid1(VALU_DEP_2)
	v_fma_f64 v[4:5], v[200:201], v[204:205], -v[4:5]
	v_mul_f64_e32 v[200:201], v[200:201], v[206:207]
	v_add_f64_e32 v[18:19], v[18:19], v[4:5]
	s_delay_alu instid0(VALU_DEP_2) | instskip(NEXT) | instid1(VALU_DEP_1)
	v_fmac_f64_e32 v[200:201], v[202:203], v[204:205]
	v_add_f64_e32 v[20:21], v[20:21], v[200:201]
	s_or_b32 exec_lo, exec_lo, s36
	s_and_saveexec_b32 s36, s15
	s_cbranch_execz .LBB74_348
.LBB74_538:                             ;   in Loop: Header=BB74_3 Depth=1
	ds_load_b128 v[200:203], v49 offset:7888
	ds_load_b128 v[204:207], v182 offset:6656
	s_wait_dscnt 0x0
	v_mul_f64_e32 v[4:5], v[202:203], v[206:207]
	s_delay_alu instid0(VALU_DEP_1) | instskip(SKIP_1) | instid1(VALU_DEP_2)
	v_fma_f64 v[4:5], v[200:201], v[204:205], -v[4:5]
	v_mul_f64_e32 v[200:201], v[200:201], v[206:207]
	v_add_f64_e32 v[18:19], v[18:19], v[4:5]
	s_delay_alu instid0(VALU_DEP_2) | instskip(NEXT) | instid1(VALU_DEP_1)
	v_fmac_f64_e32 v[200:201], v[202:203], v[204:205]
	v_add_f64_e32 v[20:21], v[20:21], v[200:201]
	s_or_b32 exec_lo, exec_lo, s36
	s_and_saveexec_b32 s36, s2
	s_cbranch_execz .LBB74_349
.LBB74_539:                             ;   in Loop: Header=BB74_3 Depth=1
	ds_load_b128 v[200:203], v49 offset:7904
	ds_load_b128 v[204:207], v182 offset:7168
	s_wait_dscnt 0x0
	v_mul_f64_e32 v[4:5], v[202:203], v[206:207]
	s_delay_alu instid0(VALU_DEP_1) | instskip(SKIP_1) | instid1(VALU_DEP_2)
	v_fma_f64 v[4:5], v[200:201], v[204:205], -v[4:5]
	v_mul_f64_e32 v[200:201], v[200:201], v[206:207]
	v_add_f64_e32 v[18:19], v[18:19], v[4:5]
	s_delay_alu instid0(VALU_DEP_2) | instskip(NEXT) | instid1(VALU_DEP_1)
	v_fmac_f64_e32 v[200:201], v[202:203], v[204:205]
	v_add_f64_e32 v[20:21], v[20:21], v[200:201]
	s_or_b32 exec_lo, exec_lo, s36
	s_and_saveexec_b32 s36, s10
	s_cbranch_execnz .LBB74_350
	s_branch .LBB74_351
.LBB74_540:                             ;   in Loop: Header=BB74_3 Depth=1
	ds_load_b128 v[200:203], v48 offset:3664
	ds_load_b128 v[204:207], v180 offset:2560
	s_wait_dscnt 0x0
	v_mul_f64_e32 v[4:5], v[202:203], v[206:207]
	s_delay_alu instid0(VALU_DEP_1) | instskip(SKIP_1) | instid1(VALU_DEP_2)
	v_fma_f64 v[4:5], v[200:201], v[204:205], -v[4:5]
	v_mul_f64_e32 v[200:201], v[200:201], v[206:207]
	v_add_f64_e32 v[18:19], v[18:19], v[4:5]
	s_delay_alu instid0(VALU_DEP_2) | instskip(NEXT) | instid1(VALU_DEP_1)
	v_fmac_f64_e32 v[200:201], v[202:203], v[204:205]
	v_add_f64_e32 v[20:21], v[20:21], v[200:201]
	s_or_b32 exec_lo, exec_lo, s36
	s_and_saveexec_b32 s36, s10
	s_cbranch_execz .LBB74_407
.LBB74_541:                             ;   in Loop: Header=BB74_3 Depth=1
	ds_load_b128 v[200:203], v48 offset:3680
	ds_load_b128 v[204:207], v180 offset:3072
	s_wait_dscnt 0x0
	v_mul_f64_e32 v[4:5], v[202:203], v[206:207]
	s_delay_alu instid0(VALU_DEP_1) | instskip(SKIP_1) | instid1(VALU_DEP_2)
	v_fma_f64 v[4:5], v[200:201], v[204:205], -v[4:5]
	v_mul_f64_e32 v[200:201], v[200:201], v[206:207]
	v_add_f64_e32 v[18:19], v[18:19], v[4:5]
	s_delay_alu instid0(VALU_DEP_2) | instskip(NEXT) | instid1(VALU_DEP_1)
	v_fmac_f64_e32 v[200:201], v[202:203], v[204:205]
	v_add_f64_e32 v[20:21], v[20:21], v[200:201]
	s_or_b32 exec_lo, exec_lo, s36
	s_and_saveexec_b32 s36, s0
	s_cbranch_execnz .LBB74_408
	s_branch .LBB74_409
.LBB74_542:
	s_endpgm
	.section	.rodata,"a",@progbits
	.p2align	6, 0x0
	.amdhsa_kernel _ZL19rocblas_trsv_deviceILi32ELi16ELb0ELb1ELb0ELb1E19rocblas_complex_numIdEPKS1_S3_PS1_EviT7_lllT6_T8_lllPii
		.amdhsa_group_segment_fixed_size 25104
		.amdhsa_private_segment_fixed_size 0
		.amdhsa_kernarg_size 352
		.amdhsa_user_sgpr_count 2
		.amdhsa_user_sgpr_dispatch_ptr 0
		.amdhsa_user_sgpr_queue_ptr 0
		.amdhsa_user_sgpr_kernarg_segment_ptr 1
		.amdhsa_user_sgpr_dispatch_id 0
		.amdhsa_user_sgpr_kernarg_preload_length 0
		.amdhsa_user_sgpr_kernarg_preload_offset 0
		.amdhsa_user_sgpr_private_segment_size 0
		.amdhsa_wavefront_size32 1
		.amdhsa_uses_dynamic_stack 0
		.amdhsa_enable_private_segment 0
		.amdhsa_system_sgpr_workgroup_id_x 1
		.amdhsa_system_sgpr_workgroup_id_y 0
		.amdhsa_system_sgpr_workgroup_id_z 1
		.amdhsa_system_sgpr_workgroup_info 0
		.amdhsa_system_vgpr_workitem_id 1
		.amdhsa_next_free_vgpr 209
		.amdhsa_next_free_sgpr 105
		.amdhsa_named_barrier_count 0
		.amdhsa_reserve_vcc 1
		.amdhsa_float_round_mode_32 0
		.amdhsa_float_round_mode_16_64 0
		.amdhsa_float_denorm_mode_32 3
		.amdhsa_float_denorm_mode_16_64 3
		.amdhsa_fp16_overflow 0
		.amdhsa_memory_ordered 1
		.amdhsa_forward_progress 1
		.amdhsa_inst_pref_size 186
		.amdhsa_round_robin_scheduling 0
		.amdhsa_exception_fp_ieee_invalid_op 0
		.amdhsa_exception_fp_denorm_src 0
		.amdhsa_exception_fp_ieee_div_zero 0
		.amdhsa_exception_fp_ieee_overflow 0
		.amdhsa_exception_fp_ieee_underflow 0
		.amdhsa_exception_fp_ieee_inexact 0
		.amdhsa_exception_int_div_zero 0
	.end_amdhsa_kernel
	.section	.text._ZL19rocblas_trsv_deviceILi32ELi16ELb0ELb1ELb0ELb1E19rocblas_complex_numIdEPKS1_S3_PS1_EviT7_lllT6_T8_lllPii,"axG",@progbits,_ZL19rocblas_trsv_deviceILi32ELi16ELb0ELb1ELb0ELb1E19rocblas_complex_numIdEPKS1_S3_PS1_EviT7_lllT6_T8_lllPii,comdat
.Lfunc_end74:
	.size	_ZL19rocblas_trsv_deviceILi32ELi16ELb0ELb1ELb0ELb1E19rocblas_complex_numIdEPKS1_S3_PS1_EviT7_lllT6_T8_lllPii, .Lfunc_end74-_ZL19rocblas_trsv_deviceILi32ELi16ELb0ELb1ELb0ELb1E19rocblas_complex_numIdEPKS1_S3_PS1_EviT7_lllT6_T8_lllPii
                                        ; -- End function
	.set _ZL19rocblas_trsv_deviceILi32ELi16ELb0ELb1ELb0ELb1E19rocblas_complex_numIdEPKS1_S3_PS1_EviT7_lllT6_T8_lllPii.num_vgpr, 209
	.set _ZL19rocblas_trsv_deviceILi32ELi16ELb0ELb1ELb0ELb1E19rocblas_complex_numIdEPKS1_S3_PS1_EviT7_lllT6_T8_lllPii.num_agpr, 0
	.set _ZL19rocblas_trsv_deviceILi32ELi16ELb0ELb1ELb0ELb1E19rocblas_complex_numIdEPKS1_S3_PS1_EviT7_lllT6_T8_lllPii.numbered_sgpr, 105
	.set _ZL19rocblas_trsv_deviceILi32ELi16ELb0ELb1ELb0ELb1E19rocblas_complex_numIdEPKS1_S3_PS1_EviT7_lllT6_T8_lllPii.num_named_barrier, 0
	.set _ZL19rocblas_trsv_deviceILi32ELi16ELb0ELb1ELb0ELb1E19rocblas_complex_numIdEPKS1_S3_PS1_EviT7_lllT6_T8_lllPii.private_seg_size, 0
	.set _ZL19rocblas_trsv_deviceILi32ELi16ELb0ELb1ELb0ELb1E19rocblas_complex_numIdEPKS1_S3_PS1_EviT7_lllT6_T8_lllPii.uses_vcc, 1
	.set _ZL19rocblas_trsv_deviceILi32ELi16ELb0ELb1ELb0ELb1E19rocblas_complex_numIdEPKS1_S3_PS1_EviT7_lllT6_T8_lllPii.uses_flat_scratch, 0
	.set _ZL19rocblas_trsv_deviceILi32ELi16ELb0ELb1ELb0ELb1E19rocblas_complex_numIdEPKS1_S3_PS1_EviT7_lllT6_T8_lllPii.has_dyn_sized_stack, 0
	.set _ZL19rocblas_trsv_deviceILi32ELi16ELb0ELb1ELb0ELb1E19rocblas_complex_numIdEPKS1_S3_PS1_EviT7_lllT6_T8_lllPii.has_recursion, 0
	.set _ZL19rocblas_trsv_deviceILi32ELi16ELb0ELb1ELb0ELb1E19rocblas_complex_numIdEPKS1_S3_PS1_EviT7_lllT6_T8_lllPii.has_indirect_call, 0
	.section	.AMDGPU.csdata,"",@progbits
; Kernel info:
; codeLenInByte = 23740
; TotalNumSgprs: 107
; NumVgprs: 209
; ScratchSize: 0
; MemoryBound: 1
; FloatMode: 240
; IeeeMode: 1
; LDSByteSize: 25104 bytes/workgroup (compile time only)
; SGPRBlocks: 0
; VGPRBlocks: 13
; NumSGPRsForWavesPerEU: 107
; NumVGPRsForWavesPerEU: 209
; NamedBarCnt: 0
; Occupancy: 4
; WaveLimiterHint : 0
; COMPUTE_PGM_RSRC2:SCRATCH_EN: 0
; COMPUTE_PGM_RSRC2:USER_SGPR: 2
; COMPUTE_PGM_RSRC2:TRAP_HANDLER: 0
; COMPUTE_PGM_RSRC2:TGID_X_EN: 1
; COMPUTE_PGM_RSRC2:TGID_Y_EN: 0
; COMPUTE_PGM_RSRC2:TGID_Z_EN: 1
; COMPUTE_PGM_RSRC2:TIDIG_COMP_CNT: 1
	.section	.text._ZL19rocblas_trsv_deviceILi32ELi16ELb0ELb1ELb1ELb1E19rocblas_complex_numIdEPKS1_S3_PS1_EviT7_lllT6_T8_lllPii,"axG",@progbits,_ZL19rocblas_trsv_deviceILi32ELi16ELb0ELb1ELb1ELb1E19rocblas_complex_numIdEPKS1_S3_PS1_EviT7_lllT6_T8_lllPii,comdat
	.globl	_ZL19rocblas_trsv_deviceILi32ELi16ELb0ELb1ELb1ELb1E19rocblas_complex_numIdEPKS1_S3_PS1_EviT7_lllT6_T8_lllPii ; -- Begin function _ZL19rocblas_trsv_deviceILi32ELi16ELb0ELb1ELb1ELb1E19rocblas_complex_numIdEPKS1_S3_PS1_EviT7_lllT6_T8_lllPii
	.p2align	8
	.type	_ZL19rocblas_trsv_deviceILi32ELi16ELb0ELb1ELb1ELb1E19rocblas_complex_numIdEPKS1_S3_PS1_EviT7_lllT6_T8_lllPii,@function
_ZL19rocblas_trsv_deviceILi32ELi16ELb0ELb1ELb1ELb1E19rocblas_complex_numIdEPKS1_S3_PS1_EviT7_lllT6_T8_lllPii: ; @_ZL19rocblas_trsv_deviceILi32ELi16ELb0ELb1ELb1ELb1E19rocblas_complex_numIdEPKS1_S3_PS1_EviT7_lllT6_T8_lllPii
; %bb.0:
	s_load_b32 s58, s[0:1], 0x58
	s_bfe_u32 s2, ttmp6, 0x40014
	s_lshr_b32 s3, ttmp7, 16
	s_add_co_i32 s2, s2, 1
	s_bfe_u32 s5, ttmp6, 0x40008
	s_mul_i32 s4, s3, s2
	s_getreg_b32 s2, hwreg(HW_REG_IB_STS2, 6, 4)
	s_add_co_i32 s5, s5, s4
	s_cmp_eq_u32 s2, 0
	s_mov_b32 s35, 0
	s_cselect_b32 s34, s3, s5
	s_wait_kmcnt 0x0
	s_cmp_ge_u32 s34, s58
	s_cbranch_scc1 .LBB75_542
; %bb.1:
	s_clause 0x2
	s_load_b512 s[36:51], s[0:1], 0x8
	s_load_b32 s3, s[0:1], 0x6c
	s_load_b32 s59, s[0:1], 0x0
	s_bfe_u32 s5, ttmp6, 0x4000c
	s_and_b32 s4, ttmp6, 15
	s_add_co_i32 s5, s5, 1
	s_load_b128 s[52:55], s[0:1], 0x48
	s_wait_xcnt 0x0
	s_mul_i32 s0, ttmp9, s5
	v_and_b32_e32 v24, 0x3ff, v0
	s_add_co_i32 s4, s4, s0
	v_bfe_u32 v22, v0, 10, 10
	v_dual_mov_b32 v3, 0 :: v_dual_bitop2_b32 v14, 7, v0 bitop3:0x40
	v_lshrrev_b32_e32 v21, 10, v0
	s_delay_alu instid0(VALU_DEP_3) | instskip(NEXT) | instid1(VALU_DEP_3)
	v_dual_lshlrev_b32 v1, 5, v24 :: v_dual_add_nc_u32 v4, 16, v22
	v_mov_b32_e32 v27, v3
	v_lshl_add_u32 v12, v22, 5, v24
	v_cmp_gt_u32_e64 s6, 6, v14
                                        ; implicit-def: $vgpr208 : SGPR spill to VGPR lane
	v_cmp_gt_u32_e64 s7, 8, v24
	s_wait_kmcnt 0x0
	s_lshl_b64 s[12:13], s[38:39], 4
	s_lshl_b64 s[14:15], s[48:49], 4
	s_cmp_eq_u32 s2, 0
	v_lshl_add_u32 v7, v4, 5, v24
	s_cselect_b32 s60, ttmp9, s4
	s_add_co_i32 s1, s59, -1
	s_ashr_i32 s2, s59, 31
	s_and_b32 s0, s3, 0xffff
	s_ashr_i32 s3, s1, 31
	s_lshr_b32 s2, s2, 27
	s_lshr_b32 s3, s3, 27
	s_add_co_i32 s2, s59, s2
	s_add_co_i32 s1, s1, s3
	s_and_not1_b32 s2, s2, 31
	s_ashr_i32 s1, s1, 5
	s_sub_co_i32 s9, s59, s2
	s_cmp_eq_u32 s1, s60
	v_mad_u32_u24 v26, v22, s0, v24
	s_cselect_b32 s1, -1, 0
	s_cmp_lg_u32 s9, 0
	v_sub_co_u32 v25, s2, s60, 1
	s_cselect_b32 s0, -1, 0
	s_lshl_b32 s16, s60, 5
	s_and_b32 s27, s0, s1
	v_dual_add_nc_u32 v2, v22, v1 :: v_dual_add_nc_u32 v5, s16, v22
	s_xor_b32 s61, s2, -1
	s_xor_b32 s62, s27, -1
	s_cmp_lt_i32 s60, 5
	v_dual_add_nc_u32 v1, v4, v1 :: v_dual_add_nc_u32 v6, s16, v24
	s_cselect_b32 vcc_lo, -1, 0
	s_add_nc_u64 s[0:1], s[40:41], 1
	v_cndmask_b32_e32 v10, v12, v2, vcc_lo
	s_or_b32 vcc_lo, vcc_lo, s27
	s_ashr_i32 s17, s16, 31
	v_dual_cndmask_b32 v11, v7, v1, vcc_lo :: v_dual_bitop2_b32 v1, 1, v0 bitop3:0x40
	v_add_nc_u32_e32 v2, s16, v26
	s_xor_b32 s63, vcc_lo, -1
	s_mul_u64 s[10:11], s[0:1], s[16:17]
	v_cmp_gt_u32_e64 s0, 4, v12
	v_cmp_eq_u32_e32 vcc_lo, 1, v1
	v_dual_ashrrev_i32 v7, 31, v6 :: v_dual_bitop2_b32 v13, 3, v0 bitop3:0x40
	v_cmp_eq_u32_e64 s3, 0, v1
	v_cmp_gt_u32_e64 s2, 16, v12
	s_and_b32 s64, vcc_lo, s0
	v_cmp_eq_u32_e32 vcc_lo, 3, v13
	v_cmp_eq_u32_e64 s1, 0, v22
	v_cmp_gt_u32_e64 s4, 2, v24
	s_and_b32 s65, s3, s0
	v_cmp_ne_u32_e64 s3, 3, v13
	s_and_b32 s67, vcc_lo, s2
	v_cmp_gt_u32_e32 vcc_lo, 2, v13
	s_and_b32 s66, s1, s4
	v_cmp_eq_u32_e64 s4, 2, v13
	s_and_b32 s68, s3, s2
	v_cmp_eq_u32_e64 s3, 0, v13
	s_and_b32 s70, vcc_lo, s2
	v_cmp_gt_u32_e32 vcc_lo, 4, v24
	s_and_b32 s69, s4, s2
	v_cmp_eq_u32_e64 s4, 7, v14
	s_and_b32 s72, s3, s2
	v_cmp_gt_u32_e64 s3, 64, v12
	s_and_b32 s73, s1, vcc_lo
	v_cmp_ne_u32_e32 vcc_lo, 7, v14
	v_cmp_eq_u32_e64 s5, 1, v13
	v_dual_lshrrev_b32 v16, 1, v12 :: v_dual_lshrrev_b32 v18, 2, v12
	s_and_b32 s74, s4, s3
	v_cmp_eq_u32_e64 s4, 5, v14
	s_and_b32 s75, vcc_lo, s3
	v_cmp_gt_u32_e32 vcc_lo, 5, v14
	s_and_b32 s71, s5, s2
	v_cmp_eq_u32_e64 s5, 6, v14
	s_and_b32 s78, s4, s3
	v_cmp_eq_u32_e64 s4, 4, v14
	s_and_b32 s79, vcc_lo, s3
	v_cmp_gt_u32_e32 vcc_lo, 3, v14
	v_add_nc_u64_e32 v[8:9], s[16:17], v[26:27]
	v_dual_lshlrev_b32 v27, 4, v24 :: v_dual_lshlrev_b32 v23, 9, v18
	v_lshrrev_b32_e32 v19, 3, v12
	s_and_b32 s76, s5, s3
	s_and_b32 s77, s6, s3
	v_cmp_gt_u32_e64 s5, 4, v14
	v_cmp_eq_u32_e64 s6, 3, v14
	s_and_b32 s80, s4, s3
	v_cmp_eq_u32_e64 s4, 2, v14
	s_and_b32 s83, vcc_lo, s3
	v_cmp_gt_u32_e32 vcc_lo, 2, v14
	v_dual_sub_nc_u32 v48, 0, v23 :: v_dual_lshlrev_b32 v17, 9, v16
	v_dual_lshlrev_b32 v34, 9, v19 :: v_dual_bitop2_b32 v15, 15, v0 bitop3:0x40
	s_and_b32 s81, s5, s3
	s_and_b32 s82, s6, s3
	v_cmp_eq_u32_e64 s5, 1, v14
	v_cmp_eq_u32_e64 s6, 0, v14
	s_and_b32 s84, s4, s3
	s_and_b32 s85, vcc_lo, s3
	v_cmp_gt_u32_e64 s4, 0x100, v12
	v_sub_nc_u32_e32 v44, 0, v17
	v_cmp_eq_u32_e32 vcc_lo, 15, v15
	s_and_b32 s86, s5, s3
	s_and_b32 s87, s6, s3
	v_cmp_ne_u32_e64 s5, 15, v15
	s_and_b32 s88, s1, s7
	s_and_b32 s6, vcc_lo, s4
	v_cmp_eq_u32_e32 vcc_lo, 14, v15
	v_writelane_b32 v208, s6, 0
	s_and_b32 s5, s5, s4
	v_cmp_gt_u32_e64 s6, 14, v15
	v_cmp_eq_u32_e64 s7, 13, v15
	s_and_b32 s8, vcc_lo, s4
	v_writelane_b32 v208, s5, 1
	v_cmp_gt_u32_e64 s5, 13, v15
	s_and_b32 s6, s6, s4
	v_cmp_eq_u32_e32 vcc_lo, 12, v15
	v_mad_u32_u24 v20, 0x1f0, v24, v27
	v_writelane_b32 v208, s8, 2
	s_and_b32 s5, s5, s4
	v_subrev_nc_u32_e32 v28, 32, v5
	s_and_b32 s8, vcc_lo, s4
	v_cmp_eq_u32_e32 vcc_lo, 10, v15
	v_writelane_b32 v208, s6, 3
	s_and_b32 s6, s7, s4
	v_cmp_gt_u32_e64 s7, 11, v15
	v_mad_i32_i24 v47, 0xfffffe10, v24, v20
	v_dual_sub_nc_u32 v49, 0, v34 :: v_dual_lshlrev_b32 v29, 5, v12
	v_writelane_b32 v208, s6, 4
	v_cmp_eq_u32_e64 s6, 11, v15
	s_delay_alu instid0(VALU_DEP_4)
	v_mad_u32_u24 v37, 0x1f0, v24, v47
	v_lshlrev_b32_e32 v178, 4, v1
	v_and_b32_e32 v35, 0xfffffe00, v29
	v_writelane_b32 v208, s5, 5
	v_cmp_gt_u32_e64 s5, 12, v15
	v_mad_i32_i24 v87, 0xfffffe10, v24, v37
	v_dual_ashrrev_i32 v29, 31, v28 :: v_dual_lshlrev_b32 v180, 4, v13
	v_lshlrev_b32_e32 v182, 4, v14
	v_writelane_b32 v208, s8, 6
	s_and_b32 s5, s5, s4
	v_mad_u32_u24 v38, 0x1f0, v24, v87
	v_dual_sub_nc_u32 v181, v178, v17 :: v_dual_lshlrev_b32 v184, 4, v15
	v_writelane_b32 v208, s5, 7
	s_and_b32 s5, s6, s4
	s_and_b32 s6, vcc_lo, s4
	v_cmp_eq_u32_e32 vcc_lo, 9, v15
	v_mad_i32_i24 v98, 0xfffffe10, v24, v38
	v_writelane_b32 v208, s5, 8
	s_and_b32 s5, s7, s4
	v_cmp_eq_u32_e64 s7, 8, v15
	s_and_b32 s8, vcc_lo, s4
	v_cmp_eq_u32_e32 vcc_lo, 7, v15
	v_writelane_b32 v208, s5, 9
	v_cmp_gt_u32_e64 s5, 10, v15
	s_and_b32 s103, s7, s4
	v_cmp_gt_u32_e64 s7, 6, v15
	s_and_b32 vcc_hi, vcc_lo, s4
	v_writelane_b32 v208, s6, 10
	s_and_b32 s5, s5, s4
	v_cmp_eq_u32_e32 vcc_lo, 5, v15
	v_cmp_gt_u32_e64 s6, 9, v15
	s_and_b32 s20, s7, s4
	v_writelane_b32 v208, s5, 11
	v_cmp_gt_u32_e64 s5, 8, v15
	s_and_b32 s21, vcc_lo, s4
	v_cmp_eq_u32_e32 vcc_lo, 4, v15
	s_and_b32 s102, s6, s4
	v_cmp_eq_u32_e64 s6, 6, v15
	s_and_b32 s104, s5, s4
	v_cmp_gt_u32_e64 s5, 7, v15
	s_and_b32 s23, vcc_lo, s4
	v_cmp_eq_u32_e32 vcc_lo, 2, v15
	s_and_b32 s19, s6, s4
	v_cmp_gt_u32_e64 s6, 4, v15
	s_and_b32 s18, s5, s4
	v_cmp_gt_u32_e64 s5, 5, v15
	s_and_b32 s89, vcc_lo, s4
	v_cmp_le_i32_e32 vcc_lo, s9, v24
	v_cmp_eq_u32_e64 s7, 3, v15
	s_and_b32 s24, s6, s4
	s_and_b32 s22, s5, s4
	v_cmp_gt_u32_e64 s5, 3, v15
	v_cmp_eq_u32_e64 s6, 1, v15
	s_and_b32 s92, vcc_lo, s27
	v_writelane_b32 v208, s8, 12
	s_and_b32 s25, s7, s4
	s_and_b32 s26, s5, s4
	v_cmp_gt_u32_e64 s5, 2, v15
	v_cmp_eq_u32_e64 s7, 0, v15
	v_cmp_gt_u32_e64 s8, 16, v24
	s_and_b32 s91, s6, s4
	v_cmp_le_i32_e64 s6, s9, v4
	s_and_b32 s90, s5, s4
	s_xor_b32 s5, s92, -1
	s_and_b32 s93, s7, s4
	s_and_b32 s95, s1, s5
	v_cmp_le_i32_e64 s5, s9, v22
	s_and_b32 s94, s1, s8
	s_cmp_gt_i32 s60, 0
	v_cmp_gt_u32_e64 s27, 0xf0, v12
	s_cselect_b32 s17, -1, 0
	s_or_b32 s7, s5, vcc_lo
	s_or_b32 s8, s6, vcc_lo
	v_cmp_gt_i32_e32 vcc_lo, s9, v24
	v_mad_u32_u24 v39, 0x1f0, v24, v98
	v_add_nc_u32_e32 v46, 0x3dd0, v20
	v_add_nc_u32_e32 v50, 0x3100, v20
	v_mul_u64_e32 v[30:31], s[40:41], v[6:7]
	s_and_b32 s5, s1, vcc_lo
	v_mul_u64_e32 v[32:33], s[50:51], v[6:7]
	v_writelane_b32 v208, s5, 13
	v_mad_i32_i24 v7, 0xfffffe10, v24, v39
	v_dual_lshlrev_b32 v40, 4, v22 :: v_dual_sub_nc_u32 v185, v180, v23
	v_sub_nc_u32_e32 v187, v182, v34
	v_writelane_b32 v208, s27, 14
	v_cmp_gt_u32_e64 s27, 0xe0, v12
	v_dual_sub_nc_u32 v189, v184, v35 :: v_dual_add_nc_u32 v13, -16, v5
	v_dual_mov_b32 v5, v3 :: v_dual_mov_b32 v23, v3
	s_delay_alu instid0(VALU_DEP_3) | instskip(SKIP_4) | instid1(VALU_DEP_4)
	v_writelane_b32 v208, s27, 15
	v_cmp_gt_u32_e64 s27, 0xd0, v12
	v_dual_sub_nc_u32 v58, 0, v35 :: v_dual_bitop2_b32 v36, -16, v12 bitop3:0x40
	v_add_nc_u32_e32 v96, 0x3580, v38
	v_add_nc_u32_e32 v97, 0x3590, v38
	v_writelane_b32 v208, s27, 16
	v_cmp_gt_u32_e64 s27, 0xc0, v12
	v_add_nc_u32_e32 v99, 0x2900, v38
	v_add_nc_u32_e32 v100, 0x2930, v38
	v_add_nc_u32_e32 v101, 0x2920, v38
	v_add_nc_u32_e32 v102, 0x2910, v38
	v_writelane_b32 v208, s27, 17
	v_cmp_gt_u32_e64 s27, 0xb0, v12
	v_add_nc_u32_e32 v103, 0x1480, v38
	v_add_nc_u32_e32 v104, 0x1490, v38
	;; [unrolled: 6-line block ×3, first 2 shown]
	v_add_nc_u32_e32 v109, 0x2510, v39
	v_add_nc_u32_e32 v110, 0x400, v39
	;; [unrolled: 1-line block ×4, first 2 shown]
	v_bitop3_b32 v21, v0, v21, 0x3ff bitop3:0xa8
	v_add_nc_u32_e32 v192, 0x810, v38
	v_dual_add_nc_u32 v193, v39, v40 :: v_dual_lshlrev_b32 v196, 4, v10
	v_add_nc_u32_e32 v194, 0x6000, v40
	v_mul_u64_e32 v[0:1], s[50:51], v[8:9]
	v_mul_u64_e32 v[34:35], s[40:41], v[4:5]
	;; [unrolled: 1-line block ×4, first 2 shown]
	v_writelane_b32 v208, s27, 19
	v_cmp_gt_u32_e64 s27, 0x90, v12
	v_cmp_gt_i32_e64 s5, s59, v6
	v_cmp_gt_i32_e64 s6, s59, v13
	v_dual_add_nc_u32 v172, 64, v87 :: v_dual_bitop2_b32 v42, v4, v24 bitop3:0x54
	s_delay_alu instid0(VALU_DEP_4)
	v_writelane_b32 v208, s27, 20
	v_cmp_gt_u32_e64 s27, 0x80, v12
	s_and_b32 s96, s6, s5
	v_cmp_ge_u32_e64 s6, v24, v22
	v_cmp_gt_i32_e32 vcc_lo, s59, v28
	v_add_nc_u32_e32 v45, 0x3dc0, v20
	v_writelane_b32 v208, s27, 21
	v_cmp_gt_u32_e64 s27, 0x70, v12
	s_or_b32 s97, s7, s6
	v_cmp_ge_u32_e64 s7, v24, v4
	v_add_nc_u32_e32 v51, 0x3110, v20
	v_add_nc_u32_e32 v52, 0x3120, v20
	v_writelane_b32 v208, s27, 22
	v_cmp_gt_u32_e64 s27, 0x60, v12
	v_add_nc_u32_e32 v53, 0x3130, v20
	v_add_nc_u32_e32 v54, 0x3140, v20
	;; [unrolled: 1-line block ×4, first 2 shown]
	v_writelane_b32 v208, s27, 23
	v_cmp_gt_u32_e64 s27, 0x50, v12
	v_add_nc_u32_e32 v57, 0x3170, v20
	v_add_nc_u32_e32 v59, 0x2000, v20
	;; [unrolled: 1-line block ×99, first 2 shown]
	v_lshl_add_u32 v176, v26, 4, 0x6000
	v_lshl_add_u32 v177, v12, 4, 0x4000
	s_add_nc_u64 s[48:49], s[36:37], s[12:13]
	s_add_nc_u64 s[46:47], s[46:47], s[14:15]
	v_lshl_add_u32 v179, v16, 4, 0x4000
	v_lshl_add_u32 v183, v18, 4, 0x4000
	;; [unrolled: 1-line block ×3, first 2 shown]
	v_add_nc_u32_e32 v188, 0x4000, v36
	v_add_nc_u32_e32 v190, 0x1070, v20
	;; [unrolled: 1-line block ×3, first 2 shown]
	v_lshl_add_u32 v195, v22, 9, v7
	v_dual_lshlrev_b32 v36, 4, v24 :: v_dual_lshlrev_b32 v197, 4, v11
	v_add_nc_u32_e32 v198, 0x4000, v27
	v_add_nc_u32_e32 v199, v194, v27
	s_or_b32 s98, s8, s7
	s_lshl_b64 s[40:41], s[10:11], 4
	v_mov_b32_e32 v37, v3
	v_cmp_gt_u32_e64 s8, 2, v12
	v_cmp_gt_u32_e64 s9, 12, v12
	;; [unrolled: 1-line block ×8, first 2 shown]
	v_writelane_b32 v208, s27, 24
	v_cmp_eq_u32_e64 s27, 0, v21
	v_cmp_gt_u32_e64 s28, 32, v21
	v_cmp_gt_u32_e64 s29, 32, v42
	v_cmp_eq_u32_e64 s30, 0, v26
	v_cmp_gt_u32_e64 s31, 32, v26
	s_and_b32 s16, vcc_lo, s5
	s_mov_b32 s37, 0x3ff00000
                                        ; implicit-def: $vgpr6_vgpr7
                                        ; implicit-def: $vgpr10_vgpr11
	s_branch .LBB75_3
.LBB75_2:                               ;   in Loop: Header=BB75_3 Depth=1
	s_wait_xcnt 0x0
	s_or_b32 exec_lo, exec_lo, s33
	s_add_co_i32 s34, s34, 0x10000
	global_wb scope:SCOPE_DEV
	s_wait_storecnt 0x0
	global_inv scope:SCOPE_DEV
	s_cmp_lt_u32 s34, s58
	s_cbranch_scc0 .LBB75_542
.LBB75_3:                               ; =>This Loop Header: Depth=1
                                        ;     Child Loop BB75_453 Depth 2
                                        ;       Child Loop BB75_455 Depth 3
                                        ;     Child Loop BB75_486 Depth 2
	global_load_b128 v[14:17], v3, s[44:45]
	s_mul_u64 s[38:39], s[42:43], s[34:35]
	s_and_not1_b32 vcc_lo, exec_lo, s61
	s_lshl_b64 s[38:39], s[38:39], 4
	s_delay_alu instid0(SALU_CYCLE_1) | instskip(NEXT) | instid1(SALU_CYCLE_1)
	s_add_nc_u64 s[38:39], s[48:49], s[38:39]
	v_lshl_add_u64 v[42:43], v[30:31], 4, s[38:39]
	s_cbranch_vccnz .LBB75_9
; %bb.4:                                ;   in Loop: Header=BB75_3 Depth=1
	v_mov_b64_e32 v[12:13], 0
	v_mov_b64_e32 v[6:7], 0
	;; [unrolled: 1-line block ×3, first 2 shown]
	v_lshl_add_u64 v[4:5], v[28:29], 4, v[42:43]
	s_wait_loadcnt 0x0
	s_barrier_signal -1
	s_barrier_wait -1
	s_wait_xcnt 0x0
	s_and_saveexec_b32 s33, s16
	s_cbranch_execz .LBB75_6
; %bb.5:                                ;   in Loop: Header=BB75_3 Depth=1
	global_load_b128 v[6:9], v[4:5], off
.LBB75_6:                               ;   in Loop: Header=BB75_3 Depth=1
	s_wait_xcnt 0x0
	s_or_b32 exec_lo, exec_lo, s33
	v_mov_b64_e32 v[10:11], 0
	s_wait_loadcnt 0x0
	s_barrier_signal -1
	s_barrier_wait -1
	s_and_saveexec_b32 s33, s96
	s_cbranch_execz .LBB75_8
; %bb.7:                                ;   in Loop: Header=BB75_3 Depth=1
	global_load_b128 v[10:13], v[4:5], off offset:256
.LBB75_8:                               ;   in Loop: Header=BB75_3 Depth=1
	s_wait_xcnt 0x0
	s_or_b32 exec_lo, exec_lo, s33
.LBB75_9:                               ;   in Loop: Header=BB75_3 Depth=1
	s_add_nc_u64 s[38:39], s[38:39], s[40:41]
	s_and_not1_b32 vcc_lo, exec_lo, s62
	v_add_nc_u64_e32 v[18:19], s[38:39], v[36:37]
	s_mov_b32 s33, -1
	s_cbranch_vccnz .LBB75_16
; %bb.10:                               ;   in Loop: Header=BB75_3 Depth=1
	s_wait_xcnt 0x0
	s_and_saveexec_b32 s33, s6
	s_delay_alu instid0(SALU_CYCLE_1)
	s_xor_b32 s33, exec_lo, s33
	s_cbranch_execnz .LBB75_499
; %bb.11:                               ;   in Loop: Header=BB75_3 Depth=1
	s_and_not1_saveexec_b32 s33, s33
	s_cbranch_execnz .LBB75_502
.LBB75_12:                              ;   in Loop: Header=BB75_3 Depth=1
	s_or_b32 exec_lo, exec_lo, s33
	s_and_saveexec_b32 s33, s7
	s_delay_alu instid0(SALU_CYCLE_1)
	s_xor_b32 s33, exec_lo, s33
	s_cbranch_execnz .LBB75_503
.LBB75_13:                              ;   in Loop: Header=BB75_3 Depth=1
	s_and_not1_saveexec_b32 s33, s33
	s_cbranch_execz .LBB75_15
.LBB75_14:                              ;   in Loop: Header=BB75_3 Depth=1
	v_lshl_add_u64 v[4:5], v[34:35], 4, v[18:19]
	global_load_b128 v[200:203], v[4:5], off
	s_wait_loadcnt 0x0
	v_xor_b32_e32 v201, 0x80000000, v201
	ds_store_b128 v197, v[200:203]
.LBB75_15:                              ;   in Loop: Header=BB75_3 Depth=1
	s_or_b32 exec_lo, exec_lo, s33
	s_mov_b32 s33, 0
.LBB75_16:                              ;   in Loop: Header=BB75_3 Depth=1
	s_delay_alu instid0(SALU_CYCLE_1)
	s_and_b32 vcc_lo, exec_lo, s33
	s_cbranch_vccz .LBB75_23
; %bb.17:                               ;   in Loop: Header=BB75_3 Depth=1
	s_wait_xcnt 0x0
	s_and_saveexec_b32 s33, s97
	s_delay_alu instid0(SALU_CYCLE_1)
	s_xor_b32 s33, exec_lo, s33
	s_cbranch_execnz .LBB75_506
; %bb.18:                               ;   in Loop: Header=BB75_3 Depth=1
	s_and_not1_saveexec_b32 s33, s33
	s_cbranch_execnz .LBB75_509
.LBB75_19:                              ;   in Loop: Header=BB75_3 Depth=1
	s_or_b32 exec_lo, exec_lo, s33
	s_and_saveexec_b32 s33, s98
	s_delay_alu instid0(SALU_CYCLE_1)
	s_xor_b32 s33, exec_lo, s33
	s_cbranch_execnz .LBB75_510
.LBB75_20:                              ;   in Loop: Header=BB75_3 Depth=1
	s_and_not1_saveexec_b32 s33, s33
	s_cbranch_execz .LBB75_22
.LBB75_21:                              ;   in Loop: Header=BB75_3 Depth=1
	v_lshl_add_u64 v[4:5], v[34:35], 4, v[18:19]
	global_load_b128 v[18:21], v[4:5], off
	s_wait_loadcnt 0x0
	v_xor_b32_e32 v19, 0x80000000, v19
	ds_store_b128 v197, v[18:21]
.LBB75_22:                              ;   in Loop: Header=BB75_3 Depth=1
	s_or_b32 exec_lo, exec_lo, s33
.LBB75_23:                              ;   in Loop: Header=BB75_3 Depth=1
	s_delay_alu instid0(SALU_CYCLE_1)
	s_and_not1_b32 vcc_lo, exec_lo, s63
	s_wait_loadcnt_dscnt 0x0
	s_barrier_signal -1
	s_barrier_wait -1
	s_cbranch_vccnz .LBB75_447
; %bb.24:                               ;   in Loop: Header=BB75_3 Depth=1
	s_and_saveexec_b32 s33, s27
	s_cbranch_execz .LBB75_26
; %bb.25:                               ;   in Loop: Header=BB75_3 Depth=1
	s_mov_b32 s36, s35
	s_mov_b32 s38, s35
	;; [unrolled: 1-line block ×3, first 2 shown]
	v_mov_b64_e32 v[18:19], s[36:37]
	v_mov_b64_e32 v[20:21], s[38:39]
	ds_store_b128 v3, v[18:21] offset:15840
	ds_store_b128 v3, v[18:21] offset:16368
	ds_load_b128 v[18:21], v3 offset:16352
	s_wait_dscnt 0x0
	ds_store_b128 v3, v[18:21] offset:15856
.LBB75_26:                              ;   in Loop: Header=BB75_3 Depth=1
	s_or_b32 exec_lo, exec_lo, s33
	v_mov_b64_e32 v[18:19], 0
	v_mov_b64_e32 v[20:21], 0
	s_wait_dscnt 0x0
	s_barrier_signal -1
	s_barrier_wait -1
	global_wb scope:SCOPE_DEV
	s_wait_storecnt 0x0
	global_inv scope:SCOPE_DEV
	s_and_saveexec_b32 s33, s0
	s_cbranch_execz .LBB75_30
; %bb.27:                               ;   in Loop: Header=BB75_3 Depth=1
	ds_load_b128 v[18:21], v44 offset:16352
	ds_load_b128 v[200:203], v178 offset:15808
	s_wait_dscnt 0x0
	v_mul_f64_e32 v[4:5], v[20:21], v[202:203]
	v_mul_f64_e32 v[202:203], v[18:19], v[202:203]
	s_delay_alu instid0(VALU_DEP_2) | instskip(NEXT) | instid1(VALU_DEP_2)
	v_fma_f64 v[4:5], v[18:19], v[200:201], -v[4:5]
	v_fmac_f64_e32 v[202:203], v[20:21], v[200:201]
	s_delay_alu instid0(VALU_DEP_2) | instskip(NEXT) | instid1(VALU_DEP_2)
	v_add_f64_e32 v[18:19], 0, v[4:5]
	v_add_f64_e32 v[20:21], 0, v[202:203]
	s_and_saveexec_b32 s36, s8
	s_cbranch_execz .LBB75_29
; %bb.28:                               ;   in Loop: Header=BB75_3 Depth=1
	ds_load_b128 v[200:203], v3 offset:16368
	ds_load_b128 v[204:207], v27 offset:16320
	s_wait_dscnt 0x0
	v_mul_f64_e32 v[4:5], v[202:203], v[206:207]
	s_delay_alu instid0(VALU_DEP_1) | instskip(SKIP_1) | instid1(VALU_DEP_2)
	v_fma_f64 v[4:5], v[200:201], v[204:205], -v[4:5]
	v_mul_f64_e32 v[200:201], v[200:201], v[206:207]
	v_add_f64_e32 v[18:19], v[18:19], v[4:5]
	s_delay_alu instid0(VALU_DEP_2) | instskip(NEXT) | instid1(VALU_DEP_1)
	v_fmac_f64_e32 v[200:201], v[202:203], v[204:205]
	v_add_f64_e32 v[20:21], v[20:21], v[200:201]
.LBB75_29:                              ;   in Loop: Header=BB75_3 Depth=1
	s_or_b32 exec_lo, exec_lo, s36
.LBB75_30:                              ;   in Loop: Header=BB75_3 Depth=1
	s_delay_alu instid0(SALU_CYCLE_1)
	s_or_b32 exec_lo, exec_lo, s33
	s_and_saveexec_b32 s33, s64
	s_cbranch_execz .LBB75_32
; %bb.31:                               ;   in Loop: Header=BB75_3 Depth=1
	s_delay_alu instid0(VALU_DEP_2) | instskip(NEXT) | instid1(VALU_DEP_2)
	v_xor_b32_e32 v201, 0x80000000, v19
	v_xor_b32_e32 v203, 0x80000000, v21
	s_delay_alu instid0(VALU_DEP_3)
	v_dual_mov_b32 v200, v18 :: v_dual_mov_b32 v202, v20
	ds_store_b128 v179, v[200:203]
.LBB75_32:                              ;   in Loop: Header=BB75_3 Depth=1
	s_or_b32 exec_lo, exec_lo, s33
	s_wait_loadcnt_dscnt 0x0
	s_barrier_signal -1
	s_barrier_wait -1
	s_and_saveexec_b32 s33, s65
	s_cbranch_execz .LBB75_34
; %bb.33:                               ;   in Loop: Header=BB75_3 Depth=1
	ds_load_b128 v[200:203], v179
	ds_load_b128 v[204:207], v3 offset:15296
	s_wait_dscnt 0x0
	v_mul_f64_e32 v[4:5], v[200:201], v[204:205]
	v_mul_f64_e32 v[200:201], v[200:201], v[206:207]
	s_delay_alu instid0(VALU_DEP_2) | instskip(NEXT) | instid1(VALU_DEP_2)
	v_fma_f64 v[4:5], v[202:203], v[206:207], -v[4:5]
	v_fmac_f64_e32 v[200:201], v[202:203], v[204:205]
	s_delay_alu instid0(VALU_DEP_2) | instskip(NEXT) | instid1(VALU_DEP_2)
	v_add_f64_e32 v[18:19], v[18:19], v[4:5]
	v_add_f64_e64 v[20:21], v[20:21], -v[200:201]
.LBB75_34:                              ;   in Loop: Header=BB75_3 Depth=1
	s_or_b32 exec_lo, exec_lo, s33
	s_barrier_signal -1
	s_barrier_wait -1
	s_and_saveexec_b32 s33, s65
	s_cbranch_execz .LBB75_36
; %bb.35:                               ;   in Loop: Header=BB75_3 Depth=1
	s_delay_alu instid0(VALU_DEP_2) | instskip(NEXT) | instid1(VALU_DEP_2)
	v_xor_b32_e32 v201, 0x80000000, v19
	v_xor_b32_e32 v203, 0x80000000, v21
	s_delay_alu instid0(VALU_DEP_3)
	v_dual_mov_b32 v200, v18 :: v_dual_mov_b32 v202, v20
	ds_store_b128 v179, v[200:203]
.LBB75_36:                              ;   in Loop: Header=BB75_3 Depth=1
	s_or_b32 exec_lo, exec_lo, s33
	s_wait_dscnt 0x0
	s_barrier_signal -1
	s_barrier_wait -1
	s_barrier_signal -1
	s_barrier_wait -1
	s_and_saveexec_b32 s33, s0
; %bb.37:                               ;   in Loop: Header=BB75_3 Depth=1
	ds_store_b128 v181, v[18:21] offset:16320
; %bb.38:                               ;   in Loop: Header=BB75_3 Depth=1
	s_or_b32 exec_lo, exec_lo, s33
	s_wait_dscnt 0x0
	s_barrier_signal -1
	s_barrier_wait -1
	s_barrier_signal -1
	s_barrier_wait -1
	s_and_saveexec_b32 s33, s66
	s_cbranch_execz .LBB75_40
; %bb.39:                               ;   in Loop: Header=BB75_3 Depth=1
	ds_load_b128 v[18:21], v45
	s_wait_dscnt 0x0
	ds_store_b128 v116, v[18:21]
	ds_load_b128 v[18:21], v46
	s_wait_dscnt 0x0
	ds_store_b128 v117, v[18:21]
.LBB75_40:                              ;   in Loop: Header=BB75_3 Depth=1
	s_or_b32 exec_lo, exec_lo, s33
	s_wait_dscnt 0x0
	s_barrier_signal -1
	s_barrier_wait -1
	s_and_saveexec_b32 s33, s27
	s_cbranch_execz .LBB75_42
; %bb.41:                               ;   in Loop: Header=BB75_3 Depth=1
	s_mov_b32 s36, s35
	s_mov_b32 s38, s35
	;; [unrolled: 1-line block ×3, first 2 shown]
	v_mov_b64_e32 v[18:19], s[36:37]
	v_mov_b64_e32 v[20:21], s[38:39]
	ds_store_b128 v3, v[18:21] offset:14784
	ds_store_b128 v3, v[18:21] offset:15312
	ds_load_b128 v[18:21], v3 offset:15296
	s_wait_dscnt 0x0
	ds_store_b128 v3, v[18:21] offset:14800
.LBB75_42:                              ;   in Loop: Header=BB75_3 Depth=1
	s_or_b32 exec_lo, exec_lo, s33
	v_mov_b64_e32 v[20:21], 0
	v_mov_b64_e32 v[18:19], 0
	s_wait_dscnt 0x0
	s_barrier_signal -1
	s_barrier_wait -1
	global_wb scope:SCOPE_DEV
	s_wait_storecnt 0x0
	global_inv scope:SCOPE_DEV
	s_and_saveexec_b32 s33, s2
	s_cbranch_execz .LBB75_48
; %bb.43:                               ;   in Loop: Header=BB75_3 Depth=1
	ds_load_b128 v[18:21], v48 offset:16320
	ds_load_b128 v[200:203], v180 offset:14720
	s_wait_dscnt 0x0
	v_mul_f64_e32 v[4:5], v[20:21], v[202:203]
	v_mul_f64_e32 v[202:203], v[18:19], v[202:203]
	s_delay_alu instid0(VALU_DEP_2) | instskip(NEXT) | instid1(VALU_DEP_2)
	v_fma_f64 v[4:5], v[18:19], v[200:201], -v[4:5]
	v_fmac_f64_e32 v[202:203], v[20:21], v[200:201]
	s_delay_alu instid0(VALU_DEP_2) | instskip(NEXT) | instid1(VALU_DEP_2)
	v_add_f64_e32 v[18:19], 0, v[4:5]
	v_add_f64_e32 v[20:21], 0, v[202:203]
	s_and_saveexec_b32 s36, s9
	s_cbranch_execnz .LBB75_518
; %bb.44:                               ;   in Loop: Header=BB75_3 Depth=1
	s_or_b32 exec_lo, exec_lo, s36
	s_and_saveexec_b32 s36, s10
	s_cbranch_execnz .LBB75_519
.LBB75_45:                              ;   in Loop: Header=BB75_3 Depth=1
	s_or_b32 exec_lo, exec_lo, s36
	s_and_saveexec_b32 s36, s0
	s_cbranch_execz .LBB75_47
.LBB75_46:                              ;   in Loop: Header=BB75_3 Depth=1
	ds_load_b128 v[200:203], v3 offset:16368
	ds_load_b128 v[204:207], v47 offset:16256
	s_wait_dscnt 0x0
	v_mul_f64_e32 v[4:5], v[202:203], v[206:207]
	s_delay_alu instid0(VALU_DEP_1) | instskip(SKIP_1) | instid1(VALU_DEP_2)
	v_fma_f64 v[4:5], v[200:201], v[204:205], -v[4:5]
	v_mul_f64_e32 v[200:201], v[200:201], v[206:207]
	v_add_f64_e32 v[18:19], v[18:19], v[4:5]
	s_delay_alu instid0(VALU_DEP_2) | instskip(NEXT) | instid1(VALU_DEP_1)
	v_fmac_f64_e32 v[200:201], v[202:203], v[204:205]
	v_add_f64_e32 v[20:21], v[20:21], v[200:201]
.LBB75_47:                              ;   in Loop: Header=BB75_3 Depth=1
	s_or_b32 exec_lo, exec_lo, s36
.LBB75_48:                              ;   in Loop: Header=BB75_3 Depth=1
	s_delay_alu instid0(SALU_CYCLE_1)
	s_or_b32 exec_lo, exec_lo, s33
	s_and_saveexec_b32 s33, s67
	s_cbranch_execz .LBB75_50
; %bb.49:                               ;   in Loop: Header=BB75_3 Depth=1
	s_delay_alu instid0(VALU_DEP_1) | instskip(NEXT) | instid1(VALU_DEP_3)
	v_xor_b32_e32 v203, 0x80000000, v21
	v_xor_b32_e32 v201, 0x80000000, v19
	s_delay_alu instid0(VALU_DEP_3)
	v_dual_mov_b32 v200, v18 :: v_dual_mov_b32 v202, v20
	ds_store_b128 v183, v[200:203]
.LBB75_50:                              ;   in Loop: Header=BB75_3 Depth=1
	s_or_b32 exec_lo, exec_lo, s33
	s_wait_loadcnt_dscnt 0x0
	s_barrier_signal -1
	s_barrier_wait -1
	s_and_saveexec_b32 s33, s68
	s_cbranch_execz .LBB75_52
; %bb.51:                               ;   in Loop: Header=BB75_3 Depth=1
	ds_load_b128 v[200:203], v183
	ds_load_b128 v[204:207], v180 offset:14208
	s_wait_dscnt 0x0
	v_mul_f64_e32 v[4:5], v[202:203], v[206:207]
	s_delay_alu instid0(VALU_DEP_1) | instskip(SKIP_1) | instid1(VALU_DEP_2)
	v_fma_f64 v[4:5], v[200:201], v[204:205], -v[4:5]
	v_mul_f64_e32 v[200:201], v[200:201], v[206:207]
	v_add_f64_e64 v[18:19], v[18:19], -v[4:5]
	s_delay_alu instid0(VALU_DEP_2) | instskip(NEXT) | instid1(VALU_DEP_1)
	v_fmac_f64_e32 v[200:201], v[202:203], v[204:205]
	v_add_f64_e64 v[20:21], v[20:21], -v[200:201]
.LBB75_52:                              ;   in Loop: Header=BB75_3 Depth=1
	s_or_b32 exec_lo, exec_lo, s33
	s_barrier_signal -1
	s_barrier_wait -1
	s_and_saveexec_b32 s33, s69
	s_cbranch_execz .LBB75_54
; %bb.53:                               ;   in Loop: Header=BB75_3 Depth=1
	s_delay_alu instid0(VALU_DEP_1) | instskip(NEXT) | instid1(VALU_DEP_3)
	v_xor_b32_e32 v203, 0x80000000, v21
	v_xor_b32_e32 v201, 0x80000000, v19
	s_delay_alu instid0(VALU_DEP_3)
	v_dual_mov_b32 v200, v18 :: v_dual_mov_b32 v202, v20
	ds_store_b128 v183, v[200:203]
.LBB75_54:                              ;   in Loop: Header=BB75_3 Depth=1
	s_or_b32 exec_lo, exec_lo, s33
	s_wait_dscnt 0x0
	s_barrier_signal -1
	s_barrier_wait -1
	s_and_saveexec_b32 s33, s70
	s_cbranch_execz .LBB75_56
; %bb.55:                               ;   in Loop: Header=BB75_3 Depth=1
	ds_load_b128 v[200:203], v183
	ds_load_b128 v[204:207], v180 offset:13696
	s_wait_dscnt 0x0
	v_mul_f64_e32 v[4:5], v[202:203], v[206:207]
	s_delay_alu instid0(VALU_DEP_1) | instskip(SKIP_1) | instid1(VALU_DEP_2)
	v_fma_f64 v[4:5], v[200:201], v[204:205], -v[4:5]
	v_mul_f64_e32 v[200:201], v[200:201], v[206:207]
	v_add_f64_e64 v[18:19], v[18:19], -v[4:5]
	s_delay_alu instid0(VALU_DEP_2) | instskip(NEXT) | instid1(VALU_DEP_1)
	v_fmac_f64_e32 v[200:201], v[202:203], v[204:205]
	v_add_f64_e64 v[20:21], v[20:21], -v[200:201]
.LBB75_56:                              ;   in Loop: Header=BB75_3 Depth=1
	s_or_b32 exec_lo, exec_lo, s33
	s_barrier_signal -1
	s_barrier_wait -1
	s_and_saveexec_b32 s33, s71
	s_cbranch_execz .LBB75_58
; %bb.57:                               ;   in Loop: Header=BB75_3 Depth=1
	s_delay_alu instid0(VALU_DEP_1) | instskip(NEXT) | instid1(VALU_DEP_3)
	v_xor_b32_e32 v203, 0x80000000, v21
	v_xor_b32_e32 v201, 0x80000000, v19
	s_delay_alu instid0(VALU_DEP_3)
	v_dual_mov_b32 v200, v18 :: v_dual_mov_b32 v202, v20
	ds_store_b128 v183, v[200:203]
.LBB75_58:                              ;   in Loop: Header=BB75_3 Depth=1
	s_or_b32 exec_lo, exec_lo, s33
	s_wait_dscnt 0x0
	;; [unrolled: 32-line block ×3, first 2 shown]
	s_barrier_signal -1
	s_barrier_wait -1
	s_barrier_signal -1
	s_barrier_wait -1
	s_and_saveexec_b32 s33, s2
; %bb.63:                               ;   in Loop: Header=BB75_3 Depth=1
	ds_store_b128 v185, v[18:21] offset:16256
; %bb.64:                               ;   in Loop: Header=BB75_3 Depth=1
	s_or_b32 exec_lo, exec_lo, s33
	s_wait_dscnt 0x0
	s_barrier_signal -1
	s_barrier_wait -1
	s_barrier_signal -1
	s_barrier_wait -1
	s_and_saveexec_b32 s33, s73
	s_cbranch_execz .LBB75_66
; %bb.65:                               ;   in Loop: Header=BB75_3 Depth=1
	ds_load_b128 v[18:21], v84
	s_wait_dscnt 0x0
	ds_store_b128 v118, v[18:21]
	ds_load_b128 v[18:21], v88
	s_wait_dscnt 0x0
	ds_store_b128 v121, v[18:21]
	;; [unrolled: 3-line block ×4, first 2 shown]
.LBB75_66:                              ;   in Loop: Header=BB75_3 Depth=1
	s_or_b32 exec_lo, exec_lo, s33
	s_wait_dscnt 0x0
	s_barrier_signal -1
	s_barrier_wait -1
	s_and_saveexec_b32 s33, s27
	s_cbranch_execz .LBB75_68
; %bb.67:                               ;   in Loop: Header=BB75_3 Depth=1
	s_mov_b32 s36, s35
	s_mov_b32 s38, s35
	;; [unrolled: 1-line block ×3, first 2 shown]
	v_mov_b64_e32 v[18:19], s[36:37]
	v_mov_b64_e32 v[20:21], s[38:39]
	ds_store_b128 v3, v[18:21] offset:13728
	ds_store_b128 v3, v[18:21] offset:14256
	ds_load_b128 v[18:21], v3 offset:14240
	s_wait_dscnt 0x0
	ds_store_b128 v3, v[18:21] offset:13744
.LBB75_68:                              ;   in Loop: Header=BB75_3 Depth=1
	s_or_b32 exec_lo, exec_lo, s33
	v_mov_b64_e32 v[18:19], 0
	v_mov_b64_e32 v[20:21], 0
	s_wait_dscnt 0x0
	s_barrier_signal -1
	s_barrier_wait -1
	global_wb scope:SCOPE_DEV
	s_wait_storecnt 0x0
	global_inv scope:SCOPE_DEV
	s_and_saveexec_b32 s33, s0
	s_cbranch_execz .LBB75_72
; %bb.69:                               ;   in Loop: Header=BB75_3 Depth=1
	ds_load_b128 v[18:21], v44 offset:14240
	ds_load_b128 v[200:203], v178 offset:13696
	s_wait_dscnt 0x0
	v_mul_f64_e32 v[4:5], v[20:21], v[202:203]
	v_mul_f64_e32 v[202:203], v[18:19], v[202:203]
	s_delay_alu instid0(VALU_DEP_2) | instskip(NEXT) | instid1(VALU_DEP_2)
	v_fma_f64 v[4:5], v[18:19], v[200:201], -v[4:5]
	v_fmac_f64_e32 v[202:203], v[20:21], v[200:201]
	s_delay_alu instid0(VALU_DEP_2) | instskip(NEXT) | instid1(VALU_DEP_2)
	v_add_f64_e32 v[18:19], 0, v[4:5]
	v_add_f64_e32 v[20:21], 0, v[202:203]
	s_and_saveexec_b32 s36, s8
	s_cbranch_execz .LBB75_71
; %bb.70:                               ;   in Loop: Header=BB75_3 Depth=1
	ds_load_b128 v[200:203], v3 offset:14256
	ds_load_b128 v[204:207], v87 offset:14208
	s_wait_dscnt 0x0
	v_mul_f64_e32 v[4:5], v[202:203], v[206:207]
	s_delay_alu instid0(VALU_DEP_1) | instskip(SKIP_1) | instid1(VALU_DEP_2)
	v_fma_f64 v[4:5], v[200:201], v[204:205], -v[4:5]
	v_mul_f64_e32 v[200:201], v[200:201], v[206:207]
	v_add_f64_e32 v[18:19], v[18:19], v[4:5]
	s_delay_alu instid0(VALU_DEP_2) | instskip(NEXT) | instid1(VALU_DEP_1)
	v_fmac_f64_e32 v[200:201], v[202:203], v[204:205]
	v_add_f64_e32 v[20:21], v[20:21], v[200:201]
.LBB75_71:                              ;   in Loop: Header=BB75_3 Depth=1
	s_or_b32 exec_lo, exec_lo, s36
.LBB75_72:                              ;   in Loop: Header=BB75_3 Depth=1
	s_delay_alu instid0(SALU_CYCLE_1)
	s_or_b32 exec_lo, exec_lo, s33
	s_and_saveexec_b32 s33, s64
	s_cbranch_execz .LBB75_74
; %bb.73:                               ;   in Loop: Header=BB75_3 Depth=1
	s_delay_alu instid0(VALU_DEP_2) | instskip(NEXT) | instid1(VALU_DEP_2)
	v_xor_b32_e32 v201, 0x80000000, v19
	v_xor_b32_e32 v203, 0x80000000, v21
	s_delay_alu instid0(VALU_DEP_3)
	v_dual_mov_b32 v200, v18 :: v_dual_mov_b32 v202, v20
	ds_store_b128 v179, v[200:203]
.LBB75_74:                              ;   in Loop: Header=BB75_3 Depth=1
	s_or_b32 exec_lo, exec_lo, s33
	s_wait_loadcnt_dscnt 0x0
	s_barrier_signal -1
	s_barrier_wait -1
	s_and_saveexec_b32 s33, s65
	s_cbranch_execz .LBB75_76
; %bb.75:                               ;   in Loop: Header=BB75_3 Depth=1
	ds_load_b128 v[200:203], v179
	ds_load_b128 v[204:207], v3 offset:13184
	s_wait_dscnt 0x0
	v_mul_f64_e32 v[4:5], v[200:201], v[204:205]
	v_mul_f64_e32 v[200:201], v[200:201], v[206:207]
	s_delay_alu instid0(VALU_DEP_2) | instskip(NEXT) | instid1(VALU_DEP_2)
	v_fma_f64 v[4:5], v[202:203], v[206:207], -v[4:5]
	v_fmac_f64_e32 v[200:201], v[202:203], v[204:205]
	s_delay_alu instid0(VALU_DEP_2) | instskip(NEXT) | instid1(VALU_DEP_2)
	v_add_f64_e32 v[18:19], v[18:19], v[4:5]
	v_add_f64_e64 v[20:21], v[20:21], -v[200:201]
.LBB75_76:                              ;   in Loop: Header=BB75_3 Depth=1
	s_or_b32 exec_lo, exec_lo, s33
	s_barrier_signal -1
	s_barrier_wait -1
	s_and_saveexec_b32 s33, s65
	s_cbranch_execz .LBB75_78
; %bb.77:                               ;   in Loop: Header=BB75_3 Depth=1
	s_delay_alu instid0(VALU_DEP_2) | instskip(NEXT) | instid1(VALU_DEP_2)
	v_xor_b32_e32 v201, 0x80000000, v19
	v_xor_b32_e32 v203, 0x80000000, v21
	s_delay_alu instid0(VALU_DEP_3)
	v_dual_mov_b32 v200, v18 :: v_dual_mov_b32 v202, v20
	ds_store_b128 v179, v[200:203]
.LBB75_78:                              ;   in Loop: Header=BB75_3 Depth=1
	s_or_b32 exec_lo, exec_lo, s33
	s_wait_dscnt 0x0
	s_barrier_signal -1
	s_barrier_wait -1
	s_barrier_signal -1
	s_barrier_wait -1
	s_and_saveexec_b32 s33, s0
; %bb.79:                               ;   in Loop: Header=BB75_3 Depth=1
	ds_store_b128 v181, v[18:21] offset:14208
; %bb.80:                               ;   in Loop: Header=BB75_3 Depth=1
	s_or_b32 exec_lo, exec_lo, s33
	s_wait_dscnt 0x0
	s_barrier_signal -1
	s_barrier_wait -1
	s_barrier_signal -1
	s_barrier_wait -1
	s_and_saveexec_b32 s33, s66
	s_cbranch_execz .LBB75_82
; %bb.81:                               ;   in Loop: Header=BB75_3 Depth=1
	ds_load_b128 v[18:21], v96
	s_wait_dscnt 0x0
	ds_store_b128 v122, v[18:21]
	ds_load_b128 v[18:21], v97
	s_wait_dscnt 0x0
	ds_store_b128 v123, v[18:21]
.LBB75_82:                              ;   in Loop: Header=BB75_3 Depth=1
	s_or_b32 exec_lo, exec_lo, s33
	s_wait_dscnt 0x0
	s_barrier_signal -1
	s_barrier_wait -1
	s_and_saveexec_b32 s33, s27
	s_cbranch_execz .LBB75_84
; %bb.83:                               ;   in Loop: Header=BB75_3 Depth=1
	s_mov_b32 s36, s35
	s_mov_b32 s38, s35
	;; [unrolled: 1-line block ×3, first 2 shown]
	v_mov_b64_e32 v[18:19], s[36:37]
	v_mov_b64_e32 v[20:21], s[38:39]
	ds_store_b128 v3, v[18:21] offset:12672
	ds_store_b128 v3, v[18:21] offset:13200
	ds_load_b128 v[18:21], v3 offset:13184
	s_wait_dscnt 0x0
	ds_store_b128 v3, v[18:21] offset:12688
.LBB75_84:                              ;   in Loop: Header=BB75_3 Depth=1
	s_or_b32 exec_lo, exec_lo, s33
	v_mov_b64_e32 v[20:21], 0
	v_mov_b64_e32 v[18:19], 0
	s_wait_dscnt 0x0
	s_barrier_signal -1
	s_barrier_wait -1
	global_wb scope:SCOPE_DEV
	s_wait_storecnt 0x0
	global_inv scope:SCOPE_DEV
	s_and_saveexec_b32 s33, s3
	s_cbranch_execz .LBB75_94
; %bb.85:                               ;   in Loop: Header=BB75_3 Depth=1
	ds_load_b128 v[18:21], v49 offset:16256
	ds_load_b128 v[200:203], v182 offset:12544
	s_wait_dscnt 0x0
	v_mul_f64_e32 v[4:5], v[20:21], v[202:203]
	v_mul_f64_e32 v[202:203], v[18:19], v[202:203]
	s_delay_alu instid0(VALU_DEP_2) | instskip(NEXT) | instid1(VALU_DEP_2)
	v_fma_f64 v[4:5], v[18:19], v[200:201], -v[4:5]
	v_fmac_f64_e32 v[202:203], v[20:21], v[200:201]
	s_delay_alu instid0(VALU_DEP_2) | instskip(NEXT) | instid1(VALU_DEP_2)
	v_add_f64_e32 v[18:19], 0, v[4:5]
	v_add_f64_e32 v[20:21], 0, v[202:203]
	s_and_saveexec_b32 s36, s11
	s_cbranch_execnz .LBB75_520
; %bb.86:                               ;   in Loop: Header=BB75_3 Depth=1
	s_or_b32 exec_lo, exec_lo, s36
	s_and_saveexec_b32 s36, s12
	s_cbranch_execnz .LBB75_521
.LBB75_87:                              ;   in Loop: Header=BB75_3 Depth=1
	s_or_b32 exec_lo, exec_lo, s36
	s_and_saveexec_b32 s36, s13
	s_cbranch_execnz .LBB75_522
.LBB75_88:                              ;   in Loop: Header=BB75_3 Depth=1
	s_or_b32 exec_lo, exec_lo, s36
	s_and_saveexec_b32 s36, s14
	s_cbranch_execnz .LBB75_523
.LBB75_89:                              ;   in Loop: Header=BB75_3 Depth=1
	s_or_b32 exec_lo, exec_lo, s36
	s_and_saveexec_b32 s36, s15
	s_cbranch_execnz .LBB75_524
.LBB75_90:                              ;   in Loop: Header=BB75_3 Depth=1
	s_or_b32 exec_lo, exec_lo, s36
	s_and_saveexec_b32 s36, s2
	s_cbranch_execnz .LBB75_525
.LBB75_91:                              ;   in Loop: Header=BB75_3 Depth=1
	s_or_b32 exec_lo, exec_lo, s36
	s_and_saveexec_b32 s36, s10
	s_cbranch_execz .LBB75_93
.LBB75_92:                              ;   in Loop: Header=BB75_3 Depth=1
	ds_load_b128 v[200:203], v3 offset:16368
	ds_load_b128 v[204:207], v27 offset:16128
	s_wait_dscnt 0x0
	v_mul_f64_e32 v[4:5], v[202:203], v[206:207]
	s_delay_alu instid0(VALU_DEP_1) | instskip(SKIP_1) | instid1(VALU_DEP_2)
	v_fma_f64 v[4:5], v[200:201], v[204:205], -v[4:5]
	v_mul_f64_e32 v[200:201], v[200:201], v[206:207]
	v_add_f64_e32 v[18:19], v[18:19], v[4:5]
	s_delay_alu instid0(VALU_DEP_2) | instskip(NEXT) | instid1(VALU_DEP_1)
	v_fmac_f64_e32 v[200:201], v[202:203], v[204:205]
	v_add_f64_e32 v[20:21], v[20:21], v[200:201]
.LBB75_93:                              ;   in Loop: Header=BB75_3 Depth=1
	s_or_b32 exec_lo, exec_lo, s36
.LBB75_94:                              ;   in Loop: Header=BB75_3 Depth=1
	s_delay_alu instid0(SALU_CYCLE_1)
	s_or_b32 exec_lo, exec_lo, s33
	s_and_saveexec_b32 s33, s74
	s_cbranch_execz .LBB75_96
; %bb.95:                               ;   in Loop: Header=BB75_3 Depth=1
	s_delay_alu instid0(VALU_DEP_2) | instskip(NEXT) | instid1(VALU_DEP_2)
	v_xor_b32_e32 v201, 0x80000000, v19
	v_xor_b32_e32 v203, 0x80000000, v21
	s_delay_alu instid0(VALU_DEP_3)
	v_dual_mov_b32 v200, v18 :: v_dual_mov_b32 v202, v20
	ds_store_b128 v186, v[200:203]
.LBB75_96:                              ;   in Loop: Header=BB75_3 Depth=1
	s_or_b32 exec_lo, exec_lo, s33
	s_wait_loadcnt_dscnt 0x0
	s_barrier_signal -1
	s_barrier_wait -1
	s_and_saveexec_b32 s33, s75
	s_cbranch_execz .LBB75_98
; %bb.97:                               ;   in Loop: Header=BB75_3 Depth=1
	ds_load_b128 v[200:203], v186
	ds_load_b128 v[204:207], v182 offset:12032
	s_wait_dscnt 0x0
	v_mul_f64_e32 v[4:5], v[202:203], v[206:207]
	s_delay_alu instid0(VALU_DEP_1) | instskip(SKIP_1) | instid1(VALU_DEP_2)
	v_fma_f64 v[4:5], v[200:201], v[204:205], -v[4:5]
	v_mul_f64_e32 v[200:201], v[200:201], v[206:207]
	v_add_f64_e64 v[18:19], v[18:19], -v[4:5]
	s_delay_alu instid0(VALU_DEP_2) | instskip(NEXT) | instid1(VALU_DEP_1)
	v_fmac_f64_e32 v[200:201], v[202:203], v[204:205]
	v_add_f64_e64 v[20:21], v[20:21], -v[200:201]
.LBB75_98:                              ;   in Loop: Header=BB75_3 Depth=1
	s_or_b32 exec_lo, exec_lo, s33
	s_barrier_signal -1
	s_barrier_wait -1
	s_and_saveexec_b32 s33, s76
	s_cbranch_execz .LBB75_100
; %bb.99:                               ;   in Loop: Header=BB75_3 Depth=1
	s_delay_alu instid0(VALU_DEP_2) | instskip(NEXT) | instid1(VALU_DEP_2)
	v_xor_b32_e32 v201, 0x80000000, v19
	v_xor_b32_e32 v203, 0x80000000, v21
	s_delay_alu instid0(VALU_DEP_3)
	v_dual_mov_b32 v200, v18 :: v_dual_mov_b32 v202, v20
	ds_store_b128 v186, v[200:203]
.LBB75_100:                             ;   in Loop: Header=BB75_3 Depth=1
	s_or_b32 exec_lo, exec_lo, s33
	s_wait_dscnt 0x0
	s_barrier_signal -1
	s_barrier_wait -1
	s_and_saveexec_b32 s33, s77
	s_cbranch_execz .LBB75_102
; %bb.101:                              ;   in Loop: Header=BB75_3 Depth=1
	ds_load_b128 v[200:203], v186
	ds_load_b128 v[204:207], v182 offset:11520
	s_wait_dscnt 0x0
	v_mul_f64_e32 v[4:5], v[202:203], v[206:207]
	s_delay_alu instid0(VALU_DEP_1) | instskip(SKIP_1) | instid1(VALU_DEP_2)
	v_fma_f64 v[4:5], v[200:201], v[204:205], -v[4:5]
	v_mul_f64_e32 v[200:201], v[200:201], v[206:207]
	v_add_f64_e64 v[18:19], v[18:19], -v[4:5]
	s_delay_alu instid0(VALU_DEP_2) | instskip(NEXT) | instid1(VALU_DEP_1)
	v_fmac_f64_e32 v[200:201], v[202:203], v[204:205]
	v_add_f64_e64 v[20:21], v[20:21], -v[200:201]
.LBB75_102:                             ;   in Loop: Header=BB75_3 Depth=1
	s_or_b32 exec_lo, exec_lo, s33
	s_barrier_signal -1
	s_barrier_wait -1
	s_and_saveexec_b32 s33, s78
	s_cbranch_execz .LBB75_104
; %bb.103:                              ;   in Loop: Header=BB75_3 Depth=1
	s_delay_alu instid0(VALU_DEP_2) | instskip(NEXT) | instid1(VALU_DEP_2)
	v_xor_b32_e32 v201, 0x80000000, v19
	v_xor_b32_e32 v203, 0x80000000, v21
	s_delay_alu instid0(VALU_DEP_3)
	v_dual_mov_b32 v200, v18 :: v_dual_mov_b32 v202, v20
	ds_store_b128 v186, v[200:203]
.LBB75_104:                             ;   in Loop: Header=BB75_3 Depth=1
	s_or_b32 exec_lo, exec_lo, s33
	s_wait_dscnt 0x0
	s_barrier_signal -1
	s_barrier_wait -1
	s_and_saveexec_b32 s33, s79
	s_cbranch_execz .LBB75_106
; %bb.105:                              ;   in Loop: Header=BB75_3 Depth=1
	ds_load_b128 v[200:203], v186
	ds_load_b128 v[204:207], v182 offset:11008
	s_wait_dscnt 0x0
	v_mul_f64_e32 v[4:5], v[202:203], v[206:207]
	s_delay_alu instid0(VALU_DEP_1) | instskip(SKIP_1) | instid1(VALU_DEP_2)
	v_fma_f64 v[4:5], v[200:201], v[204:205], -v[4:5]
	v_mul_f64_e32 v[200:201], v[200:201], v[206:207]
	v_add_f64_e64 v[18:19], v[18:19], -v[4:5]
	s_delay_alu instid0(VALU_DEP_2) | instskip(NEXT) | instid1(VALU_DEP_1)
	v_fmac_f64_e32 v[200:201], v[202:203], v[204:205]
	v_add_f64_e64 v[20:21], v[20:21], -v[200:201]
.LBB75_106:                             ;   in Loop: Header=BB75_3 Depth=1
	s_or_b32 exec_lo, exec_lo, s33
	s_barrier_signal -1
	s_barrier_wait -1
	s_and_saveexec_b32 s33, s80
	s_cbranch_execz .LBB75_108
; %bb.107:                              ;   in Loop: Header=BB75_3 Depth=1
	s_delay_alu instid0(VALU_DEP_2) | instskip(NEXT) | instid1(VALU_DEP_2)
	v_xor_b32_e32 v201, 0x80000000, v19
	v_xor_b32_e32 v203, 0x80000000, v21
	s_delay_alu instid0(VALU_DEP_3)
	v_dual_mov_b32 v200, v18 :: v_dual_mov_b32 v202, v20
	ds_store_b128 v186, v[200:203]
.LBB75_108:                             ;   in Loop: Header=BB75_3 Depth=1
	;; [unrolled: 32-line block ×6, first 2 shown]
	s_or_b32 exec_lo, exec_lo, s33
	s_wait_dscnt 0x0
	s_barrier_signal -1
	s_barrier_wait -1
	s_barrier_signal -1
	s_barrier_wait -1
	s_and_saveexec_b32 s33, s3
; %bb.125:                              ;   in Loop: Header=BB75_3 Depth=1
	ds_store_b128 v187, v[18:21] offset:16128
; %bb.126:                              ;   in Loop: Header=BB75_3 Depth=1
	s_or_b32 exec_lo, exec_lo, s33
	s_wait_dscnt 0x0
	s_barrier_signal -1
	s_barrier_wait -1
	s_barrier_signal -1
	s_barrier_wait -1
	s_and_saveexec_b32 s33, s88
	s_cbranch_execz .LBB75_128
; %bb.127:                              ;   in Loop: Header=BB75_3 Depth=1
	ds_load_b128 v[18:21], v50
	s_wait_dscnt 0x0
	ds_store_b128 v124, v[18:21]
	ds_load_b128 v[18:21], v51
	s_wait_dscnt 0x0
	ds_store_b128 v125, v[18:21]
	;; [unrolled: 3-line block ×8, first 2 shown]
.LBB75_128:                             ;   in Loop: Header=BB75_3 Depth=1
	s_or_b32 exec_lo, exec_lo, s33
	s_wait_dscnt 0x0
	s_barrier_signal -1
	s_barrier_wait -1
	s_and_saveexec_b32 s33, s27
	s_cbranch_execz .LBB75_130
; %bb.129:                              ;   in Loop: Header=BB75_3 Depth=1
	s_mov_b32 s36, s35
	s_mov_b32 s38, s35
	;; [unrolled: 1-line block ×3, first 2 shown]
	v_mov_b64_e32 v[18:19], s[36:37]
	v_mov_b64_e32 v[20:21], s[38:39]
	ds_store_b128 v3, v[18:21] offset:11616
	ds_store_b128 v3, v[18:21] offset:12144
	ds_load_b128 v[18:21], v3 offset:12128
	s_wait_dscnt 0x0
	ds_store_b128 v3, v[18:21] offset:11632
.LBB75_130:                             ;   in Loop: Header=BB75_3 Depth=1
	s_or_b32 exec_lo, exec_lo, s33
	v_mov_b64_e32 v[18:19], 0
	v_mov_b64_e32 v[20:21], 0
	s_wait_dscnt 0x0
	s_barrier_signal -1
	s_barrier_wait -1
	global_wb scope:SCOPE_DEV
	s_wait_storecnt 0x0
	global_inv scope:SCOPE_DEV
	s_and_saveexec_b32 s33, s0
	s_cbranch_execz .LBB75_134
; %bb.131:                              ;   in Loop: Header=BB75_3 Depth=1
	ds_load_b128 v[18:21], v44 offset:12128
	ds_load_b128 v[200:203], v178 offset:11584
	s_wait_dscnt 0x0
	v_mul_f64_e32 v[4:5], v[20:21], v[202:203]
	v_mul_f64_e32 v[202:203], v[18:19], v[202:203]
	s_delay_alu instid0(VALU_DEP_2) | instskip(NEXT) | instid1(VALU_DEP_2)
	v_fma_f64 v[4:5], v[18:19], v[200:201], -v[4:5]
	v_fmac_f64_e32 v[202:203], v[20:21], v[200:201]
	s_delay_alu instid0(VALU_DEP_2) | instskip(NEXT) | instid1(VALU_DEP_2)
	v_add_f64_e32 v[18:19], 0, v[4:5]
	v_add_f64_e32 v[20:21], 0, v[202:203]
	s_and_saveexec_b32 s36, s8
	s_cbranch_execz .LBB75_133
; %bb.132:                              ;   in Loop: Header=BB75_3 Depth=1
	ds_load_b128 v[200:203], v3 offset:12144
	ds_load_b128 v[204:207], v47 offset:12096
	s_wait_dscnt 0x0
	v_mul_f64_e32 v[4:5], v[202:203], v[206:207]
	s_delay_alu instid0(VALU_DEP_1) | instskip(SKIP_1) | instid1(VALU_DEP_2)
	v_fma_f64 v[4:5], v[200:201], v[204:205], -v[4:5]
	v_mul_f64_e32 v[200:201], v[200:201], v[206:207]
	v_add_f64_e32 v[18:19], v[18:19], v[4:5]
	s_delay_alu instid0(VALU_DEP_2) | instskip(NEXT) | instid1(VALU_DEP_1)
	v_fmac_f64_e32 v[200:201], v[202:203], v[204:205]
	v_add_f64_e32 v[20:21], v[20:21], v[200:201]
.LBB75_133:                             ;   in Loop: Header=BB75_3 Depth=1
	s_or_b32 exec_lo, exec_lo, s36
.LBB75_134:                             ;   in Loop: Header=BB75_3 Depth=1
	s_delay_alu instid0(SALU_CYCLE_1)
	s_or_b32 exec_lo, exec_lo, s33
	s_and_saveexec_b32 s33, s64
	s_cbranch_execz .LBB75_136
; %bb.135:                              ;   in Loop: Header=BB75_3 Depth=1
	s_delay_alu instid0(VALU_DEP_2) | instskip(NEXT) | instid1(VALU_DEP_2)
	v_xor_b32_e32 v201, 0x80000000, v19
	v_xor_b32_e32 v203, 0x80000000, v21
	s_delay_alu instid0(VALU_DEP_3)
	v_dual_mov_b32 v200, v18 :: v_dual_mov_b32 v202, v20
	ds_store_b128 v179, v[200:203]
.LBB75_136:                             ;   in Loop: Header=BB75_3 Depth=1
	s_or_b32 exec_lo, exec_lo, s33
	s_wait_loadcnt_dscnt 0x0
	s_barrier_signal -1
	s_barrier_wait -1
	s_and_saveexec_b32 s33, s65
	s_cbranch_execz .LBB75_138
; %bb.137:                              ;   in Loop: Header=BB75_3 Depth=1
	ds_load_b128 v[200:203], v179
	ds_load_b128 v[204:207], v3 offset:11072
	s_wait_dscnt 0x0
	v_mul_f64_e32 v[4:5], v[200:201], v[204:205]
	v_mul_f64_e32 v[200:201], v[200:201], v[206:207]
	s_delay_alu instid0(VALU_DEP_2) | instskip(NEXT) | instid1(VALU_DEP_2)
	v_fma_f64 v[4:5], v[202:203], v[206:207], -v[4:5]
	v_fmac_f64_e32 v[200:201], v[202:203], v[204:205]
	s_delay_alu instid0(VALU_DEP_2) | instskip(NEXT) | instid1(VALU_DEP_2)
	v_add_f64_e32 v[18:19], v[18:19], v[4:5]
	v_add_f64_e64 v[20:21], v[20:21], -v[200:201]
.LBB75_138:                             ;   in Loop: Header=BB75_3 Depth=1
	s_or_b32 exec_lo, exec_lo, s33
	s_barrier_signal -1
	s_barrier_wait -1
	s_and_saveexec_b32 s33, s65
	s_cbranch_execz .LBB75_140
; %bb.139:                              ;   in Loop: Header=BB75_3 Depth=1
	s_delay_alu instid0(VALU_DEP_2) | instskip(NEXT) | instid1(VALU_DEP_2)
	v_xor_b32_e32 v201, 0x80000000, v19
	v_xor_b32_e32 v203, 0x80000000, v21
	s_delay_alu instid0(VALU_DEP_3)
	v_dual_mov_b32 v200, v18 :: v_dual_mov_b32 v202, v20
	ds_store_b128 v179, v[200:203]
.LBB75_140:                             ;   in Loop: Header=BB75_3 Depth=1
	s_or_b32 exec_lo, exec_lo, s33
	s_wait_dscnt 0x0
	s_barrier_signal -1
	s_barrier_wait -1
	s_barrier_signal -1
	s_barrier_wait -1
	s_and_saveexec_b32 s33, s0
; %bb.141:                              ;   in Loop: Header=BB75_3 Depth=1
	ds_store_b128 v181, v[18:21] offset:12096
; %bb.142:                              ;   in Loop: Header=BB75_3 Depth=1
	s_or_b32 exec_lo, exec_lo, s33
	s_wait_dscnt 0x0
	s_barrier_signal -1
	s_barrier_wait -1
	s_barrier_signal -1
	s_barrier_wait -1
	s_and_saveexec_b32 s33, s66
	s_cbranch_execz .LBB75_144
; %bb.143:                              ;   in Loop: Header=BB75_3 Depth=1
	ds_load_b128 v[18:21], v89
	s_wait_dscnt 0x0
	ds_store_b128 v132, v[18:21]
	ds_load_b128 v[18:21], v90
	s_wait_dscnt 0x0
	ds_store_b128 v133, v[18:21]
.LBB75_144:                             ;   in Loop: Header=BB75_3 Depth=1
	s_or_b32 exec_lo, exec_lo, s33
	s_wait_dscnt 0x0
	s_barrier_signal -1
	s_barrier_wait -1
	s_and_saveexec_b32 s33, s27
	s_cbranch_execz .LBB75_146
; %bb.145:                              ;   in Loop: Header=BB75_3 Depth=1
	s_mov_b32 s36, s35
	s_mov_b32 s38, s35
	;; [unrolled: 1-line block ×3, first 2 shown]
	v_mov_b64_e32 v[18:19], s[36:37]
	v_mov_b64_e32 v[20:21], s[38:39]
	ds_store_b128 v3, v[18:21] offset:10560
	ds_store_b128 v3, v[18:21] offset:11088
	ds_load_b128 v[18:21], v3 offset:11072
	s_wait_dscnt 0x0
	ds_store_b128 v3, v[18:21] offset:10576
.LBB75_146:                             ;   in Loop: Header=BB75_3 Depth=1
	s_or_b32 exec_lo, exec_lo, s33
	v_mov_b64_e32 v[20:21], 0
	v_mov_b64_e32 v[18:19], 0
	s_wait_dscnt 0x0
	s_barrier_signal -1
	s_barrier_wait -1
	global_wb scope:SCOPE_DEV
	s_wait_storecnt 0x0
	global_inv scope:SCOPE_DEV
	s_and_saveexec_b32 s33, s2
	s_cbranch_execz .LBB75_152
; %bb.147:                              ;   in Loop: Header=BB75_3 Depth=1
	ds_load_b128 v[18:21], v48 offset:12096
	ds_load_b128 v[200:203], v180 offset:10496
	s_wait_dscnt 0x0
	v_mul_f64_e32 v[4:5], v[20:21], v[202:203]
	v_mul_f64_e32 v[202:203], v[18:19], v[202:203]
	s_delay_alu instid0(VALU_DEP_2) | instskip(NEXT) | instid1(VALU_DEP_2)
	v_fma_f64 v[4:5], v[18:19], v[200:201], -v[4:5]
	v_fmac_f64_e32 v[202:203], v[20:21], v[200:201]
	s_delay_alu instid0(VALU_DEP_2) | instskip(NEXT) | instid1(VALU_DEP_2)
	v_add_f64_e32 v[18:19], 0, v[4:5]
	v_add_f64_e32 v[20:21], 0, v[202:203]
	s_and_saveexec_b32 s36, s9
	s_cbranch_execnz .LBB75_526
; %bb.148:                              ;   in Loop: Header=BB75_3 Depth=1
	s_or_b32 exec_lo, exec_lo, s36
	s_and_saveexec_b32 s36, s10
	s_cbranch_execnz .LBB75_527
.LBB75_149:                             ;   in Loop: Header=BB75_3 Depth=1
	s_or_b32 exec_lo, exec_lo, s36
	s_and_saveexec_b32 s36, s0
	s_cbranch_execz .LBB75_151
.LBB75_150:                             ;   in Loop: Header=BB75_3 Depth=1
	ds_load_b128 v[200:203], v3 offset:12144
	ds_load_b128 v[204:207], v87 offset:12032
	s_wait_dscnt 0x0
	v_mul_f64_e32 v[4:5], v[202:203], v[206:207]
	s_delay_alu instid0(VALU_DEP_1) | instskip(SKIP_1) | instid1(VALU_DEP_2)
	v_fma_f64 v[4:5], v[200:201], v[204:205], -v[4:5]
	v_mul_f64_e32 v[200:201], v[200:201], v[206:207]
	v_add_f64_e32 v[18:19], v[18:19], v[4:5]
	s_delay_alu instid0(VALU_DEP_2) | instskip(NEXT) | instid1(VALU_DEP_1)
	v_fmac_f64_e32 v[200:201], v[202:203], v[204:205]
	v_add_f64_e32 v[20:21], v[20:21], v[200:201]
.LBB75_151:                             ;   in Loop: Header=BB75_3 Depth=1
	s_or_b32 exec_lo, exec_lo, s36
.LBB75_152:                             ;   in Loop: Header=BB75_3 Depth=1
	s_delay_alu instid0(SALU_CYCLE_1)
	s_or_b32 exec_lo, exec_lo, s33
	s_and_saveexec_b32 s33, s67
	s_cbranch_execz .LBB75_154
; %bb.153:                              ;   in Loop: Header=BB75_3 Depth=1
	s_delay_alu instid0(VALU_DEP_1) | instskip(NEXT) | instid1(VALU_DEP_3)
	v_xor_b32_e32 v203, 0x80000000, v21
	v_xor_b32_e32 v201, 0x80000000, v19
	s_delay_alu instid0(VALU_DEP_3)
	v_dual_mov_b32 v200, v18 :: v_dual_mov_b32 v202, v20
	ds_store_b128 v183, v[200:203]
.LBB75_154:                             ;   in Loop: Header=BB75_3 Depth=1
	s_or_b32 exec_lo, exec_lo, s33
	s_wait_loadcnt_dscnt 0x0
	s_barrier_signal -1
	s_barrier_wait -1
	s_and_saveexec_b32 s33, s68
	s_cbranch_execz .LBB75_156
; %bb.155:                              ;   in Loop: Header=BB75_3 Depth=1
	ds_load_b128 v[200:203], v183
	ds_load_b128 v[204:207], v180 offset:9984
	s_wait_dscnt 0x0
	v_mul_f64_e32 v[4:5], v[202:203], v[206:207]
	s_delay_alu instid0(VALU_DEP_1) | instskip(SKIP_1) | instid1(VALU_DEP_2)
	v_fma_f64 v[4:5], v[200:201], v[204:205], -v[4:5]
	v_mul_f64_e32 v[200:201], v[200:201], v[206:207]
	v_add_f64_e64 v[18:19], v[18:19], -v[4:5]
	s_delay_alu instid0(VALU_DEP_2) | instskip(NEXT) | instid1(VALU_DEP_1)
	v_fmac_f64_e32 v[200:201], v[202:203], v[204:205]
	v_add_f64_e64 v[20:21], v[20:21], -v[200:201]
.LBB75_156:                             ;   in Loop: Header=BB75_3 Depth=1
	s_or_b32 exec_lo, exec_lo, s33
	s_barrier_signal -1
	s_barrier_wait -1
	s_and_saveexec_b32 s33, s69
	s_cbranch_execz .LBB75_158
; %bb.157:                              ;   in Loop: Header=BB75_3 Depth=1
	s_delay_alu instid0(VALU_DEP_1) | instskip(NEXT) | instid1(VALU_DEP_3)
	v_xor_b32_e32 v203, 0x80000000, v21
	v_xor_b32_e32 v201, 0x80000000, v19
	s_delay_alu instid0(VALU_DEP_3)
	v_dual_mov_b32 v200, v18 :: v_dual_mov_b32 v202, v20
	ds_store_b128 v183, v[200:203]
.LBB75_158:                             ;   in Loop: Header=BB75_3 Depth=1
	s_or_b32 exec_lo, exec_lo, s33
	s_wait_dscnt 0x0
	s_barrier_signal -1
	s_barrier_wait -1
	s_and_saveexec_b32 s33, s70
	s_cbranch_execz .LBB75_160
; %bb.159:                              ;   in Loop: Header=BB75_3 Depth=1
	ds_load_b128 v[200:203], v183
	ds_load_b128 v[204:207], v180 offset:9472
	s_wait_dscnt 0x0
	v_mul_f64_e32 v[4:5], v[202:203], v[206:207]
	s_delay_alu instid0(VALU_DEP_1) | instskip(SKIP_1) | instid1(VALU_DEP_2)
	v_fma_f64 v[4:5], v[200:201], v[204:205], -v[4:5]
	v_mul_f64_e32 v[200:201], v[200:201], v[206:207]
	v_add_f64_e64 v[18:19], v[18:19], -v[4:5]
	s_delay_alu instid0(VALU_DEP_2) | instskip(NEXT) | instid1(VALU_DEP_1)
	v_fmac_f64_e32 v[200:201], v[202:203], v[204:205]
	v_add_f64_e64 v[20:21], v[20:21], -v[200:201]
.LBB75_160:                             ;   in Loop: Header=BB75_3 Depth=1
	s_or_b32 exec_lo, exec_lo, s33
	s_barrier_signal -1
	s_barrier_wait -1
	s_and_saveexec_b32 s33, s71
	s_cbranch_execz .LBB75_162
; %bb.161:                              ;   in Loop: Header=BB75_3 Depth=1
	s_delay_alu instid0(VALU_DEP_1) | instskip(NEXT) | instid1(VALU_DEP_3)
	v_xor_b32_e32 v203, 0x80000000, v21
	v_xor_b32_e32 v201, 0x80000000, v19
	s_delay_alu instid0(VALU_DEP_3)
	v_dual_mov_b32 v200, v18 :: v_dual_mov_b32 v202, v20
	ds_store_b128 v183, v[200:203]
.LBB75_162:                             ;   in Loop: Header=BB75_3 Depth=1
	s_or_b32 exec_lo, exec_lo, s33
	s_wait_dscnt 0x0
	;; [unrolled: 32-line block ×3, first 2 shown]
	s_barrier_signal -1
	s_barrier_wait -1
	s_barrier_signal -1
	s_barrier_wait -1
	s_and_saveexec_b32 s33, s2
; %bb.167:                              ;   in Loop: Header=BB75_3 Depth=1
	ds_store_b128 v185, v[18:21] offset:12032
; %bb.168:                              ;   in Loop: Header=BB75_3 Depth=1
	s_or_b32 exec_lo, exec_lo, s33
	s_wait_dscnt 0x0
	s_barrier_signal -1
	s_barrier_wait -1
	s_barrier_signal -1
	s_barrier_wait -1
	s_and_saveexec_b32 s33, s73
	s_cbranch_execz .LBB75_170
; %bb.169:                              ;   in Loop: Header=BB75_3 Depth=1
	ds_load_b128 v[18:21], v99
	s_wait_dscnt 0x0
	ds_store_b128 v134, v[18:21]
	ds_load_b128 v[18:21], v102
	s_wait_dscnt 0x0
	ds_store_b128 v137, v[18:21]
	;; [unrolled: 3-line block ×4, first 2 shown]
.LBB75_170:                             ;   in Loop: Header=BB75_3 Depth=1
	s_or_b32 exec_lo, exec_lo, s33
	s_wait_dscnt 0x0
	s_barrier_signal -1
	s_barrier_wait -1
	s_and_saveexec_b32 s33, s27
	s_cbranch_execz .LBB75_172
; %bb.171:                              ;   in Loop: Header=BB75_3 Depth=1
	s_mov_b32 s36, s35
	s_mov_b32 s38, s35
	s_mov_b32 s39, s35
	v_mov_b64_e32 v[18:19], s[36:37]
	v_mov_b64_e32 v[20:21], s[38:39]
	ds_store_b128 v3, v[18:21] offset:9504
	ds_store_b128 v3, v[18:21] offset:10032
	ds_load_b128 v[18:21], v3 offset:10016
	s_wait_dscnt 0x0
	ds_store_b128 v3, v[18:21] offset:9520
.LBB75_172:                             ;   in Loop: Header=BB75_3 Depth=1
	s_or_b32 exec_lo, exec_lo, s33
	v_mov_b64_e32 v[18:19], 0
	v_mov_b64_e32 v[20:21], 0
	s_wait_dscnt 0x0
	s_barrier_signal -1
	s_barrier_wait -1
	global_wb scope:SCOPE_DEV
	s_wait_storecnt 0x0
	global_inv scope:SCOPE_DEV
	s_and_saveexec_b32 s33, s0
	s_cbranch_execz .LBB75_176
; %bb.173:                              ;   in Loop: Header=BB75_3 Depth=1
	ds_load_b128 v[18:21], v44 offset:10016
	ds_load_b128 v[200:203], v178 offset:9472
	s_wait_dscnt 0x0
	v_mul_f64_e32 v[4:5], v[20:21], v[202:203]
	v_mul_f64_e32 v[202:203], v[18:19], v[202:203]
	s_delay_alu instid0(VALU_DEP_2) | instskip(NEXT) | instid1(VALU_DEP_2)
	v_fma_f64 v[4:5], v[18:19], v[200:201], -v[4:5]
	v_fmac_f64_e32 v[202:203], v[20:21], v[200:201]
	s_delay_alu instid0(VALU_DEP_2) | instskip(NEXT) | instid1(VALU_DEP_2)
	v_add_f64_e32 v[18:19], 0, v[4:5]
	v_add_f64_e32 v[20:21], 0, v[202:203]
	s_and_saveexec_b32 s36, s8
	s_cbranch_execz .LBB75_175
; %bb.174:                              ;   in Loop: Header=BB75_3 Depth=1
	ds_load_b128 v[200:203], v3 offset:10032
	ds_load_b128 v[204:207], v98 offset:9984
	s_wait_dscnt 0x0
	v_mul_f64_e32 v[4:5], v[202:203], v[206:207]
	s_delay_alu instid0(VALU_DEP_1) | instskip(SKIP_1) | instid1(VALU_DEP_2)
	v_fma_f64 v[4:5], v[200:201], v[204:205], -v[4:5]
	v_mul_f64_e32 v[200:201], v[200:201], v[206:207]
	v_add_f64_e32 v[18:19], v[18:19], v[4:5]
	s_delay_alu instid0(VALU_DEP_2) | instskip(NEXT) | instid1(VALU_DEP_1)
	v_fmac_f64_e32 v[200:201], v[202:203], v[204:205]
	v_add_f64_e32 v[20:21], v[20:21], v[200:201]
.LBB75_175:                             ;   in Loop: Header=BB75_3 Depth=1
	s_or_b32 exec_lo, exec_lo, s36
.LBB75_176:                             ;   in Loop: Header=BB75_3 Depth=1
	s_delay_alu instid0(SALU_CYCLE_1)
	s_or_b32 exec_lo, exec_lo, s33
	s_and_saveexec_b32 s33, s64
	s_cbranch_execz .LBB75_178
; %bb.177:                              ;   in Loop: Header=BB75_3 Depth=1
	s_delay_alu instid0(VALU_DEP_2) | instskip(NEXT) | instid1(VALU_DEP_2)
	v_xor_b32_e32 v201, 0x80000000, v19
	v_xor_b32_e32 v203, 0x80000000, v21
	s_delay_alu instid0(VALU_DEP_3)
	v_dual_mov_b32 v200, v18 :: v_dual_mov_b32 v202, v20
	ds_store_b128 v179, v[200:203]
.LBB75_178:                             ;   in Loop: Header=BB75_3 Depth=1
	s_or_b32 exec_lo, exec_lo, s33
	s_wait_loadcnt_dscnt 0x0
	s_barrier_signal -1
	s_barrier_wait -1
	s_and_saveexec_b32 s33, s65
	s_cbranch_execz .LBB75_180
; %bb.179:                              ;   in Loop: Header=BB75_3 Depth=1
	ds_load_b128 v[200:203], v179
	ds_load_b128 v[204:207], v3 offset:8960
	s_wait_dscnt 0x0
	v_mul_f64_e32 v[4:5], v[200:201], v[204:205]
	v_mul_f64_e32 v[200:201], v[200:201], v[206:207]
	s_delay_alu instid0(VALU_DEP_2) | instskip(NEXT) | instid1(VALU_DEP_2)
	v_fma_f64 v[4:5], v[202:203], v[206:207], -v[4:5]
	v_fmac_f64_e32 v[200:201], v[202:203], v[204:205]
	s_delay_alu instid0(VALU_DEP_2) | instskip(NEXT) | instid1(VALU_DEP_2)
	v_add_f64_e32 v[18:19], v[18:19], v[4:5]
	v_add_f64_e64 v[20:21], v[20:21], -v[200:201]
.LBB75_180:                             ;   in Loop: Header=BB75_3 Depth=1
	s_or_b32 exec_lo, exec_lo, s33
	s_barrier_signal -1
	s_barrier_wait -1
	s_and_saveexec_b32 s33, s65
	s_cbranch_execz .LBB75_182
; %bb.181:                              ;   in Loop: Header=BB75_3 Depth=1
	s_delay_alu instid0(VALU_DEP_2) | instskip(NEXT) | instid1(VALU_DEP_2)
	v_xor_b32_e32 v201, 0x80000000, v19
	v_xor_b32_e32 v203, 0x80000000, v21
	s_delay_alu instid0(VALU_DEP_3)
	v_dual_mov_b32 v200, v18 :: v_dual_mov_b32 v202, v20
	ds_store_b128 v179, v[200:203]
.LBB75_182:                             ;   in Loop: Header=BB75_3 Depth=1
	s_or_b32 exec_lo, exec_lo, s33
	s_wait_dscnt 0x0
	s_barrier_signal -1
	s_barrier_wait -1
	s_barrier_signal -1
	s_barrier_wait -1
	s_and_saveexec_b32 s33, s0
; %bb.183:                              ;   in Loop: Header=BB75_3 Depth=1
	ds_store_b128 v181, v[18:21] offset:9984
; %bb.184:                              ;   in Loop: Header=BB75_3 Depth=1
	s_or_b32 exec_lo, exec_lo, s33
	s_wait_dscnt 0x0
	s_barrier_signal -1
	s_barrier_wait -1
	s_barrier_signal -1
	s_barrier_wait -1
	s_and_saveexec_b32 s33, s66
	s_cbranch_execz .LBB75_186
; %bb.185:                              ;   in Loop: Header=BB75_3 Depth=1
	ds_load_b128 v[18:21], v108
	s_wait_dscnt 0x0
	ds_store_b128 v112, v[18:21]
	ds_load_b128 v[18:21], v109
	s_wait_dscnt 0x0
	ds_store_b128 v113, v[18:21]
.LBB75_186:                             ;   in Loop: Header=BB75_3 Depth=1
	s_or_b32 exec_lo, exec_lo, s33
	s_wait_dscnt 0x0
	s_barrier_signal -1
	s_barrier_wait -1
	s_and_saveexec_b32 s33, s27
	s_cbranch_execz .LBB75_188
; %bb.187:                              ;   in Loop: Header=BB75_3 Depth=1
	s_mov_b32 s36, s35
	s_mov_b32 s38, s35
	;; [unrolled: 1-line block ×3, first 2 shown]
	v_mov_b64_e32 v[18:19], s[36:37]
	v_mov_b64_e32 v[20:21], s[38:39]
	ds_store_b128 v3, v[18:21] offset:8448
	ds_store_b128 v3, v[18:21] offset:8976
	ds_load_b128 v[18:21], v3 offset:8960
	s_wait_dscnt 0x0
	ds_store_b128 v3, v[18:21] offset:8464
.LBB75_188:                             ;   in Loop: Header=BB75_3 Depth=1
	s_or_b32 exec_lo, exec_lo, s33
	v_mov_b64_e32 v[20:21], 0
	v_mov_b64_e32 v[18:19], 0
	s_wait_dscnt 0x0
	s_barrier_signal -1
	s_barrier_wait -1
	global_wb scope:SCOPE_DEV
	s_wait_storecnt 0x0
	global_inv scope:SCOPE_DEV
	s_and_saveexec_b32 s33, s4
	s_cbranch_execz .LBB75_216
; %bb.189:                              ;   in Loop: Header=BB75_3 Depth=1
	ds_load_b128 v[18:21], v58 offset:16128
	ds_load_b128 v[200:203], v184 offset:8192
	s_wait_dscnt 0x0
	v_mul_f64_e32 v[4:5], v[20:21], v[202:203]
	v_mul_f64_e32 v[202:203], v[18:19], v[202:203]
	s_delay_alu instid0(VALU_DEP_2) | instskip(NEXT) | instid1(VALU_DEP_2)
	v_fma_f64 v[4:5], v[18:19], v[200:201], -v[4:5]
	v_fmac_f64_e32 v[202:203], v[20:21], v[200:201]
	s_delay_alu instid0(VALU_DEP_2) | instskip(NEXT) | instid1(VALU_DEP_2)
	v_add_f64_e32 v[18:19], 0, v[4:5]
	v_add_f64_e32 v[20:21], 0, v[202:203]
	s_mov_b32 s36, exec_lo
	v_readlane_b32 s38, v208, 14
	s_and_b32 s38, s36, s38
	s_delay_alu instid0(SALU_CYCLE_1)
	s_mov_b32 exec_lo, s38
	s_cbranch_execz .LBB75_191
; %bb.190:                              ;   in Loop: Header=BB75_3 Depth=1
	ds_load_b128 v[200:203], v58 offset:16144
	ds_load_b128 v[204:207], v184 offset:8704
	s_wait_dscnt 0x0
	v_mul_f64_e32 v[4:5], v[202:203], v[206:207]
	s_delay_alu instid0(VALU_DEP_1) | instskip(SKIP_1) | instid1(VALU_DEP_2)
	v_fma_f64 v[4:5], v[200:201], v[204:205], -v[4:5]
	v_mul_f64_e32 v[200:201], v[200:201], v[206:207]
	v_add_f64_e32 v[18:19], v[18:19], v[4:5]
	s_delay_alu instid0(VALU_DEP_2) | instskip(NEXT) | instid1(VALU_DEP_1)
	v_fmac_f64_e32 v[200:201], v[202:203], v[204:205]
	v_add_f64_e32 v[20:21], v[20:21], v[200:201]
.LBB75_191:                             ;   in Loop: Header=BB75_3 Depth=1
	s_or_b32 exec_lo, exec_lo, s36
	s_delay_alu instid0(SALU_CYCLE_1) | instskip(SKIP_2) | instid1(SALU_CYCLE_1)
	s_mov_b32 s36, exec_lo
	v_readlane_b32 s38, v208, 15
	s_and_b32 s38, s36, s38
	s_mov_b32 exec_lo, s38
	s_cbranch_execz .LBB75_193
; %bb.192:                              ;   in Loop: Header=BB75_3 Depth=1
	ds_load_b128 v[200:203], v58 offset:16160
	ds_load_b128 v[204:207], v184 offset:9216
	s_wait_dscnt 0x0
	v_mul_f64_e32 v[4:5], v[202:203], v[206:207]
	s_delay_alu instid0(VALU_DEP_1) | instskip(SKIP_1) | instid1(VALU_DEP_2)
	v_fma_f64 v[4:5], v[200:201], v[204:205], -v[4:5]
	v_mul_f64_e32 v[200:201], v[200:201], v[206:207]
	v_add_f64_e32 v[18:19], v[18:19], v[4:5]
	s_delay_alu instid0(VALU_DEP_2) | instskip(NEXT) | instid1(VALU_DEP_1)
	v_fmac_f64_e32 v[200:201], v[202:203], v[204:205]
	v_add_f64_e32 v[20:21], v[20:21], v[200:201]
.LBB75_193:                             ;   in Loop: Header=BB75_3 Depth=1
	s_or_b32 exec_lo, exec_lo, s36
	s_delay_alu instid0(SALU_CYCLE_1) | instskip(SKIP_2) | instid1(SALU_CYCLE_1)
	s_mov_b32 s36, exec_lo
	v_readlane_b32 s38, v208, 16
	s_and_b32 s38, s36, s38
	;; [unrolled: 20-line block ×10, first 2 shown]
	s_mov_b32 exec_lo, s38
	s_cbranch_execnz .LBB75_528
; %bb.210:                              ;   in Loop: Header=BB75_3 Depth=1
	s_or_b32 exec_lo, exec_lo, s36
	s_and_saveexec_b32 s36, s3
	s_cbranch_execnz .LBB75_529
.LBB75_211:                             ;   in Loop: Header=BB75_3 Depth=1
	s_or_b32 exec_lo, exec_lo, s36
	s_and_saveexec_b32 s36, s12
	s_cbranch_execnz .LBB75_530
.LBB75_212:                             ;   in Loop: Header=BB75_3 Depth=1
	s_or_b32 exec_lo, exec_lo, s36
	s_and_saveexec_b32 s36, s14
	s_cbranch_execnz .LBB75_531
.LBB75_213:                             ;   in Loop: Header=BB75_3 Depth=1
	s_or_b32 exec_lo, exec_lo, s36
	s_and_saveexec_b32 s36, s2
	s_cbranch_execz .LBB75_215
.LBB75_214:                             ;   in Loop: Header=BB75_3 Depth=1
	ds_load_b128 v[200:203], v3 offset:16368
	ds_load_b128 v[204:207], v27 offset:15872
	s_wait_dscnt 0x0
	v_mul_f64_e32 v[4:5], v[202:203], v[206:207]
	s_delay_alu instid0(VALU_DEP_1) | instskip(SKIP_1) | instid1(VALU_DEP_2)
	v_fma_f64 v[4:5], v[200:201], v[204:205], -v[4:5]
	v_mul_f64_e32 v[200:201], v[200:201], v[206:207]
	v_add_f64_e32 v[18:19], v[18:19], v[4:5]
	s_delay_alu instid0(VALU_DEP_2) | instskip(NEXT) | instid1(VALU_DEP_1)
	v_fmac_f64_e32 v[200:201], v[202:203], v[204:205]
	v_add_f64_e32 v[20:21], v[20:21], v[200:201]
.LBB75_215:                             ;   in Loop: Header=BB75_3 Depth=1
	s_or_b32 exec_lo, exec_lo, s36
.LBB75_216:                             ;   in Loop: Header=BB75_3 Depth=1
	s_delay_alu instid0(SALU_CYCLE_1) | instskip(NEXT) | instid1(SALU_CYCLE_1)
	s_or_b32 exec_lo, exec_lo, s33
	s_mov_b32 s33, exec_lo
	v_readlane_b32 s36, v208, 0
	s_and_b32 s36, s33, s36
	s_delay_alu instid0(SALU_CYCLE_1)
	s_mov_b32 exec_lo, s36
	s_cbranch_execz .LBB75_218
; %bb.217:                              ;   in Loop: Header=BB75_3 Depth=1
	v_xor_b32_e32 v203, 0x80000000, v21
	v_xor_b32_e32 v201, 0x80000000, v19
	v_dual_mov_b32 v200, v18 :: v_dual_mov_b32 v202, v20
	ds_store_b128 v188, v[200:203]
.LBB75_218:                             ;   in Loop: Header=BB75_3 Depth=1
	s_or_b32 exec_lo, exec_lo, s33
	s_wait_loadcnt_dscnt 0x0
	s_barrier_signal -1
	s_barrier_wait -1
	s_mov_b32 s33, exec_lo
	v_readlane_b32 s36, v208, 1
	s_and_b32 s36, s33, s36
	s_delay_alu instid0(SALU_CYCLE_1)
	s_mov_b32 exec_lo, s36
	s_cbranch_execz .LBB75_220
; %bb.219:                              ;   in Loop: Header=BB75_3 Depth=1
	ds_load_b128 v[200:203], v188
	ds_load_b128 v[204:207], v184 offset:7680
	s_wait_dscnt 0x0
	v_mul_f64_e32 v[4:5], v[202:203], v[206:207]
	s_delay_alu instid0(VALU_DEP_1) | instskip(SKIP_1) | instid1(VALU_DEP_2)
	v_fma_f64 v[4:5], v[200:201], v[204:205], -v[4:5]
	v_mul_f64_e32 v[200:201], v[200:201], v[206:207]
	v_add_f64_e64 v[18:19], v[18:19], -v[4:5]
	s_delay_alu instid0(VALU_DEP_2) | instskip(NEXT) | instid1(VALU_DEP_1)
	v_fmac_f64_e32 v[200:201], v[202:203], v[204:205]
	v_add_f64_e64 v[20:21], v[20:21], -v[200:201]
.LBB75_220:                             ;   in Loop: Header=BB75_3 Depth=1
	s_or_b32 exec_lo, exec_lo, s33
	s_barrier_signal -1
	s_barrier_wait -1
	s_mov_b32 s33, exec_lo
	v_readlane_b32 s36, v208, 2
	s_and_b32 s36, s33, s36
	s_delay_alu instid0(SALU_CYCLE_1)
	s_mov_b32 exec_lo, s36
	s_cbranch_execz .LBB75_222
; %bb.221:                              ;   in Loop: Header=BB75_3 Depth=1
	v_xor_b32_e32 v203, 0x80000000, v21
	v_xor_b32_e32 v201, 0x80000000, v19
	v_dual_mov_b32 v200, v18 :: v_dual_mov_b32 v202, v20
	ds_store_b128 v188, v[200:203]
.LBB75_222:                             ;   in Loop: Header=BB75_3 Depth=1
	s_or_b32 exec_lo, exec_lo, s33
	s_wait_dscnt 0x0
	s_barrier_signal -1
	s_barrier_wait -1
	s_mov_b32 s33, exec_lo
	v_readlane_b32 s36, v208, 3
	s_and_b32 s36, s33, s36
	s_delay_alu instid0(SALU_CYCLE_1)
	s_mov_b32 exec_lo, s36
	s_cbranch_execz .LBB75_224
; %bb.223:                              ;   in Loop: Header=BB75_3 Depth=1
	ds_load_b128 v[200:203], v188
	ds_load_b128 v[204:207], v184 offset:7168
	s_wait_dscnt 0x0
	v_mul_f64_e32 v[4:5], v[202:203], v[206:207]
	s_delay_alu instid0(VALU_DEP_1) | instskip(SKIP_1) | instid1(VALU_DEP_2)
	v_fma_f64 v[4:5], v[200:201], v[204:205], -v[4:5]
	v_mul_f64_e32 v[200:201], v[200:201], v[206:207]
	v_add_f64_e64 v[18:19], v[18:19], -v[4:5]
	s_delay_alu instid0(VALU_DEP_2) | instskip(NEXT) | instid1(VALU_DEP_1)
	v_fmac_f64_e32 v[200:201], v[202:203], v[204:205]
	v_add_f64_e64 v[20:21], v[20:21], -v[200:201]
.LBB75_224:                             ;   in Loop: Header=BB75_3 Depth=1
	s_or_b32 exec_lo, exec_lo, s33
	s_barrier_signal -1
	s_barrier_wait -1
	s_mov_b32 s33, exec_lo
	v_readlane_b32 s36, v208, 4
	s_and_b32 s36, s33, s36
	s_delay_alu instid0(SALU_CYCLE_1)
	s_mov_b32 exec_lo, s36
	s_cbranch_execz .LBB75_226
; %bb.225:                              ;   in Loop: Header=BB75_3 Depth=1
	v_xor_b32_e32 v203, 0x80000000, v21
	v_xor_b32_e32 v201, 0x80000000, v19
	v_dual_mov_b32 v200, v18 :: v_dual_mov_b32 v202, v20
	ds_store_b128 v188, v[200:203]
.LBB75_226:                             ;   in Loop: Header=BB75_3 Depth=1
	s_or_b32 exec_lo, exec_lo, s33
	s_wait_dscnt 0x0
	;; [unrolled: 38-line block ×6, first 2 shown]
	s_barrier_signal -1
	s_barrier_wait -1
	s_and_saveexec_b32 s33, s102
	s_cbranch_execz .LBB75_244
; %bb.243:                              ;   in Loop: Header=BB75_3 Depth=1
	ds_load_b128 v[200:203], v188
	ds_load_b128 v[204:207], v184 offset:4608
	s_wait_dscnt 0x0
	v_mul_f64_e32 v[4:5], v[202:203], v[206:207]
	s_delay_alu instid0(VALU_DEP_1) | instskip(SKIP_1) | instid1(VALU_DEP_2)
	v_fma_f64 v[4:5], v[200:201], v[204:205], -v[4:5]
	v_mul_f64_e32 v[200:201], v[200:201], v[206:207]
	v_add_f64_e64 v[18:19], v[18:19], -v[4:5]
	s_delay_alu instid0(VALU_DEP_2) | instskip(NEXT) | instid1(VALU_DEP_1)
	v_fmac_f64_e32 v[200:201], v[202:203], v[204:205]
	v_add_f64_e64 v[20:21], v[20:21], -v[200:201]
.LBB75_244:                             ;   in Loop: Header=BB75_3 Depth=1
	s_or_b32 exec_lo, exec_lo, s33
	s_barrier_signal -1
	s_barrier_wait -1
	s_and_saveexec_b32 s33, s103
	s_cbranch_execz .LBB75_246
; %bb.245:                              ;   in Loop: Header=BB75_3 Depth=1
	s_delay_alu instid0(VALU_DEP_1) | instskip(NEXT) | instid1(VALU_DEP_4)
	v_xor_b32_e32 v203, 0x80000000, v21
	v_xor_b32_e32 v201, 0x80000000, v19
	s_delay_alu instid0(VALU_DEP_3)
	v_dual_mov_b32 v200, v18 :: v_dual_mov_b32 v202, v20
	ds_store_b128 v188, v[200:203]
.LBB75_246:                             ;   in Loop: Header=BB75_3 Depth=1
	s_or_b32 exec_lo, exec_lo, s33
	s_wait_dscnt 0x0
	s_barrier_signal -1
	s_barrier_wait -1
	s_and_saveexec_b32 s33, s104
	s_cbranch_execz .LBB75_248
; %bb.247:                              ;   in Loop: Header=BB75_3 Depth=1
	ds_load_b128 v[200:203], v188
	ds_load_b128 v[204:207], v184 offset:4096
	s_wait_dscnt 0x0
	v_mul_f64_e32 v[4:5], v[202:203], v[206:207]
	s_delay_alu instid0(VALU_DEP_1) | instskip(SKIP_1) | instid1(VALU_DEP_2)
	v_fma_f64 v[4:5], v[200:201], v[204:205], -v[4:5]
	v_mul_f64_e32 v[200:201], v[200:201], v[206:207]
	v_add_f64_e64 v[18:19], v[18:19], -v[4:5]
	s_delay_alu instid0(VALU_DEP_2) | instskip(NEXT) | instid1(VALU_DEP_1)
	v_fmac_f64_e32 v[200:201], v[202:203], v[204:205]
	v_add_f64_e64 v[20:21], v[20:21], -v[200:201]
.LBB75_248:                             ;   in Loop: Header=BB75_3 Depth=1
	s_or_b32 exec_lo, exec_lo, s33
	s_barrier_signal -1
	s_barrier_wait -1
	s_and_saveexec_b32 s33, vcc_hi
	s_cbranch_execz .LBB75_250
; %bb.249:                              ;   in Loop: Header=BB75_3 Depth=1
	s_delay_alu instid0(VALU_DEP_1) | instskip(NEXT) | instid1(VALU_DEP_4)
	v_xor_b32_e32 v203, 0x80000000, v21
	v_xor_b32_e32 v201, 0x80000000, v19
	s_delay_alu instid0(VALU_DEP_3)
	v_dual_mov_b32 v200, v18 :: v_dual_mov_b32 v202, v20
	ds_store_b128 v188, v[200:203]
.LBB75_250:                             ;   in Loop: Header=BB75_3 Depth=1
	s_or_b32 exec_lo, exec_lo, s33
	s_wait_dscnt 0x0
	s_barrier_signal -1
	s_barrier_wait -1
	s_and_saveexec_b32 s33, s18
	s_cbranch_execz .LBB75_252
; %bb.251:                              ;   in Loop: Header=BB75_3 Depth=1
	ds_load_b128 v[200:203], v188
	ds_load_b128 v[204:207], v184 offset:3584
	s_wait_dscnt 0x0
	v_mul_f64_e32 v[4:5], v[202:203], v[206:207]
	s_delay_alu instid0(VALU_DEP_1) | instskip(SKIP_1) | instid1(VALU_DEP_2)
	v_fma_f64 v[4:5], v[200:201], v[204:205], -v[4:5]
	v_mul_f64_e32 v[200:201], v[200:201], v[206:207]
	v_add_f64_e64 v[18:19], v[18:19], -v[4:5]
	s_delay_alu instid0(VALU_DEP_2) | instskip(NEXT) | instid1(VALU_DEP_1)
	v_fmac_f64_e32 v[200:201], v[202:203], v[204:205]
	v_add_f64_e64 v[20:21], v[20:21], -v[200:201]
.LBB75_252:                             ;   in Loop: Header=BB75_3 Depth=1
	s_or_b32 exec_lo, exec_lo, s33
	s_barrier_signal -1
	s_barrier_wait -1
	s_and_saveexec_b32 s33, s19
	s_cbranch_execz .LBB75_254
; %bb.253:                              ;   in Loop: Header=BB75_3 Depth=1
	s_delay_alu instid0(VALU_DEP_1) | instskip(NEXT) | instid1(VALU_DEP_4)
	v_xor_b32_e32 v203, 0x80000000, v21
	v_xor_b32_e32 v201, 0x80000000, v19
	s_delay_alu instid0(VALU_DEP_3)
	v_dual_mov_b32 v200, v18 :: v_dual_mov_b32 v202, v20
	ds_store_b128 v188, v[200:203]
.LBB75_254:                             ;   in Loop: Header=BB75_3 Depth=1
	s_or_b32 exec_lo, exec_lo, s33
	s_wait_dscnt 0x0
	s_barrier_signal -1
	s_barrier_wait -1
	s_and_saveexec_b32 s33, s20
	s_cbranch_execz .LBB75_256
; %bb.255:                              ;   in Loop: Header=BB75_3 Depth=1
	ds_load_b128 v[200:203], v188
	ds_load_b128 v[204:207], v184 offset:3072
	s_wait_dscnt 0x0
	v_mul_f64_e32 v[4:5], v[202:203], v[206:207]
	s_delay_alu instid0(VALU_DEP_1) | instskip(SKIP_1) | instid1(VALU_DEP_2)
	v_fma_f64 v[4:5], v[200:201], v[204:205], -v[4:5]
	v_mul_f64_e32 v[200:201], v[200:201], v[206:207]
	v_add_f64_e64 v[18:19], v[18:19], -v[4:5]
	s_delay_alu instid0(VALU_DEP_2) | instskip(NEXT) | instid1(VALU_DEP_1)
	v_fmac_f64_e32 v[200:201], v[202:203], v[204:205]
	v_add_f64_e64 v[20:21], v[20:21], -v[200:201]
.LBB75_256:                             ;   in Loop: Header=BB75_3 Depth=1
	s_or_b32 exec_lo, exec_lo, s33
	s_barrier_signal -1
	s_barrier_wait -1
	s_and_saveexec_b32 s33, s21
	s_cbranch_execz .LBB75_258
; %bb.257:                              ;   in Loop: Header=BB75_3 Depth=1
	s_delay_alu instid0(VALU_DEP_1) | instskip(NEXT) | instid1(VALU_DEP_4)
	v_xor_b32_e32 v203, 0x80000000, v21
	v_xor_b32_e32 v201, 0x80000000, v19
	s_delay_alu instid0(VALU_DEP_3)
	v_dual_mov_b32 v200, v18 :: v_dual_mov_b32 v202, v20
	ds_store_b128 v188, v[200:203]
.LBB75_258:                             ;   in Loop: Header=BB75_3 Depth=1
	s_or_b32 exec_lo, exec_lo, s33
	s_wait_dscnt 0x0
	s_barrier_signal -1
	s_barrier_wait -1
	s_and_saveexec_b32 s33, s22
	s_cbranch_execz .LBB75_260
; %bb.259:                              ;   in Loop: Header=BB75_3 Depth=1
	ds_load_b128 v[200:203], v188
	ds_load_b128 v[204:207], v184 offset:2560
	s_wait_dscnt 0x0
	v_mul_f64_e32 v[4:5], v[202:203], v[206:207]
	s_delay_alu instid0(VALU_DEP_1) | instskip(SKIP_1) | instid1(VALU_DEP_2)
	v_fma_f64 v[4:5], v[200:201], v[204:205], -v[4:5]
	v_mul_f64_e32 v[200:201], v[200:201], v[206:207]
	v_add_f64_e64 v[18:19], v[18:19], -v[4:5]
	s_delay_alu instid0(VALU_DEP_2) | instskip(NEXT) | instid1(VALU_DEP_1)
	v_fmac_f64_e32 v[200:201], v[202:203], v[204:205]
	v_add_f64_e64 v[20:21], v[20:21], -v[200:201]
.LBB75_260:                             ;   in Loop: Header=BB75_3 Depth=1
	s_or_b32 exec_lo, exec_lo, s33
	s_barrier_signal -1
	s_barrier_wait -1
	s_and_saveexec_b32 s33, s23
	s_cbranch_execz .LBB75_262
; %bb.261:                              ;   in Loop: Header=BB75_3 Depth=1
	s_delay_alu instid0(VALU_DEP_1) | instskip(NEXT) | instid1(VALU_DEP_4)
	v_xor_b32_e32 v203, 0x80000000, v21
	v_xor_b32_e32 v201, 0x80000000, v19
	s_delay_alu instid0(VALU_DEP_3)
	v_dual_mov_b32 v200, v18 :: v_dual_mov_b32 v202, v20
	ds_store_b128 v188, v[200:203]
.LBB75_262:                             ;   in Loop: Header=BB75_3 Depth=1
	s_or_b32 exec_lo, exec_lo, s33
	s_wait_dscnt 0x0
	s_barrier_signal -1
	s_barrier_wait -1
	s_and_saveexec_b32 s33, s24
	s_cbranch_execz .LBB75_264
; %bb.263:                              ;   in Loop: Header=BB75_3 Depth=1
	ds_load_b128 v[200:203], v188
	ds_load_b128 v[204:207], v184 offset:2048
	s_wait_dscnt 0x0
	v_mul_f64_e32 v[4:5], v[202:203], v[206:207]
	s_delay_alu instid0(VALU_DEP_1) | instskip(SKIP_1) | instid1(VALU_DEP_2)
	v_fma_f64 v[4:5], v[200:201], v[204:205], -v[4:5]
	v_mul_f64_e32 v[200:201], v[200:201], v[206:207]
	v_add_f64_e64 v[18:19], v[18:19], -v[4:5]
	s_delay_alu instid0(VALU_DEP_2) | instskip(NEXT) | instid1(VALU_DEP_1)
	v_fmac_f64_e32 v[200:201], v[202:203], v[204:205]
	v_add_f64_e64 v[20:21], v[20:21], -v[200:201]
.LBB75_264:                             ;   in Loop: Header=BB75_3 Depth=1
	s_or_b32 exec_lo, exec_lo, s33
	s_barrier_signal -1
	s_barrier_wait -1
	s_and_saveexec_b32 s33, s25
	s_cbranch_execz .LBB75_266
; %bb.265:                              ;   in Loop: Header=BB75_3 Depth=1
	s_delay_alu instid0(VALU_DEP_1) | instskip(NEXT) | instid1(VALU_DEP_4)
	v_xor_b32_e32 v203, 0x80000000, v21
	v_xor_b32_e32 v201, 0x80000000, v19
	s_delay_alu instid0(VALU_DEP_3)
	v_dual_mov_b32 v200, v18 :: v_dual_mov_b32 v202, v20
	ds_store_b128 v188, v[200:203]
.LBB75_266:                             ;   in Loop: Header=BB75_3 Depth=1
	s_or_b32 exec_lo, exec_lo, s33
	s_wait_dscnt 0x0
	s_barrier_signal -1
	s_barrier_wait -1
	s_and_saveexec_b32 s33, s26
	s_cbranch_execz .LBB75_268
; %bb.267:                              ;   in Loop: Header=BB75_3 Depth=1
	ds_load_b128 v[200:203], v188
	ds_load_b128 v[204:207], v184 offset:1536
	s_wait_dscnt 0x0
	v_mul_f64_e32 v[4:5], v[202:203], v[206:207]
	s_delay_alu instid0(VALU_DEP_1) | instskip(SKIP_1) | instid1(VALU_DEP_2)
	v_fma_f64 v[4:5], v[200:201], v[204:205], -v[4:5]
	v_mul_f64_e32 v[200:201], v[200:201], v[206:207]
	v_add_f64_e64 v[18:19], v[18:19], -v[4:5]
	s_delay_alu instid0(VALU_DEP_2) | instskip(NEXT) | instid1(VALU_DEP_1)
	v_fmac_f64_e32 v[200:201], v[202:203], v[204:205]
	v_add_f64_e64 v[20:21], v[20:21], -v[200:201]
.LBB75_268:                             ;   in Loop: Header=BB75_3 Depth=1
	s_or_b32 exec_lo, exec_lo, s33
	s_barrier_signal -1
	s_barrier_wait -1
	s_and_saveexec_b32 s33, s89
	s_cbranch_execz .LBB75_270
; %bb.269:                              ;   in Loop: Header=BB75_3 Depth=1
	s_delay_alu instid0(VALU_DEP_1) | instskip(NEXT) | instid1(VALU_DEP_4)
	v_xor_b32_e32 v203, 0x80000000, v21
	v_xor_b32_e32 v201, 0x80000000, v19
	s_delay_alu instid0(VALU_DEP_3)
	v_dual_mov_b32 v200, v18 :: v_dual_mov_b32 v202, v20
	ds_store_b128 v188, v[200:203]
.LBB75_270:                             ;   in Loop: Header=BB75_3 Depth=1
	s_or_b32 exec_lo, exec_lo, s33
	s_wait_dscnt 0x0
	s_barrier_signal -1
	s_barrier_wait -1
	s_and_saveexec_b32 s33, s90
	s_cbranch_execz .LBB75_272
; %bb.271:                              ;   in Loop: Header=BB75_3 Depth=1
	ds_load_b128 v[200:203], v188
	ds_load_b128 v[204:207], v184 offset:1024
	s_wait_dscnt 0x0
	v_mul_f64_e32 v[4:5], v[202:203], v[206:207]
	s_delay_alu instid0(VALU_DEP_1) | instskip(SKIP_1) | instid1(VALU_DEP_2)
	v_fma_f64 v[4:5], v[200:201], v[204:205], -v[4:5]
	v_mul_f64_e32 v[200:201], v[200:201], v[206:207]
	v_add_f64_e64 v[18:19], v[18:19], -v[4:5]
	s_delay_alu instid0(VALU_DEP_2) | instskip(NEXT) | instid1(VALU_DEP_1)
	v_fmac_f64_e32 v[200:201], v[202:203], v[204:205]
	v_add_f64_e64 v[20:21], v[20:21], -v[200:201]
.LBB75_272:                             ;   in Loop: Header=BB75_3 Depth=1
	s_or_b32 exec_lo, exec_lo, s33
	s_barrier_signal -1
	s_barrier_wait -1
	s_and_saveexec_b32 s33, s91
	s_cbranch_execz .LBB75_274
; %bb.273:                              ;   in Loop: Header=BB75_3 Depth=1
	s_delay_alu instid0(VALU_DEP_1) | instskip(NEXT) | instid1(VALU_DEP_4)
	v_xor_b32_e32 v203, 0x80000000, v21
	v_xor_b32_e32 v201, 0x80000000, v19
	s_delay_alu instid0(VALU_DEP_3)
	v_dual_mov_b32 v200, v18 :: v_dual_mov_b32 v202, v20
	ds_store_b128 v188, v[200:203]
.LBB75_274:                             ;   in Loop: Header=BB75_3 Depth=1
	s_or_b32 exec_lo, exec_lo, s33
	s_wait_dscnt 0x0
	s_barrier_signal -1
	s_barrier_wait -1
	s_and_saveexec_b32 s33, s93
	s_cbranch_execz .LBB75_276
; %bb.275:                              ;   in Loop: Header=BB75_3 Depth=1
	ds_load_b128 v[200:203], v188
	ds_load_b128 v[204:207], v3 offset:512
	s_wait_dscnt 0x0
	v_mul_f64_e32 v[4:5], v[202:203], v[206:207]
	s_delay_alu instid0(VALU_DEP_1) | instskip(SKIP_1) | instid1(VALU_DEP_2)
	v_fma_f64 v[4:5], v[200:201], v[204:205], -v[4:5]
	v_mul_f64_e32 v[200:201], v[200:201], v[206:207]
	v_add_f64_e64 v[18:19], v[18:19], -v[4:5]
	s_delay_alu instid0(VALU_DEP_2) | instskip(NEXT) | instid1(VALU_DEP_1)
	v_fmac_f64_e32 v[200:201], v[202:203], v[204:205]
	v_add_f64_e64 v[20:21], v[20:21], -v[200:201]
.LBB75_276:                             ;   in Loop: Header=BB75_3 Depth=1
	s_or_b32 exec_lo, exec_lo, s33
	s_barrier_signal -1
	s_barrier_wait -1
	s_and_saveexec_b32 s33, s93
	s_cbranch_execz .LBB75_278
; %bb.277:                              ;   in Loop: Header=BB75_3 Depth=1
	s_delay_alu instid0(VALU_DEP_1) | instskip(NEXT) | instid1(VALU_DEP_4)
	v_xor_b32_e32 v203, 0x80000000, v21
	v_xor_b32_e32 v201, 0x80000000, v19
	s_delay_alu instid0(VALU_DEP_3)
	v_dual_mov_b32 v200, v18 :: v_dual_mov_b32 v202, v20
	ds_store_b128 v188, v[200:203]
.LBB75_278:                             ;   in Loop: Header=BB75_3 Depth=1
	s_or_b32 exec_lo, exec_lo, s33
	s_wait_dscnt 0x0
	s_barrier_signal -1
	s_barrier_wait -1
	s_barrier_signal -1
	s_barrier_wait -1
	s_and_saveexec_b32 s33, s4
; %bb.279:                              ;   in Loop: Header=BB75_3 Depth=1
	ds_store_b128 v189, v[18:21] offset:15872
; %bb.280:                              ;   in Loop: Header=BB75_3 Depth=1
	s_or_b32 exec_lo, exec_lo, s33
	s_wait_dscnt 0x0
	s_barrier_signal -1
	s_barrier_wait -1
	s_barrier_signal -1
	s_barrier_wait -1
	s_and_saveexec_b32 s33, s94
	s_cbranch_execz .LBB75_282
; %bb.281:                              ;   in Loop: Header=BB75_3 Depth=1
	ds_load_b128 v[18:21], v59
	s_wait_dscnt 0x0
	ds_store_b128 v138, v[18:21]
	ds_load_b128 v[18:21], v60
	s_wait_dscnt 0x0
	ds_store_b128 v139, v[18:21]
	;; [unrolled: 3-line block ×16, first 2 shown]
.LBB75_282:                             ;   in Loop: Header=BB75_3 Depth=1
	s_or_b32 exec_lo, exec_lo, s33
	s_wait_dscnt 0x0
	s_barrier_signal -1
	s_barrier_wait -1
	s_and_saveexec_b32 s33, s27
	s_cbranch_execz .LBB75_284
; %bb.283:                              ;   in Loop: Header=BB75_3 Depth=1
	s_mov_b32 s36, s35
	s_mov_b32 s38, s35
	;; [unrolled: 1-line block ×3, first 2 shown]
	v_mov_b64_e32 v[18:19], s[36:37]
	v_mov_b64_e32 v[20:21], s[38:39]
	ds_store_b128 v3, v[18:21] offset:7392
	ds_store_b128 v3, v[18:21] offset:7920
	ds_load_b128 v[18:21], v3 offset:7904
	s_wait_dscnt 0x0
	ds_store_b128 v3, v[18:21] offset:7408
.LBB75_284:                             ;   in Loop: Header=BB75_3 Depth=1
	s_or_b32 exec_lo, exec_lo, s33
	v_mov_b64_e32 v[18:19], 0
	v_mov_b64_e32 v[20:21], 0
	s_wait_dscnt 0x0
	s_barrier_signal -1
	s_barrier_wait -1
	global_wb scope:SCOPE_DEV
	s_wait_storecnt 0x0
	global_inv scope:SCOPE_DEV
	s_and_saveexec_b32 s33, s0
	s_cbranch_execz .LBB75_288
; %bb.285:                              ;   in Loop: Header=BB75_3 Depth=1
	ds_load_b128 v[18:21], v44 offset:7904
	ds_load_b128 v[200:203], v178 offset:7360
	s_wait_dscnt 0x0
	v_mul_f64_e32 v[4:5], v[20:21], v[202:203]
	v_mul_f64_e32 v[202:203], v[18:19], v[202:203]
	s_delay_alu instid0(VALU_DEP_2) | instskip(NEXT) | instid1(VALU_DEP_2)
	v_fma_f64 v[4:5], v[18:19], v[200:201], -v[4:5]
	v_fmac_f64_e32 v[202:203], v[20:21], v[200:201]
	s_delay_alu instid0(VALU_DEP_2) | instskip(NEXT) | instid1(VALU_DEP_2)
	v_add_f64_e32 v[18:19], 0, v[4:5]
	v_add_f64_e32 v[20:21], 0, v[202:203]
	s_and_saveexec_b32 s36, s8
	s_cbranch_execz .LBB75_287
; %bb.286:                              ;   in Loop: Header=BB75_3 Depth=1
	ds_load_b128 v[200:203], v3 offset:7920
	ds_load_b128 v[204:207], v27 offset:7872
	s_wait_dscnt 0x0
	v_mul_f64_e32 v[4:5], v[202:203], v[206:207]
	s_delay_alu instid0(VALU_DEP_1) | instskip(SKIP_1) | instid1(VALU_DEP_2)
	v_fma_f64 v[4:5], v[200:201], v[204:205], -v[4:5]
	v_mul_f64_e32 v[200:201], v[200:201], v[206:207]
	v_add_f64_e32 v[18:19], v[18:19], v[4:5]
	s_delay_alu instid0(VALU_DEP_2) | instskip(NEXT) | instid1(VALU_DEP_1)
	v_fmac_f64_e32 v[200:201], v[202:203], v[204:205]
	v_add_f64_e32 v[20:21], v[20:21], v[200:201]
.LBB75_287:                             ;   in Loop: Header=BB75_3 Depth=1
	s_or_b32 exec_lo, exec_lo, s36
.LBB75_288:                             ;   in Loop: Header=BB75_3 Depth=1
	s_delay_alu instid0(SALU_CYCLE_1)
	s_or_b32 exec_lo, exec_lo, s33
	s_and_saveexec_b32 s33, s64
	s_cbranch_execz .LBB75_290
; %bb.289:                              ;   in Loop: Header=BB75_3 Depth=1
	s_delay_alu instid0(VALU_DEP_2) | instskip(NEXT) | instid1(VALU_DEP_2)
	v_xor_b32_e32 v201, 0x80000000, v19
	v_xor_b32_e32 v203, 0x80000000, v21
	s_delay_alu instid0(VALU_DEP_3)
	v_dual_mov_b32 v200, v18 :: v_dual_mov_b32 v202, v20
	ds_store_b128 v179, v[200:203]
.LBB75_290:                             ;   in Loop: Header=BB75_3 Depth=1
	s_or_b32 exec_lo, exec_lo, s33
	s_wait_loadcnt_dscnt 0x0
	s_barrier_signal -1
	s_barrier_wait -1
	s_and_saveexec_b32 s33, s65
	s_cbranch_execz .LBB75_292
; %bb.291:                              ;   in Loop: Header=BB75_3 Depth=1
	ds_load_b128 v[200:203], v179
	ds_load_b128 v[204:207], v3 offset:6848
	s_wait_dscnt 0x0
	v_mul_f64_e32 v[4:5], v[200:201], v[204:205]
	v_mul_f64_e32 v[200:201], v[200:201], v[206:207]
	s_delay_alu instid0(VALU_DEP_2) | instskip(NEXT) | instid1(VALU_DEP_2)
	v_fma_f64 v[4:5], v[202:203], v[206:207], -v[4:5]
	v_fmac_f64_e32 v[200:201], v[202:203], v[204:205]
	s_delay_alu instid0(VALU_DEP_2) | instskip(NEXT) | instid1(VALU_DEP_2)
	v_add_f64_e32 v[18:19], v[18:19], v[4:5]
	v_add_f64_e64 v[20:21], v[20:21], -v[200:201]
.LBB75_292:                             ;   in Loop: Header=BB75_3 Depth=1
	s_or_b32 exec_lo, exec_lo, s33
	s_barrier_signal -1
	s_barrier_wait -1
	s_and_saveexec_b32 s33, s65
	s_cbranch_execz .LBB75_294
; %bb.293:                              ;   in Loop: Header=BB75_3 Depth=1
	s_delay_alu instid0(VALU_DEP_2) | instskip(NEXT) | instid1(VALU_DEP_2)
	v_xor_b32_e32 v201, 0x80000000, v19
	v_xor_b32_e32 v203, 0x80000000, v21
	s_delay_alu instid0(VALU_DEP_3)
	v_dual_mov_b32 v200, v18 :: v_dual_mov_b32 v202, v20
	ds_store_b128 v179, v[200:203]
.LBB75_294:                             ;   in Loop: Header=BB75_3 Depth=1
	s_or_b32 exec_lo, exec_lo, s33
	s_wait_dscnt 0x0
	s_barrier_signal -1
	s_barrier_wait -1
	s_barrier_signal -1
	s_barrier_wait -1
	s_and_saveexec_b32 s33, s0
; %bb.295:                              ;   in Loop: Header=BB75_3 Depth=1
	ds_store_b128 v181, v[18:21] offset:7872
; %bb.296:                              ;   in Loop: Header=BB75_3 Depth=1
	s_or_b32 exec_lo, exec_lo, s33
	s_wait_dscnt 0x0
	s_barrier_signal -1
	s_barrier_wait -1
	s_barrier_signal -1
	s_barrier_wait -1
	s_and_saveexec_b32 s33, s66
	s_cbranch_execz .LBB75_298
; %bb.297:                              ;   in Loop: Header=BB75_3 Depth=1
	ds_load_b128 v[18:21], v75
	s_wait_dscnt 0x0
	ds_store_b128 v154, v[18:21]
	ds_load_b128 v[18:21], v76
	s_wait_dscnt 0x0
	ds_store_b128 v155, v[18:21]
.LBB75_298:                             ;   in Loop: Header=BB75_3 Depth=1
	s_or_b32 exec_lo, exec_lo, s33
	s_wait_dscnt 0x0
	s_barrier_signal -1
	s_barrier_wait -1
	s_and_saveexec_b32 s33, s27
	s_cbranch_execz .LBB75_300
; %bb.299:                              ;   in Loop: Header=BB75_3 Depth=1
	s_mov_b32 s36, s35
	s_mov_b32 s38, s35
	;; [unrolled: 1-line block ×3, first 2 shown]
	v_mov_b64_e32 v[18:19], s[36:37]
	v_mov_b64_e32 v[20:21], s[38:39]
	ds_store_b128 v3, v[18:21] offset:6336
	ds_store_b128 v3, v[18:21] offset:6864
	ds_load_b128 v[18:21], v3 offset:6848
	s_wait_dscnt 0x0
	ds_store_b128 v3, v[18:21] offset:6352
.LBB75_300:                             ;   in Loop: Header=BB75_3 Depth=1
	s_or_b32 exec_lo, exec_lo, s33
	v_mov_b64_e32 v[20:21], 0
	v_mov_b64_e32 v[18:19], 0
	s_wait_dscnt 0x0
	s_barrier_signal -1
	s_barrier_wait -1
	global_wb scope:SCOPE_DEV
	s_wait_storecnt 0x0
	global_inv scope:SCOPE_DEV
	s_and_saveexec_b32 s33, s2
	s_cbranch_execz .LBB75_306
; %bb.301:                              ;   in Loop: Header=BB75_3 Depth=1
	ds_load_b128 v[18:21], v48 offset:7872
	ds_load_b128 v[200:203], v180 offset:6272
	s_wait_dscnt 0x0
	v_mul_f64_e32 v[4:5], v[20:21], v[202:203]
	v_mul_f64_e32 v[202:203], v[18:19], v[202:203]
	s_delay_alu instid0(VALU_DEP_2) | instskip(NEXT) | instid1(VALU_DEP_2)
	v_fma_f64 v[4:5], v[18:19], v[200:201], -v[4:5]
	v_fmac_f64_e32 v[202:203], v[20:21], v[200:201]
	s_delay_alu instid0(VALU_DEP_2) | instskip(NEXT) | instid1(VALU_DEP_2)
	v_add_f64_e32 v[18:19], 0, v[4:5]
	v_add_f64_e32 v[20:21], 0, v[202:203]
	s_and_saveexec_b32 s36, s9
	s_cbranch_execnz .LBB75_532
; %bb.302:                              ;   in Loop: Header=BB75_3 Depth=1
	s_or_b32 exec_lo, exec_lo, s36
	s_and_saveexec_b32 s36, s10
	s_cbranch_execnz .LBB75_533
.LBB75_303:                             ;   in Loop: Header=BB75_3 Depth=1
	s_or_b32 exec_lo, exec_lo, s36
	s_and_saveexec_b32 s36, s0
	s_cbranch_execz .LBB75_305
.LBB75_304:                             ;   in Loop: Header=BB75_3 Depth=1
	ds_load_b128 v[200:203], v3 offset:7920
	ds_load_b128 v[204:207], v47 offset:7808
	s_wait_dscnt 0x0
	v_mul_f64_e32 v[4:5], v[202:203], v[206:207]
	s_delay_alu instid0(VALU_DEP_1) | instskip(SKIP_1) | instid1(VALU_DEP_2)
	v_fma_f64 v[4:5], v[200:201], v[204:205], -v[4:5]
	v_mul_f64_e32 v[200:201], v[200:201], v[206:207]
	v_add_f64_e32 v[18:19], v[18:19], v[4:5]
	s_delay_alu instid0(VALU_DEP_2) | instskip(NEXT) | instid1(VALU_DEP_1)
	v_fmac_f64_e32 v[200:201], v[202:203], v[204:205]
	v_add_f64_e32 v[20:21], v[20:21], v[200:201]
.LBB75_305:                             ;   in Loop: Header=BB75_3 Depth=1
	s_or_b32 exec_lo, exec_lo, s36
.LBB75_306:                             ;   in Loop: Header=BB75_3 Depth=1
	s_delay_alu instid0(SALU_CYCLE_1)
	s_or_b32 exec_lo, exec_lo, s33
	s_and_saveexec_b32 s33, s67
	s_cbranch_execz .LBB75_308
; %bb.307:                              ;   in Loop: Header=BB75_3 Depth=1
	s_delay_alu instid0(VALU_DEP_1) | instskip(NEXT) | instid1(VALU_DEP_3)
	v_xor_b32_e32 v203, 0x80000000, v21
	v_xor_b32_e32 v201, 0x80000000, v19
	s_delay_alu instid0(VALU_DEP_3)
	v_dual_mov_b32 v200, v18 :: v_dual_mov_b32 v202, v20
	ds_store_b128 v183, v[200:203]
.LBB75_308:                             ;   in Loop: Header=BB75_3 Depth=1
	s_or_b32 exec_lo, exec_lo, s33
	s_wait_loadcnt_dscnt 0x0
	s_barrier_signal -1
	s_barrier_wait -1
	s_and_saveexec_b32 s33, s68
	s_cbranch_execz .LBB75_310
; %bb.309:                              ;   in Loop: Header=BB75_3 Depth=1
	ds_load_b128 v[200:203], v183
	ds_load_b128 v[204:207], v180 offset:5760
	s_wait_dscnt 0x0
	v_mul_f64_e32 v[4:5], v[202:203], v[206:207]
	s_delay_alu instid0(VALU_DEP_1) | instskip(SKIP_1) | instid1(VALU_DEP_2)
	v_fma_f64 v[4:5], v[200:201], v[204:205], -v[4:5]
	v_mul_f64_e32 v[200:201], v[200:201], v[206:207]
	v_add_f64_e64 v[18:19], v[18:19], -v[4:5]
	s_delay_alu instid0(VALU_DEP_2) | instskip(NEXT) | instid1(VALU_DEP_1)
	v_fmac_f64_e32 v[200:201], v[202:203], v[204:205]
	v_add_f64_e64 v[20:21], v[20:21], -v[200:201]
.LBB75_310:                             ;   in Loop: Header=BB75_3 Depth=1
	s_or_b32 exec_lo, exec_lo, s33
	s_barrier_signal -1
	s_barrier_wait -1
	s_and_saveexec_b32 s33, s69
	s_cbranch_execz .LBB75_312
; %bb.311:                              ;   in Loop: Header=BB75_3 Depth=1
	s_delay_alu instid0(VALU_DEP_1) | instskip(NEXT) | instid1(VALU_DEP_3)
	v_xor_b32_e32 v203, 0x80000000, v21
	v_xor_b32_e32 v201, 0x80000000, v19
	s_delay_alu instid0(VALU_DEP_3)
	v_dual_mov_b32 v200, v18 :: v_dual_mov_b32 v202, v20
	ds_store_b128 v183, v[200:203]
.LBB75_312:                             ;   in Loop: Header=BB75_3 Depth=1
	s_or_b32 exec_lo, exec_lo, s33
	s_wait_dscnt 0x0
	s_barrier_signal -1
	s_barrier_wait -1
	s_and_saveexec_b32 s33, s70
	s_cbranch_execz .LBB75_314
; %bb.313:                              ;   in Loop: Header=BB75_3 Depth=1
	ds_load_b128 v[200:203], v183
	ds_load_b128 v[204:207], v180 offset:5248
	s_wait_dscnt 0x0
	v_mul_f64_e32 v[4:5], v[202:203], v[206:207]
	s_delay_alu instid0(VALU_DEP_1) | instskip(SKIP_1) | instid1(VALU_DEP_2)
	v_fma_f64 v[4:5], v[200:201], v[204:205], -v[4:5]
	v_mul_f64_e32 v[200:201], v[200:201], v[206:207]
	v_add_f64_e64 v[18:19], v[18:19], -v[4:5]
	s_delay_alu instid0(VALU_DEP_2) | instskip(NEXT) | instid1(VALU_DEP_1)
	v_fmac_f64_e32 v[200:201], v[202:203], v[204:205]
	v_add_f64_e64 v[20:21], v[20:21], -v[200:201]
.LBB75_314:                             ;   in Loop: Header=BB75_3 Depth=1
	s_or_b32 exec_lo, exec_lo, s33
	s_barrier_signal -1
	s_barrier_wait -1
	s_and_saveexec_b32 s33, s71
	s_cbranch_execz .LBB75_316
; %bb.315:                              ;   in Loop: Header=BB75_3 Depth=1
	s_delay_alu instid0(VALU_DEP_1) | instskip(NEXT) | instid1(VALU_DEP_3)
	v_xor_b32_e32 v203, 0x80000000, v21
	v_xor_b32_e32 v201, 0x80000000, v19
	s_delay_alu instid0(VALU_DEP_3)
	v_dual_mov_b32 v200, v18 :: v_dual_mov_b32 v202, v20
	ds_store_b128 v183, v[200:203]
.LBB75_316:                             ;   in Loop: Header=BB75_3 Depth=1
	s_or_b32 exec_lo, exec_lo, s33
	s_wait_dscnt 0x0
	;; [unrolled: 32-line block ×3, first 2 shown]
	s_barrier_signal -1
	s_barrier_wait -1
	s_barrier_signal -1
	s_barrier_wait -1
	s_and_saveexec_b32 s33, s2
; %bb.321:                              ;   in Loop: Header=BB75_3 Depth=1
	ds_store_b128 v185, v[18:21] offset:7808
; %bb.322:                              ;   in Loop: Header=BB75_3 Depth=1
	s_or_b32 exec_lo, exec_lo, s33
	s_wait_dscnt 0x0
	s_barrier_signal -1
	s_barrier_wait -1
	s_barrier_signal -1
	s_barrier_wait -1
	s_and_saveexec_b32 s33, s73
	s_cbranch_execz .LBB75_324
; %bb.323:                              ;   in Loop: Header=BB75_3 Depth=1
	ds_load_b128 v[18:21], v91
	s_wait_dscnt 0x0
	ds_store_b128 v156, v[18:21]
	ds_load_b128 v[18:21], v94
	s_wait_dscnt 0x0
	ds_store_b128 v159, v[18:21]
	;; [unrolled: 3-line block ×4, first 2 shown]
.LBB75_324:                             ;   in Loop: Header=BB75_3 Depth=1
	s_or_b32 exec_lo, exec_lo, s33
	s_wait_dscnt 0x0
	s_barrier_signal -1
	s_barrier_wait -1
	s_and_saveexec_b32 s33, s27
	s_cbranch_execz .LBB75_326
; %bb.325:                              ;   in Loop: Header=BB75_3 Depth=1
	s_mov_b32 s36, s35
	s_mov_b32 s38, s35
	;; [unrolled: 1-line block ×3, first 2 shown]
	v_mov_b64_e32 v[18:19], s[36:37]
	v_mov_b64_e32 v[20:21], s[38:39]
	ds_store_b128 v3, v[18:21] offset:5280
	ds_store_b128 v3, v[18:21] offset:5808
	ds_load_b128 v[18:21], v3 offset:5792
	s_wait_dscnt 0x0
	ds_store_b128 v3, v[18:21] offset:5296
.LBB75_326:                             ;   in Loop: Header=BB75_3 Depth=1
	s_or_b32 exec_lo, exec_lo, s33
	v_mov_b64_e32 v[18:19], 0
	v_mov_b64_e32 v[20:21], 0
	s_wait_dscnt 0x0
	s_barrier_signal -1
	s_barrier_wait -1
	global_wb scope:SCOPE_DEV
	s_wait_storecnt 0x0
	global_inv scope:SCOPE_DEV
	s_and_saveexec_b32 s33, s0
	s_cbranch_execz .LBB75_330
; %bb.327:                              ;   in Loop: Header=BB75_3 Depth=1
	ds_load_b128 v[18:21], v44 offset:5792
	ds_load_b128 v[200:203], v178 offset:5248
	s_wait_dscnt 0x0
	v_mul_f64_e32 v[4:5], v[20:21], v[202:203]
	v_mul_f64_e32 v[202:203], v[18:19], v[202:203]
	s_delay_alu instid0(VALU_DEP_2) | instskip(NEXT) | instid1(VALU_DEP_2)
	v_fma_f64 v[4:5], v[18:19], v[200:201], -v[4:5]
	v_fmac_f64_e32 v[202:203], v[20:21], v[200:201]
	s_delay_alu instid0(VALU_DEP_2) | instskip(NEXT) | instid1(VALU_DEP_2)
	v_add_f64_e32 v[18:19], 0, v[4:5]
	v_add_f64_e32 v[20:21], 0, v[202:203]
	s_and_saveexec_b32 s36, s8
	s_cbranch_execz .LBB75_329
; %bb.328:                              ;   in Loop: Header=BB75_3 Depth=1
	ds_load_b128 v[200:203], v3 offset:5808
	ds_load_b128 v[204:207], v87 offset:5760
	s_wait_dscnt 0x0
	v_mul_f64_e32 v[4:5], v[202:203], v[206:207]
	s_delay_alu instid0(VALU_DEP_1) | instskip(SKIP_1) | instid1(VALU_DEP_2)
	v_fma_f64 v[4:5], v[200:201], v[204:205], -v[4:5]
	v_mul_f64_e32 v[200:201], v[200:201], v[206:207]
	v_add_f64_e32 v[18:19], v[18:19], v[4:5]
	s_delay_alu instid0(VALU_DEP_2) | instskip(NEXT) | instid1(VALU_DEP_1)
	v_fmac_f64_e32 v[200:201], v[202:203], v[204:205]
	v_add_f64_e32 v[20:21], v[20:21], v[200:201]
.LBB75_329:                             ;   in Loop: Header=BB75_3 Depth=1
	s_or_b32 exec_lo, exec_lo, s36
.LBB75_330:                             ;   in Loop: Header=BB75_3 Depth=1
	s_delay_alu instid0(SALU_CYCLE_1)
	s_or_b32 exec_lo, exec_lo, s33
	s_and_saveexec_b32 s33, s64
	s_cbranch_execz .LBB75_332
; %bb.331:                              ;   in Loop: Header=BB75_3 Depth=1
	s_delay_alu instid0(VALU_DEP_2) | instskip(NEXT) | instid1(VALU_DEP_2)
	v_xor_b32_e32 v201, 0x80000000, v19
	v_xor_b32_e32 v203, 0x80000000, v21
	s_delay_alu instid0(VALU_DEP_3)
	v_dual_mov_b32 v200, v18 :: v_dual_mov_b32 v202, v20
	ds_store_b128 v179, v[200:203]
.LBB75_332:                             ;   in Loop: Header=BB75_3 Depth=1
	s_or_b32 exec_lo, exec_lo, s33
	s_wait_loadcnt_dscnt 0x0
	s_barrier_signal -1
	s_barrier_wait -1
	s_and_saveexec_b32 s33, s65
	s_cbranch_execz .LBB75_334
; %bb.333:                              ;   in Loop: Header=BB75_3 Depth=1
	ds_load_b128 v[200:203], v179
	ds_load_b128 v[204:207], v3 offset:4736
	s_wait_dscnt 0x0
	v_mul_f64_e32 v[4:5], v[200:201], v[204:205]
	v_mul_f64_e32 v[200:201], v[200:201], v[206:207]
	s_delay_alu instid0(VALU_DEP_2) | instskip(NEXT) | instid1(VALU_DEP_2)
	v_fma_f64 v[4:5], v[202:203], v[206:207], -v[4:5]
	v_fmac_f64_e32 v[200:201], v[202:203], v[204:205]
	s_delay_alu instid0(VALU_DEP_2) | instskip(NEXT) | instid1(VALU_DEP_2)
	v_add_f64_e32 v[18:19], v[18:19], v[4:5]
	v_add_f64_e64 v[20:21], v[20:21], -v[200:201]
.LBB75_334:                             ;   in Loop: Header=BB75_3 Depth=1
	s_or_b32 exec_lo, exec_lo, s33
	s_barrier_signal -1
	s_barrier_wait -1
	s_and_saveexec_b32 s33, s65
	s_cbranch_execz .LBB75_336
; %bb.335:                              ;   in Loop: Header=BB75_3 Depth=1
	s_delay_alu instid0(VALU_DEP_2) | instskip(NEXT) | instid1(VALU_DEP_2)
	v_xor_b32_e32 v201, 0x80000000, v19
	v_xor_b32_e32 v203, 0x80000000, v21
	s_delay_alu instid0(VALU_DEP_3)
	v_dual_mov_b32 v200, v18 :: v_dual_mov_b32 v202, v20
	ds_store_b128 v179, v[200:203]
.LBB75_336:                             ;   in Loop: Header=BB75_3 Depth=1
	s_or_b32 exec_lo, exec_lo, s33
	s_wait_dscnt 0x0
	s_barrier_signal -1
	s_barrier_wait -1
	s_barrier_signal -1
	s_barrier_wait -1
	s_and_saveexec_b32 s33, s0
; %bb.337:                              ;   in Loop: Header=BB75_3 Depth=1
	ds_store_b128 v181, v[18:21] offset:5760
; %bb.338:                              ;   in Loop: Header=BB75_3 Depth=1
	s_or_b32 exec_lo, exec_lo, s33
	s_wait_dscnt 0x0
	s_barrier_signal -1
	s_barrier_wait -1
	s_barrier_signal -1
	s_barrier_wait -1
	s_and_saveexec_b32 s33, s66
	s_cbranch_execz .LBB75_340
; %bb.339:                              ;   in Loop: Header=BB75_3 Depth=1
	ds_load_b128 v[18:21], v103
	s_wait_dscnt 0x0
	ds_store_b128 v160, v[18:21]
	ds_load_b128 v[18:21], v104
	s_wait_dscnt 0x0
	ds_store_b128 v161, v[18:21]
.LBB75_340:                             ;   in Loop: Header=BB75_3 Depth=1
	s_or_b32 exec_lo, exec_lo, s33
	s_wait_dscnt 0x0
	s_barrier_signal -1
	s_barrier_wait -1
	s_and_saveexec_b32 s33, s27
	s_cbranch_execz .LBB75_342
; %bb.341:                              ;   in Loop: Header=BB75_3 Depth=1
	s_mov_b32 s36, s35
	s_mov_b32 s38, s35
	;; [unrolled: 1-line block ×3, first 2 shown]
	v_mov_b64_e32 v[18:19], s[36:37]
	v_mov_b64_e32 v[20:21], s[38:39]
	ds_store_b128 v3, v[18:21] offset:4224
	ds_store_b128 v3, v[18:21] offset:4752
	ds_load_b128 v[18:21], v3 offset:4736
	s_wait_dscnt 0x0
	ds_store_b128 v3, v[18:21] offset:4240
.LBB75_342:                             ;   in Loop: Header=BB75_3 Depth=1
	s_or_b32 exec_lo, exec_lo, s33
	v_mov_b64_e32 v[20:21], 0
	v_mov_b64_e32 v[18:19], 0
	s_wait_dscnt 0x0
	s_barrier_signal -1
	s_barrier_wait -1
	global_wb scope:SCOPE_DEV
	s_wait_storecnt 0x0
	global_inv scope:SCOPE_DEV
	s_and_saveexec_b32 s33, s3
	s_cbranch_execz .LBB75_352
; %bb.343:                              ;   in Loop: Header=BB75_3 Depth=1
	ds_load_b128 v[18:21], v49 offset:7808
	ds_load_b128 v[200:203], v182 offset:4096
	s_wait_dscnt 0x0
	v_mul_f64_e32 v[4:5], v[20:21], v[202:203]
	v_mul_f64_e32 v[202:203], v[18:19], v[202:203]
	s_delay_alu instid0(VALU_DEP_2) | instskip(NEXT) | instid1(VALU_DEP_2)
	v_fma_f64 v[4:5], v[18:19], v[200:201], -v[4:5]
	v_fmac_f64_e32 v[202:203], v[20:21], v[200:201]
	s_delay_alu instid0(VALU_DEP_2) | instskip(NEXT) | instid1(VALU_DEP_2)
	v_add_f64_e32 v[18:19], 0, v[4:5]
	v_add_f64_e32 v[20:21], 0, v[202:203]
	s_and_saveexec_b32 s36, s11
	s_cbranch_execnz .LBB75_534
; %bb.344:                              ;   in Loop: Header=BB75_3 Depth=1
	s_or_b32 exec_lo, exec_lo, s36
	s_and_saveexec_b32 s36, s12
	s_cbranch_execnz .LBB75_535
.LBB75_345:                             ;   in Loop: Header=BB75_3 Depth=1
	s_or_b32 exec_lo, exec_lo, s36
	s_and_saveexec_b32 s36, s13
	s_cbranch_execnz .LBB75_536
.LBB75_346:                             ;   in Loop: Header=BB75_3 Depth=1
	s_or_b32 exec_lo, exec_lo, s36
	s_and_saveexec_b32 s36, s14
	s_cbranch_execnz .LBB75_537
.LBB75_347:                             ;   in Loop: Header=BB75_3 Depth=1
	s_or_b32 exec_lo, exec_lo, s36
	s_and_saveexec_b32 s36, s15
	s_cbranch_execnz .LBB75_538
.LBB75_348:                             ;   in Loop: Header=BB75_3 Depth=1
	s_or_b32 exec_lo, exec_lo, s36
	s_and_saveexec_b32 s36, s2
	s_cbranch_execnz .LBB75_539
.LBB75_349:                             ;   in Loop: Header=BB75_3 Depth=1
	s_or_b32 exec_lo, exec_lo, s36
	s_and_saveexec_b32 s36, s10
	s_cbranch_execz .LBB75_351
.LBB75_350:                             ;   in Loop: Header=BB75_3 Depth=1
	ds_load_b128 v[200:203], v3 offset:7920
	ds_load_b128 v[204:207], v27 offset:7680
	s_wait_dscnt 0x0
	v_mul_f64_e32 v[4:5], v[202:203], v[206:207]
	s_delay_alu instid0(VALU_DEP_1) | instskip(SKIP_1) | instid1(VALU_DEP_2)
	v_fma_f64 v[4:5], v[200:201], v[204:205], -v[4:5]
	v_mul_f64_e32 v[200:201], v[200:201], v[206:207]
	v_add_f64_e32 v[18:19], v[18:19], v[4:5]
	s_delay_alu instid0(VALU_DEP_2) | instskip(NEXT) | instid1(VALU_DEP_1)
	v_fmac_f64_e32 v[200:201], v[202:203], v[204:205]
	v_add_f64_e32 v[20:21], v[20:21], v[200:201]
.LBB75_351:                             ;   in Loop: Header=BB75_3 Depth=1
	s_or_b32 exec_lo, exec_lo, s36
.LBB75_352:                             ;   in Loop: Header=BB75_3 Depth=1
	s_delay_alu instid0(SALU_CYCLE_1)
	s_or_b32 exec_lo, exec_lo, s33
	s_and_saveexec_b32 s33, s74
	s_cbranch_execz .LBB75_354
; %bb.353:                              ;   in Loop: Header=BB75_3 Depth=1
	s_delay_alu instid0(VALU_DEP_2) | instskip(NEXT) | instid1(VALU_DEP_2)
	v_xor_b32_e32 v201, 0x80000000, v19
	v_xor_b32_e32 v203, 0x80000000, v21
	s_delay_alu instid0(VALU_DEP_3)
	v_dual_mov_b32 v200, v18 :: v_dual_mov_b32 v202, v20
	ds_store_b128 v186, v[200:203]
.LBB75_354:                             ;   in Loop: Header=BB75_3 Depth=1
	s_or_b32 exec_lo, exec_lo, s33
	s_wait_loadcnt_dscnt 0x0
	s_barrier_signal -1
	s_barrier_wait -1
	s_and_saveexec_b32 s33, s75
	s_cbranch_execz .LBB75_356
; %bb.355:                              ;   in Loop: Header=BB75_3 Depth=1
	ds_load_b128 v[200:203], v186
	ds_load_b128 v[204:207], v182 offset:3584
	s_wait_dscnt 0x0
	v_mul_f64_e32 v[4:5], v[202:203], v[206:207]
	s_delay_alu instid0(VALU_DEP_1) | instskip(SKIP_1) | instid1(VALU_DEP_2)
	v_fma_f64 v[4:5], v[200:201], v[204:205], -v[4:5]
	v_mul_f64_e32 v[200:201], v[200:201], v[206:207]
	v_add_f64_e64 v[18:19], v[18:19], -v[4:5]
	s_delay_alu instid0(VALU_DEP_2) | instskip(NEXT) | instid1(VALU_DEP_1)
	v_fmac_f64_e32 v[200:201], v[202:203], v[204:205]
	v_add_f64_e64 v[20:21], v[20:21], -v[200:201]
.LBB75_356:                             ;   in Loop: Header=BB75_3 Depth=1
	s_or_b32 exec_lo, exec_lo, s33
	s_barrier_signal -1
	s_barrier_wait -1
	s_and_saveexec_b32 s33, s76
	s_cbranch_execz .LBB75_358
; %bb.357:                              ;   in Loop: Header=BB75_3 Depth=1
	s_delay_alu instid0(VALU_DEP_2) | instskip(NEXT) | instid1(VALU_DEP_2)
	v_xor_b32_e32 v201, 0x80000000, v19
	v_xor_b32_e32 v203, 0x80000000, v21
	s_delay_alu instid0(VALU_DEP_3)
	v_dual_mov_b32 v200, v18 :: v_dual_mov_b32 v202, v20
	ds_store_b128 v186, v[200:203]
.LBB75_358:                             ;   in Loop: Header=BB75_3 Depth=1
	s_or_b32 exec_lo, exec_lo, s33
	s_wait_dscnt 0x0
	s_barrier_signal -1
	s_barrier_wait -1
	s_and_saveexec_b32 s33, s77
	s_cbranch_execz .LBB75_360
; %bb.359:                              ;   in Loop: Header=BB75_3 Depth=1
	ds_load_b128 v[200:203], v186
	ds_load_b128 v[204:207], v182 offset:3072
	s_wait_dscnt 0x0
	v_mul_f64_e32 v[4:5], v[202:203], v[206:207]
	s_delay_alu instid0(VALU_DEP_1) | instskip(SKIP_1) | instid1(VALU_DEP_2)
	v_fma_f64 v[4:5], v[200:201], v[204:205], -v[4:5]
	v_mul_f64_e32 v[200:201], v[200:201], v[206:207]
	v_add_f64_e64 v[18:19], v[18:19], -v[4:5]
	s_delay_alu instid0(VALU_DEP_2) | instskip(NEXT) | instid1(VALU_DEP_1)
	v_fmac_f64_e32 v[200:201], v[202:203], v[204:205]
	v_add_f64_e64 v[20:21], v[20:21], -v[200:201]
.LBB75_360:                             ;   in Loop: Header=BB75_3 Depth=1
	s_or_b32 exec_lo, exec_lo, s33
	s_barrier_signal -1
	s_barrier_wait -1
	s_and_saveexec_b32 s33, s78
	s_cbranch_execz .LBB75_362
; %bb.361:                              ;   in Loop: Header=BB75_3 Depth=1
	s_delay_alu instid0(VALU_DEP_2) | instskip(NEXT) | instid1(VALU_DEP_2)
	v_xor_b32_e32 v201, 0x80000000, v19
	v_xor_b32_e32 v203, 0x80000000, v21
	s_delay_alu instid0(VALU_DEP_3)
	v_dual_mov_b32 v200, v18 :: v_dual_mov_b32 v202, v20
	ds_store_b128 v186, v[200:203]
.LBB75_362:                             ;   in Loop: Header=BB75_3 Depth=1
	s_or_b32 exec_lo, exec_lo, s33
	s_wait_dscnt 0x0
	;; [unrolled: 32-line block ×7, first 2 shown]
	s_barrier_signal -1
	s_barrier_wait -1
	s_barrier_signal -1
	s_barrier_wait -1
	s_and_saveexec_b32 s33, s3
; %bb.383:                              ;   in Loop: Header=BB75_3 Depth=1
	ds_store_b128 v187, v[18:21] offset:7680
; %bb.384:                              ;   in Loop: Header=BB75_3 Depth=1
	s_or_b32 exec_lo, exec_lo, s33
	s_wait_dscnt 0x0
	s_barrier_signal -1
	s_barrier_wait -1
	s_barrier_signal -1
	s_barrier_wait -1
	s_and_saveexec_b32 s33, s88
	s_cbranch_execz .LBB75_386
; %bb.385:                              ;   in Loop: Header=BB75_3 Depth=1
	ds_load_b128 v[18:21], v77
	s_wait_dscnt 0x0
	ds_store_b128 v162, v[18:21]
	ds_load_b128 v[18:21], v78
	s_wait_dscnt 0x0
	ds_store_b128 v163, v[18:21]
	;; [unrolled: 3-line block ×8, first 2 shown]
.LBB75_386:                             ;   in Loop: Header=BB75_3 Depth=1
	s_or_b32 exec_lo, exec_lo, s33
	s_wait_dscnt 0x0
	s_barrier_signal -1
	s_barrier_wait -1
	s_and_saveexec_b32 s33, s27
	s_cbranch_execz .LBB75_388
; %bb.387:                              ;   in Loop: Header=BB75_3 Depth=1
	s_mov_b32 s36, s35
	s_mov_b32 s38, s35
	;; [unrolled: 1-line block ×3, first 2 shown]
	v_mov_b64_e32 v[18:19], s[36:37]
	v_mov_b64_e32 v[20:21], s[38:39]
	ds_store_b128 v3, v[18:21] offset:3168
	ds_store_b128 v3, v[18:21] offset:3696
	ds_load_b128 v[18:21], v3 offset:3680
	s_wait_dscnt 0x0
	ds_store_b128 v3, v[18:21] offset:3184
.LBB75_388:                             ;   in Loop: Header=BB75_3 Depth=1
	s_or_b32 exec_lo, exec_lo, s33
	v_mov_b64_e32 v[18:19], 0
	v_mov_b64_e32 v[20:21], 0
	s_wait_dscnt 0x0
	s_barrier_signal -1
	s_barrier_wait -1
	global_wb scope:SCOPE_DEV
	s_wait_storecnt 0x0
	global_inv scope:SCOPE_DEV
	s_and_saveexec_b32 s33, s0
	s_cbranch_execz .LBB75_392
; %bb.389:                              ;   in Loop: Header=BB75_3 Depth=1
	ds_load_b128 v[18:21], v44 offset:3680
	ds_load_b128 v[200:203], v178 offset:3136
	s_wait_dscnt 0x0
	v_mul_f64_e32 v[4:5], v[20:21], v[202:203]
	v_mul_f64_e32 v[202:203], v[18:19], v[202:203]
	s_delay_alu instid0(VALU_DEP_2) | instskip(NEXT) | instid1(VALU_DEP_2)
	v_fma_f64 v[4:5], v[18:19], v[200:201], -v[4:5]
	v_fmac_f64_e32 v[202:203], v[20:21], v[200:201]
	s_delay_alu instid0(VALU_DEP_2) | instskip(NEXT) | instid1(VALU_DEP_2)
	v_add_f64_e32 v[18:19], 0, v[4:5]
	v_add_f64_e32 v[20:21], 0, v[202:203]
	s_and_saveexec_b32 s36, s8
	s_cbranch_execz .LBB75_391
; %bb.390:                              ;   in Loop: Header=BB75_3 Depth=1
	ds_load_b128 v[200:203], v3 offset:3696
	ds_load_b128 v[204:207], v47 offset:3648
	s_wait_dscnt 0x0
	v_mul_f64_e32 v[4:5], v[202:203], v[206:207]
	s_delay_alu instid0(VALU_DEP_1) | instskip(SKIP_1) | instid1(VALU_DEP_2)
	v_fma_f64 v[4:5], v[200:201], v[204:205], -v[4:5]
	v_mul_f64_e32 v[200:201], v[200:201], v[206:207]
	v_add_f64_e32 v[18:19], v[18:19], v[4:5]
	s_delay_alu instid0(VALU_DEP_2) | instskip(NEXT) | instid1(VALU_DEP_1)
	v_fmac_f64_e32 v[200:201], v[202:203], v[204:205]
	v_add_f64_e32 v[20:21], v[20:21], v[200:201]
.LBB75_391:                             ;   in Loop: Header=BB75_3 Depth=1
	s_or_b32 exec_lo, exec_lo, s36
.LBB75_392:                             ;   in Loop: Header=BB75_3 Depth=1
	s_delay_alu instid0(SALU_CYCLE_1)
	s_or_b32 exec_lo, exec_lo, s33
	s_and_saveexec_b32 s33, s64
	s_cbranch_execz .LBB75_394
; %bb.393:                              ;   in Loop: Header=BB75_3 Depth=1
	s_delay_alu instid0(VALU_DEP_2) | instskip(NEXT) | instid1(VALU_DEP_2)
	v_xor_b32_e32 v201, 0x80000000, v19
	v_xor_b32_e32 v203, 0x80000000, v21
	s_delay_alu instid0(VALU_DEP_3)
	v_dual_mov_b32 v200, v18 :: v_dual_mov_b32 v202, v20
	ds_store_b128 v179, v[200:203]
.LBB75_394:                             ;   in Loop: Header=BB75_3 Depth=1
	s_or_b32 exec_lo, exec_lo, s33
	s_wait_loadcnt_dscnt 0x0
	s_barrier_signal -1
	s_barrier_wait -1
	s_and_saveexec_b32 s33, s65
	s_cbranch_execz .LBB75_396
; %bb.395:                              ;   in Loop: Header=BB75_3 Depth=1
	ds_load_b128 v[200:203], v179
	ds_load_b128 v[204:207], v3 offset:2624
	s_wait_dscnt 0x0
	v_mul_f64_e32 v[4:5], v[200:201], v[204:205]
	v_mul_f64_e32 v[200:201], v[200:201], v[206:207]
	s_delay_alu instid0(VALU_DEP_2) | instskip(NEXT) | instid1(VALU_DEP_2)
	v_fma_f64 v[4:5], v[202:203], v[206:207], -v[4:5]
	v_fmac_f64_e32 v[200:201], v[202:203], v[204:205]
	s_delay_alu instid0(VALU_DEP_2) | instskip(NEXT) | instid1(VALU_DEP_2)
	v_add_f64_e32 v[18:19], v[18:19], v[4:5]
	v_add_f64_e64 v[20:21], v[20:21], -v[200:201]
.LBB75_396:                             ;   in Loop: Header=BB75_3 Depth=1
	s_or_b32 exec_lo, exec_lo, s33
	s_barrier_signal -1
	s_barrier_wait -1
	s_and_saveexec_b32 s33, s65
	s_cbranch_execz .LBB75_398
; %bb.397:                              ;   in Loop: Header=BB75_3 Depth=1
	s_delay_alu instid0(VALU_DEP_2) | instskip(NEXT) | instid1(VALU_DEP_2)
	v_xor_b32_e32 v201, 0x80000000, v19
	v_xor_b32_e32 v203, 0x80000000, v21
	s_delay_alu instid0(VALU_DEP_3)
	v_dual_mov_b32 v200, v18 :: v_dual_mov_b32 v202, v20
	ds_store_b128 v179, v[200:203]
.LBB75_398:                             ;   in Loop: Header=BB75_3 Depth=1
	s_or_b32 exec_lo, exec_lo, s33
	s_wait_dscnt 0x0
	s_barrier_signal -1
	s_barrier_wait -1
	s_barrier_signal -1
	s_barrier_wait -1
	s_and_saveexec_b32 s33, s0
; %bb.399:                              ;   in Loop: Header=BB75_3 Depth=1
	ds_store_b128 v181, v[18:21] offset:3648
; %bb.400:                              ;   in Loop: Header=BB75_3 Depth=1
	s_or_b32 exec_lo, exec_lo, s33
	s_wait_dscnt 0x0
	s_barrier_signal -1
	s_barrier_wait -1
	s_barrier_signal -1
	s_barrier_wait -1
	s_and_saveexec_b32 s33, s66
	s_cbranch_execz .LBB75_402
; %bb.401:                              ;   in Loop: Header=BB75_3 Depth=1
	ds_load_b128 v[18:21], v95
	s_wait_dscnt 0x0
	ds_store_b128 v170, v[18:21]
	ds_load_b128 v[18:21], v191
	s_wait_dscnt 0x0
	ds_store_b128 v171, v[18:21]
.LBB75_402:                             ;   in Loop: Header=BB75_3 Depth=1
	s_or_b32 exec_lo, exec_lo, s33
	s_wait_dscnt 0x0
	s_barrier_signal -1
	s_barrier_wait -1
	s_and_saveexec_b32 s33, s27
	s_cbranch_execz .LBB75_404
; %bb.403:                              ;   in Loop: Header=BB75_3 Depth=1
	s_mov_b32 s36, s35
	s_mov_b32 s38, s35
	;; [unrolled: 1-line block ×3, first 2 shown]
	v_mov_b64_e32 v[18:19], s[36:37]
	v_mov_b64_e32 v[20:21], s[38:39]
	ds_store_b128 v3, v[18:21] offset:2112
	ds_store_b128 v3, v[18:21] offset:2640
	ds_load_b128 v[18:21], v3 offset:2624
	s_wait_dscnt 0x0
	ds_store_b128 v3, v[18:21] offset:2128
.LBB75_404:                             ;   in Loop: Header=BB75_3 Depth=1
	s_or_b32 exec_lo, exec_lo, s33
	v_mov_b64_e32 v[20:21], 0
	v_mov_b64_e32 v[18:19], 0
	s_wait_dscnt 0x0
	s_barrier_signal -1
	s_barrier_wait -1
	global_wb scope:SCOPE_DEV
	s_wait_storecnt 0x0
	global_inv scope:SCOPE_DEV
	s_and_saveexec_b32 s33, s2
	s_cbranch_execz .LBB75_410
; %bb.405:                              ;   in Loop: Header=BB75_3 Depth=1
	ds_load_b128 v[18:21], v48 offset:3648
	ds_load_b128 v[200:203], v180 offset:2048
	s_wait_dscnt 0x0
	v_mul_f64_e32 v[4:5], v[20:21], v[202:203]
	v_mul_f64_e32 v[202:203], v[18:19], v[202:203]
	s_delay_alu instid0(VALU_DEP_2) | instskip(NEXT) | instid1(VALU_DEP_2)
	v_fma_f64 v[4:5], v[18:19], v[200:201], -v[4:5]
	v_fmac_f64_e32 v[202:203], v[20:21], v[200:201]
	s_delay_alu instid0(VALU_DEP_2) | instskip(NEXT) | instid1(VALU_DEP_2)
	v_add_f64_e32 v[18:19], 0, v[4:5]
	v_add_f64_e32 v[20:21], 0, v[202:203]
	s_and_saveexec_b32 s36, s9
	s_cbranch_execnz .LBB75_540
; %bb.406:                              ;   in Loop: Header=BB75_3 Depth=1
	s_or_b32 exec_lo, exec_lo, s36
	s_and_saveexec_b32 s36, s10
	s_cbranch_execnz .LBB75_541
.LBB75_407:                             ;   in Loop: Header=BB75_3 Depth=1
	s_or_b32 exec_lo, exec_lo, s36
	s_and_saveexec_b32 s36, s0
	s_cbranch_execz .LBB75_409
.LBB75_408:                             ;   in Loop: Header=BB75_3 Depth=1
	ds_load_b128 v[200:203], v3 offset:3696
	ds_load_b128 v[204:207], v87 offset:3584
	s_wait_dscnt 0x0
	v_mul_f64_e32 v[4:5], v[202:203], v[206:207]
	s_delay_alu instid0(VALU_DEP_1) | instskip(SKIP_1) | instid1(VALU_DEP_2)
	v_fma_f64 v[4:5], v[200:201], v[204:205], -v[4:5]
	v_mul_f64_e32 v[200:201], v[200:201], v[206:207]
	v_add_f64_e32 v[18:19], v[18:19], v[4:5]
	s_delay_alu instid0(VALU_DEP_2) | instskip(NEXT) | instid1(VALU_DEP_1)
	v_fmac_f64_e32 v[200:201], v[202:203], v[204:205]
	v_add_f64_e32 v[20:21], v[20:21], v[200:201]
.LBB75_409:                             ;   in Loop: Header=BB75_3 Depth=1
	s_or_b32 exec_lo, exec_lo, s36
.LBB75_410:                             ;   in Loop: Header=BB75_3 Depth=1
	s_delay_alu instid0(SALU_CYCLE_1)
	s_or_b32 exec_lo, exec_lo, s33
	s_and_saveexec_b32 s33, s67
	s_cbranch_execz .LBB75_412
; %bb.411:                              ;   in Loop: Header=BB75_3 Depth=1
	s_delay_alu instid0(VALU_DEP_1) | instskip(NEXT) | instid1(VALU_DEP_3)
	v_xor_b32_e32 v203, 0x80000000, v21
	v_xor_b32_e32 v201, 0x80000000, v19
	s_delay_alu instid0(VALU_DEP_3)
	v_dual_mov_b32 v200, v18 :: v_dual_mov_b32 v202, v20
	ds_store_b128 v183, v[200:203]
.LBB75_412:                             ;   in Loop: Header=BB75_3 Depth=1
	s_or_b32 exec_lo, exec_lo, s33
	s_wait_loadcnt_dscnt 0x0
	s_barrier_signal -1
	s_barrier_wait -1
	s_and_saveexec_b32 s33, s68
	s_cbranch_execz .LBB75_414
; %bb.413:                              ;   in Loop: Header=BB75_3 Depth=1
	ds_load_b128 v[200:203], v183
	ds_load_b128 v[204:207], v180 offset:1536
	s_wait_dscnt 0x0
	v_mul_f64_e32 v[4:5], v[202:203], v[206:207]
	s_delay_alu instid0(VALU_DEP_1) | instskip(SKIP_1) | instid1(VALU_DEP_2)
	v_fma_f64 v[4:5], v[200:201], v[204:205], -v[4:5]
	v_mul_f64_e32 v[200:201], v[200:201], v[206:207]
	v_add_f64_e64 v[18:19], v[18:19], -v[4:5]
	s_delay_alu instid0(VALU_DEP_2) | instskip(NEXT) | instid1(VALU_DEP_1)
	v_fmac_f64_e32 v[200:201], v[202:203], v[204:205]
	v_add_f64_e64 v[20:21], v[20:21], -v[200:201]
.LBB75_414:                             ;   in Loop: Header=BB75_3 Depth=1
	s_or_b32 exec_lo, exec_lo, s33
	s_barrier_signal -1
	s_barrier_wait -1
	s_and_saveexec_b32 s33, s69
	s_cbranch_execz .LBB75_416
; %bb.415:                              ;   in Loop: Header=BB75_3 Depth=1
	s_delay_alu instid0(VALU_DEP_1) | instskip(NEXT) | instid1(VALU_DEP_3)
	v_xor_b32_e32 v203, 0x80000000, v21
	v_xor_b32_e32 v201, 0x80000000, v19
	s_delay_alu instid0(VALU_DEP_3)
	v_dual_mov_b32 v200, v18 :: v_dual_mov_b32 v202, v20
	ds_store_b128 v183, v[200:203]
.LBB75_416:                             ;   in Loop: Header=BB75_3 Depth=1
	s_or_b32 exec_lo, exec_lo, s33
	s_wait_dscnt 0x0
	s_barrier_signal -1
	s_barrier_wait -1
	s_and_saveexec_b32 s33, s70
	s_cbranch_execz .LBB75_418
; %bb.417:                              ;   in Loop: Header=BB75_3 Depth=1
	ds_load_b128 v[200:203], v183
	ds_load_b128 v[204:207], v180 offset:1024
	s_wait_dscnt 0x0
	v_mul_f64_e32 v[4:5], v[202:203], v[206:207]
	s_delay_alu instid0(VALU_DEP_1) | instskip(SKIP_1) | instid1(VALU_DEP_2)
	v_fma_f64 v[4:5], v[200:201], v[204:205], -v[4:5]
	v_mul_f64_e32 v[200:201], v[200:201], v[206:207]
	v_add_f64_e64 v[18:19], v[18:19], -v[4:5]
	s_delay_alu instid0(VALU_DEP_2) | instskip(NEXT) | instid1(VALU_DEP_1)
	v_fmac_f64_e32 v[200:201], v[202:203], v[204:205]
	v_add_f64_e64 v[20:21], v[20:21], -v[200:201]
.LBB75_418:                             ;   in Loop: Header=BB75_3 Depth=1
	s_or_b32 exec_lo, exec_lo, s33
	s_barrier_signal -1
	s_barrier_wait -1
	s_and_saveexec_b32 s33, s71
	s_cbranch_execz .LBB75_420
; %bb.419:                              ;   in Loop: Header=BB75_3 Depth=1
	s_delay_alu instid0(VALU_DEP_1) | instskip(NEXT) | instid1(VALU_DEP_3)
	v_xor_b32_e32 v203, 0x80000000, v21
	v_xor_b32_e32 v201, 0x80000000, v19
	s_delay_alu instid0(VALU_DEP_3)
	v_dual_mov_b32 v200, v18 :: v_dual_mov_b32 v202, v20
	ds_store_b128 v183, v[200:203]
.LBB75_420:                             ;   in Loop: Header=BB75_3 Depth=1
	s_or_b32 exec_lo, exec_lo, s33
	s_wait_dscnt 0x0
	;; [unrolled: 32-line block ×3, first 2 shown]
	s_barrier_signal -1
	s_barrier_wait -1
	s_barrier_signal -1
	s_barrier_wait -1
	s_and_saveexec_b32 s33, s2
; %bb.425:                              ;   in Loop: Header=BB75_3 Depth=1
	ds_store_b128 v185, v[18:21] offset:3584
; %bb.426:                              ;   in Loop: Header=BB75_3 Depth=1
	s_or_b32 exec_lo, exec_lo, s33
	s_wait_dscnt 0x0
	s_barrier_signal -1
	s_barrier_wait -1
	s_barrier_signal -1
	s_barrier_wait -1
	s_and_saveexec_b32 s33, s73
	s_cbranch_execz .LBB75_428
; %bb.427:                              ;   in Loop: Header=BB75_3 Depth=1
	ds_load_b128 v[18:21], v105
	s_wait_dscnt 0x0
	ds_store_b128 v172, v[18:21]
	ds_load_b128 v[18:21], v192
	s_wait_dscnt 0x0
	ds_store_b128 v175, v[18:21]
	;; [unrolled: 3-line block ×4, first 2 shown]
.LBB75_428:                             ;   in Loop: Header=BB75_3 Depth=1
	s_or_b32 exec_lo, exec_lo, s33
	s_wait_dscnt 0x0
	s_barrier_signal -1
	s_barrier_wait -1
	s_and_saveexec_b32 s33, s27
	s_cbranch_execz .LBB75_430
; %bb.429:                              ;   in Loop: Header=BB75_3 Depth=1
	s_mov_b32 s36, s35
	s_mov_b32 s38, s35
	;; [unrolled: 1-line block ×3, first 2 shown]
	v_mov_b64_e32 v[18:19], s[36:37]
	v_mov_b64_e32 v[20:21], s[38:39]
	ds_store_b128 v3, v[18:21] offset:1056
	ds_store_b128 v3, v[18:21] offset:1584
	ds_load_b128 v[18:21], v3 offset:1568
	s_wait_dscnt 0x0
	ds_store_b128 v3, v[18:21] offset:1072
.LBB75_430:                             ;   in Loop: Header=BB75_3 Depth=1
	s_or_b32 exec_lo, exec_lo, s33
	v_mov_b64_e32 v[18:19], 0
	v_mov_b64_e32 v[20:21], 0
	s_wait_dscnt 0x0
	s_barrier_signal -1
	s_barrier_wait -1
	global_wb scope:SCOPE_DEV
	s_wait_storecnt 0x0
	global_inv scope:SCOPE_DEV
	s_and_saveexec_b32 s33, s0
	s_cbranch_execz .LBB75_434
; %bb.431:                              ;   in Loop: Header=BB75_3 Depth=1
	ds_load_b128 v[18:21], v44 offset:1568
	ds_load_b128 v[200:203], v178 offset:1024
	s_wait_dscnt 0x0
	v_mul_f64_e32 v[4:5], v[20:21], v[202:203]
	v_mul_f64_e32 v[202:203], v[18:19], v[202:203]
	s_delay_alu instid0(VALU_DEP_2) | instskip(NEXT) | instid1(VALU_DEP_2)
	v_fma_f64 v[4:5], v[18:19], v[200:201], -v[4:5]
	v_fmac_f64_e32 v[202:203], v[20:21], v[200:201]
	s_delay_alu instid0(VALU_DEP_2) | instskip(NEXT) | instid1(VALU_DEP_2)
	v_add_f64_e32 v[18:19], 0, v[4:5]
	v_add_f64_e32 v[20:21], 0, v[202:203]
	s_and_saveexec_b32 s36, s8
	s_cbranch_execz .LBB75_433
; %bb.432:                              ;   in Loop: Header=BB75_3 Depth=1
	ds_load_b128 v[200:203], v3 offset:1584
	ds_load_b128 v[204:207], v98 offset:1536
	s_wait_dscnt 0x0
	v_mul_f64_e32 v[4:5], v[202:203], v[206:207]
	s_delay_alu instid0(VALU_DEP_1) | instskip(SKIP_1) | instid1(VALU_DEP_2)
	v_fma_f64 v[4:5], v[200:201], v[204:205], -v[4:5]
	v_mul_f64_e32 v[200:201], v[200:201], v[206:207]
	v_add_f64_e32 v[18:19], v[18:19], v[4:5]
	s_delay_alu instid0(VALU_DEP_2) | instskip(NEXT) | instid1(VALU_DEP_1)
	v_fmac_f64_e32 v[200:201], v[202:203], v[204:205]
	v_add_f64_e32 v[20:21], v[20:21], v[200:201]
.LBB75_433:                             ;   in Loop: Header=BB75_3 Depth=1
	s_or_b32 exec_lo, exec_lo, s36
.LBB75_434:                             ;   in Loop: Header=BB75_3 Depth=1
	s_delay_alu instid0(SALU_CYCLE_1)
	s_or_b32 exec_lo, exec_lo, s33
	s_and_saveexec_b32 s33, s64
	s_cbranch_execz .LBB75_436
; %bb.435:                              ;   in Loop: Header=BB75_3 Depth=1
	s_delay_alu instid0(VALU_DEP_2) | instskip(NEXT) | instid1(VALU_DEP_2)
	v_xor_b32_e32 v201, 0x80000000, v19
	v_xor_b32_e32 v203, 0x80000000, v21
	s_delay_alu instid0(VALU_DEP_3)
	v_dual_mov_b32 v200, v18 :: v_dual_mov_b32 v202, v20
	ds_store_b128 v179, v[200:203]
.LBB75_436:                             ;   in Loop: Header=BB75_3 Depth=1
	s_or_b32 exec_lo, exec_lo, s33
	s_wait_loadcnt_dscnt 0x0
	s_barrier_signal -1
	s_barrier_wait -1
	s_and_saveexec_b32 s33, s65
	s_cbranch_execz .LBB75_438
; %bb.437:                              ;   in Loop: Header=BB75_3 Depth=1
	ds_load_b128 v[200:203], v179
	ds_load_b128 v[204:207], v3 offset:512
	s_wait_dscnt 0x0
	v_mul_f64_e32 v[4:5], v[200:201], v[204:205]
	v_mul_f64_e32 v[200:201], v[200:201], v[206:207]
	s_delay_alu instid0(VALU_DEP_2) | instskip(NEXT) | instid1(VALU_DEP_2)
	v_fma_f64 v[4:5], v[202:203], v[206:207], -v[4:5]
	v_fmac_f64_e32 v[200:201], v[202:203], v[204:205]
	s_delay_alu instid0(VALU_DEP_2) | instskip(NEXT) | instid1(VALU_DEP_2)
	v_add_f64_e32 v[18:19], v[18:19], v[4:5]
	v_add_f64_e64 v[20:21], v[20:21], -v[200:201]
.LBB75_438:                             ;   in Loop: Header=BB75_3 Depth=1
	s_or_b32 exec_lo, exec_lo, s33
	s_barrier_signal -1
	s_barrier_wait -1
	s_and_saveexec_b32 s33, s65
	s_cbranch_execz .LBB75_440
; %bb.439:                              ;   in Loop: Header=BB75_3 Depth=1
	s_delay_alu instid0(VALU_DEP_2) | instskip(NEXT) | instid1(VALU_DEP_2)
	v_xor_b32_e32 v201, 0x80000000, v19
	v_xor_b32_e32 v203, 0x80000000, v21
	s_delay_alu instid0(VALU_DEP_3)
	v_dual_mov_b32 v200, v18 :: v_dual_mov_b32 v202, v20
	ds_store_b128 v179, v[200:203]
.LBB75_440:                             ;   in Loop: Header=BB75_3 Depth=1
	s_or_b32 exec_lo, exec_lo, s33
	s_wait_dscnt 0x0
	s_barrier_signal -1
	s_barrier_wait -1
	s_barrier_signal -1
	s_barrier_wait -1
	s_and_saveexec_b32 s33, s0
; %bb.441:                              ;   in Loop: Header=BB75_3 Depth=1
	ds_store_b128 v181, v[18:21] offset:1536
; %bb.442:                              ;   in Loop: Header=BB75_3 Depth=1
	s_or_b32 exec_lo, exec_lo, s33
	s_wait_dscnt 0x0
	s_barrier_signal -1
	s_barrier_wait -1
	s_barrier_signal -1
	s_barrier_wait -1
	s_and_saveexec_b32 s33, s66
	s_cbranch_execz .LBB75_444
; %bb.443:                              ;   in Loop: Header=BB75_3 Depth=1
	ds_load_b128 v[18:21], v110
	s_wait_dscnt 0x0
	ds_store_b128 v114, v[18:21]
	ds_load_b128 v[18:21], v111
	s_wait_dscnt 0x0
	ds_store_b128 v115, v[18:21]
.LBB75_444:                             ;   in Loop: Header=BB75_3 Depth=1
	s_or_b32 exec_lo, exec_lo, s33
	s_wait_dscnt 0x0
	s_barrier_signal -1
	s_barrier_wait -1
	s_and_saveexec_b32 s33, s27
	s_cbranch_execz .LBB75_446
; %bb.445:                              ;   in Loop: Header=BB75_3 Depth=1
	s_mov_b32 s36, s35
	s_mov_b32 s38, s35
	;; [unrolled: 1-line block ×3, first 2 shown]
	v_mov_b64_e32 v[18:19], s[36:37]
	v_mov_b64_e32 v[20:21], s[38:39]
	ds_store_b128 v3, v[18:21]
	ds_store_b128 v3, v[18:21] offset:528
	ds_load_b128 v[18:21], v3 offset:512
	s_wait_dscnt 0x0
	ds_store_b128 v3, v[18:21] offset:16
.LBB75_446:                             ;   in Loop: Header=BB75_3 Depth=1
	s_or_b32 exec_lo, exec_lo, s33
.LBB75_447:                             ;   in Loop: Header=BB75_3 Depth=1
	v_mov_b64_e32 v[18:19], 0
	s_mul_u64 s[38:39], s[52:53], s[34:35]
	s_wait_dscnt 0x0
	s_lshl_b64 s[38:39], s[38:39], 4
	s_barrier_signal -1
	s_add_nc_u64 s[38:39], s[46:47], s[38:39]
	s_barrier_wait -1
	v_mov_b64_e32 v[20:21], v[18:19]
	s_and_saveexec_b32 s33, s95
	s_cbranch_execz .LBB75_449
; %bb.448:                              ;   in Loop: Header=BB75_3 Depth=1
	v_lshl_add_u64 v[4:5], v[32:33], 4, s[38:39]
	global_load_b128 v[200:203], v[4:5], off
	s_wait_loadcnt 0x0
	v_mul_f64_e32 v[4:5], v[14:15], v[200:201]
	s_delay_alu instid0(VALU_DEP_1) | instskip(SKIP_1) | instid1(VALU_DEP_1)
	v_fma_f64 v[18:19], v[16:17], v[202:203], -v[4:5]
	v_mul_f64_e32 v[4:5], v[14:15], v[202:203]
	v_fma_f64 v[20:21], v[200:201], -v[16:17], -v[4:5]
.LBB75_449:                             ;   in Loop: Header=BB75_3 Depth=1
	s_or_b32 exec_lo, exec_lo, s33
	s_delay_alu instid0(SALU_CYCLE_1)
	s_and_not1_b32 vcc_lo, exec_lo, s17
	s_cbranch_vccnz .LBB75_472
; %bb.450:                              ;   in Loop: Header=BB75_3 Depth=1
	v_mov_b32_e32 v23, -1
	s_lshl_b64 s[56:57], s[34:35], 2
	s_mov_b32 s36, 0
	s_add_nc_u64 s[56:57], s[54:55], s[56:57]
	s_branch .LBB75_453
.LBB75_451:                             ;   in Loop: Header=BB75_453 Depth=2
	ds_load_b128 v[200:203], v194 offset:256
	s_wait_loadcnt_dscnt 0x0
	v_mul_f64_e32 v[4:5], v[16:17], v[202:203]
	v_mul_f64_e32 v[16:17], v[16:17], v[200:201]
	s_delay_alu instid0(VALU_DEP_2) | instskip(NEXT) | instid1(VALU_DEP_2)
	v_fmac_f64_e32 v[4:5], v[14:15], v[200:201]
	v_fma_f64 v[14:15], v[14:15], v[202:203], -v[16:17]
	s_delay_alu instid0(VALU_DEP_2) | instskip(NEXT) | instid1(VALU_DEP_2)
	v_add_f64_e32 v[18:19], v[18:19], v[4:5]
	v_add_f64_e32 v[20:21], v[20:21], v[14:15]
.LBB75_452:                             ;   in Loop: Header=BB75_453 Depth=2
	s_or_b32 exec_lo, exec_lo, s33
	s_add_co_i32 s36, s36, 1
	s_delay_alu instid0(SALU_CYCLE_1)
	s_cmp_eq_u32 s36, s60
	s_cbranch_scc1 .LBB75_472
.LBB75_453:                             ;   Parent Loop BB75_3 Depth=1
                                        ; =>  This Loop Header: Depth=2
                                        ;       Child Loop BB75_455 Depth 3
	v_cmp_gt_i32_e32 vcc_lo, s36, v23
	s_and_b32 s99, s30, vcc_lo
	s_delay_alu instid0(SALU_CYCLE_1)
	s_and_saveexec_b32 s33, s99
	s_cbranch_execz .LBB75_456
; %bb.454:                              ;   in Loop: Header=BB75_453 Depth=2
	global_load_b32 v23, v3, s[56:57]
	s_wait_loadcnt 0x0
	v_cmp_le_i32_e32 vcc_lo, s36, v23
	s_cbranch_vccnz .LBB75_456
.LBB75_455:                             ;   Parent Loop BB75_3 Depth=1
                                        ;     Parent Loop BB75_453 Depth=2
                                        ; =>    This Inner Loop Header: Depth=3
	global_wb scope:SCOPE_DEV
	s_wait_storecnt 0x0
	global_inv scope:SCOPE_DEV
	global_load_b32 v23, v3, s[56:57]
	s_wait_loadcnt 0x0
	v_cmp_gt_i32_e32 vcc_lo, s36, v23
	s_cbranch_vccnz .LBB75_455
.LBB75_456:                             ;   in Loop: Header=BB75_453 Depth=2
	s_or_b32 exec_lo, exec_lo, s33
	s_lshl_b32 s33, s36, 5
	global_wb scope:SCOPE_DEV
	s_wait_storecnt 0x0
	global_inv scope:SCOPE_DEV
	s_wait_loadcnt 0x0
	s_barrier_signal -1
	s_barrier_wait -1
	s_and_saveexec_b32 s99, s31
	s_cbranch_execz .LBB75_461
; %bb.457:                              ;   in Loop: Header=BB75_453 Depth=2
	v_or_b32_e32 v2, s33, v26
	s_delay_alu instid0(VALU_DEP_1) | instskip(SKIP_1) | instid1(SALU_CYCLE_1)
	v_cmp_le_i32_e32 vcc_lo, s59, v2
	s_and_saveexec_b32 s100, vcc_lo
	s_xor_b32 vcc_lo, exec_lo, s100
; %bb.458:                              ;   in Loop: Header=BB75_453 Depth=2
	v_dual_mov_b32 v2, v3 :: v_dual_mov_b32 v4, v3
	v_mov_b32_e32 v5, v3
	ds_store_b128 v176, v[2:5]
; %bb.459:                              ;   in Loop: Header=BB75_453 Depth=2
	s_and_not1_saveexec_b32 s100, vcc_lo
	s_cbranch_execz .LBB75_461
; %bb.460:                              ;   in Loop: Header=BB75_453 Depth=2
	v_mul_u64_e32 v[4:5], s[50:51], v[2:3]
	s_delay_alu instid0(VALU_DEP_1)
	v_lshl_add_u64 v[4:5], v[4:5], 4, s[38:39]
	global_load_b128 v[14:17], v[4:5], off
	s_wait_loadcnt 0x0
	ds_store_2addr_b64 v176, v[14:15], v[16:17] offset1:1
.LBB75_461:                             ;   in Loop: Header=BB75_453 Depth=2
	s_or_b32 exec_lo, exec_lo, s99
	v_add_nc_u32_e32 v2, s33, v22
	v_cmp_ne_u32_e32 vcc_lo, s36, v25
	s_wait_dscnt 0x0
	s_barrier_signal -1
	s_barrier_wait -1
	v_cmp_gt_i32_e64 s33, s59, v2
	v_lshl_add_u64 v[4:5], v[2:3], 4, v[42:43]
	v_cndmask_b32_e64 v200, 0, 1, vcc_lo
	s_and_b32 s99, s33, s5
	s_delay_alu instid0(SALU_CYCLE_1)
	s_and_saveexec_b32 s33, s99
	s_cbranch_execz .LBB75_467
; %bb.462:                              ;   in Loop: Header=BB75_453 Depth=2
	v_mov_b64_e32 v[14:15], v[6:7]
	s_and_not1_b32 vcc_lo, exec_lo, vcc_lo
	s_cbranch_vccnz .LBB75_464
; %bb.463:                              ;   in Loop: Header=BB75_453 Depth=2
	global_load_b64 v[14:15], v[4:5], off
.LBB75_464:                             ;   in Loop: Header=BB75_453 Depth=2
	v_cmp_ne_u32_e32 vcc_lo, 1, v200
	v_mov_b64_e32 v[16:17], v[8:9]
	s_cbranch_vccnz .LBB75_466
; %bb.465:                              ;   in Loop: Header=BB75_453 Depth=2
	global_load_b64 v[16:17], v[4:5], off offset:8
.LBB75_466:                             ;   in Loop: Header=BB75_453 Depth=2
	ds_load_b128 v[202:205], v194
	s_wait_loadcnt_dscnt 0x0
	v_mul_f64_e32 v[206:207], v[16:17], v[204:205]
	v_mul_f64_e32 v[16:17], v[16:17], v[202:203]
	s_delay_alu instid0(VALU_DEP_2) | instskip(NEXT) | instid1(VALU_DEP_2)
	v_fmac_f64_e32 v[206:207], v[14:15], v[202:203]
	v_fma_f64 v[14:15], v[14:15], v[204:205], -v[16:17]
	s_delay_alu instid0(VALU_DEP_2) | instskip(NEXT) | instid1(VALU_DEP_2)
	v_add_f64_e32 v[18:19], v[18:19], v[206:207]
	v_add_f64_e32 v[20:21], v[20:21], v[14:15]
.LBB75_467:                             ;   in Loop: Header=BB75_453 Depth=2
	s_or_b32 exec_lo, exec_lo, s33
	v_add_nc_u32_e32 v2, 16, v2
	s_delay_alu instid0(VALU_DEP_1) | instskip(SKIP_1) | instid1(SALU_CYCLE_1)
	v_cmp_gt_i32_e32 vcc_lo, s59, v2
	s_and_b32 s99, vcc_lo, s5
	s_and_saveexec_b32 s33, s99
	s_cbranch_execz .LBB75_452
; %bb.468:                              ;   in Loop: Header=BB75_453 Depth=2
	v_cmp_ne_u32_e32 vcc_lo, 1, v200
	v_mov_b64_e32 v[14:15], v[10:11]
	s_cbranch_vccnz .LBB75_470
; %bb.469:                              ;   in Loop: Header=BB75_453 Depth=2
	global_load_b64 v[14:15], v[4:5], off offset:256
.LBB75_470:                             ;   in Loop: Header=BB75_453 Depth=2
	v_cmp_ne_u32_e32 vcc_lo, 1, v200
	v_mov_b64_e32 v[16:17], v[12:13]
	s_cbranch_vccnz .LBB75_451
; %bb.471:                              ;   in Loop: Header=BB75_453 Depth=2
	global_load_b64 v[16:17], v[4:5], off offset:264
	s_branch .LBB75_451
.LBB75_472:                             ;   in Loop: Header=BB75_3 Depth=1
	ds_store_b128 v177, v[18:21]
	s_wait_dscnt 0x0
	s_barrier_signal -1
	s_barrier_wait -1
	s_and_saveexec_b32 s33, s1
	s_cbranch_execz .LBB75_474
; %bb.473:                              ;   in Loop: Header=BB75_3 Depth=1
	ds_load_b128 v[14:17], v198 offset:512
	s_wait_dscnt 0x0
	v_add_f64_e32 v[4:5], v[18:19], v[14:15]
	v_add_f64_e32 v[18:19], v[20:21], v[16:17]
	ds_load_b128 v[14:17], v198 offset:1024
	s_wait_dscnt 0x0
	v_add_f64_e32 v[4:5], v[4:5], v[14:15]
	v_add_f64_e32 v[18:19], v[18:19], v[16:17]
	;; [unrolled: 4-line block ×15, first 2 shown]
	s_delay_alu instid0(VALU_DEP_2) | instskip(NEXT) | instid1(VALU_DEP_2)
	v_xor_b32_e32 v2, 0x80000000, v5
	v_xor_b32_e32 v5, 0x80000000, v15
	s_delay_alu instid0(VALU_DEP_4) | instskip(NEXT) | instid1(VALU_DEP_4)
	v_cndmask_b32_e64 v18, v4, 0, s92
	v_cndmask_b32_e64 v20, v14, 0, s92
	s_delay_alu instid0(VALU_DEP_4) | instskip(NEXT) | instid1(VALU_DEP_4)
	v_cndmask_b32_e64 v19, v2, 0, s92
	v_cndmask_b32_e64 v21, v5, 0, s92
.LBB75_474:                             ;   in Loop: Header=BB75_3 Depth=1
	s_or_b32 exec_lo, exec_lo, s33
	s_delay_alu instid0(SALU_CYCLE_1)
	s_and_not1_b32 vcc_lo, exec_lo, s63
	s_cbranch_vccnz .LBB75_483
; %bb.475:                              ;   in Loop: Header=BB75_3 Depth=1
	s_and_saveexec_b32 s33, s1
; %bb.476:                              ;   in Loop: Header=BB75_3 Depth=1
	ds_store_b128 v199, v[18:21]
; %bb.477:                              ;   in Loop: Header=BB75_3 Depth=1
	s_or_b32 exec_lo, exec_lo, s33
	v_mov_b64_e32 v[14:15], 0
	v_mov_b64_e32 v[16:17], 0
	s_wait_dscnt 0x0
	s_barrier_signal -1
	s_barrier_wait -1
	s_and_saveexec_b32 s33, s6
	s_cbranch_execz .LBB75_479
; %bb.478:                              ;   in Loop: Header=BB75_3 Depth=1
	ds_load_b128 v[14:17], v194
	ds_load_b128 v[200:203], v195
	s_wait_dscnt 0x0
	v_mul_f64_e32 v[4:5], v[16:17], v[202:203]
	v_mul_f64_e32 v[42:43], v[14:15], v[202:203]
	s_delay_alu instid0(VALU_DEP_2) | instskip(NEXT) | instid1(VALU_DEP_2)
	v_fma_f64 v[4:5], v[14:15], v[200:201], -v[4:5]
	v_fmac_f64_e32 v[42:43], v[16:17], v[200:201]
	s_delay_alu instid0(VALU_DEP_2) | instskip(NEXT) | instid1(VALU_DEP_2)
	v_add_f64_e32 v[14:15], 0, v[4:5]
	v_add_f64_e32 v[16:17], 0, v[42:43]
.LBB75_479:                             ;   in Loop: Header=BB75_3 Depth=1
	s_or_b32 exec_lo, exec_lo, s33
	s_and_saveexec_b32 s33, s7
	s_cbranch_execz .LBB75_481
; %bb.480:                              ;   in Loop: Header=BB75_3 Depth=1
	ds_load_b128 v[200:203], v194 offset:256
	ds_load_b128 v[204:207], v195 offset:8192
	s_wait_dscnt 0x0
	v_mul_f64_e32 v[4:5], v[202:203], v[206:207]
	v_mul_f64_e32 v[42:43], v[200:201], v[206:207]
	s_delay_alu instid0(VALU_DEP_2) | instskip(NEXT) | instid1(VALU_DEP_2)
	v_fma_f64 v[4:5], v[200:201], v[204:205], -v[4:5]
	v_fmac_f64_e32 v[42:43], v[202:203], v[204:205]
	s_delay_alu instid0(VALU_DEP_2) | instskip(NEXT) | instid1(VALU_DEP_2)
	v_add_f64_e32 v[14:15], v[14:15], v[4:5]
	v_add_f64_e32 v[16:17], v[16:17], v[42:43]
.LBB75_481:                             ;   in Loop: Header=BB75_3 Depth=1
	s_or_b32 exec_lo, exec_lo, s33
	s_mov_b32 s36, 0
	s_mov_b32 s33, 0
	ds_store_b128 v177, v[14:17]
	s_wait_dscnt 0x0
	s_barrier_signal -1
	s_barrier_wait -1
                                        ; implicit-def: $vgpr4_vgpr5
                                        ; implicit-def: $vgpr42_vgpr43
	s_and_saveexec_b32 s56, s1
	s_cbranch_execz .LBB75_513
; %bb.482:                              ;   in Loop: Header=BB75_3 Depth=1
	ds_load_b128 v[200:203], v198 offset:512
	s_mov_b32 s33, exec_lo
	s_wait_dscnt 0x0
	v_add_f64_e32 v[4:5], v[14:15], v[200:201]
	v_add_f64_e32 v[42:43], v[16:17], v[202:203]
	ds_load_b128 v[14:17], v198 offset:1024
	s_wait_dscnt 0x0
	v_add_f64_e32 v[4:5], v[4:5], v[14:15]
	v_add_f64_e32 v[42:43], v[42:43], v[16:17]
	ds_load_b128 v[14:17], v198 offset:1536
	;; [unrolled: 4-line block ×14, first 2 shown]
	s_wait_dscnt 0x0
	v_add_f64_e32 v[42:43], v[4:5], v[14:15]
	v_add_f64_e32 v[4:5], v[200:201], v[16:17]
	s_or_b32 exec_lo, exec_lo, s56
	s_delay_alu instid0(SALU_CYCLE_1)
	s_and_b32 vcc_lo, exec_lo, s36
	s_cbranch_vccnz .LBB75_484
	s_branch .LBB75_514
.LBB75_483:                             ;   in Loop: Header=BB75_3 Depth=1
	s_mov_b32 s33, 0
                                        ; implicit-def: $vgpr4_vgpr5
                                        ; implicit-def: $vgpr42_vgpr43
	s_cbranch_execz .LBB75_514
.LBB75_484:                             ;   in Loop: Header=BB75_3 Depth=1
	v_dual_mov_b32 v2, v24 :: v_dual_mov_b32 v4, v27
	s_mov_b32 s36, 0
	s_branch .LBB75_486
.LBB75_485:                             ;   in Loop: Header=BB75_486 Depth=2
	s_or_b32 exec_lo, exec_lo, s56
	v_add_nc_u32_e32 v4, 0x400, v4
	v_add_nc_u32_e32 v2, -2, v2
	s_add_co_i32 s36, s36, 2
	s_delay_alu instid0(SALU_CYCLE_1)
	s_cmp_lg_u32 s36, 32
	s_barrier_signal -1
	s_barrier_wait -1
	s_cbranch_scc0 .LBB75_494
.LBB75_486:                             ;   Parent Loop BB75_3 Depth=1
                                        ; =>  This Inner Loop Header: Depth=2
	s_delay_alu instid0(VALU_DEP_1) | instskip(SKIP_1) | instid1(SALU_CYCLE_1)
	v_cmp_eq_u32_e32 vcc_lo, 0, v2
	s_and_b32 s57, s1, vcc_lo
	s_and_saveexec_b32 s56, s57
; %bb.487:                              ;   in Loop: Header=BB75_486 Depth=2
	ds_store_b128 v3, v[18:21] offset:25088
; %bb.488:                              ;   in Loop: Header=BB75_486 Depth=2
	s_or_b32 exec_lo, exec_lo, s56
	v_cmp_lt_u32_e32 vcc_lo, s36, v24
	s_wait_dscnt 0x0
	s_barrier_signal -1
	s_barrier_wait -1
	s_and_b32 s57, s1, vcc_lo
	s_delay_alu instid0(SALU_CYCLE_1)
	s_and_saveexec_b32 s56, s57
	s_cbranch_execz .LBB75_490
; %bb.489:                              ;   in Loop: Header=BB75_486 Depth=2
	ds_load_b128 v[14:17], v3 offset:25088
	ds_load_b128 v[200:203], v4
	s_wait_dscnt 0x0
	v_mul_f64_e32 v[42:43], v[16:17], v[202:203]
	s_delay_alu instid0(VALU_DEP_1) | instskip(SKIP_1) | instid1(VALU_DEP_2)
	v_fma_f64 v[42:43], v[14:15], v[200:201], -v[42:43]
	v_mul_f64_e32 v[14:15], v[14:15], v[202:203]
	v_add_f64_e32 v[18:19], v[18:19], v[42:43]
	s_delay_alu instid0(VALU_DEP_2) | instskip(NEXT) | instid1(VALU_DEP_1)
	v_fmac_f64_e32 v[14:15], v[16:17], v[200:201]
	v_add_f64_e32 v[20:21], v[20:21], v[14:15]
.LBB75_490:                             ;   in Loop: Header=BB75_486 Depth=2
	s_or_b32 exec_lo, exec_lo, s56
	s_or_b32 s56, s36, 1
	s_delay_alu instid0(SALU_CYCLE_1) | instskip(SKIP_3) | instid1(SALU_CYCLE_1)
	v_cmp_eq_u32_e32 vcc_lo, s56, v24
	s_barrier_signal -1
	s_barrier_wait -1
	s_and_b32 s99, s1, vcc_lo
	s_and_saveexec_b32 s57, s99
; %bb.491:                              ;   in Loop: Header=BB75_486 Depth=2
	ds_store_b128 v3, v[18:21] offset:25088
; %bb.492:                              ;   in Loop: Header=BB75_486 Depth=2
	s_or_b32 exec_lo, exec_lo, s57
	v_cmp_lt_u32_e32 vcc_lo, s56, v24
	s_wait_dscnt 0x0
	s_barrier_signal -1
	s_barrier_wait -1
	s_and_b32 s57, s1, vcc_lo
	s_delay_alu instid0(SALU_CYCLE_1)
	s_and_saveexec_b32 s56, s57
	s_cbranch_execz .LBB75_485
; %bb.493:                              ;   in Loop: Header=BB75_486 Depth=2
	ds_load_b128 v[14:17], v3 offset:25088
	ds_load_b128 v[200:203], v4 offset:512
	s_wait_dscnt 0x0
	v_mul_f64_e32 v[42:43], v[16:17], v[202:203]
	s_delay_alu instid0(VALU_DEP_1) | instskip(SKIP_1) | instid1(VALU_DEP_2)
	v_fma_f64 v[42:43], v[14:15], v[200:201], -v[42:43]
	v_mul_f64_e32 v[14:15], v[14:15], v[202:203]
	v_add_f64_e32 v[18:19], v[18:19], v[42:43]
	s_delay_alu instid0(VALU_DEP_2) | instskip(NEXT) | instid1(VALU_DEP_1)
	v_fmac_f64_e32 v[14:15], v[16:17], v[200:201]
	v_add_f64_e32 v[20:21], v[20:21], v[14:15]
	s_branch .LBB75_485
.LBB75_494:                             ;   in Loop: Header=BB75_3 Depth=1
	s_and_b32 vcc_lo, exec_lo, s62
	s_mov_b32 s36, -1
	s_cbranch_vccz .LBB75_496
; %bb.495:                              ;   in Loop: Header=BB75_3 Depth=1
	s_and_not1_b32 s33, s33, exec_lo
	s_and_b32 s56, s1, exec_lo
	s_mov_b32 s36, 0
	s_or_b32 s33, s33, s56
.LBB75_496:                             ;   in Loop: Header=BB75_3 Depth=1
	s_and_not1_b32 vcc_lo, exec_lo, s36
	s_cbranch_vccnz .LBB75_498
; %bb.497:                              ;   in Loop: Header=BB75_3 Depth=1
	v_readlane_b32 s36, v208, 13
	s_and_not1_b32 s33, s33, exec_lo
	s_and_b32 s36, s36, exec_lo
	s_delay_alu instid0(SALU_CYCLE_1)
	s_or_b32 s33, s33, s36
.LBB75_498:                             ;   in Loop: Header=BB75_3 Depth=1
	v_mov_b64_e32 v[4:5], v[0:1]
	s_and_saveexec_b32 s36, s33
	s_cbranch_execnz .LBB75_515
	s_branch .LBB75_516
.LBB75_499:                             ;   in Loop: Header=BB75_3 Depth=1
	s_and_saveexec_b32 s36, s28
; %bb.500:                              ;   in Loop: Header=BB75_3 Depth=1
	v_dual_mov_b32 v2, v3 :: v_dual_mov_b32 v4, v3
	v_mov_b32_e32 v5, v3
	ds_store_b128 v196, v[2:5]
; %bb.501:                              ;   in Loop: Header=BB75_3 Depth=1
	s_or_b32 exec_lo, exec_lo, s36
	s_and_not1_saveexec_b32 s33, s33
	s_cbranch_execz .LBB75_12
.LBB75_502:                             ;   in Loop: Header=BB75_3 Depth=1
	v_lshl_add_u64 v[4:5], v[40:41], 4, v[18:19]
	global_load_b128 v[200:203], v[4:5], off
	s_wait_loadcnt 0x0
	v_xor_b32_e32 v201, 0x80000000, v201
	ds_store_b128 v196, v[200:203]
	s_or_b32 exec_lo, exec_lo, s33
	s_and_saveexec_b32 s33, s7
	s_delay_alu instid0(SALU_CYCLE_1)
	s_xor_b32 s33, exec_lo, s33
	s_cbranch_execz .LBB75_13
.LBB75_503:                             ;   in Loop: Header=BB75_3 Depth=1
	s_and_saveexec_b32 s36, s29
; %bb.504:                              ;   in Loop: Header=BB75_3 Depth=1
	v_dual_mov_b32 v2, v3 :: v_dual_mov_b32 v4, v3
	v_mov_b32_e32 v5, v3
	ds_store_b128 v197, v[2:5]
; %bb.505:                              ;   in Loop: Header=BB75_3 Depth=1
	s_or_b32 exec_lo, exec_lo, s36
	s_and_not1_saveexec_b32 s33, s33
	s_cbranch_execnz .LBB75_14
	s_branch .LBB75_15
.LBB75_506:                             ;   in Loop: Header=BB75_3 Depth=1
	s_and_saveexec_b32 s36, s28
; %bb.507:                              ;   in Loop: Header=BB75_3 Depth=1
	v_dual_mov_b32 v2, v3 :: v_dual_mov_b32 v4, v3
	v_mov_b32_e32 v5, v3
	ds_store_b128 v193, v[2:5]
; %bb.508:                              ;   in Loop: Header=BB75_3 Depth=1
	s_or_b32 exec_lo, exec_lo, s36
	s_and_not1_saveexec_b32 s33, s33
	s_cbranch_execz .LBB75_19
.LBB75_509:                             ;   in Loop: Header=BB75_3 Depth=1
	v_lshl_add_u64 v[4:5], v[40:41], 4, v[18:19]
	global_load_b128 v[200:203], v[4:5], off
	s_wait_loadcnt 0x0
	v_xor_b32_e32 v201, 0x80000000, v201
	ds_store_b128 v193, v[200:203]
	s_or_b32 exec_lo, exec_lo, s33
	s_and_saveexec_b32 s33, s98
	s_delay_alu instid0(SALU_CYCLE_1)
	s_xor_b32 s33, exec_lo, s33
	s_cbranch_execz .LBB75_20
.LBB75_510:                             ;   in Loop: Header=BB75_3 Depth=1
	s_and_saveexec_b32 s36, s29
; %bb.511:                              ;   in Loop: Header=BB75_3 Depth=1
	v_dual_mov_b32 v2, v3 :: v_dual_mov_b32 v4, v3
	v_mov_b32_e32 v5, v3
	ds_store_b128 v197, v[2:5]
; %bb.512:                              ;   in Loop: Header=BB75_3 Depth=1
	s_or_b32 exec_lo, exec_lo, s36
                                        ; implicit-def: $vgpr18_vgpr19
	s_and_not1_saveexec_b32 s33, s33
	s_cbranch_execnz .LBB75_21
	s_branch .LBB75_22
.LBB75_513:                             ;   in Loop: Header=BB75_3 Depth=1
	s_or_b32 exec_lo, exec_lo, s56
	s_delay_alu instid0(SALU_CYCLE_1)
	s_and_b32 vcc_lo, exec_lo, s36
	s_cbranch_vccnz .LBB75_484
.LBB75_514:                             ;   in Loop: Header=BB75_3 Depth=1
	s_delay_alu instid0(VALU_DEP_1) | instskip(NEXT) | instid1(VALU_DEP_3)
	v_mov_b64_e32 v[20:21], v[4:5]
	v_mov_b64_e32 v[18:19], v[42:43]
	;; [unrolled: 1-line block ×3, first 2 shown]
	s_and_saveexec_b32 s36, s33
	s_cbranch_execz .LBB75_516
.LBB75_515:                             ;   in Loop: Header=BB75_3 Depth=1
	s_delay_alu instid0(VALU_DEP_1)
	v_lshl_add_u64 v[4:5], v[4:5], 4, s[38:39]
	global_store_b128 v[4:5], v[18:21], off
.LBB75_516:                             ;   in Loop: Header=BB75_3 Depth=1
	s_wait_xcnt 0x0
	s_or_b32 exec_lo, exec_lo, s36
	global_wb scope:SCOPE_DEV
	s_wait_storecnt 0x0
	global_inv scope:SCOPE_DEV
	s_wait_loadcnt 0x0
	s_barrier_signal -1
	s_barrier_wait -1
	s_and_saveexec_b32 s33, s30
	s_cbranch_execz .LBB75_2
; %bb.517:                              ;   in Loop: Header=BB75_3 Depth=1
	s_lshl_b64 s[38:39], s[34:35], 2
	s_delay_alu instid0(SALU_CYCLE_1)
	s_add_nc_u64 s[38:39], s[54:55], s[38:39]
	global_load_b32 v2, v3, s[38:39]
	s_wait_loadcnt 0x0
	v_add_nc_u32_e32 v2, 1, v2
	global_store_b32 v3, v2, s[38:39]
	s_branch .LBB75_2
.LBB75_518:                             ;   in Loop: Header=BB75_3 Depth=1
	ds_load_b128 v[200:203], v48 offset:16336
	ds_load_b128 v[204:207], v180 offset:15232
	s_wait_dscnt 0x0
	v_mul_f64_e32 v[4:5], v[202:203], v[206:207]
	s_delay_alu instid0(VALU_DEP_1) | instskip(SKIP_1) | instid1(VALU_DEP_2)
	v_fma_f64 v[4:5], v[200:201], v[204:205], -v[4:5]
	v_mul_f64_e32 v[200:201], v[200:201], v[206:207]
	v_add_f64_e32 v[18:19], v[18:19], v[4:5]
	s_delay_alu instid0(VALU_DEP_2) | instskip(NEXT) | instid1(VALU_DEP_1)
	v_fmac_f64_e32 v[200:201], v[202:203], v[204:205]
	v_add_f64_e32 v[20:21], v[20:21], v[200:201]
	s_or_b32 exec_lo, exec_lo, s36
	s_and_saveexec_b32 s36, s10
	s_cbranch_execz .LBB75_45
.LBB75_519:                             ;   in Loop: Header=BB75_3 Depth=1
	ds_load_b128 v[200:203], v48 offset:16352
	ds_load_b128 v[204:207], v180 offset:15744
	s_wait_dscnt 0x0
	v_mul_f64_e32 v[4:5], v[202:203], v[206:207]
	s_delay_alu instid0(VALU_DEP_1) | instskip(SKIP_1) | instid1(VALU_DEP_2)
	v_fma_f64 v[4:5], v[200:201], v[204:205], -v[4:5]
	v_mul_f64_e32 v[200:201], v[200:201], v[206:207]
	v_add_f64_e32 v[18:19], v[18:19], v[4:5]
	s_delay_alu instid0(VALU_DEP_2) | instskip(NEXT) | instid1(VALU_DEP_1)
	v_fmac_f64_e32 v[200:201], v[202:203], v[204:205]
	v_add_f64_e32 v[20:21], v[20:21], v[200:201]
	s_or_b32 exec_lo, exec_lo, s36
	s_and_saveexec_b32 s36, s0
	s_cbranch_execnz .LBB75_46
	s_branch .LBB75_47
.LBB75_520:                             ;   in Loop: Header=BB75_3 Depth=1
	ds_load_b128 v[200:203], v49 offset:16272
	ds_load_b128 v[204:207], v182 offset:13056
	s_wait_dscnt 0x0
	v_mul_f64_e32 v[4:5], v[202:203], v[206:207]
	s_delay_alu instid0(VALU_DEP_1) | instskip(SKIP_1) | instid1(VALU_DEP_2)
	v_fma_f64 v[4:5], v[200:201], v[204:205], -v[4:5]
	v_mul_f64_e32 v[200:201], v[200:201], v[206:207]
	v_add_f64_e32 v[18:19], v[18:19], v[4:5]
	s_delay_alu instid0(VALU_DEP_2) | instskip(NEXT) | instid1(VALU_DEP_1)
	v_fmac_f64_e32 v[200:201], v[202:203], v[204:205]
	v_add_f64_e32 v[20:21], v[20:21], v[200:201]
	s_or_b32 exec_lo, exec_lo, s36
	s_and_saveexec_b32 s36, s12
	s_cbranch_execz .LBB75_87
.LBB75_521:                             ;   in Loop: Header=BB75_3 Depth=1
	ds_load_b128 v[200:203], v49 offset:16288
	ds_load_b128 v[204:207], v182 offset:13568
	s_wait_dscnt 0x0
	v_mul_f64_e32 v[4:5], v[202:203], v[206:207]
	s_delay_alu instid0(VALU_DEP_1) | instskip(SKIP_1) | instid1(VALU_DEP_2)
	v_fma_f64 v[4:5], v[200:201], v[204:205], -v[4:5]
	v_mul_f64_e32 v[200:201], v[200:201], v[206:207]
	v_add_f64_e32 v[18:19], v[18:19], v[4:5]
	s_delay_alu instid0(VALU_DEP_2) | instskip(NEXT) | instid1(VALU_DEP_1)
	v_fmac_f64_e32 v[200:201], v[202:203], v[204:205]
	v_add_f64_e32 v[20:21], v[20:21], v[200:201]
	s_or_b32 exec_lo, exec_lo, s36
	s_and_saveexec_b32 s36, s13
	s_cbranch_execz .LBB75_88
.LBB75_522:                             ;   in Loop: Header=BB75_3 Depth=1
	ds_load_b128 v[200:203], v49 offset:16304
	ds_load_b128 v[204:207], v182 offset:14080
	s_wait_dscnt 0x0
	v_mul_f64_e32 v[4:5], v[202:203], v[206:207]
	s_delay_alu instid0(VALU_DEP_1) | instskip(SKIP_1) | instid1(VALU_DEP_2)
	v_fma_f64 v[4:5], v[200:201], v[204:205], -v[4:5]
	v_mul_f64_e32 v[200:201], v[200:201], v[206:207]
	v_add_f64_e32 v[18:19], v[18:19], v[4:5]
	s_delay_alu instid0(VALU_DEP_2) | instskip(NEXT) | instid1(VALU_DEP_1)
	v_fmac_f64_e32 v[200:201], v[202:203], v[204:205]
	v_add_f64_e32 v[20:21], v[20:21], v[200:201]
	s_or_b32 exec_lo, exec_lo, s36
	s_and_saveexec_b32 s36, s14
	s_cbranch_execz .LBB75_89
.LBB75_523:                             ;   in Loop: Header=BB75_3 Depth=1
	ds_load_b128 v[200:203], v49 offset:16320
	ds_load_b128 v[204:207], v182 offset:14592
	s_wait_dscnt 0x0
	v_mul_f64_e32 v[4:5], v[202:203], v[206:207]
	s_delay_alu instid0(VALU_DEP_1) | instskip(SKIP_1) | instid1(VALU_DEP_2)
	v_fma_f64 v[4:5], v[200:201], v[204:205], -v[4:5]
	v_mul_f64_e32 v[200:201], v[200:201], v[206:207]
	v_add_f64_e32 v[18:19], v[18:19], v[4:5]
	s_delay_alu instid0(VALU_DEP_2) | instskip(NEXT) | instid1(VALU_DEP_1)
	v_fmac_f64_e32 v[200:201], v[202:203], v[204:205]
	v_add_f64_e32 v[20:21], v[20:21], v[200:201]
	s_or_b32 exec_lo, exec_lo, s36
	s_and_saveexec_b32 s36, s15
	s_cbranch_execz .LBB75_90
.LBB75_524:                             ;   in Loop: Header=BB75_3 Depth=1
	ds_load_b128 v[200:203], v49 offset:16336
	ds_load_b128 v[204:207], v182 offset:15104
	s_wait_dscnt 0x0
	v_mul_f64_e32 v[4:5], v[202:203], v[206:207]
	s_delay_alu instid0(VALU_DEP_1) | instskip(SKIP_1) | instid1(VALU_DEP_2)
	v_fma_f64 v[4:5], v[200:201], v[204:205], -v[4:5]
	v_mul_f64_e32 v[200:201], v[200:201], v[206:207]
	v_add_f64_e32 v[18:19], v[18:19], v[4:5]
	s_delay_alu instid0(VALU_DEP_2) | instskip(NEXT) | instid1(VALU_DEP_1)
	v_fmac_f64_e32 v[200:201], v[202:203], v[204:205]
	v_add_f64_e32 v[20:21], v[20:21], v[200:201]
	s_or_b32 exec_lo, exec_lo, s36
	s_and_saveexec_b32 s36, s2
	s_cbranch_execz .LBB75_91
.LBB75_525:                             ;   in Loop: Header=BB75_3 Depth=1
	ds_load_b128 v[200:203], v49 offset:16352
	ds_load_b128 v[204:207], v182 offset:15616
	s_wait_dscnt 0x0
	v_mul_f64_e32 v[4:5], v[202:203], v[206:207]
	s_delay_alu instid0(VALU_DEP_1) | instskip(SKIP_1) | instid1(VALU_DEP_2)
	v_fma_f64 v[4:5], v[200:201], v[204:205], -v[4:5]
	v_mul_f64_e32 v[200:201], v[200:201], v[206:207]
	v_add_f64_e32 v[18:19], v[18:19], v[4:5]
	s_delay_alu instid0(VALU_DEP_2) | instskip(NEXT) | instid1(VALU_DEP_1)
	v_fmac_f64_e32 v[200:201], v[202:203], v[204:205]
	v_add_f64_e32 v[20:21], v[20:21], v[200:201]
	s_or_b32 exec_lo, exec_lo, s36
	s_and_saveexec_b32 s36, s10
	s_cbranch_execnz .LBB75_92
	s_branch .LBB75_93
.LBB75_526:                             ;   in Loop: Header=BB75_3 Depth=1
	ds_load_b128 v[200:203], v48 offset:12112
	ds_load_b128 v[204:207], v180 offset:11008
	s_wait_dscnt 0x0
	v_mul_f64_e32 v[4:5], v[202:203], v[206:207]
	s_delay_alu instid0(VALU_DEP_1) | instskip(SKIP_1) | instid1(VALU_DEP_2)
	v_fma_f64 v[4:5], v[200:201], v[204:205], -v[4:5]
	v_mul_f64_e32 v[200:201], v[200:201], v[206:207]
	v_add_f64_e32 v[18:19], v[18:19], v[4:5]
	s_delay_alu instid0(VALU_DEP_2) | instskip(NEXT) | instid1(VALU_DEP_1)
	v_fmac_f64_e32 v[200:201], v[202:203], v[204:205]
	v_add_f64_e32 v[20:21], v[20:21], v[200:201]
	s_or_b32 exec_lo, exec_lo, s36
	s_and_saveexec_b32 s36, s10
	s_cbranch_execz .LBB75_149
.LBB75_527:                             ;   in Loop: Header=BB75_3 Depth=1
	ds_load_b128 v[200:203], v48 offset:12128
	ds_load_b128 v[204:207], v180 offset:11520
	s_wait_dscnt 0x0
	v_mul_f64_e32 v[4:5], v[202:203], v[206:207]
	s_delay_alu instid0(VALU_DEP_1) | instskip(SKIP_1) | instid1(VALU_DEP_2)
	v_fma_f64 v[4:5], v[200:201], v[204:205], -v[4:5]
	v_mul_f64_e32 v[200:201], v[200:201], v[206:207]
	v_add_f64_e32 v[18:19], v[18:19], v[4:5]
	s_delay_alu instid0(VALU_DEP_2) | instskip(NEXT) | instid1(VALU_DEP_1)
	v_fmac_f64_e32 v[200:201], v[202:203], v[204:205]
	v_add_f64_e32 v[20:21], v[20:21], v[200:201]
	s_or_b32 exec_lo, exec_lo, s36
	s_and_saveexec_b32 s36, s0
	s_cbranch_execnz .LBB75_150
	s_branch .LBB75_151
.LBB75_528:                             ;   in Loop: Header=BB75_3 Depth=1
	ds_load_b128 v[200:203], v58 offset:16304
	ds_load_b128 v[204:207], v184 offset:13824
	s_wait_dscnt 0x0
	v_mul_f64_e32 v[4:5], v[202:203], v[206:207]
	s_delay_alu instid0(VALU_DEP_1) | instskip(SKIP_1) | instid1(VALU_DEP_2)
	v_fma_f64 v[4:5], v[200:201], v[204:205], -v[4:5]
	v_mul_f64_e32 v[200:201], v[200:201], v[206:207]
	v_add_f64_e32 v[18:19], v[18:19], v[4:5]
	s_delay_alu instid0(VALU_DEP_2) | instskip(NEXT) | instid1(VALU_DEP_1)
	v_fmac_f64_e32 v[200:201], v[202:203], v[204:205]
	v_add_f64_e32 v[20:21], v[20:21], v[200:201]
	s_or_b32 exec_lo, exec_lo, s36
	s_and_saveexec_b32 s36, s3
	s_cbranch_execz .LBB75_211
.LBB75_529:                             ;   in Loop: Header=BB75_3 Depth=1
	ds_load_b128 v[200:203], v58 offset:16320
	ds_load_b128 v[204:207], v184 offset:14336
	s_wait_dscnt 0x0
	v_mul_f64_e32 v[4:5], v[202:203], v[206:207]
	s_delay_alu instid0(VALU_DEP_1) | instskip(SKIP_1) | instid1(VALU_DEP_2)
	v_fma_f64 v[4:5], v[200:201], v[204:205], -v[4:5]
	v_mul_f64_e32 v[200:201], v[200:201], v[206:207]
	v_add_f64_e32 v[18:19], v[18:19], v[4:5]
	s_delay_alu instid0(VALU_DEP_2) | instskip(NEXT) | instid1(VALU_DEP_1)
	v_fmac_f64_e32 v[200:201], v[202:203], v[204:205]
	v_add_f64_e32 v[20:21], v[20:21], v[200:201]
	s_or_b32 exec_lo, exec_lo, s36
	s_and_saveexec_b32 s36, s12
	s_cbranch_execz .LBB75_212
.LBB75_530:                             ;   in Loop: Header=BB75_3 Depth=1
	ds_load_b128 v[200:203], v58 offset:16336
	ds_load_b128 v[204:207], v184 offset:14848
	s_wait_dscnt 0x0
	v_mul_f64_e32 v[4:5], v[202:203], v[206:207]
	s_delay_alu instid0(VALU_DEP_1) | instskip(SKIP_1) | instid1(VALU_DEP_2)
	v_fma_f64 v[4:5], v[200:201], v[204:205], -v[4:5]
	v_mul_f64_e32 v[200:201], v[200:201], v[206:207]
	v_add_f64_e32 v[18:19], v[18:19], v[4:5]
	s_delay_alu instid0(VALU_DEP_2) | instskip(NEXT) | instid1(VALU_DEP_1)
	v_fmac_f64_e32 v[200:201], v[202:203], v[204:205]
	v_add_f64_e32 v[20:21], v[20:21], v[200:201]
	s_or_b32 exec_lo, exec_lo, s36
	s_and_saveexec_b32 s36, s14
	s_cbranch_execz .LBB75_213
.LBB75_531:                             ;   in Loop: Header=BB75_3 Depth=1
	ds_load_b128 v[200:203], v58 offset:16352
	ds_load_b128 v[204:207], v184 offset:15360
	s_wait_dscnt 0x0
	v_mul_f64_e32 v[4:5], v[202:203], v[206:207]
	s_delay_alu instid0(VALU_DEP_1) | instskip(SKIP_1) | instid1(VALU_DEP_2)
	v_fma_f64 v[4:5], v[200:201], v[204:205], -v[4:5]
	v_mul_f64_e32 v[200:201], v[200:201], v[206:207]
	v_add_f64_e32 v[18:19], v[18:19], v[4:5]
	s_delay_alu instid0(VALU_DEP_2) | instskip(NEXT) | instid1(VALU_DEP_1)
	v_fmac_f64_e32 v[200:201], v[202:203], v[204:205]
	v_add_f64_e32 v[20:21], v[20:21], v[200:201]
	s_or_b32 exec_lo, exec_lo, s36
	s_and_saveexec_b32 s36, s2
	s_cbranch_execnz .LBB75_214
	s_branch .LBB75_215
.LBB75_532:                             ;   in Loop: Header=BB75_3 Depth=1
	ds_load_b128 v[200:203], v48 offset:7888
	ds_load_b128 v[204:207], v180 offset:6784
	s_wait_dscnt 0x0
	v_mul_f64_e32 v[4:5], v[202:203], v[206:207]
	s_delay_alu instid0(VALU_DEP_1) | instskip(SKIP_1) | instid1(VALU_DEP_2)
	v_fma_f64 v[4:5], v[200:201], v[204:205], -v[4:5]
	v_mul_f64_e32 v[200:201], v[200:201], v[206:207]
	v_add_f64_e32 v[18:19], v[18:19], v[4:5]
	s_delay_alu instid0(VALU_DEP_2) | instskip(NEXT) | instid1(VALU_DEP_1)
	v_fmac_f64_e32 v[200:201], v[202:203], v[204:205]
	v_add_f64_e32 v[20:21], v[20:21], v[200:201]
	s_or_b32 exec_lo, exec_lo, s36
	s_and_saveexec_b32 s36, s10
	s_cbranch_execz .LBB75_303
.LBB75_533:                             ;   in Loop: Header=BB75_3 Depth=1
	ds_load_b128 v[200:203], v48 offset:7904
	ds_load_b128 v[204:207], v180 offset:7296
	s_wait_dscnt 0x0
	v_mul_f64_e32 v[4:5], v[202:203], v[206:207]
	s_delay_alu instid0(VALU_DEP_1) | instskip(SKIP_1) | instid1(VALU_DEP_2)
	v_fma_f64 v[4:5], v[200:201], v[204:205], -v[4:5]
	v_mul_f64_e32 v[200:201], v[200:201], v[206:207]
	v_add_f64_e32 v[18:19], v[18:19], v[4:5]
	s_delay_alu instid0(VALU_DEP_2) | instskip(NEXT) | instid1(VALU_DEP_1)
	v_fmac_f64_e32 v[200:201], v[202:203], v[204:205]
	v_add_f64_e32 v[20:21], v[20:21], v[200:201]
	s_or_b32 exec_lo, exec_lo, s36
	s_and_saveexec_b32 s36, s0
	s_cbranch_execnz .LBB75_304
	s_branch .LBB75_305
.LBB75_534:                             ;   in Loop: Header=BB75_3 Depth=1
	ds_load_b128 v[200:203], v49 offset:7824
	ds_load_b128 v[204:207], v182 offset:4608
	s_wait_dscnt 0x0
	v_mul_f64_e32 v[4:5], v[202:203], v[206:207]
	s_delay_alu instid0(VALU_DEP_1) | instskip(SKIP_1) | instid1(VALU_DEP_2)
	v_fma_f64 v[4:5], v[200:201], v[204:205], -v[4:5]
	v_mul_f64_e32 v[200:201], v[200:201], v[206:207]
	v_add_f64_e32 v[18:19], v[18:19], v[4:5]
	s_delay_alu instid0(VALU_DEP_2) | instskip(NEXT) | instid1(VALU_DEP_1)
	v_fmac_f64_e32 v[200:201], v[202:203], v[204:205]
	v_add_f64_e32 v[20:21], v[20:21], v[200:201]
	s_or_b32 exec_lo, exec_lo, s36
	s_and_saveexec_b32 s36, s12
	s_cbranch_execz .LBB75_345
.LBB75_535:                             ;   in Loop: Header=BB75_3 Depth=1
	ds_load_b128 v[200:203], v49 offset:7840
	ds_load_b128 v[204:207], v182 offset:5120
	s_wait_dscnt 0x0
	v_mul_f64_e32 v[4:5], v[202:203], v[206:207]
	s_delay_alu instid0(VALU_DEP_1) | instskip(SKIP_1) | instid1(VALU_DEP_2)
	v_fma_f64 v[4:5], v[200:201], v[204:205], -v[4:5]
	v_mul_f64_e32 v[200:201], v[200:201], v[206:207]
	v_add_f64_e32 v[18:19], v[18:19], v[4:5]
	s_delay_alu instid0(VALU_DEP_2) | instskip(NEXT) | instid1(VALU_DEP_1)
	v_fmac_f64_e32 v[200:201], v[202:203], v[204:205]
	v_add_f64_e32 v[20:21], v[20:21], v[200:201]
	s_or_b32 exec_lo, exec_lo, s36
	s_and_saveexec_b32 s36, s13
	s_cbranch_execz .LBB75_346
.LBB75_536:                             ;   in Loop: Header=BB75_3 Depth=1
	ds_load_b128 v[200:203], v49 offset:7856
	ds_load_b128 v[204:207], v182 offset:5632
	s_wait_dscnt 0x0
	v_mul_f64_e32 v[4:5], v[202:203], v[206:207]
	s_delay_alu instid0(VALU_DEP_1) | instskip(SKIP_1) | instid1(VALU_DEP_2)
	v_fma_f64 v[4:5], v[200:201], v[204:205], -v[4:5]
	v_mul_f64_e32 v[200:201], v[200:201], v[206:207]
	v_add_f64_e32 v[18:19], v[18:19], v[4:5]
	s_delay_alu instid0(VALU_DEP_2) | instskip(NEXT) | instid1(VALU_DEP_1)
	v_fmac_f64_e32 v[200:201], v[202:203], v[204:205]
	v_add_f64_e32 v[20:21], v[20:21], v[200:201]
	s_or_b32 exec_lo, exec_lo, s36
	s_and_saveexec_b32 s36, s14
	s_cbranch_execz .LBB75_347
.LBB75_537:                             ;   in Loop: Header=BB75_3 Depth=1
	ds_load_b128 v[200:203], v49 offset:7872
	ds_load_b128 v[204:207], v182 offset:6144
	s_wait_dscnt 0x0
	v_mul_f64_e32 v[4:5], v[202:203], v[206:207]
	s_delay_alu instid0(VALU_DEP_1) | instskip(SKIP_1) | instid1(VALU_DEP_2)
	v_fma_f64 v[4:5], v[200:201], v[204:205], -v[4:5]
	v_mul_f64_e32 v[200:201], v[200:201], v[206:207]
	v_add_f64_e32 v[18:19], v[18:19], v[4:5]
	s_delay_alu instid0(VALU_DEP_2) | instskip(NEXT) | instid1(VALU_DEP_1)
	v_fmac_f64_e32 v[200:201], v[202:203], v[204:205]
	v_add_f64_e32 v[20:21], v[20:21], v[200:201]
	s_or_b32 exec_lo, exec_lo, s36
	s_and_saveexec_b32 s36, s15
	s_cbranch_execz .LBB75_348
.LBB75_538:                             ;   in Loop: Header=BB75_3 Depth=1
	ds_load_b128 v[200:203], v49 offset:7888
	ds_load_b128 v[204:207], v182 offset:6656
	s_wait_dscnt 0x0
	v_mul_f64_e32 v[4:5], v[202:203], v[206:207]
	s_delay_alu instid0(VALU_DEP_1) | instskip(SKIP_1) | instid1(VALU_DEP_2)
	v_fma_f64 v[4:5], v[200:201], v[204:205], -v[4:5]
	v_mul_f64_e32 v[200:201], v[200:201], v[206:207]
	v_add_f64_e32 v[18:19], v[18:19], v[4:5]
	s_delay_alu instid0(VALU_DEP_2) | instskip(NEXT) | instid1(VALU_DEP_1)
	v_fmac_f64_e32 v[200:201], v[202:203], v[204:205]
	v_add_f64_e32 v[20:21], v[20:21], v[200:201]
	s_or_b32 exec_lo, exec_lo, s36
	s_and_saveexec_b32 s36, s2
	s_cbranch_execz .LBB75_349
.LBB75_539:                             ;   in Loop: Header=BB75_3 Depth=1
	ds_load_b128 v[200:203], v49 offset:7904
	ds_load_b128 v[204:207], v182 offset:7168
	s_wait_dscnt 0x0
	v_mul_f64_e32 v[4:5], v[202:203], v[206:207]
	s_delay_alu instid0(VALU_DEP_1) | instskip(SKIP_1) | instid1(VALU_DEP_2)
	v_fma_f64 v[4:5], v[200:201], v[204:205], -v[4:5]
	v_mul_f64_e32 v[200:201], v[200:201], v[206:207]
	v_add_f64_e32 v[18:19], v[18:19], v[4:5]
	s_delay_alu instid0(VALU_DEP_2) | instskip(NEXT) | instid1(VALU_DEP_1)
	v_fmac_f64_e32 v[200:201], v[202:203], v[204:205]
	v_add_f64_e32 v[20:21], v[20:21], v[200:201]
	s_or_b32 exec_lo, exec_lo, s36
	s_and_saveexec_b32 s36, s10
	s_cbranch_execnz .LBB75_350
	s_branch .LBB75_351
.LBB75_540:                             ;   in Loop: Header=BB75_3 Depth=1
	ds_load_b128 v[200:203], v48 offset:3664
	ds_load_b128 v[204:207], v180 offset:2560
	s_wait_dscnt 0x0
	v_mul_f64_e32 v[4:5], v[202:203], v[206:207]
	s_delay_alu instid0(VALU_DEP_1) | instskip(SKIP_1) | instid1(VALU_DEP_2)
	v_fma_f64 v[4:5], v[200:201], v[204:205], -v[4:5]
	v_mul_f64_e32 v[200:201], v[200:201], v[206:207]
	v_add_f64_e32 v[18:19], v[18:19], v[4:5]
	s_delay_alu instid0(VALU_DEP_2) | instskip(NEXT) | instid1(VALU_DEP_1)
	v_fmac_f64_e32 v[200:201], v[202:203], v[204:205]
	v_add_f64_e32 v[20:21], v[20:21], v[200:201]
	s_or_b32 exec_lo, exec_lo, s36
	s_and_saveexec_b32 s36, s10
	s_cbranch_execz .LBB75_407
.LBB75_541:                             ;   in Loop: Header=BB75_3 Depth=1
	ds_load_b128 v[200:203], v48 offset:3680
	ds_load_b128 v[204:207], v180 offset:3072
	s_wait_dscnt 0x0
	v_mul_f64_e32 v[4:5], v[202:203], v[206:207]
	s_delay_alu instid0(VALU_DEP_1) | instskip(SKIP_1) | instid1(VALU_DEP_2)
	v_fma_f64 v[4:5], v[200:201], v[204:205], -v[4:5]
	v_mul_f64_e32 v[200:201], v[200:201], v[206:207]
	v_add_f64_e32 v[18:19], v[18:19], v[4:5]
	s_delay_alu instid0(VALU_DEP_2) | instskip(NEXT) | instid1(VALU_DEP_1)
	v_fmac_f64_e32 v[200:201], v[202:203], v[204:205]
	v_add_f64_e32 v[20:21], v[20:21], v[200:201]
	s_or_b32 exec_lo, exec_lo, s36
	s_and_saveexec_b32 s36, s0
	s_cbranch_execnz .LBB75_408
	s_branch .LBB75_409
.LBB75_542:
	s_endpgm
	.section	.rodata,"a",@progbits
	.p2align	6, 0x0
	.amdhsa_kernel _ZL19rocblas_trsv_deviceILi32ELi16ELb0ELb1ELb1ELb1E19rocblas_complex_numIdEPKS1_S3_PS1_EviT7_lllT6_T8_lllPii
		.amdhsa_group_segment_fixed_size 25104
		.amdhsa_private_segment_fixed_size 0
		.amdhsa_kernarg_size 352
		.amdhsa_user_sgpr_count 2
		.amdhsa_user_sgpr_dispatch_ptr 0
		.amdhsa_user_sgpr_queue_ptr 0
		.amdhsa_user_sgpr_kernarg_segment_ptr 1
		.amdhsa_user_sgpr_dispatch_id 0
		.amdhsa_user_sgpr_kernarg_preload_length 0
		.amdhsa_user_sgpr_kernarg_preload_offset 0
		.amdhsa_user_sgpr_private_segment_size 0
		.amdhsa_wavefront_size32 1
		.amdhsa_uses_dynamic_stack 0
		.amdhsa_enable_private_segment 0
		.amdhsa_system_sgpr_workgroup_id_x 1
		.amdhsa_system_sgpr_workgroup_id_y 0
		.amdhsa_system_sgpr_workgroup_id_z 1
		.amdhsa_system_sgpr_workgroup_info 0
		.amdhsa_system_vgpr_workitem_id 1
		.amdhsa_next_free_vgpr 209
		.amdhsa_next_free_sgpr 105
		.amdhsa_named_barrier_count 0
		.amdhsa_reserve_vcc 1
		.amdhsa_float_round_mode_32 0
		.amdhsa_float_round_mode_16_64 0
		.amdhsa_float_denorm_mode_32 3
		.amdhsa_float_denorm_mode_16_64 3
		.amdhsa_fp16_overflow 0
		.amdhsa_memory_ordered 1
		.amdhsa_forward_progress 1
		.amdhsa_inst_pref_size 186
		.amdhsa_round_robin_scheduling 0
		.amdhsa_exception_fp_ieee_invalid_op 0
		.amdhsa_exception_fp_denorm_src 0
		.amdhsa_exception_fp_ieee_div_zero 0
		.amdhsa_exception_fp_ieee_overflow 0
		.amdhsa_exception_fp_ieee_underflow 0
		.amdhsa_exception_fp_ieee_inexact 0
		.amdhsa_exception_int_div_zero 0
	.end_amdhsa_kernel
	.section	.text._ZL19rocblas_trsv_deviceILi32ELi16ELb0ELb1ELb1ELb1E19rocblas_complex_numIdEPKS1_S3_PS1_EviT7_lllT6_T8_lllPii,"axG",@progbits,_ZL19rocblas_trsv_deviceILi32ELi16ELb0ELb1ELb1ELb1E19rocblas_complex_numIdEPKS1_S3_PS1_EviT7_lllT6_T8_lllPii,comdat
.Lfunc_end75:
	.size	_ZL19rocblas_trsv_deviceILi32ELi16ELb0ELb1ELb1ELb1E19rocblas_complex_numIdEPKS1_S3_PS1_EviT7_lllT6_T8_lllPii, .Lfunc_end75-_ZL19rocblas_trsv_deviceILi32ELi16ELb0ELb1ELb1ELb1E19rocblas_complex_numIdEPKS1_S3_PS1_EviT7_lllT6_T8_lllPii
                                        ; -- End function
	.set _ZL19rocblas_trsv_deviceILi32ELi16ELb0ELb1ELb1ELb1E19rocblas_complex_numIdEPKS1_S3_PS1_EviT7_lllT6_T8_lllPii.num_vgpr, 209
	.set _ZL19rocblas_trsv_deviceILi32ELi16ELb0ELb1ELb1ELb1E19rocblas_complex_numIdEPKS1_S3_PS1_EviT7_lllT6_T8_lllPii.num_agpr, 0
	.set _ZL19rocblas_trsv_deviceILi32ELi16ELb0ELb1ELb1ELb1E19rocblas_complex_numIdEPKS1_S3_PS1_EviT7_lllT6_T8_lllPii.numbered_sgpr, 105
	.set _ZL19rocblas_trsv_deviceILi32ELi16ELb0ELb1ELb1ELb1E19rocblas_complex_numIdEPKS1_S3_PS1_EviT7_lllT6_T8_lllPii.num_named_barrier, 0
	.set _ZL19rocblas_trsv_deviceILi32ELi16ELb0ELb1ELb1ELb1E19rocblas_complex_numIdEPKS1_S3_PS1_EviT7_lllT6_T8_lllPii.private_seg_size, 0
	.set _ZL19rocblas_trsv_deviceILi32ELi16ELb0ELb1ELb1ELb1E19rocblas_complex_numIdEPKS1_S3_PS1_EviT7_lllT6_T8_lllPii.uses_vcc, 1
	.set _ZL19rocblas_trsv_deviceILi32ELi16ELb0ELb1ELb1ELb1E19rocblas_complex_numIdEPKS1_S3_PS1_EviT7_lllT6_T8_lllPii.uses_flat_scratch, 0
	.set _ZL19rocblas_trsv_deviceILi32ELi16ELb0ELb1ELb1ELb1E19rocblas_complex_numIdEPKS1_S3_PS1_EviT7_lllT6_T8_lllPii.has_dyn_sized_stack, 0
	.set _ZL19rocblas_trsv_deviceILi32ELi16ELb0ELb1ELb1ELb1E19rocblas_complex_numIdEPKS1_S3_PS1_EviT7_lllT6_T8_lllPii.has_recursion, 0
	.set _ZL19rocblas_trsv_deviceILi32ELi16ELb0ELb1ELb1ELb1E19rocblas_complex_numIdEPKS1_S3_PS1_EviT7_lllT6_T8_lllPii.has_indirect_call, 0
	.section	.AMDGPU.csdata,"",@progbits
; Kernel info:
; codeLenInByte = 23708
; TotalNumSgprs: 107
; NumVgprs: 209
; ScratchSize: 0
; MemoryBound: 1
; FloatMode: 240
; IeeeMode: 1
; LDSByteSize: 25104 bytes/workgroup (compile time only)
; SGPRBlocks: 0
; VGPRBlocks: 13
; NumSGPRsForWavesPerEU: 107
; NumVGPRsForWavesPerEU: 209
; NamedBarCnt: 0
; Occupancy: 4
; WaveLimiterHint : 0
; COMPUTE_PGM_RSRC2:SCRATCH_EN: 0
; COMPUTE_PGM_RSRC2:USER_SGPR: 2
; COMPUTE_PGM_RSRC2:TRAP_HANDLER: 0
; COMPUTE_PGM_RSRC2:TGID_X_EN: 1
; COMPUTE_PGM_RSRC2:TGID_Y_EN: 0
; COMPUTE_PGM_RSRC2:TGID_Z_EN: 1
; COMPUTE_PGM_RSRC2:TIDIG_COMP_CNT: 1
	.section	.text._ZL19rocblas_trsv_deviceILi32ELi16ELb0ELb0ELb0ELb0E19rocblas_complex_numIdEPKS1_S3_PS1_EviT7_lllT6_T8_lllPii,"axG",@progbits,_ZL19rocblas_trsv_deviceILi32ELi16ELb0ELb0ELb0ELb0E19rocblas_complex_numIdEPKS1_S3_PS1_EviT7_lllT6_T8_lllPii,comdat
	.globl	_ZL19rocblas_trsv_deviceILi32ELi16ELb0ELb0ELb0ELb0E19rocblas_complex_numIdEPKS1_S3_PS1_EviT7_lllT6_T8_lllPii ; -- Begin function _ZL19rocblas_trsv_deviceILi32ELi16ELb0ELb0ELb0ELb0E19rocblas_complex_numIdEPKS1_S3_PS1_EviT7_lllT6_T8_lllPii
	.p2align	8
	.type	_ZL19rocblas_trsv_deviceILi32ELi16ELb0ELb0ELb0ELb0E19rocblas_complex_numIdEPKS1_S3_PS1_EviT7_lllT6_T8_lllPii,@function
_ZL19rocblas_trsv_deviceILi32ELi16ELb0ELb0ELb0ELb0E19rocblas_complex_numIdEPKS1_S3_PS1_EviT7_lllT6_T8_lllPii: ; @_ZL19rocblas_trsv_deviceILi32ELi16ELb0ELb0ELb0ELb0E19rocblas_complex_numIdEPKS1_S3_PS1_EviT7_lllT6_T8_lllPii
; %bb.0:
	s_load_b32 s64, s[0:1], 0x58
	s_bfe_u32 s2, ttmp6, 0x40014
	s_lshr_b32 s3, ttmp7, 16
	s_add_co_i32 s2, s2, 1
	s_bfe_u32 s5, ttmp6, 0x40008
	s_mul_i32 s4, s3, s2
	s_getreg_b32 s2, hwreg(HW_REG_IB_STS2, 6, 4)
	s_add_co_i32 s5, s5, s4
	s_cmp_eq_u32 s2, 0
	s_mov_b32 s57, 0
	s_cselect_b32 s56, s3, s5
	s_wait_kmcnt 0x0
	s_cmp_ge_u32 s56, s64
	s_cbranch_scc1 .LBB76_544
; %bb.1:
	s_clause 0x3
	s_load_b512 s[36:51], s[0:1], 0x8
	s_load_b32 s3, s[0:1], 0x6c
	s_load_b32 s66, s[0:1], 0x60
	;; [unrolled: 1-line block ×3, first 2 shown]
	s_bfe_u32 s5, ttmp6, 0x4000c
	s_and_b32 s4, ttmp6, 15
	s_add_co_i32 s5, s5, 1
	s_load_b128 s[52:55], s[0:1], 0x48
	s_mul_i32 s5, ttmp9, s5
	v_bfe_u32 v40, v0, 10, 10
	s_add_co_i32 s6, s4, s5
	v_and_b32_e32 v26, 0x3ff, v0
	v_dual_mov_b32 v2, 0 :: v_dual_lshrrev_b32 v1, 10, v0
                                        ; implicit-def: $vgpr74 : SGPR spill to VGPR lane
	s_delay_alu instid0(VALU_DEP_3) | instskip(NEXT) | instid1(VALU_DEP_3)
	v_lshl_add_u32 v60, v40, 4, 0x6000
                                        ; implicit-def: $vgpr10_vgpr11
	v_lshl_add_u32 v3, v40, 5, v26
	s_delay_alu instid0(VALU_DEP_3) | instskip(NEXT) | instid1(VALU_DEP_4)
	v_dual_mov_b32 v29, v2 :: v_dual_mov_b32 v27, v2
	v_bitop3_b32 v12, v0, v1, 0x3ff bitop3:0xa8
	s_wait_kmcnt 0x0
	s_lshl_b64 s[0:1], s[38:39], 4
	s_lshl_b64 s[4:5], s[48:49], 4
	s_cmp_eq_u32 s2, 0
	s_add_nc_u64 s[38:39], s[36:37], s[0:1]
	s_cselect_b32 s65, ttmp9, s6
	s_add_co_i32 s2, s58, -1
	s_ashr_i32 s59, s58, 31
	s_and_b32 s6, s3, 0xffff
	s_ashr_i32 s3, s2, 31
	s_lshr_b32 s7, s59, 27
	s_lshr_b32 s3, s3, 27
	s_add_co_i32 s7, s58, s7
	s_add_co_i32 s66, s66, -1
	s_add_co_i32 s2, s2, s3
	s_and_not1_b32 s7, s7, 31
	s_sub_co_i32 s95, s66, s65
	s_ashr_i32 s2, s2, 5
	s_sub_co_i32 s11, s58, s7
	s_cmp_eq_u32 s2, s95
	s_add_nc_u64 s[46:47], s[46:47], s[4:5]
	s_cselect_b32 s2, -1, 0
	s_cmp_lg_u32 s11, 0
	v_lshlrev_b32_e32 v43, 4, v26
	s_cselect_b32 s3, -1, 0
	v_mad_u32_u24 v28, v40, s6, v26
	s_and_b32 s12, s3, s2
	s_add_nc_u64 s[2:3], s[40:41], 1
	s_xor_b32 s67, s12, -1
	s_cmp_lg_u32 s65, 0
	v_cmp_le_i32_e64 s10, s11, v26
	s_cselect_b32 s37, -1, 0
	s_lshl_b32 s8, s95, 5
	s_delay_alu instid0(SALU_CYCLE_1) | instskip(SKIP_3) | instid1(VALU_DEP_3)
	v_dual_lshrrev_b32 v8, 1, v3 :: v_dual_add_nc_u32 v9, s8, v40
	v_mad_nc_u64_u32 v[4:5], s2, s8, v[26:27]
	v_add_nc_u32_e32 v30, s8, v26
	s_ashr_i32 s9, s8, 31
	v_dual_lshlrev_b32 v1, 9, v8 :: v_dual_add_nc_u32 v6, 32, v9
	s_cmp_gt_i32 s65, 4
	s_delay_alu instid0(VALU_DEP_2)
	v_ashrrev_i32_e32 v31, 31, v30
	s_mul_i32 s0, s3, s8
	s_mul_i32 s1, s2, s9
	v_ashrrev_i32_e32 v7, 31, v6
	s_cselect_b32 s2, -1, 0
	v_add3_u32 v5, s1, s0, v5
	s_and_b32 s68, s2, s67
	v_lshl_add_u32 v27, v8, 4, 0x4000
	v_mul_u64_e32 v[32:33], s[40:41], v[6:7]
	v_and_b32_e32 v7, 1, v0
	v_cmp_gt_u32_e64 s0, 4, v3
	v_sub_nc_u32_e32 v42, 0, v1
	s_and_b32 s92, s10, s12
	v_cmp_gt_i32_e32 vcc_lo, s11, v26
	v_lshlrev_b32_e32 v41, 4, v7
	v_cmp_eq_u32_e64 s1, 1, v7
	v_cmp_eq_u32_e64 s2, 0, v7
	v_dual_lshrrev_b32 v7, 2, v3 :: v_dual_bitop2_b32 v8, 3, v0 bitop3:0x40
	s_delay_alu instid0(VALU_DEP_4)
	v_sub_nc_u32_e32 v44, v41, v1
	s_and_b32 s69, s1, s0
	s_and_b32 s70, s2, s0
	v_cmp_gt_u32_e64 s1, 16, v3
	v_cmp_eq_u32_e64 s2, 3, v8
	v_cmp_ne_u32_e64 s3, 3, v8
	v_cmp_eq_u32_e64 s4, 2, v8
	v_dual_lshlrev_b32 v1, 9, v7 :: v_dual_lshlrev_b32 v46, 4, v8
	s_and_b32 s71, s2, s1
	v_cmp_gt_u32_e64 s2, 2, v8
	s_and_b32 s72, s3, s1
	v_cmp_eq_u32_e64 s3, 1, v8
	s_and_b32 s73, s4, s1
	v_cmp_eq_u32_e64 s4, 0, v8
	v_dual_sub_nc_u32 v48, v46, v1 :: v_dual_bitop2_b32 v8, 7, v0 bitop3:0x40
	s_and_b32 s74, s2, s1
	s_and_b32 s75, s3, s1
	;; [unrolled: 1-line block ×3, first 2 shown]
	v_cmp_gt_u32_e64 s2, 64, v3
	v_cmp_eq_u32_e64 s3, 7, v8
	v_cmp_ne_u32_e64 s4, 7, v8
	v_lshl_add_u32 v45, v7, 4, 0x4000
	v_dual_sub_nc_u32 v47, 0, v1 :: v_dual_lshrrev_b32 v7, 3, v3
	v_cmp_eq_u32_e64 s5, 6, v8
	s_and_b32 s77, s3, s2
	s_and_b32 s78, s4, s2
	v_cmp_eq_u32_e64 s3, 5, v8
	v_cmp_gt_u32_e64 s4, 5, v8
	v_dual_lshlrev_b32 v50, 4, v8 :: v_dual_lshlrev_b32 v1, 9, v7
	s_and_b32 s79, s5, s2
	v_cmp_eq_u32_e64 s5, 4, v8
	s_and_b32 s81, s3, s2
	s_and_b32 s82, s4, s2
	v_cmp_gt_u32_e64 s3, 3, v8
	v_cmp_eq_u32_e64 s4, 2, v8
	v_dual_sub_nc_u32 v52, v50, v1 :: v_dual_bitop2_b32 v0, 15, v0 bitop3:0x40
	v_cmp_gt_u32_e64 s6, 6, v8
	s_and_b32 s83, s5, s2
	v_cmp_gt_u32_e64 s5, 2, v8
	s_and_b32 s86, s3, s2
	s_and_b32 s87, s4, s2
	v_cmp_gt_u32_e64 s3, 0x100, v3
	v_cmp_eq_u32_e64 s4, 15, v0
	s_and_b32 s80, s6, s2
	v_cmp_gt_u32_e64 s6, 4, v8
	s_and_b32 s88, s5, s2
	v_cmp_ne_u32_e64 s5, 15, v0
	s_and_b32 s4, s4, s3
	v_cmp_eq_u32_e64 s7, 3, v8
	v_writelane_b32 v74, s4, 0
	s_and_b32 s84, s6, s2
	v_cmp_eq_u32_e64 s6, 1, v8
	v_cmp_eq_u32_e64 s4, 14, v0
	s_and_b32 s5, s5, s3
	s_and_b32 s85, s7, s2
	v_writelane_b32 v74, s5, 1
	s_and_b32 s89, s6, s2
	v_cmp_gt_u32_e64 s6, 14, v0
	s_and_b32 s4, s4, s3
	v_cmp_eq_u32_e64 s7, 0, v8
	v_writelane_b32 v74, s4, 2
	v_cmp_eq_u32_e64 s5, 13, v0
	s_and_b32 s4, s6, s3
	v_cmp_eq_u32_e64 s6, 11, v0
	s_and_b32 s90, s7, s2
	v_writelane_b32 v74, s4, 3
	v_cmp_gt_u32_e64 s7, 13, v0
	s_and_b32 s5, s5, s3
	v_cmp_eq_u32_e64 s4, 12, v0
	v_lshl_add_u32 v49, v7, 4, 0x4000
	v_writelane_b32 v74, s5, 4
	s_and_b32 s5, s7, s3
	v_cmp_eq_u32_e64 s7, 10, v0
	s_and_b32 s4, s4, s3
	v_dual_sub_nc_u32 v51, 0, v1 :: v_dual_lshlrev_b32 v7, 5, v3
	v_writelane_b32 v74, s5, 5
	v_cmp_gt_u32_e64 s5, 12, v0
	v_and_b32_e32 v8, 0x7ff0, v3
	v_cmp_gt_u32_e64 s30, 0xf0, v3
	v_and_b32_e32 v7, 0xfffffe00, v7
	v_writelane_b32 v74, s4, 6
	s_and_b32 s5, s5, s3
	v_cmp_gt_u32_e64 s4, 11, v0
	s_delay_alu instid0(VALU_DEP_3)
	v_dual_lshlrev_b32 v54, 4, v0 :: v_dual_sub_nc_u32 v55, 0, v7
	v_writelane_b32 v74, s5, 7
	s_and_b32 s5, s6, s3
	s_and_b32 s4, s4, s3
	v_cmp_gt_u32_e64 s6, 9, v0
	v_add_nc_u32_e32 v53, 0x4000, v8
	v_writelane_b32 v74, s5, 8
	v_cmp_gt_u32_e64 s5, 10, v0
	v_mul_u64_e32 v[38:39], s[50:51], v[30:31]
	v_mad_nc_u64_u32 v[34:35], s40, v40, v[4:5]
	v_mul_u32_u24_e32 v57, 0x210, v26
	v_writelane_b32 v74, s4, 9
	s_and_b32 s4, s7, s3
	s_and_b32 s5, s5, s3
	v_cmp_gt_u32_e64 s7, 8, v0
	v_add_nc_u32_e32 v8, 16, v40
	v_writelane_b32 v74, s4, 10
	v_cmp_eq_u32_e64 s4, 9, v0
	v_cmp_gt_u32_e64 s48, 32, v12
	s_and_b32 s19, s7, s3
	v_cmp_eq_u32_e64 s7, 5, v0
	v_writelane_b32 v74, s5, 11
	s_and_b32 s4, s4, s3
	v_cmp_eq_u32_e64 s5, 8, v0
	v_mad_nc_u64_u32 v[36:37], s40, v8, v[4:5]
	s_and_b32 s24, s7, s3
	v_writelane_b32 v74, s4, 12
	s_and_b32 s4, s6, s3
	s_and_b32 vcc_hi, s5, s3
	v_cmp_gt_u32_e64 s5, 7, v0
	v_cmp_eq_u32_e64 s6, 6, v0
	v_writelane_b32 v74, s4, 13
	v_cmp_eq_u32_e64 s4, 7, v0
	v_cmp_gt_u32_e64 s7, 3, v0
	s_and_b32 s21, s5, s3
	v_cmp_gt_u32_e64 s5, 5, v0
	s_and_b32 s22, s6, s3
	s_and_b32 s20, s4, s3
	v_cmp_gt_u32_e64 s4, 6, v0
	v_cmp_gt_u32_e64 s6, 4, v0
	s_and_b32 s25, s5, s3
	v_cmp_eq_u32_e64 s5, 3, v0
	s_and_b32 s29, s7, s3
	s_and_b32 s23, s4, s3
	v_cmp_eq_u32_e64 s4, 4, v0
	s_and_b32 s27, s6, s3
	s_and_b32 s28, s5, s3
	v_cmp_gt_u32_e64 s5, 2, v0
	v_cmp_eq_u32_e64 s6, 1, v0
	s_and_b32 s26, s4, s3
	v_cmp_eq_u32_e64 s4, 2, v0
	v_cmp_eq_u32_e64 s7, 0, v0
	s_and_b32 s36, s5, s3
	s_xor_b32 s5, s92, -1
	v_add_nc_u64_e32 v[0:1], s[8:9], v[28:29]
	s_and_b32 s35, s4, s3
	v_cmp_eq_u32_e64 s4, 0, v40
	s_and_b32 s91, s6, s3
	s_and_b32 s93, s7, s3
	v_sub_nc_u32_e32 v29, v54, v7
	v_cmp_gt_i32_e64 s6, s58, v6
	s_and_b32 s9, s4, s5
	s_movk_i32 s5, 0x3c00
	s_cmp_gt_i32 s65, 0
	v_mad_u32_u24 v56, 0x210, v26, s5
	v_cmp_gt_i32_e64 s5, s58, v30
	s_cselect_b32 s94, -1, 0
	s_and_b32 s8, s4, vcc_lo
	v_cmp_le_i32_e32 vcc_lo, s11, v40
	v_dual_add_nc_u32 v7, 48, v9 :: v_dual_lshlrev_b32 v9, 9, v26
	v_writelane_b32 v74, s8, 14
	s_and_b32 s96, s5, s6
	v_cmp_le_i32_e64 s8, s11, v8
	v_cmp_le_u32_e64 s6, v40, v26
	s_or_b32 s11, vcc_lo, s10
	v_cmp_gt_i32_e64 s7, s58, v7
	v_mul_u64_e32 v[0:1], s[50:51], v[0:1]
	s_or_b32 s12, s8, s10
	s_or_b32 s8, s11, s6
	v_cmp_ne_u32_e64 s11, v26, v40
	s_and_b32 s97, s5, s7
	v_cmp_le_u32_e64 s7, v8, v26
	v_dual_sub_nc_u32 v58, 0, v9 :: v_dual_sub_nc_u32 v4, v57, v9
	v_writelane_b32 v74, s11, 15
	s_or_b32 s11, s10, s11
	s_or_b32 s98, s12, s7
	v_cmp_ne_u32_e64 s12, v26, v8
	v_lshl_add_u32 v62, v8, 9, v4
	v_writelane_b32 v74, s11, 16
	v_or_b32_e32 v4, v8, v26
	v_mad_u32 v35, s41, v40, v35
	s_or_b32 s10, s10, s12
	v_mad_u32 v37, s41, v8, v37
	v_writelane_b32 v74, s12, 17
	v_lshl_add_u32 v59, v28, 4, 0x6000
	v_lshl_add_u32 v61, v3, 4, 0x4000
	v_add_nc_u32_e32 v63, 0x4000, v43
	v_lshl_add_u32 v64, v40, 9, v43
	v_writelane_b32 v74, s10, 18
	v_add_nc_u32_e32 v65, v60, v43
	v_cmp_eq_u32_e64 s10, 0, v12
	v_cmp_gt_u32_e64 s11, 2, v3
	v_cmp_gt_u32_e64 s12, 12, v3
	v_writelane_b32 v74, s30, 19
	v_cmp_gt_u32_e64 s30, 0xe0, v3
	v_cmp_gt_u32_e64 s13, 8, v3
	;; [unrolled: 1-line block ×5, first 2 shown]
	v_writelane_b32 v74, s30, 20
	v_cmp_gt_u32_e64 s30, 0xd0, v3
	v_cmp_gt_u32_e64 s17, 32, v3
	;; [unrolled: 1-line block ×4, first 2 shown]
	v_cmp_le_u32_e64 s33, v26, v40
	v_writelane_b32 v74, s30, 21
	v_cmp_gt_u32_e64 s30, 0xc0, v3
	v_cmp_le_u32_e64 s34, v26, v8
	s_add_co_i32 s95, s95, 1
                                        ; implicit-def: $vgpr6_vgpr7
	v_writelane_b32 v74, s30, 22
	v_cmp_gt_u32_e64 s30, 0xb0, v3
	s_delay_alu instid0(VALU_DEP_1) | instskip(SKIP_1) | instid1(VALU_DEP_1)
	v_writelane_b32 v74, s30, 23
	v_cmp_gt_u32_e64 s30, 0xa0, v3
	v_writelane_b32 v74, s30, 24
	v_cmp_gt_u32_e64 s30, 0x90, v3
	s_delay_alu instid0(VALU_DEP_1) | instskip(SKIP_1) | instid1(VALU_DEP_1)
	v_writelane_b32 v74, s30, 25
	v_cmp_gt_u32_e64 s30, 0x80, v3
	;; [unrolled: 5-line block ×3, first 2 shown]
	v_writelane_b32 v74, s30, 28
	v_cmp_gt_u32_e64 s30, 0x50, v3
	s_delay_alu instid0(VALU_DEP_1) | instskip(SKIP_3) | instid1(VALU_DEP_1)
	v_writelane_b32 v74, s30, 29
	v_cmp_eq_u32_e64 s30, 0, v28
	v_writelane_b32 v74, s48, 30
	v_cmp_gt_u32_e64 s48, 32, v4
	v_writelane_b32 v74, s48, 31
	s_lshl_b64 s[48:49], s[40:41], 8
	s_branch .LBB76_3
.LBB76_2:                               ;   in Loop: Header=BB76_3 Depth=1
	s_wait_xcnt 0x0
	s_or_b32 exec_lo, exec_lo, s60
	s_add_co_i32 s56, s56, 0x10000
	global_wb scope:SCOPE_DEV
	s_wait_storecnt 0x0
	global_inv scope:SCOPE_DEV
	s_cmp_lt_u32 s56, s64
	s_cbranch_scc0 .LBB76_544
.LBB76_3:                               ; =>This Loop Header: Depth=1
                                        ;     Child Loop BB76_425 Depth 2
                                        ;       Child Loop BB76_427 Depth 3
                                        ;     Child Loop BB76_458 Depth 2
	global_load_b128 v[14:17], v2, s[44:45]
	s_mul_u64 s[60:61], s[42:43], s[56:57]
	s_and_not1_b32 vcc_lo, exec_lo, s37
	s_lshl_b64 s[60:61], s[60:61], 4
	s_delay_alu instid0(SALU_CYCLE_1)
	s_add_nc_u64 s[60:61], s[38:39], s[60:61]
	s_cbranch_vccnz .LBB76_9
; %bb.4:                                ;   in Loop: Header=BB76_3 Depth=1
	v_lshl_add_u64 v[4:5], v[32:33], 4, s[60:61]
	v_mov_b64_e32 v[12:13], 0
	v_mov_b64_e32 v[6:7], 0
	;; [unrolled: 1-line block ×3, first 2 shown]
	s_wait_loadcnt 0x0
	v_lshl_add_u64 v[4:5], v[30:31], 4, v[4:5]
	s_barrier_signal -1
	s_barrier_wait -1
	s_wait_xcnt 0x0
	s_and_saveexec_b32 s62, s96
	s_cbranch_execz .LBB76_6
; %bb.5:                                ;   in Loop: Header=BB76_3 Depth=1
	global_load_b128 v[6:9], v[4:5], off
.LBB76_6:                               ;   in Loop: Header=BB76_3 Depth=1
	s_wait_xcnt 0x0
	s_or_b32 exec_lo, exec_lo, s62
	v_mov_b64_e32 v[10:11], 0
	s_wait_loadcnt 0x0
	s_barrier_signal -1
	s_barrier_wait -1
	s_and_saveexec_b32 s62, s97
	s_cbranch_execz .LBB76_8
; %bb.7:                                ;   in Loop: Header=BB76_3 Depth=1
	v_add_nc_u64_e32 v[4:5], s[48:49], v[4:5]
	global_load_b128 v[10:13], v[4:5], off
.LBB76_8:                               ;   in Loop: Header=BB76_3 Depth=1
	s_wait_xcnt 0x0
	s_or_b32 exec_lo, exec_lo, s62
.LBB76_9:                               ;   in Loop: Header=BB76_3 Depth=1
	s_delay_alu instid0(SALU_CYCLE_1)
	s_and_not1_b32 vcc_lo, exec_lo, s67
	s_mov_b32 s62, -1
	s_cbranch_vccnz .LBB76_17
; %bb.10:                               ;   in Loop: Header=BB76_3 Depth=1
	s_mov_b32 s63, 0
                                        ; implicit-def: $vgpr20_vgpr21
	s_wait_xcnt 0x0
	s_and_saveexec_b32 s62, s6
	s_delay_alu instid0(SALU_CYCLE_1)
	s_xor_b32 s62, exec_lo, s62
	s_cbranch_execnz .LBB76_472
; %bb.11:                               ;   in Loop: Header=BB76_3 Depth=1
	s_and_not1_saveexec_b32 s62, s62
	s_cbranch_execnz .LBB76_481
.LBB76_12:                              ;   in Loop: Header=BB76_3 Depth=1
	s_or_b32 exec_lo, exec_lo, s62
	s_and_saveexec_b32 s62, s63
	s_cbranch_execnz .LBB76_482
.LBB76_13:                              ;   in Loop: Header=BB76_3 Depth=1
	s_or_b32 exec_lo, exec_lo, s62
	s_and_saveexec_b32 s62, s7
	s_delay_alu instid0(SALU_CYCLE_1)
	s_xor_b32 s62, exec_lo, s62
	s_cbranch_execnz .LBB76_483
.LBB76_14:                              ;   in Loop: Header=BB76_3 Depth=1
	s_and_not1_saveexec_b32 s62, s62
	s_cbranch_execz .LBB76_16
.LBB76_15:                              ;   in Loop: Header=BB76_3 Depth=1
	v_lshl_add_u64 v[4:5], v[36:37], 4, s[60:61]
	global_load_b128 v[18:21], v[4:5], off
	s_wait_loadcnt 0x0
	v_xor_b32_e32 v19, 0x80000000, v19
	v_xor_b32_e32 v21, 0x80000000, v21
	ds_store_b128 v62, v[18:21]
.LBB76_16:                              ;   in Loop: Header=BB76_3 Depth=1
	s_or_b32 exec_lo, exec_lo, s62
	s_mov_b32 s62, 0
.LBB76_17:                              ;   in Loop: Header=BB76_3 Depth=1
	s_delay_alu instid0(SALU_CYCLE_1)
	s_and_b32 vcc_lo, exec_lo, s62
	s_cbranch_vccz .LBB76_25
; %bb.18:                               ;   in Loop: Header=BB76_3 Depth=1
	s_mov_b32 s63, 0
                                        ; implicit-def: $vgpr20_vgpr21
	s_wait_xcnt 0x0
	s_and_saveexec_b32 s62, s8
	s_delay_alu instid0(SALU_CYCLE_1)
	s_xor_b32 s62, exec_lo, s62
	s_cbranch_execnz .LBB76_494
; %bb.19:                               ;   in Loop: Header=BB76_3 Depth=1
	s_and_not1_saveexec_b32 s62, s62
	s_cbranch_execnz .LBB76_503
.LBB76_20:                              ;   in Loop: Header=BB76_3 Depth=1
	s_or_b32 exec_lo, exec_lo, s62
	s_and_saveexec_b32 s62, s63
	s_cbranch_execnz .LBB76_504
.LBB76_21:                              ;   in Loop: Header=BB76_3 Depth=1
	s_or_b32 exec_lo, exec_lo, s62
	s_and_saveexec_b32 s62, s98
	s_delay_alu instid0(SALU_CYCLE_1)
	s_xor_b32 s62, exec_lo, s62
	s_cbranch_execnz .LBB76_505
.LBB76_22:                              ;   in Loop: Header=BB76_3 Depth=1
	s_and_not1_saveexec_b32 s62, s62
	s_cbranch_execz .LBB76_24
.LBB76_23:                              ;   in Loop: Header=BB76_3 Depth=1
	v_lshl_add_u64 v[4:5], v[36:37], 4, s[60:61]
	global_load_b128 v[18:21], v[4:5], off
	s_wait_loadcnt 0x0
	v_xor_b32_e32 v19, 0x80000000, v19
	v_xor_b32_e32 v21, 0x80000000, v21
	ds_store_b128 v62, v[18:21]
.LBB76_24:                              ;   in Loop: Header=BB76_3 Depth=1
	s_or_b32 exec_lo, exec_lo, s62
.LBB76_25:                              ;   in Loop: Header=BB76_3 Depth=1
	s_delay_alu instid0(SALU_CYCLE_1)
	s_and_not1_b32 vcc_lo, exec_lo, s68
	s_wait_loadcnt_dscnt 0x0
	s_barrier_signal -1
	s_barrier_wait -1
	s_cbranch_vccnz .LBB76_419
; %bb.26:                               ;   in Loop: Header=BB76_3 Depth=1
	s_and_saveexec_b32 s62, s10
	s_cbranch_execz .LBB76_28
; %bb.27:                               ;   in Loop: Header=BB76_3 Depth=1
	ds_load_b128 v[18:21], v2 offset:16368
	ds_load_b128 v[22:25], v2 offset:15840
	;; [unrolled: 1-line block ×3, first 2 shown]
	s_wait_dscnt 0x1
	v_mul_f64_e32 v[4:5], v[18:19], v[24:25]
	v_mul_f64_e32 v[24:25], v[20:21], v[24:25]
	s_delay_alu instid0(VALU_DEP_2) | instskip(NEXT) | instid1(VALU_DEP_2)
	v_fmac_f64_e32 v[4:5], v[20:21], v[22:23]
	v_fma_f64 v[18:19], v[18:19], v[22:23], -v[24:25]
	s_wait_dscnt 0x0
	s_delay_alu instid0(VALU_DEP_2) | instskip(NEXT) | instid1(VALU_DEP_2)
	v_mul_f64_e32 v[22:23], v[4:5], v[68:69]
	v_mul_f64_e32 v[20:21], v[18:19], v[68:69]
	s_delay_alu instid0(VALU_DEP_2) | instskip(NEXT) | instid1(VALU_DEP_2)
	v_fma_f64 v[18:19], v[66:67], v[18:19], -v[22:23]
	v_fmac_f64_e32 v[20:21], v[66:67], v[4:5]
	ds_store_b128 v2, v[18:21] offset:16352
.LBB76_28:                              ;   in Loop: Header=BB76_3 Depth=1
	s_or_b32 exec_lo, exec_lo, s62
	v_mov_b64_e32 v[18:19], 0
	v_mov_b64_e32 v[20:21], 0
	s_wait_dscnt 0x0
	s_barrier_signal -1
	s_barrier_wait -1
	global_wb scope:SCOPE_DEV
	s_wait_storecnt 0x0
	global_inv scope:SCOPE_DEV
	s_and_saveexec_b32 s62, s0
	s_cbranch_execz .LBB76_32
; %bb.29:                               ;   in Loop: Header=BB76_3 Depth=1
	ds_load_b128 v[18:21], v42 offset:16352
	ds_load_b128 v[22:25], v41 offset:15808
	s_wait_dscnt 0x0
	v_mul_f64_e32 v[4:5], v[20:21], v[24:25]
	v_mul_f64_e32 v[24:25], v[18:19], v[24:25]
	s_delay_alu instid0(VALU_DEP_2) | instskip(NEXT) | instid1(VALU_DEP_2)
	v_fma_f64 v[4:5], v[18:19], v[22:23], -v[4:5]
	v_fmac_f64_e32 v[24:25], v[20:21], v[22:23]
	s_delay_alu instid0(VALU_DEP_2) | instskip(NEXT) | instid1(VALU_DEP_2)
	v_add_f64_e32 v[18:19], 0, v[4:5]
	v_add_f64_e32 v[20:21], 0, v[24:25]
	s_and_saveexec_b32 s63, s11
	s_cbranch_execz .LBB76_31
; %bb.30:                               ;   in Loop: Header=BB76_3 Depth=1
	ds_load_b128 v[22:25], v2 offset:16368
	ds_load_b128 v[66:69], v43 offset:16320
	s_wait_dscnt 0x0
	v_mul_f64_e32 v[4:5], v[24:25], v[68:69]
	v_mul_f64_e32 v[68:69], v[22:23], v[68:69]
	s_delay_alu instid0(VALU_DEP_2) | instskip(NEXT) | instid1(VALU_DEP_2)
	v_fma_f64 v[4:5], v[22:23], v[66:67], -v[4:5]
	v_fmac_f64_e32 v[68:69], v[24:25], v[66:67]
	s_delay_alu instid0(VALU_DEP_2) | instskip(NEXT) | instid1(VALU_DEP_2)
	v_add_f64_e32 v[18:19], v[18:19], v[4:5]
	v_add_f64_e32 v[20:21], v[20:21], v[68:69]
.LBB76_31:                              ;   in Loop: Header=BB76_3 Depth=1
	s_or_b32 exec_lo, exec_lo, s63
.LBB76_32:                              ;   in Loop: Header=BB76_3 Depth=1
	s_delay_alu instid0(SALU_CYCLE_1)
	s_or_b32 exec_lo, exec_lo, s62
	s_and_saveexec_b32 s62, s69
	s_cbranch_execz .LBB76_34
; %bb.33:                               ;   in Loop: Header=BB76_3 Depth=1
	ds_load_b128 v[22:25], v2 offset:15312
	s_wait_dscnt 0x0
	v_mul_f64_e32 v[66:67], v[18:19], v[24:25]
	s_delay_alu instid0(VALU_DEP_1) | instskip(NEXT) | instid1(VALU_DEP_1)
	v_fmac_f64_e32 v[66:67], v[20:21], v[22:23]
	v_dual_mul_f64 v[4:5], v[20:21], v[24:25] :: v_dual_mov_b32 v24, v66
	s_delay_alu instid0(VALU_DEP_1) | instskip(NEXT) | instid1(VALU_DEP_3)
	v_fma_f64 v[4:5], v[18:19], v[22:23], -v[4:5]
	v_mov_b64_e32 v[20:21], v[66:67]
	v_xor_b32_e32 v25, 0x80000000, v67
	s_delay_alu instid0(VALU_DEP_3)
	v_mov_b64_e32 v[18:19], v[4:5]
	v_xor_b32_e32 v23, 0x80000000, v5
	v_mov_b32_e32 v22, v4
	ds_store_b128 v27, v[22:25]
.LBB76_34:                              ;   in Loop: Header=BB76_3 Depth=1
	s_or_b32 exec_lo, exec_lo, s62
	s_wait_loadcnt_dscnt 0x0
	s_barrier_signal -1
	s_barrier_wait -1
	s_and_saveexec_b32 s62, s70
	s_cbranch_execz .LBB76_36
; %bb.35:                               ;   in Loop: Header=BB76_3 Depth=1
	ds_load_b128 v[22:25], v27
	ds_load_b128 v[66:69], v2 offset:15296
	s_wait_dscnt 0x0
	v_mul_f64_e32 v[4:5], v[24:25], v[68:69]
	v_mul_f64_e32 v[68:69], v[22:23], v[68:69]
	s_delay_alu instid0(VALU_DEP_2) | instskip(NEXT) | instid1(VALU_DEP_2)
	v_fma_f64 v[4:5], v[22:23], v[66:67], -v[4:5]
	v_fmac_f64_e32 v[68:69], v[24:25], v[66:67]
	s_delay_alu instid0(VALU_DEP_2) | instskip(NEXT) | instid1(VALU_DEP_2)
	v_add_f64_e64 v[18:19], v[18:19], -v[4:5]
	v_add_f64_e64 v[20:21], v[20:21], -v[68:69]
.LBB76_36:                              ;   in Loop: Header=BB76_3 Depth=1
	s_or_b32 exec_lo, exec_lo, s62
	s_barrier_signal -1
	s_barrier_wait -1
	s_and_saveexec_b32 s62, s70
	s_cbranch_execz .LBB76_38
; %bb.37:                               ;   in Loop: Header=BB76_3 Depth=1
	ds_load_b128 v[22:25], v2 offset:14784
	s_wait_dscnt 0x0
	v_mul_f64_e32 v[66:67], v[18:19], v[24:25]
	s_delay_alu instid0(VALU_DEP_1) | instskip(NEXT) | instid1(VALU_DEP_1)
	v_fmac_f64_e32 v[66:67], v[20:21], v[22:23]
	v_dual_mul_f64 v[4:5], v[20:21], v[24:25] :: v_dual_mov_b32 v24, v66
	s_delay_alu instid0(VALU_DEP_1) | instskip(NEXT) | instid1(VALU_DEP_3)
	v_fma_f64 v[4:5], v[18:19], v[22:23], -v[4:5]
	v_mov_b64_e32 v[20:21], v[66:67]
	v_xor_b32_e32 v25, 0x80000000, v67
	s_delay_alu instid0(VALU_DEP_3)
	v_mov_b64_e32 v[18:19], v[4:5]
	v_xor_b32_e32 v23, 0x80000000, v5
	v_mov_b32_e32 v22, v4
	ds_store_b128 v27, v[22:25]
.LBB76_38:                              ;   in Loop: Header=BB76_3 Depth=1
	s_or_b32 exec_lo, exec_lo, s62
	s_wait_dscnt 0x0
	s_barrier_signal -1
	s_barrier_wait -1
	s_barrier_signal -1
	s_barrier_wait -1
	s_and_saveexec_b32 s62, s0
; %bb.39:                               ;   in Loop: Header=BB76_3 Depth=1
	ds_store_b128 v44, v[18:21] offset:16320
; %bb.40:                               ;   in Loop: Header=BB76_3 Depth=1
	s_or_b32 exec_lo, exec_lo, s62
	s_wait_dscnt 0x0
	s_barrier_signal -1
	s_barrier_wait -1
	s_barrier_signal -1
	s_barrier_wait -1
	s_and_saveexec_b32 s62, s10
	s_cbranch_execz .LBB76_42
; %bb.41:                               ;   in Loop: Header=BB76_3 Depth=1
	ds_load_b128 v[18:21], v2 offset:15312
	ds_load_b128 v[22:25], v2 offset:14784
	;; [unrolled: 1-line block ×3, first 2 shown]
	s_wait_dscnt 0x1
	v_mul_f64_e32 v[4:5], v[18:19], v[24:25]
	v_mul_f64_e32 v[24:25], v[20:21], v[24:25]
	s_delay_alu instid0(VALU_DEP_2) | instskip(NEXT) | instid1(VALU_DEP_2)
	v_fmac_f64_e32 v[4:5], v[20:21], v[22:23]
	v_fma_f64 v[18:19], v[18:19], v[22:23], -v[24:25]
	s_wait_dscnt 0x0
	s_delay_alu instid0(VALU_DEP_2) | instskip(NEXT) | instid1(VALU_DEP_2)
	v_mul_f64_e32 v[22:23], v[4:5], v[68:69]
	v_mul_f64_e32 v[20:21], v[18:19], v[68:69]
	s_delay_alu instid0(VALU_DEP_2) | instskip(NEXT) | instid1(VALU_DEP_2)
	v_fma_f64 v[18:19], v[66:67], v[18:19], -v[22:23]
	v_fmac_f64_e32 v[20:21], v[66:67], v[4:5]
	ds_store_b128 v2, v[18:21] offset:15296
.LBB76_42:                              ;   in Loop: Header=BB76_3 Depth=1
	s_or_b32 exec_lo, exec_lo, s62
	v_mov_b64_e32 v[20:21], 0
	v_mov_b64_e32 v[18:19], 0
	s_wait_dscnt 0x0
	s_barrier_signal -1
	s_barrier_wait -1
	global_wb scope:SCOPE_DEV
	s_wait_storecnt 0x0
	global_inv scope:SCOPE_DEV
	s_and_saveexec_b32 s62, s1
	s_cbranch_execz .LBB76_48
; %bb.43:                               ;   in Loop: Header=BB76_3 Depth=1
	ds_load_b128 v[18:21], v47 offset:16320
	ds_load_b128 v[22:25], v46 offset:14720
	s_wait_dscnt 0x0
	v_mul_f64_e32 v[4:5], v[20:21], v[24:25]
	v_mul_f64_e32 v[24:25], v[18:19], v[24:25]
	s_delay_alu instid0(VALU_DEP_2) | instskip(NEXT) | instid1(VALU_DEP_2)
	v_fma_f64 v[4:5], v[18:19], v[22:23], -v[4:5]
	v_fmac_f64_e32 v[24:25], v[20:21], v[22:23]
	s_delay_alu instid0(VALU_DEP_2) | instskip(NEXT) | instid1(VALU_DEP_2)
	v_add_f64_e32 v[18:19], 0, v[4:5]
	v_add_f64_e32 v[20:21], 0, v[24:25]
	s_and_saveexec_b32 s63, s12
	s_cbranch_execnz .LBB76_520
; %bb.44:                               ;   in Loop: Header=BB76_3 Depth=1
	s_or_b32 exec_lo, exec_lo, s63
	s_and_saveexec_b32 s63, s13
	s_cbranch_execnz .LBB76_521
.LBB76_45:                              ;   in Loop: Header=BB76_3 Depth=1
	s_or_b32 exec_lo, exec_lo, s63
	s_and_saveexec_b32 s63, s0
	s_cbranch_execz .LBB76_47
.LBB76_46:                              ;   in Loop: Header=BB76_3 Depth=1
	ds_load_b128 v[22:25], v2 offset:16368
	ds_load_b128 v[66:69], v43 offset:16256
	s_wait_dscnt 0x0
	v_mul_f64_e32 v[4:5], v[24:25], v[68:69]
	v_mul_f64_e32 v[68:69], v[22:23], v[68:69]
	s_delay_alu instid0(VALU_DEP_2) | instskip(NEXT) | instid1(VALU_DEP_2)
	v_fma_f64 v[4:5], v[22:23], v[66:67], -v[4:5]
	v_fmac_f64_e32 v[68:69], v[24:25], v[66:67]
	s_delay_alu instid0(VALU_DEP_2) | instskip(NEXT) | instid1(VALU_DEP_2)
	v_add_f64_e32 v[18:19], v[18:19], v[4:5]
	v_add_f64_e32 v[20:21], v[20:21], v[68:69]
.LBB76_47:                              ;   in Loop: Header=BB76_3 Depth=1
	s_or_b32 exec_lo, exec_lo, s63
.LBB76_48:                              ;   in Loop: Header=BB76_3 Depth=1
	s_delay_alu instid0(SALU_CYCLE_1)
	s_or_b32 exec_lo, exec_lo, s62
	s_and_saveexec_b32 s62, s71
	s_cbranch_execz .LBB76_50
; %bb.49:                               ;   in Loop: Header=BB76_3 Depth=1
	ds_load_b128 v[22:25], v2 offset:14256
	s_wait_dscnt 0x0
	v_mul_f64_e32 v[66:67], v[18:19], v[24:25]
	s_delay_alu instid0(VALU_DEP_1) | instskip(NEXT) | instid1(VALU_DEP_1)
	v_fmac_f64_e32 v[66:67], v[20:21], v[22:23]
	v_dual_mul_f64 v[4:5], v[20:21], v[24:25] :: v_dual_mov_b32 v24, v66
	s_delay_alu instid0(VALU_DEP_1) | instskip(NEXT) | instid1(VALU_DEP_3)
	v_fma_f64 v[4:5], v[18:19], v[22:23], -v[4:5]
	v_mov_b64_e32 v[20:21], v[66:67]
	v_xor_b32_e32 v25, 0x80000000, v67
	s_delay_alu instid0(VALU_DEP_3)
	v_mov_b64_e32 v[18:19], v[4:5]
	v_xor_b32_e32 v23, 0x80000000, v5
	v_mov_b32_e32 v22, v4
	ds_store_b128 v45, v[22:25]
.LBB76_50:                              ;   in Loop: Header=BB76_3 Depth=1
	s_or_b32 exec_lo, exec_lo, s62
	s_wait_loadcnt_dscnt 0x0
	s_barrier_signal -1
	s_barrier_wait -1
	s_and_saveexec_b32 s62, s72
	s_cbranch_execz .LBB76_52
; %bb.51:                               ;   in Loop: Header=BB76_3 Depth=1
	ds_load_b128 v[22:25], v45
	ds_load_b128 v[66:69], v46 offset:14208
	s_wait_dscnt 0x0
	v_mul_f64_e32 v[4:5], v[24:25], v[68:69]
	v_mul_f64_e32 v[68:69], v[22:23], v[68:69]
	s_delay_alu instid0(VALU_DEP_2) | instskip(NEXT) | instid1(VALU_DEP_2)
	v_fma_f64 v[4:5], v[22:23], v[66:67], -v[4:5]
	v_fmac_f64_e32 v[68:69], v[24:25], v[66:67]
	s_delay_alu instid0(VALU_DEP_2) | instskip(NEXT) | instid1(VALU_DEP_2)
	v_add_f64_e64 v[18:19], v[18:19], -v[4:5]
	v_add_f64_e64 v[20:21], v[20:21], -v[68:69]
.LBB76_52:                              ;   in Loop: Header=BB76_3 Depth=1
	s_or_b32 exec_lo, exec_lo, s62
	s_barrier_signal -1
	s_barrier_wait -1
	s_and_saveexec_b32 s62, s73
	s_cbranch_execz .LBB76_54
; %bb.53:                               ;   in Loop: Header=BB76_3 Depth=1
	ds_load_b128 v[22:25], v2 offset:13728
	s_wait_dscnt 0x0
	v_mul_f64_e32 v[66:67], v[18:19], v[24:25]
	s_delay_alu instid0(VALU_DEP_1) | instskip(NEXT) | instid1(VALU_DEP_1)
	v_fmac_f64_e32 v[66:67], v[20:21], v[22:23]
	v_dual_mul_f64 v[4:5], v[20:21], v[24:25] :: v_dual_mov_b32 v24, v66
	s_delay_alu instid0(VALU_DEP_1) | instskip(NEXT) | instid1(VALU_DEP_3)
	v_fma_f64 v[4:5], v[18:19], v[22:23], -v[4:5]
	v_mov_b64_e32 v[20:21], v[66:67]
	v_xor_b32_e32 v25, 0x80000000, v67
	s_delay_alu instid0(VALU_DEP_3)
	v_mov_b64_e32 v[18:19], v[4:5]
	v_xor_b32_e32 v23, 0x80000000, v5
	v_mov_b32_e32 v22, v4
	ds_store_b128 v45, v[22:25]
.LBB76_54:                              ;   in Loop: Header=BB76_3 Depth=1
	s_or_b32 exec_lo, exec_lo, s62
	s_wait_dscnt 0x0
	s_barrier_signal -1
	s_barrier_wait -1
	s_and_saveexec_b32 s62, s74
	s_cbranch_execz .LBB76_56
; %bb.55:                               ;   in Loop: Header=BB76_3 Depth=1
	ds_load_b128 v[22:25], v45
	ds_load_b128 v[66:69], v46 offset:13696
	s_wait_dscnt 0x0
	v_mul_f64_e32 v[4:5], v[24:25], v[68:69]
	v_mul_f64_e32 v[68:69], v[22:23], v[68:69]
	s_delay_alu instid0(VALU_DEP_2) | instskip(NEXT) | instid1(VALU_DEP_2)
	v_fma_f64 v[4:5], v[22:23], v[66:67], -v[4:5]
	v_fmac_f64_e32 v[68:69], v[24:25], v[66:67]
	s_delay_alu instid0(VALU_DEP_2) | instskip(NEXT) | instid1(VALU_DEP_2)
	v_add_f64_e64 v[18:19], v[18:19], -v[4:5]
	v_add_f64_e64 v[20:21], v[20:21], -v[68:69]
.LBB76_56:                              ;   in Loop: Header=BB76_3 Depth=1
	s_or_b32 exec_lo, exec_lo, s62
	s_barrier_signal -1
	s_barrier_wait -1
	s_and_saveexec_b32 s62, s75
	s_cbranch_execz .LBB76_58
; %bb.57:                               ;   in Loop: Header=BB76_3 Depth=1
	ds_load_b128 v[22:25], v2 offset:13200
	s_wait_dscnt 0x0
	v_mul_f64_e32 v[66:67], v[18:19], v[24:25]
	s_delay_alu instid0(VALU_DEP_1) | instskip(NEXT) | instid1(VALU_DEP_1)
	v_fmac_f64_e32 v[66:67], v[20:21], v[22:23]
	v_dual_mul_f64 v[4:5], v[20:21], v[24:25] :: v_dual_mov_b32 v24, v66
	s_delay_alu instid0(VALU_DEP_1) | instskip(NEXT) | instid1(VALU_DEP_3)
	v_fma_f64 v[4:5], v[18:19], v[22:23], -v[4:5]
	v_mov_b64_e32 v[20:21], v[66:67]
	v_xor_b32_e32 v25, 0x80000000, v67
	s_delay_alu instid0(VALU_DEP_3)
	v_mov_b64_e32 v[18:19], v[4:5]
	v_xor_b32_e32 v23, 0x80000000, v5
	v_mov_b32_e32 v22, v4
	ds_store_b128 v45, v[22:25]
.LBB76_58:                              ;   in Loop: Header=BB76_3 Depth=1
	s_or_b32 exec_lo, exec_lo, s62
	s_wait_dscnt 0x0
	;; [unrolled: 41-line block ×3, first 2 shown]
	s_barrier_signal -1
	s_barrier_wait -1
	s_barrier_signal -1
	s_barrier_wait -1
	s_and_saveexec_b32 s62, s1
; %bb.63:                               ;   in Loop: Header=BB76_3 Depth=1
	ds_store_b128 v48, v[18:21] offset:16256
; %bb.64:                               ;   in Loop: Header=BB76_3 Depth=1
	s_or_b32 exec_lo, exec_lo, s62
	s_wait_dscnt 0x0
	s_barrier_signal -1
	s_barrier_wait -1
	s_barrier_signal -1
	s_barrier_wait -1
	s_and_saveexec_b32 s62, s10
	s_cbranch_execz .LBB76_66
; %bb.65:                               ;   in Loop: Header=BB76_3 Depth=1
	ds_load_b128 v[18:21], v2 offset:14256
	ds_load_b128 v[22:25], v2 offset:13728
	;; [unrolled: 1-line block ×3, first 2 shown]
	s_wait_dscnt 0x1
	v_mul_f64_e32 v[4:5], v[18:19], v[24:25]
	v_mul_f64_e32 v[24:25], v[20:21], v[24:25]
	s_delay_alu instid0(VALU_DEP_2) | instskip(NEXT) | instid1(VALU_DEP_2)
	v_fmac_f64_e32 v[4:5], v[20:21], v[22:23]
	v_fma_f64 v[18:19], v[18:19], v[22:23], -v[24:25]
	s_wait_dscnt 0x0
	s_delay_alu instid0(VALU_DEP_2) | instskip(NEXT) | instid1(VALU_DEP_2)
	v_mul_f64_e32 v[22:23], v[4:5], v[68:69]
	v_mul_f64_e32 v[20:21], v[18:19], v[68:69]
	s_delay_alu instid0(VALU_DEP_2) | instskip(NEXT) | instid1(VALU_DEP_2)
	v_fma_f64 v[18:19], v[66:67], v[18:19], -v[22:23]
	v_fmac_f64_e32 v[20:21], v[66:67], v[4:5]
	ds_store_b128 v2, v[18:21] offset:14240
.LBB76_66:                              ;   in Loop: Header=BB76_3 Depth=1
	s_or_b32 exec_lo, exec_lo, s62
	v_mov_b64_e32 v[18:19], 0
	v_mov_b64_e32 v[20:21], 0
	s_wait_dscnt 0x0
	s_barrier_signal -1
	s_barrier_wait -1
	global_wb scope:SCOPE_DEV
	s_wait_storecnt 0x0
	global_inv scope:SCOPE_DEV
	s_and_saveexec_b32 s62, s0
	s_cbranch_execz .LBB76_70
; %bb.67:                               ;   in Loop: Header=BB76_3 Depth=1
	ds_load_b128 v[18:21], v42 offset:14240
	ds_load_b128 v[22:25], v41 offset:13696
	s_wait_dscnt 0x0
	v_mul_f64_e32 v[4:5], v[20:21], v[24:25]
	v_mul_f64_e32 v[24:25], v[18:19], v[24:25]
	s_delay_alu instid0(VALU_DEP_2) | instskip(NEXT) | instid1(VALU_DEP_2)
	v_fma_f64 v[4:5], v[18:19], v[22:23], -v[4:5]
	v_fmac_f64_e32 v[24:25], v[20:21], v[22:23]
	s_delay_alu instid0(VALU_DEP_2) | instskip(NEXT) | instid1(VALU_DEP_2)
	v_add_f64_e32 v[18:19], 0, v[4:5]
	v_add_f64_e32 v[20:21], 0, v[24:25]
	s_and_saveexec_b32 s63, s11
	s_cbranch_execz .LBB76_69
; %bb.68:                               ;   in Loop: Header=BB76_3 Depth=1
	ds_load_b128 v[22:25], v2 offset:14256
	ds_load_b128 v[66:69], v43 offset:14208
	s_wait_dscnt 0x0
	v_mul_f64_e32 v[4:5], v[24:25], v[68:69]
	v_mul_f64_e32 v[68:69], v[22:23], v[68:69]
	s_delay_alu instid0(VALU_DEP_2) | instskip(NEXT) | instid1(VALU_DEP_2)
	v_fma_f64 v[4:5], v[22:23], v[66:67], -v[4:5]
	v_fmac_f64_e32 v[68:69], v[24:25], v[66:67]
	s_delay_alu instid0(VALU_DEP_2) | instskip(NEXT) | instid1(VALU_DEP_2)
	v_add_f64_e32 v[18:19], v[18:19], v[4:5]
	v_add_f64_e32 v[20:21], v[20:21], v[68:69]
.LBB76_69:                              ;   in Loop: Header=BB76_3 Depth=1
	s_or_b32 exec_lo, exec_lo, s63
.LBB76_70:                              ;   in Loop: Header=BB76_3 Depth=1
	s_delay_alu instid0(SALU_CYCLE_1)
	s_or_b32 exec_lo, exec_lo, s62
	s_and_saveexec_b32 s62, s69
	s_cbranch_execz .LBB76_72
; %bb.71:                               ;   in Loop: Header=BB76_3 Depth=1
	ds_load_b128 v[22:25], v2 offset:13200
	s_wait_dscnt 0x0
	v_mul_f64_e32 v[66:67], v[18:19], v[24:25]
	s_delay_alu instid0(VALU_DEP_1) | instskip(NEXT) | instid1(VALU_DEP_1)
	v_fmac_f64_e32 v[66:67], v[20:21], v[22:23]
	v_dual_mul_f64 v[4:5], v[20:21], v[24:25] :: v_dual_mov_b32 v24, v66
	s_delay_alu instid0(VALU_DEP_1) | instskip(NEXT) | instid1(VALU_DEP_3)
	v_fma_f64 v[4:5], v[18:19], v[22:23], -v[4:5]
	v_mov_b64_e32 v[20:21], v[66:67]
	v_xor_b32_e32 v25, 0x80000000, v67
	s_delay_alu instid0(VALU_DEP_3)
	v_mov_b64_e32 v[18:19], v[4:5]
	v_xor_b32_e32 v23, 0x80000000, v5
	v_mov_b32_e32 v22, v4
	ds_store_b128 v27, v[22:25]
.LBB76_72:                              ;   in Loop: Header=BB76_3 Depth=1
	s_or_b32 exec_lo, exec_lo, s62
	s_wait_loadcnt_dscnt 0x0
	s_barrier_signal -1
	s_barrier_wait -1
	s_and_saveexec_b32 s62, s70
	s_cbranch_execz .LBB76_74
; %bb.73:                               ;   in Loop: Header=BB76_3 Depth=1
	ds_load_b128 v[22:25], v27
	ds_load_b128 v[66:69], v2 offset:13184
	s_wait_dscnt 0x0
	v_mul_f64_e32 v[4:5], v[24:25], v[68:69]
	v_mul_f64_e32 v[68:69], v[22:23], v[68:69]
	s_delay_alu instid0(VALU_DEP_2) | instskip(NEXT) | instid1(VALU_DEP_2)
	v_fma_f64 v[4:5], v[22:23], v[66:67], -v[4:5]
	v_fmac_f64_e32 v[68:69], v[24:25], v[66:67]
	s_delay_alu instid0(VALU_DEP_2) | instskip(NEXT) | instid1(VALU_DEP_2)
	v_add_f64_e64 v[18:19], v[18:19], -v[4:5]
	v_add_f64_e64 v[20:21], v[20:21], -v[68:69]
.LBB76_74:                              ;   in Loop: Header=BB76_3 Depth=1
	s_or_b32 exec_lo, exec_lo, s62
	s_barrier_signal -1
	s_barrier_wait -1
	s_and_saveexec_b32 s62, s70
	s_cbranch_execz .LBB76_76
; %bb.75:                               ;   in Loop: Header=BB76_3 Depth=1
	ds_load_b128 v[22:25], v2 offset:12672
	s_wait_dscnt 0x0
	v_mul_f64_e32 v[66:67], v[18:19], v[24:25]
	s_delay_alu instid0(VALU_DEP_1) | instskip(NEXT) | instid1(VALU_DEP_1)
	v_fmac_f64_e32 v[66:67], v[20:21], v[22:23]
	v_dual_mul_f64 v[4:5], v[20:21], v[24:25] :: v_dual_mov_b32 v24, v66
	s_delay_alu instid0(VALU_DEP_1) | instskip(NEXT) | instid1(VALU_DEP_3)
	v_fma_f64 v[4:5], v[18:19], v[22:23], -v[4:5]
	v_mov_b64_e32 v[20:21], v[66:67]
	v_xor_b32_e32 v25, 0x80000000, v67
	s_delay_alu instid0(VALU_DEP_3)
	v_mov_b64_e32 v[18:19], v[4:5]
	v_xor_b32_e32 v23, 0x80000000, v5
	v_mov_b32_e32 v22, v4
	ds_store_b128 v27, v[22:25]
.LBB76_76:                              ;   in Loop: Header=BB76_3 Depth=1
	s_or_b32 exec_lo, exec_lo, s62
	s_wait_dscnt 0x0
	s_barrier_signal -1
	s_barrier_wait -1
	s_barrier_signal -1
	s_barrier_wait -1
	s_and_saveexec_b32 s62, s0
; %bb.77:                               ;   in Loop: Header=BB76_3 Depth=1
	ds_store_b128 v44, v[18:21] offset:14208
; %bb.78:                               ;   in Loop: Header=BB76_3 Depth=1
	s_or_b32 exec_lo, exec_lo, s62
	s_wait_dscnt 0x0
	s_barrier_signal -1
	s_barrier_wait -1
	s_barrier_signal -1
	s_barrier_wait -1
	s_and_saveexec_b32 s62, s10
	s_cbranch_execz .LBB76_80
; %bb.79:                               ;   in Loop: Header=BB76_3 Depth=1
	ds_load_b128 v[18:21], v2 offset:13200
	ds_load_b128 v[22:25], v2 offset:12672
	;; [unrolled: 1-line block ×3, first 2 shown]
	s_wait_dscnt 0x1
	v_mul_f64_e32 v[4:5], v[18:19], v[24:25]
	v_mul_f64_e32 v[24:25], v[20:21], v[24:25]
	s_delay_alu instid0(VALU_DEP_2) | instskip(NEXT) | instid1(VALU_DEP_2)
	v_fmac_f64_e32 v[4:5], v[20:21], v[22:23]
	v_fma_f64 v[18:19], v[18:19], v[22:23], -v[24:25]
	s_wait_dscnt 0x0
	s_delay_alu instid0(VALU_DEP_2) | instskip(NEXT) | instid1(VALU_DEP_2)
	v_mul_f64_e32 v[22:23], v[4:5], v[68:69]
	v_mul_f64_e32 v[20:21], v[18:19], v[68:69]
	s_delay_alu instid0(VALU_DEP_2) | instskip(NEXT) | instid1(VALU_DEP_2)
	v_fma_f64 v[18:19], v[66:67], v[18:19], -v[22:23]
	v_fmac_f64_e32 v[20:21], v[66:67], v[4:5]
	ds_store_b128 v2, v[18:21] offset:13184
.LBB76_80:                              ;   in Loop: Header=BB76_3 Depth=1
	s_or_b32 exec_lo, exec_lo, s62
	v_mov_b64_e32 v[20:21], 0
	v_mov_b64_e32 v[18:19], 0
	s_wait_dscnt 0x0
	s_barrier_signal -1
	s_barrier_wait -1
	global_wb scope:SCOPE_DEV
	s_wait_storecnt 0x0
	global_inv scope:SCOPE_DEV
	s_and_saveexec_b32 s62, s2
	s_cbranch_execz .LBB76_90
; %bb.81:                               ;   in Loop: Header=BB76_3 Depth=1
	ds_load_b128 v[18:21], v51 offset:16256
	ds_load_b128 v[22:25], v50 offset:12544
	s_wait_dscnt 0x0
	v_mul_f64_e32 v[4:5], v[20:21], v[24:25]
	v_mul_f64_e32 v[24:25], v[18:19], v[24:25]
	s_delay_alu instid0(VALU_DEP_2) | instskip(NEXT) | instid1(VALU_DEP_2)
	v_fma_f64 v[4:5], v[18:19], v[22:23], -v[4:5]
	v_fmac_f64_e32 v[24:25], v[20:21], v[22:23]
	s_delay_alu instid0(VALU_DEP_2) | instskip(NEXT) | instid1(VALU_DEP_2)
	v_add_f64_e32 v[18:19], 0, v[4:5]
	v_add_f64_e32 v[20:21], 0, v[24:25]
	s_and_saveexec_b32 s63, s14
	s_cbranch_execnz .LBB76_522
; %bb.82:                               ;   in Loop: Header=BB76_3 Depth=1
	s_or_b32 exec_lo, exec_lo, s63
	s_and_saveexec_b32 s63, s15
	s_cbranch_execnz .LBB76_523
.LBB76_83:                              ;   in Loop: Header=BB76_3 Depth=1
	s_or_b32 exec_lo, exec_lo, s63
	s_and_saveexec_b32 s63, s16
	s_cbranch_execnz .LBB76_524
.LBB76_84:                              ;   in Loop: Header=BB76_3 Depth=1
	s_or_b32 exec_lo, exec_lo, s63
	s_and_saveexec_b32 s63, s17
	s_cbranch_execnz .LBB76_525
.LBB76_85:                              ;   in Loop: Header=BB76_3 Depth=1
	s_or_b32 exec_lo, exec_lo, s63
	s_and_saveexec_b32 s63, s18
	s_cbranch_execnz .LBB76_526
.LBB76_86:                              ;   in Loop: Header=BB76_3 Depth=1
	s_or_b32 exec_lo, exec_lo, s63
	s_and_saveexec_b32 s63, s1
	s_cbranch_execnz .LBB76_527
.LBB76_87:                              ;   in Loop: Header=BB76_3 Depth=1
	s_or_b32 exec_lo, exec_lo, s63
	s_and_saveexec_b32 s63, s13
	s_cbranch_execz .LBB76_89
.LBB76_88:                              ;   in Loop: Header=BB76_3 Depth=1
	ds_load_b128 v[22:25], v2 offset:16368
	ds_load_b128 v[66:69], v43 offset:16128
	s_wait_dscnt 0x0
	v_mul_f64_e32 v[4:5], v[24:25], v[68:69]
	v_mul_f64_e32 v[68:69], v[22:23], v[68:69]
	s_delay_alu instid0(VALU_DEP_2) | instskip(NEXT) | instid1(VALU_DEP_2)
	v_fma_f64 v[4:5], v[22:23], v[66:67], -v[4:5]
	v_fmac_f64_e32 v[68:69], v[24:25], v[66:67]
	s_delay_alu instid0(VALU_DEP_2) | instskip(NEXT) | instid1(VALU_DEP_2)
	v_add_f64_e32 v[18:19], v[18:19], v[4:5]
	v_add_f64_e32 v[20:21], v[20:21], v[68:69]
.LBB76_89:                              ;   in Loop: Header=BB76_3 Depth=1
	s_or_b32 exec_lo, exec_lo, s63
.LBB76_90:                              ;   in Loop: Header=BB76_3 Depth=1
	s_delay_alu instid0(SALU_CYCLE_1)
	s_or_b32 exec_lo, exec_lo, s62
	s_and_saveexec_b32 s62, s77
	s_cbranch_execz .LBB76_92
; %bb.91:                               ;   in Loop: Header=BB76_3 Depth=1
	ds_load_b128 v[22:25], v2 offset:12144
	s_wait_dscnt 0x0
	v_mul_f64_e32 v[66:67], v[18:19], v[24:25]
	s_delay_alu instid0(VALU_DEP_1) | instskip(NEXT) | instid1(VALU_DEP_1)
	v_fmac_f64_e32 v[66:67], v[20:21], v[22:23]
	v_dual_mul_f64 v[4:5], v[20:21], v[24:25] :: v_dual_mov_b32 v24, v66
	s_delay_alu instid0(VALU_DEP_1) | instskip(NEXT) | instid1(VALU_DEP_3)
	v_fma_f64 v[4:5], v[18:19], v[22:23], -v[4:5]
	v_mov_b64_e32 v[20:21], v[66:67]
	v_xor_b32_e32 v25, 0x80000000, v67
	s_delay_alu instid0(VALU_DEP_3)
	v_mov_b64_e32 v[18:19], v[4:5]
	v_xor_b32_e32 v23, 0x80000000, v5
	v_mov_b32_e32 v22, v4
	ds_store_b128 v49, v[22:25]
.LBB76_92:                              ;   in Loop: Header=BB76_3 Depth=1
	s_or_b32 exec_lo, exec_lo, s62
	s_wait_loadcnt_dscnt 0x0
	s_barrier_signal -1
	s_barrier_wait -1
	s_and_saveexec_b32 s62, s78
	s_cbranch_execz .LBB76_94
; %bb.93:                               ;   in Loop: Header=BB76_3 Depth=1
	ds_load_b128 v[22:25], v49
	ds_load_b128 v[66:69], v50 offset:12032
	s_wait_dscnt 0x0
	v_mul_f64_e32 v[4:5], v[24:25], v[68:69]
	v_mul_f64_e32 v[68:69], v[22:23], v[68:69]
	s_delay_alu instid0(VALU_DEP_2) | instskip(NEXT) | instid1(VALU_DEP_2)
	v_fma_f64 v[4:5], v[22:23], v[66:67], -v[4:5]
	v_fmac_f64_e32 v[68:69], v[24:25], v[66:67]
	s_delay_alu instid0(VALU_DEP_2) | instskip(NEXT) | instid1(VALU_DEP_2)
	v_add_f64_e64 v[18:19], v[18:19], -v[4:5]
	v_add_f64_e64 v[20:21], v[20:21], -v[68:69]
.LBB76_94:                              ;   in Loop: Header=BB76_3 Depth=1
	s_or_b32 exec_lo, exec_lo, s62
	s_barrier_signal -1
	s_barrier_wait -1
	s_and_saveexec_b32 s62, s79
	s_cbranch_execz .LBB76_96
; %bb.95:                               ;   in Loop: Header=BB76_3 Depth=1
	ds_load_b128 v[22:25], v2 offset:11616
	s_wait_dscnt 0x0
	v_mul_f64_e32 v[66:67], v[18:19], v[24:25]
	s_delay_alu instid0(VALU_DEP_1) | instskip(NEXT) | instid1(VALU_DEP_1)
	v_fmac_f64_e32 v[66:67], v[20:21], v[22:23]
	v_dual_mul_f64 v[4:5], v[20:21], v[24:25] :: v_dual_mov_b32 v24, v66
	s_delay_alu instid0(VALU_DEP_1) | instskip(NEXT) | instid1(VALU_DEP_3)
	v_fma_f64 v[4:5], v[18:19], v[22:23], -v[4:5]
	v_mov_b64_e32 v[20:21], v[66:67]
	v_xor_b32_e32 v25, 0x80000000, v67
	s_delay_alu instid0(VALU_DEP_3)
	v_mov_b64_e32 v[18:19], v[4:5]
	v_xor_b32_e32 v23, 0x80000000, v5
	v_mov_b32_e32 v22, v4
	ds_store_b128 v49, v[22:25]
.LBB76_96:                              ;   in Loop: Header=BB76_3 Depth=1
	s_or_b32 exec_lo, exec_lo, s62
	s_wait_dscnt 0x0
	s_barrier_signal -1
	s_barrier_wait -1
	s_and_saveexec_b32 s62, s80
	s_cbranch_execz .LBB76_98
; %bb.97:                               ;   in Loop: Header=BB76_3 Depth=1
	ds_load_b128 v[22:25], v49
	ds_load_b128 v[66:69], v50 offset:11520
	s_wait_dscnt 0x0
	v_mul_f64_e32 v[4:5], v[24:25], v[68:69]
	v_mul_f64_e32 v[68:69], v[22:23], v[68:69]
	s_delay_alu instid0(VALU_DEP_2) | instskip(NEXT) | instid1(VALU_DEP_2)
	v_fma_f64 v[4:5], v[22:23], v[66:67], -v[4:5]
	v_fmac_f64_e32 v[68:69], v[24:25], v[66:67]
	s_delay_alu instid0(VALU_DEP_2) | instskip(NEXT) | instid1(VALU_DEP_2)
	v_add_f64_e64 v[18:19], v[18:19], -v[4:5]
	v_add_f64_e64 v[20:21], v[20:21], -v[68:69]
.LBB76_98:                              ;   in Loop: Header=BB76_3 Depth=1
	s_or_b32 exec_lo, exec_lo, s62
	s_barrier_signal -1
	s_barrier_wait -1
	s_and_saveexec_b32 s62, s81
	s_cbranch_execz .LBB76_100
; %bb.99:                               ;   in Loop: Header=BB76_3 Depth=1
	ds_load_b128 v[22:25], v2 offset:11088
	s_wait_dscnt 0x0
	v_mul_f64_e32 v[66:67], v[18:19], v[24:25]
	s_delay_alu instid0(VALU_DEP_1) | instskip(NEXT) | instid1(VALU_DEP_1)
	v_fmac_f64_e32 v[66:67], v[20:21], v[22:23]
	v_dual_mul_f64 v[4:5], v[20:21], v[24:25] :: v_dual_mov_b32 v24, v66
	s_delay_alu instid0(VALU_DEP_1) | instskip(NEXT) | instid1(VALU_DEP_3)
	v_fma_f64 v[4:5], v[18:19], v[22:23], -v[4:5]
	v_mov_b64_e32 v[20:21], v[66:67]
	v_xor_b32_e32 v25, 0x80000000, v67
	s_delay_alu instid0(VALU_DEP_3)
	v_mov_b64_e32 v[18:19], v[4:5]
	v_xor_b32_e32 v23, 0x80000000, v5
	v_mov_b32_e32 v22, v4
	ds_store_b128 v49, v[22:25]
.LBB76_100:                             ;   in Loop: Header=BB76_3 Depth=1
	s_or_b32 exec_lo, exec_lo, s62
	s_wait_dscnt 0x0
	s_barrier_signal -1
	s_barrier_wait -1
	s_and_saveexec_b32 s62, s82
	s_cbranch_execz .LBB76_102
; %bb.101:                              ;   in Loop: Header=BB76_3 Depth=1
	ds_load_b128 v[22:25], v49
	ds_load_b128 v[66:69], v50 offset:11008
	s_wait_dscnt 0x0
	v_mul_f64_e32 v[4:5], v[24:25], v[68:69]
	v_mul_f64_e32 v[68:69], v[22:23], v[68:69]
	s_delay_alu instid0(VALU_DEP_2) | instskip(NEXT) | instid1(VALU_DEP_2)
	v_fma_f64 v[4:5], v[22:23], v[66:67], -v[4:5]
	v_fmac_f64_e32 v[68:69], v[24:25], v[66:67]
	s_delay_alu instid0(VALU_DEP_2) | instskip(NEXT) | instid1(VALU_DEP_2)
	v_add_f64_e64 v[18:19], v[18:19], -v[4:5]
	v_add_f64_e64 v[20:21], v[20:21], -v[68:69]
.LBB76_102:                             ;   in Loop: Header=BB76_3 Depth=1
	s_or_b32 exec_lo, exec_lo, s62
	s_barrier_signal -1
	s_barrier_wait -1
	s_and_saveexec_b32 s62, s83
	s_cbranch_execz .LBB76_104
; %bb.103:                              ;   in Loop: Header=BB76_3 Depth=1
	ds_load_b128 v[22:25], v2 offset:10560
	s_wait_dscnt 0x0
	v_mul_f64_e32 v[66:67], v[18:19], v[24:25]
	s_delay_alu instid0(VALU_DEP_1) | instskip(NEXT) | instid1(VALU_DEP_1)
	v_fmac_f64_e32 v[66:67], v[20:21], v[22:23]
	v_dual_mul_f64 v[4:5], v[20:21], v[24:25] :: v_dual_mov_b32 v24, v66
	s_delay_alu instid0(VALU_DEP_1) | instskip(NEXT) | instid1(VALU_DEP_3)
	v_fma_f64 v[4:5], v[18:19], v[22:23], -v[4:5]
	v_mov_b64_e32 v[20:21], v[66:67]
	v_xor_b32_e32 v25, 0x80000000, v67
	s_delay_alu instid0(VALU_DEP_3)
	v_mov_b64_e32 v[18:19], v[4:5]
	v_xor_b32_e32 v23, 0x80000000, v5
	v_mov_b32_e32 v22, v4
	ds_store_b128 v49, v[22:25]
.LBB76_104:                             ;   in Loop: Header=BB76_3 Depth=1
	s_or_b32 exec_lo, exec_lo, s62
	s_wait_dscnt 0x0
	s_barrier_signal -1
	s_barrier_wait -1
	s_and_saveexec_b32 s62, s84
	s_cbranch_execz .LBB76_106
; %bb.105:                              ;   in Loop: Header=BB76_3 Depth=1
	ds_load_b128 v[22:25], v49
	ds_load_b128 v[66:69], v50 offset:10496
	s_wait_dscnt 0x0
	v_mul_f64_e32 v[4:5], v[24:25], v[68:69]
	v_mul_f64_e32 v[68:69], v[22:23], v[68:69]
	s_delay_alu instid0(VALU_DEP_2) | instskip(NEXT) | instid1(VALU_DEP_2)
	v_fma_f64 v[4:5], v[22:23], v[66:67], -v[4:5]
	v_fmac_f64_e32 v[68:69], v[24:25], v[66:67]
	s_delay_alu instid0(VALU_DEP_2) | instskip(NEXT) | instid1(VALU_DEP_2)
	v_add_f64_e64 v[18:19], v[18:19], -v[4:5]
	v_add_f64_e64 v[20:21], v[20:21], -v[68:69]
.LBB76_106:                             ;   in Loop: Header=BB76_3 Depth=1
	s_or_b32 exec_lo, exec_lo, s62
	s_barrier_signal -1
	s_barrier_wait -1
	s_and_saveexec_b32 s62, s85
	s_cbranch_execz .LBB76_108
; %bb.107:                              ;   in Loop: Header=BB76_3 Depth=1
	ds_load_b128 v[22:25], v2 offset:10032
	s_wait_dscnt 0x0
	v_mul_f64_e32 v[66:67], v[18:19], v[24:25]
	s_delay_alu instid0(VALU_DEP_1) | instskip(NEXT) | instid1(VALU_DEP_1)
	v_fmac_f64_e32 v[66:67], v[20:21], v[22:23]
	v_dual_mul_f64 v[4:5], v[20:21], v[24:25] :: v_dual_mov_b32 v24, v66
	s_delay_alu instid0(VALU_DEP_1) | instskip(NEXT) | instid1(VALU_DEP_3)
	v_fma_f64 v[4:5], v[18:19], v[22:23], -v[4:5]
	v_mov_b64_e32 v[20:21], v[66:67]
	v_xor_b32_e32 v25, 0x80000000, v67
	s_delay_alu instid0(VALU_DEP_3)
	v_mov_b64_e32 v[18:19], v[4:5]
	v_xor_b32_e32 v23, 0x80000000, v5
	v_mov_b32_e32 v22, v4
	ds_store_b128 v49, v[22:25]
.LBB76_108:                             ;   in Loop: Header=BB76_3 Depth=1
	;; [unrolled: 41-line block ×5, first 2 shown]
	s_or_b32 exec_lo, exec_lo, s62
	s_wait_dscnt 0x0
	s_barrier_signal -1
	s_barrier_wait -1
	s_barrier_signal -1
	s_barrier_wait -1
	s_and_saveexec_b32 s62, s2
; %bb.121:                              ;   in Loop: Header=BB76_3 Depth=1
	ds_store_b128 v52, v[18:21] offset:16128
; %bb.122:                              ;   in Loop: Header=BB76_3 Depth=1
	s_or_b32 exec_lo, exec_lo, s62
	s_wait_dscnt 0x0
	s_barrier_signal -1
	s_barrier_wait -1
	s_barrier_signal -1
	s_barrier_wait -1
	s_and_saveexec_b32 s62, s10
	s_cbranch_execz .LBB76_124
; %bb.123:                              ;   in Loop: Header=BB76_3 Depth=1
	ds_load_b128 v[18:21], v2 offset:12144
	ds_load_b128 v[22:25], v2 offset:11616
	;; [unrolled: 1-line block ×3, first 2 shown]
	s_wait_dscnt 0x1
	v_mul_f64_e32 v[4:5], v[18:19], v[24:25]
	v_mul_f64_e32 v[24:25], v[20:21], v[24:25]
	s_delay_alu instid0(VALU_DEP_2) | instskip(NEXT) | instid1(VALU_DEP_2)
	v_fmac_f64_e32 v[4:5], v[20:21], v[22:23]
	v_fma_f64 v[18:19], v[18:19], v[22:23], -v[24:25]
	s_wait_dscnt 0x0
	s_delay_alu instid0(VALU_DEP_2) | instskip(NEXT) | instid1(VALU_DEP_2)
	v_mul_f64_e32 v[22:23], v[4:5], v[68:69]
	v_mul_f64_e32 v[20:21], v[18:19], v[68:69]
	s_delay_alu instid0(VALU_DEP_2) | instskip(NEXT) | instid1(VALU_DEP_2)
	v_fma_f64 v[18:19], v[66:67], v[18:19], -v[22:23]
	v_fmac_f64_e32 v[20:21], v[66:67], v[4:5]
	ds_store_b128 v2, v[18:21] offset:12128
.LBB76_124:                             ;   in Loop: Header=BB76_3 Depth=1
	s_or_b32 exec_lo, exec_lo, s62
	v_mov_b64_e32 v[18:19], 0
	v_mov_b64_e32 v[20:21], 0
	s_wait_dscnt 0x0
	s_barrier_signal -1
	s_barrier_wait -1
	global_wb scope:SCOPE_DEV
	s_wait_storecnt 0x0
	global_inv scope:SCOPE_DEV
	s_and_saveexec_b32 s62, s0
	s_cbranch_execz .LBB76_128
; %bb.125:                              ;   in Loop: Header=BB76_3 Depth=1
	ds_load_b128 v[18:21], v42 offset:12128
	ds_load_b128 v[22:25], v41 offset:11584
	s_wait_dscnt 0x0
	v_mul_f64_e32 v[4:5], v[20:21], v[24:25]
	v_mul_f64_e32 v[24:25], v[18:19], v[24:25]
	s_delay_alu instid0(VALU_DEP_2) | instskip(NEXT) | instid1(VALU_DEP_2)
	v_fma_f64 v[4:5], v[18:19], v[22:23], -v[4:5]
	v_fmac_f64_e32 v[24:25], v[20:21], v[22:23]
	s_delay_alu instid0(VALU_DEP_2) | instskip(NEXT) | instid1(VALU_DEP_2)
	v_add_f64_e32 v[18:19], 0, v[4:5]
	v_add_f64_e32 v[20:21], 0, v[24:25]
	s_and_saveexec_b32 s63, s11
	s_cbranch_execz .LBB76_127
; %bb.126:                              ;   in Loop: Header=BB76_3 Depth=1
	ds_load_b128 v[22:25], v2 offset:12144
	ds_load_b128 v[66:69], v43 offset:12096
	s_wait_dscnt 0x0
	v_mul_f64_e32 v[4:5], v[24:25], v[68:69]
	v_mul_f64_e32 v[68:69], v[22:23], v[68:69]
	s_delay_alu instid0(VALU_DEP_2) | instskip(NEXT) | instid1(VALU_DEP_2)
	v_fma_f64 v[4:5], v[22:23], v[66:67], -v[4:5]
	v_fmac_f64_e32 v[68:69], v[24:25], v[66:67]
	s_delay_alu instid0(VALU_DEP_2) | instskip(NEXT) | instid1(VALU_DEP_2)
	v_add_f64_e32 v[18:19], v[18:19], v[4:5]
	v_add_f64_e32 v[20:21], v[20:21], v[68:69]
.LBB76_127:                             ;   in Loop: Header=BB76_3 Depth=1
	s_or_b32 exec_lo, exec_lo, s63
.LBB76_128:                             ;   in Loop: Header=BB76_3 Depth=1
	s_delay_alu instid0(SALU_CYCLE_1)
	s_or_b32 exec_lo, exec_lo, s62
	s_and_saveexec_b32 s62, s69
	s_cbranch_execz .LBB76_130
; %bb.129:                              ;   in Loop: Header=BB76_3 Depth=1
	ds_load_b128 v[22:25], v2 offset:11088
	s_wait_dscnt 0x0
	v_mul_f64_e32 v[66:67], v[18:19], v[24:25]
	s_delay_alu instid0(VALU_DEP_1) | instskip(NEXT) | instid1(VALU_DEP_1)
	v_fmac_f64_e32 v[66:67], v[20:21], v[22:23]
	v_dual_mul_f64 v[4:5], v[20:21], v[24:25] :: v_dual_mov_b32 v24, v66
	s_delay_alu instid0(VALU_DEP_1) | instskip(NEXT) | instid1(VALU_DEP_3)
	v_fma_f64 v[4:5], v[18:19], v[22:23], -v[4:5]
	v_mov_b64_e32 v[20:21], v[66:67]
	v_xor_b32_e32 v25, 0x80000000, v67
	s_delay_alu instid0(VALU_DEP_3)
	v_mov_b64_e32 v[18:19], v[4:5]
	v_xor_b32_e32 v23, 0x80000000, v5
	v_mov_b32_e32 v22, v4
	ds_store_b128 v27, v[22:25]
.LBB76_130:                             ;   in Loop: Header=BB76_3 Depth=1
	s_or_b32 exec_lo, exec_lo, s62
	s_wait_loadcnt_dscnt 0x0
	s_barrier_signal -1
	s_barrier_wait -1
	s_and_saveexec_b32 s62, s70
	s_cbranch_execz .LBB76_132
; %bb.131:                              ;   in Loop: Header=BB76_3 Depth=1
	ds_load_b128 v[22:25], v27
	ds_load_b128 v[66:69], v2 offset:11072
	s_wait_dscnt 0x0
	v_mul_f64_e32 v[4:5], v[24:25], v[68:69]
	v_mul_f64_e32 v[68:69], v[22:23], v[68:69]
	s_delay_alu instid0(VALU_DEP_2) | instskip(NEXT) | instid1(VALU_DEP_2)
	v_fma_f64 v[4:5], v[22:23], v[66:67], -v[4:5]
	v_fmac_f64_e32 v[68:69], v[24:25], v[66:67]
	s_delay_alu instid0(VALU_DEP_2) | instskip(NEXT) | instid1(VALU_DEP_2)
	v_add_f64_e64 v[18:19], v[18:19], -v[4:5]
	v_add_f64_e64 v[20:21], v[20:21], -v[68:69]
.LBB76_132:                             ;   in Loop: Header=BB76_3 Depth=1
	s_or_b32 exec_lo, exec_lo, s62
	s_barrier_signal -1
	s_barrier_wait -1
	s_and_saveexec_b32 s62, s70
	s_cbranch_execz .LBB76_134
; %bb.133:                              ;   in Loop: Header=BB76_3 Depth=1
	ds_load_b128 v[22:25], v2 offset:10560
	s_wait_dscnt 0x0
	v_mul_f64_e32 v[66:67], v[18:19], v[24:25]
	s_delay_alu instid0(VALU_DEP_1) | instskip(NEXT) | instid1(VALU_DEP_1)
	v_fmac_f64_e32 v[66:67], v[20:21], v[22:23]
	v_dual_mul_f64 v[4:5], v[20:21], v[24:25] :: v_dual_mov_b32 v24, v66
	s_delay_alu instid0(VALU_DEP_1) | instskip(NEXT) | instid1(VALU_DEP_3)
	v_fma_f64 v[4:5], v[18:19], v[22:23], -v[4:5]
	v_mov_b64_e32 v[20:21], v[66:67]
	v_xor_b32_e32 v25, 0x80000000, v67
	s_delay_alu instid0(VALU_DEP_3)
	v_mov_b64_e32 v[18:19], v[4:5]
	v_xor_b32_e32 v23, 0x80000000, v5
	v_mov_b32_e32 v22, v4
	ds_store_b128 v27, v[22:25]
.LBB76_134:                             ;   in Loop: Header=BB76_3 Depth=1
	s_or_b32 exec_lo, exec_lo, s62
	s_wait_dscnt 0x0
	s_barrier_signal -1
	s_barrier_wait -1
	s_barrier_signal -1
	s_barrier_wait -1
	s_and_saveexec_b32 s62, s0
; %bb.135:                              ;   in Loop: Header=BB76_3 Depth=1
	ds_store_b128 v44, v[18:21] offset:12096
; %bb.136:                              ;   in Loop: Header=BB76_3 Depth=1
	s_or_b32 exec_lo, exec_lo, s62
	s_wait_dscnt 0x0
	s_barrier_signal -1
	s_barrier_wait -1
	s_barrier_signal -1
	s_barrier_wait -1
	s_and_saveexec_b32 s62, s10
	s_cbranch_execz .LBB76_138
; %bb.137:                              ;   in Loop: Header=BB76_3 Depth=1
	ds_load_b128 v[18:21], v2 offset:11088
	ds_load_b128 v[22:25], v2 offset:10560
	;; [unrolled: 1-line block ×3, first 2 shown]
	s_wait_dscnt 0x1
	v_mul_f64_e32 v[4:5], v[18:19], v[24:25]
	v_mul_f64_e32 v[24:25], v[20:21], v[24:25]
	s_delay_alu instid0(VALU_DEP_2) | instskip(NEXT) | instid1(VALU_DEP_2)
	v_fmac_f64_e32 v[4:5], v[20:21], v[22:23]
	v_fma_f64 v[18:19], v[18:19], v[22:23], -v[24:25]
	s_wait_dscnt 0x0
	s_delay_alu instid0(VALU_DEP_2) | instskip(NEXT) | instid1(VALU_DEP_2)
	v_mul_f64_e32 v[22:23], v[4:5], v[68:69]
	v_mul_f64_e32 v[20:21], v[18:19], v[68:69]
	s_delay_alu instid0(VALU_DEP_2) | instskip(NEXT) | instid1(VALU_DEP_2)
	v_fma_f64 v[18:19], v[66:67], v[18:19], -v[22:23]
	v_fmac_f64_e32 v[20:21], v[66:67], v[4:5]
	ds_store_b128 v2, v[18:21] offset:11072
.LBB76_138:                             ;   in Loop: Header=BB76_3 Depth=1
	s_or_b32 exec_lo, exec_lo, s62
	v_mov_b64_e32 v[20:21], 0
	v_mov_b64_e32 v[18:19], 0
	s_wait_dscnt 0x0
	s_barrier_signal -1
	s_barrier_wait -1
	global_wb scope:SCOPE_DEV
	s_wait_storecnt 0x0
	global_inv scope:SCOPE_DEV
	s_and_saveexec_b32 s62, s1
	s_cbranch_execz .LBB76_144
; %bb.139:                              ;   in Loop: Header=BB76_3 Depth=1
	ds_load_b128 v[18:21], v47 offset:12096
	ds_load_b128 v[22:25], v46 offset:10496
	s_wait_dscnt 0x0
	v_mul_f64_e32 v[4:5], v[20:21], v[24:25]
	v_mul_f64_e32 v[24:25], v[18:19], v[24:25]
	s_delay_alu instid0(VALU_DEP_2) | instskip(NEXT) | instid1(VALU_DEP_2)
	v_fma_f64 v[4:5], v[18:19], v[22:23], -v[4:5]
	v_fmac_f64_e32 v[24:25], v[20:21], v[22:23]
	s_delay_alu instid0(VALU_DEP_2) | instskip(NEXT) | instid1(VALU_DEP_2)
	v_add_f64_e32 v[18:19], 0, v[4:5]
	v_add_f64_e32 v[20:21], 0, v[24:25]
	s_and_saveexec_b32 s63, s12
	s_cbranch_execnz .LBB76_528
; %bb.140:                              ;   in Loop: Header=BB76_3 Depth=1
	s_or_b32 exec_lo, exec_lo, s63
	s_and_saveexec_b32 s63, s13
	s_cbranch_execnz .LBB76_529
.LBB76_141:                             ;   in Loop: Header=BB76_3 Depth=1
	s_or_b32 exec_lo, exec_lo, s63
	s_and_saveexec_b32 s63, s0
	s_cbranch_execz .LBB76_143
.LBB76_142:                             ;   in Loop: Header=BB76_3 Depth=1
	ds_load_b128 v[22:25], v2 offset:12144
	ds_load_b128 v[66:69], v43 offset:12032
	s_wait_dscnt 0x0
	v_mul_f64_e32 v[4:5], v[24:25], v[68:69]
	v_mul_f64_e32 v[68:69], v[22:23], v[68:69]
	s_delay_alu instid0(VALU_DEP_2) | instskip(NEXT) | instid1(VALU_DEP_2)
	v_fma_f64 v[4:5], v[22:23], v[66:67], -v[4:5]
	v_fmac_f64_e32 v[68:69], v[24:25], v[66:67]
	s_delay_alu instid0(VALU_DEP_2) | instskip(NEXT) | instid1(VALU_DEP_2)
	v_add_f64_e32 v[18:19], v[18:19], v[4:5]
	v_add_f64_e32 v[20:21], v[20:21], v[68:69]
.LBB76_143:                             ;   in Loop: Header=BB76_3 Depth=1
	s_or_b32 exec_lo, exec_lo, s63
.LBB76_144:                             ;   in Loop: Header=BB76_3 Depth=1
	s_delay_alu instid0(SALU_CYCLE_1)
	s_or_b32 exec_lo, exec_lo, s62
	s_and_saveexec_b32 s62, s71
	s_cbranch_execz .LBB76_146
; %bb.145:                              ;   in Loop: Header=BB76_3 Depth=1
	ds_load_b128 v[22:25], v2 offset:10032
	s_wait_dscnt 0x0
	v_mul_f64_e32 v[66:67], v[18:19], v[24:25]
	s_delay_alu instid0(VALU_DEP_1) | instskip(NEXT) | instid1(VALU_DEP_1)
	v_fmac_f64_e32 v[66:67], v[20:21], v[22:23]
	v_dual_mul_f64 v[4:5], v[20:21], v[24:25] :: v_dual_mov_b32 v24, v66
	s_delay_alu instid0(VALU_DEP_1) | instskip(NEXT) | instid1(VALU_DEP_3)
	v_fma_f64 v[4:5], v[18:19], v[22:23], -v[4:5]
	v_mov_b64_e32 v[20:21], v[66:67]
	v_xor_b32_e32 v25, 0x80000000, v67
	s_delay_alu instid0(VALU_DEP_3)
	v_mov_b64_e32 v[18:19], v[4:5]
	v_xor_b32_e32 v23, 0x80000000, v5
	v_mov_b32_e32 v22, v4
	ds_store_b128 v45, v[22:25]
.LBB76_146:                             ;   in Loop: Header=BB76_3 Depth=1
	s_or_b32 exec_lo, exec_lo, s62
	s_wait_loadcnt_dscnt 0x0
	s_barrier_signal -1
	s_barrier_wait -1
	s_and_saveexec_b32 s62, s72
	s_cbranch_execz .LBB76_148
; %bb.147:                              ;   in Loop: Header=BB76_3 Depth=1
	ds_load_b128 v[22:25], v45
	ds_load_b128 v[66:69], v46 offset:9984
	s_wait_dscnt 0x0
	v_mul_f64_e32 v[4:5], v[24:25], v[68:69]
	v_mul_f64_e32 v[68:69], v[22:23], v[68:69]
	s_delay_alu instid0(VALU_DEP_2) | instskip(NEXT) | instid1(VALU_DEP_2)
	v_fma_f64 v[4:5], v[22:23], v[66:67], -v[4:5]
	v_fmac_f64_e32 v[68:69], v[24:25], v[66:67]
	s_delay_alu instid0(VALU_DEP_2) | instskip(NEXT) | instid1(VALU_DEP_2)
	v_add_f64_e64 v[18:19], v[18:19], -v[4:5]
	v_add_f64_e64 v[20:21], v[20:21], -v[68:69]
.LBB76_148:                             ;   in Loop: Header=BB76_3 Depth=1
	s_or_b32 exec_lo, exec_lo, s62
	s_barrier_signal -1
	s_barrier_wait -1
	s_and_saveexec_b32 s62, s73
	s_cbranch_execz .LBB76_150
; %bb.149:                              ;   in Loop: Header=BB76_3 Depth=1
	ds_load_b128 v[22:25], v2 offset:9504
	s_wait_dscnt 0x0
	v_mul_f64_e32 v[66:67], v[18:19], v[24:25]
	s_delay_alu instid0(VALU_DEP_1) | instskip(NEXT) | instid1(VALU_DEP_1)
	v_fmac_f64_e32 v[66:67], v[20:21], v[22:23]
	v_dual_mul_f64 v[4:5], v[20:21], v[24:25] :: v_dual_mov_b32 v24, v66
	s_delay_alu instid0(VALU_DEP_1) | instskip(NEXT) | instid1(VALU_DEP_3)
	v_fma_f64 v[4:5], v[18:19], v[22:23], -v[4:5]
	v_mov_b64_e32 v[20:21], v[66:67]
	v_xor_b32_e32 v25, 0x80000000, v67
	s_delay_alu instid0(VALU_DEP_3)
	v_mov_b64_e32 v[18:19], v[4:5]
	v_xor_b32_e32 v23, 0x80000000, v5
	v_mov_b32_e32 v22, v4
	ds_store_b128 v45, v[22:25]
.LBB76_150:                             ;   in Loop: Header=BB76_3 Depth=1
	s_or_b32 exec_lo, exec_lo, s62
	s_wait_dscnt 0x0
	s_barrier_signal -1
	s_barrier_wait -1
	s_and_saveexec_b32 s62, s74
	s_cbranch_execz .LBB76_152
; %bb.151:                              ;   in Loop: Header=BB76_3 Depth=1
	ds_load_b128 v[22:25], v45
	ds_load_b128 v[66:69], v46 offset:9472
	s_wait_dscnt 0x0
	v_mul_f64_e32 v[4:5], v[24:25], v[68:69]
	v_mul_f64_e32 v[68:69], v[22:23], v[68:69]
	s_delay_alu instid0(VALU_DEP_2) | instskip(NEXT) | instid1(VALU_DEP_2)
	v_fma_f64 v[4:5], v[22:23], v[66:67], -v[4:5]
	v_fmac_f64_e32 v[68:69], v[24:25], v[66:67]
	s_delay_alu instid0(VALU_DEP_2) | instskip(NEXT) | instid1(VALU_DEP_2)
	v_add_f64_e64 v[18:19], v[18:19], -v[4:5]
	v_add_f64_e64 v[20:21], v[20:21], -v[68:69]
.LBB76_152:                             ;   in Loop: Header=BB76_3 Depth=1
	s_or_b32 exec_lo, exec_lo, s62
	s_barrier_signal -1
	s_barrier_wait -1
	s_and_saveexec_b32 s62, s75
	s_cbranch_execz .LBB76_154
; %bb.153:                              ;   in Loop: Header=BB76_3 Depth=1
	ds_load_b128 v[22:25], v2 offset:8976
	s_wait_dscnt 0x0
	v_mul_f64_e32 v[66:67], v[18:19], v[24:25]
	s_delay_alu instid0(VALU_DEP_1) | instskip(NEXT) | instid1(VALU_DEP_1)
	v_fmac_f64_e32 v[66:67], v[20:21], v[22:23]
	v_dual_mul_f64 v[4:5], v[20:21], v[24:25] :: v_dual_mov_b32 v24, v66
	s_delay_alu instid0(VALU_DEP_1) | instskip(NEXT) | instid1(VALU_DEP_3)
	v_fma_f64 v[4:5], v[18:19], v[22:23], -v[4:5]
	v_mov_b64_e32 v[20:21], v[66:67]
	v_xor_b32_e32 v25, 0x80000000, v67
	s_delay_alu instid0(VALU_DEP_3)
	v_mov_b64_e32 v[18:19], v[4:5]
	v_xor_b32_e32 v23, 0x80000000, v5
	v_mov_b32_e32 v22, v4
	ds_store_b128 v45, v[22:25]
.LBB76_154:                             ;   in Loop: Header=BB76_3 Depth=1
	s_or_b32 exec_lo, exec_lo, s62
	s_wait_dscnt 0x0
	;; [unrolled: 41-line block ×3, first 2 shown]
	s_barrier_signal -1
	s_barrier_wait -1
	s_barrier_signal -1
	s_barrier_wait -1
	s_and_saveexec_b32 s62, s1
; %bb.159:                              ;   in Loop: Header=BB76_3 Depth=1
	ds_store_b128 v48, v[18:21] offset:12032
; %bb.160:                              ;   in Loop: Header=BB76_3 Depth=1
	s_or_b32 exec_lo, exec_lo, s62
	s_wait_dscnt 0x0
	s_barrier_signal -1
	s_barrier_wait -1
	s_barrier_signal -1
	s_barrier_wait -1
	s_and_saveexec_b32 s62, s10
	s_cbranch_execz .LBB76_162
; %bb.161:                              ;   in Loop: Header=BB76_3 Depth=1
	ds_load_b128 v[18:21], v2 offset:10032
	ds_load_b128 v[22:25], v2 offset:9504
	;; [unrolled: 1-line block ×3, first 2 shown]
	s_wait_dscnt 0x1
	v_mul_f64_e32 v[4:5], v[18:19], v[24:25]
	v_mul_f64_e32 v[24:25], v[20:21], v[24:25]
	s_delay_alu instid0(VALU_DEP_2) | instskip(NEXT) | instid1(VALU_DEP_2)
	v_fmac_f64_e32 v[4:5], v[20:21], v[22:23]
	v_fma_f64 v[18:19], v[18:19], v[22:23], -v[24:25]
	s_wait_dscnt 0x0
	s_delay_alu instid0(VALU_DEP_2) | instskip(NEXT) | instid1(VALU_DEP_2)
	v_mul_f64_e32 v[22:23], v[4:5], v[68:69]
	v_mul_f64_e32 v[20:21], v[18:19], v[68:69]
	s_delay_alu instid0(VALU_DEP_2) | instskip(NEXT) | instid1(VALU_DEP_2)
	v_fma_f64 v[18:19], v[66:67], v[18:19], -v[22:23]
	v_fmac_f64_e32 v[20:21], v[66:67], v[4:5]
	ds_store_b128 v2, v[18:21] offset:10016
.LBB76_162:                             ;   in Loop: Header=BB76_3 Depth=1
	s_or_b32 exec_lo, exec_lo, s62
	v_mov_b64_e32 v[18:19], 0
	v_mov_b64_e32 v[20:21], 0
	s_wait_dscnt 0x0
	s_barrier_signal -1
	s_barrier_wait -1
	global_wb scope:SCOPE_DEV
	s_wait_storecnt 0x0
	global_inv scope:SCOPE_DEV
	s_and_saveexec_b32 s62, s0
	s_cbranch_execz .LBB76_166
; %bb.163:                              ;   in Loop: Header=BB76_3 Depth=1
	ds_load_b128 v[18:21], v42 offset:10016
	ds_load_b128 v[22:25], v41 offset:9472
	s_wait_dscnt 0x0
	v_mul_f64_e32 v[4:5], v[20:21], v[24:25]
	v_mul_f64_e32 v[24:25], v[18:19], v[24:25]
	s_delay_alu instid0(VALU_DEP_2) | instskip(NEXT) | instid1(VALU_DEP_2)
	v_fma_f64 v[4:5], v[18:19], v[22:23], -v[4:5]
	v_fmac_f64_e32 v[24:25], v[20:21], v[22:23]
	s_delay_alu instid0(VALU_DEP_2) | instskip(NEXT) | instid1(VALU_DEP_2)
	v_add_f64_e32 v[18:19], 0, v[4:5]
	v_add_f64_e32 v[20:21], 0, v[24:25]
	s_and_saveexec_b32 s63, s11
	s_cbranch_execz .LBB76_165
; %bb.164:                              ;   in Loop: Header=BB76_3 Depth=1
	ds_load_b128 v[22:25], v2 offset:10032
	ds_load_b128 v[66:69], v43 offset:9984
	s_wait_dscnt 0x0
	v_mul_f64_e32 v[4:5], v[24:25], v[68:69]
	v_mul_f64_e32 v[68:69], v[22:23], v[68:69]
	s_delay_alu instid0(VALU_DEP_2) | instskip(NEXT) | instid1(VALU_DEP_2)
	v_fma_f64 v[4:5], v[22:23], v[66:67], -v[4:5]
	v_fmac_f64_e32 v[68:69], v[24:25], v[66:67]
	s_delay_alu instid0(VALU_DEP_2) | instskip(NEXT) | instid1(VALU_DEP_2)
	v_add_f64_e32 v[18:19], v[18:19], v[4:5]
	v_add_f64_e32 v[20:21], v[20:21], v[68:69]
.LBB76_165:                             ;   in Loop: Header=BB76_3 Depth=1
	s_or_b32 exec_lo, exec_lo, s63
.LBB76_166:                             ;   in Loop: Header=BB76_3 Depth=1
	s_delay_alu instid0(SALU_CYCLE_1)
	s_or_b32 exec_lo, exec_lo, s62
	s_and_saveexec_b32 s62, s69
	s_cbranch_execz .LBB76_168
; %bb.167:                              ;   in Loop: Header=BB76_3 Depth=1
	ds_load_b128 v[22:25], v2 offset:8976
	s_wait_dscnt 0x0
	v_mul_f64_e32 v[66:67], v[18:19], v[24:25]
	s_delay_alu instid0(VALU_DEP_1) | instskip(NEXT) | instid1(VALU_DEP_1)
	v_fmac_f64_e32 v[66:67], v[20:21], v[22:23]
	v_dual_mul_f64 v[4:5], v[20:21], v[24:25] :: v_dual_mov_b32 v24, v66
	s_delay_alu instid0(VALU_DEP_1) | instskip(NEXT) | instid1(VALU_DEP_3)
	v_fma_f64 v[4:5], v[18:19], v[22:23], -v[4:5]
	v_mov_b64_e32 v[20:21], v[66:67]
	v_xor_b32_e32 v25, 0x80000000, v67
	s_delay_alu instid0(VALU_DEP_3)
	v_mov_b64_e32 v[18:19], v[4:5]
	v_xor_b32_e32 v23, 0x80000000, v5
	v_mov_b32_e32 v22, v4
	ds_store_b128 v27, v[22:25]
.LBB76_168:                             ;   in Loop: Header=BB76_3 Depth=1
	s_or_b32 exec_lo, exec_lo, s62
	s_wait_loadcnt_dscnt 0x0
	s_barrier_signal -1
	s_barrier_wait -1
	s_and_saveexec_b32 s62, s70
	s_cbranch_execz .LBB76_170
; %bb.169:                              ;   in Loop: Header=BB76_3 Depth=1
	ds_load_b128 v[22:25], v27
	ds_load_b128 v[66:69], v2 offset:8960
	s_wait_dscnt 0x0
	v_mul_f64_e32 v[4:5], v[24:25], v[68:69]
	v_mul_f64_e32 v[68:69], v[22:23], v[68:69]
	s_delay_alu instid0(VALU_DEP_2) | instskip(NEXT) | instid1(VALU_DEP_2)
	v_fma_f64 v[4:5], v[22:23], v[66:67], -v[4:5]
	v_fmac_f64_e32 v[68:69], v[24:25], v[66:67]
	s_delay_alu instid0(VALU_DEP_2) | instskip(NEXT) | instid1(VALU_DEP_2)
	v_add_f64_e64 v[18:19], v[18:19], -v[4:5]
	v_add_f64_e64 v[20:21], v[20:21], -v[68:69]
.LBB76_170:                             ;   in Loop: Header=BB76_3 Depth=1
	s_or_b32 exec_lo, exec_lo, s62
	s_barrier_signal -1
	s_barrier_wait -1
	s_and_saveexec_b32 s62, s70
	s_cbranch_execz .LBB76_172
; %bb.171:                              ;   in Loop: Header=BB76_3 Depth=1
	ds_load_b128 v[22:25], v2 offset:8448
	s_wait_dscnt 0x0
	v_mul_f64_e32 v[66:67], v[18:19], v[24:25]
	s_delay_alu instid0(VALU_DEP_1) | instskip(NEXT) | instid1(VALU_DEP_1)
	v_fmac_f64_e32 v[66:67], v[20:21], v[22:23]
	v_dual_mul_f64 v[4:5], v[20:21], v[24:25] :: v_dual_mov_b32 v24, v66
	s_delay_alu instid0(VALU_DEP_1) | instskip(NEXT) | instid1(VALU_DEP_3)
	v_fma_f64 v[4:5], v[18:19], v[22:23], -v[4:5]
	v_mov_b64_e32 v[20:21], v[66:67]
	v_xor_b32_e32 v25, 0x80000000, v67
	s_delay_alu instid0(VALU_DEP_3)
	v_mov_b64_e32 v[18:19], v[4:5]
	v_xor_b32_e32 v23, 0x80000000, v5
	v_mov_b32_e32 v22, v4
	ds_store_b128 v27, v[22:25]
.LBB76_172:                             ;   in Loop: Header=BB76_3 Depth=1
	s_or_b32 exec_lo, exec_lo, s62
	s_wait_dscnt 0x0
	s_barrier_signal -1
	s_barrier_wait -1
	s_barrier_signal -1
	s_barrier_wait -1
	s_and_saveexec_b32 s62, s0
; %bb.173:                              ;   in Loop: Header=BB76_3 Depth=1
	ds_store_b128 v44, v[18:21] offset:9984
; %bb.174:                              ;   in Loop: Header=BB76_3 Depth=1
	s_or_b32 exec_lo, exec_lo, s62
	s_wait_dscnt 0x0
	s_barrier_signal -1
	s_barrier_wait -1
	s_barrier_signal -1
	s_barrier_wait -1
	s_and_saveexec_b32 s62, s10
	s_cbranch_execz .LBB76_176
; %bb.175:                              ;   in Loop: Header=BB76_3 Depth=1
	ds_load_b128 v[18:21], v2 offset:8976
	ds_load_b128 v[22:25], v2 offset:8448
	;; [unrolled: 1-line block ×3, first 2 shown]
	s_wait_dscnt 0x1
	v_mul_f64_e32 v[4:5], v[18:19], v[24:25]
	v_mul_f64_e32 v[24:25], v[20:21], v[24:25]
	s_delay_alu instid0(VALU_DEP_2) | instskip(NEXT) | instid1(VALU_DEP_2)
	v_fmac_f64_e32 v[4:5], v[20:21], v[22:23]
	v_fma_f64 v[18:19], v[18:19], v[22:23], -v[24:25]
	s_wait_dscnt 0x0
	s_delay_alu instid0(VALU_DEP_2) | instskip(NEXT) | instid1(VALU_DEP_2)
	v_mul_f64_e32 v[22:23], v[4:5], v[68:69]
	v_mul_f64_e32 v[20:21], v[18:19], v[68:69]
	s_delay_alu instid0(VALU_DEP_2) | instskip(NEXT) | instid1(VALU_DEP_2)
	v_fma_f64 v[18:19], v[66:67], v[18:19], -v[22:23]
	v_fmac_f64_e32 v[20:21], v[66:67], v[4:5]
	ds_store_b128 v2, v[18:21] offset:8960
.LBB76_176:                             ;   in Loop: Header=BB76_3 Depth=1
	s_or_b32 exec_lo, exec_lo, s62
	v_mov_b64_e32 v[20:21], 0
	v_mov_b64_e32 v[18:19], 0
	s_wait_dscnt 0x0
	s_barrier_signal -1
	s_barrier_wait -1
	global_wb scope:SCOPE_DEV
	s_wait_storecnt 0x0
	global_inv scope:SCOPE_DEV
	s_and_saveexec_b32 s62, s3
	s_cbranch_execz .LBB76_204
; %bb.177:                              ;   in Loop: Header=BB76_3 Depth=1
	ds_load_b128 v[18:21], v55 offset:16128
	ds_load_b128 v[22:25], v54 offset:8192
	s_wait_dscnt 0x0
	v_mul_f64_e32 v[4:5], v[20:21], v[24:25]
	v_mul_f64_e32 v[24:25], v[18:19], v[24:25]
	s_delay_alu instid0(VALU_DEP_2) | instskip(NEXT) | instid1(VALU_DEP_2)
	v_fma_f64 v[4:5], v[18:19], v[22:23], -v[4:5]
	v_fmac_f64_e32 v[24:25], v[20:21], v[22:23]
	s_delay_alu instid0(VALU_DEP_2) | instskip(NEXT) | instid1(VALU_DEP_2)
	v_add_f64_e32 v[18:19], 0, v[4:5]
	v_add_f64_e32 v[20:21], 0, v[24:25]
	s_mov_b32 s63, exec_lo
	v_readlane_b32 s99, v74, 19
	s_and_b32 s99, s63, s99
	s_delay_alu instid0(SALU_CYCLE_1)
	s_mov_b32 exec_lo, s99
	s_cbranch_execz .LBB76_179
; %bb.178:                              ;   in Loop: Header=BB76_3 Depth=1
	ds_load_b128 v[22:25], v55 offset:16144
	ds_load_b128 v[66:69], v54 offset:8704
	s_wait_dscnt 0x0
	v_mul_f64_e32 v[4:5], v[24:25], v[68:69]
	v_mul_f64_e32 v[68:69], v[22:23], v[68:69]
	s_delay_alu instid0(VALU_DEP_2) | instskip(NEXT) | instid1(VALU_DEP_2)
	v_fma_f64 v[4:5], v[22:23], v[66:67], -v[4:5]
	v_fmac_f64_e32 v[68:69], v[24:25], v[66:67]
	s_delay_alu instid0(VALU_DEP_2) | instskip(NEXT) | instid1(VALU_DEP_2)
	v_add_f64_e32 v[18:19], v[18:19], v[4:5]
	v_add_f64_e32 v[20:21], v[20:21], v[68:69]
.LBB76_179:                             ;   in Loop: Header=BB76_3 Depth=1
	s_or_b32 exec_lo, exec_lo, s63
	s_delay_alu instid0(SALU_CYCLE_1) | instskip(SKIP_2) | instid1(SALU_CYCLE_1)
	s_mov_b32 s63, exec_lo
	v_readlane_b32 s99, v74, 20
	s_and_b32 s99, s63, s99
	s_mov_b32 exec_lo, s99
	s_cbranch_execz .LBB76_181
; %bb.180:                              ;   in Loop: Header=BB76_3 Depth=1
	ds_load_b128 v[22:25], v55 offset:16160
	ds_load_b128 v[66:69], v54 offset:9216
	s_wait_dscnt 0x0
	v_mul_f64_e32 v[4:5], v[24:25], v[68:69]
	v_mul_f64_e32 v[68:69], v[22:23], v[68:69]
	s_delay_alu instid0(VALU_DEP_2) | instskip(NEXT) | instid1(VALU_DEP_2)
	v_fma_f64 v[4:5], v[22:23], v[66:67], -v[4:5]
	v_fmac_f64_e32 v[68:69], v[24:25], v[66:67]
	s_delay_alu instid0(VALU_DEP_2) | instskip(NEXT) | instid1(VALU_DEP_2)
	v_add_f64_e32 v[18:19], v[18:19], v[4:5]
	v_add_f64_e32 v[20:21], v[20:21], v[68:69]
.LBB76_181:                             ;   in Loop: Header=BB76_3 Depth=1
	s_or_b32 exec_lo, exec_lo, s63
	s_delay_alu instid0(SALU_CYCLE_1) | instskip(SKIP_2) | instid1(SALU_CYCLE_1)
	s_mov_b32 s63, exec_lo
	v_readlane_b32 s99, v74, 21
	s_and_b32 s99, s63, s99
	;; [unrolled: 20-line block ×10, first 2 shown]
	s_mov_b32 exec_lo, s99
	s_cbranch_execnz .LBB76_530
; %bb.198:                              ;   in Loop: Header=BB76_3 Depth=1
	s_or_b32 exec_lo, exec_lo, s63
	s_and_saveexec_b32 s63, s2
	s_cbranch_execnz .LBB76_531
.LBB76_199:                             ;   in Loop: Header=BB76_3 Depth=1
	s_or_b32 exec_lo, exec_lo, s63
	s_and_saveexec_b32 s63, s15
	s_cbranch_execnz .LBB76_532
.LBB76_200:                             ;   in Loop: Header=BB76_3 Depth=1
	s_or_b32 exec_lo, exec_lo, s63
	s_and_saveexec_b32 s63, s17
	s_cbranch_execnz .LBB76_533
.LBB76_201:                             ;   in Loop: Header=BB76_3 Depth=1
	s_or_b32 exec_lo, exec_lo, s63
	s_and_saveexec_b32 s63, s1
	s_cbranch_execz .LBB76_203
.LBB76_202:                             ;   in Loop: Header=BB76_3 Depth=1
	ds_load_b128 v[22:25], v2 offset:16368
	ds_load_b128 v[66:69], v43 offset:15872
	s_wait_dscnt 0x0
	v_mul_f64_e32 v[4:5], v[24:25], v[68:69]
	v_mul_f64_e32 v[68:69], v[22:23], v[68:69]
	s_delay_alu instid0(VALU_DEP_2) | instskip(NEXT) | instid1(VALU_DEP_2)
	v_fma_f64 v[4:5], v[22:23], v[66:67], -v[4:5]
	v_fmac_f64_e32 v[68:69], v[24:25], v[66:67]
	s_delay_alu instid0(VALU_DEP_2) | instskip(NEXT) | instid1(VALU_DEP_2)
	v_add_f64_e32 v[18:19], v[18:19], v[4:5]
	v_add_f64_e32 v[20:21], v[20:21], v[68:69]
.LBB76_203:                             ;   in Loop: Header=BB76_3 Depth=1
	s_or_b32 exec_lo, exec_lo, s63
.LBB76_204:                             ;   in Loop: Header=BB76_3 Depth=1
	s_delay_alu instid0(SALU_CYCLE_1) | instskip(NEXT) | instid1(SALU_CYCLE_1)
	s_or_b32 exec_lo, exec_lo, s62
	s_mov_b32 s62, exec_lo
	v_readlane_b32 s63, v74, 0
	s_and_b32 s63, s62, s63
	s_delay_alu instid0(SALU_CYCLE_1)
	s_mov_b32 exec_lo, s63
	s_cbranch_execz .LBB76_206
; %bb.205:                              ;   in Loop: Header=BB76_3 Depth=1
	ds_load_b128 v[22:25], v2 offset:7920
	s_wait_dscnt 0x0
	v_mul_f64_e32 v[66:67], v[18:19], v[24:25]
	s_delay_alu instid0(VALU_DEP_1) | instskip(NEXT) | instid1(VALU_DEP_1)
	v_fmac_f64_e32 v[66:67], v[20:21], v[22:23]
	v_dual_mul_f64 v[4:5], v[20:21], v[24:25] :: v_dual_mov_b32 v24, v66
	s_delay_alu instid0(VALU_DEP_1) | instskip(NEXT) | instid1(VALU_DEP_3)
	v_fma_f64 v[4:5], v[18:19], v[22:23], -v[4:5]
	v_mov_b64_e32 v[20:21], v[66:67]
	v_xor_b32_e32 v25, 0x80000000, v67
	s_delay_alu instid0(VALU_DEP_3)
	v_mov_b64_e32 v[18:19], v[4:5]
	v_xor_b32_e32 v23, 0x80000000, v5
	v_mov_b32_e32 v22, v4
	ds_store_b128 v53, v[22:25]
.LBB76_206:                             ;   in Loop: Header=BB76_3 Depth=1
	s_or_b32 exec_lo, exec_lo, s62
	s_wait_loadcnt_dscnt 0x0
	s_barrier_signal -1
	s_barrier_wait -1
	s_mov_b32 s62, exec_lo
	v_readlane_b32 s63, v74, 1
	s_and_b32 s63, s62, s63
	s_delay_alu instid0(SALU_CYCLE_1)
	s_mov_b32 exec_lo, s63
	s_cbranch_execz .LBB76_208
; %bb.207:                              ;   in Loop: Header=BB76_3 Depth=1
	ds_load_b128 v[22:25], v53
	ds_load_b128 v[66:69], v54 offset:7680
	s_wait_dscnt 0x0
	v_mul_f64_e32 v[4:5], v[24:25], v[68:69]
	v_mul_f64_e32 v[68:69], v[22:23], v[68:69]
	s_delay_alu instid0(VALU_DEP_2) | instskip(NEXT) | instid1(VALU_DEP_2)
	v_fma_f64 v[4:5], v[22:23], v[66:67], -v[4:5]
	v_fmac_f64_e32 v[68:69], v[24:25], v[66:67]
	s_delay_alu instid0(VALU_DEP_2) | instskip(NEXT) | instid1(VALU_DEP_2)
	v_add_f64_e64 v[18:19], v[18:19], -v[4:5]
	v_add_f64_e64 v[20:21], v[20:21], -v[68:69]
.LBB76_208:                             ;   in Loop: Header=BB76_3 Depth=1
	s_or_b32 exec_lo, exec_lo, s62
	s_barrier_signal -1
	s_barrier_wait -1
	s_mov_b32 s62, exec_lo
	v_readlane_b32 s63, v74, 2
	s_and_b32 s63, s62, s63
	s_delay_alu instid0(SALU_CYCLE_1)
	s_mov_b32 exec_lo, s63
	s_cbranch_execz .LBB76_210
; %bb.209:                              ;   in Loop: Header=BB76_3 Depth=1
	ds_load_b128 v[22:25], v2 offset:7392
	s_wait_dscnt 0x0
	v_mul_f64_e32 v[66:67], v[18:19], v[24:25]
	s_delay_alu instid0(VALU_DEP_1) | instskip(NEXT) | instid1(VALU_DEP_1)
	v_fmac_f64_e32 v[66:67], v[20:21], v[22:23]
	v_dual_mul_f64 v[4:5], v[20:21], v[24:25] :: v_dual_mov_b32 v24, v66
	s_delay_alu instid0(VALU_DEP_1) | instskip(NEXT) | instid1(VALU_DEP_3)
	v_fma_f64 v[4:5], v[18:19], v[22:23], -v[4:5]
	v_mov_b64_e32 v[20:21], v[66:67]
	v_xor_b32_e32 v25, 0x80000000, v67
	s_delay_alu instid0(VALU_DEP_3)
	v_mov_b64_e32 v[18:19], v[4:5]
	v_xor_b32_e32 v23, 0x80000000, v5
	v_mov_b32_e32 v22, v4
	ds_store_b128 v53, v[22:25]
.LBB76_210:                             ;   in Loop: Header=BB76_3 Depth=1
	s_or_b32 exec_lo, exec_lo, s62
	s_wait_dscnt 0x0
	s_barrier_signal -1
	s_barrier_wait -1
	s_mov_b32 s62, exec_lo
	v_readlane_b32 s63, v74, 3
	s_and_b32 s63, s62, s63
	s_delay_alu instid0(SALU_CYCLE_1)
	s_mov_b32 exec_lo, s63
	s_cbranch_execz .LBB76_212
; %bb.211:                              ;   in Loop: Header=BB76_3 Depth=1
	ds_load_b128 v[22:25], v53
	ds_load_b128 v[66:69], v54 offset:7168
	s_wait_dscnt 0x0
	v_mul_f64_e32 v[4:5], v[24:25], v[68:69]
	v_mul_f64_e32 v[68:69], v[22:23], v[68:69]
	s_delay_alu instid0(VALU_DEP_2) | instskip(NEXT) | instid1(VALU_DEP_2)
	v_fma_f64 v[4:5], v[22:23], v[66:67], -v[4:5]
	v_fmac_f64_e32 v[68:69], v[24:25], v[66:67]
	s_delay_alu instid0(VALU_DEP_2) | instskip(NEXT) | instid1(VALU_DEP_2)
	v_add_f64_e64 v[18:19], v[18:19], -v[4:5]
	v_add_f64_e64 v[20:21], v[20:21], -v[68:69]
.LBB76_212:                             ;   in Loop: Header=BB76_3 Depth=1
	s_or_b32 exec_lo, exec_lo, s62
	s_barrier_signal -1
	s_barrier_wait -1
	s_mov_b32 s62, exec_lo
	v_readlane_b32 s63, v74, 4
	s_and_b32 s63, s62, s63
	s_delay_alu instid0(SALU_CYCLE_1)
	s_mov_b32 exec_lo, s63
	s_cbranch_execz .LBB76_214
; %bb.213:                              ;   in Loop: Header=BB76_3 Depth=1
	ds_load_b128 v[22:25], v2 offset:6864
	s_wait_dscnt 0x0
	v_mul_f64_e32 v[66:67], v[18:19], v[24:25]
	s_delay_alu instid0(VALU_DEP_1) | instskip(NEXT) | instid1(VALU_DEP_1)
	v_fmac_f64_e32 v[66:67], v[20:21], v[22:23]
	v_dual_mul_f64 v[4:5], v[20:21], v[24:25] :: v_dual_mov_b32 v24, v66
	s_delay_alu instid0(VALU_DEP_1) | instskip(NEXT) | instid1(VALU_DEP_3)
	v_fma_f64 v[4:5], v[18:19], v[22:23], -v[4:5]
	v_mov_b64_e32 v[20:21], v[66:67]
	v_xor_b32_e32 v25, 0x80000000, v67
	s_delay_alu instid0(VALU_DEP_3)
	v_mov_b64_e32 v[18:19], v[4:5]
	v_xor_b32_e32 v23, 0x80000000, v5
	v_mov_b32_e32 v22, v4
	ds_store_b128 v53, v[22:25]
.LBB76_214:                             ;   in Loop: Header=BB76_3 Depth=1
	s_or_b32 exec_lo, exec_lo, s62
	s_wait_dscnt 0x0
	;; [unrolled: 49-line block ×6, first 2 shown]
	s_barrier_signal -1
	s_barrier_wait -1
	s_mov_b32 s62, exec_lo
	v_readlane_b32 s63, v74, 13
	s_and_b32 s63, s62, s63
	s_delay_alu instid0(SALU_CYCLE_1)
	s_mov_b32 exec_lo, s63
	s_cbranch_execz .LBB76_232
; %bb.231:                              ;   in Loop: Header=BB76_3 Depth=1
	ds_load_b128 v[22:25], v53
	ds_load_b128 v[66:69], v54 offset:4608
	s_wait_dscnt 0x0
	v_mul_f64_e32 v[4:5], v[24:25], v[68:69]
	v_mul_f64_e32 v[68:69], v[22:23], v[68:69]
	s_delay_alu instid0(VALU_DEP_2) | instskip(NEXT) | instid1(VALU_DEP_2)
	v_fma_f64 v[4:5], v[22:23], v[66:67], -v[4:5]
	v_fmac_f64_e32 v[68:69], v[24:25], v[66:67]
	s_delay_alu instid0(VALU_DEP_2) | instskip(NEXT) | instid1(VALU_DEP_2)
	v_add_f64_e64 v[18:19], v[18:19], -v[4:5]
	v_add_f64_e64 v[20:21], v[20:21], -v[68:69]
.LBB76_232:                             ;   in Loop: Header=BB76_3 Depth=1
	s_or_b32 exec_lo, exec_lo, s62
	s_barrier_signal -1
	s_barrier_wait -1
	s_and_saveexec_b32 s62, vcc_hi
	s_cbranch_execz .LBB76_234
; %bb.233:                              ;   in Loop: Header=BB76_3 Depth=1
	ds_load_b128 v[22:25], v2 offset:4224
	s_wait_dscnt 0x0
	v_mul_f64_e32 v[66:67], v[18:19], v[24:25]
	s_delay_alu instid0(VALU_DEP_1) | instskip(NEXT) | instid1(VALU_DEP_1)
	v_fmac_f64_e32 v[66:67], v[20:21], v[22:23]
	v_dual_mul_f64 v[4:5], v[20:21], v[24:25] :: v_dual_mov_b32 v24, v66
	s_delay_alu instid0(VALU_DEP_1) | instskip(NEXT) | instid1(VALU_DEP_3)
	v_fma_f64 v[4:5], v[18:19], v[22:23], -v[4:5]
	v_mov_b64_e32 v[20:21], v[66:67]
	v_xor_b32_e32 v25, 0x80000000, v67
	s_delay_alu instid0(VALU_DEP_3)
	v_mov_b64_e32 v[18:19], v[4:5]
	v_xor_b32_e32 v23, 0x80000000, v5
	v_mov_b32_e32 v22, v4
	ds_store_b128 v53, v[22:25]
.LBB76_234:                             ;   in Loop: Header=BB76_3 Depth=1
	s_or_b32 exec_lo, exec_lo, s62
	s_wait_dscnt 0x0
	s_barrier_signal -1
	s_barrier_wait -1
	s_and_saveexec_b32 s62, s19
	s_cbranch_execz .LBB76_236
; %bb.235:                              ;   in Loop: Header=BB76_3 Depth=1
	ds_load_b128 v[22:25], v53
	ds_load_b128 v[66:69], v54 offset:4096
	s_wait_dscnt 0x0
	v_mul_f64_e32 v[4:5], v[24:25], v[68:69]
	v_mul_f64_e32 v[68:69], v[22:23], v[68:69]
	s_delay_alu instid0(VALU_DEP_2) | instskip(NEXT) | instid1(VALU_DEP_2)
	v_fma_f64 v[4:5], v[22:23], v[66:67], -v[4:5]
	v_fmac_f64_e32 v[68:69], v[24:25], v[66:67]
	s_delay_alu instid0(VALU_DEP_2) | instskip(NEXT) | instid1(VALU_DEP_2)
	v_add_f64_e64 v[18:19], v[18:19], -v[4:5]
	v_add_f64_e64 v[20:21], v[20:21], -v[68:69]
.LBB76_236:                             ;   in Loop: Header=BB76_3 Depth=1
	s_or_b32 exec_lo, exec_lo, s62
	s_barrier_signal -1
	s_barrier_wait -1
	s_and_saveexec_b32 s62, s20
	s_cbranch_execz .LBB76_238
; %bb.237:                              ;   in Loop: Header=BB76_3 Depth=1
	ds_load_b128 v[22:25], v2 offset:3696
	s_wait_dscnt 0x0
	v_mul_f64_e32 v[66:67], v[18:19], v[24:25]
	s_delay_alu instid0(VALU_DEP_1) | instskip(NEXT) | instid1(VALU_DEP_1)
	v_fmac_f64_e32 v[66:67], v[20:21], v[22:23]
	v_dual_mul_f64 v[4:5], v[20:21], v[24:25] :: v_dual_mov_b32 v24, v66
	s_delay_alu instid0(VALU_DEP_1) | instskip(NEXT) | instid1(VALU_DEP_3)
	v_fma_f64 v[4:5], v[18:19], v[22:23], -v[4:5]
	v_mov_b64_e32 v[20:21], v[66:67]
	v_xor_b32_e32 v25, 0x80000000, v67
	s_delay_alu instid0(VALU_DEP_3)
	v_mov_b64_e32 v[18:19], v[4:5]
	v_xor_b32_e32 v23, 0x80000000, v5
	v_mov_b32_e32 v22, v4
	ds_store_b128 v53, v[22:25]
.LBB76_238:                             ;   in Loop: Header=BB76_3 Depth=1
	s_or_b32 exec_lo, exec_lo, s62
	s_wait_dscnt 0x0
	s_barrier_signal -1
	s_barrier_wait -1
	s_and_saveexec_b32 s62, s21
	s_cbranch_execz .LBB76_240
; %bb.239:                              ;   in Loop: Header=BB76_3 Depth=1
	ds_load_b128 v[22:25], v53
	ds_load_b128 v[66:69], v54 offset:3584
	s_wait_dscnt 0x0
	v_mul_f64_e32 v[4:5], v[24:25], v[68:69]
	v_mul_f64_e32 v[68:69], v[22:23], v[68:69]
	s_delay_alu instid0(VALU_DEP_2) | instskip(NEXT) | instid1(VALU_DEP_2)
	v_fma_f64 v[4:5], v[22:23], v[66:67], -v[4:5]
	v_fmac_f64_e32 v[68:69], v[24:25], v[66:67]
	s_delay_alu instid0(VALU_DEP_2) | instskip(NEXT) | instid1(VALU_DEP_2)
	v_add_f64_e64 v[18:19], v[18:19], -v[4:5]
	v_add_f64_e64 v[20:21], v[20:21], -v[68:69]
.LBB76_240:                             ;   in Loop: Header=BB76_3 Depth=1
	s_or_b32 exec_lo, exec_lo, s62
	s_barrier_signal -1
	s_barrier_wait -1
	s_and_saveexec_b32 s62, s22
	;; [unrolled: 41-line block ×8, first 2 shown]
	s_cbranch_execz .LBB76_266
; %bb.265:                              ;   in Loop: Header=BB76_3 Depth=1
	ds_load_b128 v[22:25], v2
	s_wait_dscnt 0x0
	v_mul_f64_e32 v[66:67], v[18:19], v[24:25]
	s_delay_alu instid0(VALU_DEP_1) | instskip(NEXT) | instid1(VALU_DEP_1)
	v_fmac_f64_e32 v[66:67], v[20:21], v[22:23]
	v_dual_mul_f64 v[4:5], v[20:21], v[24:25] :: v_dual_mov_b32 v24, v66
	s_delay_alu instid0(VALU_DEP_1) | instskip(NEXT) | instid1(VALU_DEP_3)
	v_fma_f64 v[4:5], v[18:19], v[22:23], -v[4:5]
	v_mov_b64_e32 v[20:21], v[66:67]
	v_xor_b32_e32 v25, 0x80000000, v67
	s_delay_alu instid0(VALU_DEP_3)
	v_mov_b64_e32 v[18:19], v[4:5]
	v_xor_b32_e32 v23, 0x80000000, v5
	v_mov_b32_e32 v22, v4
	ds_store_b128 v53, v[22:25]
.LBB76_266:                             ;   in Loop: Header=BB76_3 Depth=1
	s_or_b32 exec_lo, exec_lo, s62
	s_wait_dscnt 0x0
	s_barrier_signal -1
	s_barrier_wait -1
	s_barrier_signal -1
	s_barrier_wait -1
	s_and_saveexec_b32 s62, s3
; %bb.267:                              ;   in Loop: Header=BB76_3 Depth=1
	ds_store_b128 v29, v[18:21] offset:15872
; %bb.268:                              ;   in Loop: Header=BB76_3 Depth=1
	s_or_b32 exec_lo, exec_lo, s62
	s_wait_dscnt 0x0
	s_barrier_signal -1
	s_barrier_wait -1
	s_barrier_signal -1
	s_barrier_wait -1
	s_and_saveexec_b32 s62, s10
	s_cbranch_execz .LBB76_270
; %bb.269:                              ;   in Loop: Header=BB76_3 Depth=1
	ds_load_b128 v[18:21], v2 offset:7920
	ds_load_b128 v[22:25], v2 offset:7392
	;; [unrolled: 1-line block ×3, first 2 shown]
	s_wait_dscnt 0x1
	v_mul_f64_e32 v[4:5], v[18:19], v[24:25]
	v_mul_f64_e32 v[24:25], v[20:21], v[24:25]
	s_delay_alu instid0(VALU_DEP_2) | instskip(NEXT) | instid1(VALU_DEP_2)
	v_fmac_f64_e32 v[4:5], v[20:21], v[22:23]
	v_fma_f64 v[18:19], v[18:19], v[22:23], -v[24:25]
	s_wait_dscnt 0x0
	s_delay_alu instid0(VALU_DEP_2) | instskip(NEXT) | instid1(VALU_DEP_2)
	v_mul_f64_e32 v[22:23], v[4:5], v[68:69]
	v_mul_f64_e32 v[20:21], v[18:19], v[68:69]
	s_delay_alu instid0(VALU_DEP_2) | instskip(NEXT) | instid1(VALU_DEP_2)
	v_fma_f64 v[18:19], v[66:67], v[18:19], -v[22:23]
	v_fmac_f64_e32 v[20:21], v[66:67], v[4:5]
	ds_store_b128 v2, v[18:21] offset:7904
.LBB76_270:                             ;   in Loop: Header=BB76_3 Depth=1
	s_or_b32 exec_lo, exec_lo, s62
	v_mov_b64_e32 v[18:19], 0
	v_mov_b64_e32 v[20:21], 0
	s_wait_dscnt 0x0
	s_barrier_signal -1
	s_barrier_wait -1
	global_wb scope:SCOPE_DEV
	s_wait_storecnt 0x0
	global_inv scope:SCOPE_DEV
	s_and_saveexec_b32 s62, s0
	s_cbranch_execz .LBB76_274
; %bb.271:                              ;   in Loop: Header=BB76_3 Depth=1
	ds_load_b128 v[18:21], v42 offset:7904
	ds_load_b128 v[22:25], v41 offset:7360
	s_wait_dscnt 0x0
	v_mul_f64_e32 v[4:5], v[20:21], v[24:25]
	v_mul_f64_e32 v[24:25], v[18:19], v[24:25]
	s_delay_alu instid0(VALU_DEP_2) | instskip(NEXT) | instid1(VALU_DEP_2)
	v_fma_f64 v[4:5], v[18:19], v[22:23], -v[4:5]
	v_fmac_f64_e32 v[24:25], v[20:21], v[22:23]
	s_delay_alu instid0(VALU_DEP_2) | instskip(NEXT) | instid1(VALU_DEP_2)
	v_add_f64_e32 v[18:19], 0, v[4:5]
	v_add_f64_e32 v[20:21], 0, v[24:25]
	s_and_saveexec_b32 s63, s11
	s_cbranch_execz .LBB76_273
; %bb.272:                              ;   in Loop: Header=BB76_3 Depth=1
	ds_load_b128 v[22:25], v2 offset:7920
	ds_load_b128 v[66:69], v43 offset:7872
	s_wait_dscnt 0x0
	v_mul_f64_e32 v[4:5], v[24:25], v[68:69]
	v_mul_f64_e32 v[68:69], v[22:23], v[68:69]
	s_delay_alu instid0(VALU_DEP_2) | instskip(NEXT) | instid1(VALU_DEP_2)
	v_fma_f64 v[4:5], v[22:23], v[66:67], -v[4:5]
	v_fmac_f64_e32 v[68:69], v[24:25], v[66:67]
	s_delay_alu instid0(VALU_DEP_2) | instskip(NEXT) | instid1(VALU_DEP_2)
	v_add_f64_e32 v[18:19], v[18:19], v[4:5]
	v_add_f64_e32 v[20:21], v[20:21], v[68:69]
.LBB76_273:                             ;   in Loop: Header=BB76_3 Depth=1
	s_or_b32 exec_lo, exec_lo, s63
.LBB76_274:                             ;   in Loop: Header=BB76_3 Depth=1
	s_delay_alu instid0(SALU_CYCLE_1)
	s_or_b32 exec_lo, exec_lo, s62
	s_and_saveexec_b32 s62, s69
	s_cbranch_execz .LBB76_276
; %bb.275:                              ;   in Loop: Header=BB76_3 Depth=1
	ds_load_b128 v[22:25], v2 offset:6864
	s_wait_dscnt 0x0
	v_mul_f64_e32 v[66:67], v[18:19], v[24:25]
	s_delay_alu instid0(VALU_DEP_1) | instskip(NEXT) | instid1(VALU_DEP_1)
	v_fmac_f64_e32 v[66:67], v[20:21], v[22:23]
	v_dual_mul_f64 v[4:5], v[20:21], v[24:25] :: v_dual_mov_b32 v24, v66
	s_delay_alu instid0(VALU_DEP_1) | instskip(NEXT) | instid1(VALU_DEP_3)
	v_fma_f64 v[4:5], v[18:19], v[22:23], -v[4:5]
	v_mov_b64_e32 v[20:21], v[66:67]
	v_xor_b32_e32 v25, 0x80000000, v67
	s_delay_alu instid0(VALU_DEP_3)
	v_mov_b64_e32 v[18:19], v[4:5]
	v_xor_b32_e32 v23, 0x80000000, v5
	v_mov_b32_e32 v22, v4
	ds_store_b128 v27, v[22:25]
.LBB76_276:                             ;   in Loop: Header=BB76_3 Depth=1
	s_or_b32 exec_lo, exec_lo, s62
	s_wait_loadcnt_dscnt 0x0
	s_barrier_signal -1
	s_barrier_wait -1
	s_and_saveexec_b32 s62, s70
	s_cbranch_execz .LBB76_278
; %bb.277:                              ;   in Loop: Header=BB76_3 Depth=1
	ds_load_b128 v[22:25], v27
	ds_load_b128 v[66:69], v2 offset:6848
	s_wait_dscnt 0x0
	v_mul_f64_e32 v[4:5], v[24:25], v[68:69]
	v_mul_f64_e32 v[68:69], v[22:23], v[68:69]
	s_delay_alu instid0(VALU_DEP_2) | instskip(NEXT) | instid1(VALU_DEP_2)
	v_fma_f64 v[4:5], v[22:23], v[66:67], -v[4:5]
	v_fmac_f64_e32 v[68:69], v[24:25], v[66:67]
	s_delay_alu instid0(VALU_DEP_2) | instskip(NEXT) | instid1(VALU_DEP_2)
	v_add_f64_e64 v[18:19], v[18:19], -v[4:5]
	v_add_f64_e64 v[20:21], v[20:21], -v[68:69]
.LBB76_278:                             ;   in Loop: Header=BB76_3 Depth=1
	s_or_b32 exec_lo, exec_lo, s62
	s_barrier_signal -1
	s_barrier_wait -1
	s_and_saveexec_b32 s62, s70
	s_cbranch_execz .LBB76_280
; %bb.279:                              ;   in Loop: Header=BB76_3 Depth=1
	ds_load_b128 v[22:25], v2 offset:6336
	s_wait_dscnt 0x0
	v_mul_f64_e32 v[66:67], v[18:19], v[24:25]
	s_delay_alu instid0(VALU_DEP_1) | instskip(NEXT) | instid1(VALU_DEP_1)
	v_fmac_f64_e32 v[66:67], v[20:21], v[22:23]
	v_dual_mul_f64 v[4:5], v[20:21], v[24:25] :: v_dual_mov_b32 v24, v66
	s_delay_alu instid0(VALU_DEP_1) | instskip(NEXT) | instid1(VALU_DEP_3)
	v_fma_f64 v[4:5], v[18:19], v[22:23], -v[4:5]
	v_mov_b64_e32 v[20:21], v[66:67]
	v_xor_b32_e32 v25, 0x80000000, v67
	s_delay_alu instid0(VALU_DEP_3)
	v_mov_b64_e32 v[18:19], v[4:5]
	v_xor_b32_e32 v23, 0x80000000, v5
	v_mov_b32_e32 v22, v4
	ds_store_b128 v27, v[22:25]
.LBB76_280:                             ;   in Loop: Header=BB76_3 Depth=1
	s_or_b32 exec_lo, exec_lo, s62
	s_wait_dscnt 0x0
	s_barrier_signal -1
	s_barrier_wait -1
	s_barrier_signal -1
	s_barrier_wait -1
	s_and_saveexec_b32 s62, s0
; %bb.281:                              ;   in Loop: Header=BB76_3 Depth=1
	ds_store_b128 v44, v[18:21] offset:7872
; %bb.282:                              ;   in Loop: Header=BB76_3 Depth=1
	s_or_b32 exec_lo, exec_lo, s62
	s_wait_dscnt 0x0
	s_barrier_signal -1
	s_barrier_wait -1
	s_barrier_signal -1
	s_barrier_wait -1
	s_and_saveexec_b32 s62, s10
	s_cbranch_execz .LBB76_284
; %bb.283:                              ;   in Loop: Header=BB76_3 Depth=1
	ds_load_b128 v[18:21], v2 offset:6864
	ds_load_b128 v[22:25], v2 offset:6336
	;; [unrolled: 1-line block ×3, first 2 shown]
	s_wait_dscnt 0x1
	v_mul_f64_e32 v[4:5], v[18:19], v[24:25]
	v_mul_f64_e32 v[24:25], v[20:21], v[24:25]
	s_delay_alu instid0(VALU_DEP_2) | instskip(NEXT) | instid1(VALU_DEP_2)
	v_fmac_f64_e32 v[4:5], v[20:21], v[22:23]
	v_fma_f64 v[18:19], v[18:19], v[22:23], -v[24:25]
	s_wait_dscnt 0x0
	s_delay_alu instid0(VALU_DEP_2) | instskip(NEXT) | instid1(VALU_DEP_2)
	v_mul_f64_e32 v[22:23], v[4:5], v[68:69]
	v_mul_f64_e32 v[20:21], v[18:19], v[68:69]
	s_delay_alu instid0(VALU_DEP_2) | instskip(NEXT) | instid1(VALU_DEP_2)
	v_fma_f64 v[18:19], v[66:67], v[18:19], -v[22:23]
	v_fmac_f64_e32 v[20:21], v[66:67], v[4:5]
	ds_store_b128 v2, v[18:21] offset:6848
.LBB76_284:                             ;   in Loop: Header=BB76_3 Depth=1
	s_or_b32 exec_lo, exec_lo, s62
	v_mov_b64_e32 v[20:21], 0
	v_mov_b64_e32 v[18:19], 0
	s_wait_dscnt 0x0
	s_barrier_signal -1
	s_barrier_wait -1
	global_wb scope:SCOPE_DEV
	s_wait_storecnt 0x0
	global_inv scope:SCOPE_DEV
	s_and_saveexec_b32 s62, s1
	s_cbranch_execz .LBB76_290
; %bb.285:                              ;   in Loop: Header=BB76_3 Depth=1
	ds_load_b128 v[18:21], v47 offset:7872
	ds_load_b128 v[22:25], v46 offset:6272
	s_wait_dscnt 0x0
	v_mul_f64_e32 v[4:5], v[20:21], v[24:25]
	v_mul_f64_e32 v[24:25], v[18:19], v[24:25]
	s_delay_alu instid0(VALU_DEP_2) | instskip(NEXT) | instid1(VALU_DEP_2)
	v_fma_f64 v[4:5], v[18:19], v[22:23], -v[4:5]
	v_fmac_f64_e32 v[24:25], v[20:21], v[22:23]
	s_delay_alu instid0(VALU_DEP_2) | instskip(NEXT) | instid1(VALU_DEP_2)
	v_add_f64_e32 v[18:19], 0, v[4:5]
	v_add_f64_e32 v[20:21], 0, v[24:25]
	s_and_saveexec_b32 s63, s12
	s_cbranch_execnz .LBB76_534
; %bb.286:                              ;   in Loop: Header=BB76_3 Depth=1
	s_or_b32 exec_lo, exec_lo, s63
	s_and_saveexec_b32 s63, s13
	s_cbranch_execnz .LBB76_535
.LBB76_287:                             ;   in Loop: Header=BB76_3 Depth=1
	s_or_b32 exec_lo, exec_lo, s63
	s_and_saveexec_b32 s63, s0
	s_cbranch_execz .LBB76_289
.LBB76_288:                             ;   in Loop: Header=BB76_3 Depth=1
	ds_load_b128 v[22:25], v2 offset:7920
	ds_load_b128 v[66:69], v43 offset:7808
	s_wait_dscnt 0x0
	v_mul_f64_e32 v[4:5], v[24:25], v[68:69]
	v_mul_f64_e32 v[68:69], v[22:23], v[68:69]
	s_delay_alu instid0(VALU_DEP_2) | instskip(NEXT) | instid1(VALU_DEP_2)
	v_fma_f64 v[4:5], v[22:23], v[66:67], -v[4:5]
	v_fmac_f64_e32 v[68:69], v[24:25], v[66:67]
	s_delay_alu instid0(VALU_DEP_2) | instskip(NEXT) | instid1(VALU_DEP_2)
	v_add_f64_e32 v[18:19], v[18:19], v[4:5]
	v_add_f64_e32 v[20:21], v[20:21], v[68:69]
.LBB76_289:                             ;   in Loop: Header=BB76_3 Depth=1
	s_or_b32 exec_lo, exec_lo, s63
.LBB76_290:                             ;   in Loop: Header=BB76_3 Depth=1
	s_delay_alu instid0(SALU_CYCLE_1)
	s_or_b32 exec_lo, exec_lo, s62
	s_and_saveexec_b32 s62, s71
	s_cbranch_execz .LBB76_292
; %bb.291:                              ;   in Loop: Header=BB76_3 Depth=1
	ds_load_b128 v[22:25], v2 offset:5808
	s_wait_dscnt 0x0
	v_mul_f64_e32 v[66:67], v[18:19], v[24:25]
	s_delay_alu instid0(VALU_DEP_1) | instskip(NEXT) | instid1(VALU_DEP_1)
	v_fmac_f64_e32 v[66:67], v[20:21], v[22:23]
	v_dual_mul_f64 v[4:5], v[20:21], v[24:25] :: v_dual_mov_b32 v24, v66
	s_delay_alu instid0(VALU_DEP_1) | instskip(NEXT) | instid1(VALU_DEP_3)
	v_fma_f64 v[4:5], v[18:19], v[22:23], -v[4:5]
	v_mov_b64_e32 v[20:21], v[66:67]
	v_xor_b32_e32 v25, 0x80000000, v67
	s_delay_alu instid0(VALU_DEP_3)
	v_mov_b64_e32 v[18:19], v[4:5]
	v_xor_b32_e32 v23, 0x80000000, v5
	v_mov_b32_e32 v22, v4
	ds_store_b128 v45, v[22:25]
.LBB76_292:                             ;   in Loop: Header=BB76_3 Depth=1
	s_or_b32 exec_lo, exec_lo, s62
	s_wait_loadcnt_dscnt 0x0
	s_barrier_signal -1
	s_barrier_wait -1
	s_and_saveexec_b32 s62, s72
	s_cbranch_execz .LBB76_294
; %bb.293:                              ;   in Loop: Header=BB76_3 Depth=1
	ds_load_b128 v[22:25], v45
	ds_load_b128 v[66:69], v46 offset:5760
	s_wait_dscnt 0x0
	v_mul_f64_e32 v[4:5], v[24:25], v[68:69]
	v_mul_f64_e32 v[68:69], v[22:23], v[68:69]
	s_delay_alu instid0(VALU_DEP_2) | instskip(NEXT) | instid1(VALU_DEP_2)
	v_fma_f64 v[4:5], v[22:23], v[66:67], -v[4:5]
	v_fmac_f64_e32 v[68:69], v[24:25], v[66:67]
	s_delay_alu instid0(VALU_DEP_2) | instskip(NEXT) | instid1(VALU_DEP_2)
	v_add_f64_e64 v[18:19], v[18:19], -v[4:5]
	v_add_f64_e64 v[20:21], v[20:21], -v[68:69]
.LBB76_294:                             ;   in Loop: Header=BB76_3 Depth=1
	s_or_b32 exec_lo, exec_lo, s62
	s_barrier_signal -1
	s_barrier_wait -1
	s_and_saveexec_b32 s62, s73
	s_cbranch_execz .LBB76_296
; %bb.295:                              ;   in Loop: Header=BB76_3 Depth=1
	ds_load_b128 v[22:25], v2 offset:5280
	s_wait_dscnt 0x0
	v_mul_f64_e32 v[66:67], v[18:19], v[24:25]
	s_delay_alu instid0(VALU_DEP_1) | instskip(NEXT) | instid1(VALU_DEP_1)
	v_fmac_f64_e32 v[66:67], v[20:21], v[22:23]
	v_dual_mul_f64 v[4:5], v[20:21], v[24:25] :: v_dual_mov_b32 v24, v66
	s_delay_alu instid0(VALU_DEP_1) | instskip(NEXT) | instid1(VALU_DEP_3)
	v_fma_f64 v[4:5], v[18:19], v[22:23], -v[4:5]
	v_mov_b64_e32 v[20:21], v[66:67]
	v_xor_b32_e32 v25, 0x80000000, v67
	s_delay_alu instid0(VALU_DEP_3)
	v_mov_b64_e32 v[18:19], v[4:5]
	v_xor_b32_e32 v23, 0x80000000, v5
	v_mov_b32_e32 v22, v4
	ds_store_b128 v45, v[22:25]
.LBB76_296:                             ;   in Loop: Header=BB76_3 Depth=1
	s_or_b32 exec_lo, exec_lo, s62
	s_wait_dscnt 0x0
	s_barrier_signal -1
	s_barrier_wait -1
	s_and_saveexec_b32 s62, s74
	s_cbranch_execz .LBB76_298
; %bb.297:                              ;   in Loop: Header=BB76_3 Depth=1
	ds_load_b128 v[22:25], v45
	ds_load_b128 v[66:69], v46 offset:5248
	s_wait_dscnt 0x0
	v_mul_f64_e32 v[4:5], v[24:25], v[68:69]
	v_mul_f64_e32 v[68:69], v[22:23], v[68:69]
	s_delay_alu instid0(VALU_DEP_2) | instskip(NEXT) | instid1(VALU_DEP_2)
	v_fma_f64 v[4:5], v[22:23], v[66:67], -v[4:5]
	v_fmac_f64_e32 v[68:69], v[24:25], v[66:67]
	s_delay_alu instid0(VALU_DEP_2) | instskip(NEXT) | instid1(VALU_DEP_2)
	v_add_f64_e64 v[18:19], v[18:19], -v[4:5]
	v_add_f64_e64 v[20:21], v[20:21], -v[68:69]
.LBB76_298:                             ;   in Loop: Header=BB76_3 Depth=1
	s_or_b32 exec_lo, exec_lo, s62
	s_barrier_signal -1
	s_barrier_wait -1
	s_and_saveexec_b32 s62, s75
	s_cbranch_execz .LBB76_300
; %bb.299:                              ;   in Loop: Header=BB76_3 Depth=1
	ds_load_b128 v[22:25], v2 offset:4752
	s_wait_dscnt 0x0
	v_mul_f64_e32 v[66:67], v[18:19], v[24:25]
	s_delay_alu instid0(VALU_DEP_1) | instskip(NEXT) | instid1(VALU_DEP_1)
	v_fmac_f64_e32 v[66:67], v[20:21], v[22:23]
	v_dual_mul_f64 v[4:5], v[20:21], v[24:25] :: v_dual_mov_b32 v24, v66
	s_delay_alu instid0(VALU_DEP_1) | instskip(NEXT) | instid1(VALU_DEP_3)
	v_fma_f64 v[4:5], v[18:19], v[22:23], -v[4:5]
	v_mov_b64_e32 v[20:21], v[66:67]
	v_xor_b32_e32 v25, 0x80000000, v67
	s_delay_alu instid0(VALU_DEP_3)
	v_mov_b64_e32 v[18:19], v[4:5]
	v_xor_b32_e32 v23, 0x80000000, v5
	v_mov_b32_e32 v22, v4
	ds_store_b128 v45, v[22:25]
.LBB76_300:                             ;   in Loop: Header=BB76_3 Depth=1
	s_or_b32 exec_lo, exec_lo, s62
	s_wait_dscnt 0x0
	;; [unrolled: 41-line block ×3, first 2 shown]
	s_barrier_signal -1
	s_barrier_wait -1
	s_barrier_signal -1
	s_barrier_wait -1
	s_and_saveexec_b32 s62, s1
; %bb.305:                              ;   in Loop: Header=BB76_3 Depth=1
	ds_store_b128 v48, v[18:21] offset:7808
; %bb.306:                              ;   in Loop: Header=BB76_3 Depth=1
	s_or_b32 exec_lo, exec_lo, s62
	s_wait_dscnt 0x0
	s_barrier_signal -1
	s_barrier_wait -1
	s_barrier_signal -1
	s_barrier_wait -1
	s_and_saveexec_b32 s62, s10
	s_cbranch_execz .LBB76_308
; %bb.307:                              ;   in Loop: Header=BB76_3 Depth=1
	ds_load_b128 v[18:21], v2 offset:5808
	ds_load_b128 v[22:25], v2 offset:5280
	;; [unrolled: 1-line block ×3, first 2 shown]
	s_wait_dscnt 0x1
	v_mul_f64_e32 v[4:5], v[18:19], v[24:25]
	v_mul_f64_e32 v[24:25], v[20:21], v[24:25]
	s_delay_alu instid0(VALU_DEP_2) | instskip(NEXT) | instid1(VALU_DEP_2)
	v_fmac_f64_e32 v[4:5], v[20:21], v[22:23]
	v_fma_f64 v[18:19], v[18:19], v[22:23], -v[24:25]
	s_wait_dscnt 0x0
	s_delay_alu instid0(VALU_DEP_2) | instskip(NEXT) | instid1(VALU_DEP_2)
	v_mul_f64_e32 v[22:23], v[4:5], v[68:69]
	v_mul_f64_e32 v[20:21], v[18:19], v[68:69]
	s_delay_alu instid0(VALU_DEP_2) | instskip(NEXT) | instid1(VALU_DEP_2)
	v_fma_f64 v[18:19], v[66:67], v[18:19], -v[22:23]
	v_fmac_f64_e32 v[20:21], v[66:67], v[4:5]
	ds_store_b128 v2, v[18:21] offset:5792
.LBB76_308:                             ;   in Loop: Header=BB76_3 Depth=1
	s_or_b32 exec_lo, exec_lo, s62
	v_mov_b64_e32 v[18:19], 0
	v_mov_b64_e32 v[20:21], 0
	s_wait_dscnt 0x0
	s_barrier_signal -1
	s_barrier_wait -1
	global_wb scope:SCOPE_DEV
	s_wait_storecnt 0x0
	global_inv scope:SCOPE_DEV
	s_and_saveexec_b32 s62, s0
	s_cbranch_execz .LBB76_312
; %bb.309:                              ;   in Loop: Header=BB76_3 Depth=1
	ds_load_b128 v[18:21], v42 offset:5792
	ds_load_b128 v[22:25], v41 offset:5248
	s_wait_dscnt 0x0
	v_mul_f64_e32 v[4:5], v[20:21], v[24:25]
	v_mul_f64_e32 v[24:25], v[18:19], v[24:25]
	s_delay_alu instid0(VALU_DEP_2) | instskip(NEXT) | instid1(VALU_DEP_2)
	v_fma_f64 v[4:5], v[18:19], v[22:23], -v[4:5]
	v_fmac_f64_e32 v[24:25], v[20:21], v[22:23]
	s_delay_alu instid0(VALU_DEP_2) | instskip(NEXT) | instid1(VALU_DEP_2)
	v_add_f64_e32 v[18:19], 0, v[4:5]
	v_add_f64_e32 v[20:21], 0, v[24:25]
	s_and_saveexec_b32 s63, s11
	s_cbranch_execz .LBB76_311
; %bb.310:                              ;   in Loop: Header=BB76_3 Depth=1
	ds_load_b128 v[22:25], v2 offset:5808
	ds_load_b128 v[66:69], v43 offset:5760
	s_wait_dscnt 0x0
	v_mul_f64_e32 v[4:5], v[24:25], v[68:69]
	v_mul_f64_e32 v[68:69], v[22:23], v[68:69]
	s_delay_alu instid0(VALU_DEP_2) | instskip(NEXT) | instid1(VALU_DEP_2)
	v_fma_f64 v[4:5], v[22:23], v[66:67], -v[4:5]
	v_fmac_f64_e32 v[68:69], v[24:25], v[66:67]
	s_delay_alu instid0(VALU_DEP_2) | instskip(NEXT) | instid1(VALU_DEP_2)
	v_add_f64_e32 v[18:19], v[18:19], v[4:5]
	v_add_f64_e32 v[20:21], v[20:21], v[68:69]
.LBB76_311:                             ;   in Loop: Header=BB76_3 Depth=1
	s_or_b32 exec_lo, exec_lo, s63
.LBB76_312:                             ;   in Loop: Header=BB76_3 Depth=1
	s_delay_alu instid0(SALU_CYCLE_1)
	s_or_b32 exec_lo, exec_lo, s62
	s_and_saveexec_b32 s62, s69
	s_cbranch_execz .LBB76_314
; %bb.313:                              ;   in Loop: Header=BB76_3 Depth=1
	ds_load_b128 v[22:25], v2 offset:4752
	s_wait_dscnt 0x0
	v_mul_f64_e32 v[66:67], v[18:19], v[24:25]
	s_delay_alu instid0(VALU_DEP_1) | instskip(NEXT) | instid1(VALU_DEP_1)
	v_fmac_f64_e32 v[66:67], v[20:21], v[22:23]
	v_dual_mul_f64 v[4:5], v[20:21], v[24:25] :: v_dual_mov_b32 v24, v66
	s_delay_alu instid0(VALU_DEP_1) | instskip(NEXT) | instid1(VALU_DEP_3)
	v_fma_f64 v[4:5], v[18:19], v[22:23], -v[4:5]
	v_mov_b64_e32 v[20:21], v[66:67]
	v_xor_b32_e32 v25, 0x80000000, v67
	s_delay_alu instid0(VALU_DEP_3)
	v_mov_b64_e32 v[18:19], v[4:5]
	v_xor_b32_e32 v23, 0x80000000, v5
	v_mov_b32_e32 v22, v4
	ds_store_b128 v27, v[22:25]
.LBB76_314:                             ;   in Loop: Header=BB76_3 Depth=1
	s_or_b32 exec_lo, exec_lo, s62
	s_wait_loadcnt_dscnt 0x0
	s_barrier_signal -1
	s_barrier_wait -1
	s_and_saveexec_b32 s62, s70
	s_cbranch_execz .LBB76_316
; %bb.315:                              ;   in Loop: Header=BB76_3 Depth=1
	ds_load_b128 v[22:25], v27
	ds_load_b128 v[66:69], v2 offset:4736
	s_wait_dscnt 0x0
	v_mul_f64_e32 v[4:5], v[24:25], v[68:69]
	v_mul_f64_e32 v[68:69], v[22:23], v[68:69]
	s_delay_alu instid0(VALU_DEP_2) | instskip(NEXT) | instid1(VALU_DEP_2)
	v_fma_f64 v[4:5], v[22:23], v[66:67], -v[4:5]
	v_fmac_f64_e32 v[68:69], v[24:25], v[66:67]
	s_delay_alu instid0(VALU_DEP_2) | instskip(NEXT) | instid1(VALU_DEP_2)
	v_add_f64_e64 v[18:19], v[18:19], -v[4:5]
	v_add_f64_e64 v[20:21], v[20:21], -v[68:69]
.LBB76_316:                             ;   in Loop: Header=BB76_3 Depth=1
	s_or_b32 exec_lo, exec_lo, s62
	s_barrier_signal -1
	s_barrier_wait -1
	s_and_saveexec_b32 s62, s70
	s_cbranch_execz .LBB76_318
; %bb.317:                              ;   in Loop: Header=BB76_3 Depth=1
	ds_load_b128 v[22:25], v2 offset:4224
	s_wait_dscnt 0x0
	v_mul_f64_e32 v[66:67], v[18:19], v[24:25]
	s_delay_alu instid0(VALU_DEP_1) | instskip(NEXT) | instid1(VALU_DEP_1)
	v_fmac_f64_e32 v[66:67], v[20:21], v[22:23]
	v_dual_mul_f64 v[4:5], v[20:21], v[24:25] :: v_dual_mov_b32 v24, v66
	s_delay_alu instid0(VALU_DEP_1) | instskip(NEXT) | instid1(VALU_DEP_3)
	v_fma_f64 v[4:5], v[18:19], v[22:23], -v[4:5]
	v_mov_b64_e32 v[20:21], v[66:67]
	v_xor_b32_e32 v25, 0x80000000, v67
	s_delay_alu instid0(VALU_DEP_3)
	v_mov_b64_e32 v[18:19], v[4:5]
	v_xor_b32_e32 v23, 0x80000000, v5
	v_mov_b32_e32 v22, v4
	ds_store_b128 v27, v[22:25]
.LBB76_318:                             ;   in Loop: Header=BB76_3 Depth=1
	s_or_b32 exec_lo, exec_lo, s62
	s_wait_dscnt 0x0
	s_barrier_signal -1
	s_barrier_wait -1
	s_barrier_signal -1
	s_barrier_wait -1
	s_and_saveexec_b32 s62, s0
; %bb.319:                              ;   in Loop: Header=BB76_3 Depth=1
	ds_store_b128 v44, v[18:21] offset:5760
; %bb.320:                              ;   in Loop: Header=BB76_3 Depth=1
	s_or_b32 exec_lo, exec_lo, s62
	s_wait_dscnt 0x0
	s_barrier_signal -1
	s_barrier_wait -1
	s_barrier_signal -1
	s_barrier_wait -1
	s_and_saveexec_b32 s62, s10
	s_cbranch_execz .LBB76_322
; %bb.321:                              ;   in Loop: Header=BB76_3 Depth=1
	ds_load_b128 v[18:21], v2 offset:4752
	ds_load_b128 v[22:25], v2 offset:4224
	;; [unrolled: 1-line block ×3, first 2 shown]
	s_wait_dscnt 0x1
	v_mul_f64_e32 v[4:5], v[18:19], v[24:25]
	v_mul_f64_e32 v[24:25], v[20:21], v[24:25]
	s_delay_alu instid0(VALU_DEP_2) | instskip(NEXT) | instid1(VALU_DEP_2)
	v_fmac_f64_e32 v[4:5], v[20:21], v[22:23]
	v_fma_f64 v[18:19], v[18:19], v[22:23], -v[24:25]
	s_wait_dscnt 0x0
	s_delay_alu instid0(VALU_DEP_2) | instskip(NEXT) | instid1(VALU_DEP_2)
	v_mul_f64_e32 v[22:23], v[4:5], v[68:69]
	v_mul_f64_e32 v[20:21], v[18:19], v[68:69]
	s_delay_alu instid0(VALU_DEP_2) | instskip(NEXT) | instid1(VALU_DEP_2)
	v_fma_f64 v[18:19], v[66:67], v[18:19], -v[22:23]
	v_fmac_f64_e32 v[20:21], v[66:67], v[4:5]
	ds_store_b128 v2, v[18:21] offset:4736
.LBB76_322:                             ;   in Loop: Header=BB76_3 Depth=1
	s_or_b32 exec_lo, exec_lo, s62
	v_mov_b64_e32 v[20:21], 0
	v_mov_b64_e32 v[18:19], 0
	s_wait_dscnt 0x0
	s_barrier_signal -1
	s_barrier_wait -1
	global_wb scope:SCOPE_DEV
	s_wait_storecnt 0x0
	global_inv scope:SCOPE_DEV
	s_and_saveexec_b32 s62, s2
	s_cbranch_execz .LBB76_332
; %bb.323:                              ;   in Loop: Header=BB76_3 Depth=1
	ds_load_b128 v[18:21], v51 offset:7808
	ds_load_b128 v[22:25], v50 offset:4096
	s_wait_dscnt 0x0
	v_mul_f64_e32 v[4:5], v[20:21], v[24:25]
	v_mul_f64_e32 v[24:25], v[18:19], v[24:25]
	s_delay_alu instid0(VALU_DEP_2) | instskip(NEXT) | instid1(VALU_DEP_2)
	v_fma_f64 v[4:5], v[18:19], v[22:23], -v[4:5]
	v_fmac_f64_e32 v[24:25], v[20:21], v[22:23]
	s_delay_alu instid0(VALU_DEP_2) | instskip(NEXT) | instid1(VALU_DEP_2)
	v_add_f64_e32 v[18:19], 0, v[4:5]
	v_add_f64_e32 v[20:21], 0, v[24:25]
	s_and_saveexec_b32 s63, s14
	s_cbranch_execnz .LBB76_536
; %bb.324:                              ;   in Loop: Header=BB76_3 Depth=1
	s_or_b32 exec_lo, exec_lo, s63
	s_and_saveexec_b32 s63, s15
	s_cbranch_execnz .LBB76_537
.LBB76_325:                             ;   in Loop: Header=BB76_3 Depth=1
	s_or_b32 exec_lo, exec_lo, s63
	s_and_saveexec_b32 s63, s16
	s_cbranch_execnz .LBB76_538
.LBB76_326:                             ;   in Loop: Header=BB76_3 Depth=1
	s_or_b32 exec_lo, exec_lo, s63
	s_and_saveexec_b32 s63, s17
	s_cbranch_execnz .LBB76_539
.LBB76_327:                             ;   in Loop: Header=BB76_3 Depth=1
	s_or_b32 exec_lo, exec_lo, s63
	s_and_saveexec_b32 s63, s18
	s_cbranch_execnz .LBB76_540
.LBB76_328:                             ;   in Loop: Header=BB76_3 Depth=1
	s_or_b32 exec_lo, exec_lo, s63
	s_and_saveexec_b32 s63, s1
	s_cbranch_execnz .LBB76_541
.LBB76_329:                             ;   in Loop: Header=BB76_3 Depth=1
	s_or_b32 exec_lo, exec_lo, s63
	s_and_saveexec_b32 s63, s13
	s_cbranch_execz .LBB76_331
.LBB76_330:                             ;   in Loop: Header=BB76_3 Depth=1
	ds_load_b128 v[22:25], v2 offset:7920
	ds_load_b128 v[66:69], v43 offset:7680
	s_wait_dscnt 0x0
	v_mul_f64_e32 v[4:5], v[24:25], v[68:69]
	v_mul_f64_e32 v[68:69], v[22:23], v[68:69]
	s_delay_alu instid0(VALU_DEP_2) | instskip(NEXT) | instid1(VALU_DEP_2)
	v_fma_f64 v[4:5], v[22:23], v[66:67], -v[4:5]
	v_fmac_f64_e32 v[68:69], v[24:25], v[66:67]
	s_delay_alu instid0(VALU_DEP_2) | instskip(NEXT) | instid1(VALU_DEP_2)
	v_add_f64_e32 v[18:19], v[18:19], v[4:5]
	v_add_f64_e32 v[20:21], v[20:21], v[68:69]
.LBB76_331:                             ;   in Loop: Header=BB76_3 Depth=1
	s_or_b32 exec_lo, exec_lo, s63
.LBB76_332:                             ;   in Loop: Header=BB76_3 Depth=1
	s_delay_alu instid0(SALU_CYCLE_1)
	s_or_b32 exec_lo, exec_lo, s62
	s_and_saveexec_b32 s62, s77
	s_cbranch_execz .LBB76_334
; %bb.333:                              ;   in Loop: Header=BB76_3 Depth=1
	ds_load_b128 v[22:25], v2 offset:3696
	s_wait_dscnt 0x0
	v_mul_f64_e32 v[66:67], v[18:19], v[24:25]
	s_delay_alu instid0(VALU_DEP_1) | instskip(NEXT) | instid1(VALU_DEP_1)
	v_fmac_f64_e32 v[66:67], v[20:21], v[22:23]
	v_dual_mul_f64 v[4:5], v[20:21], v[24:25] :: v_dual_mov_b32 v24, v66
	s_delay_alu instid0(VALU_DEP_1) | instskip(NEXT) | instid1(VALU_DEP_3)
	v_fma_f64 v[4:5], v[18:19], v[22:23], -v[4:5]
	v_mov_b64_e32 v[20:21], v[66:67]
	v_xor_b32_e32 v25, 0x80000000, v67
	s_delay_alu instid0(VALU_DEP_3)
	v_mov_b64_e32 v[18:19], v[4:5]
	v_xor_b32_e32 v23, 0x80000000, v5
	v_mov_b32_e32 v22, v4
	ds_store_b128 v49, v[22:25]
.LBB76_334:                             ;   in Loop: Header=BB76_3 Depth=1
	s_or_b32 exec_lo, exec_lo, s62
	s_wait_loadcnt_dscnt 0x0
	s_barrier_signal -1
	s_barrier_wait -1
	s_and_saveexec_b32 s62, s78
	s_cbranch_execz .LBB76_336
; %bb.335:                              ;   in Loop: Header=BB76_3 Depth=1
	ds_load_b128 v[22:25], v49
	ds_load_b128 v[66:69], v50 offset:3584
	s_wait_dscnt 0x0
	v_mul_f64_e32 v[4:5], v[24:25], v[68:69]
	v_mul_f64_e32 v[68:69], v[22:23], v[68:69]
	s_delay_alu instid0(VALU_DEP_2) | instskip(NEXT) | instid1(VALU_DEP_2)
	v_fma_f64 v[4:5], v[22:23], v[66:67], -v[4:5]
	v_fmac_f64_e32 v[68:69], v[24:25], v[66:67]
	s_delay_alu instid0(VALU_DEP_2) | instskip(NEXT) | instid1(VALU_DEP_2)
	v_add_f64_e64 v[18:19], v[18:19], -v[4:5]
	v_add_f64_e64 v[20:21], v[20:21], -v[68:69]
.LBB76_336:                             ;   in Loop: Header=BB76_3 Depth=1
	s_or_b32 exec_lo, exec_lo, s62
	s_barrier_signal -1
	s_barrier_wait -1
	s_and_saveexec_b32 s62, s79
	s_cbranch_execz .LBB76_338
; %bb.337:                              ;   in Loop: Header=BB76_3 Depth=1
	ds_load_b128 v[22:25], v2 offset:3168
	s_wait_dscnt 0x0
	v_mul_f64_e32 v[66:67], v[18:19], v[24:25]
	s_delay_alu instid0(VALU_DEP_1) | instskip(NEXT) | instid1(VALU_DEP_1)
	v_fmac_f64_e32 v[66:67], v[20:21], v[22:23]
	v_dual_mul_f64 v[4:5], v[20:21], v[24:25] :: v_dual_mov_b32 v24, v66
	s_delay_alu instid0(VALU_DEP_1) | instskip(NEXT) | instid1(VALU_DEP_3)
	v_fma_f64 v[4:5], v[18:19], v[22:23], -v[4:5]
	v_mov_b64_e32 v[20:21], v[66:67]
	v_xor_b32_e32 v25, 0x80000000, v67
	s_delay_alu instid0(VALU_DEP_3)
	v_mov_b64_e32 v[18:19], v[4:5]
	v_xor_b32_e32 v23, 0x80000000, v5
	v_mov_b32_e32 v22, v4
	ds_store_b128 v49, v[22:25]
.LBB76_338:                             ;   in Loop: Header=BB76_3 Depth=1
	s_or_b32 exec_lo, exec_lo, s62
	s_wait_dscnt 0x0
	s_barrier_signal -1
	s_barrier_wait -1
	s_and_saveexec_b32 s62, s80
	s_cbranch_execz .LBB76_340
; %bb.339:                              ;   in Loop: Header=BB76_3 Depth=1
	ds_load_b128 v[22:25], v49
	ds_load_b128 v[66:69], v50 offset:3072
	s_wait_dscnt 0x0
	v_mul_f64_e32 v[4:5], v[24:25], v[68:69]
	v_mul_f64_e32 v[68:69], v[22:23], v[68:69]
	s_delay_alu instid0(VALU_DEP_2) | instskip(NEXT) | instid1(VALU_DEP_2)
	v_fma_f64 v[4:5], v[22:23], v[66:67], -v[4:5]
	v_fmac_f64_e32 v[68:69], v[24:25], v[66:67]
	s_delay_alu instid0(VALU_DEP_2) | instskip(NEXT) | instid1(VALU_DEP_2)
	v_add_f64_e64 v[18:19], v[18:19], -v[4:5]
	v_add_f64_e64 v[20:21], v[20:21], -v[68:69]
.LBB76_340:                             ;   in Loop: Header=BB76_3 Depth=1
	s_or_b32 exec_lo, exec_lo, s62
	s_barrier_signal -1
	s_barrier_wait -1
	s_and_saveexec_b32 s62, s81
	s_cbranch_execz .LBB76_342
; %bb.341:                              ;   in Loop: Header=BB76_3 Depth=1
	ds_load_b128 v[22:25], v2 offset:2640
	s_wait_dscnt 0x0
	v_mul_f64_e32 v[66:67], v[18:19], v[24:25]
	s_delay_alu instid0(VALU_DEP_1) | instskip(NEXT) | instid1(VALU_DEP_1)
	v_fmac_f64_e32 v[66:67], v[20:21], v[22:23]
	v_dual_mul_f64 v[4:5], v[20:21], v[24:25] :: v_dual_mov_b32 v24, v66
	s_delay_alu instid0(VALU_DEP_1) | instskip(NEXT) | instid1(VALU_DEP_3)
	v_fma_f64 v[4:5], v[18:19], v[22:23], -v[4:5]
	v_mov_b64_e32 v[20:21], v[66:67]
	v_xor_b32_e32 v25, 0x80000000, v67
	s_delay_alu instid0(VALU_DEP_3)
	v_mov_b64_e32 v[18:19], v[4:5]
	v_xor_b32_e32 v23, 0x80000000, v5
	v_mov_b32_e32 v22, v4
	ds_store_b128 v49, v[22:25]
.LBB76_342:                             ;   in Loop: Header=BB76_3 Depth=1
	s_or_b32 exec_lo, exec_lo, s62
	s_wait_dscnt 0x0
	;; [unrolled: 41-line block ×6, first 2 shown]
	s_barrier_signal -1
	s_barrier_wait -1
	s_and_saveexec_b32 s62, s90
	s_cbranch_execz .LBB76_360
; %bb.359:                              ;   in Loop: Header=BB76_3 Depth=1
	ds_load_b128 v[22:25], v49
	ds_load_b128 v[66:69], v2 offset:512
	s_wait_dscnt 0x0
	v_mul_f64_e32 v[4:5], v[24:25], v[68:69]
	v_mul_f64_e32 v[68:69], v[22:23], v[68:69]
	s_delay_alu instid0(VALU_DEP_2) | instskip(NEXT) | instid1(VALU_DEP_2)
	v_fma_f64 v[4:5], v[22:23], v[66:67], -v[4:5]
	v_fmac_f64_e32 v[68:69], v[24:25], v[66:67]
	s_delay_alu instid0(VALU_DEP_2) | instskip(NEXT) | instid1(VALU_DEP_2)
	v_add_f64_e64 v[18:19], v[18:19], -v[4:5]
	v_add_f64_e64 v[20:21], v[20:21], -v[68:69]
.LBB76_360:                             ;   in Loop: Header=BB76_3 Depth=1
	s_or_b32 exec_lo, exec_lo, s62
	s_barrier_signal -1
	s_barrier_wait -1
	s_and_saveexec_b32 s62, s90
	s_cbranch_execz .LBB76_362
; %bb.361:                              ;   in Loop: Header=BB76_3 Depth=1
	ds_load_b128 v[22:25], v2
	s_wait_dscnt 0x0
	v_mul_f64_e32 v[66:67], v[18:19], v[24:25]
	s_delay_alu instid0(VALU_DEP_1) | instskip(NEXT) | instid1(VALU_DEP_1)
	v_fmac_f64_e32 v[66:67], v[20:21], v[22:23]
	v_dual_mul_f64 v[4:5], v[20:21], v[24:25] :: v_dual_mov_b32 v24, v66
	s_delay_alu instid0(VALU_DEP_1) | instskip(NEXT) | instid1(VALU_DEP_3)
	v_fma_f64 v[4:5], v[18:19], v[22:23], -v[4:5]
	v_mov_b64_e32 v[20:21], v[66:67]
	v_xor_b32_e32 v25, 0x80000000, v67
	s_delay_alu instid0(VALU_DEP_3)
	v_mov_b64_e32 v[18:19], v[4:5]
	v_xor_b32_e32 v23, 0x80000000, v5
	v_mov_b32_e32 v22, v4
	ds_store_b128 v49, v[22:25]
.LBB76_362:                             ;   in Loop: Header=BB76_3 Depth=1
	s_or_b32 exec_lo, exec_lo, s62
	s_wait_dscnt 0x0
	s_barrier_signal -1
	s_barrier_wait -1
	s_barrier_signal -1
	s_barrier_wait -1
	s_and_saveexec_b32 s62, s2
; %bb.363:                              ;   in Loop: Header=BB76_3 Depth=1
	ds_store_b128 v52, v[18:21] offset:7680
; %bb.364:                              ;   in Loop: Header=BB76_3 Depth=1
	s_or_b32 exec_lo, exec_lo, s62
	s_wait_dscnt 0x0
	s_barrier_signal -1
	s_barrier_wait -1
	s_barrier_signal -1
	s_barrier_wait -1
	s_and_saveexec_b32 s62, s10
	s_cbranch_execz .LBB76_366
; %bb.365:                              ;   in Loop: Header=BB76_3 Depth=1
	ds_load_b128 v[18:21], v2 offset:3696
	ds_load_b128 v[22:25], v2 offset:3168
	;; [unrolled: 1-line block ×3, first 2 shown]
	s_wait_dscnt 0x1
	v_mul_f64_e32 v[4:5], v[18:19], v[24:25]
	v_mul_f64_e32 v[24:25], v[20:21], v[24:25]
	s_delay_alu instid0(VALU_DEP_2) | instskip(NEXT) | instid1(VALU_DEP_2)
	v_fmac_f64_e32 v[4:5], v[20:21], v[22:23]
	v_fma_f64 v[18:19], v[18:19], v[22:23], -v[24:25]
	s_wait_dscnt 0x0
	s_delay_alu instid0(VALU_DEP_2) | instskip(NEXT) | instid1(VALU_DEP_2)
	v_mul_f64_e32 v[22:23], v[4:5], v[68:69]
	v_mul_f64_e32 v[20:21], v[18:19], v[68:69]
	s_delay_alu instid0(VALU_DEP_2) | instskip(NEXT) | instid1(VALU_DEP_2)
	v_fma_f64 v[18:19], v[66:67], v[18:19], -v[22:23]
	v_fmac_f64_e32 v[20:21], v[66:67], v[4:5]
	ds_store_b128 v2, v[18:21] offset:3680
.LBB76_366:                             ;   in Loop: Header=BB76_3 Depth=1
	s_or_b32 exec_lo, exec_lo, s62
	v_mov_b64_e32 v[18:19], 0
	v_mov_b64_e32 v[20:21], 0
	s_wait_dscnt 0x0
	s_barrier_signal -1
	s_barrier_wait -1
	global_wb scope:SCOPE_DEV
	s_wait_storecnt 0x0
	global_inv scope:SCOPE_DEV
	s_and_saveexec_b32 s62, s0
	s_cbranch_execz .LBB76_370
; %bb.367:                              ;   in Loop: Header=BB76_3 Depth=1
	ds_load_b128 v[18:21], v42 offset:3680
	ds_load_b128 v[22:25], v41 offset:3136
	s_wait_dscnt 0x0
	v_mul_f64_e32 v[4:5], v[20:21], v[24:25]
	v_mul_f64_e32 v[24:25], v[18:19], v[24:25]
	s_delay_alu instid0(VALU_DEP_2) | instskip(NEXT) | instid1(VALU_DEP_2)
	v_fma_f64 v[4:5], v[18:19], v[22:23], -v[4:5]
	v_fmac_f64_e32 v[24:25], v[20:21], v[22:23]
	s_delay_alu instid0(VALU_DEP_2) | instskip(NEXT) | instid1(VALU_DEP_2)
	v_add_f64_e32 v[18:19], 0, v[4:5]
	v_add_f64_e32 v[20:21], 0, v[24:25]
	s_and_saveexec_b32 s63, s11
	s_cbranch_execz .LBB76_369
; %bb.368:                              ;   in Loop: Header=BB76_3 Depth=1
	ds_load_b128 v[22:25], v2 offset:3696
	ds_load_b128 v[66:69], v43 offset:3648
	s_wait_dscnt 0x0
	v_mul_f64_e32 v[4:5], v[24:25], v[68:69]
	v_mul_f64_e32 v[68:69], v[22:23], v[68:69]
	s_delay_alu instid0(VALU_DEP_2) | instskip(NEXT) | instid1(VALU_DEP_2)
	v_fma_f64 v[4:5], v[22:23], v[66:67], -v[4:5]
	v_fmac_f64_e32 v[68:69], v[24:25], v[66:67]
	s_delay_alu instid0(VALU_DEP_2) | instskip(NEXT) | instid1(VALU_DEP_2)
	v_add_f64_e32 v[18:19], v[18:19], v[4:5]
	v_add_f64_e32 v[20:21], v[20:21], v[68:69]
.LBB76_369:                             ;   in Loop: Header=BB76_3 Depth=1
	s_or_b32 exec_lo, exec_lo, s63
.LBB76_370:                             ;   in Loop: Header=BB76_3 Depth=1
	s_delay_alu instid0(SALU_CYCLE_1)
	s_or_b32 exec_lo, exec_lo, s62
	s_and_saveexec_b32 s62, s69
	s_cbranch_execz .LBB76_372
; %bb.371:                              ;   in Loop: Header=BB76_3 Depth=1
	ds_load_b128 v[22:25], v2 offset:2640
	s_wait_dscnt 0x0
	v_mul_f64_e32 v[66:67], v[18:19], v[24:25]
	s_delay_alu instid0(VALU_DEP_1) | instskip(NEXT) | instid1(VALU_DEP_1)
	v_fmac_f64_e32 v[66:67], v[20:21], v[22:23]
	v_dual_mul_f64 v[4:5], v[20:21], v[24:25] :: v_dual_mov_b32 v24, v66
	s_delay_alu instid0(VALU_DEP_1) | instskip(NEXT) | instid1(VALU_DEP_3)
	v_fma_f64 v[4:5], v[18:19], v[22:23], -v[4:5]
	v_mov_b64_e32 v[20:21], v[66:67]
	v_xor_b32_e32 v25, 0x80000000, v67
	s_delay_alu instid0(VALU_DEP_3)
	v_mov_b64_e32 v[18:19], v[4:5]
	v_xor_b32_e32 v23, 0x80000000, v5
	v_mov_b32_e32 v22, v4
	ds_store_b128 v27, v[22:25]
.LBB76_372:                             ;   in Loop: Header=BB76_3 Depth=1
	s_or_b32 exec_lo, exec_lo, s62
	s_wait_loadcnt_dscnt 0x0
	s_barrier_signal -1
	s_barrier_wait -1
	s_and_saveexec_b32 s62, s70
	s_cbranch_execz .LBB76_374
; %bb.373:                              ;   in Loop: Header=BB76_3 Depth=1
	ds_load_b128 v[22:25], v27
	ds_load_b128 v[66:69], v2 offset:2624
	s_wait_dscnt 0x0
	v_mul_f64_e32 v[4:5], v[24:25], v[68:69]
	v_mul_f64_e32 v[68:69], v[22:23], v[68:69]
	s_delay_alu instid0(VALU_DEP_2) | instskip(NEXT) | instid1(VALU_DEP_2)
	v_fma_f64 v[4:5], v[22:23], v[66:67], -v[4:5]
	v_fmac_f64_e32 v[68:69], v[24:25], v[66:67]
	s_delay_alu instid0(VALU_DEP_2) | instskip(NEXT) | instid1(VALU_DEP_2)
	v_add_f64_e64 v[18:19], v[18:19], -v[4:5]
	v_add_f64_e64 v[20:21], v[20:21], -v[68:69]
.LBB76_374:                             ;   in Loop: Header=BB76_3 Depth=1
	s_or_b32 exec_lo, exec_lo, s62
	s_barrier_signal -1
	s_barrier_wait -1
	s_and_saveexec_b32 s62, s70
	s_cbranch_execz .LBB76_376
; %bb.375:                              ;   in Loop: Header=BB76_3 Depth=1
	ds_load_b128 v[22:25], v2 offset:2112
	s_wait_dscnt 0x0
	v_mul_f64_e32 v[66:67], v[18:19], v[24:25]
	s_delay_alu instid0(VALU_DEP_1) | instskip(NEXT) | instid1(VALU_DEP_1)
	v_fmac_f64_e32 v[66:67], v[20:21], v[22:23]
	v_dual_mul_f64 v[4:5], v[20:21], v[24:25] :: v_dual_mov_b32 v24, v66
	s_delay_alu instid0(VALU_DEP_1) | instskip(NEXT) | instid1(VALU_DEP_3)
	v_fma_f64 v[4:5], v[18:19], v[22:23], -v[4:5]
	v_mov_b64_e32 v[20:21], v[66:67]
	v_xor_b32_e32 v25, 0x80000000, v67
	s_delay_alu instid0(VALU_DEP_3)
	v_mov_b64_e32 v[18:19], v[4:5]
	v_xor_b32_e32 v23, 0x80000000, v5
	v_mov_b32_e32 v22, v4
	ds_store_b128 v27, v[22:25]
.LBB76_376:                             ;   in Loop: Header=BB76_3 Depth=1
	s_or_b32 exec_lo, exec_lo, s62
	s_wait_dscnt 0x0
	s_barrier_signal -1
	s_barrier_wait -1
	s_barrier_signal -1
	s_barrier_wait -1
	s_and_saveexec_b32 s62, s0
; %bb.377:                              ;   in Loop: Header=BB76_3 Depth=1
	ds_store_b128 v44, v[18:21] offset:3648
; %bb.378:                              ;   in Loop: Header=BB76_3 Depth=1
	s_or_b32 exec_lo, exec_lo, s62
	s_wait_dscnt 0x0
	s_barrier_signal -1
	s_barrier_wait -1
	s_barrier_signal -1
	s_barrier_wait -1
	s_and_saveexec_b32 s62, s10
	s_cbranch_execz .LBB76_380
; %bb.379:                              ;   in Loop: Header=BB76_3 Depth=1
	ds_load_b128 v[18:21], v2 offset:2640
	ds_load_b128 v[22:25], v2 offset:2112
	;; [unrolled: 1-line block ×3, first 2 shown]
	s_wait_dscnt 0x1
	v_mul_f64_e32 v[4:5], v[18:19], v[24:25]
	v_mul_f64_e32 v[24:25], v[20:21], v[24:25]
	s_delay_alu instid0(VALU_DEP_2) | instskip(NEXT) | instid1(VALU_DEP_2)
	v_fmac_f64_e32 v[4:5], v[20:21], v[22:23]
	v_fma_f64 v[18:19], v[18:19], v[22:23], -v[24:25]
	s_wait_dscnt 0x0
	s_delay_alu instid0(VALU_DEP_2) | instskip(NEXT) | instid1(VALU_DEP_2)
	v_mul_f64_e32 v[22:23], v[4:5], v[68:69]
	v_mul_f64_e32 v[20:21], v[18:19], v[68:69]
	s_delay_alu instid0(VALU_DEP_2) | instskip(NEXT) | instid1(VALU_DEP_2)
	v_fma_f64 v[18:19], v[66:67], v[18:19], -v[22:23]
	v_fmac_f64_e32 v[20:21], v[66:67], v[4:5]
	ds_store_b128 v2, v[18:21] offset:2624
.LBB76_380:                             ;   in Loop: Header=BB76_3 Depth=1
	s_or_b32 exec_lo, exec_lo, s62
	v_mov_b64_e32 v[20:21], 0
	v_mov_b64_e32 v[18:19], 0
	s_wait_dscnt 0x0
	s_barrier_signal -1
	s_barrier_wait -1
	global_wb scope:SCOPE_DEV
	s_wait_storecnt 0x0
	global_inv scope:SCOPE_DEV
	s_and_saveexec_b32 s62, s1
	s_cbranch_execz .LBB76_386
; %bb.381:                              ;   in Loop: Header=BB76_3 Depth=1
	ds_load_b128 v[18:21], v47 offset:3648
	ds_load_b128 v[22:25], v46 offset:2048
	s_wait_dscnt 0x0
	v_mul_f64_e32 v[4:5], v[20:21], v[24:25]
	v_mul_f64_e32 v[24:25], v[18:19], v[24:25]
	s_delay_alu instid0(VALU_DEP_2) | instskip(NEXT) | instid1(VALU_DEP_2)
	v_fma_f64 v[4:5], v[18:19], v[22:23], -v[4:5]
	v_fmac_f64_e32 v[24:25], v[20:21], v[22:23]
	s_delay_alu instid0(VALU_DEP_2) | instskip(NEXT) | instid1(VALU_DEP_2)
	v_add_f64_e32 v[18:19], 0, v[4:5]
	v_add_f64_e32 v[20:21], 0, v[24:25]
	s_and_saveexec_b32 s63, s12
	s_cbranch_execnz .LBB76_542
; %bb.382:                              ;   in Loop: Header=BB76_3 Depth=1
	s_or_b32 exec_lo, exec_lo, s63
	s_and_saveexec_b32 s63, s13
	s_cbranch_execnz .LBB76_543
.LBB76_383:                             ;   in Loop: Header=BB76_3 Depth=1
	s_or_b32 exec_lo, exec_lo, s63
	s_and_saveexec_b32 s63, s0
	s_cbranch_execz .LBB76_385
.LBB76_384:                             ;   in Loop: Header=BB76_3 Depth=1
	ds_load_b128 v[22:25], v2 offset:3696
	ds_load_b128 v[66:69], v43 offset:3584
	s_wait_dscnt 0x0
	v_mul_f64_e32 v[4:5], v[24:25], v[68:69]
	v_mul_f64_e32 v[68:69], v[22:23], v[68:69]
	s_delay_alu instid0(VALU_DEP_2) | instskip(NEXT) | instid1(VALU_DEP_2)
	v_fma_f64 v[4:5], v[22:23], v[66:67], -v[4:5]
	v_fmac_f64_e32 v[68:69], v[24:25], v[66:67]
	s_delay_alu instid0(VALU_DEP_2) | instskip(NEXT) | instid1(VALU_DEP_2)
	v_add_f64_e32 v[18:19], v[18:19], v[4:5]
	v_add_f64_e32 v[20:21], v[20:21], v[68:69]
.LBB76_385:                             ;   in Loop: Header=BB76_3 Depth=1
	s_or_b32 exec_lo, exec_lo, s63
.LBB76_386:                             ;   in Loop: Header=BB76_3 Depth=1
	s_delay_alu instid0(SALU_CYCLE_1)
	s_or_b32 exec_lo, exec_lo, s62
	s_and_saveexec_b32 s62, s71
	s_cbranch_execz .LBB76_388
; %bb.387:                              ;   in Loop: Header=BB76_3 Depth=1
	ds_load_b128 v[22:25], v2 offset:1584
	s_wait_dscnt 0x0
	v_mul_f64_e32 v[66:67], v[18:19], v[24:25]
	s_delay_alu instid0(VALU_DEP_1) | instskip(NEXT) | instid1(VALU_DEP_1)
	v_fmac_f64_e32 v[66:67], v[20:21], v[22:23]
	v_dual_mul_f64 v[4:5], v[20:21], v[24:25] :: v_dual_mov_b32 v24, v66
	s_delay_alu instid0(VALU_DEP_1) | instskip(NEXT) | instid1(VALU_DEP_3)
	v_fma_f64 v[4:5], v[18:19], v[22:23], -v[4:5]
	v_mov_b64_e32 v[20:21], v[66:67]
	v_xor_b32_e32 v25, 0x80000000, v67
	s_delay_alu instid0(VALU_DEP_3)
	v_mov_b64_e32 v[18:19], v[4:5]
	v_xor_b32_e32 v23, 0x80000000, v5
	v_mov_b32_e32 v22, v4
	ds_store_b128 v45, v[22:25]
.LBB76_388:                             ;   in Loop: Header=BB76_3 Depth=1
	s_or_b32 exec_lo, exec_lo, s62
	s_wait_loadcnt_dscnt 0x0
	s_barrier_signal -1
	s_barrier_wait -1
	s_and_saveexec_b32 s62, s72
	s_cbranch_execz .LBB76_390
; %bb.389:                              ;   in Loop: Header=BB76_3 Depth=1
	ds_load_b128 v[22:25], v45
	ds_load_b128 v[66:69], v46 offset:1536
	s_wait_dscnt 0x0
	v_mul_f64_e32 v[4:5], v[24:25], v[68:69]
	v_mul_f64_e32 v[68:69], v[22:23], v[68:69]
	s_delay_alu instid0(VALU_DEP_2) | instskip(NEXT) | instid1(VALU_DEP_2)
	v_fma_f64 v[4:5], v[22:23], v[66:67], -v[4:5]
	v_fmac_f64_e32 v[68:69], v[24:25], v[66:67]
	s_delay_alu instid0(VALU_DEP_2) | instskip(NEXT) | instid1(VALU_DEP_2)
	v_add_f64_e64 v[18:19], v[18:19], -v[4:5]
	v_add_f64_e64 v[20:21], v[20:21], -v[68:69]
.LBB76_390:                             ;   in Loop: Header=BB76_3 Depth=1
	s_or_b32 exec_lo, exec_lo, s62
	s_barrier_signal -1
	s_barrier_wait -1
	s_and_saveexec_b32 s62, s73
	s_cbranch_execz .LBB76_392
; %bb.391:                              ;   in Loop: Header=BB76_3 Depth=1
	ds_load_b128 v[22:25], v2 offset:1056
	s_wait_dscnt 0x0
	v_mul_f64_e32 v[66:67], v[18:19], v[24:25]
	s_delay_alu instid0(VALU_DEP_1) | instskip(NEXT) | instid1(VALU_DEP_1)
	v_fmac_f64_e32 v[66:67], v[20:21], v[22:23]
	v_dual_mul_f64 v[4:5], v[20:21], v[24:25] :: v_dual_mov_b32 v24, v66
	s_delay_alu instid0(VALU_DEP_1) | instskip(NEXT) | instid1(VALU_DEP_3)
	v_fma_f64 v[4:5], v[18:19], v[22:23], -v[4:5]
	v_mov_b64_e32 v[20:21], v[66:67]
	v_xor_b32_e32 v25, 0x80000000, v67
	s_delay_alu instid0(VALU_DEP_3)
	v_mov_b64_e32 v[18:19], v[4:5]
	v_xor_b32_e32 v23, 0x80000000, v5
	v_mov_b32_e32 v22, v4
	ds_store_b128 v45, v[22:25]
.LBB76_392:                             ;   in Loop: Header=BB76_3 Depth=1
	s_or_b32 exec_lo, exec_lo, s62
	s_wait_dscnt 0x0
	s_barrier_signal -1
	s_barrier_wait -1
	s_and_saveexec_b32 s62, s74
	s_cbranch_execz .LBB76_394
; %bb.393:                              ;   in Loop: Header=BB76_3 Depth=1
	ds_load_b128 v[22:25], v45
	ds_load_b128 v[66:69], v46 offset:1024
	s_wait_dscnt 0x0
	v_mul_f64_e32 v[4:5], v[24:25], v[68:69]
	v_mul_f64_e32 v[68:69], v[22:23], v[68:69]
	s_delay_alu instid0(VALU_DEP_2) | instskip(NEXT) | instid1(VALU_DEP_2)
	v_fma_f64 v[4:5], v[22:23], v[66:67], -v[4:5]
	v_fmac_f64_e32 v[68:69], v[24:25], v[66:67]
	s_delay_alu instid0(VALU_DEP_2) | instskip(NEXT) | instid1(VALU_DEP_2)
	v_add_f64_e64 v[18:19], v[18:19], -v[4:5]
	v_add_f64_e64 v[20:21], v[20:21], -v[68:69]
.LBB76_394:                             ;   in Loop: Header=BB76_3 Depth=1
	s_or_b32 exec_lo, exec_lo, s62
	s_barrier_signal -1
	s_barrier_wait -1
	s_and_saveexec_b32 s62, s75
	s_cbranch_execz .LBB76_396
; %bb.395:                              ;   in Loop: Header=BB76_3 Depth=1
	ds_load_b128 v[22:25], v2 offset:528
	s_wait_dscnt 0x0
	v_mul_f64_e32 v[66:67], v[18:19], v[24:25]
	s_delay_alu instid0(VALU_DEP_1) | instskip(NEXT) | instid1(VALU_DEP_1)
	v_fmac_f64_e32 v[66:67], v[20:21], v[22:23]
	v_dual_mul_f64 v[4:5], v[20:21], v[24:25] :: v_dual_mov_b32 v24, v66
	s_delay_alu instid0(VALU_DEP_1) | instskip(NEXT) | instid1(VALU_DEP_3)
	v_fma_f64 v[4:5], v[18:19], v[22:23], -v[4:5]
	v_mov_b64_e32 v[20:21], v[66:67]
	v_xor_b32_e32 v25, 0x80000000, v67
	s_delay_alu instid0(VALU_DEP_3)
	v_mov_b64_e32 v[18:19], v[4:5]
	v_xor_b32_e32 v23, 0x80000000, v5
	v_mov_b32_e32 v22, v4
	ds_store_b128 v45, v[22:25]
.LBB76_396:                             ;   in Loop: Header=BB76_3 Depth=1
	s_or_b32 exec_lo, exec_lo, s62
	s_wait_dscnt 0x0
	s_barrier_signal -1
	s_barrier_wait -1
	s_and_saveexec_b32 s62, s76
	s_cbranch_execz .LBB76_398
; %bb.397:                              ;   in Loop: Header=BB76_3 Depth=1
	ds_load_b128 v[22:25], v45
	ds_load_b128 v[66:69], v2 offset:512
	s_wait_dscnt 0x0
	v_mul_f64_e32 v[4:5], v[24:25], v[68:69]
	v_mul_f64_e32 v[68:69], v[22:23], v[68:69]
	s_delay_alu instid0(VALU_DEP_2) | instskip(NEXT) | instid1(VALU_DEP_2)
	v_fma_f64 v[4:5], v[22:23], v[66:67], -v[4:5]
	v_fmac_f64_e32 v[68:69], v[24:25], v[66:67]
	s_delay_alu instid0(VALU_DEP_2) | instskip(NEXT) | instid1(VALU_DEP_2)
	v_add_f64_e64 v[18:19], v[18:19], -v[4:5]
	v_add_f64_e64 v[20:21], v[20:21], -v[68:69]
.LBB76_398:                             ;   in Loop: Header=BB76_3 Depth=1
	s_or_b32 exec_lo, exec_lo, s62
	s_barrier_signal -1
	s_barrier_wait -1
	s_and_saveexec_b32 s62, s76
	s_cbranch_execz .LBB76_400
; %bb.399:                              ;   in Loop: Header=BB76_3 Depth=1
	ds_load_b128 v[22:25], v2
	s_wait_dscnt 0x0
	v_mul_f64_e32 v[66:67], v[18:19], v[24:25]
	s_delay_alu instid0(VALU_DEP_1) | instskip(NEXT) | instid1(VALU_DEP_1)
	v_fmac_f64_e32 v[66:67], v[20:21], v[22:23]
	v_dual_mul_f64 v[4:5], v[20:21], v[24:25] :: v_dual_mov_b32 v24, v66
	s_delay_alu instid0(VALU_DEP_1) | instskip(NEXT) | instid1(VALU_DEP_3)
	v_fma_f64 v[4:5], v[18:19], v[22:23], -v[4:5]
	v_mov_b64_e32 v[20:21], v[66:67]
	v_xor_b32_e32 v25, 0x80000000, v67
	s_delay_alu instid0(VALU_DEP_3)
	v_mov_b64_e32 v[18:19], v[4:5]
	v_xor_b32_e32 v23, 0x80000000, v5
	v_mov_b32_e32 v22, v4
	ds_store_b128 v45, v[22:25]
.LBB76_400:                             ;   in Loop: Header=BB76_3 Depth=1
	s_or_b32 exec_lo, exec_lo, s62
	s_wait_dscnt 0x0
	s_barrier_signal -1
	s_barrier_wait -1
	s_barrier_signal -1
	s_barrier_wait -1
	s_and_saveexec_b32 s62, s1
; %bb.401:                              ;   in Loop: Header=BB76_3 Depth=1
	ds_store_b128 v48, v[18:21] offset:3584
; %bb.402:                              ;   in Loop: Header=BB76_3 Depth=1
	s_or_b32 exec_lo, exec_lo, s62
	s_wait_dscnt 0x0
	s_barrier_signal -1
	s_barrier_wait -1
	s_barrier_signal -1
	s_barrier_wait -1
	s_and_saveexec_b32 s62, s10
	s_cbranch_execz .LBB76_404
; %bb.403:                              ;   in Loop: Header=BB76_3 Depth=1
	ds_load_b128 v[18:21], v2 offset:1584
	ds_load_b128 v[22:25], v2 offset:1056
	;; [unrolled: 1-line block ×3, first 2 shown]
	s_wait_dscnt 0x1
	v_mul_f64_e32 v[4:5], v[18:19], v[24:25]
	v_mul_f64_e32 v[24:25], v[20:21], v[24:25]
	s_delay_alu instid0(VALU_DEP_2) | instskip(NEXT) | instid1(VALU_DEP_2)
	v_fmac_f64_e32 v[4:5], v[20:21], v[22:23]
	v_fma_f64 v[18:19], v[18:19], v[22:23], -v[24:25]
	s_wait_dscnt 0x0
	s_delay_alu instid0(VALU_DEP_2) | instskip(NEXT) | instid1(VALU_DEP_2)
	v_mul_f64_e32 v[22:23], v[4:5], v[68:69]
	v_mul_f64_e32 v[20:21], v[18:19], v[68:69]
	s_delay_alu instid0(VALU_DEP_2) | instskip(NEXT) | instid1(VALU_DEP_2)
	v_fma_f64 v[18:19], v[66:67], v[18:19], -v[22:23]
	v_fmac_f64_e32 v[20:21], v[66:67], v[4:5]
	ds_store_b128 v2, v[18:21] offset:1568
.LBB76_404:                             ;   in Loop: Header=BB76_3 Depth=1
	s_or_b32 exec_lo, exec_lo, s62
	v_mov_b64_e32 v[18:19], 0
	v_mov_b64_e32 v[20:21], 0
	s_wait_dscnt 0x0
	s_barrier_signal -1
	s_barrier_wait -1
	global_wb scope:SCOPE_DEV
	s_wait_storecnt 0x0
	global_inv scope:SCOPE_DEV
	s_and_saveexec_b32 s62, s0
	s_cbranch_execz .LBB76_408
; %bb.405:                              ;   in Loop: Header=BB76_3 Depth=1
	ds_load_b128 v[18:21], v42 offset:1568
	ds_load_b128 v[22:25], v41 offset:1024
	s_wait_dscnt 0x0
	v_mul_f64_e32 v[4:5], v[20:21], v[24:25]
	v_mul_f64_e32 v[24:25], v[18:19], v[24:25]
	s_delay_alu instid0(VALU_DEP_2) | instskip(NEXT) | instid1(VALU_DEP_2)
	v_fma_f64 v[4:5], v[18:19], v[22:23], -v[4:5]
	v_fmac_f64_e32 v[24:25], v[20:21], v[22:23]
	s_delay_alu instid0(VALU_DEP_2) | instskip(NEXT) | instid1(VALU_DEP_2)
	v_add_f64_e32 v[18:19], 0, v[4:5]
	v_add_f64_e32 v[20:21], 0, v[24:25]
	s_and_saveexec_b32 s63, s11
	s_cbranch_execz .LBB76_407
; %bb.406:                              ;   in Loop: Header=BB76_3 Depth=1
	ds_load_b128 v[22:25], v2 offset:1584
	ds_load_b128 v[66:69], v43 offset:1536
	s_wait_dscnt 0x0
	v_mul_f64_e32 v[4:5], v[24:25], v[68:69]
	v_mul_f64_e32 v[68:69], v[22:23], v[68:69]
	s_delay_alu instid0(VALU_DEP_2) | instskip(NEXT) | instid1(VALU_DEP_2)
	v_fma_f64 v[4:5], v[22:23], v[66:67], -v[4:5]
	v_fmac_f64_e32 v[68:69], v[24:25], v[66:67]
	s_delay_alu instid0(VALU_DEP_2) | instskip(NEXT) | instid1(VALU_DEP_2)
	v_add_f64_e32 v[18:19], v[18:19], v[4:5]
	v_add_f64_e32 v[20:21], v[20:21], v[68:69]
.LBB76_407:                             ;   in Loop: Header=BB76_3 Depth=1
	s_or_b32 exec_lo, exec_lo, s63
.LBB76_408:                             ;   in Loop: Header=BB76_3 Depth=1
	s_delay_alu instid0(SALU_CYCLE_1)
	s_or_b32 exec_lo, exec_lo, s62
	s_and_saveexec_b32 s62, s69
	s_cbranch_execz .LBB76_410
; %bb.409:                              ;   in Loop: Header=BB76_3 Depth=1
	ds_load_b128 v[22:25], v2 offset:528
	s_wait_dscnt 0x0
	v_mul_f64_e32 v[66:67], v[18:19], v[24:25]
	s_delay_alu instid0(VALU_DEP_1) | instskip(NEXT) | instid1(VALU_DEP_1)
	v_fmac_f64_e32 v[66:67], v[20:21], v[22:23]
	v_dual_mul_f64 v[4:5], v[20:21], v[24:25] :: v_dual_mov_b32 v24, v66
	s_delay_alu instid0(VALU_DEP_1) | instskip(NEXT) | instid1(VALU_DEP_3)
	v_fma_f64 v[4:5], v[18:19], v[22:23], -v[4:5]
	v_mov_b64_e32 v[20:21], v[66:67]
	v_xor_b32_e32 v25, 0x80000000, v67
	s_delay_alu instid0(VALU_DEP_3)
	v_mov_b64_e32 v[18:19], v[4:5]
	v_xor_b32_e32 v23, 0x80000000, v5
	v_mov_b32_e32 v22, v4
	ds_store_b128 v27, v[22:25]
.LBB76_410:                             ;   in Loop: Header=BB76_3 Depth=1
	s_or_b32 exec_lo, exec_lo, s62
	s_wait_loadcnt_dscnt 0x0
	s_barrier_signal -1
	s_barrier_wait -1
	s_and_saveexec_b32 s62, s70
	s_cbranch_execz .LBB76_412
; %bb.411:                              ;   in Loop: Header=BB76_3 Depth=1
	ds_load_b128 v[22:25], v27
	ds_load_b128 v[66:69], v2 offset:512
	s_wait_dscnt 0x0
	v_mul_f64_e32 v[4:5], v[24:25], v[68:69]
	v_mul_f64_e32 v[68:69], v[22:23], v[68:69]
	s_delay_alu instid0(VALU_DEP_2) | instskip(NEXT) | instid1(VALU_DEP_2)
	v_fma_f64 v[4:5], v[22:23], v[66:67], -v[4:5]
	v_fmac_f64_e32 v[68:69], v[24:25], v[66:67]
	s_delay_alu instid0(VALU_DEP_2) | instskip(NEXT) | instid1(VALU_DEP_2)
	v_add_f64_e64 v[18:19], v[18:19], -v[4:5]
	v_add_f64_e64 v[20:21], v[20:21], -v[68:69]
.LBB76_412:                             ;   in Loop: Header=BB76_3 Depth=1
	s_or_b32 exec_lo, exec_lo, s62
	s_barrier_signal -1
	s_barrier_wait -1
	s_and_saveexec_b32 s62, s70
	s_cbranch_execz .LBB76_414
; %bb.413:                              ;   in Loop: Header=BB76_3 Depth=1
	ds_load_b128 v[22:25], v2
	s_wait_dscnt 0x0
	v_mul_f64_e32 v[66:67], v[18:19], v[24:25]
	s_delay_alu instid0(VALU_DEP_1) | instskip(NEXT) | instid1(VALU_DEP_1)
	v_fmac_f64_e32 v[66:67], v[20:21], v[22:23]
	v_dual_mul_f64 v[4:5], v[20:21], v[24:25] :: v_dual_mov_b32 v24, v66
	s_delay_alu instid0(VALU_DEP_1) | instskip(NEXT) | instid1(VALU_DEP_3)
	v_fma_f64 v[4:5], v[18:19], v[22:23], -v[4:5]
	v_mov_b64_e32 v[20:21], v[66:67]
	v_xor_b32_e32 v25, 0x80000000, v67
	s_delay_alu instid0(VALU_DEP_3)
	v_mov_b64_e32 v[18:19], v[4:5]
	v_xor_b32_e32 v23, 0x80000000, v5
	v_mov_b32_e32 v22, v4
	ds_store_b128 v27, v[22:25]
.LBB76_414:                             ;   in Loop: Header=BB76_3 Depth=1
	s_or_b32 exec_lo, exec_lo, s62
	s_wait_dscnt 0x0
	s_barrier_signal -1
	s_barrier_wait -1
	s_barrier_signal -1
	s_barrier_wait -1
	s_and_saveexec_b32 s62, s0
; %bb.415:                              ;   in Loop: Header=BB76_3 Depth=1
	ds_store_b128 v44, v[18:21] offset:1536
; %bb.416:                              ;   in Loop: Header=BB76_3 Depth=1
	s_or_b32 exec_lo, exec_lo, s62
	s_wait_dscnt 0x0
	s_barrier_signal -1
	s_barrier_wait -1
	s_barrier_signal -1
	s_barrier_wait -1
	s_and_saveexec_b32 s62, s10
	s_cbranch_execz .LBB76_418
; %bb.417:                              ;   in Loop: Header=BB76_3 Depth=1
	ds_load_b128 v[18:21], v2 offset:528
	ds_load_b128 v[22:25], v2
	ds_load_b128 v[66:69], v2 offset:512
	s_wait_dscnt 0x1
	v_mul_f64_e32 v[4:5], v[18:19], v[24:25]
	v_mul_f64_e32 v[24:25], v[20:21], v[24:25]
	s_delay_alu instid0(VALU_DEP_2) | instskip(NEXT) | instid1(VALU_DEP_2)
	v_fmac_f64_e32 v[4:5], v[20:21], v[22:23]
	v_fma_f64 v[18:19], v[18:19], v[22:23], -v[24:25]
	s_wait_dscnt 0x0
	s_delay_alu instid0(VALU_DEP_2) | instskip(NEXT) | instid1(VALU_DEP_2)
	v_mul_f64_e32 v[22:23], v[4:5], v[68:69]
	v_mul_f64_e32 v[20:21], v[18:19], v[68:69]
	s_delay_alu instid0(VALU_DEP_2) | instskip(NEXT) | instid1(VALU_DEP_2)
	v_fma_f64 v[18:19], v[66:67], v[18:19], -v[22:23]
	v_fmac_f64_e32 v[20:21], v[66:67], v[4:5]
	ds_store_b128 v2, v[18:21] offset:512
.LBB76_418:                             ;   in Loop: Header=BB76_3 Depth=1
	s_or_b32 exec_lo, exec_lo, s62
.LBB76_419:                             ;   in Loop: Header=BB76_3 Depth=1
	v_mov_b64_e32 v[18:19], 0
	v_mov_b64_e32 v[20:21], 0
	s_mul_u64 s[62:63], s[52:53], s[56:57]
	s_wait_dscnt 0x0
	s_lshl_b64 s[62:63], s[62:63], 4
	s_barrier_signal -1
	s_add_nc_u64 s[62:63], s[46:47], s[62:63]
	s_barrier_wait -1
	s_and_saveexec_b32 s99, s9
	s_cbranch_execz .LBB76_421
; %bb.420:                              ;   in Loop: Header=BB76_3 Depth=1
	v_lshl_add_u64 v[4:5], v[38:39], 4, s[62:63]
	global_load_b128 v[20:23], v[4:5], off
	s_wait_loadcnt 0x0
	v_mul_f64_e32 v[4:5], v[14:15], v[20:21]
	v_mul_f64_e32 v[14:15], v[14:15], v[22:23]
	s_delay_alu instid0(VALU_DEP_2) | instskip(NEXT) | instid1(VALU_DEP_2)
	v_fma_f64 v[18:19], v[16:17], v[22:23], -v[4:5]
	v_fma_f64 v[20:21], v[20:21], -v[16:17], -v[14:15]
.LBB76_421:                             ;   in Loop: Header=BB76_3 Depth=1
	s_or_b32 exec_lo, exec_lo, s99
	s_delay_alu instid0(SALU_CYCLE_1)
	s_and_not1_b32 vcc_lo, exec_lo, s94
	s_cbranch_vccnz .LBB76_444
; %bb.422:                              ;   in Loop: Header=BB76_3 Depth=1
	v_lshl_add_u64 v[14:15], v[30:31], 4, s[60:61]
	v_mov_b32_e32 v66, -1
	s_lshl_b64 s[100:101], s[56:57], 2
	s_mov_b32 s99, 0
	s_add_nc_u64 s[60:61], s[54:55], s[100:101]
	s_branch .LBB76_425
.LBB76_423:                             ;   in Loop: Header=BB76_425 Depth=2
	ds_load_b128 v[68:71], v60 offset:256
	s_wait_loadcnt_dscnt 0x0
	v_mul_f64_e32 v[16:17], v[22:23], v[70:71]
	v_mul_f64_e32 v[24:25], v[4:5], v[70:71]
	s_delay_alu instid0(VALU_DEP_2) | instskip(NEXT) | instid1(VALU_DEP_2)
	v_fma_f64 v[4:5], v[4:5], v[68:69], -v[16:17]
	v_fmac_f64_e32 v[24:25], v[22:23], v[68:69]
	s_delay_alu instid0(VALU_DEP_2) | instskip(NEXT) | instid1(VALU_DEP_2)
	v_add_f64_e32 v[18:19], v[18:19], v[4:5]
	v_add_f64_e32 v[20:21], v[20:21], v[24:25]
.LBB76_424:                             ;   in Loop: Header=BB76_425 Depth=2
	s_or_b32 exec_lo, exec_lo, s100
	s_add_co_i32 s99, s99, 1
	s_delay_alu instid0(SALU_CYCLE_1)
	s_cmp_eq_u32 s99, s65
	s_cbranch_scc1 .LBB76_444
.LBB76_425:                             ;   Parent Loop BB76_3 Depth=1
                                        ; =>  This Loop Header: Depth=2
                                        ;       Child Loop BB76_427 Depth 3
	v_cmp_gt_i32_e32 vcc_lo, s99, v66
	s_and_b32 s101, s30, vcc_lo
	s_delay_alu instid0(SALU_CYCLE_1)
	s_and_saveexec_b32 s100, s101
	s_cbranch_execz .LBB76_428
; %bb.426:                              ;   in Loop: Header=BB76_425 Depth=2
	global_load_b32 v66, v2, s[60:61]
	s_wait_loadcnt 0x0
	v_cmp_le_i32_e32 vcc_lo, s99, v66
	s_cbranch_vccnz .LBB76_428
.LBB76_427:                             ;   Parent Loop BB76_3 Depth=1
                                        ;     Parent Loop BB76_425 Depth=2
                                        ; =>    This Inner Loop Header: Depth=3
	global_wb scope:SCOPE_DEV
	s_wait_storecnt 0x0
	global_inv scope:SCOPE_DEV
	global_load_b32 v66, v2, s[60:61]
	s_wait_loadcnt 0x0
	v_cmp_gt_i32_e32 vcc_lo, s99, v66
	s_cbranch_vccnz .LBB76_427
.LBB76_428:                             ;   in Loop: Header=BB76_425 Depth=2
	s_or_b32 exec_lo, exec_lo, s100
	s_sub_co_i32 s100, s66, s99
	global_wb scope:SCOPE_DEV
	s_wait_storecnt 0x0
	global_inv scope:SCOPE_DEV
	s_lshl_b32 s101, s100, 5
	s_wait_loadcnt 0x0
	s_barrier_signal -1
	s_barrier_wait -1
	s_and_saveexec_b32 s102, s31
	s_cbranch_execz .LBB76_433
; %bb.429:                              ;   in Loop: Header=BB76_425 Depth=2
	s_ashr_i32 vcc_lo, s101, 31
	s_delay_alu instid0(SALU_CYCLE_1) | instskip(NEXT) | instid1(VALU_DEP_1)
	v_dual_mov_b32 v5, vcc_lo :: v_dual_bitop2_b32 v4, s101, v28 bitop3:0x54
	v_cmp_le_i64_e32 vcc_lo, s[58:59], v[4:5]
	s_and_saveexec_b32 s103, vcc_lo
	s_delay_alu instid0(SALU_CYCLE_1)
	s_xor_b32 vcc_lo, exec_lo, s103
; %bb.430:                              ;   in Loop: Header=BB76_425 Depth=2
	v_dual_mov_b32 v3, v2 :: v_dual_mov_b32 v4, v2
	v_mov_b32_e32 v5, v2
	ds_store_b128 v59, v[2:5]
                                        ; implicit-def: $vgpr4_vgpr5
; %bb.431:                              ;   in Loop: Header=BB76_425 Depth=2
	s_and_not1_saveexec_b32 s103, vcc_lo
	s_cbranch_execz .LBB76_433
; %bb.432:                              ;   in Loop: Header=BB76_425 Depth=2
	v_mul_u64_e32 v[4:5], s[50:51], v[4:5]
	s_delay_alu instid0(VALU_DEP_1)
	v_lshl_add_u64 v[4:5], v[4:5], 4, s[62:63]
	global_load_b128 v[22:25], v[4:5], off
	s_wait_loadcnt 0x0
	ds_store_2addr_b64 v59, v[22:23], v[24:25] offset1:1
.LBB76_433:                             ;   in Loop: Header=BB76_425 Depth=2
	s_or_b32 exec_lo, exec_lo, s102
	v_add_nc_u32_e32 v4, s101, v40
	s_cmp_lg_u32 s100, s95
	s_wait_dscnt 0x0
	s_cselect_b32 s101, -1, 0
	s_barrier_signal -1
	v_ashrrev_i32_e32 v5, 31, v4
	v_cmp_gt_i32_e32 vcc_lo, s58, v4
	v_cndmask_b32_e64 v3, 0, 1, s101
	s_barrier_wait -1
	s_delay_alu instid0(VALU_DEP_3) | instskip(SKIP_1) | instid1(VALU_DEP_1)
	v_mul_u64_e32 v[16:17], s[40:41], v[4:5]
	s_and_b32 s102, s5, vcc_lo
	v_lshl_add_u64 v[16:17], v[16:17], 4, v[14:15]
	s_and_saveexec_b32 s100, s102
	s_cbranch_execz .LBB76_439
; %bb.434:                              ;   in Loop: Header=BB76_425 Depth=2
	v_mov_b64_e32 v[22:23], v[6:7]
	s_and_not1_b32 vcc_lo, exec_lo, s101
	s_cbranch_vccnz .LBB76_436
; %bb.435:                              ;   in Loop: Header=BB76_425 Depth=2
	global_load_b64 v[22:23], v[16:17], off
.LBB76_436:                             ;   in Loop: Header=BB76_425 Depth=2
	v_cmp_ne_u32_e32 vcc_lo, 1, v3
	v_mov_b64_e32 v[24:25], v[8:9]
	s_cbranch_vccnz .LBB76_438
; %bb.437:                              ;   in Loop: Header=BB76_425 Depth=2
	global_load_b64 v[24:25], v[16:17], off offset:8
.LBB76_438:                             ;   in Loop: Header=BB76_425 Depth=2
	ds_load_b128 v[68:71], v60
	s_wait_loadcnt_dscnt 0x0
	v_mul_f64_e32 v[72:73], v[24:25], v[70:71]
	v_mul_f64_e32 v[70:71], v[22:23], v[70:71]
	s_delay_alu instid0(VALU_DEP_2) | instskip(NEXT) | instid1(VALU_DEP_2)
	v_fma_f64 v[22:23], v[22:23], v[68:69], -v[72:73]
	v_fmac_f64_e32 v[70:71], v[24:25], v[68:69]
	s_delay_alu instid0(VALU_DEP_2) | instskip(NEXT) | instid1(VALU_DEP_2)
	v_add_f64_e32 v[18:19], v[18:19], v[22:23]
	v_add_f64_e32 v[20:21], v[20:21], v[70:71]
.LBB76_439:                             ;   in Loop: Header=BB76_425 Depth=2
	s_or_b32 exec_lo, exec_lo, s100
	v_add_nc_u32_e32 v4, 16, v4
	s_delay_alu instid0(VALU_DEP_1) | instskip(SKIP_1) | instid1(SALU_CYCLE_1)
	v_cmp_gt_i32_e32 vcc_lo, s58, v4
	s_and_b32 s101, s5, vcc_lo
	s_and_saveexec_b32 s100, s101
	s_cbranch_execz .LBB76_424
; %bb.440:                              ;   in Loop: Header=BB76_425 Depth=2
	v_cmp_ne_u32_e32 vcc_lo, 1, v3
	v_add_nc_u64_e32 v[16:17], s[48:49], v[16:17]
	v_mov_b64_e32 v[4:5], v[10:11]
	s_cbranch_vccnz .LBB76_442
; %bb.441:                              ;   in Loop: Header=BB76_425 Depth=2
	global_load_b64 v[4:5], v[16:17], off
.LBB76_442:                             ;   in Loop: Header=BB76_425 Depth=2
	v_cmp_ne_u32_e32 vcc_lo, 1, v3
	v_mov_b64_e32 v[22:23], v[12:13]
	s_cbranch_vccnz .LBB76_423
; %bb.443:                              ;   in Loop: Header=BB76_425 Depth=2
	global_load_b64 v[22:23], v[16:17], off offset:8
	s_branch .LBB76_423
.LBB76_444:                             ;   in Loop: Header=BB76_3 Depth=1
	ds_store_b128 v61, v[18:21]
	s_wait_dscnt 0x0
	s_barrier_signal -1
	s_barrier_wait -1
	s_and_saveexec_b32 s60, s4
	s_cbranch_execz .LBB76_446
; %bb.445:                              ;   in Loop: Header=BB76_3 Depth=1
	ds_load_b128 v[14:17], v63 offset:512
	ds_load_b128 v[22:25], v63 offset:1024
	s_wait_dscnt 0x1
	v_add_f64_e32 v[4:5], v[18:19], v[14:15]
	v_add_f64_e32 v[14:15], v[20:21], v[16:17]
	s_wait_dscnt 0x0
	s_delay_alu instid0(VALU_DEP_2) | instskip(NEXT) | instid1(VALU_DEP_2)
	v_add_f64_e32 v[4:5], v[4:5], v[22:23]
	v_add_f64_e32 v[22:23], v[14:15], v[24:25]
	ds_load_b128 v[14:17], v63 offset:1536
	ds_load_b128 v[18:21], v63 offset:2048
	s_wait_dscnt 0x1
	v_add_f64_e32 v[4:5], v[4:5], v[14:15]
	v_add_f64_e32 v[14:15], v[22:23], v[16:17]
	s_wait_dscnt 0x0
	s_delay_alu instid0(VALU_DEP_2) | instskip(NEXT) | instid1(VALU_DEP_2)
	v_add_f64_e32 v[4:5], v[4:5], v[18:19]
	v_add_f64_e32 v[22:23], v[14:15], v[20:21]
	;; [unrolled: 9-line block ×7, first 2 shown]
	ds_load_b128 v[14:17], v63 offset:7680
	s_wait_dscnt 0x0
	v_add_f64_e32 v[4:5], v[4:5], v[14:15]
	v_add_f64_e32 v[14:15], v[18:19], v[16:17]
	s_delay_alu instid0(VALU_DEP_2) | instskip(NEXT) | instid1(VALU_DEP_2)
	v_xor_b32_e32 v3, 0x80000000, v5
	v_xor_b32_e32 v5, 0x80000000, v15
	s_delay_alu instid0(VALU_DEP_4) | instskip(NEXT) | instid1(VALU_DEP_4)
	v_cndmask_b32_e64 v18, v4, 0, s92
	v_cndmask_b32_e64 v20, v14, 0, s92
	s_delay_alu instid0(VALU_DEP_4) | instskip(NEXT) | instid1(VALU_DEP_4)
	v_cndmask_b32_e64 v19, v3, 0, s92
	v_cndmask_b32_e64 v21, v5, 0, s92
.LBB76_446:                             ;   in Loop: Header=BB76_3 Depth=1
	s_or_b32 exec_lo, exec_lo, s60
	s_delay_alu instid0(SALU_CYCLE_1)
	s_and_not1_b32 vcc_lo, exec_lo, s68
	s_cbranch_vccnz .LBB76_455
; %bb.447:                              ;   in Loop: Header=BB76_3 Depth=1
	s_and_saveexec_b32 s60, s4
; %bb.448:                              ;   in Loop: Header=BB76_3 Depth=1
	ds_store_b128 v65, v[18:21]
; %bb.449:                              ;   in Loop: Header=BB76_3 Depth=1
	s_or_b32 exec_lo, exec_lo, s60
	v_mov_b64_e32 v[14:15], 0
	v_mov_b64_e32 v[16:17], 0
	s_wait_dscnt 0x0
	s_barrier_signal -1
	s_barrier_wait -1
	s_and_saveexec_b32 s60, s33
	s_cbranch_execz .LBB76_451
; %bb.450:                              ;   in Loop: Header=BB76_3 Depth=1
	ds_load_b128 v[14:17], v60
	ds_load_b128 v[22:25], v64
	s_wait_dscnt 0x0
	v_mul_f64_e32 v[4:5], v[16:17], v[24:25]
	v_mul_f64_e32 v[24:25], v[14:15], v[24:25]
	s_delay_alu instid0(VALU_DEP_2) | instskip(NEXT) | instid1(VALU_DEP_2)
	v_fma_f64 v[4:5], v[14:15], v[22:23], -v[4:5]
	v_fmac_f64_e32 v[24:25], v[16:17], v[22:23]
	s_delay_alu instid0(VALU_DEP_2) | instskip(NEXT) | instid1(VALU_DEP_2)
	v_add_f64_e32 v[14:15], 0, v[4:5]
	v_add_f64_e32 v[16:17], 0, v[24:25]
.LBB76_451:                             ;   in Loop: Header=BB76_3 Depth=1
	s_or_b32 exec_lo, exec_lo, s60
	s_and_saveexec_b32 s60, s34
	s_cbranch_execz .LBB76_453
; %bb.452:                              ;   in Loop: Header=BB76_3 Depth=1
	ds_load_b128 v[22:25], v60 offset:256
	ds_load_b128 v[66:69], v64 offset:8192
	s_wait_dscnt 0x0
	v_mul_f64_e32 v[4:5], v[24:25], v[68:69]
	v_mul_f64_e32 v[68:69], v[22:23], v[68:69]
	s_delay_alu instid0(VALU_DEP_2) | instskip(NEXT) | instid1(VALU_DEP_2)
	v_fma_f64 v[4:5], v[22:23], v[66:67], -v[4:5]
	v_fmac_f64_e32 v[68:69], v[24:25], v[66:67]
	s_delay_alu instid0(VALU_DEP_2) | instskip(NEXT) | instid1(VALU_DEP_2)
	v_add_f64_e32 v[14:15], v[14:15], v[4:5]
	v_add_f64_e32 v[16:17], v[16:17], v[68:69]
.LBB76_453:                             ;   in Loop: Header=BB76_3 Depth=1
	s_or_b32 exec_lo, exec_lo, s60
	s_mov_b32 s61, 0
	s_mov_b32 s60, 0
	ds_store_b128 v61, v[14:17]
	s_wait_dscnt 0x0
	s_barrier_signal -1
	s_barrier_wait -1
                                        ; implicit-def: $vgpr4_vgpr5
                                        ; implicit-def: $vgpr22_vgpr23
	s_and_saveexec_b32 s99, s4
	s_cbranch_execz .LBB76_516
; %bb.454:                              ;   in Loop: Header=BB76_3 Depth=1
	ds_load_b128 v[22:25], v63 offset:512
	ds_load_b128 v[66:69], v63 offset:1024
	s_mov_b32 s60, exec_lo
	s_wait_dscnt 0x1
	v_add_f64_e32 v[4:5], v[14:15], v[22:23]
	v_add_f64_e32 v[14:15], v[16:17], v[24:25]
	s_wait_dscnt 0x0
	s_delay_alu instid0(VALU_DEP_2) | instskip(NEXT) | instid1(VALU_DEP_2)
	v_add_f64_e32 v[4:5], v[4:5], v[66:67]
	v_add_f64_e32 v[66:67], v[14:15], v[68:69]
	ds_load_b128 v[14:17], v63 offset:1536
	ds_load_b128 v[22:25], v63 offset:2048
	s_wait_dscnt 0x1
	v_add_f64_e32 v[4:5], v[4:5], v[14:15]
	v_add_f64_e32 v[14:15], v[66:67], v[16:17]
	s_wait_dscnt 0x0
	s_delay_alu instid0(VALU_DEP_2) | instskip(NEXT) | instid1(VALU_DEP_2)
	v_add_f64_e32 v[4:5], v[4:5], v[22:23]
	v_add_f64_e32 v[66:67], v[14:15], v[24:25]
	ds_load_b128 v[14:17], v63 offset:2560
	ds_load_b128 v[22:25], v63 offset:3072
	;; [unrolled: 9-line block ×6, first 2 shown]
	s_wait_dscnt 0x1
	v_add_f64_e32 v[4:5], v[4:5], v[14:15]
	v_add_f64_e32 v[14:15], v[66:67], v[16:17]
	s_wait_dscnt 0x0
	s_delay_alu instid0(VALU_DEP_2) | instskip(NEXT) | instid1(VALU_DEP_2)
	v_add_f64_e32 v[4:5], v[4:5], v[22:23]
	v_add_f64_e32 v[24:25], v[14:15], v[24:25]
	ds_load_b128 v[14:17], v63 offset:7680
	s_wait_dscnt 0x0
	v_add_f64_e32 v[22:23], v[4:5], v[14:15]
	v_add_f64_e32 v[4:5], v[24:25], v[16:17]
	s_or_b32 exec_lo, exec_lo, s99
	s_delay_alu instid0(SALU_CYCLE_1)
	s_and_b32 vcc_lo, exec_lo, s61
	s_cbranch_vccnz .LBB76_456
	s_branch .LBB76_517
.LBB76_455:                             ;   in Loop: Header=BB76_3 Depth=1
	s_mov_b32 s60, 0
                                        ; implicit-def: $vgpr4_vgpr5
                                        ; implicit-def: $vgpr22_vgpr23
	s_cbranch_execz .LBB76_517
.LBB76_456:                             ;   in Loop: Header=BB76_3 Depth=1
	v_mov_b32_e32 v3, v58
	s_mov_b32 s61, 31
	s_branch .LBB76_458
.LBB76_457:                             ;   in Loop: Header=BB76_458 Depth=2
	s_or_b32 exec_lo, exec_lo, s100
	v_add_nc_u32_e32 v3, 0xfffffc00, v3
	s_add_co_i32 s61, s61, -2
	s_cmp_lg_u32 s99, 0
	s_barrier_signal -1
	s_barrier_wait -1
	s_cbranch_scc0 .LBB76_466
.LBB76_458:                             ;   Parent Loop BB76_3 Depth=1
                                        ; =>  This Inner Loop Header: Depth=2
	s_delay_alu instid0(VALU_DEP_1) | instskip(SKIP_1) | instid1(SALU_CYCLE_1)
	v_cmp_eq_u32_e32 vcc_lo, 0xffffc200, v3
	s_and_b32 s100, s4, vcc_lo
	s_and_saveexec_b32 s99, s100
	s_cbranch_execz .LBB76_460
; %bb.459:                              ;   in Loop: Header=BB76_458 Depth=2
	ds_load_b128 v[14:17], v57
	s_wait_dscnt 0x0
	v_mul_f64_e32 v[4:5], v[20:21], v[16:17]
	v_mul_f64_e32 v[24:25], v[18:19], v[16:17]
	s_delay_alu instid0(VALU_DEP_2) | instskip(NEXT) | instid1(VALU_DEP_2)
	v_fma_f64 v[22:23], v[18:19], v[14:15], -v[4:5]
	v_fmac_f64_e32 v[24:25], v[20:21], v[14:15]
	s_delay_alu instid0(VALU_DEP_2) | instskip(NEXT) | instid1(VALU_DEP_2)
	v_mov_b64_e32 v[18:19], v[22:23]
	v_mov_b64_e32 v[20:21], v[24:25]
	ds_store_b128 v2, v[22:25] offset:25088
.LBB76_460:                             ;   in Loop: Header=BB76_458 Depth=2
	s_or_b32 exec_lo, exec_lo, s99
	v_cmp_gt_u32_e32 vcc_lo, s61, v26
	v_add_nc_u32_e32 v4, v56, v3
	s_wait_dscnt 0x0
	s_barrier_signal -1
	s_barrier_wait -1
	s_and_b32 s100, s4, vcc_lo
	s_delay_alu instid0(SALU_CYCLE_1)
	s_and_saveexec_b32 s99, s100
	s_cbranch_execz .LBB76_462
; %bb.461:                              ;   in Loop: Header=BB76_458 Depth=2
	ds_load_b128 v[14:17], v2 offset:25088
	ds_load_b128 v[22:25], v4 offset:512
	s_wait_dscnt 0x0
	v_mul_f64_e32 v[66:67], v[16:17], v[24:25]
	v_mul_f64_e32 v[24:25], v[14:15], v[24:25]
	s_delay_alu instid0(VALU_DEP_2) | instskip(NEXT) | instid1(VALU_DEP_2)
	v_fma_f64 v[14:15], v[14:15], v[22:23], -v[66:67]
	v_fmac_f64_e32 v[24:25], v[16:17], v[22:23]
	s_delay_alu instid0(VALU_DEP_2) | instskip(NEXT) | instid1(VALU_DEP_2)
	v_add_f64_e32 v[18:19], v[18:19], v[14:15]
	v_add_f64_e32 v[20:21], v[20:21], v[24:25]
.LBB76_462:                             ;   in Loop: Header=BB76_458 Depth=2
	s_or_b32 exec_lo, exec_lo, s99
	s_add_co_i32 s99, s61, -1
	s_delay_alu instid0(SALU_CYCLE_1) | instskip(SKIP_3) | instid1(SALU_CYCLE_1)
	v_cmp_eq_u32_e32 vcc_lo, s99, v26
	s_barrier_signal -1
	s_barrier_wait -1
	s_and_b32 s101, s4, vcc_lo
	s_and_saveexec_b32 s100, s101
	s_cbranch_execz .LBB76_464
; %bb.463:                              ;   in Loop: Header=BB76_458 Depth=2
	ds_load_b128 v[14:17], v57
	s_wait_dscnt 0x0
	v_mul_f64_e32 v[22:23], v[20:21], v[16:17]
	v_mul_f64_e32 v[24:25], v[18:19], v[16:17]
	s_delay_alu instid0(VALU_DEP_2) | instskip(NEXT) | instid1(VALU_DEP_2)
	v_fma_f64 v[22:23], v[18:19], v[14:15], -v[22:23]
	v_fmac_f64_e32 v[24:25], v[20:21], v[14:15]
	s_delay_alu instid0(VALU_DEP_2) | instskip(NEXT) | instid1(VALU_DEP_2)
	v_mov_b64_e32 v[18:19], v[22:23]
	v_mov_b64_e32 v[20:21], v[24:25]
	ds_store_b128 v2, v[22:25] offset:25088
.LBB76_464:                             ;   in Loop: Header=BB76_458 Depth=2
	s_or_b32 exec_lo, exec_lo, s100
	v_cmp_gt_u32_e32 vcc_lo, s99, v26
	s_wait_dscnt 0x0
	s_barrier_signal -1
	s_barrier_wait -1
	s_and_b32 s101, s4, vcc_lo
	s_delay_alu instid0(SALU_CYCLE_1)
	s_and_saveexec_b32 s100, s101
	s_cbranch_execz .LBB76_457
; %bb.465:                              ;   in Loop: Header=BB76_458 Depth=2
	ds_load_b128 v[14:17], v2 offset:25088
	ds_load_b128 v[22:25], v4
	s_wait_dscnt 0x0
	v_mul_f64_e32 v[4:5], v[16:17], v[24:25]
	v_mul_f64_e32 v[24:25], v[14:15], v[24:25]
	s_delay_alu instid0(VALU_DEP_2) | instskip(NEXT) | instid1(VALU_DEP_2)
	v_fma_f64 v[4:5], v[14:15], v[22:23], -v[4:5]
	v_fmac_f64_e32 v[24:25], v[16:17], v[22:23]
	s_delay_alu instid0(VALU_DEP_2) | instskip(NEXT) | instid1(VALU_DEP_2)
	v_add_f64_e32 v[18:19], v[18:19], v[4:5]
	v_add_f64_e32 v[20:21], v[20:21], v[24:25]
	s_branch .LBB76_457
.LBB76_466:                             ;   in Loop: Header=BB76_3 Depth=1
	s_and_b32 vcc_lo, exec_lo, s67
	s_mov_b32 s61, -1
	s_cbranch_vccnz .LBB76_518
; %bb.467:                              ;   in Loop: Header=BB76_3 Depth=1
	s_and_not1_b32 vcc_lo, exec_lo, s61
	s_cbranch_vccz .LBB76_519
.LBB76_468:                             ;   in Loop: Header=BB76_3 Depth=1
	s_and_saveexec_b32 s61, s60
	s_cbranch_execz .LBB76_470
.LBB76_469:                             ;   in Loop: Header=BB76_3 Depth=1
	v_lshl_add_u64 v[4:5], v[0:1], 4, s[62:63]
	global_store_b128 v[4:5], v[18:21], off
.LBB76_470:                             ;   in Loop: Header=BB76_3 Depth=1
	s_wait_xcnt 0x0
	s_or_b32 exec_lo, exec_lo, s61
	global_wb scope:SCOPE_DEV
	s_wait_storecnt 0x0
	global_inv scope:SCOPE_DEV
	s_wait_loadcnt 0x0
	s_barrier_signal -1
	s_barrier_wait -1
	s_and_saveexec_b32 s60, s30
	s_cbranch_execz .LBB76_2
; %bb.471:                              ;   in Loop: Header=BB76_3 Depth=1
	s_lshl_b64 s[62:63], s[56:57], 2
	s_delay_alu instid0(SALU_CYCLE_1)
	s_add_nc_u64 s[62:63], s[54:55], s[62:63]
	global_load_b32 v3, v2, s[62:63]
	s_wait_loadcnt 0x0
	v_add_nc_u32_e32 v3, 1, v3
	global_store_b32 v2, v3, s[62:63]
	s_branch .LBB76_2
.LBB76_472:                             ;   in Loop: Header=BB76_3 Depth=1
	s_mov_b32 s99, exec_lo
	v_readlane_b32 s100, v74, 15
	s_and_b32 s100, s99, s100
	s_delay_alu instid0(SALU_CYCLE_1)
	s_xor_b32 s99, s100, s99
	s_mov_b32 exec_lo, s100
	s_cbranch_execz .LBB76_474
; %bb.473:                              ;   in Loop: Header=BB76_3 Depth=1
	v_readlane_b32 s63, v74, 30
	s_and_b32 s63, s63, exec_lo
.LBB76_474:                             ;   in Loop: Header=BB76_3 Depth=1
	s_or_saveexec_b32 s99, s99
	v_mov_b64_e32 v[20:21], 0
	v_mov_b64_e32 v[18:19], 0
	s_xor_b32 exec_lo, exec_lo, s99
	s_cbranch_execz .LBB76_480
; %bb.475:                              ;   in Loop: Header=BB76_3 Depth=1
	v_lshl_add_u64 v[4:5], v[34:35], 4, s[60:61]
                                        ; implicit-def: $vgpr20_vgpr21
	global_load_b128 v[22:25], v[4:5], off
	s_wait_loadcnt 0x0
	v_cmp_ngt_f64_e64 s100, |v[22:23]|, |v[24:25]|
	s_and_saveexec_b32 s101, s100
	s_delay_alu instid0(SALU_CYCLE_1)
	s_xor_b32 s100, exec_lo, s101
	s_cbranch_execz .LBB76_477
; %bb.476:                              ;   in Loop: Header=BB76_3 Depth=1
	v_div_scale_f64 v[4:5], null, v[24:25], v[24:25], v[22:23]
	v_div_scale_f64 v[66:67], vcc_lo, v[22:23], v[24:25], v[22:23]
	s_delay_alu instid0(VALU_DEP_2) | instskip(SKIP_1) | instid1(TRANS32_DEP_1)
	v_rcp_f64_e32 v[18:19], v[4:5]
	v_nop
	v_fma_f64 v[20:21], -v[4:5], v[18:19], 1.0
	s_delay_alu instid0(VALU_DEP_1) | instskip(NEXT) | instid1(VALU_DEP_1)
	v_fmac_f64_e32 v[18:19], v[18:19], v[20:21]
	v_fma_f64 v[20:21], -v[4:5], v[18:19], 1.0
	s_delay_alu instid0(VALU_DEP_1) | instskip(NEXT) | instid1(VALU_DEP_1)
	v_fmac_f64_e32 v[18:19], v[18:19], v[20:21]
	v_mul_f64_e32 v[20:21], v[66:67], v[18:19]
	s_delay_alu instid0(VALU_DEP_1) | instskip(NEXT) | instid1(VALU_DEP_1)
	v_fma_f64 v[4:5], -v[4:5], v[20:21], v[66:67]
	v_div_fmas_f64 v[4:5], v[4:5], v[18:19], v[20:21]
	s_delay_alu instid0(VALU_DEP_1) | instskip(NEXT) | instid1(VALU_DEP_1)
	v_div_fixup_f64 v[4:5], v[4:5], v[24:25], v[22:23]
	v_fmac_f64_e32 v[24:25], v[22:23], v[4:5]
	s_delay_alu instid0(VALU_DEP_1) | instskip(NEXT) | instid1(VALU_DEP_1)
	v_div_scale_f64 v[18:19], null, v[24:25], v[24:25], 1.0
	v_rcp_f64_e32 v[20:21], v[18:19]
	v_nop
	s_delay_alu instid0(TRANS32_DEP_1) | instskip(NEXT) | instid1(VALU_DEP_1)
	v_fma_f64 v[22:23], -v[18:19], v[20:21], 1.0
	v_fmac_f64_e32 v[20:21], v[20:21], v[22:23]
	s_delay_alu instid0(VALU_DEP_1) | instskip(NEXT) | instid1(VALU_DEP_1)
	v_fma_f64 v[22:23], -v[18:19], v[20:21], 1.0
	v_fmac_f64_e32 v[20:21], v[20:21], v[22:23]
	v_div_scale_f64 v[22:23], vcc_lo, 1.0, v[24:25], 1.0
	s_delay_alu instid0(VALU_DEP_1) | instskip(NEXT) | instid1(VALU_DEP_1)
	v_mul_f64_e32 v[66:67], v[22:23], v[20:21]
	v_fma_f64 v[18:19], -v[18:19], v[66:67], v[22:23]
	s_delay_alu instid0(VALU_DEP_1) | instskip(NEXT) | instid1(VALU_DEP_1)
	v_div_fmas_f64 v[18:19], v[18:19], v[20:21], v[66:67]
	v_div_fixup_f64 v[20:21], v[18:19], v[24:25], 1.0
                                        ; implicit-def: $vgpr22_vgpr23
	s_delay_alu instid0(VALU_DEP_1)
	v_mul_f64_e32 v[18:19], v[4:5], v[20:21]
	v_xor_b32_e32 v21, 0x80000000, v21
.LBB76_477:                             ;   in Loop: Header=BB76_3 Depth=1
	s_and_not1_saveexec_b32 s100, s100
	s_cbranch_execz .LBB76_479
; %bb.478:                              ;   in Loop: Header=BB76_3 Depth=1
	v_div_scale_f64 v[4:5], null, v[22:23], v[22:23], v[24:25]
	v_div_scale_f64 v[66:67], vcc_lo, v[24:25], v[22:23], v[24:25]
	s_delay_alu instid0(VALU_DEP_2) | instskip(SKIP_1) | instid1(TRANS32_DEP_1)
	v_rcp_f64_e32 v[18:19], v[4:5]
	v_nop
	v_fma_f64 v[20:21], -v[4:5], v[18:19], 1.0
	s_delay_alu instid0(VALU_DEP_1) | instskip(NEXT) | instid1(VALU_DEP_1)
	v_fmac_f64_e32 v[18:19], v[18:19], v[20:21]
	v_fma_f64 v[20:21], -v[4:5], v[18:19], 1.0
	s_delay_alu instid0(VALU_DEP_1) | instskip(NEXT) | instid1(VALU_DEP_1)
	v_fmac_f64_e32 v[18:19], v[18:19], v[20:21]
	v_mul_f64_e32 v[20:21], v[66:67], v[18:19]
	s_delay_alu instid0(VALU_DEP_1) | instskip(NEXT) | instid1(VALU_DEP_1)
	v_fma_f64 v[4:5], -v[4:5], v[20:21], v[66:67]
	v_div_fmas_f64 v[4:5], v[4:5], v[18:19], v[20:21]
	s_delay_alu instid0(VALU_DEP_1) | instskip(NEXT) | instid1(VALU_DEP_1)
	v_div_fixup_f64 v[4:5], v[4:5], v[22:23], v[24:25]
	v_fmac_f64_e32 v[22:23], v[24:25], v[4:5]
	s_delay_alu instid0(VALU_DEP_1) | instskip(NEXT) | instid1(VALU_DEP_1)
	v_div_scale_f64 v[18:19], null, v[22:23], v[22:23], 1.0
	v_rcp_f64_e32 v[20:21], v[18:19]
	v_nop
	s_delay_alu instid0(TRANS32_DEP_1) | instskip(NEXT) | instid1(VALU_DEP_1)
	v_fma_f64 v[24:25], -v[18:19], v[20:21], 1.0
	v_fmac_f64_e32 v[20:21], v[20:21], v[24:25]
	s_delay_alu instid0(VALU_DEP_1) | instskip(NEXT) | instid1(VALU_DEP_1)
	v_fma_f64 v[24:25], -v[18:19], v[20:21], 1.0
	v_fmac_f64_e32 v[20:21], v[20:21], v[24:25]
	v_div_scale_f64 v[24:25], vcc_lo, 1.0, v[22:23], 1.0
	s_delay_alu instid0(VALU_DEP_1) | instskip(NEXT) | instid1(VALU_DEP_1)
	v_mul_f64_e32 v[66:67], v[24:25], v[20:21]
	v_fma_f64 v[18:19], -v[18:19], v[66:67], v[24:25]
	s_delay_alu instid0(VALU_DEP_1) | instskip(NEXT) | instid1(VALU_DEP_1)
	v_div_fmas_f64 v[18:19], v[18:19], v[20:21], v[66:67]
	v_div_fixup_f64 v[18:19], v[18:19], v[22:23], 1.0
	s_delay_alu instid0(VALU_DEP_1)
	v_mul_f64_e64 v[20:21], v[4:5], -v[18:19]
.LBB76_479:                             ;   in Loop: Header=BB76_3 Depth=1
	s_or_b32 exec_lo, exec_lo, s100
	s_delay_alu instid0(SALU_CYCLE_1)
	s_or_b32 s63, s63, exec_lo
.LBB76_480:                             ;   in Loop: Header=BB76_3 Depth=1
	s_or_b32 exec_lo, exec_lo, s99
	s_delay_alu instid0(SALU_CYCLE_1)
	s_and_b32 s63, s63, exec_lo
	s_and_not1_saveexec_b32 s62, s62
	s_cbranch_execz .LBB76_12
.LBB76_481:                             ;   in Loop: Header=BB76_3 Depth=1
	v_lshl_add_u64 v[4:5], v[34:35], 4, s[60:61]
	s_or_b32 s63, s63, exec_lo
	global_load_b128 v[18:21], v[4:5], off
	s_wait_loadcnt 0x0
	v_xor_b32_e32 v19, 0x80000000, v19
	v_xor_b32_e32 v21, 0x80000000, v21
	s_or_b32 exec_lo, exec_lo, s62
	s_and_saveexec_b32 s62, s63
	s_cbranch_execz .LBB76_13
.LBB76_482:                             ;   in Loop: Header=BB76_3 Depth=1
	ds_store_b128 v64, v[18:21]
	s_or_b32 exec_lo, exec_lo, s62
	s_and_saveexec_b32 s62, s7
	s_delay_alu instid0(SALU_CYCLE_1)
	s_xor_b32 s62, exec_lo, s62
	s_cbranch_execz .LBB76_14
.LBB76_483:                             ;   in Loop: Header=BB76_3 Depth=1
	s_mov_b32 s63, exec_lo
	v_readlane_b32 s99, v74, 17
	s_and_b32 s99, s63, s99
	s_delay_alu instid0(SALU_CYCLE_1)
	s_xor_b32 s63, s99, s63
	s_mov_b32 exec_lo, s99
	s_cbranch_execz .LBB76_487
; %bb.484:                              ;   in Loop: Header=BB76_3 Depth=1
	s_mov_b32 s99, exec_lo
	v_readlane_b32 s100, v74, 31
	s_and_b32 s100, s99, s100
	s_delay_alu instid0(SALU_CYCLE_1)
	s_mov_b32 exec_lo, s100
; %bb.485:                              ;   in Loop: Header=BB76_3 Depth=1
	v_dual_mov_b32 v3, v2 :: v_dual_mov_b32 v4, v2
	v_mov_b32_e32 v5, v2
	ds_store_b128 v62, v[2:5]
; %bb.486:                              ;   in Loop: Header=BB76_3 Depth=1
	s_or_b32 exec_lo, exec_lo, s99
.LBB76_487:                             ;   in Loop: Header=BB76_3 Depth=1
	s_and_not1_saveexec_b32 s63, s63
	s_cbranch_execz .LBB76_493
; %bb.488:                              ;   in Loop: Header=BB76_3 Depth=1
	v_lshl_add_u64 v[4:5], v[36:37], 4, s[60:61]
                                        ; implicit-def: $vgpr22_vgpr23
	global_load_b128 v[18:21], v[4:5], off
	s_wait_loadcnt 0x0
	v_cmp_ngt_f64_e64 s99, |v[18:19]|, |v[20:21]|
	s_and_saveexec_b32 s100, s99
	s_delay_alu instid0(SALU_CYCLE_1)
	s_xor_b32 s99, exec_lo, s100
	s_cbranch_execz .LBB76_490
; %bb.489:                              ;   in Loop: Header=BB76_3 Depth=1
	v_div_scale_f64 v[4:5], null, v[20:21], v[20:21], v[18:19]
	v_div_scale_f64 v[66:67], vcc_lo, v[18:19], v[20:21], v[18:19]
	s_delay_alu instid0(VALU_DEP_2) | instskip(SKIP_1) | instid1(TRANS32_DEP_1)
	v_rcp_f64_e32 v[22:23], v[4:5]
	v_nop
	v_fma_f64 v[24:25], -v[4:5], v[22:23], 1.0
	s_delay_alu instid0(VALU_DEP_1) | instskip(NEXT) | instid1(VALU_DEP_1)
	v_fmac_f64_e32 v[22:23], v[22:23], v[24:25]
	v_fma_f64 v[24:25], -v[4:5], v[22:23], 1.0
	s_delay_alu instid0(VALU_DEP_1) | instskip(NEXT) | instid1(VALU_DEP_1)
	v_fmac_f64_e32 v[22:23], v[22:23], v[24:25]
	v_mul_f64_e32 v[24:25], v[66:67], v[22:23]
	s_delay_alu instid0(VALU_DEP_1) | instskip(NEXT) | instid1(VALU_DEP_1)
	v_fma_f64 v[4:5], -v[4:5], v[24:25], v[66:67]
	v_div_fmas_f64 v[4:5], v[4:5], v[22:23], v[24:25]
	s_delay_alu instid0(VALU_DEP_1) | instskip(NEXT) | instid1(VALU_DEP_1)
	v_div_fixup_f64 v[4:5], v[4:5], v[20:21], v[18:19]
	v_fmac_f64_e32 v[20:21], v[18:19], v[4:5]
	s_delay_alu instid0(VALU_DEP_1) | instskip(NEXT) | instid1(VALU_DEP_1)
	v_div_scale_f64 v[18:19], null, v[20:21], v[20:21], 1.0
	v_rcp_f64_e32 v[22:23], v[18:19]
	v_nop
	s_delay_alu instid0(TRANS32_DEP_1) | instskip(NEXT) | instid1(VALU_DEP_1)
	v_fma_f64 v[24:25], -v[18:19], v[22:23], 1.0
	v_fmac_f64_e32 v[22:23], v[22:23], v[24:25]
	s_delay_alu instid0(VALU_DEP_1) | instskip(NEXT) | instid1(VALU_DEP_1)
	v_fma_f64 v[24:25], -v[18:19], v[22:23], 1.0
	v_fmac_f64_e32 v[22:23], v[22:23], v[24:25]
	v_div_scale_f64 v[24:25], vcc_lo, 1.0, v[20:21], 1.0
	s_delay_alu instid0(VALU_DEP_1) | instskip(NEXT) | instid1(VALU_DEP_1)
	v_mul_f64_e32 v[66:67], v[24:25], v[22:23]
	v_fma_f64 v[18:19], -v[18:19], v[66:67], v[24:25]
	s_delay_alu instid0(VALU_DEP_1) | instskip(NEXT) | instid1(VALU_DEP_1)
	v_div_fmas_f64 v[18:19], v[18:19], v[22:23], v[66:67]
	v_div_fixup_f64 v[24:25], v[18:19], v[20:21], 1.0
                                        ; implicit-def: $vgpr18_vgpr19
	s_delay_alu instid0(VALU_DEP_1)
	v_mul_f64_e32 v[22:23], v[4:5], v[24:25]
	v_xor_b32_e32 v25, 0x80000000, v25
.LBB76_490:                             ;   in Loop: Header=BB76_3 Depth=1
	s_and_not1_saveexec_b32 s99, s99
	s_cbranch_execz .LBB76_492
; %bb.491:                              ;   in Loop: Header=BB76_3 Depth=1
	v_div_scale_f64 v[4:5], null, v[18:19], v[18:19], v[20:21]
	v_div_scale_f64 v[66:67], vcc_lo, v[20:21], v[18:19], v[20:21]
	s_delay_alu instid0(VALU_DEP_2) | instskip(SKIP_1) | instid1(TRANS32_DEP_1)
	v_rcp_f64_e32 v[22:23], v[4:5]
	v_nop
	v_fma_f64 v[24:25], -v[4:5], v[22:23], 1.0
	s_delay_alu instid0(VALU_DEP_1) | instskip(NEXT) | instid1(VALU_DEP_1)
	v_fmac_f64_e32 v[22:23], v[22:23], v[24:25]
	v_fma_f64 v[24:25], -v[4:5], v[22:23], 1.0
	s_delay_alu instid0(VALU_DEP_1) | instskip(NEXT) | instid1(VALU_DEP_1)
	v_fmac_f64_e32 v[22:23], v[22:23], v[24:25]
	v_mul_f64_e32 v[24:25], v[66:67], v[22:23]
	s_delay_alu instid0(VALU_DEP_1) | instskip(NEXT) | instid1(VALU_DEP_1)
	v_fma_f64 v[4:5], -v[4:5], v[24:25], v[66:67]
	v_div_fmas_f64 v[4:5], v[4:5], v[22:23], v[24:25]
	s_delay_alu instid0(VALU_DEP_1) | instskip(NEXT) | instid1(VALU_DEP_1)
	v_div_fixup_f64 v[4:5], v[4:5], v[18:19], v[20:21]
	v_fmac_f64_e32 v[18:19], v[20:21], v[4:5]
	s_delay_alu instid0(VALU_DEP_1) | instskip(NEXT) | instid1(VALU_DEP_1)
	v_div_scale_f64 v[20:21], null, v[18:19], v[18:19], 1.0
	v_rcp_f64_e32 v[22:23], v[20:21]
	v_nop
	s_delay_alu instid0(TRANS32_DEP_1) | instskip(NEXT) | instid1(VALU_DEP_1)
	v_fma_f64 v[24:25], -v[20:21], v[22:23], 1.0
	v_fmac_f64_e32 v[22:23], v[22:23], v[24:25]
	s_delay_alu instid0(VALU_DEP_1) | instskip(NEXT) | instid1(VALU_DEP_1)
	v_fma_f64 v[24:25], -v[20:21], v[22:23], 1.0
	v_fmac_f64_e32 v[22:23], v[22:23], v[24:25]
	v_div_scale_f64 v[24:25], vcc_lo, 1.0, v[18:19], 1.0
	s_delay_alu instid0(VALU_DEP_1) | instskip(NEXT) | instid1(VALU_DEP_1)
	v_mul_f64_e32 v[66:67], v[24:25], v[22:23]
	v_fma_f64 v[20:21], -v[20:21], v[66:67], v[24:25]
	s_delay_alu instid0(VALU_DEP_1) | instskip(NEXT) | instid1(VALU_DEP_1)
	v_div_fmas_f64 v[20:21], v[20:21], v[22:23], v[66:67]
	v_div_fixup_f64 v[22:23], v[20:21], v[18:19], 1.0
	s_delay_alu instid0(VALU_DEP_1)
	v_mul_f64_e64 v[24:25], v[4:5], -v[22:23]
.LBB76_492:                             ;   in Loop: Header=BB76_3 Depth=1
	s_or_b32 exec_lo, exec_lo, s99
	ds_store_b128 v62, v[22:25]
.LBB76_493:                             ;   in Loop: Header=BB76_3 Depth=1
	s_or_b32 exec_lo, exec_lo, s63
	s_and_not1_saveexec_b32 s62, s62
	s_cbranch_execnz .LBB76_15
	s_branch .LBB76_16
.LBB76_494:                             ;   in Loop: Header=BB76_3 Depth=1
	s_mov_b32 s99, exec_lo
	v_readlane_b32 s100, v74, 16
	s_and_b32 s100, s99, s100
	s_delay_alu instid0(SALU_CYCLE_1)
	s_xor_b32 s99, s100, s99
	s_mov_b32 exec_lo, s100
	s_cbranch_execz .LBB76_496
; %bb.495:                              ;   in Loop: Header=BB76_3 Depth=1
	v_readlane_b32 s63, v74, 30
	s_and_b32 s63, s63, exec_lo
.LBB76_496:                             ;   in Loop: Header=BB76_3 Depth=1
	s_or_saveexec_b32 s99, s99
	v_mov_b64_e32 v[20:21], 0
	v_mov_b64_e32 v[18:19], 0
	s_xor_b32 exec_lo, exec_lo, s99
	s_cbranch_execz .LBB76_502
; %bb.497:                              ;   in Loop: Header=BB76_3 Depth=1
	v_lshl_add_u64 v[4:5], v[34:35], 4, s[60:61]
                                        ; implicit-def: $vgpr20_vgpr21
	global_load_b128 v[22:25], v[4:5], off
	s_wait_loadcnt 0x0
	v_cmp_ngt_f64_e64 s100, |v[22:23]|, |v[24:25]|
	s_and_saveexec_b32 s101, s100
	s_delay_alu instid0(SALU_CYCLE_1)
	s_xor_b32 s100, exec_lo, s101
	s_cbranch_execz .LBB76_499
; %bb.498:                              ;   in Loop: Header=BB76_3 Depth=1
	v_div_scale_f64 v[4:5], null, v[24:25], v[24:25], v[22:23]
	v_div_scale_f64 v[66:67], vcc_lo, v[22:23], v[24:25], v[22:23]
	s_delay_alu instid0(VALU_DEP_2) | instskip(SKIP_1) | instid1(TRANS32_DEP_1)
	v_rcp_f64_e32 v[18:19], v[4:5]
	v_nop
	v_fma_f64 v[20:21], -v[4:5], v[18:19], 1.0
	s_delay_alu instid0(VALU_DEP_1) | instskip(NEXT) | instid1(VALU_DEP_1)
	v_fmac_f64_e32 v[18:19], v[18:19], v[20:21]
	v_fma_f64 v[20:21], -v[4:5], v[18:19], 1.0
	s_delay_alu instid0(VALU_DEP_1) | instskip(NEXT) | instid1(VALU_DEP_1)
	v_fmac_f64_e32 v[18:19], v[18:19], v[20:21]
	v_mul_f64_e32 v[20:21], v[66:67], v[18:19]
	s_delay_alu instid0(VALU_DEP_1) | instskip(NEXT) | instid1(VALU_DEP_1)
	v_fma_f64 v[4:5], -v[4:5], v[20:21], v[66:67]
	v_div_fmas_f64 v[4:5], v[4:5], v[18:19], v[20:21]
	s_delay_alu instid0(VALU_DEP_1) | instskip(NEXT) | instid1(VALU_DEP_1)
	v_div_fixup_f64 v[4:5], v[4:5], v[24:25], v[22:23]
	v_fmac_f64_e32 v[24:25], v[22:23], v[4:5]
	s_delay_alu instid0(VALU_DEP_1) | instskip(NEXT) | instid1(VALU_DEP_1)
	v_div_scale_f64 v[18:19], null, v[24:25], v[24:25], 1.0
	v_rcp_f64_e32 v[20:21], v[18:19]
	v_nop
	s_delay_alu instid0(TRANS32_DEP_1) | instskip(NEXT) | instid1(VALU_DEP_1)
	v_fma_f64 v[22:23], -v[18:19], v[20:21], 1.0
	v_fmac_f64_e32 v[20:21], v[20:21], v[22:23]
	s_delay_alu instid0(VALU_DEP_1) | instskip(NEXT) | instid1(VALU_DEP_1)
	v_fma_f64 v[22:23], -v[18:19], v[20:21], 1.0
	v_fmac_f64_e32 v[20:21], v[20:21], v[22:23]
	v_div_scale_f64 v[22:23], vcc_lo, 1.0, v[24:25], 1.0
	s_delay_alu instid0(VALU_DEP_1) | instskip(NEXT) | instid1(VALU_DEP_1)
	v_mul_f64_e32 v[66:67], v[22:23], v[20:21]
	v_fma_f64 v[18:19], -v[18:19], v[66:67], v[22:23]
	s_delay_alu instid0(VALU_DEP_1) | instskip(NEXT) | instid1(VALU_DEP_1)
	v_div_fmas_f64 v[18:19], v[18:19], v[20:21], v[66:67]
	v_div_fixup_f64 v[20:21], v[18:19], v[24:25], 1.0
                                        ; implicit-def: $vgpr22_vgpr23
	s_delay_alu instid0(VALU_DEP_1)
	v_mul_f64_e32 v[18:19], v[4:5], v[20:21]
	v_xor_b32_e32 v21, 0x80000000, v21
.LBB76_499:                             ;   in Loop: Header=BB76_3 Depth=1
	s_and_not1_saveexec_b32 s100, s100
	s_cbranch_execz .LBB76_501
; %bb.500:                              ;   in Loop: Header=BB76_3 Depth=1
	v_div_scale_f64 v[4:5], null, v[22:23], v[22:23], v[24:25]
	v_div_scale_f64 v[66:67], vcc_lo, v[24:25], v[22:23], v[24:25]
	s_delay_alu instid0(VALU_DEP_2) | instskip(SKIP_1) | instid1(TRANS32_DEP_1)
	v_rcp_f64_e32 v[18:19], v[4:5]
	v_nop
	v_fma_f64 v[20:21], -v[4:5], v[18:19], 1.0
	s_delay_alu instid0(VALU_DEP_1) | instskip(NEXT) | instid1(VALU_DEP_1)
	v_fmac_f64_e32 v[18:19], v[18:19], v[20:21]
	v_fma_f64 v[20:21], -v[4:5], v[18:19], 1.0
	s_delay_alu instid0(VALU_DEP_1) | instskip(NEXT) | instid1(VALU_DEP_1)
	v_fmac_f64_e32 v[18:19], v[18:19], v[20:21]
	v_mul_f64_e32 v[20:21], v[66:67], v[18:19]
	s_delay_alu instid0(VALU_DEP_1) | instskip(NEXT) | instid1(VALU_DEP_1)
	v_fma_f64 v[4:5], -v[4:5], v[20:21], v[66:67]
	v_div_fmas_f64 v[4:5], v[4:5], v[18:19], v[20:21]
	s_delay_alu instid0(VALU_DEP_1) | instskip(NEXT) | instid1(VALU_DEP_1)
	v_div_fixup_f64 v[4:5], v[4:5], v[22:23], v[24:25]
	v_fmac_f64_e32 v[22:23], v[24:25], v[4:5]
	s_delay_alu instid0(VALU_DEP_1) | instskip(NEXT) | instid1(VALU_DEP_1)
	v_div_scale_f64 v[18:19], null, v[22:23], v[22:23], 1.0
	v_rcp_f64_e32 v[20:21], v[18:19]
	v_nop
	s_delay_alu instid0(TRANS32_DEP_1) | instskip(NEXT) | instid1(VALU_DEP_1)
	v_fma_f64 v[24:25], -v[18:19], v[20:21], 1.0
	v_fmac_f64_e32 v[20:21], v[20:21], v[24:25]
	s_delay_alu instid0(VALU_DEP_1) | instskip(NEXT) | instid1(VALU_DEP_1)
	v_fma_f64 v[24:25], -v[18:19], v[20:21], 1.0
	v_fmac_f64_e32 v[20:21], v[20:21], v[24:25]
	v_div_scale_f64 v[24:25], vcc_lo, 1.0, v[22:23], 1.0
	s_delay_alu instid0(VALU_DEP_1) | instskip(NEXT) | instid1(VALU_DEP_1)
	v_mul_f64_e32 v[66:67], v[24:25], v[20:21]
	v_fma_f64 v[18:19], -v[18:19], v[66:67], v[24:25]
	s_delay_alu instid0(VALU_DEP_1) | instskip(NEXT) | instid1(VALU_DEP_1)
	v_div_fmas_f64 v[18:19], v[18:19], v[20:21], v[66:67]
	v_div_fixup_f64 v[18:19], v[18:19], v[22:23], 1.0
	s_delay_alu instid0(VALU_DEP_1)
	v_mul_f64_e64 v[20:21], v[4:5], -v[18:19]
.LBB76_501:                             ;   in Loop: Header=BB76_3 Depth=1
	s_or_b32 exec_lo, exec_lo, s100
	s_delay_alu instid0(SALU_CYCLE_1)
	s_or_b32 s63, s63, exec_lo
.LBB76_502:                             ;   in Loop: Header=BB76_3 Depth=1
	s_or_b32 exec_lo, exec_lo, s99
	s_delay_alu instid0(SALU_CYCLE_1)
	s_and_b32 s63, s63, exec_lo
	s_and_not1_saveexec_b32 s62, s62
	s_cbranch_execz .LBB76_20
.LBB76_503:                             ;   in Loop: Header=BB76_3 Depth=1
	v_lshl_add_u64 v[4:5], v[34:35], 4, s[60:61]
	s_or_b32 s63, s63, exec_lo
	global_load_b128 v[18:21], v[4:5], off
	s_wait_loadcnt 0x0
	v_xor_b32_e32 v19, 0x80000000, v19
	v_xor_b32_e32 v21, 0x80000000, v21
	s_or_b32 exec_lo, exec_lo, s62
	s_and_saveexec_b32 s62, s63
	s_cbranch_execz .LBB76_21
.LBB76_504:                             ;   in Loop: Header=BB76_3 Depth=1
	ds_store_b128 v64, v[18:21]
	s_or_b32 exec_lo, exec_lo, s62
	s_and_saveexec_b32 s62, s98
	s_delay_alu instid0(SALU_CYCLE_1)
	s_xor_b32 s62, exec_lo, s62
	s_cbranch_execz .LBB76_22
.LBB76_505:                             ;   in Loop: Header=BB76_3 Depth=1
	s_mov_b32 s63, exec_lo
	v_readlane_b32 s99, v74, 18
	s_and_b32 s99, s63, s99
	s_delay_alu instid0(SALU_CYCLE_1)
	s_xor_b32 s63, s99, s63
	s_mov_b32 exec_lo, s99
	s_cbranch_execz .LBB76_509
; %bb.506:                              ;   in Loop: Header=BB76_3 Depth=1
	s_mov_b32 s99, exec_lo
	v_readlane_b32 s100, v74, 31
	s_and_b32 s100, s99, s100
	s_delay_alu instid0(SALU_CYCLE_1)
	s_mov_b32 exec_lo, s100
; %bb.507:                              ;   in Loop: Header=BB76_3 Depth=1
	v_dual_mov_b32 v3, v2 :: v_dual_mov_b32 v4, v2
	v_mov_b32_e32 v5, v2
	ds_store_b128 v62, v[2:5]
; %bb.508:                              ;   in Loop: Header=BB76_3 Depth=1
	s_or_b32 exec_lo, exec_lo, s99
.LBB76_509:                             ;   in Loop: Header=BB76_3 Depth=1
	s_and_not1_saveexec_b32 s63, s63
	s_cbranch_execz .LBB76_515
; %bb.510:                              ;   in Loop: Header=BB76_3 Depth=1
	v_lshl_add_u64 v[4:5], v[36:37], 4, s[60:61]
                                        ; implicit-def: $vgpr22_vgpr23
	global_load_b128 v[18:21], v[4:5], off
	s_wait_loadcnt 0x0
	v_cmp_ngt_f64_e64 s99, |v[18:19]|, |v[20:21]|
	s_and_saveexec_b32 s100, s99
	s_delay_alu instid0(SALU_CYCLE_1)
	s_xor_b32 s99, exec_lo, s100
	s_cbranch_execz .LBB76_512
; %bb.511:                              ;   in Loop: Header=BB76_3 Depth=1
	v_div_scale_f64 v[4:5], null, v[20:21], v[20:21], v[18:19]
	v_div_scale_f64 v[66:67], vcc_lo, v[18:19], v[20:21], v[18:19]
	s_delay_alu instid0(VALU_DEP_2) | instskip(SKIP_1) | instid1(TRANS32_DEP_1)
	v_rcp_f64_e32 v[22:23], v[4:5]
	v_nop
	v_fma_f64 v[24:25], -v[4:5], v[22:23], 1.0
	s_delay_alu instid0(VALU_DEP_1) | instskip(NEXT) | instid1(VALU_DEP_1)
	v_fmac_f64_e32 v[22:23], v[22:23], v[24:25]
	v_fma_f64 v[24:25], -v[4:5], v[22:23], 1.0
	s_delay_alu instid0(VALU_DEP_1) | instskip(NEXT) | instid1(VALU_DEP_1)
	v_fmac_f64_e32 v[22:23], v[22:23], v[24:25]
	v_mul_f64_e32 v[24:25], v[66:67], v[22:23]
	s_delay_alu instid0(VALU_DEP_1) | instskip(NEXT) | instid1(VALU_DEP_1)
	v_fma_f64 v[4:5], -v[4:5], v[24:25], v[66:67]
	v_div_fmas_f64 v[4:5], v[4:5], v[22:23], v[24:25]
	s_delay_alu instid0(VALU_DEP_1) | instskip(NEXT) | instid1(VALU_DEP_1)
	v_div_fixup_f64 v[4:5], v[4:5], v[20:21], v[18:19]
	v_fmac_f64_e32 v[20:21], v[18:19], v[4:5]
	s_delay_alu instid0(VALU_DEP_1) | instskip(NEXT) | instid1(VALU_DEP_1)
	v_div_scale_f64 v[18:19], null, v[20:21], v[20:21], 1.0
	v_rcp_f64_e32 v[22:23], v[18:19]
	v_nop
	s_delay_alu instid0(TRANS32_DEP_1) | instskip(NEXT) | instid1(VALU_DEP_1)
	v_fma_f64 v[24:25], -v[18:19], v[22:23], 1.0
	v_fmac_f64_e32 v[22:23], v[22:23], v[24:25]
	s_delay_alu instid0(VALU_DEP_1) | instskip(NEXT) | instid1(VALU_DEP_1)
	v_fma_f64 v[24:25], -v[18:19], v[22:23], 1.0
	v_fmac_f64_e32 v[22:23], v[22:23], v[24:25]
	v_div_scale_f64 v[24:25], vcc_lo, 1.0, v[20:21], 1.0
	s_delay_alu instid0(VALU_DEP_1) | instskip(NEXT) | instid1(VALU_DEP_1)
	v_mul_f64_e32 v[66:67], v[24:25], v[22:23]
	v_fma_f64 v[18:19], -v[18:19], v[66:67], v[24:25]
	s_delay_alu instid0(VALU_DEP_1) | instskip(NEXT) | instid1(VALU_DEP_1)
	v_div_fmas_f64 v[18:19], v[18:19], v[22:23], v[66:67]
	v_div_fixup_f64 v[24:25], v[18:19], v[20:21], 1.0
                                        ; implicit-def: $vgpr18_vgpr19
	s_delay_alu instid0(VALU_DEP_1)
	v_mul_f64_e32 v[22:23], v[4:5], v[24:25]
	v_xor_b32_e32 v25, 0x80000000, v25
.LBB76_512:                             ;   in Loop: Header=BB76_3 Depth=1
	s_and_not1_saveexec_b32 s99, s99
	s_cbranch_execz .LBB76_514
; %bb.513:                              ;   in Loop: Header=BB76_3 Depth=1
	v_div_scale_f64 v[4:5], null, v[18:19], v[18:19], v[20:21]
	v_div_scale_f64 v[66:67], vcc_lo, v[20:21], v[18:19], v[20:21]
	s_delay_alu instid0(VALU_DEP_2) | instskip(SKIP_1) | instid1(TRANS32_DEP_1)
	v_rcp_f64_e32 v[22:23], v[4:5]
	v_nop
	v_fma_f64 v[24:25], -v[4:5], v[22:23], 1.0
	s_delay_alu instid0(VALU_DEP_1) | instskip(NEXT) | instid1(VALU_DEP_1)
	v_fmac_f64_e32 v[22:23], v[22:23], v[24:25]
	v_fma_f64 v[24:25], -v[4:5], v[22:23], 1.0
	s_delay_alu instid0(VALU_DEP_1) | instskip(NEXT) | instid1(VALU_DEP_1)
	v_fmac_f64_e32 v[22:23], v[22:23], v[24:25]
	v_mul_f64_e32 v[24:25], v[66:67], v[22:23]
	s_delay_alu instid0(VALU_DEP_1) | instskip(NEXT) | instid1(VALU_DEP_1)
	v_fma_f64 v[4:5], -v[4:5], v[24:25], v[66:67]
	v_div_fmas_f64 v[4:5], v[4:5], v[22:23], v[24:25]
	s_delay_alu instid0(VALU_DEP_1) | instskip(NEXT) | instid1(VALU_DEP_1)
	v_div_fixup_f64 v[4:5], v[4:5], v[18:19], v[20:21]
	v_fmac_f64_e32 v[18:19], v[20:21], v[4:5]
	s_delay_alu instid0(VALU_DEP_1) | instskip(NEXT) | instid1(VALU_DEP_1)
	v_div_scale_f64 v[20:21], null, v[18:19], v[18:19], 1.0
	v_rcp_f64_e32 v[22:23], v[20:21]
	v_nop
	s_delay_alu instid0(TRANS32_DEP_1) | instskip(NEXT) | instid1(VALU_DEP_1)
	v_fma_f64 v[24:25], -v[20:21], v[22:23], 1.0
	v_fmac_f64_e32 v[22:23], v[22:23], v[24:25]
	s_delay_alu instid0(VALU_DEP_1) | instskip(NEXT) | instid1(VALU_DEP_1)
	v_fma_f64 v[24:25], -v[20:21], v[22:23], 1.0
	v_fmac_f64_e32 v[22:23], v[22:23], v[24:25]
	v_div_scale_f64 v[24:25], vcc_lo, 1.0, v[18:19], 1.0
	s_delay_alu instid0(VALU_DEP_1) | instskip(NEXT) | instid1(VALU_DEP_1)
	v_mul_f64_e32 v[66:67], v[24:25], v[22:23]
	v_fma_f64 v[20:21], -v[20:21], v[66:67], v[24:25]
	s_delay_alu instid0(VALU_DEP_1) | instskip(NEXT) | instid1(VALU_DEP_1)
	v_div_fmas_f64 v[20:21], v[20:21], v[22:23], v[66:67]
	v_div_fixup_f64 v[22:23], v[20:21], v[18:19], 1.0
	s_delay_alu instid0(VALU_DEP_1)
	v_mul_f64_e64 v[24:25], v[4:5], -v[22:23]
.LBB76_514:                             ;   in Loop: Header=BB76_3 Depth=1
	s_or_b32 exec_lo, exec_lo, s99
	ds_store_b128 v62, v[22:25]
.LBB76_515:                             ;   in Loop: Header=BB76_3 Depth=1
	s_or_b32 exec_lo, exec_lo, s63
	s_and_not1_saveexec_b32 s62, s62
	s_cbranch_execnz .LBB76_23
	s_branch .LBB76_24
.LBB76_516:                             ;   in Loop: Header=BB76_3 Depth=1
	s_or_b32 exec_lo, exec_lo, s99
	s_delay_alu instid0(SALU_CYCLE_1)
	s_and_b32 vcc_lo, exec_lo, s61
	s_cbranch_vccnz .LBB76_456
.LBB76_517:                             ;   in Loop: Header=BB76_3 Depth=1
	s_delay_alu instid0(VALU_DEP_1) | instskip(NEXT) | instid1(VALU_DEP_3)
	v_mov_b64_e32 v[20:21], v[4:5]
	v_mov_b64_e32 v[18:19], v[22:23]
	s_and_saveexec_b32 s61, s60
	s_cbranch_execnz .LBB76_469
	s_branch .LBB76_470
.LBB76_518:                             ;   in Loop: Header=BB76_3 Depth=1
	s_and_not1_b32 s60, s60, exec_lo
	s_and_b32 s99, s4, exec_lo
	s_delay_alu instid0(SALU_CYCLE_1)
	s_or_b32 s60, s60, s99
	s_cbranch_execnz .LBB76_468
.LBB76_519:                             ;   in Loop: Header=BB76_3 Depth=1
	v_readlane_b32 s61, v74, 14
	s_and_not1_b32 s60, s60, exec_lo
	s_and_b32 s61, s61, exec_lo
	s_delay_alu instid0(SALU_CYCLE_1) | instskip(NEXT) | instid1(SALU_CYCLE_1)
	s_or_b32 s60, s60, s61
	s_and_saveexec_b32 s61, s60
	s_cbranch_execnz .LBB76_469
	s_branch .LBB76_470
.LBB76_520:                             ;   in Loop: Header=BB76_3 Depth=1
	ds_load_b128 v[22:25], v47 offset:16336
	ds_load_b128 v[66:69], v46 offset:15232
	s_wait_dscnt 0x0
	v_mul_f64_e32 v[4:5], v[24:25], v[68:69]
	v_mul_f64_e32 v[68:69], v[22:23], v[68:69]
	s_delay_alu instid0(VALU_DEP_2) | instskip(NEXT) | instid1(VALU_DEP_2)
	v_fma_f64 v[4:5], v[22:23], v[66:67], -v[4:5]
	v_fmac_f64_e32 v[68:69], v[24:25], v[66:67]
	s_delay_alu instid0(VALU_DEP_2) | instskip(NEXT) | instid1(VALU_DEP_2)
	v_add_f64_e32 v[18:19], v[18:19], v[4:5]
	v_add_f64_e32 v[20:21], v[20:21], v[68:69]
	s_or_b32 exec_lo, exec_lo, s63
	s_and_saveexec_b32 s63, s13
	s_cbranch_execz .LBB76_45
.LBB76_521:                             ;   in Loop: Header=BB76_3 Depth=1
	ds_load_b128 v[22:25], v47 offset:16352
	ds_load_b128 v[66:69], v46 offset:15744
	s_wait_dscnt 0x0
	v_mul_f64_e32 v[4:5], v[24:25], v[68:69]
	v_mul_f64_e32 v[68:69], v[22:23], v[68:69]
	s_delay_alu instid0(VALU_DEP_2) | instskip(NEXT) | instid1(VALU_DEP_2)
	v_fma_f64 v[4:5], v[22:23], v[66:67], -v[4:5]
	v_fmac_f64_e32 v[68:69], v[24:25], v[66:67]
	s_delay_alu instid0(VALU_DEP_2) | instskip(NEXT) | instid1(VALU_DEP_2)
	v_add_f64_e32 v[18:19], v[18:19], v[4:5]
	v_add_f64_e32 v[20:21], v[20:21], v[68:69]
	s_or_b32 exec_lo, exec_lo, s63
	s_and_saveexec_b32 s63, s0
	s_cbranch_execnz .LBB76_46
	s_branch .LBB76_47
.LBB76_522:                             ;   in Loop: Header=BB76_3 Depth=1
	ds_load_b128 v[22:25], v51 offset:16272
	ds_load_b128 v[66:69], v50 offset:13056
	s_wait_dscnt 0x0
	v_mul_f64_e32 v[4:5], v[24:25], v[68:69]
	v_mul_f64_e32 v[68:69], v[22:23], v[68:69]
	s_delay_alu instid0(VALU_DEP_2) | instskip(NEXT) | instid1(VALU_DEP_2)
	v_fma_f64 v[4:5], v[22:23], v[66:67], -v[4:5]
	v_fmac_f64_e32 v[68:69], v[24:25], v[66:67]
	s_delay_alu instid0(VALU_DEP_2) | instskip(NEXT) | instid1(VALU_DEP_2)
	v_add_f64_e32 v[18:19], v[18:19], v[4:5]
	v_add_f64_e32 v[20:21], v[20:21], v[68:69]
	s_or_b32 exec_lo, exec_lo, s63
	s_and_saveexec_b32 s63, s15
	s_cbranch_execz .LBB76_83
.LBB76_523:                             ;   in Loop: Header=BB76_3 Depth=1
	ds_load_b128 v[22:25], v51 offset:16288
	ds_load_b128 v[66:69], v50 offset:13568
	s_wait_dscnt 0x0
	v_mul_f64_e32 v[4:5], v[24:25], v[68:69]
	v_mul_f64_e32 v[68:69], v[22:23], v[68:69]
	s_delay_alu instid0(VALU_DEP_2) | instskip(NEXT) | instid1(VALU_DEP_2)
	v_fma_f64 v[4:5], v[22:23], v[66:67], -v[4:5]
	v_fmac_f64_e32 v[68:69], v[24:25], v[66:67]
	s_delay_alu instid0(VALU_DEP_2) | instskip(NEXT) | instid1(VALU_DEP_2)
	v_add_f64_e32 v[18:19], v[18:19], v[4:5]
	v_add_f64_e32 v[20:21], v[20:21], v[68:69]
	s_or_b32 exec_lo, exec_lo, s63
	s_and_saveexec_b32 s63, s16
	s_cbranch_execz .LBB76_84
.LBB76_524:                             ;   in Loop: Header=BB76_3 Depth=1
	ds_load_b128 v[22:25], v51 offset:16304
	ds_load_b128 v[66:69], v50 offset:14080
	s_wait_dscnt 0x0
	v_mul_f64_e32 v[4:5], v[24:25], v[68:69]
	v_mul_f64_e32 v[68:69], v[22:23], v[68:69]
	s_delay_alu instid0(VALU_DEP_2) | instskip(NEXT) | instid1(VALU_DEP_2)
	v_fma_f64 v[4:5], v[22:23], v[66:67], -v[4:5]
	v_fmac_f64_e32 v[68:69], v[24:25], v[66:67]
	s_delay_alu instid0(VALU_DEP_2) | instskip(NEXT) | instid1(VALU_DEP_2)
	v_add_f64_e32 v[18:19], v[18:19], v[4:5]
	v_add_f64_e32 v[20:21], v[20:21], v[68:69]
	s_or_b32 exec_lo, exec_lo, s63
	s_and_saveexec_b32 s63, s17
	s_cbranch_execz .LBB76_85
.LBB76_525:                             ;   in Loop: Header=BB76_3 Depth=1
	ds_load_b128 v[22:25], v51 offset:16320
	ds_load_b128 v[66:69], v50 offset:14592
	s_wait_dscnt 0x0
	v_mul_f64_e32 v[4:5], v[24:25], v[68:69]
	v_mul_f64_e32 v[68:69], v[22:23], v[68:69]
	s_delay_alu instid0(VALU_DEP_2) | instskip(NEXT) | instid1(VALU_DEP_2)
	v_fma_f64 v[4:5], v[22:23], v[66:67], -v[4:5]
	v_fmac_f64_e32 v[68:69], v[24:25], v[66:67]
	s_delay_alu instid0(VALU_DEP_2) | instskip(NEXT) | instid1(VALU_DEP_2)
	v_add_f64_e32 v[18:19], v[18:19], v[4:5]
	v_add_f64_e32 v[20:21], v[20:21], v[68:69]
	s_or_b32 exec_lo, exec_lo, s63
	s_and_saveexec_b32 s63, s18
	s_cbranch_execz .LBB76_86
.LBB76_526:                             ;   in Loop: Header=BB76_3 Depth=1
	ds_load_b128 v[22:25], v51 offset:16336
	ds_load_b128 v[66:69], v50 offset:15104
	s_wait_dscnt 0x0
	v_mul_f64_e32 v[4:5], v[24:25], v[68:69]
	v_mul_f64_e32 v[68:69], v[22:23], v[68:69]
	s_delay_alu instid0(VALU_DEP_2) | instskip(NEXT) | instid1(VALU_DEP_2)
	v_fma_f64 v[4:5], v[22:23], v[66:67], -v[4:5]
	v_fmac_f64_e32 v[68:69], v[24:25], v[66:67]
	s_delay_alu instid0(VALU_DEP_2) | instskip(NEXT) | instid1(VALU_DEP_2)
	v_add_f64_e32 v[18:19], v[18:19], v[4:5]
	v_add_f64_e32 v[20:21], v[20:21], v[68:69]
	s_or_b32 exec_lo, exec_lo, s63
	s_and_saveexec_b32 s63, s1
	s_cbranch_execz .LBB76_87
.LBB76_527:                             ;   in Loop: Header=BB76_3 Depth=1
	ds_load_b128 v[22:25], v51 offset:16352
	ds_load_b128 v[66:69], v50 offset:15616
	s_wait_dscnt 0x0
	v_mul_f64_e32 v[4:5], v[24:25], v[68:69]
	v_mul_f64_e32 v[68:69], v[22:23], v[68:69]
	s_delay_alu instid0(VALU_DEP_2) | instskip(NEXT) | instid1(VALU_DEP_2)
	v_fma_f64 v[4:5], v[22:23], v[66:67], -v[4:5]
	v_fmac_f64_e32 v[68:69], v[24:25], v[66:67]
	s_delay_alu instid0(VALU_DEP_2) | instskip(NEXT) | instid1(VALU_DEP_2)
	v_add_f64_e32 v[18:19], v[18:19], v[4:5]
	v_add_f64_e32 v[20:21], v[20:21], v[68:69]
	s_or_b32 exec_lo, exec_lo, s63
	s_and_saveexec_b32 s63, s13
	s_cbranch_execnz .LBB76_88
	s_branch .LBB76_89
.LBB76_528:                             ;   in Loop: Header=BB76_3 Depth=1
	ds_load_b128 v[22:25], v47 offset:12112
	ds_load_b128 v[66:69], v46 offset:11008
	s_wait_dscnt 0x0
	v_mul_f64_e32 v[4:5], v[24:25], v[68:69]
	v_mul_f64_e32 v[68:69], v[22:23], v[68:69]
	s_delay_alu instid0(VALU_DEP_2) | instskip(NEXT) | instid1(VALU_DEP_2)
	v_fma_f64 v[4:5], v[22:23], v[66:67], -v[4:5]
	v_fmac_f64_e32 v[68:69], v[24:25], v[66:67]
	s_delay_alu instid0(VALU_DEP_2) | instskip(NEXT) | instid1(VALU_DEP_2)
	v_add_f64_e32 v[18:19], v[18:19], v[4:5]
	v_add_f64_e32 v[20:21], v[20:21], v[68:69]
	s_or_b32 exec_lo, exec_lo, s63
	s_and_saveexec_b32 s63, s13
	s_cbranch_execz .LBB76_141
.LBB76_529:                             ;   in Loop: Header=BB76_3 Depth=1
	ds_load_b128 v[22:25], v47 offset:12128
	ds_load_b128 v[66:69], v46 offset:11520
	s_wait_dscnt 0x0
	v_mul_f64_e32 v[4:5], v[24:25], v[68:69]
	v_mul_f64_e32 v[68:69], v[22:23], v[68:69]
	s_delay_alu instid0(VALU_DEP_2) | instskip(NEXT) | instid1(VALU_DEP_2)
	v_fma_f64 v[4:5], v[22:23], v[66:67], -v[4:5]
	v_fmac_f64_e32 v[68:69], v[24:25], v[66:67]
	s_delay_alu instid0(VALU_DEP_2) | instskip(NEXT) | instid1(VALU_DEP_2)
	v_add_f64_e32 v[18:19], v[18:19], v[4:5]
	v_add_f64_e32 v[20:21], v[20:21], v[68:69]
	s_or_b32 exec_lo, exec_lo, s63
	s_and_saveexec_b32 s63, s0
	s_cbranch_execnz .LBB76_142
	s_branch .LBB76_143
.LBB76_530:                             ;   in Loop: Header=BB76_3 Depth=1
	ds_load_b128 v[22:25], v55 offset:16304
	ds_load_b128 v[66:69], v54 offset:13824
	s_wait_dscnt 0x0
	v_mul_f64_e32 v[4:5], v[24:25], v[68:69]
	v_mul_f64_e32 v[68:69], v[22:23], v[68:69]
	s_delay_alu instid0(VALU_DEP_2) | instskip(NEXT) | instid1(VALU_DEP_2)
	v_fma_f64 v[4:5], v[22:23], v[66:67], -v[4:5]
	v_fmac_f64_e32 v[68:69], v[24:25], v[66:67]
	s_delay_alu instid0(VALU_DEP_2) | instskip(NEXT) | instid1(VALU_DEP_2)
	v_add_f64_e32 v[18:19], v[18:19], v[4:5]
	v_add_f64_e32 v[20:21], v[20:21], v[68:69]
	s_or_b32 exec_lo, exec_lo, s63
	s_and_saveexec_b32 s63, s2
	s_cbranch_execz .LBB76_199
.LBB76_531:                             ;   in Loop: Header=BB76_3 Depth=1
	ds_load_b128 v[22:25], v55 offset:16320
	ds_load_b128 v[66:69], v54 offset:14336
	s_wait_dscnt 0x0
	v_mul_f64_e32 v[4:5], v[24:25], v[68:69]
	v_mul_f64_e32 v[68:69], v[22:23], v[68:69]
	s_delay_alu instid0(VALU_DEP_2) | instskip(NEXT) | instid1(VALU_DEP_2)
	v_fma_f64 v[4:5], v[22:23], v[66:67], -v[4:5]
	v_fmac_f64_e32 v[68:69], v[24:25], v[66:67]
	s_delay_alu instid0(VALU_DEP_2) | instskip(NEXT) | instid1(VALU_DEP_2)
	v_add_f64_e32 v[18:19], v[18:19], v[4:5]
	v_add_f64_e32 v[20:21], v[20:21], v[68:69]
	s_or_b32 exec_lo, exec_lo, s63
	s_and_saveexec_b32 s63, s15
	s_cbranch_execz .LBB76_200
.LBB76_532:                             ;   in Loop: Header=BB76_3 Depth=1
	ds_load_b128 v[22:25], v55 offset:16336
	ds_load_b128 v[66:69], v54 offset:14848
	s_wait_dscnt 0x0
	v_mul_f64_e32 v[4:5], v[24:25], v[68:69]
	v_mul_f64_e32 v[68:69], v[22:23], v[68:69]
	s_delay_alu instid0(VALU_DEP_2) | instskip(NEXT) | instid1(VALU_DEP_2)
	v_fma_f64 v[4:5], v[22:23], v[66:67], -v[4:5]
	v_fmac_f64_e32 v[68:69], v[24:25], v[66:67]
	s_delay_alu instid0(VALU_DEP_2) | instskip(NEXT) | instid1(VALU_DEP_2)
	v_add_f64_e32 v[18:19], v[18:19], v[4:5]
	v_add_f64_e32 v[20:21], v[20:21], v[68:69]
	s_or_b32 exec_lo, exec_lo, s63
	s_and_saveexec_b32 s63, s17
	s_cbranch_execz .LBB76_201
.LBB76_533:                             ;   in Loop: Header=BB76_3 Depth=1
	ds_load_b128 v[22:25], v55 offset:16352
	ds_load_b128 v[66:69], v54 offset:15360
	s_wait_dscnt 0x0
	v_mul_f64_e32 v[4:5], v[24:25], v[68:69]
	v_mul_f64_e32 v[68:69], v[22:23], v[68:69]
	s_delay_alu instid0(VALU_DEP_2) | instskip(NEXT) | instid1(VALU_DEP_2)
	v_fma_f64 v[4:5], v[22:23], v[66:67], -v[4:5]
	v_fmac_f64_e32 v[68:69], v[24:25], v[66:67]
	s_delay_alu instid0(VALU_DEP_2) | instskip(NEXT) | instid1(VALU_DEP_2)
	v_add_f64_e32 v[18:19], v[18:19], v[4:5]
	v_add_f64_e32 v[20:21], v[20:21], v[68:69]
	s_or_b32 exec_lo, exec_lo, s63
	s_and_saveexec_b32 s63, s1
	s_cbranch_execnz .LBB76_202
	s_branch .LBB76_203
.LBB76_534:                             ;   in Loop: Header=BB76_3 Depth=1
	ds_load_b128 v[22:25], v47 offset:7888
	ds_load_b128 v[66:69], v46 offset:6784
	s_wait_dscnt 0x0
	v_mul_f64_e32 v[4:5], v[24:25], v[68:69]
	v_mul_f64_e32 v[68:69], v[22:23], v[68:69]
	s_delay_alu instid0(VALU_DEP_2) | instskip(NEXT) | instid1(VALU_DEP_2)
	v_fma_f64 v[4:5], v[22:23], v[66:67], -v[4:5]
	v_fmac_f64_e32 v[68:69], v[24:25], v[66:67]
	s_delay_alu instid0(VALU_DEP_2) | instskip(NEXT) | instid1(VALU_DEP_2)
	v_add_f64_e32 v[18:19], v[18:19], v[4:5]
	v_add_f64_e32 v[20:21], v[20:21], v[68:69]
	s_or_b32 exec_lo, exec_lo, s63
	s_and_saveexec_b32 s63, s13
	s_cbranch_execz .LBB76_287
.LBB76_535:                             ;   in Loop: Header=BB76_3 Depth=1
	ds_load_b128 v[22:25], v47 offset:7904
	ds_load_b128 v[66:69], v46 offset:7296
	s_wait_dscnt 0x0
	v_mul_f64_e32 v[4:5], v[24:25], v[68:69]
	v_mul_f64_e32 v[68:69], v[22:23], v[68:69]
	s_delay_alu instid0(VALU_DEP_2) | instskip(NEXT) | instid1(VALU_DEP_2)
	v_fma_f64 v[4:5], v[22:23], v[66:67], -v[4:5]
	v_fmac_f64_e32 v[68:69], v[24:25], v[66:67]
	s_delay_alu instid0(VALU_DEP_2) | instskip(NEXT) | instid1(VALU_DEP_2)
	v_add_f64_e32 v[18:19], v[18:19], v[4:5]
	v_add_f64_e32 v[20:21], v[20:21], v[68:69]
	s_or_b32 exec_lo, exec_lo, s63
	s_and_saveexec_b32 s63, s0
	s_cbranch_execnz .LBB76_288
	s_branch .LBB76_289
.LBB76_536:                             ;   in Loop: Header=BB76_3 Depth=1
	ds_load_b128 v[22:25], v51 offset:7824
	ds_load_b128 v[66:69], v50 offset:4608
	s_wait_dscnt 0x0
	v_mul_f64_e32 v[4:5], v[24:25], v[68:69]
	v_mul_f64_e32 v[68:69], v[22:23], v[68:69]
	s_delay_alu instid0(VALU_DEP_2) | instskip(NEXT) | instid1(VALU_DEP_2)
	v_fma_f64 v[4:5], v[22:23], v[66:67], -v[4:5]
	v_fmac_f64_e32 v[68:69], v[24:25], v[66:67]
	s_delay_alu instid0(VALU_DEP_2) | instskip(NEXT) | instid1(VALU_DEP_2)
	v_add_f64_e32 v[18:19], v[18:19], v[4:5]
	v_add_f64_e32 v[20:21], v[20:21], v[68:69]
	s_or_b32 exec_lo, exec_lo, s63
	s_and_saveexec_b32 s63, s15
	s_cbranch_execz .LBB76_325
.LBB76_537:                             ;   in Loop: Header=BB76_3 Depth=1
	ds_load_b128 v[22:25], v51 offset:7840
	ds_load_b128 v[66:69], v50 offset:5120
	s_wait_dscnt 0x0
	v_mul_f64_e32 v[4:5], v[24:25], v[68:69]
	v_mul_f64_e32 v[68:69], v[22:23], v[68:69]
	s_delay_alu instid0(VALU_DEP_2) | instskip(NEXT) | instid1(VALU_DEP_2)
	v_fma_f64 v[4:5], v[22:23], v[66:67], -v[4:5]
	v_fmac_f64_e32 v[68:69], v[24:25], v[66:67]
	s_delay_alu instid0(VALU_DEP_2) | instskip(NEXT) | instid1(VALU_DEP_2)
	v_add_f64_e32 v[18:19], v[18:19], v[4:5]
	v_add_f64_e32 v[20:21], v[20:21], v[68:69]
	s_or_b32 exec_lo, exec_lo, s63
	s_and_saveexec_b32 s63, s16
	s_cbranch_execz .LBB76_326
.LBB76_538:                             ;   in Loop: Header=BB76_3 Depth=1
	ds_load_b128 v[22:25], v51 offset:7856
	ds_load_b128 v[66:69], v50 offset:5632
	s_wait_dscnt 0x0
	v_mul_f64_e32 v[4:5], v[24:25], v[68:69]
	v_mul_f64_e32 v[68:69], v[22:23], v[68:69]
	s_delay_alu instid0(VALU_DEP_2) | instskip(NEXT) | instid1(VALU_DEP_2)
	v_fma_f64 v[4:5], v[22:23], v[66:67], -v[4:5]
	v_fmac_f64_e32 v[68:69], v[24:25], v[66:67]
	s_delay_alu instid0(VALU_DEP_2) | instskip(NEXT) | instid1(VALU_DEP_2)
	v_add_f64_e32 v[18:19], v[18:19], v[4:5]
	v_add_f64_e32 v[20:21], v[20:21], v[68:69]
	s_or_b32 exec_lo, exec_lo, s63
	s_and_saveexec_b32 s63, s17
	s_cbranch_execz .LBB76_327
.LBB76_539:                             ;   in Loop: Header=BB76_3 Depth=1
	ds_load_b128 v[22:25], v51 offset:7872
	ds_load_b128 v[66:69], v50 offset:6144
	s_wait_dscnt 0x0
	v_mul_f64_e32 v[4:5], v[24:25], v[68:69]
	v_mul_f64_e32 v[68:69], v[22:23], v[68:69]
	s_delay_alu instid0(VALU_DEP_2) | instskip(NEXT) | instid1(VALU_DEP_2)
	v_fma_f64 v[4:5], v[22:23], v[66:67], -v[4:5]
	v_fmac_f64_e32 v[68:69], v[24:25], v[66:67]
	s_delay_alu instid0(VALU_DEP_2) | instskip(NEXT) | instid1(VALU_DEP_2)
	v_add_f64_e32 v[18:19], v[18:19], v[4:5]
	v_add_f64_e32 v[20:21], v[20:21], v[68:69]
	s_or_b32 exec_lo, exec_lo, s63
	s_and_saveexec_b32 s63, s18
	s_cbranch_execz .LBB76_328
.LBB76_540:                             ;   in Loop: Header=BB76_3 Depth=1
	ds_load_b128 v[22:25], v51 offset:7888
	ds_load_b128 v[66:69], v50 offset:6656
	s_wait_dscnt 0x0
	v_mul_f64_e32 v[4:5], v[24:25], v[68:69]
	v_mul_f64_e32 v[68:69], v[22:23], v[68:69]
	s_delay_alu instid0(VALU_DEP_2) | instskip(NEXT) | instid1(VALU_DEP_2)
	v_fma_f64 v[4:5], v[22:23], v[66:67], -v[4:5]
	v_fmac_f64_e32 v[68:69], v[24:25], v[66:67]
	s_delay_alu instid0(VALU_DEP_2) | instskip(NEXT) | instid1(VALU_DEP_2)
	v_add_f64_e32 v[18:19], v[18:19], v[4:5]
	v_add_f64_e32 v[20:21], v[20:21], v[68:69]
	s_or_b32 exec_lo, exec_lo, s63
	s_and_saveexec_b32 s63, s1
	s_cbranch_execz .LBB76_329
.LBB76_541:                             ;   in Loop: Header=BB76_3 Depth=1
	ds_load_b128 v[22:25], v51 offset:7904
	ds_load_b128 v[66:69], v50 offset:7168
	s_wait_dscnt 0x0
	v_mul_f64_e32 v[4:5], v[24:25], v[68:69]
	v_mul_f64_e32 v[68:69], v[22:23], v[68:69]
	s_delay_alu instid0(VALU_DEP_2) | instskip(NEXT) | instid1(VALU_DEP_2)
	v_fma_f64 v[4:5], v[22:23], v[66:67], -v[4:5]
	v_fmac_f64_e32 v[68:69], v[24:25], v[66:67]
	s_delay_alu instid0(VALU_DEP_2) | instskip(NEXT) | instid1(VALU_DEP_2)
	v_add_f64_e32 v[18:19], v[18:19], v[4:5]
	v_add_f64_e32 v[20:21], v[20:21], v[68:69]
	s_or_b32 exec_lo, exec_lo, s63
	s_and_saveexec_b32 s63, s13
	s_cbranch_execnz .LBB76_330
	s_branch .LBB76_331
.LBB76_542:                             ;   in Loop: Header=BB76_3 Depth=1
	ds_load_b128 v[22:25], v47 offset:3664
	ds_load_b128 v[66:69], v46 offset:2560
	s_wait_dscnt 0x0
	v_mul_f64_e32 v[4:5], v[24:25], v[68:69]
	v_mul_f64_e32 v[68:69], v[22:23], v[68:69]
	s_delay_alu instid0(VALU_DEP_2) | instskip(NEXT) | instid1(VALU_DEP_2)
	v_fma_f64 v[4:5], v[22:23], v[66:67], -v[4:5]
	v_fmac_f64_e32 v[68:69], v[24:25], v[66:67]
	s_delay_alu instid0(VALU_DEP_2) | instskip(NEXT) | instid1(VALU_DEP_2)
	v_add_f64_e32 v[18:19], v[18:19], v[4:5]
	v_add_f64_e32 v[20:21], v[20:21], v[68:69]
	s_or_b32 exec_lo, exec_lo, s63
	s_and_saveexec_b32 s63, s13
	s_cbranch_execz .LBB76_383
.LBB76_543:                             ;   in Loop: Header=BB76_3 Depth=1
	ds_load_b128 v[22:25], v47 offset:3680
	ds_load_b128 v[66:69], v46 offset:3072
	s_wait_dscnt 0x0
	v_mul_f64_e32 v[4:5], v[24:25], v[68:69]
	v_mul_f64_e32 v[68:69], v[22:23], v[68:69]
	s_delay_alu instid0(VALU_DEP_2) | instskip(NEXT) | instid1(VALU_DEP_2)
	v_fma_f64 v[4:5], v[22:23], v[66:67], -v[4:5]
	v_fmac_f64_e32 v[68:69], v[24:25], v[66:67]
	s_delay_alu instid0(VALU_DEP_2) | instskip(NEXT) | instid1(VALU_DEP_2)
	v_add_f64_e32 v[18:19], v[18:19], v[4:5]
	v_add_f64_e32 v[20:21], v[20:21], v[68:69]
	s_or_b32 exec_lo, exec_lo, s63
	s_and_saveexec_b32 s63, s0
	s_cbranch_execnz .LBB76_384
	s_branch .LBB76_385
.LBB76_544:
	s_endpgm
	.section	.rodata,"a",@progbits
	.p2align	6, 0x0
	.amdhsa_kernel _ZL19rocblas_trsv_deviceILi32ELi16ELb0ELb0ELb0ELb0E19rocblas_complex_numIdEPKS1_S3_PS1_EviT7_lllT6_T8_lllPii
		.amdhsa_group_segment_fixed_size 25104
		.amdhsa_private_segment_fixed_size 0
		.amdhsa_kernarg_size 352
		.amdhsa_user_sgpr_count 2
		.amdhsa_user_sgpr_dispatch_ptr 0
		.amdhsa_user_sgpr_queue_ptr 0
		.amdhsa_user_sgpr_kernarg_segment_ptr 1
		.amdhsa_user_sgpr_dispatch_id 0
		.amdhsa_user_sgpr_kernarg_preload_length 0
		.amdhsa_user_sgpr_kernarg_preload_offset 0
		.amdhsa_user_sgpr_private_segment_size 0
		.amdhsa_wavefront_size32 1
		.amdhsa_uses_dynamic_stack 0
		.amdhsa_enable_private_segment 0
		.amdhsa_system_sgpr_workgroup_id_x 1
		.amdhsa_system_sgpr_workgroup_id_y 0
		.amdhsa_system_sgpr_workgroup_id_z 1
		.amdhsa_system_sgpr_workgroup_info 0
		.amdhsa_system_vgpr_workitem_id 1
		.amdhsa_next_free_vgpr 75
		.amdhsa_next_free_sgpr 104
		.amdhsa_named_barrier_count 0
		.amdhsa_reserve_vcc 1
		.amdhsa_float_round_mode_32 0
		.amdhsa_float_round_mode_16_64 0
		.amdhsa_float_denorm_mode_32 3
		.amdhsa_float_denorm_mode_16_64 3
		.amdhsa_fp16_overflow 0
		.amdhsa_memory_ordered 1
		.amdhsa_forward_progress 1
		.amdhsa_inst_pref_size 212
		.amdhsa_round_robin_scheduling 0
		.amdhsa_exception_fp_ieee_invalid_op 0
		.amdhsa_exception_fp_denorm_src 0
		.amdhsa_exception_fp_ieee_div_zero 0
		.amdhsa_exception_fp_ieee_overflow 0
		.amdhsa_exception_fp_ieee_underflow 0
		.amdhsa_exception_fp_ieee_inexact 0
		.amdhsa_exception_int_div_zero 0
	.end_amdhsa_kernel
	.section	.text._ZL19rocblas_trsv_deviceILi32ELi16ELb0ELb0ELb0ELb0E19rocblas_complex_numIdEPKS1_S3_PS1_EviT7_lllT6_T8_lllPii,"axG",@progbits,_ZL19rocblas_trsv_deviceILi32ELi16ELb0ELb0ELb0ELb0E19rocblas_complex_numIdEPKS1_S3_PS1_EviT7_lllT6_T8_lllPii,comdat
.Lfunc_end76:
	.size	_ZL19rocblas_trsv_deviceILi32ELi16ELb0ELb0ELb0ELb0E19rocblas_complex_numIdEPKS1_S3_PS1_EviT7_lllT6_T8_lllPii, .Lfunc_end76-_ZL19rocblas_trsv_deviceILi32ELi16ELb0ELb0ELb0ELb0E19rocblas_complex_numIdEPKS1_S3_PS1_EviT7_lllT6_T8_lllPii
                                        ; -- End function
	.set _ZL19rocblas_trsv_deviceILi32ELi16ELb0ELb0ELb0ELb0E19rocblas_complex_numIdEPKS1_S3_PS1_EviT7_lllT6_T8_lllPii.num_vgpr, 75
	.set _ZL19rocblas_trsv_deviceILi32ELi16ELb0ELb0ELb0ELb0E19rocblas_complex_numIdEPKS1_S3_PS1_EviT7_lllT6_T8_lllPii.num_agpr, 0
	.set _ZL19rocblas_trsv_deviceILi32ELi16ELb0ELb0ELb0ELb0E19rocblas_complex_numIdEPKS1_S3_PS1_EviT7_lllT6_T8_lllPii.numbered_sgpr, 104
	.set _ZL19rocblas_trsv_deviceILi32ELi16ELb0ELb0ELb0ELb0E19rocblas_complex_numIdEPKS1_S3_PS1_EviT7_lllT6_T8_lllPii.num_named_barrier, 0
	.set _ZL19rocblas_trsv_deviceILi32ELi16ELb0ELb0ELb0ELb0E19rocblas_complex_numIdEPKS1_S3_PS1_EviT7_lllT6_T8_lllPii.private_seg_size, 0
	.set _ZL19rocblas_trsv_deviceILi32ELi16ELb0ELb0ELb0ELb0E19rocblas_complex_numIdEPKS1_S3_PS1_EviT7_lllT6_T8_lllPii.uses_vcc, 1
	.set _ZL19rocblas_trsv_deviceILi32ELi16ELb0ELb0ELb0ELb0E19rocblas_complex_numIdEPKS1_S3_PS1_EviT7_lllT6_T8_lllPii.uses_flat_scratch, 0
	.set _ZL19rocblas_trsv_deviceILi32ELi16ELb0ELb0ELb0ELb0E19rocblas_complex_numIdEPKS1_S3_PS1_EviT7_lllT6_T8_lllPii.has_dyn_sized_stack, 0
	.set _ZL19rocblas_trsv_deviceILi32ELi16ELb0ELb0ELb0ELb0E19rocblas_complex_numIdEPKS1_S3_PS1_EviT7_lllT6_T8_lllPii.has_recursion, 0
	.set _ZL19rocblas_trsv_deviceILi32ELi16ELb0ELb0ELb0ELb0E19rocblas_complex_numIdEPKS1_S3_PS1_EviT7_lllT6_T8_lllPii.has_indirect_call, 0
	.section	.AMDGPU.csdata,"",@progbits
; Kernel info:
; codeLenInByte = 27052
; TotalNumSgprs: 106
; NumVgprs: 75
; ScratchSize: 0
; MemoryBound: 1
; FloatMode: 240
; IeeeMode: 1
; LDSByteSize: 25104 bytes/workgroup (compile time only)
; SGPRBlocks: 0
; VGPRBlocks: 4
; NumSGPRsForWavesPerEU: 106
; NumVGPRsForWavesPerEU: 75
; NamedBarCnt: 0
; Occupancy: 12
; WaveLimiterHint : 0
; COMPUTE_PGM_RSRC2:SCRATCH_EN: 0
; COMPUTE_PGM_RSRC2:USER_SGPR: 2
; COMPUTE_PGM_RSRC2:TRAP_HANDLER: 0
; COMPUTE_PGM_RSRC2:TGID_X_EN: 1
; COMPUTE_PGM_RSRC2:TGID_Y_EN: 0
; COMPUTE_PGM_RSRC2:TGID_Z_EN: 1
; COMPUTE_PGM_RSRC2:TIDIG_COMP_CNT: 1
	.section	.text._ZL19rocblas_trsv_deviceILi32ELi16ELb0ELb1ELb0ELb0E19rocblas_complex_numIdEPKS1_S3_PS1_EviT7_lllT6_T8_lllPii,"axG",@progbits,_ZL19rocblas_trsv_deviceILi32ELi16ELb0ELb1ELb0ELb0E19rocblas_complex_numIdEPKS1_S3_PS1_EviT7_lllT6_T8_lllPii,comdat
	.globl	_ZL19rocblas_trsv_deviceILi32ELi16ELb0ELb1ELb0ELb0E19rocblas_complex_numIdEPKS1_S3_PS1_EviT7_lllT6_T8_lllPii ; -- Begin function _ZL19rocblas_trsv_deviceILi32ELi16ELb0ELb1ELb0ELb0E19rocblas_complex_numIdEPKS1_S3_PS1_EviT7_lllT6_T8_lllPii
	.p2align	8
	.type	_ZL19rocblas_trsv_deviceILi32ELi16ELb0ELb1ELb0ELb0E19rocblas_complex_numIdEPKS1_S3_PS1_EviT7_lllT6_T8_lllPii,@function
_ZL19rocblas_trsv_deviceILi32ELi16ELb0ELb1ELb0ELb0E19rocblas_complex_numIdEPKS1_S3_PS1_EviT7_lllT6_T8_lllPii: ; @_ZL19rocblas_trsv_deviceILi32ELi16ELb0ELb1ELb0ELb0E19rocblas_complex_numIdEPKS1_S3_PS1_EviT7_lllT6_T8_lllPii
; %bb.0:
	s_load_b32 s58, s[0:1], 0x58
	s_bfe_u32 s2, ttmp6, 0x40014
	s_lshr_b32 s3, ttmp7, 16
	s_add_co_i32 s2, s2, 1
	s_bfe_u32 s5, ttmp6, 0x40008
	s_mul_i32 s4, s3, s2
	s_getreg_b32 s2, hwreg(HW_REG_IB_STS2, 6, 4)
	s_add_co_i32 s5, s5, s4
	s_cmp_eq_u32 s2, 0
	s_mov_b32 s57, 0
	s_cselect_b32 s56, s3, s5
	s_wait_kmcnt 0x0
	s_cmp_ge_u32 s56, s58
	s_cbranch_scc1 .LBB77_574
; %bb.1:
	s_clause 0x2
	s_load_b512 s[36:51], s[0:1], 0x8
	s_load_b32 s3, s[0:1], 0x6c
	s_load_b32 s59, s[0:1], 0x0
	s_bfe_u32 s5, ttmp6, 0x4000c
	s_and_b32 s4, ttmp6, 15
	s_add_co_i32 s5, s5, 1
	s_load_b128 s[52:55], s[0:1], 0x48
	s_wait_xcnt 0x0
	s_mul_i32 s0, ttmp9, s5
	v_and_b32_e32 v24, 0x3ff, v0
	s_add_co_i32 s8, s4, s0
	v_bfe_u32 v44, v0, 10, 10
	v_mov_b32_e32 v1, 0
                                        ; implicit-def: $vgpr203 : SGPR spill to VGPR lane
	v_and_b32_e32 v13, 1, v0
	v_lshlrev_b32_e32 v6, 5, v24
	v_lshrrev_b32_e32 v12, 10, v0
	v_lshl_add_u32 v10, v44, 5, v24
	v_dual_mov_b32 v27, v1 :: v_dual_mov_b32 v25, v1
	s_delay_alu instid0(VALU_DEP_4)
	v_add_nc_u32_e32 v9, v44, v6
	v_mul_u32_u24_e32 v131, 0x210, v24
	s_wait_kmcnt 0x0
	s_lshl_b64 s[0:1], s[38:39], 4
	s_lshl_b64 s[4:5], s[48:49], 4
	s_cmp_eq_u32 s2, 0
	s_add_nc_u64 s[36:37], s[36:37], s[0:1]
	s_cselect_b32 s48, ttmp9, s8
	s_and_b32 s2, s3, 0xffff
	s_add_co_i32 s3, s59, -1
	s_ashr_i32 s8, s59, 31
	s_ashr_i32 s9, s3, 31
	s_lshr_b32 s8, s8, 27
	s_lshr_b32 s9, s9, 27
	s_add_co_i32 s8, s59, s8
	s_add_co_i32 s3, s3, s9
	s_and_not1_b32 s8, s8, 31
	s_ashr_i32 s3, s3, 5
	s_sub_co_i32 s12, s59, s8
	s_cmp_eq_u32 s3, s48
	v_mad_u32_u24 v26, v44, s2, v24
	s_cselect_b32 s0, -1, 0
	s_cmp_lg_u32 s12, 0
	v_sub_co_u32 v45, s2, s48, 1
	s_cselect_b32 s1, -1, 0
	s_lshl_b32 s10, s48, 5
	s_delay_alu instid0(SALU_CYCLE_1)
	v_dual_add_nc_u32 v8, 16, v44 :: v_dual_add_nc_u32 v7, s10, v44
	s_and_b32 s9, s1, s0
	s_xor_b32 s49, s2, -1
	s_xor_b32 s60, s9, -1
	v_add_nc_u32_e32 v2, s10, v24
	s_cmp_lt_i32 s48, 5
	v_lshl_add_u32 v11, v8, 5, v24
	s_cselect_b32 vcc_lo, -1, 0
	v_dual_cndmask_b32 v9, v10, v9 :: v_dual_add_nc_u32 v6, v8, v6
	s_add_nc_u64 s[6:7], s[40:41], 1
	s_or_b32 vcc_lo, vcc_lo, s9
	v_mad_nc_u64_u32 v[4:5], s6, s10, v[24:25]
	s_delay_alu instid0(VALU_DEP_2) | instskip(SKIP_4) | instid1(VALU_DEP_1)
	v_cndmask_b32_e32 v11, v11, v6, vcc_lo
	v_dual_lshrrev_b32 v6, 1, v10 :: v_dual_lshlrev_b32 v46, 4, v13
	s_ashr_i32 s11, s10, 31
	s_mul_i32 s1, s7, s10
	s_mul_i32 s0, s6, s11
	v_lshlrev_b32_e32 v14, 9, v6
	v_cmp_eq_u32_e64 s2, 1, v13
	v_cmp_eq_u32_e64 s3, 0, v13
	s_add_nc_u64 s[38:39], s[46:47], s[4:5]
	v_add3_u32 v5, s0, s1, v5
	v_cmp_gt_u32_e64 s0, 4, v10
	v_dual_sub_nc_u32 v47, 0, v14 :: v_dual_lshlrev_b32 v48, 4, v24
	v_dual_sub_nc_u32 v49, v46, v14 :: v_dual_bitop2_b32 v14, 3, v0 bitop3:0x40
	v_cmp_eq_u32_e64 s1, 0, v44
	v_cmp_gt_u32_e64 s4, 2, v24
	s_and_b32 s62, s2, s0
	s_and_b32 s63, s3, s0
	v_cmp_gt_u32_e64 s2, 16, v10
	v_cmp_eq_u32_e64 s3, 3, v14
	v_lshl_add_u32 v25, v6, 4, 0x4000
	s_and_b32 s64, s1, s4
	v_lshrrev_b32_e32 v6, 2, v10
	v_cmp_ne_u32_e64 s4, 3, v14
	s_and_b32 s65, s3, s2
	v_cmp_gt_u32_e64 s3, 2, v14
	v_lshlrev_b32_e32 v54, 4, v14
	v_lshlrev_b32_e32 v15, 9, v6
	v_cmp_eq_u32_e64 s5, 2, v14
	v_cmp_eq_u32_e64 s6, 1, v14
	s_and_b32 s66, s4, s2
	v_cmp_eq_u32_e64 s4, 0, v14
	s_and_b32 s68, s3, s2
	v_cmp_gt_u32_e64 s3, 4, v24
	v_and_b32_e32 v14, 7, v0
	s_and_b32 s67, s5, s2
	s_and_b32 s70, s4, s2
	v_sub_nc_u32_e32 v55, 0, v15
	s_and_b32 s71, s1, s3
	v_cmp_gt_u32_e64 s3, 64, v10
	v_cmp_eq_u32_e64 s4, 7, v14
	v_cmp_ne_u32_e64 s5, 7, v14
	v_lshl_add_u32 v53, v6, 4, 0x4000
	s_and_b32 s69, s6, s2
	v_lshlrev_b32_e32 v58, 4, v14
	s_and_b32 s72, s4, s3
	v_cmp_eq_u32_e64 s4, 5, v14
	s_and_b32 s73, s5, s3
	v_cmp_gt_u32_e64 s5, 5, v14
	v_dual_lshrrev_b32 v6, 3, v10 :: v_dual_sub_nc_u32 v56, v54, v15
	s_and_b32 s76, s4, s3
	v_cmp_eq_u32_e64 s4, 4, v14
	v_cmp_eq_u32_e64 s6, 6, v14
	s_and_b32 s77, s5, s3
	v_cmp_gt_u32_e64 s5, 3, v14
	v_bitop3_b32 v12, v0, v12, 0x3ff bitop3:0xa8
	s_and_b32 s78, s4, s3
	v_cmp_eq_u32_e64 s4, 2, v14
	v_dual_lshlrev_b32 v15, 9, v6 :: v_dual_bitop2_b32 v0, 15, v0 bitop3:0x40
	s_and_b32 s74, s6, s3
	v_cmp_gt_u32_e64 s6, 4, v14
	s_and_b32 s81, s5, s3
	v_cmp_gt_u32_e64 s5, 2, v14
	;; [unrolled: 2-line block ×3, first 2 shown]
	v_cmp_gt_u32_e64 s7, 6, v14
	s_and_b32 s79, s6, s3
	v_cmp_eq_u32_e64 s6, 1, v14
	s_and_b32 s83, s5, s3
	s_and_b32 s86, s1, s4
	v_cmp_gt_u32_e64 s4, 0x100, v10
	v_cmp_eq_u32_e64 s5, 15, v0
	s_and_b32 s75, s7, s3
	v_cmp_eq_u32_e64 s7, 3, v14
	s_and_b32 s84, s6, s3
	v_cmp_ne_u32_e64 s6, 15, v0
	s_and_b32 s5, s5, s4
	v_cmp_eq_u32_e64 s8, 13, v0
	v_writelane_b32 v203, s5, 0
	s_and_b32 s80, s7, s3
	v_cmp_eq_u32_e64 s7, 0, v14
	v_cmp_eq_u32_e64 s5, 14, v0
	s_and_b32 s6, s6, s4
	v_lshl_add_u32 v57, v6, 4, 0x4000
	v_writelane_b32 v203, s6, 1
	s_and_b32 s85, s7, s3
	v_cmp_gt_u32_e64 s7, 14, v0
	s_and_b32 s5, s5, s4
	v_cmp_gt_u32_e64 s6, 13, v0
	v_writelane_b32 v203, s5, 2
	v_dual_lshlrev_b32 v6, 5, v10 :: v_dual_bitop2_b32 v14, -16, v10 bitop3:0x40
	s_and_b32 s5, s7, s4
	s_and_b32 s6, s6, s4
	v_writelane_b32 v203, s5, 3
	s_and_b32 s5, s8, s4
	v_cmp_eq_u32_e64 s7, 11, v0
	v_cmp_gt_u32_e64 s8, 11, v0
	v_and_b32_e32 v6, 0xfffffe00, v6
	v_writelane_b32 v203, s5, 4
	v_cmp_eq_u32_e64 s5, 12, v0
	s_and_b32 s95, s7, s4
	s_and_b32 s96, s8, s4
	v_cmp_gt_u32_e64 s7, 9, v0
	v_writelane_b32 v203, s6, 5
	v_cmp_gt_u32_e64 s6, 12, v0
	s_and_b32 s5, s5, s4
	v_cmp_eq_u32_e64 s8, 8, v0
	s_and_b32 s100, s7, s4
	v_writelane_b32 v203, s5, 6
	v_cmp_eq_u32_e64 s5, 10, v0
	s_and_b32 s6, s6, s4
	s_and_b32 s101, s8, s4
	v_cmp_eq_u32_e64 s7, 6, v0
	v_writelane_b32 v203, s6, 7
	v_cmp_gt_u32_e64 s6, 10, v0
	s_and_b32 s97, s5, s4
	v_cmp_eq_u32_e64 s5, 9, v0
	v_cmp_gt_u32_e64 s8, 6, v0
	v_dual_lshlrev_b32 v70, 4, v0 :: v_dual_sub_nc_u32 v71, 0, v6
	s_and_b32 s98, s6, s4
	v_cmp_gt_u32_e64 s6, 8, v0
	s_and_b32 s99, s5, s4
	v_cmp_eq_u32_e64 s5, 7, v0
	s_and_b32 vcc_hi, s7, s4
	s_and_b32 s18, s8, s4
	s_and_b32 s102, s6, s4
	v_cmp_gt_u32_e64 s6, 7, v0
	s_and_b32 s103, s5, s4
	v_cmp_eq_u32_e64 s5, 5, v0
	v_cmp_gt_u32_e64 s7, 4, v0
	v_cmp_eq_u32_e64 s8, 3, v0
	s_and_b32 s104, s6, s4
	v_cmp_gt_u32_e64 s6, 5, v0
	s_and_b32 s19, s5, s4
	v_cmp_eq_u32_e64 s5, 4, v0
	v_subrev_nc_u32_e32 v28, 32, v7
	v_add_nc_u32_e32 v69, 0x4000, v14
	s_and_b32 s20, s6, s4
	v_cmp_gt_u32_e64 s6, 3, v0
	s_and_b32 s21, s5, s4
	v_cmp_eq_u32_e64 s5, 2, v0
	s_and_b32 s22, s7, s4
	s_and_b32 s23, s8, s4
	;; [unrolled: 1-line block ×3, first 2 shown]
	v_cmp_gt_u32_e64 s6, 2, v0
	v_cmp_eq_u32_e64 s7, 1, v0
	v_cmp_eq_u32_e64 s8, 0, v0
	v_dual_sub_nc_u32 v72, v70, v6 :: v_dual_add_nc_u32 v14, -16, v7
	v_add_nc_u32_e32 v0, s10, v26
	v_add_nc_u64_e32 v[6:7], s[10:11], v[26:27]
	v_cmp_le_i32_e64 s10, s12, v24
	s_and_b32 s25, s5, s4
	v_cmp_gt_u32_e64 s5, 16, v24
	s_xor_b32 s61, vcc_lo, -1
	v_cmp_gt_i32_e32 vcc_lo, s12, v24
	s_and_b32 s31, s10, s9
	s_and_b32 s26, s6, s4
	;; [unrolled: 1-line block ×3, first 2 shown]
	s_xor_b32 s5, s31, -1
	s_and_b32 s27, s7, s4
	s_and_b32 s28, s8, s4
	;; [unrolled: 1-line block ×3, first 2 shown]
	s_cmp_gt_i32 s48, 0
	v_cmp_gt_i32_e64 s6, s59, v14
	s_cselect_b32 s9, -1, 0
	s_and_b32 s5, s1, vcc_lo
	v_cmp_gt_i32_e32 vcc_lo, s59, v28
	v_writelane_b32 v203, s5, 8
	v_cmp_gt_i32_e64 s5, s59, v2
	v_cmp_le_i32_e64 s7, s12, v8
	v_cmp_gt_u32_e64 s29, 0xf0, v10
	v_mad_u32_u24 v13, 0x1f0, v24, v48
	v_dual_ashrrev_i32 v3, 31, v2 :: v_dual_ashrrev_i32 v29, 31, v28
	s_and_b32 s87, vcc_lo, s5
	v_cmp_le_i32_e32 vcc_lo, s12, v44
	s_and_b32 s88, s6, s5
	v_cmp_ge_u32_e64 s6, v24, v44
	s_or_b32 s12, s7, s10
	v_cmp_ge_u32_e64 s7, v24, v8
	s_or_b32 s11, vcc_lo, s10
	v_mad_i32_i24 v52, 0xfffffe10, v24, v13
	s_or_b32 s89, s11, s6
	v_cmp_ne_u32_e64 s11, v24, v44
	s_or_b32 s90, s12, s7
	v_cmp_ne_u32_e64 s12, v24, v8
	v_dual_sub_nc_u32 v59, 0, v15 :: v_dual_sub_nc_u32 v60, v58, v15
	v_writelane_b32 v203, s11, 9
	s_or_b32 s11, s10, s11
	s_or_b32 s10, s10, s12
	v_mad_u32_u24 v15, 0x1f0, v24, v52
	v_mul_u64_e32 v[34:35], s[50:51], v[6:7]
	v_writelane_b32 v203, s11, 10
	v_mul_u64_e32 v[36:37], s[40:41], v[2:3]
	v_mul_u64_e32 v[38:39], s[50:51], v[2:3]
	v_add_nc_u32_e32 v98, 0x3980, v15
	v_add_nc_u32_e32 v99, 0x39b0, v15
	v_writelane_b32 v203, s12, 11
	v_add_nc_u32_e32 v100, 0x39a0, v15
	v_add_nc_u32_e32 v101, 0x3990, v15
	v_mad_i32_i24 v102, 0xfffffe10, v24, v15
	v_add_nc_u32_e32 v103, 0x2d40, v15
	v_writelane_b32 v203, s10, 12
	v_add_nc_u32_e32 v104, 0x2d50, v15
	v_add_nc_u32_e32 v105, 0x1880, v15
	;; [unrolled: 1-line block ×4, first 2 shown]
	v_writelane_b32 v203, s29, 13
	v_cmp_gt_u32_e64 s29, 0xe0, v10
	v_add_nc_u32_e32 v108, 0x1890, v15
	v_add_nc_u32_e32 v109, 0xc40, v15
	;; [unrolled: 1-line block ×3, first 2 shown]
	v_lshlrev_b32_e32 v15, 4, v44
	v_writelane_b32 v203, s29, 14
	v_cmp_gt_u32_e64 s29, 0xd0, v10
	v_mul_u64_e32 v[40:41], s[50:51], v[0:1]
	v_add_nc_u32_e32 v50, 0x3dc0, v13
	v_add_nc_u32_e32 v51, 0x3dd0, v13
	v_add_nc_u32_e32 v61, 0x3100, v13
	v_writelane_b32 v203, s29, 15
	v_cmp_gt_u32_e64 s29, 0xc0, v10
	v_add_nc_u32_e32 v62, 0x3110, v13
	v_add_nc_u32_e32 v63, 0x3120, v13
	v_add_nc_u32_e32 v64, 0x3130, v13
	v_add_nc_u32_e32 v65, 0x3140, v13
	v_writelane_b32 v203, s29, 16
	v_cmp_gt_u32_e64 s29, 0xb0, v10
	v_add_nc_u32_e32 v66, 0x3150, v13
	;; [unrolled: 6-line block ×6, first 2 shown]
	v_add_nc_u32_e32 v86, 0x20e0, v13
	v_add_nc_u32_e32 v87, 0x20f0, v13
	;; [unrolled: 1-line block ×12, first 2 shown]
	v_mad_u32_u24 v13, 0x1f0, v24, v102
	v_writelane_b32 v203, s29, 21
	v_cmp_gt_u32_e64 s29, 0x60, v10
	v_mad_nc_u64_u32 v[30:31], s40, v44, v[4:5]
	v_mad_nc_u64_u32 v[32:33], s40, v8, v[4:5]
	v_mad_i32_i24 v113, 0xfffffe10, v24, v13
	v_add_nc_u32_e32 v111, 0x3580, v13
	v_writelane_b32 v203, s29, 22
	v_cmp_gt_u32_e64 s29, 0x50, v10
	v_add_nc_u32_e32 v112, 0x3590, v13
	v_add_nc_u32_e32 v114, 0x2900, v13
	;; [unrolled: 1-line block ×11, first 2 shown]
	v_mad_u32_u24 v13, 0x1f0, v24, v113
	v_dual_add_nc_u32 v193, 64, v102 :: v_dual_bitop2_b32 v6, v8, v24 bitop3:0x54
	v_writelane_b32 v203, s29, 23
	v_cmp_gt_u32_e64 s33, 32, v12
	v_mad_u32 v31, s41, v44, v31
	v_mad_u32 v33, s41, v8, v33
	v_add_nc_u32_e32 v124, 0x2500, v13
	v_add_nc_u32_e32 v125, 0x2510, v13
	v_mad_i32_i24 v16, 0xfffffe10, v24, v13
	v_add_nc_u32_e32 v126, 0x400, v13
	v_add_nc_u32_e32 v127, 0x410, v13
	v_dual_add_nc_u32 v128, v13, v15 :: v_dual_lshlrev_b32 v13, 9, v24
	v_add_nc_u32_e32 v129, 0x6000, v15
	v_writelane_b32 v203, s33, 24
	v_cmp_gt_u32_e64 s33, 32, v6
	v_add_nc_u32_e32 v130, 0x2120, v16
	v_add_nc_u32_e32 v132, 0x2320, v16
	v_dual_add_nc_u32 v133, 32, v16 :: v_dual_sub_nc_u32 v136, v131, v13
	v_add_nc_u32_e32 v134, 0x220, v16
	v_lshl_add_u32 v135, v44, 9, v16
	v_add_nc_u32_e32 v137, 0x39e0, v52
	v_add_nc_u32_e32 v138, 0x3be0, v52
	;; [unrolled: 1-line block ×59, first 2 shown]
	v_lshl_add_u32 v197, v26, 4, 0x6000
	v_dual_lshlrev_b32 v198, 4, v9 :: v_dual_lshlrev_b32 v199, 4, v11
	v_lshl_add_u32 v200, v10, 4, 0x4000
	v_add_nc_u32_e32 v201, 0x4000, v48
	v_add_nc_u32_e32 v202, v129, v48
	v_cmp_gt_u32_e64 s10, 2, v10
	v_cmp_gt_u32_e64 s11, 12, v10
	;; [unrolled: 1-line block ×8, first 2 shown]
	v_cmp_eq_u32_e64 s29, 0, v12
	v_writelane_b32 v203, s33, 25
	v_cmp_eq_u32_e64 s33, 0, v26
	v_cmp_gt_u32_e64 s34, 32, v26
                                        ; implicit-def: $vgpr4_vgpr5
                                        ; implicit-def: $vgpr8_vgpr9
	s_branch .LBB77_3
.LBB77_2:                               ;   in Loop: Header=BB77_3 Depth=1
	s_wait_xcnt 0x0
	s_or_b32 exec_lo, exec_lo, s35
	s_add_co_i32 s56, s56, 0x10000
	global_wb scope:SCOPE_DEV
	s_wait_storecnt 0x0
	global_inv scope:SCOPE_DEV
	s_cmp_lt_u32 s56, s58
	s_cbranch_scc0 .LBB77_574
.LBB77_3:                               ; =>This Loop Header: Depth=1
                                        ;     Child Loop BB77_453 Depth 2
                                        ;       Child Loop BB77_455 Depth 3
                                        ;     Child Loop BB77_486 Depth 2
	global_load_b128 v[12:15], v1, s[44:45]
	s_mul_u64 s[40:41], s[42:43], s[56:57]
	s_and_not1_b32 vcc_lo, exec_lo, s49
	s_lshl_b64 s[40:41], s[40:41], 4
	s_delay_alu instid0(SALU_CYCLE_1) | instskip(NEXT) | instid1(SALU_CYCLE_1)
	s_add_nc_u64 s[40:41], s[36:37], s[40:41]
	v_lshl_add_u64 v[42:43], v[36:37], 4, s[40:41]
	s_cbranch_vccz .LBB77_6
; %bb.4:                                ;   in Loop: Header=BB77_3 Depth=1
	s_and_not1_b32 vcc_lo, exec_lo, s60
	s_mov_b32 s35, -1
	s_cbranch_vccz .LBB77_11
.LBB77_5:                               ;   in Loop: Header=BB77_3 Depth=1
	s_and_b32 vcc_lo, exec_lo, s35
	s_cbranch_vccnz .LBB77_17
	s_branch .LBB77_23
.LBB77_6:                               ;   in Loop: Header=BB77_3 Depth=1
	v_mov_b64_e32 v[10:11], 0
	v_mov_b64_e32 v[4:5], 0
	;; [unrolled: 1-line block ×3, first 2 shown]
	v_lshl_add_u64 v[2:3], v[28:29], 4, v[42:43]
	s_wait_loadcnt 0x0
	s_barrier_signal -1
	s_barrier_wait -1
	s_wait_xcnt 0x0
	s_and_saveexec_b32 s35, s87
	s_cbranch_execz .LBB77_8
; %bb.7:                                ;   in Loop: Header=BB77_3 Depth=1
	global_load_b128 v[4:7], v[2:3], off
.LBB77_8:                               ;   in Loop: Header=BB77_3 Depth=1
	s_wait_xcnt 0x0
	s_or_b32 exec_lo, exec_lo, s35
	v_mov_b64_e32 v[8:9], 0
	s_wait_loadcnt 0x0
	s_barrier_signal -1
	s_barrier_wait -1
	s_and_saveexec_b32 s35, s88
	s_cbranch_execz .LBB77_10
; %bb.9:                                ;   in Loop: Header=BB77_3 Depth=1
	global_load_b128 v[8:11], v[2:3], off offset:256
.LBB77_10:                              ;   in Loop: Header=BB77_3 Depth=1
	s_wait_xcnt 0x0
	s_or_b32 exec_lo, exec_lo, s35
	s_delay_alu instid0(SALU_CYCLE_1)
	s_and_not1_b32 vcc_lo, exec_lo, s60
	s_mov_b32 s35, -1
	s_cbranch_vccnz .LBB77_5
.LBB77_11:                              ;   in Loop: Header=BB77_3 Depth=1
	s_wait_xcnt 0x0
	s_and_saveexec_b32 s35, s6
	s_delay_alu instid0(SALU_CYCLE_1)
	s_xor_b32 s35, exec_lo, s35
	s_cbranch_execnz .LBB77_499
; %bb.12:                               ;   in Loop: Header=BB77_3 Depth=1
	s_and_not1_saveexec_b32 s35, s35
	s_cbranch_execnz .LBB77_510
.LBB77_13:                              ;   in Loop: Header=BB77_3 Depth=1
	s_or_b32 exec_lo, exec_lo, s35
	s_and_saveexec_b32 s35, s7
	s_delay_alu instid0(SALU_CYCLE_1)
	s_xor_b32 s35, exec_lo, s35
	s_cbranch_execnz .LBB77_511
.LBB77_14:                              ;   in Loop: Header=BB77_3 Depth=1
	s_and_not1_saveexec_b32 s35, s35
	s_cbranch_execz .LBB77_16
.LBB77_15:                              ;   in Loop: Header=BB77_3 Depth=1
	v_lshl_add_u64 v[2:3], v[32:33], 4, s[40:41]
	global_load_b128 v[16:19], v[2:3], off
	s_wait_loadcnt 0x0
	v_xor_b32_e32 v17, 0x80000000, v17
	v_xor_b32_e32 v19, 0x80000000, v19
	ds_store_b128 v199, v[16:19]
.LBB77_16:                              ;   in Loop: Header=BB77_3 Depth=1
	s_or_b32 exec_lo, exec_lo, s35
	s_branch .LBB77_23
.LBB77_17:                              ;   in Loop: Header=BB77_3 Depth=1
	s_wait_xcnt 0x0
	s_and_saveexec_b32 s35, s89
	s_delay_alu instid0(SALU_CYCLE_1)
	s_xor_b32 s35, exec_lo, s35
	s_cbranch_execnz .LBB77_522
; %bb.18:                               ;   in Loop: Header=BB77_3 Depth=1
	s_and_not1_saveexec_b32 s35, s35
	s_cbranch_execnz .LBB77_533
.LBB77_19:                              ;   in Loop: Header=BB77_3 Depth=1
	s_or_b32 exec_lo, exec_lo, s35
	s_and_saveexec_b32 s35, s90
	s_delay_alu instid0(SALU_CYCLE_1)
	s_xor_b32 s35, exec_lo, s35
	s_cbranch_execnz .LBB77_534
.LBB77_20:                              ;   in Loop: Header=BB77_3 Depth=1
	s_and_not1_saveexec_b32 s35, s35
	s_cbranch_execz .LBB77_22
.LBB77_21:                              ;   in Loop: Header=BB77_3 Depth=1
	v_lshl_add_u64 v[2:3], v[32:33], 4, s[40:41]
	global_load_b128 v[16:19], v[2:3], off
	s_wait_loadcnt 0x0
	v_xor_b32_e32 v17, 0x80000000, v17
	v_xor_b32_e32 v19, 0x80000000, v19
	ds_store_b128 v199, v[16:19]
.LBB77_22:                              ;   in Loop: Header=BB77_3 Depth=1
	s_or_b32 exec_lo, exec_lo, s35
.LBB77_23:                              ;   in Loop: Header=BB77_3 Depth=1
	s_delay_alu instid0(SALU_CYCLE_1)
	s_and_not1_b32 vcc_lo, exec_lo, s61
	s_wait_loadcnt_dscnt 0x0
	s_barrier_signal -1
	s_barrier_wait -1
	s_cbranch_vccnz .LBB77_447
; %bb.24:                               ;   in Loop: Header=BB77_3 Depth=1
	s_and_saveexec_b32 s35, s29
	s_cbranch_execz .LBB77_26
; %bb.25:                               ;   in Loop: Header=BB77_3 Depth=1
	ds_load_b128 v[16:19], v1 offset:16368
	ds_load_b128 v[20:23], v1 offset:15840
	s_wait_dscnt 0x0
	v_mul_f64_e32 v[2:3], v[18:19], v[22:23]
	v_mul_f64_e32 v[204:205], v[16:17], v[22:23]
	s_delay_alu instid0(VALU_DEP_2) | instskip(NEXT) | instid1(VALU_DEP_2)
	v_fma_f64 v[2:3], v[16:17], v[20:21], -v[2:3]
	v_fmac_f64_e32 v[204:205], v[18:19], v[20:21]
	ds_load_b128 v[16:19], v1 offset:16352
	s_wait_dscnt 0x0
	v_mul_f64_e32 v[22:23], v[2:3], v[18:19]
	v_mul_f64_e32 v[20:21], v[204:205], v[18:19]
	s_delay_alu instid0(VALU_DEP_2) | instskip(NEXT) | instid1(VALU_DEP_2)
	v_fmac_f64_e32 v[22:23], v[16:17], v[204:205]
	v_fma_f64 v[20:21], v[16:17], v[2:3], -v[20:21]
	ds_store_b128 v1, v[20:23] offset:16352
	ds_store_b128 v1, v[20:23] offset:15856
.LBB77_26:                              ;   in Loop: Header=BB77_3 Depth=1
	s_or_b32 exec_lo, exec_lo, s35
	v_mov_b64_e32 v[16:17], 0
	v_mov_b64_e32 v[18:19], 0
	s_wait_dscnt 0x0
	s_barrier_signal -1
	s_barrier_wait -1
	global_wb scope:SCOPE_DEV
	s_wait_storecnt 0x0
	global_inv scope:SCOPE_DEV
	s_and_saveexec_b32 s35, s0
	s_cbranch_execz .LBB77_30
; %bb.27:                               ;   in Loop: Header=BB77_3 Depth=1
	ds_load_b128 v[16:19], v47 offset:16352
	ds_load_b128 v[20:23], v46 offset:15808
	s_wait_dscnt 0x0
	v_mul_f64_e32 v[2:3], v[18:19], v[22:23]
	v_mul_f64_e32 v[22:23], v[16:17], v[22:23]
	s_delay_alu instid0(VALU_DEP_2) | instskip(NEXT) | instid1(VALU_DEP_2)
	v_fma_f64 v[2:3], v[16:17], v[20:21], -v[2:3]
	v_fmac_f64_e32 v[22:23], v[18:19], v[20:21]
	s_delay_alu instid0(VALU_DEP_2) | instskip(NEXT) | instid1(VALU_DEP_2)
	v_add_f64_e32 v[16:17], 0, v[2:3]
	v_add_f64_e32 v[18:19], 0, v[22:23]
	s_and_saveexec_b32 s40, s10
	s_cbranch_execz .LBB77_29
; %bb.28:                               ;   in Loop: Header=BB77_3 Depth=1
	ds_load_b128 v[20:23], v1 offset:16368
	ds_load_b128 v[204:207], v48 offset:16320
	s_wait_dscnt 0x0
	v_mul_f64_e32 v[2:3], v[22:23], v[206:207]
	s_delay_alu instid0(VALU_DEP_1) | instskip(SKIP_1) | instid1(VALU_DEP_2)
	v_fma_f64 v[2:3], v[20:21], v[204:205], -v[2:3]
	v_mul_f64_e32 v[20:21], v[20:21], v[206:207]
	v_add_f64_e32 v[16:17], v[16:17], v[2:3]
	s_delay_alu instid0(VALU_DEP_2) | instskip(NEXT) | instid1(VALU_DEP_1)
	v_fmac_f64_e32 v[20:21], v[22:23], v[204:205]
	v_add_f64_e32 v[18:19], v[18:19], v[20:21]
.LBB77_29:                              ;   in Loop: Header=BB77_3 Depth=1
	s_or_b32 exec_lo, exec_lo, s40
.LBB77_30:                              ;   in Loop: Header=BB77_3 Depth=1
	s_delay_alu instid0(SALU_CYCLE_1)
	s_or_b32 exec_lo, exec_lo, s35
	s_and_saveexec_b32 s35, s62
	s_cbranch_execz .LBB77_32
; %bb.31:                               ;   in Loop: Header=BB77_3 Depth=1
	ds_load_b128 v[20:23], v1 offset:15312
	s_wait_dscnt 0x0
	v_mul_f64_e32 v[2:3], v[18:19], v[22:23]
	v_mul_f64_e32 v[22:23], v[16:17], v[22:23]
	s_delay_alu instid0(VALU_DEP_1) | instskip(NEXT) | instid1(VALU_DEP_1)
	v_fmac_f64_e32 v[22:23], v[18:19], v[20:21]
	v_dual_fma_f64 v[2:3], v[16:17], v[20:21], -v[2:3] :: v_dual_mov_b32 v18, v22
	s_delay_alu instid0(VALU_DEP_1) | instskip(NEXT) | instid1(VALU_DEP_3)
	v_xor_b32_e32 v17, 0x80000000, v3
	v_xor_b32_e32 v19, 0x80000000, v23
	s_delay_alu instid0(VALU_DEP_3)
	v_mov_b32_e32 v16, v2
	ds_store_b128 v25, v[16:19]
	v_mov_b64_e32 v[16:17], v[2:3]
	v_mov_b64_e32 v[18:19], v[22:23]
.LBB77_32:                              ;   in Loop: Header=BB77_3 Depth=1
	s_or_b32 exec_lo, exec_lo, s35
	s_wait_loadcnt_dscnt 0x0
	s_barrier_signal -1
	s_barrier_wait -1
	s_and_saveexec_b32 s35, s63
	s_cbranch_execz .LBB77_34
; %bb.33:                               ;   in Loop: Header=BB77_3 Depth=1
	ds_load_b128 v[20:23], v25
	ds_load_b128 v[204:207], v1 offset:15296
	s_wait_dscnt 0x0
	v_mul_f64_e32 v[2:3], v[22:23], v[206:207]
	s_delay_alu instid0(VALU_DEP_1) | instskip(SKIP_1) | instid1(VALU_DEP_2)
	v_fma_f64 v[2:3], v[20:21], v[204:205], -v[2:3]
	v_mul_f64_e32 v[20:21], v[20:21], v[206:207]
	v_add_f64_e64 v[16:17], v[16:17], -v[2:3]
	s_delay_alu instid0(VALU_DEP_2) | instskip(NEXT) | instid1(VALU_DEP_1)
	v_fmac_f64_e32 v[20:21], v[22:23], v[204:205]
	v_add_f64_e64 v[18:19], v[18:19], -v[20:21]
.LBB77_34:                              ;   in Loop: Header=BB77_3 Depth=1
	s_or_b32 exec_lo, exec_lo, s35
	s_barrier_signal -1
	s_barrier_wait -1
	s_and_saveexec_b32 s35, s63
	s_cbranch_execz .LBB77_36
; %bb.35:                               ;   in Loop: Header=BB77_3 Depth=1
	ds_load_b128 v[20:23], v1 offset:14784
	s_wait_dscnt 0x0
	v_mul_f64_e32 v[2:3], v[18:19], v[22:23]
	v_mul_f64_e32 v[22:23], v[16:17], v[22:23]
	s_delay_alu instid0(VALU_DEP_1) | instskip(NEXT) | instid1(VALU_DEP_1)
	v_fmac_f64_e32 v[22:23], v[18:19], v[20:21]
	v_dual_fma_f64 v[2:3], v[16:17], v[20:21], -v[2:3] :: v_dual_mov_b32 v18, v22
	s_delay_alu instid0(VALU_DEP_1) | instskip(NEXT) | instid1(VALU_DEP_3)
	v_xor_b32_e32 v17, 0x80000000, v3
	v_xor_b32_e32 v19, 0x80000000, v23
	s_delay_alu instid0(VALU_DEP_3)
	v_mov_b32_e32 v16, v2
	ds_store_b128 v25, v[16:19]
	v_mov_b64_e32 v[16:17], v[2:3]
	v_mov_b64_e32 v[18:19], v[22:23]
.LBB77_36:                              ;   in Loop: Header=BB77_3 Depth=1
	s_or_b32 exec_lo, exec_lo, s35
	s_wait_dscnt 0x0
	s_barrier_signal -1
	s_barrier_wait -1
	s_barrier_signal -1
	s_barrier_wait -1
	s_and_saveexec_b32 s35, s0
; %bb.37:                               ;   in Loop: Header=BB77_3 Depth=1
	ds_store_b128 v49, v[16:19] offset:16320
; %bb.38:                               ;   in Loop: Header=BB77_3 Depth=1
	s_or_b32 exec_lo, exec_lo, s35
	s_wait_dscnt 0x0
	s_barrier_signal -1
	s_barrier_wait -1
	s_barrier_signal -1
	s_barrier_wait -1
	s_and_saveexec_b32 s35, s64
	s_cbranch_execz .LBB77_40
; %bb.39:                               ;   in Loop: Header=BB77_3 Depth=1
	ds_load_b128 v[16:19], v50
	s_wait_dscnt 0x0
	ds_store_b128 v137, v[16:19]
	ds_load_b128 v[16:19], v51
	s_wait_dscnt 0x0
	ds_store_b128 v138, v[16:19]
.LBB77_40:                              ;   in Loop: Header=BB77_3 Depth=1
	s_or_b32 exec_lo, exec_lo, s35
	s_wait_dscnt 0x0
	s_barrier_signal -1
	s_barrier_wait -1
	s_and_saveexec_b32 s35, s29
	s_cbranch_execz .LBB77_42
; %bb.41:                               ;   in Loop: Header=BB77_3 Depth=1
	ds_load_b128 v[16:19], v1 offset:15312
	ds_load_b128 v[20:23], v1 offset:14784
	s_wait_dscnt 0x0
	v_mul_f64_e32 v[2:3], v[18:19], v[22:23]
	v_mul_f64_e32 v[204:205], v[16:17], v[22:23]
	s_delay_alu instid0(VALU_DEP_2) | instskip(NEXT) | instid1(VALU_DEP_2)
	v_fma_f64 v[2:3], v[16:17], v[20:21], -v[2:3]
	v_fmac_f64_e32 v[204:205], v[18:19], v[20:21]
	ds_load_b128 v[16:19], v1 offset:15296
	s_wait_dscnt 0x0
	v_mul_f64_e32 v[22:23], v[2:3], v[18:19]
	v_mul_f64_e32 v[20:21], v[204:205], v[18:19]
	s_delay_alu instid0(VALU_DEP_2) | instskip(NEXT) | instid1(VALU_DEP_2)
	v_fmac_f64_e32 v[22:23], v[16:17], v[204:205]
	v_fma_f64 v[20:21], v[16:17], v[2:3], -v[20:21]
	ds_store_b128 v1, v[20:23] offset:15296
	ds_store_b128 v1, v[20:23] offset:14800
.LBB77_42:                              ;   in Loop: Header=BB77_3 Depth=1
	s_or_b32 exec_lo, exec_lo, s35
	v_mov_b64_e32 v[18:19], 0
	v_mov_b64_e32 v[16:17], 0
	s_wait_dscnt 0x0
	s_barrier_signal -1
	s_barrier_wait -1
	global_wb scope:SCOPE_DEV
	s_wait_storecnt 0x0
	global_inv scope:SCOPE_DEV
	s_and_saveexec_b32 s35, s2
	s_cbranch_execz .LBB77_48
; %bb.43:                               ;   in Loop: Header=BB77_3 Depth=1
	ds_load_b128 v[16:19], v55 offset:16320
	ds_load_b128 v[20:23], v54 offset:14720
	s_wait_dscnt 0x0
	v_mul_f64_e32 v[2:3], v[18:19], v[22:23]
	v_mul_f64_e32 v[22:23], v[16:17], v[22:23]
	s_delay_alu instid0(VALU_DEP_2) | instskip(NEXT) | instid1(VALU_DEP_2)
	v_fma_f64 v[2:3], v[16:17], v[20:21], -v[2:3]
	v_fmac_f64_e32 v[22:23], v[18:19], v[20:21]
	s_delay_alu instid0(VALU_DEP_2) | instskip(NEXT) | instid1(VALU_DEP_2)
	v_add_f64_e32 v[16:17], 0, v[2:3]
	v_add_f64_e32 v[18:19], 0, v[22:23]
	s_and_saveexec_b32 s40, s11
	s_cbranch_execnz .LBB77_550
; %bb.44:                               ;   in Loop: Header=BB77_3 Depth=1
	s_or_b32 exec_lo, exec_lo, s40
	s_and_saveexec_b32 s40, s12
	s_cbranch_execnz .LBB77_551
.LBB77_45:                              ;   in Loop: Header=BB77_3 Depth=1
	s_or_b32 exec_lo, exec_lo, s40
	s_and_saveexec_b32 s40, s0
	s_cbranch_execz .LBB77_47
.LBB77_46:                              ;   in Loop: Header=BB77_3 Depth=1
	ds_load_b128 v[20:23], v1 offset:16368
	ds_load_b128 v[204:207], v52 offset:16256
	s_wait_dscnt 0x0
	v_mul_f64_e32 v[2:3], v[22:23], v[206:207]
	s_delay_alu instid0(VALU_DEP_1) | instskip(SKIP_1) | instid1(VALU_DEP_2)
	v_fma_f64 v[2:3], v[20:21], v[204:205], -v[2:3]
	v_mul_f64_e32 v[20:21], v[20:21], v[206:207]
	v_add_f64_e32 v[16:17], v[16:17], v[2:3]
	s_delay_alu instid0(VALU_DEP_2) | instskip(NEXT) | instid1(VALU_DEP_1)
	v_fmac_f64_e32 v[20:21], v[22:23], v[204:205]
	v_add_f64_e32 v[18:19], v[18:19], v[20:21]
.LBB77_47:                              ;   in Loop: Header=BB77_3 Depth=1
	s_or_b32 exec_lo, exec_lo, s40
.LBB77_48:                              ;   in Loop: Header=BB77_3 Depth=1
	s_delay_alu instid0(SALU_CYCLE_1)
	s_or_b32 exec_lo, exec_lo, s35
	s_and_saveexec_b32 s35, s65
	s_cbranch_execz .LBB77_50
; %bb.49:                               ;   in Loop: Header=BB77_3 Depth=1
	ds_load_b128 v[20:23], v1 offset:14256
	s_wait_dscnt 0x0
	v_mul_f64_e32 v[2:3], v[18:19], v[22:23]
	v_mul_f64_e32 v[22:23], v[16:17], v[22:23]
	s_delay_alu instid0(VALU_DEP_1) | instskip(NEXT) | instid1(VALU_DEP_1)
	v_fmac_f64_e32 v[22:23], v[18:19], v[20:21]
	v_dual_fma_f64 v[2:3], v[16:17], v[20:21], -v[2:3] :: v_dual_mov_b32 v18, v22
	s_delay_alu instid0(VALU_DEP_1) | instskip(NEXT) | instid1(VALU_DEP_3)
	v_xor_b32_e32 v17, 0x80000000, v3
	v_xor_b32_e32 v19, 0x80000000, v23
	s_delay_alu instid0(VALU_DEP_3)
	v_mov_b32_e32 v16, v2
	ds_store_b128 v53, v[16:19]
	v_mov_b64_e32 v[16:17], v[2:3]
	v_mov_b64_e32 v[18:19], v[22:23]
.LBB77_50:                              ;   in Loop: Header=BB77_3 Depth=1
	s_or_b32 exec_lo, exec_lo, s35
	s_wait_loadcnt_dscnt 0x0
	s_barrier_signal -1
	s_barrier_wait -1
	s_and_saveexec_b32 s35, s66
	s_cbranch_execz .LBB77_52
; %bb.51:                               ;   in Loop: Header=BB77_3 Depth=1
	ds_load_b128 v[20:23], v53
	ds_load_b128 v[204:207], v54 offset:14208
	s_wait_dscnt 0x0
	v_mul_f64_e32 v[2:3], v[22:23], v[206:207]
	s_delay_alu instid0(VALU_DEP_1) | instskip(SKIP_1) | instid1(VALU_DEP_2)
	v_fma_f64 v[2:3], v[20:21], v[204:205], -v[2:3]
	v_mul_f64_e32 v[20:21], v[20:21], v[206:207]
	v_add_f64_e64 v[16:17], v[16:17], -v[2:3]
	s_delay_alu instid0(VALU_DEP_2) | instskip(NEXT) | instid1(VALU_DEP_1)
	v_fmac_f64_e32 v[20:21], v[22:23], v[204:205]
	v_add_f64_e64 v[18:19], v[18:19], -v[20:21]
.LBB77_52:                              ;   in Loop: Header=BB77_3 Depth=1
	s_or_b32 exec_lo, exec_lo, s35
	s_barrier_signal -1
	s_barrier_wait -1
	s_and_saveexec_b32 s35, s67
	s_cbranch_execz .LBB77_54
; %bb.53:                               ;   in Loop: Header=BB77_3 Depth=1
	ds_load_b128 v[20:23], v1 offset:13728
	s_wait_dscnt 0x0
	v_mul_f64_e32 v[2:3], v[18:19], v[22:23]
	v_mul_f64_e32 v[22:23], v[16:17], v[22:23]
	s_delay_alu instid0(VALU_DEP_1) | instskip(NEXT) | instid1(VALU_DEP_1)
	v_fmac_f64_e32 v[22:23], v[18:19], v[20:21]
	v_dual_fma_f64 v[2:3], v[16:17], v[20:21], -v[2:3] :: v_dual_mov_b32 v18, v22
	s_delay_alu instid0(VALU_DEP_1) | instskip(NEXT) | instid1(VALU_DEP_3)
	v_xor_b32_e32 v17, 0x80000000, v3
	v_xor_b32_e32 v19, 0x80000000, v23
	s_delay_alu instid0(VALU_DEP_3)
	v_mov_b32_e32 v16, v2
	ds_store_b128 v53, v[16:19]
	v_mov_b64_e32 v[16:17], v[2:3]
	v_mov_b64_e32 v[18:19], v[22:23]
.LBB77_54:                              ;   in Loop: Header=BB77_3 Depth=1
	s_or_b32 exec_lo, exec_lo, s35
	s_wait_dscnt 0x0
	s_barrier_signal -1
	s_barrier_wait -1
	s_and_saveexec_b32 s35, s68
	s_cbranch_execz .LBB77_56
; %bb.55:                               ;   in Loop: Header=BB77_3 Depth=1
	ds_load_b128 v[20:23], v53
	ds_load_b128 v[204:207], v54 offset:13696
	s_wait_dscnt 0x0
	v_mul_f64_e32 v[2:3], v[22:23], v[206:207]
	s_delay_alu instid0(VALU_DEP_1) | instskip(SKIP_1) | instid1(VALU_DEP_2)
	v_fma_f64 v[2:3], v[20:21], v[204:205], -v[2:3]
	v_mul_f64_e32 v[20:21], v[20:21], v[206:207]
	v_add_f64_e64 v[16:17], v[16:17], -v[2:3]
	s_delay_alu instid0(VALU_DEP_2) | instskip(NEXT) | instid1(VALU_DEP_1)
	v_fmac_f64_e32 v[20:21], v[22:23], v[204:205]
	v_add_f64_e64 v[18:19], v[18:19], -v[20:21]
.LBB77_56:                              ;   in Loop: Header=BB77_3 Depth=1
	s_or_b32 exec_lo, exec_lo, s35
	s_barrier_signal -1
	s_barrier_wait -1
	s_and_saveexec_b32 s35, s69
	s_cbranch_execz .LBB77_58
; %bb.57:                               ;   in Loop: Header=BB77_3 Depth=1
	ds_load_b128 v[20:23], v1 offset:13200
	s_wait_dscnt 0x0
	v_mul_f64_e32 v[2:3], v[18:19], v[22:23]
	v_mul_f64_e32 v[22:23], v[16:17], v[22:23]
	s_delay_alu instid0(VALU_DEP_1) | instskip(NEXT) | instid1(VALU_DEP_1)
	v_fmac_f64_e32 v[22:23], v[18:19], v[20:21]
	v_dual_fma_f64 v[2:3], v[16:17], v[20:21], -v[2:3] :: v_dual_mov_b32 v18, v22
	s_delay_alu instid0(VALU_DEP_1) | instskip(NEXT) | instid1(VALU_DEP_3)
	v_xor_b32_e32 v17, 0x80000000, v3
	v_xor_b32_e32 v19, 0x80000000, v23
	s_delay_alu instid0(VALU_DEP_3)
	v_mov_b32_e32 v16, v2
	ds_store_b128 v53, v[16:19]
	v_mov_b64_e32 v[16:17], v[2:3]
	v_mov_b64_e32 v[18:19], v[22:23]
.LBB77_58:                              ;   in Loop: Header=BB77_3 Depth=1
	s_or_b32 exec_lo, exec_lo, s35
	s_wait_dscnt 0x0
	;; [unrolled: 41-line block ×3, first 2 shown]
	s_barrier_signal -1
	s_barrier_wait -1
	s_barrier_signal -1
	s_barrier_wait -1
	s_and_saveexec_b32 s35, s2
; %bb.63:                               ;   in Loop: Header=BB77_3 Depth=1
	ds_store_b128 v56, v[16:19] offset:16256
; %bb.64:                               ;   in Loop: Header=BB77_3 Depth=1
	s_or_b32 exec_lo, exec_lo, s35
	s_wait_dscnt 0x0
	s_barrier_signal -1
	s_barrier_wait -1
	s_barrier_signal -1
	s_barrier_wait -1
	s_and_saveexec_b32 s35, s71
	s_cbranch_execz .LBB77_66
; %bb.65:                               ;   in Loop: Header=BB77_3 Depth=1
	ds_load_b128 v[16:19], v98
	s_wait_dscnt 0x0
	ds_store_b128 v139, v[16:19]
	ds_load_b128 v[16:19], v101
	s_wait_dscnt 0x0
	ds_store_b128 v142, v[16:19]
	;; [unrolled: 3-line block ×4, first 2 shown]
.LBB77_66:                              ;   in Loop: Header=BB77_3 Depth=1
	s_or_b32 exec_lo, exec_lo, s35
	s_wait_dscnt 0x0
	s_barrier_signal -1
	s_barrier_wait -1
	s_and_saveexec_b32 s35, s29
	s_cbranch_execz .LBB77_68
; %bb.67:                               ;   in Loop: Header=BB77_3 Depth=1
	ds_load_b128 v[16:19], v1 offset:14256
	ds_load_b128 v[20:23], v1 offset:13728
	s_wait_dscnt 0x0
	v_mul_f64_e32 v[2:3], v[18:19], v[22:23]
	v_mul_f64_e32 v[204:205], v[16:17], v[22:23]
	s_delay_alu instid0(VALU_DEP_2) | instskip(NEXT) | instid1(VALU_DEP_2)
	v_fma_f64 v[2:3], v[16:17], v[20:21], -v[2:3]
	v_fmac_f64_e32 v[204:205], v[18:19], v[20:21]
	ds_load_b128 v[16:19], v1 offset:14240
	s_wait_dscnt 0x0
	v_mul_f64_e32 v[22:23], v[2:3], v[18:19]
	v_mul_f64_e32 v[20:21], v[204:205], v[18:19]
	s_delay_alu instid0(VALU_DEP_2) | instskip(NEXT) | instid1(VALU_DEP_2)
	v_fmac_f64_e32 v[22:23], v[16:17], v[204:205]
	v_fma_f64 v[20:21], v[16:17], v[2:3], -v[20:21]
	ds_store_b128 v1, v[20:23] offset:14240
	ds_store_b128 v1, v[20:23] offset:13744
.LBB77_68:                              ;   in Loop: Header=BB77_3 Depth=1
	s_or_b32 exec_lo, exec_lo, s35
	v_mov_b64_e32 v[16:17], 0
	v_mov_b64_e32 v[18:19], 0
	s_wait_dscnt 0x0
	s_barrier_signal -1
	s_barrier_wait -1
	global_wb scope:SCOPE_DEV
	s_wait_storecnt 0x0
	global_inv scope:SCOPE_DEV
	s_and_saveexec_b32 s35, s0
	s_cbranch_execz .LBB77_72
; %bb.69:                               ;   in Loop: Header=BB77_3 Depth=1
	ds_load_b128 v[16:19], v47 offset:14240
	ds_load_b128 v[20:23], v46 offset:13696
	s_wait_dscnt 0x0
	v_mul_f64_e32 v[2:3], v[18:19], v[22:23]
	v_mul_f64_e32 v[22:23], v[16:17], v[22:23]
	s_delay_alu instid0(VALU_DEP_2) | instskip(NEXT) | instid1(VALU_DEP_2)
	v_fma_f64 v[2:3], v[16:17], v[20:21], -v[2:3]
	v_fmac_f64_e32 v[22:23], v[18:19], v[20:21]
	s_delay_alu instid0(VALU_DEP_2) | instskip(NEXT) | instid1(VALU_DEP_2)
	v_add_f64_e32 v[16:17], 0, v[2:3]
	v_add_f64_e32 v[18:19], 0, v[22:23]
	s_and_saveexec_b32 s40, s10
	s_cbranch_execz .LBB77_71
; %bb.70:                               ;   in Loop: Header=BB77_3 Depth=1
	ds_load_b128 v[20:23], v1 offset:14256
	ds_load_b128 v[204:207], v102 offset:14208
	s_wait_dscnt 0x0
	v_mul_f64_e32 v[2:3], v[22:23], v[206:207]
	s_delay_alu instid0(VALU_DEP_1) | instskip(SKIP_1) | instid1(VALU_DEP_2)
	v_fma_f64 v[2:3], v[20:21], v[204:205], -v[2:3]
	v_mul_f64_e32 v[20:21], v[20:21], v[206:207]
	v_add_f64_e32 v[16:17], v[16:17], v[2:3]
	s_delay_alu instid0(VALU_DEP_2) | instskip(NEXT) | instid1(VALU_DEP_1)
	v_fmac_f64_e32 v[20:21], v[22:23], v[204:205]
	v_add_f64_e32 v[18:19], v[18:19], v[20:21]
.LBB77_71:                              ;   in Loop: Header=BB77_3 Depth=1
	s_or_b32 exec_lo, exec_lo, s40
.LBB77_72:                              ;   in Loop: Header=BB77_3 Depth=1
	s_delay_alu instid0(SALU_CYCLE_1)
	s_or_b32 exec_lo, exec_lo, s35
	s_and_saveexec_b32 s35, s62
	s_cbranch_execz .LBB77_74
; %bb.73:                               ;   in Loop: Header=BB77_3 Depth=1
	ds_load_b128 v[20:23], v1 offset:13200
	s_wait_dscnt 0x0
	v_mul_f64_e32 v[2:3], v[18:19], v[22:23]
	v_mul_f64_e32 v[22:23], v[16:17], v[22:23]
	s_delay_alu instid0(VALU_DEP_1) | instskip(NEXT) | instid1(VALU_DEP_1)
	v_fmac_f64_e32 v[22:23], v[18:19], v[20:21]
	v_dual_fma_f64 v[2:3], v[16:17], v[20:21], -v[2:3] :: v_dual_mov_b32 v18, v22
	s_delay_alu instid0(VALU_DEP_1) | instskip(NEXT) | instid1(VALU_DEP_3)
	v_xor_b32_e32 v17, 0x80000000, v3
	v_xor_b32_e32 v19, 0x80000000, v23
	s_delay_alu instid0(VALU_DEP_3)
	v_mov_b32_e32 v16, v2
	ds_store_b128 v25, v[16:19]
	v_mov_b64_e32 v[16:17], v[2:3]
	v_mov_b64_e32 v[18:19], v[22:23]
.LBB77_74:                              ;   in Loop: Header=BB77_3 Depth=1
	s_or_b32 exec_lo, exec_lo, s35
	s_wait_loadcnt_dscnt 0x0
	s_barrier_signal -1
	s_barrier_wait -1
	s_and_saveexec_b32 s35, s63
	s_cbranch_execz .LBB77_76
; %bb.75:                               ;   in Loop: Header=BB77_3 Depth=1
	ds_load_b128 v[20:23], v25
	ds_load_b128 v[204:207], v1 offset:13184
	s_wait_dscnt 0x0
	v_mul_f64_e32 v[2:3], v[22:23], v[206:207]
	s_delay_alu instid0(VALU_DEP_1) | instskip(SKIP_1) | instid1(VALU_DEP_2)
	v_fma_f64 v[2:3], v[20:21], v[204:205], -v[2:3]
	v_mul_f64_e32 v[20:21], v[20:21], v[206:207]
	v_add_f64_e64 v[16:17], v[16:17], -v[2:3]
	s_delay_alu instid0(VALU_DEP_2) | instskip(NEXT) | instid1(VALU_DEP_1)
	v_fmac_f64_e32 v[20:21], v[22:23], v[204:205]
	v_add_f64_e64 v[18:19], v[18:19], -v[20:21]
.LBB77_76:                              ;   in Loop: Header=BB77_3 Depth=1
	s_or_b32 exec_lo, exec_lo, s35
	s_barrier_signal -1
	s_barrier_wait -1
	s_and_saveexec_b32 s35, s63
	s_cbranch_execz .LBB77_78
; %bb.77:                               ;   in Loop: Header=BB77_3 Depth=1
	ds_load_b128 v[20:23], v1 offset:12672
	s_wait_dscnt 0x0
	v_mul_f64_e32 v[2:3], v[18:19], v[22:23]
	v_mul_f64_e32 v[22:23], v[16:17], v[22:23]
	s_delay_alu instid0(VALU_DEP_1) | instskip(NEXT) | instid1(VALU_DEP_1)
	v_fmac_f64_e32 v[22:23], v[18:19], v[20:21]
	v_dual_fma_f64 v[2:3], v[16:17], v[20:21], -v[2:3] :: v_dual_mov_b32 v18, v22
	s_delay_alu instid0(VALU_DEP_1) | instskip(NEXT) | instid1(VALU_DEP_3)
	v_xor_b32_e32 v17, 0x80000000, v3
	v_xor_b32_e32 v19, 0x80000000, v23
	s_delay_alu instid0(VALU_DEP_3)
	v_mov_b32_e32 v16, v2
	ds_store_b128 v25, v[16:19]
	v_mov_b64_e32 v[16:17], v[2:3]
	v_mov_b64_e32 v[18:19], v[22:23]
.LBB77_78:                              ;   in Loop: Header=BB77_3 Depth=1
	s_or_b32 exec_lo, exec_lo, s35
	s_wait_dscnt 0x0
	s_barrier_signal -1
	s_barrier_wait -1
	s_barrier_signal -1
	s_barrier_wait -1
	s_and_saveexec_b32 s35, s0
; %bb.79:                               ;   in Loop: Header=BB77_3 Depth=1
	ds_store_b128 v49, v[16:19] offset:14208
; %bb.80:                               ;   in Loop: Header=BB77_3 Depth=1
	s_or_b32 exec_lo, exec_lo, s35
	s_wait_dscnt 0x0
	s_barrier_signal -1
	s_barrier_wait -1
	s_barrier_signal -1
	s_barrier_wait -1
	s_and_saveexec_b32 s35, s64
	s_cbranch_execz .LBB77_82
; %bb.81:                               ;   in Loop: Header=BB77_3 Depth=1
	ds_load_b128 v[16:19], v111
	s_wait_dscnt 0x0
	ds_store_b128 v143, v[16:19]
	ds_load_b128 v[16:19], v112
	s_wait_dscnt 0x0
	ds_store_b128 v144, v[16:19]
.LBB77_82:                              ;   in Loop: Header=BB77_3 Depth=1
	s_or_b32 exec_lo, exec_lo, s35
	s_wait_dscnt 0x0
	s_barrier_signal -1
	s_barrier_wait -1
	s_and_saveexec_b32 s35, s29
	s_cbranch_execz .LBB77_84
; %bb.83:                               ;   in Loop: Header=BB77_3 Depth=1
	ds_load_b128 v[16:19], v1 offset:13200
	ds_load_b128 v[20:23], v1 offset:12672
	s_wait_dscnt 0x0
	v_mul_f64_e32 v[2:3], v[18:19], v[22:23]
	v_mul_f64_e32 v[204:205], v[16:17], v[22:23]
	s_delay_alu instid0(VALU_DEP_2) | instskip(NEXT) | instid1(VALU_DEP_2)
	v_fma_f64 v[2:3], v[16:17], v[20:21], -v[2:3]
	v_fmac_f64_e32 v[204:205], v[18:19], v[20:21]
	ds_load_b128 v[16:19], v1 offset:13184
	s_wait_dscnt 0x0
	v_mul_f64_e32 v[22:23], v[2:3], v[18:19]
	v_mul_f64_e32 v[20:21], v[204:205], v[18:19]
	s_delay_alu instid0(VALU_DEP_2) | instskip(NEXT) | instid1(VALU_DEP_2)
	v_fmac_f64_e32 v[22:23], v[16:17], v[204:205]
	v_fma_f64 v[20:21], v[16:17], v[2:3], -v[20:21]
	ds_store_b128 v1, v[20:23] offset:13184
	ds_store_b128 v1, v[20:23] offset:12688
.LBB77_84:                              ;   in Loop: Header=BB77_3 Depth=1
	s_or_b32 exec_lo, exec_lo, s35
	v_mov_b64_e32 v[18:19], 0
	v_mov_b64_e32 v[16:17], 0
	s_wait_dscnt 0x0
	s_barrier_signal -1
	s_barrier_wait -1
	global_wb scope:SCOPE_DEV
	s_wait_storecnt 0x0
	global_inv scope:SCOPE_DEV
	s_and_saveexec_b32 s35, s3
	s_cbranch_execz .LBB77_94
; %bb.85:                               ;   in Loop: Header=BB77_3 Depth=1
	ds_load_b128 v[16:19], v59 offset:16256
	ds_load_b128 v[20:23], v58 offset:12544
	s_wait_dscnt 0x0
	v_mul_f64_e32 v[2:3], v[18:19], v[22:23]
	v_mul_f64_e32 v[22:23], v[16:17], v[22:23]
	s_delay_alu instid0(VALU_DEP_2) | instskip(NEXT) | instid1(VALU_DEP_2)
	v_fma_f64 v[2:3], v[16:17], v[20:21], -v[2:3]
	v_fmac_f64_e32 v[22:23], v[18:19], v[20:21]
	s_delay_alu instid0(VALU_DEP_2) | instskip(NEXT) | instid1(VALU_DEP_2)
	v_add_f64_e32 v[16:17], 0, v[2:3]
	v_add_f64_e32 v[18:19], 0, v[22:23]
	s_and_saveexec_b32 s40, s13
	s_cbranch_execnz .LBB77_552
; %bb.86:                               ;   in Loop: Header=BB77_3 Depth=1
	s_or_b32 exec_lo, exec_lo, s40
	s_and_saveexec_b32 s40, s14
	s_cbranch_execnz .LBB77_553
.LBB77_87:                              ;   in Loop: Header=BB77_3 Depth=1
	s_or_b32 exec_lo, exec_lo, s40
	s_and_saveexec_b32 s40, s15
	s_cbranch_execnz .LBB77_554
.LBB77_88:                              ;   in Loop: Header=BB77_3 Depth=1
	s_or_b32 exec_lo, exec_lo, s40
	s_and_saveexec_b32 s40, s16
	s_cbranch_execnz .LBB77_555
.LBB77_89:                              ;   in Loop: Header=BB77_3 Depth=1
	s_or_b32 exec_lo, exec_lo, s40
	s_and_saveexec_b32 s40, s17
	s_cbranch_execnz .LBB77_556
.LBB77_90:                              ;   in Loop: Header=BB77_3 Depth=1
	s_or_b32 exec_lo, exec_lo, s40
	s_and_saveexec_b32 s40, s2
	s_cbranch_execnz .LBB77_557
.LBB77_91:                              ;   in Loop: Header=BB77_3 Depth=1
	s_or_b32 exec_lo, exec_lo, s40
	s_and_saveexec_b32 s40, s12
	s_cbranch_execz .LBB77_93
.LBB77_92:                              ;   in Loop: Header=BB77_3 Depth=1
	ds_load_b128 v[20:23], v1 offset:16368
	ds_load_b128 v[204:207], v48 offset:16128
	s_wait_dscnt 0x0
	v_mul_f64_e32 v[2:3], v[22:23], v[206:207]
	s_delay_alu instid0(VALU_DEP_1) | instskip(SKIP_1) | instid1(VALU_DEP_2)
	v_fma_f64 v[2:3], v[20:21], v[204:205], -v[2:3]
	v_mul_f64_e32 v[20:21], v[20:21], v[206:207]
	v_add_f64_e32 v[16:17], v[16:17], v[2:3]
	s_delay_alu instid0(VALU_DEP_2) | instskip(NEXT) | instid1(VALU_DEP_1)
	v_fmac_f64_e32 v[20:21], v[22:23], v[204:205]
	v_add_f64_e32 v[18:19], v[18:19], v[20:21]
.LBB77_93:                              ;   in Loop: Header=BB77_3 Depth=1
	s_or_b32 exec_lo, exec_lo, s40
.LBB77_94:                              ;   in Loop: Header=BB77_3 Depth=1
	s_delay_alu instid0(SALU_CYCLE_1)
	s_or_b32 exec_lo, exec_lo, s35
	s_and_saveexec_b32 s35, s72
	s_cbranch_execz .LBB77_96
; %bb.95:                               ;   in Loop: Header=BB77_3 Depth=1
	ds_load_b128 v[20:23], v1 offset:12144
	s_wait_dscnt 0x0
	v_mul_f64_e32 v[2:3], v[18:19], v[22:23]
	v_mul_f64_e32 v[22:23], v[16:17], v[22:23]
	s_delay_alu instid0(VALU_DEP_1) | instskip(NEXT) | instid1(VALU_DEP_1)
	v_fmac_f64_e32 v[22:23], v[18:19], v[20:21]
	v_dual_fma_f64 v[2:3], v[16:17], v[20:21], -v[2:3] :: v_dual_mov_b32 v18, v22
	s_delay_alu instid0(VALU_DEP_1) | instskip(NEXT) | instid1(VALU_DEP_3)
	v_xor_b32_e32 v17, 0x80000000, v3
	v_xor_b32_e32 v19, 0x80000000, v23
	s_delay_alu instid0(VALU_DEP_3)
	v_mov_b32_e32 v16, v2
	ds_store_b128 v57, v[16:19]
	v_mov_b64_e32 v[16:17], v[2:3]
	v_mov_b64_e32 v[18:19], v[22:23]
.LBB77_96:                              ;   in Loop: Header=BB77_3 Depth=1
	s_or_b32 exec_lo, exec_lo, s35
	s_wait_loadcnt_dscnt 0x0
	s_barrier_signal -1
	s_barrier_wait -1
	s_and_saveexec_b32 s35, s73
	s_cbranch_execz .LBB77_98
; %bb.97:                               ;   in Loop: Header=BB77_3 Depth=1
	ds_load_b128 v[20:23], v57
	ds_load_b128 v[204:207], v58 offset:12032
	s_wait_dscnt 0x0
	v_mul_f64_e32 v[2:3], v[22:23], v[206:207]
	s_delay_alu instid0(VALU_DEP_1) | instskip(SKIP_1) | instid1(VALU_DEP_2)
	v_fma_f64 v[2:3], v[20:21], v[204:205], -v[2:3]
	v_mul_f64_e32 v[20:21], v[20:21], v[206:207]
	v_add_f64_e64 v[16:17], v[16:17], -v[2:3]
	s_delay_alu instid0(VALU_DEP_2) | instskip(NEXT) | instid1(VALU_DEP_1)
	v_fmac_f64_e32 v[20:21], v[22:23], v[204:205]
	v_add_f64_e64 v[18:19], v[18:19], -v[20:21]
.LBB77_98:                              ;   in Loop: Header=BB77_3 Depth=1
	s_or_b32 exec_lo, exec_lo, s35
	s_barrier_signal -1
	s_barrier_wait -1
	s_and_saveexec_b32 s35, s74
	s_cbranch_execz .LBB77_100
; %bb.99:                               ;   in Loop: Header=BB77_3 Depth=1
	ds_load_b128 v[20:23], v1 offset:11616
	s_wait_dscnt 0x0
	v_mul_f64_e32 v[2:3], v[18:19], v[22:23]
	v_mul_f64_e32 v[22:23], v[16:17], v[22:23]
	s_delay_alu instid0(VALU_DEP_1) | instskip(NEXT) | instid1(VALU_DEP_1)
	v_fmac_f64_e32 v[22:23], v[18:19], v[20:21]
	v_dual_fma_f64 v[2:3], v[16:17], v[20:21], -v[2:3] :: v_dual_mov_b32 v18, v22
	s_delay_alu instid0(VALU_DEP_1) | instskip(NEXT) | instid1(VALU_DEP_3)
	v_xor_b32_e32 v17, 0x80000000, v3
	v_xor_b32_e32 v19, 0x80000000, v23
	s_delay_alu instid0(VALU_DEP_3)
	v_mov_b32_e32 v16, v2
	ds_store_b128 v57, v[16:19]
	v_mov_b64_e32 v[16:17], v[2:3]
	v_mov_b64_e32 v[18:19], v[22:23]
.LBB77_100:                             ;   in Loop: Header=BB77_3 Depth=1
	s_or_b32 exec_lo, exec_lo, s35
	s_wait_dscnt 0x0
	s_barrier_signal -1
	s_barrier_wait -1
	s_and_saveexec_b32 s35, s75
	s_cbranch_execz .LBB77_102
; %bb.101:                              ;   in Loop: Header=BB77_3 Depth=1
	ds_load_b128 v[20:23], v57
	ds_load_b128 v[204:207], v58 offset:11520
	s_wait_dscnt 0x0
	v_mul_f64_e32 v[2:3], v[22:23], v[206:207]
	s_delay_alu instid0(VALU_DEP_1) | instskip(SKIP_1) | instid1(VALU_DEP_2)
	v_fma_f64 v[2:3], v[20:21], v[204:205], -v[2:3]
	v_mul_f64_e32 v[20:21], v[20:21], v[206:207]
	v_add_f64_e64 v[16:17], v[16:17], -v[2:3]
	s_delay_alu instid0(VALU_DEP_2) | instskip(NEXT) | instid1(VALU_DEP_1)
	v_fmac_f64_e32 v[20:21], v[22:23], v[204:205]
	v_add_f64_e64 v[18:19], v[18:19], -v[20:21]
.LBB77_102:                             ;   in Loop: Header=BB77_3 Depth=1
	s_or_b32 exec_lo, exec_lo, s35
	s_barrier_signal -1
	s_barrier_wait -1
	s_and_saveexec_b32 s35, s76
	s_cbranch_execz .LBB77_104
; %bb.103:                              ;   in Loop: Header=BB77_3 Depth=1
	ds_load_b128 v[20:23], v1 offset:11088
	s_wait_dscnt 0x0
	v_mul_f64_e32 v[2:3], v[18:19], v[22:23]
	v_mul_f64_e32 v[22:23], v[16:17], v[22:23]
	s_delay_alu instid0(VALU_DEP_1) | instskip(NEXT) | instid1(VALU_DEP_1)
	v_fmac_f64_e32 v[22:23], v[18:19], v[20:21]
	v_dual_fma_f64 v[2:3], v[16:17], v[20:21], -v[2:3] :: v_dual_mov_b32 v18, v22
	s_delay_alu instid0(VALU_DEP_1) | instskip(NEXT) | instid1(VALU_DEP_3)
	v_xor_b32_e32 v17, 0x80000000, v3
	v_xor_b32_e32 v19, 0x80000000, v23
	s_delay_alu instid0(VALU_DEP_3)
	v_mov_b32_e32 v16, v2
	ds_store_b128 v57, v[16:19]
	v_mov_b64_e32 v[16:17], v[2:3]
	v_mov_b64_e32 v[18:19], v[22:23]
.LBB77_104:                             ;   in Loop: Header=BB77_3 Depth=1
	s_or_b32 exec_lo, exec_lo, s35
	s_wait_dscnt 0x0
	s_barrier_signal -1
	s_barrier_wait -1
	s_and_saveexec_b32 s35, s77
	s_cbranch_execz .LBB77_106
; %bb.105:                              ;   in Loop: Header=BB77_3 Depth=1
	ds_load_b128 v[20:23], v57
	ds_load_b128 v[204:207], v58 offset:11008
	s_wait_dscnt 0x0
	v_mul_f64_e32 v[2:3], v[22:23], v[206:207]
	s_delay_alu instid0(VALU_DEP_1) | instskip(SKIP_1) | instid1(VALU_DEP_2)
	v_fma_f64 v[2:3], v[20:21], v[204:205], -v[2:3]
	v_mul_f64_e32 v[20:21], v[20:21], v[206:207]
	v_add_f64_e64 v[16:17], v[16:17], -v[2:3]
	s_delay_alu instid0(VALU_DEP_2) | instskip(NEXT) | instid1(VALU_DEP_1)
	v_fmac_f64_e32 v[20:21], v[22:23], v[204:205]
	v_add_f64_e64 v[18:19], v[18:19], -v[20:21]
.LBB77_106:                             ;   in Loop: Header=BB77_3 Depth=1
	s_or_b32 exec_lo, exec_lo, s35
	s_barrier_signal -1
	s_barrier_wait -1
	s_and_saveexec_b32 s35, s78
	s_cbranch_execz .LBB77_108
; %bb.107:                              ;   in Loop: Header=BB77_3 Depth=1
	ds_load_b128 v[20:23], v1 offset:10560
	s_wait_dscnt 0x0
	v_mul_f64_e32 v[2:3], v[18:19], v[22:23]
	v_mul_f64_e32 v[22:23], v[16:17], v[22:23]
	s_delay_alu instid0(VALU_DEP_1) | instskip(NEXT) | instid1(VALU_DEP_1)
	v_fmac_f64_e32 v[22:23], v[18:19], v[20:21]
	v_dual_fma_f64 v[2:3], v[16:17], v[20:21], -v[2:3] :: v_dual_mov_b32 v18, v22
	s_delay_alu instid0(VALU_DEP_1) | instskip(NEXT) | instid1(VALU_DEP_3)
	v_xor_b32_e32 v17, 0x80000000, v3
	v_xor_b32_e32 v19, 0x80000000, v23
	s_delay_alu instid0(VALU_DEP_3)
	v_mov_b32_e32 v16, v2
	ds_store_b128 v57, v[16:19]
	v_mov_b64_e32 v[16:17], v[2:3]
	v_mov_b64_e32 v[18:19], v[22:23]
.LBB77_108:                             ;   in Loop: Header=BB77_3 Depth=1
	;; [unrolled: 41-line block ×6, first 2 shown]
	s_or_b32 exec_lo, exec_lo, s35
	s_wait_dscnt 0x0
	s_barrier_signal -1
	s_barrier_wait -1
	s_barrier_signal -1
	s_barrier_wait -1
	s_and_saveexec_b32 s35, s3
; %bb.125:                              ;   in Loop: Header=BB77_3 Depth=1
	ds_store_b128 v60, v[16:19] offset:16128
; %bb.126:                              ;   in Loop: Header=BB77_3 Depth=1
	s_or_b32 exec_lo, exec_lo, s35
	s_wait_dscnt 0x0
	s_barrier_signal -1
	s_barrier_wait -1
	s_barrier_signal -1
	s_barrier_wait -1
	s_and_saveexec_b32 s35, s86
	s_cbranch_execz .LBB77_128
; %bb.127:                              ;   in Loop: Header=BB77_3 Depth=1
	ds_load_b128 v[16:19], v61
	s_wait_dscnt 0x0
	ds_store_b128 v145, v[16:19]
	ds_load_b128 v[16:19], v62
	s_wait_dscnt 0x0
	ds_store_b128 v146, v[16:19]
	;; [unrolled: 3-line block ×8, first 2 shown]
.LBB77_128:                             ;   in Loop: Header=BB77_3 Depth=1
	s_or_b32 exec_lo, exec_lo, s35
	s_wait_dscnt 0x0
	s_barrier_signal -1
	s_barrier_wait -1
	s_and_saveexec_b32 s35, s29
	s_cbranch_execz .LBB77_130
; %bb.129:                              ;   in Loop: Header=BB77_3 Depth=1
	ds_load_b128 v[16:19], v1 offset:12144
	ds_load_b128 v[20:23], v1 offset:11616
	s_wait_dscnt 0x0
	v_mul_f64_e32 v[2:3], v[18:19], v[22:23]
	v_mul_f64_e32 v[204:205], v[16:17], v[22:23]
	s_delay_alu instid0(VALU_DEP_2) | instskip(NEXT) | instid1(VALU_DEP_2)
	v_fma_f64 v[2:3], v[16:17], v[20:21], -v[2:3]
	v_fmac_f64_e32 v[204:205], v[18:19], v[20:21]
	ds_load_b128 v[16:19], v1 offset:12128
	s_wait_dscnt 0x0
	v_mul_f64_e32 v[22:23], v[2:3], v[18:19]
	v_mul_f64_e32 v[20:21], v[204:205], v[18:19]
	s_delay_alu instid0(VALU_DEP_2) | instskip(NEXT) | instid1(VALU_DEP_2)
	v_fmac_f64_e32 v[22:23], v[16:17], v[204:205]
	v_fma_f64 v[20:21], v[16:17], v[2:3], -v[20:21]
	ds_store_b128 v1, v[20:23] offset:12128
	ds_store_b128 v1, v[20:23] offset:11632
.LBB77_130:                             ;   in Loop: Header=BB77_3 Depth=1
	s_or_b32 exec_lo, exec_lo, s35
	v_mov_b64_e32 v[16:17], 0
	v_mov_b64_e32 v[18:19], 0
	s_wait_dscnt 0x0
	s_barrier_signal -1
	s_barrier_wait -1
	global_wb scope:SCOPE_DEV
	s_wait_storecnt 0x0
	global_inv scope:SCOPE_DEV
	s_and_saveexec_b32 s35, s0
	s_cbranch_execz .LBB77_134
; %bb.131:                              ;   in Loop: Header=BB77_3 Depth=1
	ds_load_b128 v[16:19], v47 offset:12128
	ds_load_b128 v[20:23], v46 offset:11584
	s_wait_dscnt 0x0
	v_mul_f64_e32 v[2:3], v[18:19], v[22:23]
	v_mul_f64_e32 v[22:23], v[16:17], v[22:23]
	s_delay_alu instid0(VALU_DEP_2) | instskip(NEXT) | instid1(VALU_DEP_2)
	v_fma_f64 v[2:3], v[16:17], v[20:21], -v[2:3]
	v_fmac_f64_e32 v[22:23], v[18:19], v[20:21]
	s_delay_alu instid0(VALU_DEP_2) | instskip(NEXT) | instid1(VALU_DEP_2)
	v_add_f64_e32 v[16:17], 0, v[2:3]
	v_add_f64_e32 v[18:19], 0, v[22:23]
	s_and_saveexec_b32 s40, s10
	s_cbranch_execz .LBB77_133
; %bb.132:                              ;   in Loop: Header=BB77_3 Depth=1
	ds_load_b128 v[20:23], v1 offset:12144
	ds_load_b128 v[204:207], v52 offset:12096
	s_wait_dscnt 0x0
	v_mul_f64_e32 v[2:3], v[22:23], v[206:207]
	s_delay_alu instid0(VALU_DEP_1) | instskip(SKIP_1) | instid1(VALU_DEP_2)
	v_fma_f64 v[2:3], v[20:21], v[204:205], -v[2:3]
	v_mul_f64_e32 v[20:21], v[20:21], v[206:207]
	v_add_f64_e32 v[16:17], v[16:17], v[2:3]
	s_delay_alu instid0(VALU_DEP_2) | instskip(NEXT) | instid1(VALU_DEP_1)
	v_fmac_f64_e32 v[20:21], v[22:23], v[204:205]
	v_add_f64_e32 v[18:19], v[18:19], v[20:21]
.LBB77_133:                             ;   in Loop: Header=BB77_3 Depth=1
	s_or_b32 exec_lo, exec_lo, s40
.LBB77_134:                             ;   in Loop: Header=BB77_3 Depth=1
	s_delay_alu instid0(SALU_CYCLE_1)
	s_or_b32 exec_lo, exec_lo, s35
	s_and_saveexec_b32 s35, s62
	s_cbranch_execz .LBB77_136
; %bb.135:                              ;   in Loop: Header=BB77_3 Depth=1
	ds_load_b128 v[20:23], v1 offset:11088
	s_wait_dscnt 0x0
	v_mul_f64_e32 v[2:3], v[18:19], v[22:23]
	v_mul_f64_e32 v[22:23], v[16:17], v[22:23]
	s_delay_alu instid0(VALU_DEP_1) | instskip(NEXT) | instid1(VALU_DEP_1)
	v_fmac_f64_e32 v[22:23], v[18:19], v[20:21]
	v_dual_fma_f64 v[2:3], v[16:17], v[20:21], -v[2:3] :: v_dual_mov_b32 v18, v22
	s_delay_alu instid0(VALU_DEP_1) | instskip(NEXT) | instid1(VALU_DEP_3)
	v_xor_b32_e32 v17, 0x80000000, v3
	v_xor_b32_e32 v19, 0x80000000, v23
	s_delay_alu instid0(VALU_DEP_3)
	v_mov_b32_e32 v16, v2
	ds_store_b128 v25, v[16:19]
	v_mov_b64_e32 v[16:17], v[2:3]
	v_mov_b64_e32 v[18:19], v[22:23]
.LBB77_136:                             ;   in Loop: Header=BB77_3 Depth=1
	s_or_b32 exec_lo, exec_lo, s35
	s_wait_loadcnt_dscnt 0x0
	s_barrier_signal -1
	s_barrier_wait -1
	s_and_saveexec_b32 s35, s63
	s_cbranch_execz .LBB77_138
; %bb.137:                              ;   in Loop: Header=BB77_3 Depth=1
	ds_load_b128 v[20:23], v25
	ds_load_b128 v[204:207], v1 offset:11072
	s_wait_dscnt 0x0
	v_mul_f64_e32 v[2:3], v[22:23], v[206:207]
	s_delay_alu instid0(VALU_DEP_1) | instskip(SKIP_1) | instid1(VALU_DEP_2)
	v_fma_f64 v[2:3], v[20:21], v[204:205], -v[2:3]
	v_mul_f64_e32 v[20:21], v[20:21], v[206:207]
	v_add_f64_e64 v[16:17], v[16:17], -v[2:3]
	s_delay_alu instid0(VALU_DEP_2) | instskip(NEXT) | instid1(VALU_DEP_1)
	v_fmac_f64_e32 v[20:21], v[22:23], v[204:205]
	v_add_f64_e64 v[18:19], v[18:19], -v[20:21]
.LBB77_138:                             ;   in Loop: Header=BB77_3 Depth=1
	s_or_b32 exec_lo, exec_lo, s35
	s_barrier_signal -1
	s_barrier_wait -1
	s_and_saveexec_b32 s35, s63
	s_cbranch_execz .LBB77_140
; %bb.139:                              ;   in Loop: Header=BB77_3 Depth=1
	ds_load_b128 v[20:23], v1 offset:10560
	s_wait_dscnt 0x0
	v_mul_f64_e32 v[2:3], v[18:19], v[22:23]
	v_mul_f64_e32 v[22:23], v[16:17], v[22:23]
	s_delay_alu instid0(VALU_DEP_1) | instskip(NEXT) | instid1(VALU_DEP_1)
	v_fmac_f64_e32 v[22:23], v[18:19], v[20:21]
	v_dual_fma_f64 v[2:3], v[16:17], v[20:21], -v[2:3] :: v_dual_mov_b32 v18, v22
	s_delay_alu instid0(VALU_DEP_1) | instskip(NEXT) | instid1(VALU_DEP_3)
	v_xor_b32_e32 v17, 0x80000000, v3
	v_xor_b32_e32 v19, 0x80000000, v23
	s_delay_alu instid0(VALU_DEP_3)
	v_mov_b32_e32 v16, v2
	ds_store_b128 v25, v[16:19]
	v_mov_b64_e32 v[16:17], v[2:3]
	v_mov_b64_e32 v[18:19], v[22:23]
.LBB77_140:                             ;   in Loop: Header=BB77_3 Depth=1
	s_or_b32 exec_lo, exec_lo, s35
	s_wait_dscnt 0x0
	s_barrier_signal -1
	s_barrier_wait -1
	s_barrier_signal -1
	s_barrier_wait -1
	s_and_saveexec_b32 s35, s0
; %bb.141:                              ;   in Loop: Header=BB77_3 Depth=1
	ds_store_b128 v49, v[16:19] offset:12096
; %bb.142:                              ;   in Loop: Header=BB77_3 Depth=1
	s_or_b32 exec_lo, exec_lo, s35
	s_wait_dscnt 0x0
	s_barrier_signal -1
	s_barrier_wait -1
	s_barrier_signal -1
	s_barrier_wait -1
	s_and_saveexec_b32 s35, s64
	s_cbranch_execz .LBB77_144
; %bb.143:                              ;   in Loop: Header=BB77_3 Depth=1
	ds_load_b128 v[16:19], v103
	s_wait_dscnt 0x0
	ds_store_b128 v153, v[16:19]
	ds_load_b128 v[16:19], v104
	s_wait_dscnt 0x0
	ds_store_b128 v154, v[16:19]
.LBB77_144:                             ;   in Loop: Header=BB77_3 Depth=1
	s_or_b32 exec_lo, exec_lo, s35
	s_wait_dscnt 0x0
	s_barrier_signal -1
	s_barrier_wait -1
	s_and_saveexec_b32 s35, s29
	s_cbranch_execz .LBB77_146
; %bb.145:                              ;   in Loop: Header=BB77_3 Depth=1
	ds_load_b128 v[16:19], v1 offset:11088
	ds_load_b128 v[20:23], v1 offset:10560
	s_wait_dscnt 0x0
	v_mul_f64_e32 v[2:3], v[18:19], v[22:23]
	v_mul_f64_e32 v[204:205], v[16:17], v[22:23]
	s_delay_alu instid0(VALU_DEP_2) | instskip(NEXT) | instid1(VALU_DEP_2)
	v_fma_f64 v[2:3], v[16:17], v[20:21], -v[2:3]
	v_fmac_f64_e32 v[204:205], v[18:19], v[20:21]
	ds_load_b128 v[16:19], v1 offset:11072
	s_wait_dscnt 0x0
	v_mul_f64_e32 v[22:23], v[2:3], v[18:19]
	v_mul_f64_e32 v[20:21], v[204:205], v[18:19]
	s_delay_alu instid0(VALU_DEP_2) | instskip(NEXT) | instid1(VALU_DEP_2)
	v_fmac_f64_e32 v[22:23], v[16:17], v[204:205]
	v_fma_f64 v[20:21], v[16:17], v[2:3], -v[20:21]
	ds_store_b128 v1, v[20:23] offset:11072
	ds_store_b128 v1, v[20:23] offset:10576
.LBB77_146:                             ;   in Loop: Header=BB77_3 Depth=1
	s_or_b32 exec_lo, exec_lo, s35
	v_mov_b64_e32 v[18:19], 0
	v_mov_b64_e32 v[16:17], 0
	s_wait_dscnt 0x0
	s_barrier_signal -1
	s_barrier_wait -1
	global_wb scope:SCOPE_DEV
	s_wait_storecnt 0x0
	global_inv scope:SCOPE_DEV
	s_and_saveexec_b32 s35, s2
	s_cbranch_execz .LBB77_152
; %bb.147:                              ;   in Loop: Header=BB77_3 Depth=1
	ds_load_b128 v[16:19], v55 offset:12096
	ds_load_b128 v[20:23], v54 offset:10496
	s_wait_dscnt 0x0
	v_mul_f64_e32 v[2:3], v[18:19], v[22:23]
	v_mul_f64_e32 v[22:23], v[16:17], v[22:23]
	s_delay_alu instid0(VALU_DEP_2) | instskip(NEXT) | instid1(VALU_DEP_2)
	v_fma_f64 v[2:3], v[16:17], v[20:21], -v[2:3]
	v_fmac_f64_e32 v[22:23], v[18:19], v[20:21]
	s_delay_alu instid0(VALU_DEP_2) | instskip(NEXT) | instid1(VALU_DEP_2)
	v_add_f64_e32 v[16:17], 0, v[2:3]
	v_add_f64_e32 v[18:19], 0, v[22:23]
	s_and_saveexec_b32 s40, s11
	s_cbranch_execnz .LBB77_558
; %bb.148:                              ;   in Loop: Header=BB77_3 Depth=1
	s_or_b32 exec_lo, exec_lo, s40
	s_and_saveexec_b32 s40, s12
	s_cbranch_execnz .LBB77_559
.LBB77_149:                             ;   in Loop: Header=BB77_3 Depth=1
	s_or_b32 exec_lo, exec_lo, s40
	s_and_saveexec_b32 s40, s0
	s_cbranch_execz .LBB77_151
.LBB77_150:                             ;   in Loop: Header=BB77_3 Depth=1
	ds_load_b128 v[20:23], v1 offset:12144
	ds_load_b128 v[204:207], v102 offset:12032
	s_wait_dscnt 0x0
	v_mul_f64_e32 v[2:3], v[22:23], v[206:207]
	s_delay_alu instid0(VALU_DEP_1) | instskip(SKIP_1) | instid1(VALU_DEP_2)
	v_fma_f64 v[2:3], v[20:21], v[204:205], -v[2:3]
	v_mul_f64_e32 v[20:21], v[20:21], v[206:207]
	v_add_f64_e32 v[16:17], v[16:17], v[2:3]
	s_delay_alu instid0(VALU_DEP_2) | instskip(NEXT) | instid1(VALU_DEP_1)
	v_fmac_f64_e32 v[20:21], v[22:23], v[204:205]
	v_add_f64_e32 v[18:19], v[18:19], v[20:21]
.LBB77_151:                             ;   in Loop: Header=BB77_3 Depth=1
	s_or_b32 exec_lo, exec_lo, s40
.LBB77_152:                             ;   in Loop: Header=BB77_3 Depth=1
	s_delay_alu instid0(SALU_CYCLE_1)
	s_or_b32 exec_lo, exec_lo, s35
	s_and_saveexec_b32 s35, s65
	s_cbranch_execz .LBB77_154
; %bb.153:                              ;   in Loop: Header=BB77_3 Depth=1
	ds_load_b128 v[20:23], v1 offset:10032
	s_wait_dscnt 0x0
	v_mul_f64_e32 v[2:3], v[18:19], v[22:23]
	v_mul_f64_e32 v[22:23], v[16:17], v[22:23]
	s_delay_alu instid0(VALU_DEP_1) | instskip(NEXT) | instid1(VALU_DEP_1)
	v_fmac_f64_e32 v[22:23], v[18:19], v[20:21]
	v_dual_fma_f64 v[2:3], v[16:17], v[20:21], -v[2:3] :: v_dual_mov_b32 v18, v22
	s_delay_alu instid0(VALU_DEP_1) | instskip(NEXT) | instid1(VALU_DEP_3)
	v_xor_b32_e32 v17, 0x80000000, v3
	v_xor_b32_e32 v19, 0x80000000, v23
	s_delay_alu instid0(VALU_DEP_3)
	v_mov_b32_e32 v16, v2
	ds_store_b128 v53, v[16:19]
	v_mov_b64_e32 v[16:17], v[2:3]
	v_mov_b64_e32 v[18:19], v[22:23]
.LBB77_154:                             ;   in Loop: Header=BB77_3 Depth=1
	s_or_b32 exec_lo, exec_lo, s35
	s_wait_loadcnt_dscnt 0x0
	s_barrier_signal -1
	s_barrier_wait -1
	s_and_saveexec_b32 s35, s66
	s_cbranch_execz .LBB77_156
; %bb.155:                              ;   in Loop: Header=BB77_3 Depth=1
	ds_load_b128 v[20:23], v53
	ds_load_b128 v[204:207], v54 offset:9984
	s_wait_dscnt 0x0
	v_mul_f64_e32 v[2:3], v[22:23], v[206:207]
	s_delay_alu instid0(VALU_DEP_1) | instskip(SKIP_1) | instid1(VALU_DEP_2)
	v_fma_f64 v[2:3], v[20:21], v[204:205], -v[2:3]
	v_mul_f64_e32 v[20:21], v[20:21], v[206:207]
	v_add_f64_e64 v[16:17], v[16:17], -v[2:3]
	s_delay_alu instid0(VALU_DEP_2) | instskip(NEXT) | instid1(VALU_DEP_1)
	v_fmac_f64_e32 v[20:21], v[22:23], v[204:205]
	v_add_f64_e64 v[18:19], v[18:19], -v[20:21]
.LBB77_156:                             ;   in Loop: Header=BB77_3 Depth=1
	s_or_b32 exec_lo, exec_lo, s35
	s_barrier_signal -1
	s_barrier_wait -1
	s_and_saveexec_b32 s35, s67
	s_cbranch_execz .LBB77_158
; %bb.157:                              ;   in Loop: Header=BB77_3 Depth=1
	ds_load_b128 v[20:23], v1 offset:9504
	s_wait_dscnt 0x0
	v_mul_f64_e32 v[2:3], v[18:19], v[22:23]
	v_mul_f64_e32 v[22:23], v[16:17], v[22:23]
	s_delay_alu instid0(VALU_DEP_1) | instskip(NEXT) | instid1(VALU_DEP_1)
	v_fmac_f64_e32 v[22:23], v[18:19], v[20:21]
	v_dual_fma_f64 v[2:3], v[16:17], v[20:21], -v[2:3] :: v_dual_mov_b32 v18, v22
	s_delay_alu instid0(VALU_DEP_1) | instskip(NEXT) | instid1(VALU_DEP_3)
	v_xor_b32_e32 v17, 0x80000000, v3
	v_xor_b32_e32 v19, 0x80000000, v23
	s_delay_alu instid0(VALU_DEP_3)
	v_mov_b32_e32 v16, v2
	ds_store_b128 v53, v[16:19]
	v_mov_b64_e32 v[16:17], v[2:3]
	v_mov_b64_e32 v[18:19], v[22:23]
.LBB77_158:                             ;   in Loop: Header=BB77_3 Depth=1
	s_or_b32 exec_lo, exec_lo, s35
	s_wait_dscnt 0x0
	s_barrier_signal -1
	s_barrier_wait -1
	s_and_saveexec_b32 s35, s68
	s_cbranch_execz .LBB77_160
; %bb.159:                              ;   in Loop: Header=BB77_3 Depth=1
	ds_load_b128 v[20:23], v53
	ds_load_b128 v[204:207], v54 offset:9472
	s_wait_dscnt 0x0
	v_mul_f64_e32 v[2:3], v[22:23], v[206:207]
	s_delay_alu instid0(VALU_DEP_1) | instskip(SKIP_1) | instid1(VALU_DEP_2)
	v_fma_f64 v[2:3], v[20:21], v[204:205], -v[2:3]
	v_mul_f64_e32 v[20:21], v[20:21], v[206:207]
	v_add_f64_e64 v[16:17], v[16:17], -v[2:3]
	s_delay_alu instid0(VALU_DEP_2) | instskip(NEXT) | instid1(VALU_DEP_1)
	v_fmac_f64_e32 v[20:21], v[22:23], v[204:205]
	v_add_f64_e64 v[18:19], v[18:19], -v[20:21]
.LBB77_160:                             ;   in Loop: Header=BB77_3 Depth=1
	s_or_b32 exec_lo, exec_lo, s35
	s_barrier_signal -1
	s_barrier_wait -1
	s_and_saveexec_b32 s35, s69
	s_cbranch_execz .LBB77_162
; %bb.161:                              ;   in Loop: Header=BB77_3 Depth=1
	ds_load_b128 v[20:23], v1 offset:8976
	s_wait_dscnt 0x0
	v_mul_f64_e32 v[2:3], v[18:19], v[22:23]
	v_mul_f64_e32 v[22:23], v[16:17], v[22:23]
	s_delay_alu instid0(VALU_DEP_1) | instskip(NEXT) | instid1(VALU_DEP_1)
	v_fmac_f64_e32 v[22:23], v[18:19], v[20:21]
	v_dual_fma_f64 v[2:3], v[16:17], v[20:21], -v[2:3] :: v_dual_mov_b32 v18, v22
	s_delay_alu instid0(VALU_DEP_1) | instskip(NEXT) | instid1(VALU_DEP_3)
	v_xor_b32_e32 v17, 0x80000000, v3
	v_xor_b32_e32 v19, 0x80000000, v23
	s_delay_alu instid0(VALU_DEP_3)
	v_mov_b32_e32 v16, v2
	ds_store_b128 v53, v[16:19]
	v_mov_b64_e32 v[16:17], v[2:3]
	v_mov_b64_e32 v[18:19], v[22:23]
.LBB77_162:                             ;   in Loop: Header=BB77_3 Depth=1
	s_or_b32 exec_lo, exec_lo, s35
	s_wait_dscnt 0x0
	;; [unrolled: 41-line block ×3, first 2 shown]
	s_barrier_signal -1
	s_barrier_wait -1
	s_barrier_signal -1
	s_barrier_wait -1
	s_and_saveexec_b32 s35, s2
; %bb.167:                              ;   in Loop: Header=BB77_3 Depth=1
	ds_store_b128 v56, v[16:19] offset:12032
; %bb.168:                              ;   in Loop: Header=BB77_3 Depth=1
	s_or_b32 exec_lo, exec_lo, s35
	s_wait_dscnt 0x0
	s_barrier_signal -1
	s_barrier_wait -1
	s_barrier_signal -1
	s_barrier_wait -1
	s_and_saveexec_b32 s35, s71
	s_cbranch_execz .LBB77_170
; %bb.169:                              ;   in Loop: Header=BB77_3 Depth=1
	ds_load_b128 v[16:19], v114
	s_wait_dscnt 0x0
	ds_store_b128 v155, v[16:19]
	ds_load_b128 v[16:19], v117
	s_wait_dscnt 0x0
	ds_store_b128 v158, v[16:19]
	;; [unrolled: 3-line block ×4, first 2 shown]
.LBB77_170:                             ;   in Loop: Header=BB77_3 Depth=1
	s_or_b32 exec_lo, exec_lo, s35
	s_wait_dscnt 0x0
	s_barrier_signal -1
	s_barrier_wait -1
	s_and_saveexec_b32 s35, s29
	s_cbranch_execz .LBB77_172
; %bb.171:                              ;   in Loop: Header=BB77_3 Depth=1
	ds_load_b128 v[16:19], v1 offset:10032
	ds_load_b128 v[20:23], v1 offset:9504
	s_wait_dscnt 0x0
	v_mul_f64_e32 v[2:3], v[18:19], v[22:23]
	v_mul_f64_e32 v[204:205], v[16:17], v[22:23]
	s_delay_alu instid0(VALU_DEP_2) | instskip(NEXT) | instid1(VALU_DEP_2)
	v_fma_f64 v[2:3], v[16:17], v[20:21], -v[2:3]
	v_fmac_f64_e32 v[204:205], v[18:19], v[20:21]
	ds_load_b128 v[16:19], v1 offset:10016
	s_wait_dscnt 0x0
	v_mul_f64_e32 v[22:23], v[2:3], v[18:19]
	v_mul_f64_e32 v[20:21], v[204:205], v[18:19]
	s_delay_alu instid0(VALU_DEP_2) | instskip(NEXT) | instid1(VALU_DEP_2)
	v_fmac_f64_e32 v[22:23], v[16:17], v[204:205]
	v_fma_f64 v[20:21], v[16:17], v[2:3], -v[20:21]
	ds_store_b128 v1, v[20:23] offset:10016
	ds_store_b128 v1, v[20:23] offset:9520
.LBB77_172:                             ;   in Loop: Header=BB77_3 Depth=1
	s_or_b32 exec_lo, exec_lo, s35
	v_mov_b64_e32 v[16:17], 0
	v_mov_b64_e32 v[18:19], 0
	s_wait_dscnt 0x0
	s_barrier_signal -1
	s_barrier_wait -1
	global_wb scope:SCOPE_DEV
	s_wait_storecnt 0x0
	global_inv scope:SCOPE_DEV
	s_and_saveexec_b32 s35, s0
	s_cbranch_execz .LBB77_176
; %bb.173:                              ;   in Loop: Header=BB77_3 Depth=1
	ds_load_b128 v[16:19], v47 offset:10016
	ds_load_b128 v[20:23], v46 offset:9472
	s_wait_dscnt 0x0
	v_mul_f64_e32 v[2:3], v[18:19], v[22:23]
	v_mul_f64_e32 v[22:23], v[16:17], v[22:23]
	s_delay_alu instid0(VALU_DEP_2) | instskip(NEXT) | instid1(VALU_DEP_2)
	v_fma_f64 v[2:3], v[16:17], v[20:21], -v[2:3]
	v_fmac_f64_e32 v[22:23], v[18:19], v[20:21]
	s_delay_alu instid0(VALU_DEP_2) | instskip(NEXT) | instid1(VALU_DEP_2)
	v_add_f64_e32 v[16:17], 0, v[2:3]
	v_add_f64_e32 v[18:19], 0, v[22:23]
	s_and_saveexec_b32 s40, s10
	s_cbranch_execz .LBB77_175
; %bb.174:                              ;   in Loop: Header=BB77_3 Depth=1
	ds_load_b128 v[20:23], v1 offset:10032
	ds_load_b128 v[204:207], v113 offset:9984
	s_wait_dscnt 0x0
	v_mul_f64_e32 v[2:3], v[22:23], v[206:207]
	s_delay_alu instid0(VALU_DEP_1) | instskip(SKIP_1) | instid1(VALU_DEP_2)
	v_fma_f64 v[2:3], v[20:21], v[204:205], -v[2:3]
	v_mul_f64_e32 v[20:21], v[20:21], v[206:207]
	v_add_f64_e32 v[16:17], v[16:17], v[2:3]
	s_delay_alu instid0(VALU_DEP_2) | instskip(NEXT) | instid1(VALU_DEP_1)
	v_fmac_f64_e32 v[20:21], v[22:23], v[204:205]
	v_add_f64_e32 v[18:19], v[18:19], v[20:21]
.LBB77_175:                             ;   in Loop: Header=BB77_3 Depth=1
	s_or_b32 exec_lo, exec_lo, s40
.LBB77_176:                             ;   in Loop: Header=BB77_3 Depth=1
	s_delay_alu instid0(SALU_CYCLE_1)
	s_or_b32 exec_lo, exec_lo, s35
	s_and_saveexec_b32 s35, s62
	s_cbranch_execz .LBB77_178
; %bb.177:                              ;   in Loop: Header=BB77_3 Depth=1
	ds_load_b128 v[20:23], v1 offset:8976
	s_wait_dscnt 0x0
	v_mul_f64_e32 v[2:3], v[18:19], v[22:23]
	v_mul_f64_e32 v[22:23], v[16:17], v[22:23]
	s_delay_alu instid0(VALU_DEP_1) | instskip(NEXT) | instid1(VALU_DEP_1)
	v_fmac_f64_e32 v[22:23], v[18:19], v[20:21]
	v_dual_fma_f64 v[2:3], v[16:17], v[20:21], -v[2:3] :: v_dual_mov_b32 v18, v22
	s_delay_alu instid0(VALU_DEP_1) | instskip(NEXT) | instid1(VALU_DEP_3)
	v_xor_b32_e32 v17, 0x80000000, v3
	v_xor_b32_e32 v19, 0x80000000, v23
	s_delay_alu instid0(VALU_DEP_3)
	v_mov_b32_e32 v16, v2
	ds_store_b128 v25, v[16:19]
	v_mov_b64_e32 v[16:17], v[2:3]
	v_mov_b64_e32 v[18:19], v[22:23]
.LBB77_178:                             ;   in Loop: Header=BB77_3 Depth=1
	s_or_b32 exec_lo, exec_lo, s35
	s_wait_loadcnt_dscnt 0x0
	s_barrier_signal -1
	s_barrier_wait -1
	s_and_saveexec_b32 s35, s63
	s_cbranch_execz .LBB77_180
; %bb.179:                              ;   in Loop: Header=BB77_3 Depth=1
	ds_load_b128 v[20:23], v25
	ds_load_b128 v[204:207], v1 offset:8960
	s_wait_dscnt 0x0
	v_mul_f64_e32 v[2:3], v[22:23], v[206:207]
	s_delay_alu instid0(VALU_DEP_1) | instskip(SKIP_1) | instid1(VALU_DEP_2)
	v_fma_f64 v[2:3], v[20:21], v[204:205], -v[2:3]
	v_mul_f64_e32 v[20:21], v[20:21], v[206:207]
	v_add_f64_e64 v[16:17], v[16:17], -v[2:3]
	s_delay_alu instid0(VALU_DEP_2) | instskip(NEXT) | instid1(VALU_DEP_1)
	v_fmac_f64_e32 v[20:21], v[22:23], v[204:205]
	v_add_f64_e64 v[18:19], v[18:19], -v[20:21]
.LBB77_180:                             ;   in Loop: Header=BB77_3 Depth=1
	s_or_b32 exec_lo, exec_lo, s35
	s_barrier_signal -1
	s_barrier_wait -1
	s_and_saveexec_b32 s35, s63
	s_cbranch_execz .LBB77_182
; %bb.181:                              ;   in Loop: Header=BB77_3 Depth=1
	ds_load_b128 v[20:23], v1 offset:8448
	s_wait_dscnt 0x0
	v_mul_f64_e32 v[2:3], v[18:19], v[22:23]
	v_mul_f64_e32 v[22:23], v[16:17], v[22:23]
	s_delay_alu instid0(VALU_DEP_1) | instskip(NEXT) | instid1(VALU_DEP_1)
	v_fmac_f64_e32 v[22:23], v[18:19], v[20:21]
	v_dual_fma_f64 v[2:3], v[16:17], v[20:21], -v[2:3] :: v_dual_mov_b32 v18, v22
	s_delay_alu instid0(VALU_DEP_1) | instskip(NEXT) | instid1(VALU_DEP_3)
	v_xor_b32_e32 v17, 0x80000000, v3
	v_xor_b32_e32 v19, 0x80000000, v23
	s_delay_alu instid0(VALU_DEP_3)
	v_mov_b32_e32 v16, v2
	ds_store_b128 v25, v[16:19]
	v_mov_b64_e32 v[16:17], v[2:3]
	v_mov_b64_e32 v[18:19], v[22:23]
.LBB77_182:                             ;   in Loop: Header=BB77_3 Depth=1
	s_or_b32 exec_lo, exec_lo, s35
	s_wait_dscnt 0x0
	s_barrier_signal -1
	s_barrier_wait -1
	s_barrier_signal -1
	s_barrier_wait -1
	s_and_saveexec_b32 s35, s0
; %bb.183:                              ;   in Loop: Header=BB77_3 Depth=1
	ds_store_b128 v49, v[16:19] offset:9984
; %bb.184:                              ;   in Loop: Header=BB77_3 Depth=1
	s_or_b32 exec_lo, exec_lo, s35
	s_wait_dscnt 0x0
	s_barrier_signal -1
	s_barrier_wait -1
	s_barrier_signal -1
	s_barrier_wait -1
	s_and_saveexec_b32 s35, s64
	s_cbranch_execz .LBB77_186
; %bb.185:                              ;   in Loop: Header=BB77_3 Depth=1
	ds_load_b128 v[16:19], v124
	s_wait_dscnt 0x0
	ds_store_b128 v130, v[16:19]
	ds_load_b128 v[16:19], v125
	s_wait_dscnt 0x0
	ds_store_b128 v132, v[16:19]
.LBB77_186:                             ;   in Loop: Header=BB77_3 Depth=1
	s_or_b32 exec_lo, exec_lo, s35
	s_wait_dscnt 0x0
	s_barrier_signal -1
	s_barrier_wait -1
	s_and_saveexec_b32 s35, s29
	s_cbranch_execz .LBB77_188
; %bb.187:                              ;   in Loop: Header=BB77_3 Depth=1
	ds_load_b128 v[16:19], v1 offset:8976
	ds_load_b128 v[20:23], v1 offset:8448
	s_wait_dscnt 0x0
	v_mul_f64_e32 v[2:3], v[18:19], v[22:23]
	v_mul_f64_e32 v[204:205], v[16:17], v[22:23]
	s_delay_alu instid0(VALU_DEP_2) | instskip(NEXT) | instid1(VALU_DEP_2)
	v_fma_f64 v[2:3], v[16:17], v[20:21], -v[2:3]
	v_fmac_f64_e32 v[204:205], v[18:19], v[20:21]
	ds_load_b128 v[16:19], v1 offset:8960
	s_wait_dscnt 0x0
	v_mul_f64_e32 v[22:23], v[2:3], v[18:19]
	v_mul_f64_e32 v[20:21], v[204:205], v[18:19]
	s_delay_alu instid0(VALU_DEP_2) | instskip(NEXT) | instid1(VALU_DEP_2)
	v_fmac_f64_e32 v[22:23], v[16:17], v[204:205]
	v_fma_f64 v[20:21], v[16:17], v[2:3], -v[20:21]
	ds_store_b128 v1, v[20:23] offset:8960
	ds_store_b128 v1, v[20:23] offset:8464
.LBB77_188:                             ;   in Loop: Header=BB77_3 Depth=1
	s_or_b32 exec_lo, exec_lo, s35
	v_mov_b64_e32 v[18:19], 0
	v_mov_b64_e32 v[16:17], 0
	s_wait_dscnt 0x0
	s_barrier_signal -1
	s_barrier_wait -1
	global_wb scope:SCOPE_DEV
	s_wait_storecnt 0x0
	global_inv scope:SCOPE_DEV
	s_and_saveexec_b32 s35, s4
	s_cbranch_execz .LBB77_216
; %bb.189:                              ;   in Loop: Header=BB77_3 Depth=1
	ds_load_b128 v[16:19], v71 offset:16128
	ds_load_b128 v[20:23], v70 offset:8192
	s_wait_dscnt 0x0
	v_mul_f64_e32 v[2:3], v[18:19], v[22:23]
	v_mul_f64_e32 v[22:23], v[16:17], v[22:23]
	s_delay_alu instid0(VALU_DEP_2) | instskip(NEXT) | instid1(VALU_DEP_2)
	v_fma_f64 v[2:3], v[16:17], v[20:21], -v[2:3]
	v_fmac_f64_e32 v[22:23], v[18:19], v[20:21]
	s_delay_alu instid0(VALU_DEP_2) | instskip(NEXT) | instid1(VALU_DEP_2)
	v_add_f64_e32 v[16:17], 0, v[2:3]
	v_add_f64_e32 v[18:19], 0, v[22:23]
	s_mov_b32 s40, exec_lo
	v_readlane_b32 s41, v203, 13
	s_and_b32 s41, s40, s41
	s_delay_alu instid0(SALU_CYCLE_1)
	s_mov_b32 exec_lo, s41
	s_cbranch_execz .LBB77_191
; %bb.190:                              ;   in Loop: Header=BB77_3 Depth=1
	ds_load_b128 v[20:23], v71 offset:16144
	ds_load_b128 v[204:207], v70 offset:8704
	s_wait_dscnt 0x0
	v_mul_f64_e32 v[2:3], v[22:23], v[206:207]
	s_delay_alu instid0(VALU_DEP_1) | instskip(SKIP_1) | instid1(VALU_DEP_2)
	v_fma_f64 v[2:3], v[20:21], v[204:205], -v[2:3]
	v_mul_f64_e32 v[20:21], v[20:21], v[206:207]
	v_add_f64_e32 v[16:17], v[16:17], v[2:3]
	s_delay_alu instid0(VALU_DEP_2) | instskip(NEXT) | instid1(VALU_DEP_1)
	v_fmac_f64_e32 v[20:21], v[22:23], v[204:205]
	v_add_f64_e32 v[18:19], v[18:19], v[20:21]
.LBB77_191:                             ;   in Loop: Header=BB77_3 Depth=1
	s_or_b32 exec_lo, exec_lo, s40
	s_delay_alu instid0(SALU_CYCLE_1) | instskip(SKIP_2) | instid1(SALU_CYCLE_1)
	s_mov_b32 s40, exec_lo
	v_readlane_b32 s41, v203, 14
	s_and_b32 s41, s40, s41
	s_mov_b32 exec_lo, s41
	s_cbranch_execz .LBB77_193
; %bb.192:                              ;   in Loop: Header=BB77_3 Depth=1
	ds_load_b128 v[20:23], v71 offset:16160
	ds_load_b128 v[204:207], v70 offset:9216
	s_wait_dscnt 0x0
	v_mul_f64_e32 v[2:3], v[22:23], v[206:207]
	s_delay_alu instid0(VALU_DEP_1) | instskip(SKIP_1) | instid1(VALU_DEP_2)
	v_fma_f64 v[2:3], v[20:21], v[204:205], -v[2:3]
	v_mul_f64_e32 v[20:21], v[20:21], v[206:207]
	v_add_f64_e32 v[16:17], v[16:17], v[2:3]
	s_delay_alu instid0(VALU_DEP_2) | instskip(NEXT) | instid1(VALU_DEP_1)
	v_fmac_f64_e32 v[20:21], v[22:23], v[204:205]
	v_add_f64_e32 v[18:19], v[18:19], v[20:21]
.LBB77_193:                             ;   in Loop: Header=BB77_3 Depth=1
	s_or_b32 exec_lo, exec_lo, s40
	s_delay_alu instid0(SALU_CYCLE_1) | instskip(SKIP_2) | instid1(SALU_CYCLE_1)
	s_mov_b32 s40, exec_lo
	v_readlane_b32 s41, v203, 15
	s_and_b32 s41, s40, s41
	;; [unrolled: 20-line block ×10, first 2 shown]
	s_mov_b32 exec_lo, s41
	s_cbranch_execnz .LBB77_560
; %bb.210:                              ;   in Loop: Header=BB77_3 Depth=1
	s_or_b32 exec_lo, exec_lo, s40
	s_and_saveexec_b32 s40, s3
	s_cbranch_execnz .LBB77_561
.LBB77_211:                             ;   in Loop: Header=BB77_3 Depth=1
	s_or_b32 exec_lo, exec_lo, s40
	s_and_saveexec_b32 s40, s14
	s_cbranch_execnz .LBB77_562
.LBB77_212:                             ;   in Loop: Header=BB77_3 Depth=1
	s_or_b32 exec_lo, exec_lo, s40
	s_and_saveexec_b32 s40, s16
	s_cbranch_execnz .LBB77_563
.LBB77_213:                             ;   in Loop: Header=BB77_3 Depth=1
	s_or_b32 exec_lo, exec_lo, s40
	s_and_saveexec_b32 s40, s2
	s_cbranch_execz .LBB77_215
.LBB77_214:                             ;   in Loop: Header=BB77_3 Depth=1
	ds_load_b128 v[20:23], v1 offset:16368
	ds_load_b128 v[204:207], v48 offset:15872
	s_wait_dscnt 0x0
	v_mul_f64_e32 v[2:3], v[22:23], v[206:207]
	s_delay_alu instid0(VALU_DEP_1) | instskip(SKIP_1) | instid1(VALU_DEP_2)
	v_fma_f64 v[2:3], v[20:21], v[204:205], -v[2:3]
	v_mul_f64_e32 v[20:21], v[20:21], v[206:207]
	v_add_f64_e32 v[16:17], v[16:17], v[2:3]
	s_delay_alu instid0(VALU_DEP_2) | instskip(NEXT) | instid1(VALU_DEP_1)
	v_fmac_f64_e32 v[20:21], v[22:23], v[204:205]
	v_add_f64_e32 v[18:19], v[18:19], v[20:21]
.LBB77_215:                             ;   in Loop: Header=BB77_3 Depth=1
	s_or_b32 exec_lo, exec_lo, s40
.LBB77_216:                             ;   in Loop: Header=BB77_3 Depth=1
	s_delay_alu instid0(SALU_CYCLE_1) | instskip(NEXT) | instid1(SALU_CYCLE_1)
	s_or_b32 exec_lo, exec_lo, s35
	s_mov_b32 s35, exec_lo
	v_readlane_b32 s40, v203, 0
	s_and_b32 s40, s35, s40
	s_delay_alu instid0(SALU_CYCLE_1)
	s_mov_b32 exec_lo, s40
	s_cbranch_execz .LBB77_218
; %bb.217:                              ;   in Loop: Header=BB77_3 Depth=1
	ds_load_b128 v[20:23], v1 offset:7920
	s_wait_dscnt 0x0
	v_mul_f64_e32 v[2:3], v[18:19], v[22:23]
	v_mul_f64_e32 v[22:23], v[16:17], v[22:23]
	s_delay_alu instid0(VALU_DEP_1) | instskip(NEXT) | instid1(VALU_DEP_1)
	v_fmac_f64_e32 v[22:23], v[18:19], v[20:21]
	v_dual_fma_f64 v[2:3], v[16:17], v[20:21], -v[2:3] :: v_dual_mov_b32 v18, v22
	s_delay_alu instid0(VALU_DEP_1) | instskip(NEXT) | instid1(VALU_DEP_3)
	v_xor_b32_e32 v17, 0x80000000, v3
	v_xor_b32_e32 v19, 0x80000000, v23
	s_delay_alu instid0(VALU_DEP_3)
	v_mov_b32_e32 v16, v2
	ds_store_b128 v69, v[16:19]
	v_mov_b64_e32 v[16:17], v[2:3]
	v_mov_b64_e32 v[18:19], v[22:23]
.LBB77_218:                             ;   in Loop: Header=BB77_3 Depth=1
	s_or_b32 exec_lo, exec_lo, s35
	s_wait_loadcnt_dscnt 0x0
	s_barrier_signal -1
	s_barrier_wait -1
	s_mov_b32 s35, exec_lo
	v_readlane_b32 s40, v203, 1
	s_and_b32 s40, s35, s40
	s_delay_alu instid0(SALU_CYCLE_1)
	s_mov_b32 exec_lo, s40
	s_cbranch_execz .LBB77_220
; %bb.219:                              ;   in Loop: Header=BB77_3 Depth=1
	ds_load_b128 v[20:23], v69
	ds_load_b128 v[204:207], v70 offset:7680
	s_wait_dscnt 0x0
	v_mul_f64_e32 v[2:3], v[22:23], v[206:207]
	s_delay_alu instid0(VALU_DEP_1) | instskip(SKIP_1) | instid1(VALU_DEP_2)
	v_fma_f64 v[2:3], v[20:21], v[204:205], -v[2:3]
	v_mul_f64_e32 v[20:21], v[20:21], v[206:207]
	v_add_f64_e64 v[16:17], v[16:17], -v[2:3]
	s_delay_alu instid0(VALU_DEP_2) | instskip(NEXT) | instid1(VALU_DEP_1)
	v_fmac_f64_e32 v[20:21], v[22:23], v[204:205]
	v_add_f64_e64 v[18:19], v[18:19], -v[20:21]
.LBB77_220:                             ;   in Loop: Header=BB77_3 Depth=1
	s_or_b32 exec_lo, exec_lo, s35
	s_barrier_signal -1
	s_barrier_wait -1
	s_mov_b32 s35, exec_lo
	v_readlane_b32 s40, v203, 2
	s_and_b32 s40, s35, s40
	s_delay_alu instid0(SALU_CYCLE_1)
	s_mov_b32 exec_lo, s40
	s_cbranch_execz .LBB77_222
; %bb.221:                              ;   in Loop: Header=BB77_3 Depth=1
	ds_load_b128 v[20:23], v1 offset:7392
	s_wait_dscnt 0x0
	v_mul_f64_e32 v[2:3], v[18:19], v[22:23]
	v_mul_f64_e32 v[22:23], v[16:17], v[22:23]
	s_delay_alu instid0(VALU_DEP_1) | instskip(NEXT) | instid1(VALU_DEP_1)
	v_fmac_f64_e32 v[22:23], v[18:19], v[20:21]
	v_dual_fma_f64 v[2:3], v[16:17], v[20:21], -v[2:3] :: v_dual_mov_b32 v18, v22
	s_delay_alu instid0(VALU_DEP_1) | instskip(NEXT) | instid1(VALU_DEP_3)
	v_xor_b32_e32 v17, 0x80000000, v3
	v_xor_b32_e32 v19, 0x80000000, v23
	s_delay_alu instid0(VALU_DEP_3)
	v_mov_b32_e32 v16, v2
	ds_store_b128 v69, v[16:19]
	v_mov_b64_e32 v[16:17], v[2:3]
	v_mov_b64_e32 v[18:19], v[22:23]
.LBB77_222:                             ;   in Loop: Header=BB77_3 Depth=1
	s_or_b32 exec_lo, exec_lo, s35
	s_wait_dscnt 0x0
	s_barrier_signal -1
	s_barrier_wait -1
	s_mov_b32 s35, exec_lo
	v_readlane_b32 s40, v203, 3
	s_and_b32 s40, s35, s40
	s_delay_alu instid0(SALU_CYCLE_1)
	s_mov_b32 exec_lo, s40
	s_cbranch_execz .LBB77_224
; %bb.223:                              ;   in Loop: Header=BB77_3 Depth=1
	ds_load_b128 v[20:23], v69
	ds_load_b128 v[204:207], v70 offset:7168
	s_wait_dscnt 0x0
	v_mul_f64_e32 v[2:3], v[22:23], v[206:207]
	s_delay_alu instid0(VALU_DEP_1) | instskip(SKIP_1) | instid1(VALU_DEP_2)
	v_fma_f64 v[2:3], v[20:21], v[204:205], -v[2:3]
	v_mul_f64_e32 v[20:21], v[20:21], v[206:207]
	v_add_f64_e64 v[16:17], v[16:17], -v[2:3]
	s_delay_alu instid0(VALU_DEP_2) | instskip(NEXT) | instid1(VALU_DEP_1)
	v_fmac_f64_e32 v[20:21], v[22:23], v[204:205]
	v_add_f64_e64 v[18:19], v[18:19], -v[20:21]
.LBB77_224:                             ;   in Loop: Header=BB77_3 Depth=1
	s_or_b32 exec_lo, exec_lo, s35
	s_barrier_signal -1
	s_barrier_wait -1
	s_mov_b32 s35, exec_lo
	v_readlane_b32 s40, v203, 4
	s_and_b32 s40, s35, s40
	s_delay_alu instid0(SALU_CYCLE_1)
	s_mov_b32 exec_lo, s40
	s_cbranch_execz .LBB77_226
; %bb.225:                              ;   in Loop: Header=BB77_3 Depth=1
	ds_load_b128 v[20:23], v1 offset:6864
	s_wait_dscnt 0x0
	v_mul_f64_e32 v[2:3], v[18:19], v[22:23]
	v_mul_f64_e32 v[22:23], v[16:17], v[22:23]
	s_delay_alu instid0(VALU_DEP_1) | instskip(NEXT) | instid1(VALU_DEP_1)
	v_fmac_f64_e32 v[22:23], v[18:19], v[20:21]
	v_dual_fma_f64 v[2:3], v[16:17], v[20:21], -v[2:3] :: v_dual_mov_b32 v18, v22
	s_delay_alu instid0(VALU_DEP_1) | instskip(NEXT) | instid1(VALU_DEP_3)
	v_xor_b32_e32 v17, 0x80000000, v3
	v_xor_b32_e32 v19, 0x80000000, v23
	s_delay_alu instid0(VALU_DEP_3)
	v_mov_b32_e32 v16, v2
	ds_store_b128 v69, v[16:19]
	v_mov_b64_e32 v[16:17], v[2:3]
	v_mov_b64_e32 v[18:19], v[22:23]
.LBB77_226:                             ;   in Loop: Header=BB77_3 Depth=1
	s_or_b32 exec_lo, exec_lo, s35
	s_wait_dscnt 0x0
	;; [unrolled: 49-line block ×3, first 2 shown]
	s_barrier_signal -1
	s_barrier_wait -1
	s_mov_b32 s35, exec_lo
	v_readlane_b32 s40, v203, 7
	s_and_b32 s40, s35, s40
	s_delay_alu instid0(SALU_CYCLE_1)
	s_mov_b32 exec_lo, s40
	s_cbranch_execz .LBB77_232
; %bb.231:                              ;   in Loop: Header=BB77_3 Depth=1
	ds_load_b128 v[20:23], v69
	ds_load_b128 v[204:207], v70 offset:6144
	s_wait_dscnt 0x0
	v_mul_f64_e32 v[2:3], v[22:23], v[206:207]
	s_delay_alu instid0(VALU_DEP_1) | instskip(SKIP_1) | instid1(VALU_DEP_2)
	v_fma_f64 v[2:3], v[20:21], v[204:205], -v[2:3]
	v_mul_f64_e32 v[20:21], v[20:21], v[206:207]
	v_add_f64_e64 v[16:17], v[16:17], -v[2:3]
	s_delay_alu instid0(VALU_DEP_2) | instskip(NEXT) | instid1(VALU_DEP_1)
	v_fmac_f64_e32 v[20:21], v[22:23], v[204:205]
	v_add_f64_e64 v[18:19], v[18:19], -v[20:21]
.LBB77_232:                             ;   in Loop: Header=BB77_3 Depth=1
	s_or_b32 exec_lo, exec_lo, s35
	s_barrier_signal -1
	s_barrier_wait -1
	s_and_saveexec_b32 s35, s95
	s_cbranch_execz .LBB77_234
; %bb.233:                              ;   in Loop: Header=BB77_3 Depth=1
	ds_load_b128 v[20:23], v1 offset:5808
	s_wait_dscnt 0x0
	v_mul_f64_e32 v[2:3], v[18:19], v[22:23]
	v_mul_f64_e32 v[22:23], v[16:17], v[22:23]
	s_delay_alu instid0(VALU_DEP_1) | instskip(NEXT) | instid1(VALU_DEP_1)
	v_fmac_f64_e32 v[22:23], v[18:19], v[20:21]
	v_dual_fma_f64 v[2:3], v[16:17], v[20:21], -v[2:3] :: v_dual_mov_b32 v18, v22
	s_delay_alu instid0(VALU_DEP_1) | instskip(NEXT) | instid1(VALU_DEP_3)
	v_xor_b32_e32 v17, 0x80000000, v3
	v_xor_b32_e32 v19, 0x80000000, v23
	s_delay_alu instid0(VALU_DEP_3)
	v_mov_b32_e32 v16, v2
	ds_store_b128 v69, v[16:19]
	v_mov_b64_e32 v[16:17], v[2:3]
	v_mov_b64_e32 v[18:19], v[22:23]
.LBB77_234:                             ;   in Loop: Header=BB77_3 Depth=1
	s_or_b32 exec_lo, exec_lo, s35
	s_wait_dscnt 0x0
	s_barrier_signal -1
	s_barrier_wait -1
	s_and_saveexec_b32 s35, s96
	s_cbranch_execz .LBB77_236
; %bb.235:                              ;   in Loop: Header=BB77_3 Depth=1
	ds_load_b128 v[20:23], v69
	ds_load_b128 v[204:207], v70 offset:5632
	s_wait_dscnt 0x0
	v_mul_f64_e32 v[2:3], v[22:23], v[206:207]
	s_delay_alu instid0(VALU_DEP_1) | instskip(SKIP_1) | instid1(VALU_DEP_2)
	v_fma_f64 v[2:3], v[20:21], v[204:205], -v[2:3]
	v_mul_f64_e32 v[20:21], v[20:21], v[206:207]
	v_add_f64_e64 v[16:17], v[16:17], -v[2:3]
	s_delay_alu instid0(VALU_DEP_2) | instskip(NEXT) | instid1(VALU_DEP_1)
	v_fmac_f64_e32 v[20:21], v[22:23], v[204:205]
	v_add_f64_e64 v[18:19], v[18:19], -v[20:21]
.LBB77_236:                             ;   in Loop: Header=BB77_3 Depth=1
	s_or_b32 exec_lo, exec_lo, s35
	s_barrier_signal -1
	s_barrier_wait -1
	s_and_saveexec_b32 s35, s97
	s_cbranch_execz .LBB77_238
; %bb.237:                              ;   in Loop: Header=BB77_3 Depth=1
	ds_load_b128 v[20:23], v1 offset:5280
	s_wait_dscnt 0x0
	v_mul_f64_e32 v[2:3], v[18:19], v[22:23]
	v_mul_f64_e32 v[22:23], v[16:17], v[22:23]
	s_delay_alu instid0(VALU_DEP_1) | instskip(NEXT) | instid1(VALU_DEP_1)
	v_fmac_f64_e32 v[22:23], v[18:19], v[20:21]
	v_dual_fma_f64 v[2:3], v[16:17], v[20:21], -v[2:3] :: v_dual_mov_b32 v18, v22
	s_delay_alu instid0(VALU_DEP_1) | instskip(NEXT) | instid1(VALU_DEP_3)
	v_xor_b32_e32 v17, 0x80000000, v3
	v_xor_b32_e32 v19, 0x80000000, v23
	s_delay_alu instid0(VALU_DEP_3)
	v_mov_b32_e32 v16, v2
	ds_store_b128 v69, v[16:19]
	v_mov_b64_e32 v[16:17], v[2:3]
	v_mov_b64_e32 v[18:19], v[22:23]
.LBB77_238:                             ;   in Loop: Header=BB77_3 Depth=1
	s_or_b32 exec_lo, exec_lo, s35
	s_wait_dscnt 0x0
	s_barrier_signal -1
	s_barrier_wait -1
	s_and_saveexec_b32 s35, s98
	;; [unrolled: 41-line block ×5, first 2 shown]
	s_cbranch_execz .LBB77_252
; %bb.251:                              ;   in Loop: Header=BB77_3 Depth=1
	ds_load_b128 v[20:23], v69
	ds_load_b128 v[204:207], v70 offset:3584
	s_wait_dscnt 0x0
	v_mul_f64_e32 v[2:3], v[22:23], v[206:207]
	s_delay_alu instid0(VALU_DEP_1) | instskip(SKIP_1) | instid1(VALU_DEP_2)
	v_fma_f64 v[2:3], v[20:21], v[204:205], -v[2:3]
	v_mul_f64_e32 v[20:21], v[20:21], v[206:207]
	v_add_f64_e64 v[16:17], v[16:17], -v[2:3]
	s_delay_alu instid0(VALU_DEP_2) | instskip(NEXT) | instid1(VALU_DEP_1)
	v_fmac_f64_e32 v[20:21], v[22:23], v[204:205]
	v_add_f64_e64 v[18:19], v[18:19], -v[20:21]
.LBB77_252:                             ;   in Loop: Header=BB77_3 Depth=1
	s_or_b32 exec_lo, exec_lo, s35
	s_barrier_signal -1
	s_barrier_wait -1
	s_and_saveexec_b32 s35, vcc_hi
	s_cbranch_execz .LBB77_254
; %bb.253:                              ;   in Loop: Header=BB77_3 Depth=1
	ds_load_b128 v[20:23], v1 offset:3168
	s_wait_dscnt 0x0
	v_mul_f64_e32 v[2:3], v[18:19], v[22:23]
	v_mul_f64_e32 v[22:23], v[16:17], v[22:23]
	s_delay_alu instid0(VALU_DEP_1) | instskip(NEXT) | instid1(VALU_DEP_1)
	v_fmac_f64_e32 v[22:23], v[18:19], v[20:21]
	v_dual_fma_f64 v[2:3], v[16:17], v[20:21], -v[2:3] :: v_dual_mov_b32 v18, v22
	s_delay_alu instid0(VALU_DEP_1) | instskip(NEXT) | instid1(VALU_DEP_3)
	v_xor_b32_e32 v17, 0x80000000, v3
	v_xor_b32_e32 v19, 0x80000000, v23
	s_delay_alu instid0(VALU_DEP_3)
	v_mov_b32_e32 v16, v2
	ds_store_b128 v69, v[16:19]
	v_mov_b64_e32 v[16:17], v[2:3]
	v_mov_b64_e32 v[18:19], v[22:23]
.LBB77_254:                             ;   in Loop: Header=BB77_3 Depth=1
	s_or_b32 exec_lo, exec_lo, s35
	s_wait_dscnt 0x0
	s_barrier_signal -1
	s_barrier_wait -1
	s_and_saveexec_b32 s35, s18
	s_cbranch_execz .LBB77_256
; %bb.255:                              ;   in Loop: Header=BB77_3 Depth=1
	ds_load_b128 v[20:23], v69
	ds_load_b128 v[204:207], v70 offset:3072
	s_wait_dscnt 0x0
	v_mul_f64_e32 v[2:3], v[22:23], v[206:207]
	s_delay_alu instid0(VALU_DEP_1) | instskip(SKIP_1) | instid1(VALU_DEP_2)
	v_fma_f64 v[2:3], v[20:21], v[204:205], -v[2:3]
	v_mul_f64_e32 v[20:21], v[20:21], v[206:207]
	v_add_f64_e64 v[16:17], v[16:17], -v[2:3]
	s_delay_alu instid0(VALU_DEP_2) | instskip(NEXT) | instid1(VALU_DEP_1)
	v_fmac_f64_e32 v[20:21], v[22:23], v[204:205]
	v_add_f64_e64 v[18:19], v[18:19], -v[20:21]
.LBB77_256:                             ;   in Loop: Header=BB77_3 Depth=1
	s_or_b32 exec_lo, exec_lo, s35
	s_barrier_signal -1
	s_barrier_wait -1
	s_and_saveexec_b32 s35, s19
	s_cbranch_execz .LBB77_258
; %bb.257:                              ;   in Loop: Header=BB77_3 Depth=1
	ds_load_b128 v[20:23], v1 offset:2640
	s_wait_dscnt 0x0
	v_mul_f64_e32 v[2:3], v[18:19], v[22:23]
	v_mul_f64_e32 v[22:23], v[16:17], v[22:23]
	s_delay_alu instid0(VALU_DEP_1) | instskip(NEXT) | instid1(VALU_DEP_1)
	v_fmac_f64_e32 v[22:23], v[18:19], v[20:21]
	v_dual_fma_f64 v[2:3], v[16:17], v[20:21], -v[2:3] :: v_dual_mov_b32 v18, v22
	s_delay_alu instid0(VALU_DEP_1) | instskip(NEXT) | instid1(VALU_DEP_3)
	v_xor_b32_e32 v17, 0x80000000, v3
	v_xor_b32_e32 v19, 0x80000000, v23
	s_delay_alu instid0(VALU_DEP_3)
	v_mov_b32_e32 v16, v2
	ds_store_b128 v69, v[16:19]
	v_mov_b64_e32 v[16:17], v[2:3]
	v_mov_b64_e32 v[18:19], v[22:23]
.LBB77_258:                             ;   in Loop: Header=BB77_3 Depth=1
	s_or_b32 exec_lo, exec_lo, s35
	s_wait_dscnt 0x0
	s_barrier_signal -1
	s_barrier_wait -1
	s_and_saveexec_b32 s35, s20
	s_cbranch_execz .LBB77_260
; %bb.259:                              ;   in Loop: Header=BB77_3 Depth=1
	ds_load_b128 v[20:23], v69
	ds_load_b128 v[204:207], v70 offset:2560
	s_wait_dscnt 0x0
	v_mul_f64_e32 v[2:3], v[22:23], v[206:207]
	s_delay_alu instid0(VALU_DEP_1) | instskip(SKIP_1) | instid1(VALU_DEP_2)
	v_fma_f64 v[2:3], v[20:21], v[204:205], -v[2:3]
	v_mul_f64_e32 v[20:21], v[20:21], v[206:207]
	v_add_f64_e64 v[16:17], v[16:17], -v[2:3]
	s_delay_alu instid0(VALU_DEP_2) | instskip(NEXT) | instid1(VALU_DEP_1)
	v_fmac_f64_e32 v[20:21], v[22:23], v[204:205]
	v_add_f64_e64 v[18:19], v[18:19], -v[20:21]
.LBB77_260:                             ;   in Loop: Header=BB77_3 Depth=1
	s_or_b32 exec_lo, exec_lo, s35
	s_barrier_signal -1
	s_barrier_wait -1
	s_and_saveexec_b32 s35, s21
	;; [unrolled: 41-line block ×6, first 2 shown]
	s_cbranch_execz .LBB77_278
; %bb.277:                              ;   in Loop: Header=BB77_3 Depth=1
	ds_load_b128 v[20:23], v1
	s_wait_dscnt 0x0
	v_mul_f64_e32 v[2:3], v[18:19], v[22:23]
	v_mul_f64_e32 v[22:23], v[16:17], v[22:23]
	s_delay_alu instid0(VALU_DEP_1) | instskip(NEXT) | instid1(VALU_DEP_1)
	v_fmac_f64_e32 v[22:23], v[18:19], v[20:21]
	v_dual_fma_f64 v[2:3], v[16:17], v[20:21], -v[2:3] :: v_dual_mov_b32 v18, v22
	s_delay_alu instid0(VALU_DEP_1) | instskip(NEXT) | instid1(VALU_DEP_3)
	v_xor_b32_e32 v17, 0x80000000, v3
	v_xor_b32_e32 v19, 0x80000000, v23
	s_delay_alu instid0(VALU_DEP_3)
	v_mov_b32_e32 v16, v2
	ds_store_b128 v69, v[16:19]
	v_mov_b64_e32 v[16:17], v[2:3]
	v_mov_b64_e32 v[18:19], v[22:23]
.LBB77_278:                             ;   in Loop: Header=BB77_3 Depth=1
	s_or_b32 exec_lo, exec_lo, s35
	s_wait_dscnt 0x0
	s_barrier_signal -1
	s_barrier_wait -1
	s_barrier_signal -1
	s_barrier_wait -1
	s_and_saveexec_b32 s35, s4
; %bb.279:                              ;   in Loop: Header=BB77_3 Depth=1
	ds_store_b128 v72, v[16:19] offset:15872
; %bb.280:                              ;   in Loop: Header=BB77_3 Depth=1
	s_or_b32 exec_lo, exec_lo, s35
	s_wait_dscnt 0x0
	s_barrier_signal -1
	s_barrier_wait -1
	s_barrier_signal -1
	s_barrier_wait -1
	s_and_saveexec_b32 s35, s30
	s_cbranch_execz .LBB77_282
; %bb.281:                              ;   in Loop: Header=BB77_3 Depth=1
	ds_load_b128 v[16:19], v73
	s_wait_dscnt 0x0
	ds_store_b128 v159, v[16:19]
	ds_load_b128 v[16:19], v74
	s_wait_dscnt 0x0
	ds_store_b128 v160, v[16:19]
	;; [unrolled: 3-line block ×16, first 2 shown]
.LBB77_282:                             ;   in Loop: Header=BB77_3 Depth=1
	s_or_b32 exec_lo, exec_lo, s35
	s_wait_dscnt 0x0
	s_barrier_signal -1
	s_barrier_wait -1
	s_and_saveexec_b32 s35, s29
	s_cbranch_execz .LBB77_284
; %bb.283:                              ;   in Loop: Header=BB77_3 Depth=1
	ds_load_b128 v[16:19], v1 offset:7920
	ds_load_b128 v[20:23], v1 offset:7392
	s_wait_dscnt 0x0
	v_mul_f64_e32 v[2:3], v[18:19], v[22:23]
	v_mul_f64_e32 v[204:205], v[16:17], v[22:23]
	s_delay_alu instid0(VALU_DEP_2) | instskip(NEXT) | instid1(VALU_DEP_2)
	v_fma_f64 v[2:3], v[16:17], v[20:21], -v[2:3]
	v_fmac_f64_e32 v[204:205], v[18:19], v[20:21]
	ds_load_b128 v[16:19], v1 offset:7904
	s_wait_dscnt 0x0
	v_mul_f64_e32 v[22:23], v[2:3], v[18:19]
	v_mul_f64_e32 v[20:21], v[204:205], v[18:19]
	s_delay_alu instid0(VALU_DEP_2) | instskip(NEXT) | instid1(VALU_DEP_2)
	v_fmac_f64_e32 v[22:23], v[16:17], v[204:205]
	v_fma_f64 v[20:21], v[16:17], v[2:3], -v[20:21]
	ds_store_b128 v1, v[20:23] offset:7904
	ds_store_b128 v1, v[20:23] offset:7408
.LBB77_284:                             ;   in Loop: Header=BB77_3 Depth=1
	s_or_b32 exec_lo, exec_lo, s35
	v_mov_b64_e32 v[16:17], 0
	v_mov_b64_e32 v[18:19], 0
	s_wait_dscnt 0x0
	s_barrier_signal -1
	s_barrier_wait -1
	global_wb scope:SCOPE_DEV
	s_wait_storecnt 0x0
	global_inv scope:SCOPE_DEV
	s_and_saveexec_b32 s35, s0
	s_cbranch_execz .LBB77_288
; %bb.285:                              ;   in Loop: Header=BB77_3 Depth=1
	ds_load_b128 v[16:19], v47 offset:7904
	ds_load_b128 v[20:23], v46 offset:7360
	s_wait_dscnt 0x0
	v_mul_f64_e32 v[2:3], v[18:19], v[22:23]
	v_mul_f64_e32 v[22:23], v[16:17], v[22:23]
	s_delay_alu instid0(VALU_DEP_2) | instskip(NEXT) | instid1(VALU_DEP_2)
	v_fma_f64 v[2:3], v[16:17], v[20:21], -v[2:3]
	v_fmac_f64_e32 v[22:23], v[18:19], v[20:21]
	s_delay_alu instid0(VALU_DEP_2) | instskip(NEXT) | instid1(VALU_DEP_2)
	v_add_f64_e32 v[16:17], 0, v[2:3]
	v_add_f64_e32 v[18:19], 0, v[22:23]
	s_and_saveexec_b32 s40, s10
	s_cbranch_execz .LBB77_287
; %bb.286:                              ;   in Loop: Header=BB77_3 Depth=1
	ds_load_b128 v[20:23], v1 offset:7920
	ds_load_b128 v[204:207], v48 offset:7872
	s_wait_dscnt 0x0
	v_mul_f64_e32 v[2:3], v[22:23], v[206:207]
	s_delay_alu instid0(VALU_DEP_1) | instskip(SKIP_1) | instid1(VALU_DEP_2)
	v_fma_f64 v[2:3], v[20:21], v[204:205], -v[2:3]
	v_mul_f64_e32 v[20:21], v[20:21], v[206:207]
	v_add_f64_e32 v[16:17], v[16:17], v[2:3]
	s_delay_alu instid0(VALU_DEP_2) | instskip(NEXT) | instid1(VALU_DEP_1)
	v_fmac_f64_e32 v[20:21], v[22:23], v[204:205]
	v_add_f64_e32 v[18:19], v[18:19], v[20:21]
.LBB77_287:                             ;   in Loop: Header=BB77_3 Depth=1
	s_or_b32 exec_lo, exec_lo, s40
.LBB77_288:                             ;   in Loop: Header=BB77_3 Depth=1
	s_delay_alu instid0(SALU_CYCLE_1)
	s_or_b32 exec_lo, exec_lo, s35
	s_and_saveexec_b32 s35, s62
	s_cbranch_execz .LBB77_290
; %bb.289:                              ;   in Loop: Header=BB77_3 Depth=1
	ds_load_b128 v[20:23], v1 offset:6864
	s_wait_dscnt 0x0
	v_mul_f64_e32 v[2:3], v[18:19], v[22:23]
	v_mul_f64_e32 v[22:23], v[16:17], v[22:23]
	s_delay_alu instid0(VALU_DEP_1) | instskip(NEXT) | instid1(VALU_DEP_1)
	v_fmac_f64_e32 v[22:23], v[18:19], v[20:21]
	v_dual_fma_f64 v[2:3], v[16:17], v[20:21], -v[2:3] :: v_dual_mov_b32 v18, v22
	s_delay_alu instid0(VALU_DEP_1) | instskip(NEXT) | instid1(VALU_DEP_3)
	v_xor_b32_e32 v17, 0x80000000, v3
	v_xor_b32_e32 v19, 0x80000000, v23
	s_delay_alu instid0(VALU_DEP_3)
	v_mov_b32_e32 v16, v2
	ds_store_b128 v25, v[16:19]
	v_mov_b64_e32 v[16:17], v[2:3]
	v_mov_b64_e32 v[18:19], v[22:23]
.LBB77_290:                             ;   in Loop: Header=BB77_3 Depth=1
	s_or_b32 exec_lo, exec_lo, s35
	s_wait_loadcnt_dscnt 0x0
	s_barrier_signal -1
	s_barrier_wait -1
	s_and_saveexec_b32 s35, s63
	s_cbranch_execz .LBB77_292
; %bb.291:                              ;   in Loop: Header=BB77_3 Depth=1
	ds_load_b128 v[20:23], v25
	ds_load_b128 v[204:207], v1 offset:6848
	s_wait_dscnt 0x0
	v_mul_f64_e32 v[2:3], v[22:23], v[206:207]
	s_delay_alu instid0(VALU_DEP_1) | instskip(SKIP_1) | instid1(VALU_DEP_2)
	v_fma_f64 v[2:3], v[20:21], v[204:205], -v[2:3]
	v_mul_f64_e32 v[20:21], v[20:21], v[206:207]
	v_add_f64_e64 v[16:17], v[16:17], -v[2:3]
	s_delay_alu instid0(VALU_DEP_2) | instskip(NEXT) | instid1(VALU_DEP_1)
	v_fmac_f64_e32 v[20:21], v[22:23], v[204:205]
	v_add_f64_e64 v[18:19], v[18:19], -v[20:21]
.LBB77_292:                             ;   in Loop: Header=BB77_3 Depth=1
	s_or_b32 exec_lo, exec_lo, s35
	s_barrier_signal -1
	s_barrier_wait -1
	s_and_saveexec_b32 s35, s63
	s_cbranch_execz .LBB77_294
; %bb.293:                              ;   in Loop: Header=BB77_3 Depth=1
	ds_load_b128 v[20:23], v1 offset:6336
	s_wait_dscnt 0x0
	v_mul_f64_e32 v[2:3], v[18:19], v[22:23]
	v_mul_f64_e32 v[22:23], v[16:17], v[22:23]
	s_delay_alu instid0(VALU_DEP_1) | instskip(NEXT) | instid1(VALU_DEP_1)
	v_fmac_f64_e32 v[22:23], v[18:19], v[20:21]
	v_dual_fma_f64 v[2:3], v[16:17], v[20:21], -v[2:3] :: v_dual_mov_b32 v18, v22
	s_delay_alu instid0(VALU_DEP_1) | instskip(NEXT) | instid1(VALU_DEP_3)
	v_xor_b32_e32 v17, 0x80000000, v3
	v_xor_b32_e32 v19, 0x80000000, v23
	s_delay_alu instid0(VALU_DEP_3)
	v_mov_b32_e32 v16, v2
	ds_store_b128 v25, v[16:19]
	v_mov_b64_e32 v[16:17], v[2:3]
	v_mov_b64_e32 v[18:19], v[22:23]
.LBB77_294:                             ;   in Loop: Header=BB77_3 Depth=1
	s_or_b32 exec_lo, exec_lo, s35
	s_wait_dscnt 0x0
	s_barrier_signal -1
	s_barrier_wait -1
	s_barrier_signal -1
	s_barrier_wait -1
	s_and_saveexec_b32 s35, s0
; %bb.295:                              ;   in Loop: Header=BB77_3 Depth=1
	ds_store_b128 v49, v[16:19] offset:7872
; %bb.296:                              ;   in Loop: Header=BB77_3 Depth=1
	s_or_b32 exec_lo, exec_lo, s35
	s_wait_dscnt 0x0
	s_barrier_signal -1
	s_barrier_wait -1
	s_barrier_signal -1
	s_barrier_wait -1
	s_and_saveexec_b32 s35, s64
	s_cbranch_execz .LBB77_298
; %bb.297:                              ;   in Loop: Header=BB77_3 Depth=1
	ds_load_b128 v[16:19], v88
	s_wait_dscnt 0x0
	ds_store_b128 v175, v[16:19]
	ds_load_b128 v[16:19], v89
	s_wait_dscnt 0x0
	ds_store_b128 v176, v[16:19]
.LBB77_298:                             ;   in Loop: Header=BB77_3 Depth=1
	s_or_b32 exec_lo, exec_lo, s35
	s_wait_dscnt 0x0
	s_barrier_signal -1
	s_barrier_wait -1
	s_and_saveexec_b32 s35, s29
	s_cbranch_execz .LBB77_300
; %bb.299:                              ;   in Loop: Header=BB77_3 Depth=1
	ds_load_b128 v[16:19], v1 offset:6864
	ds_load_b128 v[20:23], v1 offset:6336
	s_wait_dscnt 0x0
	v_mul_f64_e32 v[2:3], v[18:19], v[22:23]
	v_mul_f64_e32 v[204:205], v[16:17], v[22:23]
	s_delay_alu instid0(VALU_DEP_2) | instskip(NEXT) | instid1(VALU_DEP_2)
	v_fma_f64 v[2:3], v[16:17], v[20:21], -v[2:3]
	v_fmac_f64_e32 v[204:205], v[18:19], v[20:21]
	ds_load_b128 v[16:19], v1 offset:6848
	s_wait_dscnt 0x0
	v_mul_f64_e32 v[22:23], v[2:3], v[18:19]
	v_mul_f64_e32 v[20:21], v[204:205], v[18:19]
	s_delay_alu instid0(VALU_DEP_2) | instskip(NEXT) | instid1(VALU_DEP_2)
	v_fmac_f64_e32 v[22:23], v[16:17], v[204:205]
	v_fma_f64 v[20:21], v[16:17], v[2:3], -v[20:21]
	ds_store_b128 v1, v[20:23] offset:6848
	ds_store_b128 v1, v[20:23] offset:6352
.LBB77_300:                             ;   in Loop: Header=BB77_3 Depth=1
	s_or_b32 exec_lo, exec_lo, s35
	v_mov_b64_e32 v[18:19], 0
	v_mov_b64_e32 v[16:17], 0
	s_wait_dscnt 0x0
	s_barrier_signal -1
	s_barrier_wait -1
	global_wb scope:SCOPE_DEV
	s_wait_storecnt 0x0
	global_inv scope:SCOPE_DEV
	s_and_saveexec_b32 s35, s2
	s_cbranch_execz .LBB77_306
; %bb.301:                              ;   in Loop: Header=BB77_3 Depth=1
	ds_load_b128 v[16:19], v55 offset:7872
	ds_load_b128 v[20:23], v54 offset:6272
	s_wait_dscnt 0x0
	v_mul_f64_e32 v[2:3], v[18:19], v[22:23]
	v_mul_f64_e32 v[22:23], v[16:17], v[22:23]
	s_delay_alu instid0(VALU_DEP_2) | instskip(NEXT) | instid1(VALU_DEP_2)
	v_fma_f64 v[2:3], v[16:17], v[20:21], -v[2:3]
	v_fmac_f64_e32 v[22:23], v[18:19], v[20:21]
	s_delay_alu instid0(VALU_DEP_2) | instskip(NEXT) | instid1(VALU_DEP_2)
	v_add_f64_e32 v[16:17], 0, v[2:3]
	v_add_f64_e32 v[18:19], 0, v[22:23]
	s_and_saveexec_b32 s40, s11
	s_cbranch_execnz .LBB77_564
; %bb.302:                              ;   in Loop: Header=BB77_3 Depth=1
	s_or_b32 exec_lo, exec_lo, s40
	s_and_saveexec_b32 s40, s12
	s_cbranch_execnz .LBB77_565
.LBB77_303:                             ;   in Loop: Header=BB77_3 Depth=1
	s_or_b32 exec_lo, exec_lo, s40
	s_and_saveexec_b32 s40, s0
	s_cbranch_execz .LBB77_305
.LBB77_304:                             ;   in Loop: Header=BB77_3 Depth=1
	ds_load_b128 v[20:23], v1 offset:7920
	ds_load_b128 v[204:207], v52 offset:7808
	s_wait_dscnt 0x0
	v_mul_f64_e32 v[2:3], v[22:23], v[206:207]
	s_delay_alu instid0(VALU_DEP_1) | instskip(SKIP_1) | instid1(VALU_DEP_2)
	v_fma_f64 v[2:3], v[20:21], v[204:205], -v[2:3]
	v_mul_f64_e32 v[20:21], v[20:21], v[206:207]
	v_add_f64_e32 v[16:17], v[16:17], v[2:3]
	s_delay_alu instid0(VALU_DEP_2) | instskip(NEXT) | instid1(VALU_DEP_1)
	v_fmac_f64_e32 v[20:21], v[22:23], v[204:205]
	v_add_f64_e32 v[18:19], v[18:19], v[20:21]
.LBB77_305:                             ;   in Loop: Header=BB77_3 Depth=1
	s_or_b32 exec_lo, exec_lo, s40
.LBB77_306:                             ;   in Loop: Header=BB77_3 Depth=1
	s_delay_alu instid0(SALU_CYCLE_1)
	s_or_b32 exec_lo, exec_lo, s35
	s_and_saveexec_b32 s35, s65
	s_cbranch_execz .LBB77_308
; %bb.307:                              ;   in Loop: Header=BB77_3 Depth=1
	ds_load_b128 v[20:23], v1 offset:5808
	s_wait_dscnt 0x0
	v_mul_f64_e32 v[2:3], v[18:19], v[22:23]
	v_mul_f64_e32 v[22:23], v[16:17], v[22:23]
	s_delay_alu instid0(VALU_DEP_1) | instskip(NEXT) | instid1(VALU_DEP_1)
	v_fmac_f64_e32 v[22:23], v[18:19], v[20:21]
	v_dual_fma_f64 v[2:3], v[16:17], v[20:21], -v[2:3] :: v_dual_mov_b32 v18, v22
	s_delay_alu instid0(VALU_DEP_1) | instskip(NEXT) | instid1(VALU_DEP_3)
	v_xor_b32_e32 v17, 0x80000000, v3
	v_xor_b32_e32 v19, 0x80000000, v23
	s_delay_alu instid0(VALU_DEP_3)
	v_mov_b32_e32 v16, v2
	ds_store_b128 v53, v[16:19]
	v_mov_b64_e32 v[16:17], v[2:3]
	v_mov_b64_e32 v[18:19], v[22:23]
.LBB77_308:                             ;   in Loop: Header=BB77_3 Depth=1
	s_or_b32 exec_lo, exec_lo, s35
	s_wait_loadcnt_dscnt 0x0
	s_barrier_signal -1
	s_barrier_wait -1
	s_and_saveexec_b32 s35, s66
	s_cbranch_execz .LBB77_310
; %bb.309:                              ;   in Loop: Header=BB77_3 Depth=1
	ds_load_b128 v[20:23], v53
	ds_load_b128 v[204:207], v54 offset:5760
	s_wait_dscnt 0x0
	v_mul_f64_e32 v[2:3], v[22:23], v[206:207]
	s_delay_alu instid0(VALU_DEP_1) | instskip(SKIP_1) | instid1(VALU_DEP_2)
	v_fma_f64 v[2:3], v[20:21], v[204:205], -v[2:3]
	v_mul_f64_e32 v[20:21], v[20:21], v[206:207]
	v_add_f64_e64 v[16:17], v[16:17], -v[2:3]
	s_delay_alu instid0(VALU_DEP_2) | instskip(NEXT) | instid1(VALU_DEP_1)
	v_fmac_f64_e32 v[20:21], v[22:23], v[204:205]
	v_add_f64_e64 v[18:19], v[18:19], -v[20:21]
.LBB77_310:                             ;   in Loop: Header=BB77_3 Depth=1
	s_or_b32 exec_lo, exec_lo, s35
	s_barrier_signal -1
	s_barrier_wait -1
	s_and_saveexec_b32 s35, s67
	s_cbranch_execz .LBB77_312
; %bb.311:                              ;   in Loop: Header=BB77_3 Depth=1
	ds_load_b128 v[20:23], v1 offset:5280
	s_wait_dscnt 0x0
	v_mul_f64_e32 v[2:3], v[18:19], v[22:23]
	v_mul_f64_e32 v[22:23], v[16:17], v[22:23]
	s_delay_alu instid0(VALU_DEP_1) | instskip(NEXT) | instid1(VALU_DEP_1)
	v_fmac_f64_e32 v[22:23], v[18:19], v[20:21]
	v_dual_fma_f64 v[2:3], v[16:17], v[20:21], -v[2:3] :: v_dual_mov_b32 v18, v22
	s_delay_alu instid0(VALU_DEP_1) | instskip(NEXT) | instid1(VALU_DEP_3)
	v_xor_b32_e32 v17, 0x80000000, v3
	v_xor_b32_e32 v19, 0x80000000, v23
	s_delay_alu instid0(VALU_DEP_3)
	v_mov_b32_e32 v16, v2
	ds_store_b128 v53, v[16:19]
	v_mov_b64_e32 v[16:17], v[2:3]
	v_mov_b64_e32 v[18:19], v[22:23]
.LBB77_312:                             ;   in Loop: Header=BB77_3 Depth=1
	s_or_b32 exec_lo, exec_lo, s35
	s_wait_dscnt 0x0
	s_barrier_signal -1
	s_barrier_wait -1
	s_and_saveexec_b32 s35, s68
	s_cbranch_execz .LBB77_314
; %bb.313:                              ;   in Loop: Header=BB77_3 Depth=1
	ds_load_b128 v[20:23], v53
	ds_load_b128 v[204:207], v54 offset:5248
	s_wait_dscnt 0x0
	v_mul_f64_e32 v[2:3], v[22:23], v[206:207]
	s_delay_alu instid0(VALU_DEP_1) | instskip(SKIP_1) | instid1(VALU_DEP_2)
	v_fma_f64 v[2:3], v[20:21], v[204:205], -v[2:3]
	v_mul_f64_e32 v[20:21], v[20:21], v[206:207]
	v_add_f64_e64 v[16:17], v[16:17], -v[2:3]
	s_delay_alu instid0(VALU_DEP_2) | instskip(NEXT) | instid1(VALU_DEP_1)
	v_fmac_f64_e32 v[20:21], v[22:23], v[204:205]
	v_add_f64_e64 v[18:19], v[18:19], -v[20:21]
.LBB77_314:                             ;   in Loop: Header=BB77_3 Depth=1
	s_or_b32 exec_lo, exec_lo, s35
	s_barrier_signal -1
	s_barrier_wait -1
	s_and_saveexec_b32 s35, s69
	s_cbranch_execz .LBB77_316
; %bb.315:                              ;   in Loop: Header=BB77_3 Depth=1
	ds_load_b128 v[20:23], v1 offset:4752
	s_wait_dscnt 0x0
	v_mul_f64_e32 v[2:3], v[18:19], v[22:23]
	v_mul_f64_e32 v[22:23], v[16:17], v[22:23]
	s_delay_alu instid0(VALU_DEP_1) | instskip(NEXT) | instid1(VALU_DEP_1)
	v_fmac_f64_e32 v[22:23], v[18:19], v[20:21]
	v_dual_fma_f64 v[2:3], v[16:17], v[20:21], -v[2:3] :: v_dual_mov_b32 v18, v22
	s_delay_alu instid0(VALU_DEP_1) | instskip(NEXT) | instid1(VALU_DEP_3)
	v_xor_b32_e32 v17, 0x80000000, v3
	v_xor_b32_e32 v19, 0x80000000, v23
	s_delay_alu instid0(VALU_DEP_3)
	v_mov_b32_e32 v16, v2
	ds_store_b128 v53, v[16:19]
	v_mov_b64_e32 v[16:17], v[2:3]
	v_mov_b64_e32 v[18:19], v[22:23]
.LBB77_316:                             ;   in Loop: Header=BB77_3 Depth=1
	s_or_b32 exec_lo, exec_lo, s35
	s_wait_dscnt 0x0
	;; [unrolled: 41-line block ×3, first 2 shown]
	s_barrier_signal -1
	s_barrier_wait -1
	s_barrier_signal -1
	s_barrier_wait -1
	s_and_saveexec_b32 s35, s2
; %bb.321:                              ;   in Loop: Header=BB77_3 Depth=1
	ds_store_b128 v56, v[16:19] offset:7808
; %bb.322:                              ;   in Loop: Header=BB77_3 Depth=1
	s_or_b32 exec_lo, exec_lo, s35
	s_wait_dscnt 0x0
	s_barrier_signal -1
	s_barrier_wait -1
	s_barrier_signal -1
	s_barrier_wait -1
	s_and_saveexec_b32 s35, s71
	s_cbranch_execz .LBB77_324
; %bb.323:                              ;   in Loop: Header=BB77_3 Depth=1
	ds_load_b128 v[16:19], v105
	s_wait_dscnt 0x0
	ds_store_b128 v177, v[16:19]
	ds_load_b128 v[16:19], v108
	s_wait_dscnt 0x0
	ds_store_b128 v180, v[16:19]
	;; [unrolled: 3-line block ×4, first 2 shown]
.LBB77_324:                             ;   in Loop: Header=BB77_3 Depth=1
	s_or_b32 exec_lo, exec_lo, s35
	s_wait_dscnt 0x0
	s_barrier_signal -1
	s_barrier_wait -1
	s_and_saveexec_b32 s35, s29
	s_cbranch_execz .LBB77_326
; %bb.325:                              ;   in Loop: Header=BB77_3 Depth=1
	ds_load_b128 v[16:19], v1 offset:5808
	ds_load_b128 v[20:23], v1 offset:5280
	s_wait_dscnt 0x0
	v_mul_f64_e32 v[2:3], v[18:19], v[22:23]
	v_mul_f64_e32 v[204:205], v[16:17], v[22:23]
	s_delay_alu instid0(VALU_DEP_2) | instskip(NEXT) | instid1(VALU_DEP_2)
	v_fma_f64 v[2:3], v[16:17], v[20:21], -v[2:3]
	v_fmac_f64_e32 v[204:205], v[18:19], v[20:21]
	ds_load_b128 v[16:19], v1 offset:5792
	s_wait_dscnt 0x0
	v_mul_f64_e32 v[22:23], v[2:3], v[18:19]
	v_mul_f64_e32 v[20:21], v[204:205], v[18:19]
	s_delay_alu instid0(VALU_DEP_2) | instskip(NEXT) | instid1(VALU_DEP_2)
	v_fmac_f64_e32 v[22:23], v[16:17], v[204:205]
	v_fma_f64 v[20:21], v[16:17], v[2:3], -v[20:21]
	ds_store_b128 v1, v[20:23] offset:5792
	ds_store_b128 v1, v[20:23] offset:5296
.LBB77_326:                             ;   in Loop: Header=BB77_3 Depth=1
	s_or_b32 exec_lo, exec_lo, s35
	v_mov_b64_e32 v[16:17], 0
	v_mov_b64_e32 v[18:19], 0
	s_wait_dscnt 0x0
	s_barrier_signal -1
	s_barrier_wait -1
	global_wb scope:SCOPE_DEV
	s_wait_storecnt 0x0
	global_inv scope:SCOPE_DEV
	s_and_saveexec_b32 s35, s0
	s_cbranch_execz .LBB77_330
; %bb.327:                              ;   in Loop: Header=BB77_3 Depth=1
	ds_load_b128 v[16:19], v47 offset:5792
	ds_load_b128 v[20:23], v46 offset:5248
	s_wait_dscnt 0x0
	v_mul_f64_e32 v[2:3], v[18:19], v[22:23]
	v_mul_f64_e32 v[22:23], v[16:17], v[22:23]
	s_delay_alu instid0(VALU_DEP_2) | instskip(NEXT) | instid1(VALU_DEP_2)
	v_fma_f64 v[2:3], v[16:17], v[20:21], -v[2:3]
	v_fmac_f64_e32 v[22:23], v[18:19], v[20:21]
	s_delay_alu instid0(VALU_DEP_2) | instskip(NEXT) | instid1(VALU_DEP_2)
	v_add_f64_e32 v[16:17], 0, v[2:3]
	v_add_f64_e32 v[18:19], 0, v[22:23]
	s_and_saveexec_b32 s40, s10
	s_cbranch_execz .LBB77_329
; %bb.328:                              ;   in Loop: Header=BB77_3 Depth=1
	ds_load_b128 v[20:23], v1 offset:5808
	ds_load_b128 v[204:207], v102 offset:5760
	s_wait_dscnt 0x0
	v_mul_f64_e32 v[2:3], v[22:23], v[206:207]
	s_delay_alu instid0(VALU_DEP_1) | instskip(SKIP_1) | instid1(VALU_DEP_2)
	v_fma_f64 v[2:3], v[20:21], v[204:205], -v[2:3]
	v_mul_f64_e32 v[20:21], v[20:21], v[206:207]
	v_add_f64_e32 v[16:17], v[16:17], v[2:3]
	s_delay_alu instid0(VALU_DEP_2) | instskip(NEXT) | instid1(VALU_DEP_1)
	v_fmac_f64_e32 v[20:21], v[22:23], v[204:205]
	v_add_f64_e32 v[18:19], v[18:19], v[20:21]
.LBB77_329:                             ;   in Loop: Header=BB77_3 Depth=1
	s_or_b32 exec_lo, exec_lo, s40
.LBB77_330:                             ;   in Loop: Header=BB77_3 Depth=1
	s_delay_alu instid0(SALU_CYCLE_1)
	s_or_b32 exec_lo, exec_lo, s35
	s_and_saveexec_b32 s35, s62
	s_cbranch_execz .LBB77_332
; %bb.331:                              ;   in Loop: Header=BB77_3 Depth=1
	ds_load_b128 v[20:23], v1 offset:4752
	s_wait_dscnt 0x0
	v_mul_f64_e32 v[2:3], v[18:19], v[22:23]
	v_mul_f64_e32 v[22:23], v[16:17], v[22:23]
	s_delay_alu instid0(VALU_DEP_1) | instskip(NEXT) | instid1(VALU_DEP_1)
	v_fmac_f64_e32 v[22:23], v[18:19], v[20:21]
	v_dual_fma_f64 v[2:3], v[16:17], v[20:21], -v[2:3] :: v_dual_mov_b32 v18, v22
	s_delay_alu instid0(VALU_DEP_1) | instskip(NEXT) | instid1(VALU_DEP_3)
	v_xor_b32_e32 v17, 0x80000000, v3
	v_xor_b32_e32 v19, 0x80000000, v23
	s_delay_alu instid0(VALU_DEP_3)
	v_mov_b32_e32 v16, v2
	ds_store_b128 v25, v[16:19]
	v_mov_b64_e32 v[16:17], v[2:3]
	v_mov_b64_e32 v[18:19], v[22:23]
.LBB77_332:                             ;   in Loop: Header=BB77_3 Depth=1
	s_or_b32 exec_lo, exec_lo, s35
	s_wait_loadcnt_dscnt 0x0
	s_barrier_signal -1
	s_barrier_wait -1
	s_and_saveexec_b32 s35, s63
	s_cbranch_execz .LBB77_334
; %bb.333:                              ;   in Loop: Header=BB77_3 Depth=1
	ds_load_b128 v[20:23], v25
	ds_load_b128 v[204:207], v1 offset:4736
	s_wait_dscnt 0x0
	v_mul_f64_e32 v[2:3], v[22:23], v[206:207]
	s_delay_alu instid0(VALU_DEP_1) | instskip(SKIP_1) | instid1(VALU_DEP_2)
	v_fma_f64 v[2:3], v[20:21], v[204:205], -v[2:3]
	v_mul_f64_e32 v[20:21], v[20:21], v[206:207]
	v_add_f64_e64 v[16:17], v[16:17], -v[2:3]
	s_delay_alu instid0(VALU_DEP_2) | instskip(NEXT) | instid1(VALU_DEP_1)
	v_fmac_f64_e32 v[20:21], v[22:23], v[204:205]
	v_add_f64_e64 v[18:19], v[18:19], -v[20:21]
.LBB77_334:                             ;   in Loop: Header=BB77_3 Depth=1
	s_or_b32 exec_lo, exec_lo, s35
	s_barrier_signal -1
	s_barrier_wait -1
	s_and_saveexec_b32 s35, s63
	s_cbranch_execz .LBB77_336
; %bb.335:                              ;   in Loop: Header=BB77_3 Depth=1
	ds_load_b128 v[20:23], v1 offset:4224
	s_wait_dscnt 0x0
	v_mul_f64_e32 v[2:3], v[18:19], v[22:23]
	v_mul_f64_e32 v[22:23], v[16:17], v[22:23]
	s_delay_alu instid0(VALU_DEP_1) | instskip(NEXT) | instid1(VALU_DEP_1)
	v_fmac_f64_e32 v[22:23], v[18:19], v[20:21]
	v_dual_fma_f64 v[2:3], v[16:17], v[20:21], -v[2:3] :: v_dual_mov_b32 v18, v22
	s_delay_alu instid0(VALU_DEP_1) | instskip(NEXT) | instid1(VALU_DEP_3)
	v_xor_b32_e32 v17, 0x80000000, v3
	v_xor_b32_e32 v19, 0x80000000, v23
	s_delay_alu instid0(VALU_DEP_3)
	v_mov_b32_e32 v16, v2
	ds_store_b128 v25, v[16:19]
	v_mov_b64_e32 v[16:17], v[2:3]
	v_mov_b64_e32 v[18:19], v[22:23]
.LBB77_336:                             ;   in Loop: Header=BB77_3 Depth=1
	s_or_b32 exec_lo, exec_lo, s35
	s_wait_dscnt 0x0
	s_barrier_signal -1
	s_barrier_wait -1
	s_barrier_signal -1
	s_barrier_wait -1
	s_and_saveexec_b32 s35, s0
; %bb.337:                              ;   in Loop: Header=BB77_3 Depth=1
	ds_store_b128 v49, v[16:19] offset:5760
; %bb.338:                              ;   in Loop: Header=BB77_3 Depth=1
	s_or_b32 exec_lo, exec_lo, s35
	s_wait_dscnt 0x0
	s_barrier_signal -1
	s_barrier_wait -1
	s_barrier_signal -1
	s_barrier_wait -1
	s_and_saveexec_b32 s35, s64
	s_cbranch_execz .LBB77_340
; %bb.339:                              ;   in Loop: Header=BB77_3 Depth=1
	ds_load_b128 v[16:19], v118
	s_wait_dscnt 0x0
	ds_store_b128 v181, v[16:19]
	ds_load_b128 v[16:19], v119
	s_wait_dscnt 0x0
	ds_store_b128 v182, v[16:19]
.LBB77_340:                             ;   in Loop: Header=BB77_3 Depth=1
	s_or_b32 exec_lo, exec_lo, s35
	s_wait_dscnt 0x0
	s_barrier_signal -1
	s_barrier_wait -1
	s_and_saveexec_b32 s35, s29
	s_cbranch_execz .LBB77_342
; %bb.341:                              ;   in Loop: Header=BB77_3 Depth=1
	ds_load_b128 v[16:19], v1 offset:4752
	ds_load_b128 v[20:23], v1 offset:4224
	s_wait_dscnt 0x0
	v_mul_f64_e32 v[2:3], v[18:19], v[22:23]
	v_mul_f64_e32 v[204:205], v[16:17], v[22:23]
	s_delay_alu instid0(VALU_DEP_2) | instskip(NEXT) | instid1(VALU_DEP_2)
	v_fma_f64 v[2:3], v[16:17], v[20:21], -v[2:3]
	v_fmac_f64_e32 v[204:205], v[18:19], v[20:21]
	ds_load_b128 v[16:19], v1 offset:4736
	s_wait_dscnt 0x0
	v_mul_f64_e32 v[22:23], v[2:3], v[18:19]
	v_mul_f64_e32 v[20:21], v[204:205], v[18:19]
	s_delay_alu instid0(VALU_DEP_2) | instskip(NEXT) | instid1(VALU_DEP_2)
	v_fmac_f64_e32 v[22:23], v[16:17], v[204:205]
	v_fma_f64 v[20:21], v[16:17], v[2:3], -v[20:21]
	ds_store_b128 v1, v[20:23] offset:4736
	ds_store_b128 v1, v[20:23] offset:4240
.LBB77_342:                             ;   in Loop: Header=BB77_3 Depth=1
	s_or_b32 exec_lo, exec_lo, s35
	v_mov_b64_e32 v[18:19], 0
	v_mov_b64_e32 v[16:17], 0
	s_wait_dscnt 0x0
	s_barrier_signal -1
	s_barrier_wait -1
	global_wb scope:SCOPE_DEV
	s_wait_storecnt 0x0
	global_inv scope:SCOPE_DEV
	s_and_saveexec_b32 s35, s3
	s_cbranch_execz .LBB77_352
; %bb.343:                              ;   in Loop: Header=BB77_3 Depth=1
	ds_load_b128 v[16:19], v59 offset:7808
	ds_load_b128 v[20:23], v58 offset:4096
	s_wait_dscnt 0x0
	v_mul_f64_e32 v[2:3], v[18:19], v[22:23]
	v_mul_f64_e32 v[22:23], v[16:17], v[22:23]
	s_delay_alu instid0(VALU_DEP_2) | instskip(NEXT) | instid1(VALU_DEP_2)
	v_fma_f64 v[2:3], v[16:17], v[20:21], -v[2:3]
	v_fmac_f64_e32 v[22:23], v[18:19], v[20:21]
	s_delay_alu instid0(VALU_DEP_2) | instskip(NEXT) | instid1(VALU_DEP_2)
	v_add_f64_e32 v[16:17], 0, v[2:3]
	v_add_f64_e32 v[18:19], 0, v[22:23]
	s_and_saveexec_b32 s40, s13
	s_cbranch_execnz .LBB77_566
; %bb.344:                              ;   in Loop: Header=BB77_3 Depth=1
	s_or_b32 exec_lo, exec_lo, s40
	s_and_saveexec_b32 s40, s14
	s_cbranch_execnz .LBB77_567
.LBB77_345:                             ;   in Loop: Header=BB77_3 Depth=1
	s_or_b32 exec_lo, exec_lo, s40
	s_and_saveexec_b32 s40, s15
	s_cbranch_execnz .LBB77_568
.LBB77_346:                             ;   in Loop: Header=BB77_3 Depth=1
	s_or_b32 exec_lo, exec_lo, s40
	s_and_saveexec_b32 s40, s16
	s_cbranch_execnz .LBB77_569
.LBB77_347:                             ;   in Loop: Header=BB77_3 Depth=1
	s_or_b32 exec_lo, exec_lo, s40
	s_and_saveexec_b32 s40, s17
	s_cbranch_execnz .LBB77_570
.LBB77_348:                             ;   in Loop: Header=BB77_3 Depth=1
	s_or_b32 exec_lo, exec_lo, s40
	s_and_saveexec_b32 s40, s2
	s_cbranch_execnz .LBB77_571
.LBB77_349:                             ;   in Loop: Header=BB77_3 Depth=1
	s_or_b32 exec_lo, exec_lo, s40
	s_and_saveexec_b32 s40, s12
	s_cbranch_execz .LBB77_351
.LBB77_350:                             ;   in Loop: Header=BB77_3 Depth=1
	ds_load_b128 v[20:23], v1 offset:7920
	ds_load_b128 v[204:207], v48 offset:7680
	s_wait_dscnt 0x0
	v_mul_f64_e32 v[2:3], v[22:23], v[206:207]
	s_delay_alu instid0(VALU_DEP_1) | instskip(SKIP_1) | instid1(VALU_DEP_2)
	v_fma_f64 v[2:3], v[20:21], v[204:205], -v[2:3]
	v_mul_f64_e32 v[20:21], v[20:21], v[206:207]
	v_add_f64_e32 v[16:17], v[16:17], v[2:3]
	s_delay_alu instid0(VALU_DEP_2) | instskip(NEXT) | instid1(VALU_DEP_1)
	v_fmac_f64_e32 v[20:21], v[22:23], v[204:205]
	v_add_f64_e32 v[18:19], v[18:19], v[20:21]
.LBB77_351:                             ;   in Loop: Header=BB77_3 Depth=1
	s_or_b32 exec_lo, exec_lo, s40
.LBB77_352:                             ;   in Loop: Header=BB77_3 Depth=1
	s_delay_alu instid0(SALU_CYCLE_1)
	s_or_b32 exec_lo, exec_lo, s35
	s_and_saveexec_b32 s35, s72
	s_cbranch_execz .LBB77_354
; %bb.353:                              ;   in Loop: Header=BB77_3 Depth=1
	ds_load_b128 v[20:23], v1 offset:3696
	s_wait_dscnt 0x0
	v_mul_f64_e32 v[2:3], v[18:19], v[22:23]
	v_mul_f64_e32 v[22:23], v[16:17], v[22:23]
	s_delay_alu instid0(VALU_DEP_1) | instskip(NEXT) | instid1(VALU_DEP_1)
	v_fmac_f64_e32 v[22:23], v[18:19], v[20:21]
	v_dual_fma_f64 v[2:3], v[16:17], v[20:21], -v[2:3] :: v_dual_mov_b32 v18, v22
	s_delay_alu instid0(VALU_DEP_1) | instskip(NEXT) | instid1(VALU_DEP_3)
	v_xor_b32_e32 v17, 0x80000000, v3
	v_xor_b32_e32 v19, 0x80000000, v23
	s_delay_alu instid0(VALU_DEP_3)
	v_mov_b32_e32 v16, v2
	ds_store_b128 v57, v[16:19]
	v_mov_b64_e32 v[16:17], v[2:3]
	v_mov_b64_e32 v[18:19], v[22:23]
.LBB77_354:                             ;   in Loop: Header=BB77_3 Depth=1
	s_or_b32 exec_lo, exec_lo, s35
	s_wait_loadcnt_dscnt 0x0
	s_barrier_signal -1
	s_barrier_wait -1
	s_and_saveexec_b32 s35, s73
	s_cbranch_execz .LBB77_356
; %bb.355:                              ;   in Loop: Header=BB77_3 Depth=1
	ds_load_b128 v[20:23], v57
	ds_load_b128 v[204:207], v58 offset:3584
	s_wait_dscnt 0x0
	v_mul_f64_e32 v[2:3], v[22:23], v[206:207]
	s_delay_alu instid0(VALU_DEP_1) | instskip(SKIP_1) | instid1(VALU_DEP_2)
	v_fma_f64 v[2:3], v[20:21], v[204:205], -v[2:3]
	v_mul_f64_e32 v[20:21], v[20:21], v[206:207]
	v_add_f64_e64 v[16:17], v[16:17], -v[2:3]
	s_delay_alu instid0(VALU_DEP_2) | instskip(NEXT) | instid1(VALU_DEP_1)
	v_fmac_f64_e32 v[20:21], v[22:23], v[204:205]
	v_add_f64_e64 v[18:19], v[18:19], -v[20:21]
.LBB77_356:                             ;   in Loop: Header=BB77_3 Depth=1
	s_or_b32 exec_lo, exec_lo, s35
	s_barrier_signal -1
	s_barrier_wait -1
	s_and_saveexec_b32 s35, s74
	s_cbranch_execz .LBB77_358
; %bb.357:                              ;   in Loop: Header=BB77_3 Depth=1
	ds_load_b128 v[20:23], v1 offset:3168
	s_wait_dscnt 0x0
	v_mul_f64_e32 v[2:3], v[18:19], v[22:23]
	v_mul_f64_e32 v[22:23], v[16:17], v[22:23]
	s_delay_alu instid0(VALU_DEP_1) | instskip(NEXT) | instid1(VALU_DEP_1)
	v_fmac_f64_e32 v[22:23], v[18:19], v[20:21]
	v_dual_fma_f64 v[2:3], v[16:17], v[20:21], -v[2:3] :: v_dual_mov_b32 v18, v22
	s_delay_alu instid0(VALU_DEP_1) | instskip(NEXT) | instid1(VALU_DEP_3)
	v_xor_b32_e32 v17, 0x80000000, v3
	v_xor_b32_e32 v19, 0x80000000, v23
	s_delay_alu instid0(VALU_DEP_3)
	v_mov_b32_e32 v16, v2
	ds_store_b128 v57, v[16:19]
	v_mov_b64_e32 v[16:17], v[2:3]
	v_mov_b64_e32 v[18:19], v[22:23]
.LBB77_358:                             ;   in Loop: Header=BB77_3 Depth=1
	s_or_b32 exec_lo, exec_lo, s35
	s_wait_dscnt 0x0
	s_barrier_signal -1
	s_barrier_wait -1
	s_and_saveexec_b32 s35, s75
	s_cbranch_execz .LBB77_360
; %bb.359:                              ;   in Loop: Header=BB77_3 Depth=1
	ds_load_b128 v[20:23], v57
	ds_load_b128 v[204:207], v58 offset:3072
	s_wait_dscnt 0x0
	v_mul_f64_e32 v[2:3], v[22:23], v[206:207]
	s_delay_alu instid0(VALU_DEP_1) | instskip(SKIP_1) | instid1(VALU_DEP_2)
	v_fma_f64 v[2:3], v[20:21], v[204:205], -v[2:3]
	v_mul_f64_e32 v[20:21], v[20:21], v[206:207]
	v_add_f64_e64 v[16:17], v[16:17], -v[2:3]
	s_delay_alu instid0(VALU_DEP_2) | instskip(NEXT) | instid1(VALU_DEP_1)
	v_fmac_f64_e32 v[20:21], v[22:23], v[204:205]
	v_add_f64_e64 v[18:19], v[18:19], -v[20:21]
.LBB77_360:                             ;   in Loop: Header=BB77_3 Depth=1
	s_or_b32 exec_lo, exec_lo, s35
	s_barrier_signal -1
	s_barrier_wait -1
	s_and_saveexec_b32 s35, s76
	s_cbranch_execz .LBB77_362
; %bb.361:                              ;   in Loop: Header=BB77_3 Depth=1
	ds_load_b128 v[20:23], v1 offset:2640
	s_wait_dscnt 0x0
	v_mul_f64_e32 v[2:3], v[18:19], v[22:23]
	v_mul_f64_e32 v[22:23], v[16:17], v[22:23]
	s_delay_alu instid0(VALU_DEP_1) | instskip(NEXT) | instid1(VALU_DEP_1)
	v_fmac_f64_e32 v[22:23], v[18:19], v[20:21]
	v_dual_fma_f64 v[2:3], v[16:17], v[20:21], -v[2:3] :: v_dual_mov_b32 v18, v22
	s_delay_alu instid0(VALU_DEP_1) | instskip(NEXT) | instid1(VALU_DEP_3)
	v_xor_b32_e32 v17, 0x80000000, v3
	v_xor_b32_e32 v19, 0x80000000, v23
	s_delay_alu instid0(VALU_DEP_3)
	v_mov_b32_e32 v16, v2
	ds_store_b128 v57, v[16:19]
	v_mov_b64_e32 v[16:17], v[2:3]
	v_mov_b64_e32 v[18:19], v[22:23]
.LBB77_362:                             ;   in Loop: Header=BB77_3 Depth=1
	s_or_b32 exec_lo, exec_lo, s35
	s_wait_dscnt 0x0
	s_barrier_signal -1
	s_barrier_wait -1
	s_and_saveexec_b32 s35, s77
	s_cbranch_execz .LBB77_364
; %bb.363:                              ;   in Loop: Header=BB77_3 Depth=1
	ds_load_b128 v[20:23], v57
	ds_load_b128 v[204:207], v58 offset:2560
	s_wait_dscnt 0x0
	v_mul_f64_e32 v[2:3], v[22:23], v[206:207]
	s_delay_alu instid0(VALU_DEP_1) | instskip(SKIP_1) | instid1(VALU_DEP_2)
	v_fma_f64 v[2:3], v[20:21], v[204:205], -v[2:3]
	v_mul_f64_e32 v[20:21], v[20:21], v[206:207]
	v_add_f64_e64 v[16:17], v[16:17], -v[2:3]
	s_delay_alu instid0(VALU_DEP_2) | instskip(NEXT) | instid1(VALU_DEP_1)
	v_fmac_f64_e32 v[20:21], v[22:23], v[204:205]
	v_add_f64_e64 v[18:19], v[18:19], -v[20:21]
.LBB77_364:                             ;   in Loop: Header=BB77_3 Depth=1
	s_or_b32 exec_lo, exec_lo, s35
	s_barrier_signal -1
	s_barrier_wait -1
	s_and_saveexec_b32 s35, s78
	s_cbranch_execz .LBB77_366
; %bb.365:                              ;   in Loop: Header=BB77_3 Depth=1
	ds_load_b128 v[20:23], v1 offset:2112
	s_wait_dscnt 0x0
	v_mul_f64_e32 v[2:3], v[18:19], v[22:23]
	v_mul_f64_e32 v[22:23], v[16:17], v[22:23]
	s_delay_alu instid0(VALU_DEP_1) | instskip(NEXT) | instid1(VALU_DEP_1)
	v_fmac_f64_e32 v[22:23], v[18:19], v[20:21]
	v_dual_fma_f64 v[2:3], v[16:17], v[20:21], -v[2:3] :: v_dual_mov_b32 v18, v22
	s_delay_alu instid0(VALU_DEP_1) | instskip(NEXT) | instid1(VALU_DEP_3)
	v_xor_b32_e32 v17, 0x80000000, v3
	v_xor_b32_e32 v19, 0x80000000, v23
	s_delay_alu instid0(VALU_DEP_3)
	v_mov_b32_e32 v16, v2
	ds_store_b128 v57, v[16:19]
	v_mov_b64_e32 v[16:17], v[2:3]
	v_mov_b64_e32 v[18:19], v[22:23]
.LBB77_366:                             ;   in Loop: Header=BB77_3 Depth=1
	s_or_b32 exec_lo, exec_lo, s35
	s_wait_dscnt 0x0
	s_barrier_signal -1
	s_barrier_wait -1
	s_and_saveexec_b32 s35, s79
	s_cbranch_execz .LBB77_368
; %bb.367:                              ;   in Loop: Header=BB77_3 Depth=1
	ds_load_b128 v[20:23], v57
	ds_load_b128 v[204:207], v58 offset:2048
	s_wait_dscnt 0x0
	v_mul_f64_e32 v[2:3], v[22:23], v[206:207]
	s_delay_alu instid0(VALU_DEP_1) | instskip(SKIP_1) | instid1(VALU_DEP_2)
	v_fma_f64 v[2:3], v[20:21], v[204:205], -v[2:3]
	v_mul_f64_e32 v[20:21], v[20:21], v[206:207]
	v_add_f64_e64 v[16:17], v[16:17], -v[2:3]
	s_delay_alu instid0(VALU_DEP_2) | instskip(NEXT) | instid1(VALU_DEP_1)
	v_fmac_f64_e32 v[20:21], v[22:23], v[204:205]
	v_add_f64_e64 v[18:19], v[18:19], -v[20:21]
.LBB77_368:                             ;   in Loop: Header=BB77_3 Depth=1
	s_or_b32 exec_lo, exec_lo, s35
	s_barrier_signal -1
	s_barrier_wait -1
	s_and_saveexec_b32 s35, s80
	s_cbranch_execz .LBB77_370
; %bb.369:                              ;   in Loop: Header=BB77_3 Depth=1
	ds_load_b128 v[20:23], v1 offset:1584
	s_wait_dscnt 0x0
	v_mul_f64_e32 v[2:3], v[18:19], v[22:23]
	v_mul_f64_e32 v[22:23], v[16:17], v[22:23]
	s_delay_alu instid0(VALU_DEP_1) | instskip(NEXT) | instid1(VALU_DEP_1)
	v_fmac_f64_e32 v[22:23], v[18:19], v[20:21]
	v_dual_fma_f64 v[2:3], v[16:17], v[20:21], -v[2:3] :: v_dual_mov_b32 v18, v22
	s_delay_alu instid0(VALU_DEP_1) | instskip(NEXT) | instid1(VALU_DEP_3)
	v_xor_b32_e32 v17, 0x80000000, v3
	v_xor_b32_e32 v19, 0x80000000, v23
	s_delay_alu instid0(VALU_DEP_3)
	v_mov_b32_e32 v16, v2
	ds_store_b128 v57, v[16:19]
	v_mov_b64_e32 v[16:17], v[2:3]
	v_mov_b64_e32 v[18:19], v[22:23]
.LBB77_370:                             ;   in Loop: Header=BB77_3 Depth=1
	s_or_b32 exec_lo, exec_lo, s35
	s_wait_dscnt 0x0
	s_barrier_signal -1
	s_barrier_wait -1
	s_and_saveexec_b32 s35, s81
	s_cbranch_execz .LBB77_372
; %bb.371:                              ;   in Loop: Header=BB77_3 Depth=1
	ds_load_b128 v[20:23], v57
	ds_load_b128 v[204:207], v58 offset:1536
	s_wait_dscnt 0x0
	v_mul_f64_e32 v[2:3], v[22:23], v[206:207]
	s_delay_alu instid0(VALU_DEP_1) | instskip(SKIP_1) | instid1(VALU_DEP_2)
	v_fma_f64 v[2:3], v[20:21], v[204:205], -v[2:3]
	v_mul_f64_e32 v[20:21], v[20:21], v[206:207]
	v_add_f64_e64 v[16:17], v[16:17], -v[2:3]
	s_delay_alu instid0(VALU_DEP_2) | instskip(NEXT) | instid1(VALU_DEP_1)
	v_fmac_f64_e32 v[20:21], v[22:23], v[204:205]
	v_add_f64_e64 v[18:19], v[18:19], -v[20:21]
.LBB77_372:                             ;   in Loop: Header=BB77_3 Depth=1
	s_or_b32 exec_lo, exec_lo, s35
	s_barrier_signal -1
	s_barrier_wait -1
	s_and_saveexec_b32 s35, s82
	s_cbranch_execz .LBB77_374
; %bb.373:                              ;   in Loop: Header=BB77_3 Depth=1
	ds_load_b128 v[20:23], v1 offset:1056
	s_wait_dscnt 0x0
	v_mul_f64_e32 v[2:3], v[18:19], v[22:23]
	v_mul_f64_e32 v[22:23], v[16:17], v[22:23]
	s_delay_alu instid0(VALU_DEP_1) | instskip(NEXT) | instid1(VALU_DEP_1)
	v_fmac_f64_e32 v[22:23], v[18:19], v[20:21]
	v_dual_fma_f64 v[2:3], v[16:17], v[20:21], -v[2:3] :: v_dual_mov_b32 v18, v22
	s_delay_alu instid0(VALU_DEP_1) | instskip(NEXT) | instid1(VALU_DEP_3)
	v_xor_b32_e32 v17, 0x80000000, v3
	v_xor_b32_e32 v19, 0x80000000, v23
	s_delay_alu instid0(VALU_DEP_3)
	v_mov_b32_e32 v16, v2
	ds_store_b128 v57, v[16:19]
	v_mov_b64_e32 v[16:17], v[2:3]
	v_mov_b64_e32 v[18:19], v[22:23]
.LBB77_374:                             ;   in Loop: Header=BB77_3 Depth=1
	s_or_b32 exec_lo, exec_lo, s35
	s_wait_dscnt 0x0
	s_barrier_signal -1
	s_barrier_wait -1
	s_and_saveexec_b32 s35, s83
	s_cbranch_execz .LBB77_376
; %bb.375:                              ;   in Loop: Header=BB77_3 Depth=1
	ds_load_b128 v[20:23], v57
	ds_load_b128 v[204:207], v58 offset:1024
	s_wait_dscnt 0x0
	v_mul_f64_e32 v[2:3], v[22:23], v[206:207]
	s_delay_alu instid0(VALU_DEP_1) | instskip(SKIP_1) | instid1(VALU_DEP_2)
	v_fma_f64 v[2:3], v[20:21], v[204:205], -v[2:3]
	v_mul_f64_e32 v[20:21], v[20:21], v[206:207]
	v_add_f64_e64 v[16:17], v[16:17], -v[2:3]
	s_delay_alu instid0(VALU_DEP_2) | instskip(NEXT) | instid1(VALU_DEP_1)
	v_fmac_f64_e32 v[20:21], v[22:23], v[204:205]
	v_add_f64_e64 v[18:19], v[18:19], -v[20:21]
.LBB77_376:                             ;   in Loop: Header=BB77_3 Depth=1
	s_or_b32 exec_lo, exec_lo, s35
	s_barrier_signal -1
	s_barrier_wait -1
	s_and_saveexec_b32 s35, s84
	s_cbranch_execz .LBB77_378
; %bb.377:                              ;   in Loop: Header=BB77_3 Depth=1
	ds_load_b128 v[20:23], v1 offset:528
	s_wait_dscnt 0x0
	v_mul_f64_e32 v[2:3], v[18:19], v[22:23]
	v_mul_f64_e32 v[22:23], v[16:17], v[22:23]
	s_delay_alu instid0(VALU_DEP_1) | instskip(NEXT) | instid1(VALU_DEP_1)
	v_fmac_f64_e32 v[22:23], v[18:19], v[20:21]
	v_dual_fma_f64 v[2:3], v[16:17], v[20:21], -v[2:3] :: v_dual_mov_b32 v18, v22
	s_delay_alu instid0(VALU_DEP_1) | instskip(NEXT) | instid1(VALU_DEP_3)
	v_xor_b32_e32 v17, 0x80000000, v3
	v_xor_b32_e32 v19, 0x80000000, v23
	s_delay_alu instid0(VALU_DEP_3)
	v_mov_b32_e32 v16, v2
	ds_store_b128 v57, v[16:19]
	v_mov_b64_e32 v[16:17], v[2:3]
	v_mov_b64_e32 v[18:19], v[22:23]
.LBB77_378:                             ;   in Loop: Header=BB77_3 Depth=1
	s_or_b32 exec_lo, exec_lo, s35
	s_wait_dscnt 0x0
	s_barrier_signal -1
	s_barrier_wait -1
	s_and_saveexec_b32 s35, s85
	s_cbranch_execz .LBB77_380
; %bb.379:                              ;   in Loop: Header=BB77_3 Depth=1
	ds_load_b128 v[20:23], v57
	ds_load_b128 v[204:207], v1 offset:512
	s_wait_dscnt 0x0
	v_mul_f64_e32 v[2:3], v[22:23], v[206:207]
	s_delay_alu instid0(VALU_DEP_1) | instskip(SKIP_1) | instid1(VALU_DEP_2)
	v_fma_f64 v[2:3], v[20:21], v[204:205], -v[2:3]
	v_mul_f64_e32 v[20:21], v[20:21], v[206:207]
	v_add_f64_e64 v[16:17], v[16:17], -v[2:3]
	s_delay_alu instid0(VALU_DEP_2) | instskip(NEXT) | instid1(VALU_DEP_1)
	v_fmac_f64_e32 v[20:21], v[22:23], v[204:205]
	v_add_f64_e64 v[18:19], v[18:19], -v[20:21]
.LBB77_380:                             ;   in Loop: Header=BB77_3 Depth=1
	s_or_b32 exec_lo, exec_lo, s35
	s_barrier_signal -1
	s_barrier_wait -1
	s_and_saveexec_b32 s35, s85
	s_cbranch_execz .LBB77_382
; %bb.381:                              ;   in Loop: Header=BB77_3 Depth=1
	ds_load_b128 v[20:23], v1
	s_wait_dscnt 0x0
	v_mul_f64_e32 v[2:3], v[18:19], v[22:23]
	v_mul_f64_e32 v[22:23], v[16:17], v[22:23]
	s_delay_alu instid0(VALU_DEP_1) | instskip(NEXT) | instid1(VALU_DEP_1)
	v_fmac_f64_e32 v[22:23], v[18:19], v[20:21]
	v_dual_fma_f64 v[2:3], v[16:17], v[20:21], -v[2:3] :: v_dual_mov_b32 v18, v22
	s_delay_alu instid0(VALU_DEP_1) | instskip(NEXT) | instid1(VALU_DEP_3)
	v_xor_b32_e32 v17, 0x80000000, v3
	v_xor_b32_e32 v19, 0x80000000, v23
	s_delay_alu instid0(VALU_DEP_3)
	v_mov_b32_e32 v16, v2
	ds_store_b128 v57, v[16:19]
	v_mov_b64_e32 v[16:17], v[2:3]
	v_mov_b64_e32 v[18:19], v[22:23]
.LBB77_382:                             ;   in Loop: Header=BB77_3 Depth=1
	s_or_b32 exec_lo, exec_lo, s35
	s_wait_dscnt 0x0
	s_barrier_signal -1
	s_barrier_wait -1
	s_barrier_signal -1
	s_barrier_wait -1
	s_and_saveexec_b32 s35, s3
; %bb.383:                              ;   in Loop: Header=BB77_3 Depth=1
	ds_store_b128 v60, v[16:19] offset:7680
; %bb.384:                              ;   in Loop: Header=BB77_3 Depth=1
	s_or_b32 exec_lo, exec_lo, s35
	s_wait_dscnt 0x0
	s_barrier_signal -1
	s_barrier_wait -1
	s_barrier_signal -1
	s_barrier_wait -1
	s_and_saveexec_b32 s35, s86
	s_cbranch_execz .LBB77_386
; %bb.385:                              ;   in Loop: Header=BB77_3 Depth=1
	ds_load_b128 v[16:19], v90
	s_wait_dscnt 0x0
	ds_store_b128 v183, v[16:19]
	ds_load_b128 v[16:19], v91
	s_wait_dscnt 0x0
	ds_store_b128 v184, v[16:19]
	;; [unrolled: 3-line block ×8, first 2 shown]
.LBB77_386:                             ;   in Loop: Header=BB77_3 Depth=1
	s_or_b32 exec_lo, exec_lo, s35
	s_wait_dscnt 0x0
	s_barrier_signal -1
	s_barrier_wait -1
	s_and_saveexec_b32 s35, s29
	s_cbranch_execz .LBB77_388
; %bb.387:                              ;   in Loop: Header=BB77_3 Depth=1
	ds_load_b128 v[16:19], v1 offset:3696
	ds_load_b128 v[20:23], v1 offset:3168
	s_wait_dscnt 0x0
	v_mul_f64_e32 v[2:3], v[18:19], v[22:23]
	v_mul_f64_e32 v[204:205], v[16:17], v[22:23]
	s_delay_alu instid0(VALU_DEP_2) | instskip(NEXT) | instid1(VALU_DEP_2)
	v_fma_f64 v[2:3], v[16:17], v[20:21], -v[2:3]
	v_fmac_f64_e32 v[204:205], v[18:19], v[20:21]
	ds_load_b128 v[16:19], v1 offset:3680
	s_wait_dscnt 0x0
	v_mul_f64_e32 v[22:23], v[2:3], v[18:19]
	v_mul_f64_e32 v[20:21], v[204:205], v[18:19]
	s_delay_alu instid0(VALU_DEP_2) | instskip(NEXT) | instid1(VALU_DEP_2)
	v_fmac_f64_e32 v[22:23], v[16:17], v[204:205]
	v_fma_f64 v[20:21], v[16:17], v[2:3], -v[20:21]
	ds_store_b128 v1, v[20:23] offset:3680
	ds_store_b128 v1, v[20:23] offset:3184
.LBB77_388:                             ;   in Loop: Header=BB77_3 Depth=1
	s_or_b32 exec_lo, exec_lo, s35
	v_mov_b64_e32 v[16:17], 0
	v_mov_b64_e32 v[18:19], 0
	s_wait_dscnt 0x0
	s_barrier_signal -1
	s_barrier_wait -1
	global_wb scope:SCOPE_DEV
	s_wait_storecnt 0x0
	global_inv scope:SCOPE_DEV
	s_and_saveexec_b32 s35, s0
	s_cbranch_execz .LBB77_392
; %bb.389:                              ;   in Loop: Header=BB77_3 Depth=1
	ds_load_b128 v[16:19], v47 offset:3680
	ds_load_b128 v[20:23], v46 offset:3136
	s_wait_dscnt 0x0
	v_mul_f64_e32 v[2:3], v[18:19], v[22:23]
	v_mul_f64_e32 v[22:23], v[16:17], v[22:23]
	s_delay_alu instid0(VALU_DEP_2) | instskip(NEXT) | instid1(VALU_DEP_2)
	v_fma_f64 v[2:3], v[16:17], v[20:21], -v[2:3]
	v_fmac_f64_e32 v[22:23], v[18:19], v[20:21]
	s_delay_alu instid0(VALU_DEP_2) | instskip(NEXT) | instid1(VALU_DEP_2)
	v_add_f64_e32 v[16:17], 0, v[2:3]
	v_add_f64_e32 v[18:19], 0, v[22:23]
	s_and_saveexec_b32 s40, s10
	s_cbranch_execz .LBB77_391
; %bb.390:                              ;   in Loop: Header=BB77_3 Depth=1
	ds_load_b128 v[20:23], v1 offset:3696
	ds_load_b128 v[204:207], v52 offset:3648
	s_wait_dscnt 0x0
	v_mul_f64_e32 v[2:3], v[22:23], v[206:207]
	s_delay_alu instid0(VALU_DEP_1) | instskip(SKIP_1) | instid1(VALU_DEP_2)
	v_fma_f64 v[2:3], v[20:21], v[204:205], -v[2:3]
	v_mul_f64_e32 v[20:21], v[20:21], v[206:207]
	v_add_f64_e32 v[16:17], v[16:17], v[2:3]
	s_delay_alu instid0(VALU_DEP_2) | instskip(NEXT) | instid1(VALU_DEP_1)
	v_fmac_f64_e32 v[20:21], v[22:23], v[204:205]
	v_add_f64_e32 v[18:19], v[18:19], v[20:21]
.LBB77_391:                             ;   in Loop: Header=BB77_3 Depth=1
	s_or_b32 exec_lo, exec_lo, s40
.LBB77_392:                             ;   in Loop: Header=BB77_3 Depth=1
	s_delay_alu instid0(SALU_CYCLE_1)
	s_or_b32 exec_lo, exec_lo, s35
	s_and_saveexec_b32 s35, s62
	s_cbranch_execz .LBB77_394
; %bb.393:                              ;   in Loop: Header=BB77_3 Depth=1
	ds_load_b128 v[20:23], v1 offset:2640
	s_wait_dscnt 0x0
	v_mul_f64_e32 v[2:3], v[18:19], v[22:23]
	v_mul_f64_e32 v[22:23], v[16:17], v[22:23]
	s_delay_alu instid0(VALU_DEP_1) | instskip(NEXT) | instid1(VALU_DEP_1)
	v_fmac_f64_e32 v[22:23], v[18:19], v[20:21]
	v_dual_fma_f64 v[2:3], v[16:17], v[20:21], -v[2:3] :: v_dual_mov_b32 v18, v22
	s_delay_alu instid0(VALU_DEP_1) | instskip(NEXT) | instid1(VALU_DEP_3)
	v_xor_b32_e32 v17, 0x80000000, v3
	v_xor_b32_e32 v19, 0x80000000, v23
	s_delay_alu instid0(VALU_DEP_3)
	v_mov_b32_e32 v16, v2
	ds_store_b128 v25, v[16:19]
	v_mov_b64_e32 v[16:17], v[2:3]
	v_mov_b64_e32 v[18:19], v[22:23]
.LBB77_394:                             ;   in Loop: Header=BB77_3 Depth=1
	s_or_b32 exec_lo, exec_lo, s35
	s_wait_loadcnt_dscnt 0x0
	s_barrier_signal -1
	s_barrier_wait -1
	s_and_saveexec_b32 s35, s63
	s_cbranch_execz .LBB77_396
; %bb.395:                              ;   in Loop: Header=BB77_3 Depth=1
	ds_load_b128 v[20:23], v25
	ds_load_b128 v[204:207], v1 offset:2624
	s_wait_dscnt 0x0
	v_mul_f64_e32 v[2:3], v[22:23], v[206:207]
	s_delay_alu instid0(VALU_DEP_1) | instskip(SKIP_1) | instid1(VALU_DEP_2)
	v_fma_f64 v[2:3], v[20:21], v[204:205], -v[2:3]
	v_mul_f64_e32 v[20:21], v[20:21], v[206:207]
	v_add_f64_e64 v[16:17], v[16:17], -v[2:3]
	s_delay_alu instid0(VALU_DEP_2) | instskip(NEXT) | instid1(VALU_DEP_1)
	v_fmac_f64_e32 v[20:21], v[22:23], v[204:205]
	v_add_f64_e64 v[18:19], v[18:19], -v[20:21]
.LBB77_396:                             ;   in Loop: Header=BB77_3 Depth=1
	s_or_b32 exec_lo, exec_lo, s35
	s_barrier_signal -1
	s_barrier_wait -1
	s_and_saveexec_b32 s35, s63
	s_cbranch_execz .LBB77_398
; %bb.397:                              ;   in Loop: Header=BB77_3 Depth=1
	ds_load_b128 v[20:23], v1 offset:2112
	s_wait_dscnt 0x0
	v_mul_f64_e32 v[2:3], v[18:19], v[22:23]
	v_mul_f64_e32 v[22:23], v[16:17], v[22:23]
	s_delay_alu instid0(VALU_DEP_1) | instskip(NEXT) | instid1(VALU_DEP_1)
	v_fmac_f64_e32 v[22:23], v[18:19], v[20:21]
	v_dual_fma_f64 v[2:3], v[16:17], v[20:21], -v[2:3] :: v_dual_mov_b32 v18, v22
	s_delay_alu instid0(VALU_DEP_1) | instskip(NEXT) | instid1(VALU_DEP_3)
	v_xor_b32_e32 v17, 0x80000000, v3
	v_xor_b32_e32 v19, 0x80000000, v23
	s_delay_alu instid0(VALU_DEP_3)
	v_mov_b32_e32 v16, v2
	ds_store_b128 v25, v[16:19]
	v_mov_b64_e32 v[16:17], v[2:3]
	v_mov_b64_e32 v[18:19], v[22:23]
.LBB77_398:                             ;   in Loop: Header=BB77_3 Depth=1
	s_or_b32 exec_lo, exec_lo, s35
	s_wait_dscnt 0x0
	s_barrier_signal -1
	s_barrier_wait -1
	s_barrier_signal -1
	s_barrier_wait -1
	s_and_saveexec_b32 s35, s0
; %bb.399:                              ;   in Loop: Header=BB77_3 Depth=1
	ds_store_b128 v49, v[16:19] offset:3648
; %bb.400:                              ;   in Loop: Header=BB77_3 Depth=1
	s_or_b32 exec_lo, exec_lo, s35
	s_wait_dscnt 0x0
	s_barrier_signal -1
	s_barrier_wait -1
	s_barrier_signal -1
	s_barrier_wait -1
	s_and_saveexec_b32 s35, s64
	s_cbranch_execz .LBB77_402
; %bb.401:                              ;   in Loop: Header=BB77_3 Depth=1
	ds_load_b128 v[16:19], v109
	s_wait_dscnt 0x0
	ds_store_b128 v191, v[16:19]
	ds_load_b128 v[16:19], v110
	s_wait_dscnt 0x0
	ds_store_b128 v192, v[16:19]
.LBB77_402:                             ;   in Loop: Header=BB77_3 Depth=1
	s_or_b32 exec_lo, exec_lo, s35
	s_wait_dscnt 0x0
	s_barrier_signal -1
	s_barrier_wait -1
	s_and_saveexec_b32 s35, s29
	s_cbranch_execz .LBB77_404
; %bb.403:                              ;   in Loop: Header=BB77_3 Depth=1
	ds_load_b128 v[16:19], v1 offset:2640
	ds_load_b128 v[20:23], v1 offset:2112
	s_wait_dscnt 0x0
	v_mul_f64_e32 v[2:3], v[18:19], v[22:23]
	v_mul_f64_e32 v[204:205], v[16:17], v[22:23]
	s_delay_alu instid0(VALU_DEP_2) | instskip(NEXT) | instid1(VALU_DEP_2)
	v_fma_f64 v[2:3], v[16:17], v[20:21], -v[2:3]
	v_fmac_f64_e32 v[204:205], v[18:19], v[20:21]
	ds_load_b128 v[16:19], v1 offset:2624
	s_wait_dscnt 0x0
	v_mul_f64_e32 v[22:23], v[2:3], v[18:19]
	v_mul_f64_e32 v[20:21], v[204:205], v[18:19]
	s_delay_alu instid0(VALU_DEP_2) | instskip(NEXT) | instid1(VALU_DEP_2)
	v_fmac_f64_e32 v[22:23], v[16:17], v[204:205]
	v_fma_f64 v[20:21], v[16:17], v[2:3], -v[20:21]
	ds_store_b128 v1, v[20:23] offset:2624
	ds_store_b128 v1, v[20:23] offset:2128
.LBB77_404:                             ;   in Loop: Header=BB77_3 Depth=1
	s_or_b32 exec_lo, exec_lo, s35
	v_mov_b64_e32 v[18:19], 0
	v_mov_b64_e32 v[16:17], 0
	s_wait_dscnt 0x0
	s_barrier_signal -1
	s_barrier_wait -1
	global_wb scope:SCOPE_DEV
	s_wait_storecnt 0x0
	global_inv scope:SCOPE_DEV
	s_and_saveexec_b32 s35, s2
	s_cbranch_execz .LBB77_410
; %bb.405:                              ;   in Loop: Header=BB77_3 Depth=1
	ds_load_b128 v[16:19], v55 offset:3648
	ds_load_b128 v[20:23], v54 offset:2048
	s_wait_dscnt 0x0
	v_mul_f64_e32 v[2:3], v[18:19], v[22:23]
	v_mul_f64_e32 v[22:23], v[16:17], v[22:23]
	s_delay_alu instid0(VALU_DEP_2) | instskip(NEXT) | instid1(VALU_DEP_2)
	v_fma_f64 v[2:3], v[16:17], v[20:21], -v[2:3]
	v_fmac_f64_e32 v[22:23], v[18:19], v[20:21]
	s_delay_alu instid0(VALU_DEP_2) | instskip(NEXT) | instid1(VALU_DEP_2)
	v_add_f64_e32 v[16:17], 0, v[2:3]
	v_add_f64_e32 v[18:19], 0, v[22:23]
	s_and_saveexec_b32 s40, s11
	s_cbranch_execnz .LBB77_572
; %bb.406:                              ;   in Loop: Header=BB77_3 Depth=1
	s_or_b32 exec_lo, exec_lo, s40
	s_and_saveexec_b32 s40, s12
	s_cbranch_execnz .LBB77_573
.LBB77_407:                             ;   in Loop: Header=BB77_3 Depth=1
	s_or_b32 exec_lo, exec_lo, s40
	s_and_saveexec_b32 s40, s0
	s_cbranch_execz .LBB77_409
.LBB77_408:                             ;   in Loop: Header=BB77_3 Depth=1
	ds_load_b128 v[20:23], v1 offset:3696
	ds_load_b128 v[204:207], v102 offset:3584
	s_wait_dscnt 0x0
	v_mul_f64_e32 v[2:3], v[22:23], v[206:207]
	s_delay_alu instid0(VALU_DEP_1) | instskip(SKIP_1) | instid1(VALU_DEP_2)
	v_fma_f64 v[2:3], v[20:21], v[204:205], -v[2:3]
	v_mul_f64_e32 v[20:21], v[20:21], v[206:207]
	v_add_f64_e32 v[16:17], v[16:17], v[2:3]
	s_delay_alu instid0(VALU_DEP_2) | instskip(NEXT) | instid1(VALU_DEP_1)
	v_fmac_f64_e32 v[20:21], v[22:23], v[204:205]
	v_add_f64_e32 v[18:19], v[18:19], v[20:21]
.LBB77_409:                             ;   in Loop: Header=BB77_3 Depth=1
	s_or_b32 exec_lo, exec_lo, s40
.LBB77_410:                             ;   in Loop: Header=BB77_3 Depth=1
	s_delay_alu instid0(SALU_CYCLE_1)
	s_or_b32 exec_lo, exec_lo, s35
	s_and_saveexec_b32 s35, s65
	s_cbranch_execz .LBB77_412
; %bb.411:                              ;   in Loop: Header=BB77_3 Depth=1
	ds_load_b128 v[20:23], v1 offset:1584
	s_wait_dscnt 0x0
	v_mul_f64_e32 v[2:3], v[18:19], v[22:23]
	v_mul_f64_e32 v[22:23], v[16:17], v[22:23]
	s_delay_alu instid0(VALU_DEP_1) | instskip(NEXT) | instid1(VALU_DEP_1)
	v_fmac_f64_e32 v[22:23], v[18:19], v[20:21]
	v_dual_fma_f64 v[2:3], v[16:17], v[20:21], -v[2:3] :: v_dual_mov_b32 v18, v22
	s_delay_alu instid0(VALU_DEP_1) | instskip(NEXT) | instid1(VALU_DEP_3)
	v_xor_b32_e32 v17, 0x80000000, v3
	v_xor_b32_e32 v19, 0x80000000, v23
	s_delay_alu instid0(VALU_DEP_3)
	v_mov_b32_e32 v16, v2
	ds_store_b128 v53, v[16:19]
	v_mov_b64_e32 v[16:17], v[2:3]
	v_mov_b64_e32 v[18:19], v[22:23]
.LBB77_412:                             ;   in Loop: Header=BB77_3 Depth=1
	s_or_b32 exec_lo, exec_lo, s35
	s_wait_loadcnt_dscnt 0x0
	s_barrier_signal -1
	s_barrier_wait -1
	s_and_saveexec_b32 s35, s66
	s_cbranch_execz .LBB77_414
; %bb.413:                              ;   in Loop: Header=BB77_3 Depth=1
	ds_load_b128 v[20:23], v53
	ds_load_b128 v[204:207], v54 offset:1536
	s_wait_dscnt 0x0
	v_mul_f64_e32 v[2:3], v[22:23], v[206:207]
	s_delay_alu instid0(VALU_DEP_1) | instskip(SKIP_1) | instid1(VALU_DEP_2)
	v_fma_f64 v[2:3], v[20:21], v[204:205], -v[2:3]
	v_mul_f64_e32 v[20:21], v[20:21], v[206:207]
	v_add_f64_e64 v[16:17], v[16:17], -v[2:3]
	s_delay_alu instid0(VALU_DEP_2) | instskip(NEXT) | instid1(VALU_DEP_1)
	v_fmac_f64_e32 v[20:21], v[22:23], v[204:205]
	v_add_f64_e64 v[18:19], v[18:19], -v[20:21]
.LBB77_414:                             ;   in Loop: Header=BB77_3 Depth=1
	s_or_b32 exec_lo, exec_lo, s35
	s_barrier_signal -1
	s_barrier_wait -1
	s_and_saveexec_b32 s35, s67
	s_cbranch_execz .LBB77_416
; %bb.415:                              ;   in Loop: Header=BB77_3 Depth=1
	ds_load_b128 v[20:23], v1 offset:1056
	s_wait_dscnt 0x0
	v_mul_f64_e32 v[2:3], v[18:19], v[22:23]
	v_mul_f64_e32 v[22:23], v[16:17], v[22:23]
	s_delay_alu instid0(VALU_DEP_1) | instskip(NEXT) | instid1(VALU_DEP_1)
	v_fmac_f64_e32 v[22:23], v[18:19], v[20:21]
	v_dual_fma_f64 v[2:3], v[16:17], v[20:21], -v[2:3] :: v_dual_mov_b32 v18, v22
	s_delay_alu instid0(VALU_DEP_1) | instskip(NEXT) | instid1(VALU_DEP_3)
	v_xor_b32_e32 v17, 0x80000000, v3
	v_xor_b32_e32 v19, 0x80000000, v23
	s_delay_alu instid0(VALU_DEP_3)
	v_mov_b32_e32 v16, v2
	ds_store_b128 v53, v[16:19]
	v_mov_b64_e32 v[16:17], v[2:3]
	v_mov_b64_e32 v[18:19], v[22:23]
.LBB77_416:                             ;   in Loop: Header=BB77_3 Depth=1
	s_or_b32 exec_lo, exec_lo, s35
	s_wait_dscnt 0x0
	s_barrier_signal -1
	s_barrier_wait -1
	s_and_saveexec_b32 s35, s68
	s_cbranch_execz .LBB77_418
; %bb.417:                              ;   in Loop: Header=BB77_3 Depth=1
	ds_load_b128 v[20:23], v53
	ds_load_b128 v[204:207], v54 offset:1024
	s_wait_dscnt 0x0
	v_mul_f64_e32 v[2:3], v[22:23], v[206:207]
	s_delay_alu instid0(VALU_DEP_1) | instskip(SKIP_1) | instid1(VALU_DEP_2)
	v_fma_f64 v[2:3], v[20:21], v[204:205], -v[2:3]
	v_mul_f64_e32 v[20:21], v[20:21], v[206:207]
	v_add_f64_e64 v[16:17], v[16:17], -v[2:3]
	s_delay_alu instid0(VALU_DEP_2) | instskip(NEXT) | instid1(VALU_DEP_1)
	v_fmac_f64_e32 v[20:21], v[22:23], v[204:205]
	v_add_f64_e64 v[18:19], v[18:19], -v[20:21]
.LBB77_418:                             ;   in Loop: Header=BB77_3 Depth=1
	s_or_b32 exec_lo, exec_lo, s35
	s_barrier_signal -1
	s_barrier_wait -1
	s_and_saveexec_b32 s35, s69
	s_cbranch_execz .LBB77_420
; %bb.419:                              ;   in Loop: Header=BB77_3 Depth=1
	ds_load_b128 v[20:23], v1 offset:528
	s_wait_dscnt 0x0
	v_mul_f64_e32 v[2:3], v[18:19], v[22:23]
	v_mul_f64_e32 v[22:23], v[16:17], v[22:23]
	s_delay_alu instid0(VALU_DEP_1) | instskip(NEXT) | instid1(VALU_DEP_1)
	v_fmac_f64_e32 v[22:23], v[18:19], v[20:21]
	v_dual_fma_f64 v[2:3], v[16:17], v[20:21], -v[2:3] :: v_dual_mov_b32 v18, v22
	s_delay_alu instid0(VALU_DEP_1) | instskip(NEXT) | instid1(VALU_DEP_3)
	v_xor_b32_e32 v17, 0x80000000, v3
	v_xor_b32_e32 v19, 0x80000000, v23
	s_delay_alu instid0(VALU_DEP_3)
	v_mov_b32_e32 v16, v2
	ds_store_b128 v53, v[16:19]
	v_mov_b64_e32 v[16:17], v[2:3]
	v_mov_b64_e32 v[18:19], v[22:23]
.LBB77_420:                             ;   in Loop: Header=BB77_3 Depth=1
	s_or_b32 exec_lo, exec_lo, s35
	s_wait_dscnt 0x0
	s_barrier_signal -1
	s_barrier_wait -1
	s_and_saveexec_b32 s35, s70
	s_cbranch_execz .LBB77_422
; %bb.421:                              ;   in Loop: Header=BB77_3 Depth=1
	ds_load_b128 v[20:23], v53
	ds_load_b128 v[204:207], v1 offset:512
	s_wait_dscnt 0x0
	v_mul_f64_e32 v[2:3], v[22:23], v[206:207]
	s_delay_alu instid0(VALU_DEP_1) | instskip(SKIP_1) | instid1(VALU_DEP_2)
	v_fma_f64 v[2:3], v[20:21], v[204:205], -v[2:3]
	v_mul_f64_e32 v[20:21], v[20:21], v[206:207]
	v_add_f64_e64 v[16:17], v[16:17], -v[2:3]
	s_delay_alu instid0(VALU_DEP_2) | instskip(NEXT) | instid1(VALU_DEP_1)
	v_fmac_f64_e32 v[20:21], v[22:23], v[204:205]
	v_add_f64_e64 v[18:19], v[18:19], -v[20:21]
.LBB77_422:                             ;   in Loop: Header=BB77_3 Depth=1
	s_or_b32 exec_lo, exec_lo, s35
	s_barrier_signal -1
	s_barrier_wait -1
	s_and_saveexec_b32 s35, s70
	s_cbranch_execz .LBB77_424
; %bb.423:                              ;   in Loop: Header=BB77_3 Depth=1
	ds_load_b128 v[20:23], v1
	s_wait_dscnt 0x0
	v_mul_f64_e32 v[2:3], v[18:19], v[22:23]
	v_mul_f64_e32 v[22:23], v[16:17], v[22:23]
	s_delay_alu instid0(VALU_DEP_1) | instskip(NEXT) | instid1(VALU_DEP_1)
	v_fmac_f64_e32 v[22:23], v[18:19], v[20:21]
	v_dual_fma_f64 v[2:3], v[16:17], v[20:21], -v[2:3] :: v_dual_mov_b32 v18, v22
	s_delay_alu instid0(VALU_DEP_1) | instskip(NEXT) | instid1(VALU_DEP_3)
	v_xor_b32_e32 v17, 0x80000000, v3
	v_xor_b32_e32 v19, 0x80000000, v23
	s_delay_alu instid0(VALU_DEP_3)
	v_mov_b32_e32 v16, v2
	ds_store_b128 v53, v[16:19]
	v_mov_b64_e32 v[16:17], v[2:3]
	v_mov_b64_e32 v[18:19], v[22:23]
.LBB77_424:                             ;   in Loop: Header=BB77_3 Depth=1
	s_or_b32 exec_lo, exec_lo, s35
	s_wait_dscnt 0x0
	s_barrier_signal -1
	s_barrier_wait -1
	s_barrier_signal -1
	s_barrier_wait -1
	s_and_saveexec_b32 s35, s2
; %bb.425:                              ;   in Loop: Header=BB77_3 Depth=1
	ds_store_b128 v56, v[16:19] offset:3584
; %bb.426:                              ;   in Loop: Header=BB77_3 Depth=1
	s_or_b32 exec_lo, exec_lo, s35
	s_wait_dscnt 0x0
	s_barrier_signal -1
	s_barrier_wait -1
	s_barrier_signal -1
	s_barrier_wait -1
	s_and_saveexec_b32 s35, s71
	s_cbranch_execz .LBB77_428
; %bb.427:                              ;   in Loop: Header=BB77_3 Depth=1
	ds_load_b128 v[16:19], v120
	s_wait_dscnt 0x0
	ds_store_b128 v193, v[16:19]
	ds_load_b128 v[16:19], v123
	s_wait_dscnt 0x0
	ds_store_b128 v196, v[16:19]
	;; [unrolled: 3-line block ×4, first 2 shown]
.LBB77_428:                             ;   in Loop: Header=BB77_3 Depth=1
	s_or_b32 exec_lo, exec_lo, s35
	s_wait_dscnt 0x0
	s_barrier_signal -1
	s_barrier_wait -1
	s_and_saveexec_b32 s35, s29
	s_cbranch_execz .LBB77_430
; %bb.429:                              ;   in Loop: Header=BB77_3 Depth=1
	ds_load_b128 v[16:19], v1 offset:1584
	ds_load_b128 v[20:23], v1 offset:1056
	s_wait_dscnt 0x0
	v_mul_f64_e32 v[2:3], v[18:19], v[22:23]
	v_mul_f64_e32 v[204:205], v[16:17], v[22:23]
	s_delay_alu instid0(VALU_DEP_2) | instskip(NEXT) | instid1(VALU_DEP_2)
	v_fma_f64 v[2:3], v[16:17], v[20:21], -v[2:3]
	v_fmac_f64_e32 v[204:205], v[18:19], v[20:21]
	ds_load_b128 v[16:19], v1 offset:1568
	s_wait_dscnt 0x0
	v_mul_f64_e32 v[22:23], v[2:3], v[18:19]
	v_mul_f64_e32 v[20:21], v[204:205], v[18:19]
	s_delay_alu instid0(VALU_DEP_2) | instskip(NEXT) | instid1(VALU_DEP_2)
	v_fmac_f64_e32 v[22:23], v[16:17], v[204:205]
	v_fma_f64 v[20:21], v[16:17], v[2:3], -v[20:21]
	ds_store_b128 v1, v[20:23] offset:1568
	ds_store_b128 v1, v[20:23] offset:1072
.LBB77_430:                             ;   in Loop: Header=BB77_3 Depth=1
	s_or_b32 exec_lo, exec_lo, s35
	v_mov_b64_e32 v[16:17], 0
	v_mov_b64_e32 v[18:19], 0
	s_wait_dscnt 0x0
	s_barrier_signal -1
	s_barrier_wait -1
	global_wb scope:SCOPE_DEV
	s_wait_storecnt 0x0
	global_inv scope:SCOPE_DEV
	s_and_saveexec_b32 s35, s0
	s_cbranch_execz .LBB77_434
; %bb.431:                              ;   in Loop: Header=BB77_3 Depth=1
	ds_load_b128 v[16:19], v47 offset:1568
	ds_load_b128 v[20:23], v46 offset:1024
	s_wait_dscnt 0x0
	v_mul_f64_e32 v[2:3], v[18:19], v[22:23]
	v_mul_f64_e32 v[22:23], v[16:17], v[22:23]
	s_delay_alu instid0(VALU_DEP_2) | instskip(NEXT) | instid1(VALU_DEP_2)
	v_fma_f64 v[2:3], v[16:17], v[20:21], -v[2:3]
	v_fmac_f64_e32 v[22:23], v[18:19], v[20:21]
	s_delay_alu instid0(VALU_DEP_2) | instskip(NEXT) | instid1(VALU_DEP_2)
	v_add_f64_e32 v[16:17], 0, v[2:3]
	v_add_f64_e32 v[18:19], 0, v[22:23]
	s_and_saveexec_b32 s40, s10
	s_cbranch_execz .LBB77_433
; %bb.432:                              ;   in Loop: Header=BB77_3 Depth=1
	ds_load_b128 v[20:23], v1 offset:1584
	ds_load_b128 v[204:207], v113 offset:1536
	s_wait_dscnt 0x0
	v_mul_f64_e32 v[2:3], v[22:23], v[206:207]
	s_delay_alu instid0(VALU_DEP_1) | instskip(SKIP_1) | instid1(VALU_DEP_2)
	v_fma_f64 v[2:3], v[20:21], v[204:205], -v[2:3]
	v_mul_f64_e32 v[20:21], v[20:21], v[206:207]
	v_add_f64_e32 v[16:17], v[16:17], v[2:3]
	s_delay_alu instid0(VALU_DEP_2) | instskip(NEXT) | instid1(VALU_DEP_1)
	v_fmac_f64_e32 v[20:21], v[22:23], v[204:205]
	v_add_f64_e32 v[18:19], v[18:19], v[20:21]
.LBB77_433:                             ;   in Loop: Header=BB77_3 Depth=1
	s_or_b32 exec_lo, exec_lo, s40
.LBB77_434:                             ;   in Loop: Header=BB77_3 Depth=1
	s_delay_alu instid0(SALU_CYCLE_1)
	s_or_b32 exec_lo, exec_lo, s35
	s_and_saveexec_b32 s35, s62
	s_cbranch_execz .LBB77_436
; %bb.435:                              ;   in Loop: Header=BB77_3 Depth=1
	ds_load_b128 v[20:23], v1 offset:528
	s_wait_dscnt 0x0
	v_mul_f64_e32 v[2:3], v[18:19], v[22:23]
	v_mul_f64_e32 v[22:23], v[16:17], v[22:23]
	s_delay_alu instid0(VALU_DEP_1) | instskip(NEXT) | instid1(VALU_DEP_1)
	v_fmac_f64_e32 v[22:23], v[18:19], v[20:21]
	v_dual_fma_f64 v[2:3], v[16:17], v[20:21], -v[2:3] :: v_dual_mov_b32 v18, v22
	s_delay_alu instid0(VALU_DEP_1) | instskip(NEXT) | instid1(VALU_DEP_3)
	v_xor_b32_e32 v17, 0x80000000, v3
	v_xor_b32_e32 v19, 0x80000000, v23
	s_delay_alu instid0(VALU_DEP_3)
	v_mov_b32_e32 v16, v2
	ds_store_b128 v25, v[16:19]
	v_mov_b64_e32 v[16:17], v[2:3]
	v_mov_b64_e32 v[18:19], v[22:23]
.LBB77_436:                             ;   in Loop: Header=BB77_3 Depth=1
	s_or_b32 exec_lo, exec_lo, s35
	s_wait_loadcnt_dscnt 0x0
	s_barrier_signal -1
	s_barrier_wait -1
	s_and_saveexec_b32 s35, s63
	s_cbranch_execz .LBB77_438
; %bb.437:                              ;   in Loop: Header=BB77_3 Depth=1
	ds_load_b128 v[20:23], v25
	ds_load_b128 v[204:207], v1 offset:512
	s_wait_dscnt 0x0
	v_mul_f64_e32 v[2:3], v[22:23], v[206:207]
	s_delay_alu instid0(VALU_DEP_1) | instskip(SKIP_1) | instid1(VALU_DEP_2)
	v_fma_f64 v[2:3], v[20:21], v[204:205], -v[2:3]
	v_mul_f64_e32 v[20:21], v[20:21], v[206:207]
	v_add_f64_e64 v[16:17], v[16:17], -v[2:3]
	s_delay_alu instid0(VALU_DEP_2) | instskip(NEXT) | instid1(VALU_DEP_1)
	v_fmac_f64_e32 v[20:21], v[22:23], v[204:205]
	v_add_f64_e64 v[18:19], v[18:19], -v[20:21]
.LBB77_438:                             ;   in Loop: Header=BB77_3 Depth=1
	s_or_b32 exec_lo, exec_lo, s35
	s_barrier_signal -1
	s_barrier_wait -1
	s_and_saveexec_b32 s35, s63
	s_cbranch_execz .LBB77_440
; %bb.439:                              ;   in Loop: Header=BB77_3 Depth=1
	ds_load_b128 v[20:23], v1
	s_wait_dscnt 0x0
	v_mul_f64_e32 v[2:3], v[18:19], v[22:23]
	v_mul_f64_e32 v[22:23], v[16:17], v[22:23]
	s_delay_alu instid0(VALU_DEP_1) | instskip(NEXT) | instid1(VALU_DEP_1)
	v_fmac_f64_e32 v[22:23], v[18:19], v[20:21]
	v_dual_fma_f64 v[2:3], v[16:17], v[20:21], -v[2:3] :: v_dual_mov_b32 v18, v22
	s_delay_alu instid0(VALU_DEP_1) | instskip(NEXT) | instid1(VALU_DEP_3)
	v_xor_b32_e32 v17, 0x80000000, v3
	v_xor_b32_e32 v19, 0x80000000, v23
	s_delay_alu instid0(VALU_DEP_3)
	v_mov_b32_e32 v16, v2
	ds_store_b128 v25, v[16:19]
	v_mov_b64_e32 v[16:17], v[2:3]
	v_mov_b64_e32 v[18:19], v[22:23]
.LBB77_440:                             ;   in Loop: Header=BB77_3 Depth=1
	s_or_b32 exec_lo, exec_lo, s35
	s_wait_dscnt 0x0
	s_barrier_signal -1
	s_barrier_wait -1
	s_barrier_signal -1
	s_barrier_wait -1
	s_and_saveexec_b32 s35, s0
; %bb.441:                              ;   in Loop: Header=BB77_3 Depth=1
	ds_store_b128 v49, v[16:19] offset:1536
; %bb.442:                              ;   in Loop: Header=BB77_3 Depth=1
	s_or_b32 exec_lo, exec_lo, s35
	s_wait_dscnt 0x0
	s_barrier_signal -1
	s_barrier_wait -1
	s_barrier_signal -1
	s_barrier_wait -1
	s_and_saveexec_b32 s35, s64
	s_cbranch_execz .LBB77_444
; %bb.443:                              ;   in Loop: Header=BB77_3 Depth=1
	ds_load_b128 v[16:19], v126
	s_wait_dscnt 0x0
	ds_store_b128 v133, v[16:19]
	ds_load_b128 v[16:19], v127
	s_wait_dscnt 0x0
	ds_store_b128 v134, v[16:19]
.LBB77_444:                             ;   in Loop: Header=BB77_3 Depth=1
	s_or_b32 exec_lo, exec_lo, s35
	s_wait_dscnt 0x0
	s_barrier_signal -1
	s_barrier_wait -1
	s_and_saveexec_b32 s35, s29
	s_cbranch_execz .LBB77_446
; %bb.445:                              ;   in Loop: Header=BB77_3 Depth=1
	ds_load_b128 v[16:19], v1 offset:528
	ds_load_b128 v[20:23], v1
	s_wait_dscnt 0x0
	v_mul_f64_e32 v[2:3], v[18:19], v[22:23]
	v_mul_f64_e32 v[204:205], v[16:17], v[22:23]
	s_delay_alu instid0(VALU_DEP_2) | instskip(NEXT) | instid1(VALU_DEP_2)
	v_fma_f64 v[2:3], v[16:17], v[20:21], -v[2:3]
	v_fmac_f64_e32 v[204:205], v[18:19], v[20:21]
	ds_load_b128 v[16:19], v1 offset:512
	s_wait_dscnt 0x0
	v_mul_f64_e32 v[22:23], v[2:3], v[18:19]
	v_mul_f64_e32 v[20:21], v[204:205], v[18:19]
	s_delay_alu instid0(VALU_DEP_2) | instskip(NEXT) | instid1(VALU_DEP_2)
	v_fmac_f64_e32 v[22:23], v[16:17], v[204:205]
	v_fma_f64 v[20:21], v[16:17], v[2:3], -v[20:21]
	ds_store_b128 v1, v[20:23] offset:512
	ds_store_b128 v1, v[20:23] offset:16
.LBB77_446:                             ;   in Loop: Header=BB77_3 Depth=1
	s_or_b32 exec_lo, exec_lo, s35
.LBB77_447:                             ;   in Loop: Header=BB77_3 Depth=1
	v_mov_b64_e32 v[16:17], 0
	v_mov_b64_e32 v[18:19], 0
	s_mul_u64 s[40:41], s[52:53], s[56:57]
	s_wait_dscnt 0x0
	s_lshl_b64 s[40:41], s[40:41], 4
	s_barrier_signal -1
	s_add_nc_u64 s[40:41], s[38:39], s[40:41]
	s_barrier_wait -1
	s_and_saveexec_b32 s35, s8
	s_cbranch_execz .LBB77_449
; %bb.448:                              ;   in Loop: Header=BB77_3 Depth=1
	v_lshl_add_u64 v[2:3], v[38:39], 4, s[40:41]
	global_load_b128 v[18:21], v[2:3], off
	s_wait_loadcnt 0x0
	v_mul_f64_e32 v[2:3], v[12:13], v[18:19]
	s_delay_alu instid0(VALU_DEP_1) | instskip(SKIP_1) | instid1(VALU_DEP_1)
	v_fma_f64 v[16:17], v[14:15], v[20:21], -v[2:3]
	v_mul_f64_e32 v[2:3], v[12:13], v[20:21]
	v_fma_f64 v[18:19], v[18:19], -v[14:15], -v[2:3]
.LBB77_449:                             ;   in Loop: Header=BB77_3 Depth=1
	s_or_b32 exec_lo, exec_lo, s35
	s_delay_alu instid0(SALU_CYCLE_1)
	s_and_not1_b32 vcc_lo, exec_lo, s9
	s_cbranch_vccnz .LBB77_472
; %bb.450:                              ;   in Loop: Header=BB77_3 Depth=1
	v_mov_b32_e32 v20, -1
	s_lshl_b64 s[46:47], s[56:57], 2
	s_mov_b32 s91, 0
	s_add_nc_u64 s[46:47], s[54:55], s[46:47]
	s_branch .LBB77_453
.LBB77_451:                             ;   in Loop: Header=BB77_453 Depth=2
	ds_load_b128 v[204:207], v129 offset:256
	s_wait_loadcnt_dscnt 0x0
	v_mul_f64_e32 v[2:3], v[14:15], v[206:207]
	s_delay_alu instid0(VALU_DEP_1) | instskip(SKIP_1) | instid1(VALU_DEP_2)
	v_fma_f64 v[2:3], v[12:13], v[204:205], -v[2:3]
	v_mul_f64_e32 v[12:13], v[12:13], v[206:207]
	v_add_f64_e32 v[16:17], v[16:17], v[2:3]
	s_delay_alu instid0(VALU_DEP_2) | instskip(NEXT) | instid1(VALU_DEP_1)
	v_fmac_f64_e32 v[12:13], v[14:15], v[204:205]
	v_add_f64_e32 v[18:19], v[18:19], v[12:13]
.LBB77_452:                             ;   in Loop: Header=BB77_453 Depth=2
	s_or_b32 exec_lo, exec_lo, s35
	s_add_co_i32 s91, s91, 1
	s_delay_alu instid0(SALU_CYCLE_1)
	s_cmp_eq_u32 s91, s48
	s_cbranch_scc1 .LBB77_472
.LBB77_453:                             ;   Parent Loop BB77_3 Depth=1
                                        ; =>  This Loop Header: Depth=2
                                        ;       Child Loop BB77_455 Depth 3
	v_cmp_gt_i32_e32 vcc_lo, s91, v20
	s_and_b32 s92, s33, vcc_lo
	s_delay_alu instid0(SALU_CYCLE_1)
	s_and_saveexec_b32 s35, s92
	s_cbranch_execz .LBB77_456
; %bb.454:                              ;   in Loop: Header=BB77_453 Depth=2
	global_load_b32 v20, v1, s[46:47]
	s_wait_loadcnt 0x0
	v_cmp_le_i32_e32 vcc_lo, s91, v20
	s_cbranch_vccnz .LBB77_456
.LBB77_455:                             ;   Parent Loop BB77_3 Depth=1
                                        ;     Parent Loop BB77_453 Depth=2
                                        ; =>    This Inner Loop Header: Depth=3
	global_wb scope:SCOPE_DEV
	s_wait_storecnt 0x0
	global_inv scope:SCOPE_DEV
	global_load_b32 v20, v1, s[46:47]
	s_wait_loadcnt 0x0
	v_cmp_gt_i32_e32 vcc_lo, s91, v20
	s_cbranch_vccnz .LBB77_455
.LBB77_456:                             ;   in Loop: Header=BB77_453 Depth=2
	s_or_b32 exec_lo, exec_lo, s35
	s_lshl_b32 s35, s91, 5
	global_wb scope:SCOPE_DEV
	s_wait_storecnt 0x0
	global_inv scope:SCOPE_DEV
	s_wait_loadcnt 0x0
	s_barrier_signal -1
	s_barrier_wait -1
	s_and_saveexec_b32 s92, s34
	s_cbranch_execz .LBB77_461
; %bb.457:                              ;   in Loop: Header=BB77_453 Depth=2
	v_or_b32_e32 v0, s35, v26
	s_delay_alu instid0(VALU_DEP_1) | instskip(SKIP_1) | instid1(SALU_CYCLE_1)
	v_cmp_le_i32_e32 vcc_lo, s59, v0
	s_and_saveexec_b32 s93, vcc_lo
	s_xor_b32 vcc_lo, exec_lo, s93
; %bb.458:                              ;   in Loop: Header=BB77_453 Depth=2
	v_dual_mov_b32 v0, v1 :: v_dual_mov_b32 v2, v1
	v_mov_b32_e32 v3, v1
	ds_store_b128 v197, v[0:3]
; %bb.459:                              ;   in Loop: Header=BB77_453 Depth=2
	s_and_not1_saveexec_b32 s93, vcc_lo
	s_cbranch_execz .LBB77_461
; %bb.460:                              ;   in Loop: Header=BB77_453 Depth=2
	v_mul_u64_e32 v[2:3], s[50:51], v[0:1]
	s_delay_alu instid0(VALU_DEP_1)
	v_lshl_add_u64 v[2:3], v[2:3], 4, s[40:41]
	global_load_b128 v[12:15], v[2:3], off
	s_wait_loadcnt 0x0
	ds_store_2addr_b64 v197, v[12:13], v[14:15] offset1:1
.LBB77_461:                             ;   in Loop: Header=BB77_453 Depth=2
	s_or_b32 exec_lo, exec_lo, s92
	v_add_nc_u32_e32 v0, s35, v44
	v_cmp_ne_u32_e32 vcc_lo, s91, v45
	s_wait_dscnt 0x0
	s_barrier_signal -1
	s_barrier_wait -1
	v_cmp_gt_i32_e64 s35, s59, v0
	v_lshl_add_u64 v[2:3], v[0:1], 4, v[42:43]
	v_cndmask_b32_e64 v21, 0, 1, vcc_lo
	s_and_b32 s92, s35, s5
	s_delay_alu instid0(SALU_CYCLE_1)
	s_and_saveexec_b32 s35, s92
	s_cbranch_execz .LBB77_467
; %bb.462:                              ;   in Loop: Header=BB77_453 Depth=2
	v_mov_b64_e32 v[12:13], v[4:5]
	s_and_not1_b32 vcc_lo, exec_lo, vcc_lo
	s_cbranch_vccnz .LBB77_464
; %bb.463:                              ;   in Loop: Header=BB77_453 Depth=2
	global_load_b64 v[12:13], v[2:3], off
.LBB77_464:                             ;   in Loop: Header=BB77_453 Depth=2
	v_cmp_ne_u32_e32 vcc_lo, 1, v21
	v_mov_b64_e32 v[14:15], v[6:7]
	s_cbranch_vccnz .LBB77_466
; %bb.465:                              ;   in Loop: Header=BB77_453 Depth=2
	global_load_b64 v[14:15], v[2:3], off offset:8
.LBB77_466:                             ;   in Loop: Header=BB77_453 Depth=2
	ds_load_b128 v[204:207], v129
	s_wait_loadcnt_dscnt 0x0
	v_mul_f64_e32 v[22:23], v[14:15], v[206:207]
	s_delay_alu instid0(VALU_DEP_1) | instskip(SKIP_1) | instid1(VALU_DEP_2)
	v_fma_f64 v[22:23], v[12:13], v[204:205], -v[22:23]
	v_mul_f64_e32 v[12:13], v[12:13], v[206:207]
	v_add_f64_e32 v[16:17], v[16:17], v[22:23]
	s_delay_alu instid0(VALU_DEP_2) | instskip(NEXT) | instid1(VALU_DEP_1)
	v_fmac_f64_e32 v[12:13], v[14:15], v[204:205]
	v_add_f64_e32 v[18:19], v[18:19], v[12:13]
.LBB77_467:                             ;   in Loop: Header=BB77_453 Depth=2
	s_or_b32 exec_lo, exec_lo, s35
	v_add_nc_u32_e32 v0, 16, v0
	s_delay_alu instid0(VALU_DEP_1) | instskip(SKIP_1) | instid1(SALU_CYCLE_1)
	v_cmp_gt_i32_e32 vcc_lo, s59, v0
	s_and_b32 s92, vcc_lo, s5
	s_and_saveexec_b32 s35, s92
	s_cbranch_execz .LBB77_452
; %bb.468:                              ;   in Loop: Header=BB77_453 Depth=2
	v_cmp_ne_u32_e32 vcc_lo, 1, v21
	v_mov_b64_e32 v[12:13], v[8:9]
	s_cbranch_vccnz .LBB77_470
; %bb.469:                              ;   in Loop: Header=BB77_453 Depth=2
	global_load_b64 v[12:13], v[2:3], off offset:256
.LBB77_470:                             ;   in Loop: Header=BB77_453 Depth=2
	v_cmp_ne_u32_e32 vcc_lo, 1, v21
	v_mov_b64_e32 v[14:15], v[10:11]
	s_cbranch_vccnz .LBB77_451
; %bb.471:                              ;   in Loop: Header=BB77_453 Depth=2
	global_load_b64 v[14:15], v[2:3], off offset:264
	s_branch .LBB77_451
.LBB77_472:                             ;   in Loop: Header=BB77_3 Depth=1
	ds_store_b128 v200, v[16:19]
	s_wait_dscnt 0x0
	s_barrier_signal -1
	s_barrier_wait -1
	s_and_saveexec_b32 s35, s1
	s_cbranch_execz .LBB77_474
; %bb.473:                              ;   in Loop: Header=BB77_3 Depth=1
	ds_load_b128 v[12:15], v201 offset:512
	s_wait_dscnt 0x0
	v_add_f64_e32 v[2:3], v[16:17], v[12:13]
	v_add_f64_e32 v[16:17], v[18:19], v[14:15]
	ds_load_b128 v[12:15], v201 offset:1024
	s_wait_dscnt 0x0
	v_add_f64_e32 v[2:3], v[2:3], v[12:13]
	v_add_f64_e32 v[16:17], v[16:17], v[14:15]
	;; [unrolled: 4-line block ×15, first 2 shown]
	s_delay_alu instid0(VALU_DEP_2) | instskip(NEXT) | instid1(VALU_DEP_2)
	v_xor_b32_e32 v0, 0x80000000, v3
	v_xor_b32_e32 v3, 0x80000000, v13
	s_delay_alu instid0(VALU_DEP_4) | instskip(NEXT) | instid1(VALU_DEP_4)
	v_cndmask_b32_e64 v16, v2, 0, s31
	v_cndmask_b32_e64 v18, v12, 0, s31
	s_delay_alu instid0(VALU_DEP_4) | instskip(NEXT) | instid1(VALU_DEP_4)
	v_cndmask_b32_e64 v17, v0, 0, s31
	v_cndmask_b32_e64 v19, v3, 0, s31
.LBB77_474:                             ;   in Loop: Header=BB77_3 Depth=1
	s_or_b32 exec_lo, exec_lo, s35
	s_delay_alu instid0(SALU_CYCLE_1)
	s_and_not1_b32 vcc_lo, exec_lo, s61
	s_cbranch_vccnz .LBB77_483
; %bb.475:                              ;   in Loop: Header=BB77_3 Depth=1
	s_and_saveexec_b32 s35, s1
; %bb.476:                              ;   in Loop: Header=BB77_3 Depth=1
	ds_store_b128 v202, v[16:19]
; %bb.477:                              ;   in Loop: Header=BB77_3 Depth=1
	s_or_b32 exec_lo, exec_lo, s35
	v_mov_b64_e32 v[12:13], 0
	v_mov_b64_e32 v[14:15], 0
	s_wait_dscnt 0x0
	s_barrier_signal -1
	s_barrier_wait -1
	s_and_saveexec_b32 s35, s6
	s_cbranch_execz .LBB77_479
; %bb.478:                              ;   in Loop: Header=BB77_3 Depth=1
	ds_load_b128 v[12:15], v129
	ds_load_b128 v[20:23], v135
	s_wait_dscnt 0x0
	v_mul_f64_e32 v[2:3], v[14:15], v[22:23]
	v_mul_f64_e32 v[22:23], v[12:13], v[22:23]
	s_delay_alu instid0(VALU_DEP_2) | instskip(NEXT) | instid1(VALU_DEP_2)
	v_fma_f64 v[2:3], v[12:13], v[20:21], -v[2:3]
	v_fmac_f64_e32 v[22:23], v[14:15], v[20:21]
	s_delay_alu instid0(VALU_DEP_2) | instskip(NEXT) | instid1(VALU_DEP_2)
	v_add_f64_e32 v[12:13], 0, v[2:3]
	v_add_f64_e32 v[14:15], 0, v[22:23]
.LBB77_479:                             ;   in Loop: Header=BB77_3 Depth=1
	s_or_b32 exec_lo, exec_lo, s35
	s_and_saveexec_b32 s35, s7
	s_cbranch_execz .LBB77_481
; %bb.480:                              ;   in Loop: Header=BB77_3 Depth=1
	ds_load_b128 v[20:23], v129 offset:256
	ds_load_b128 v[204:207], v135 offset:8192
	s_wait_dscnt 0x0
	v_mul_f64_e32 v[2:3], v[22:23], v[206:207]
	s_delay_alu instid0(VALU_DEP_1) | instskip(SKIP_1) | instid1(VALU_DEP_2)
	v_fma_f64 v[2:3], v[20:21], v[204:205], -v[2:3]
	v_mul_f64_e32 v[20:21], v[20:21], v[206:207]
	v_add_f64_e32 v[12:13], v[12:13], v[2:3]
	s_delay_alu instid0(VALU_DEP_2) | instskip(NEXT) | instid1(VALU_DEP_1)
	v_fmac_f64_e32 v[20:21], v[22:23], v[204:205]
	v_add_f64_e32 v[14:15], v[14:15], v[20:21]
.LBB77_481:                             ;   in Loop: Header=BB77_3 Depth=1
	s_or_b32 exec_lo, exec_lo, s35
	s_mov_b32 s46, 0
	s_mov_b32 s35, 0
	ds_store_b128 v200, v[12:15]
	s_wait_dscnt 0x0
	s_barrier_signal -1
	s_barrier_wait -1
                                        ; implicit-def: $vgpr2_vgpr3
                                        ; implicit-def: $vgpr20_vgpr21
	s_and_saveexec_b32 s47, s1
	s_cbranch_execz .LBB77_545
; %bb.482:                              ;   in Loop: Header=BB77_3 Depth=1
	ds_load_b128 v[20:23], v201 offset:512
	s_mov_b32 s35, exec_lo
	s_wait_dscnt 0x0
	v_add_f64_e32 v[2:3], v[12:13], v[20:21]
	v_add_f64_e32 v[20:21], v[14:15], v[22:23]
	ds_load_b128 v[12:15], v201 offset:1024
	s_wait_dscnt 0x0
	v_add_f64_e32 v[2:3], v[2:3], v[12:13]
	v_add_f64_e32 v[20:21], v[20:21], v[14:15]
	ds_load_b128 v[12:15], v201 offset:1536
	;; [unrolled: 4-line block ×14, first 2 shown]
	s_wait_dscnt 0x0
	v_add_f64_e32 v[20:21], v[2:3], v[12:13]
	v_add_f64_e32 v[2:3], v[22:23], v[14:15]
	s_or_b32 exec_lo, exec_lo, s47
	s_delay_alu instid0(SALU_CYCLE_1)
	s_and_b32 vcc_lo, exec_lo, s46
	s_cbranch_vccnz .LBB77_484
	s_branch .LBB77_546
.LBB77_483:                             ;   in Loop: Header=BB77_3 Depth=1
	s_mov_b32 s35, 0
                                        ; implicit-def: $vgpr2_vgpr3
                                        ; implicit-def: $vgpr20_vgpr21
	s_cbranch_execz .LBB77_546
.LBB77_484:                             ;   in Loop: Header=BB77_3 Depth=1
	v_dual_mov_b32 v0, v24 :: v_dual_mov_b32 v2, v136
	s_mov_b32 s46, 0
	s_branch .LBB77_486
.LBB77_485:                             ;   in Loop: Header=BB77_486 Depth=2
	s_or_b32 exec_lo, exec_lo, s47
	v_add_nc_u32_e32 v2, 0x400, v2
	v_add_nc_u32_e32 v0, -2, v0
	s_add_co_i32 s46, s46, 2
	s_delay_alu instid0(SALU_CYCLE_1)
	s_cmp_lg_u32 s46, 32
	s_barrier_signal -1
	s_barrier_wait -1
	s_cbranch_scc0 .LBB77_494
.LBB77_486:                             ;   Parent Loop BB77_3 Depth=1
                                        ; =>  This Inner Loop Header: Depth=2
	s_delay_alu instid0(VALU_DEP_1) | instskip(SKIP_1) | instid1(SALU_CYCLE_1)
	v_cmp_eq_u32_e32 vcc_lo, 0, v0
	s_and_b32 s91, s1, vcc_lo
	s_and_saveexec_b32 s47, s91
	s_cbranch_execz .LBB77_488
; %bb.487:                              ;   in Loop: Header=BB77_486 Depth=2
	ds_load_b128 v[12:15], v131
	s_wait_dscnt 0x0
	v_mul_f64_e32 v[20:21], v[18:19], v[14:15]
	v_mul_f64_e32 v[22:23], v[16:17], v[14:15]
	s_delay_alu instid0(VALU_DEP_2) | instskip(NEXT) | instid1(VALU_DEP_2)
	v_fma_f64 v[20:21], v[16:17], v[12:13], -v[20:21]
	v_fmac_f64_e32 v[22:23], v[18:19], v[12:13]
	s_delay_alu instid0(VALU_DEP_2) | instskip(NEXT) | instid1(VALU_DEP_2)
	v_mov_b64_e32 v[16:17], v[20:21]
	v_mov_b64_e32 v[18:19], v[22:23]
	ds_store_b128 v1, v[20:23] offset:25088
.LBB77_488:                             ;   in Loop: Header=BB77_486 Depth=2
	s_or_b32 exec_lo, exec_lo, s47
	v_cmp_lt_u32_e32 vcc_lo, s46, v24
	s_wait_dscnt 0x0
	s_barrier_signal -1
	s_barrier_wait -1
	s_and_b32 s91, s1, vcc_lo
	s_delay_alu instid0(SALU_CYCLE_1)
	s_and_saveexec_b32 s47, s91
	s_cbranch_execz .LBB77_490
; %bb.489:                              ;   in Loop: Header=BB77_486 Depth=2
	ds_load_b128 v[12:15], v1 offset:25088
	ds_load_b128 v[20:23], v2
	s_wait_dscnt 0x0
	v_mul_f64_e32 v[42:43], v[14:15], v[22:23]
	s_delay_alu instid0(VALU_DEP_1) | instskip(SKIP_1) | instid1(VALU_DEP_2)
	v_fma_f64 v[42:43], v[12:13], v[20:21], -v[42:43]
	v_mul_f64_e32 v[12:13], v[12:13], v[22:23]
	v_add_f64_e32 v[16:17], v[16:17], v[42:43]
	s_delay_alu instid0(VALU_DEP_2) | instskip(NEXT) | instid1(VALU_DEP_1)
	v_fmac_f64_e32 v[12:13], v[14:15], v[20:21]
	v_add_f64_e32 v[18:19], v[18:19], v[12:13]
.LBB77_490:                             ;   in Loop: Header=BB77_486 Depth=2
	s_or_b32 exec_lo, exec_lo, s47
	s_or_b32 s47, s46, 1
	s_delay_alu instid0(SALU_CYCLE_1) | instskip(SKIP_3) | instid1(SALU_CYCLE_1)
	v_cmp_eq_u32_e32 vcc_lo, s47, v24
	s_barrier_signal -1
	s_barrier_wait -1
	s_and_b32 s92, s1, vcc_lo
	s_and_saveexec_b32 s91, s92
	s_cbranch_execz .LBB77_492
; %bb.491:                              ;   in Loop: Header=BB77_486 Depth=2
	ds_load_b128 v[12:15], v131
	s_wait_dscnt 0x0
	v_mul_f64_e32 v[20:21], v[18:19], v[14:15]
	v_mul_f64_e32 v[22:23], v[16:17], v[14:15]
	s_delay_alu instid0(VALU_DEP_2) | instskip(NEXT) | instid1(VALU_DEP_2)
	v_fma_f64 v[20:21], v[16:17], v[12:13], -v[20:21]
	v_fmac_f64_e32 v[22:23], v[18:19], v[12:13]
	s_delay_alu instid0(VALU_DEP_2) | instskip(NEXT) | instid1(VALU_DEP_2)
	v_mov_b64_e32 v[16:17], v[20:21]
	v_mov_b64_e32 v[18:19], v[22:23]
	ds_store_b128 v1, v[20:23] offset:25088
.LBB77_492:                             ;   in Loop: Header=BB77_486 Depth=2
	s_or_b32 exec_lo, exec_lo, s91
	v_cmp_lt_u32_e32 vcc_lo, s47, v24
	s_wait_dscnt 0x0
	s_barrier_signal -1
	s_barrier_wait -1
	s_and_b32 s91, s1, vcc_lo
	s_delay_alu instid0(SALU_CYCLE_1)
	s_and_saveexec_b32 s47, s91
	s_cbranch_execz .LBB77_485
; %bb.493:                              ;   in Loop: Header=BB77_486 Depth=2
	ds_load_b128 v[12:15], v1 offset:25088
	ds_load_b128 v[20:23], v2 offset:512
	s_wait_dscnt 0x0
	v_mul_f64_e32 v[42:43], v[14:15], v[22:23]
	s_delay_alu instid0(VALU_DEP_1) | instskip(SKIP_1) | instid1(VALU_DEP_2)
	v_fma_f64 v[42:43], v[12:13], v[20:21], -v[42:43]
	v_mul_f64_e32 v[12:13], v[12:13], v[22:23]
	v_add_f64_e32 v[16:17], v[16:17], v[42:43]
	s_delay_alu instid0(VALU_DEP_2) | instskip(NEXT) | instid1(VALU_DEP_1)
	v_fmac_f64_e32 v[12:13], v[14:15], v[20:21]
	v_add_f64_e32 v[18:19], v[18:19], v[12:13]
	s_branch .LBB77_485
.LBB77_494:                             ;   in Loop: Header=BB77_3 Depth=1
	s_and_b32 vcc_lo, exec_lo, s60
	s_mov_b32 s46, -1
	s_cbranch_vccz .LBB77_496
; %bb.495:                              ;   in Loop: Header=BB77_3 Depth=1
	s_and_not1_b32 s35, s35, exec_lo
	s_and_b32 s47, s1, exec_lo
	s_mov_b32 s46, 0
	s_or_b32 s35, s35, s47
.LBB77_496:                             ;   in Loop: Header=BB77_3 Depth=1
	s_and_not1_b32 vcc_lo, exec_lo, s46
	s_cbranch_vccnz .LBB77_498
; %bb.497:                              ;   in Loop: Header=BB77_3 Depth=1
	v_readlane_b32 s46, v203, 8
	s_and_not1_b32 s35, s35, exec_lo
	s_and_b32 s46, s46, exec_lo
	s_delay_alu instid0(SALU_CYCLE_1)
	s_or_b32 s35, s35, s46
.LBB77_498:                             ;   in Loop: Header=BB77_3 Depth=1
	v_mov_b64_e32 v[2:3], v[34:35]
	s_and_saveexec_b32 s46, s35
	s_cbranch_execnz .LBB77_547
	s_branch .LBB77_548
.LBB77_499:                             ;   in Loop: Header=BB77_3 Depth=1
	s_mov_b32 s46, exec_lo
	v_readlane_b32 s47, v203, 9
	s_and_b32 s47, s46, s47
	s_delay_alu instid0(SALU_CYCLE_1)
	s_xor_b32 s46, s47, s46
	s_mov_b32 exec_lo, s47
	s_cbranch_execz .LBB77_503
; %bb.500:                              ;   in Loop: Header=BB77_3 Depth=1
	s_mov_b32 s47, exec_lo
	v_readlane_b32 s91, v203, 24
	s_and_b32 s91, s47, s91
	s_delay_alu instid0(SALU_CYCLE_1)
	s_mov_b32 exec_lo, s91
; %bb.501:                              ;   in Loop: Header=BB77_3 Depth=1
	v_dual_mov_b32 v0, v1 :: v_dual_mov_b32 v2, v1
	v_mov_b32_e32 v3, v1
	ds_store_b128 v198, v[0:3]
; %bb.502:                              ;   in Loop: Header=BB77_3 Depth=1
	s_or_b32 exec_lo, exec_lo, s47
.LBB77_503:                             ;   in Loop: Header=BB77_3 Depth=1
	s_and_not1_saveexec_b32 s46, s46
	s_cbranch_execz .LBB77_509
; %bb.504:                              ;   in Loop: Header=BB77_3 Depth=1
	v_lshl_add_u64 v[2:3], v[30:31], 4, s[40:41]
                                        ; implicit-def: $vgpr20_vgpr21
	global_load_b128 v[16:19], v[2:3], off
	s_wait_loadcnt 0x0
	v_cmp_ngt_f64_e64 s47, |v[16:17]|, |v[18:19]|
	s_and_saveexec_b32 s91, s47
	s_delay_alu instid0(SALU_CYCLE_1)
	s_xor_b32 s47, exec_lo, s91
	s_cbranch_execz .LBB77_506
; %bb.505:                              ;   in Loop: Header=BB77_3 Depth=1
	v_div_scale_f64 v[2:3], null, v[18:19], v[18:19], v[16:17]
	v_div_scale_f64 v[204:205], vcc_lo, v[16:17], v[18:19], v[16:17]
	s_delay_alu instid0(VALU_DEP_2) | instskip(SKIP_1) | instid1(TRANS32_DEP_1)
	v_rcp_f64_e32 v[20:21], v[2:3]
	v_nop
	v_fma_f64 v[22:23], -v[2:3], v[20:21], 1.0
	s_delay_alu instid0(VALU_DEP_1) | instskip(NEXT) | instid1(VALU_DEP_1)
	v_fmac_f64_e32 v[20:21], v[20:21], v[22:23]
	v_fma_f64 v[22:23], -v[2:3], v[20:21], 1.0
	s_delay_alu instid0(VALU_DEP_1) | instskip(NEXT) | instid1(VALU_DEP_1)
	v_fmac_f64_e32 v[20:21], v[20:21], v[22:23]
	v_mul_f64_e32 v[22:23], v[204:205], v[20:21]
	s_delay_alu instid0(VALU_DEP_1) | instskip(NEXT) | instid1(VALU_DEP_1)
	v_fma_f64 v[2:3], -v[2:3], v[22:23], v[204:205]
	v_div_fmas_f64 v[2:3], v[2:3], v[20:21], v[22:23]
	s_delay_alu instid0(VALU_DEP_1) | instskip(NEXT) | instid1(VALU_DEP_1)
	v_div_fixup_f64 v[2:3], v[2:3], v[18:19], v[16:17]
	v_fmac_f64_e32 v[18:19], v[16:17], v[2:3]
	s_delay_alu instid0(VALU_DEP_1) | instskip(NEXT) | instid1(VALU_DEP_1)
	v_div_scale_f64 v[16:17], null, v[18:19], v[18:19], 1.0
	v_rcp_f64_e32 v[20:21], v[16:17]
	v_nop
	s_delay_alu instid0(TRANS32_DEP_1) | instskip(NEXT) | instid1(VALU_DEP_1)
	v_fma_f64 v[22:23], -v[16:17], v[20:21], 1.0
	v_fmac_f64_e32 v[20:21], v[20:21], v[22:23]
	s_delay_alu instid0(VALU_DEP_1) | instskip(NEXT) | instid1(VALU_DEP_1)
	v_fma_f64 v[22:23], -v[16:17], v[20:21], 1.0
	v_fmac_f64_e32 v[20:21], v[20:21], v[22:23]
	v_div_scale_f64 v[22:23], vcc_lo, 1.0, v[18:19], 1.0
	s_delay_alu instid0(VALU_DEP_1) | instskip(NEXT) | instid1(VALU_DEP_1)
	v_mul_f64_e32 v[204:205], v[22:23], v[20:21]
	v_fma_f64 v[16:17], -v[16:17], v[204:205], v[22:23]
	s_delay_alu instid0(VALU_DEP_1) | instskip(NEXT) | instid1(VALU_DEP_1)
	v_div_fmas_f64 v[16:17], v[16:17], v[20:21], v[204:205]
	v_div_fixup_f64 v[22:23], v[16:17], v[18:19], 1.0
                                        ; implicit-def: $vgpr16_vgpr17
	s_delay_alu instid0(VALU_DEP_1)
	v_mul_f64_e32 v[20:21], v[2:3], v[22:23]
	v_xor_b32_e32 v23, 0x80000000, v23
.LBB77_506:                             ;   in Loop: Header=BB77_3 Depth=1
	s_and_not1_saveexec_b32 s47, s47
	s_cbranch_execz .LBB77_508
; %bb.507:                              ;   in Loop: Header=BB77_3 Depth=1
	v_div_scale_f64 v[2:3], null, v[16:17], v[16:17], v[18:19]
	v_div_scale_f64 v[204:205], vcc_lo, v[18:19], v[16:17], v[18:19]
	s_delay_alu instid0(VALU_DEP_2) | instskip(SKIP_1) | instid1(TRANS32_DEP_1)
	v_rcp_f64_e32 v[20:21], v[2:3]
	v_nop
	v_fma_f64 v[22:23], -v[2:3], v[20:21], 1.0
	s_delay_alu instid0(VALU_DEP_1) | instskip(NEXT) | instid1(VALU_DEP_1)
	v_fmac_f64_e32 v[20:21], v[20:21], v[22:23]
	v_fma_f64 v[22:23], -v[2:3], v[20:21], 1.0
	s_delay_alu instid0(VALU_DEP_1) | instskip(NEXT) | instid1(VALU_DEP_1)
	v_fmac_f64_e32 v[20:21], v[20:21], v[22:23]
	v_mul_f64_e32 v[22:23], v[204:205], v[20:21]
	s_delay_alu instid0(VALU_DEP_1) | instskip(NEXT) | instid1(VALU_DEP_1)
	v_fma_f64 v[2:3], -v[2:3], v[22:23], v[204:205]
	v_div_fmas_f64 v[2:3], v[2:3], v[20:21], v[22:23]
	s_delay_alu instid0(VALU_DEP_1) | instskip(NEXT) | instid1(VALU_DEP_1)
	v_div_fixup_f64 v[2:3], v[2:3], v[16:17], v[18:19]
	v_fmac_f64_e32 v[16:17], v[18:19], v[2:3]
	s_delay_alu instid0(VALU_DEP_1) | instskip(NEXT) | instid1(VALU_DEP_1)
	v_div_scale_f64 v[18:19], null, v[16:17], v[16:17], 1.0
	v_rcp_f64_e32 v[20:21], v[18:19]
	v_nop
	s_delay_alu instid0(TRANS32_DEP_1) | instskip(NEXT) | instid1(VALU_DEP_1)
	v_fma_f64 v[22:23], -v[18:19], v[20:21], 1.0
	v_fmac_f64_e32 v[20:21], v[20:21], v[22:23]
	s_delay_alu instid0(VALU_DEP_1) | instskip(NEXT) | instid1(VALU_DEP_1)
	v_fma_f64 v[22:23], -v[18:19], v[20:21], 1.0
	v_fmac_f64_e32 v[20:21], v[20:21], v[22:23]
	v_div_scale_f64 v[22:23], vcc_lo, 1.0, v[16:17], 1.0
	s_delay_alu instid0(VALU_DEP_1) | instskip(NEXT) | instid1(VALU_DEP_1)
	v_mul_f64_e32 v[204:205], v[22:23], v[20:21]
	v_fma_f64 v[18:19], -v[18:19], v[204:205], v[22:23]
	s_delay_alu instid0(VALU_DEP_1) | instskip(NEXT) | instid1(VALU_DEP_1)
	v_div_fmas_f64 v[18:19], v[18:19], v[20:21], v[204:205]
	v_div_fixup_f64 v[20:21], v[18:19], v[16:17], 1.0
	s_delay_alu instid0(VALU_DEP_1)
	v_mul_f64_e64 v[22:23], v[2:3], -v[20:21]
.LBB77_508:                             ;   in Loop: Header=BB77_3 Depth=1
	s_or_b32 exec_lo, exec_lo, s47
	ds_store_b128 v198, v[20:23]
.LBB77_509:                             ;   in Loop: Header=BB77_3 Depth=1
	s_or_b32 exec_lo, exec_lo, s46
	s_and_not1_saveexec_b32 s35, s35
	s_cbranch_execz .LBB77_13
.LBB77_510:                             ;   in Loop: Header=BB77_3 Depth=1
	v_lshl_add_u64 v[2:3], v[30:31], 4, s[40:41]
	global_load_b128 v[16:19], v[2:3], off
	s_wait_loadcnt 0x0
	v_xor_b32_e32 v17, 0x80000000, v17
	v_xor_b32_e32 v19, 0x80000000, v19
	ds_store_b128 v198, v[16:19]
	s_or_b32 exec_lo, exec_lo, s35
	s_and_saveexec_b32 s35, s7
	s_delay_alu instid0(SALU_CYCLE_1)
	s_xor_b32 s35, exec_lo, s35
	s_cbranch_execz .LBB77_14
.LBB77_511:                             ;   in Loop: Header=BB77_3 Depth=1
	s_mov_b32 s46, exec_lo
	v_readlane_b32 s47, v203, 11
	s_and_b32 s47, s46, s47
	s_delay_alu instid0(SALU_CYCLE_1)
	s_xor_b32 s46, s47, s46
	s_mov_b32 exec_lo, s47
	s_cbranch_execz .LBB77_515
; %bb.512:                              ;   in Loop: Header=BB77_3 Depth=1
	s_mov_b32 s47, exec_lo
	v_readlane_b32 s91, v203, 25
	s_and_b32 s91, s47, s91
	s_delay_alu instid0(SALU_CYCLE_1)
	s_mov_b32 exec_lo, s91
; %bb.513:                              ;   in Loop: Header=BB77_3 Depth=1
	v_dual_mov_b32 v0, v1 :: v_dual_mov_b32 v2, v1
	v_mov_b32_e32 v3, v1
	ds_store_b128 v199, v[0:3]
; %bb.514:                              ;   in Loop: Header=BB77_3 Depth=1
	s_or_b32 exec_lo, exec_lo, s47
.LBB77_515:                             ;   in Loop: Header=BB77_3 Depth=1
	s_and_not1_saveexec_b32 s46, s46
	s_cbranch_execz .LBB77_521
; %bb.516:                              ;   in Loop: Header=BB77_3 Depth=1
	v_lshl_add_u64 v[2:3], v[32:33], 4, s[40:41]
                                        ; implicit-def: $vgpr20_vgpr21
	global_load_b128 v[16:19], v[2:3], off
	s_wait_loadcnt 0x0
	v_cmp_ngt_f64_e64 s47, |v[16:17]|, |v[18:19]|
	s_and_saveexec_b32 s91, s47
	s_delay_alu instid0(SALU_CYCLE_1)
	s_xor_b32 s47, exec_lo, s91
	s_cbranch_execz .LBB77_518
; %bb.517:                              ;   in Loop: Header=BB77_3 Depth=1
	v_div_scale_f64 v[2:3], null, v[18:19], v[18:19], v[16:17]
	v_div_scale_f64 v[204:205], vcc_lo, v[16:17], v[18:19], v[16:17]
	s_delay_alu instid0(VALU_DEP_2) | instskip(SKIP_1) | instid1(TRANS32_DEP_1)
	v_rcp_f64_e32 v[20:21], v[2:3]
	v_nop
	v_fma_f64 v[22:23], -v[2:3], v[20:21], 1.0
	s_delay_alu instid0(VALU_DEP_1) | instskip(NEXT) | instid1(VALU_DEP_1)
	v_fmac_f64_e32 v[20:21], v[20:21], v[22:23]
	v_fma_f64 v[22:23], -v[2:3], v[20:21], 1.0
	s_delay_alu instid0(VALU_DEP_1) | instskip(NEXT) | instid1(VALU_DEP_1)
	v_fmac_f64_e32 v[20:21], v[20:21], v[22:23]
	v_mul_f64_e32 v[22:23], v[204:205], v[20:21]
	s_delay_alu instid0(VALU_DEP_1) | instskip(NEXT) | instid1(VALU_DEP_1)
	v_fma_f64 v[2:3], -v[2:3], v[22:23], v[204:205]
	v_div_fmas_f64 v[2:3], v[2:3], v[20:21], v[22:23]
	s_delay_alu instid0(VALU_DEP_1) | instskip(NEXT) | instid1(VALU_DEP_1)
	v_div_fixup_f64 v[2:3], v[2:3], v[18:19], v[16:17]
	v_fmac_f64_e32 v[18:19], v[16:17], v[2:3]
	s_delay_alu instid0(VALU_DEP_1) | instskip(NEXT) | instid1(VALU_DEP_1)
	v_div_scale_f64 v[16:17], null, v[18:19], v[18:19], 1.0
	v_rcp_f64_e32 v[20:21], v[16:17]
	v_nop
	s_delay_alu instid0(TRANS32_DEP_1) | instskip(NEXT) | instid1(VALU_DEP_1)
	v_fma_f64 v[22:23], -v[16:17], v[20:21], 1.0
	v_fmac_f64_e32 v[20:21], v[20:21], v[22:23]
	s_delay_alu instid0(VALU_DEP_1) | instskip(NEXT) | instid1(VALU_DEP_1)
	v_fma_f64 v[22:23], -v[16:17], v[20:21], 1.0
	v_fmac_f64_e32 v[20:21], v[20:21], v[22:23]
	v_div_scale_f64 v[22:23], vcc_lo, 1.0, v[18:19], 1.0
	s_delay_alu instid0(VALU_DEP_1) | instskip(NEXT) | instid1(VALU_DEP_1)
	v_mul_f64_e32 v[204:205], v[22:23], v[20:21]
	v_fma_f64 v[16:17], -v[16:17], v[204:205], v[22:23]
	s_delay_alu instid0(VALU_DEP_1) | instskip(NEXT) | instid1(VALU_DEP_1)
	v_div_fmas_f64 v[16:17], v[16:17], v[20:21], v[204:205]
	v_div_fixup_f64 v[22:23], v[16:17], v[18:19], 1.0
                                        ; implicit-def: $vgpr16_vgpr17
	s_delay_alu instid0(VALU_DEP_1)
	v_mul_f64_e32 v[20:21], v[2:3], v[22:23]
	v_xor_b32_e32 v23, 0x80000000, v23
.LBB77_518:                             ;   in Loop: Header=BB77_3 Depth=1
	s_and_not1_saveexec_b32 s47, s47
	s_cbranch_execz .LBB77_520
; %bb.519:                              ;   in Loop: Header=BB77_3 Depth=1
	v_div_scale_f64 v[2:3], null, v[16:17], v[16:17], v[18:19]
	v_div_scale_f64 v[204:205], vcc_lo, v[18:19], v[16:17], v[18:19]
	s_delay_alu instid0(VALU_DEP_2) | instskip(SKIP_1) | instid1(TRANS32_DEP_1)
	v_rcp_f64_e32 v[20:21], v[2:3]
	v_nop
	v_fma_f64 v[22:23], -v[2:3], v[20:21], 1.0
	s_delay_alu instid0(VALU_DEP_1) | instskip(NEXT) | instid1(VALU_DEP_1)
	v_fmac_f64_e32 v[20:21], v[20:21], v[22:23]
	v_fma_f64 v[22:23], -v[2:3], v[20:21], 1.0
	s_delay_alu instid0(VALU_DEP_1) | instskip(NEXT) | instid1(VALU_DEP_1)
	v_fmac_f64_e32 v[20:21], v[20:21], v[22:23]
	v_mul_f64_e32 v[22:23], v[204:205], v[20:21]
	s_delay_alu instid0(VALU_DEP_1) | instskip(NEXT) | instid1(VALU_DEP_1)
	v_fma_f64 v[2:3], -v[2:3], v[22:23], v[204:205]
	v_div_fmas_f64 v[2:3], v[2:3], v[20:21], v[22:23]
	s_delay_alu instid0(VALU_DEP_1) | instskip(NEXT) | instid1(VALU_DEP_1)
	v_div_fixup_f64 v[2:3], v[2:3], v[16:17], v[18:19]
	v_fmac_f64_e32 v[16:17], v[18:19], v[2:3]
	s_delay_alu instid0(VALU_DEP_1) | instskip(NEXT) | instid1(VALU_DEP_1)
	v_div_scale_f64 v[18:19], null, v[16:17], v[16:17], 1.0
	v_rcp_f64_e32 v[20:21], v[18:19]
	v_nop
	s_delay_alu instid0(TRANS32_DEP_1) | instskip(NEXT) | instid1(VALU_DEP_1)
	v_fma_f64 v[22:23], -v[18:19], v[20:21], 1.0
	v_fmac_f64_e32 v[20:21], v[20:21], v[22:23]
	s_delay_alu instid0(VALU_DEP_1) | instskip(NEXT) | instid1(VALU_DEP_1)
	v_fma_f64 v[22:23], -v[18:19], v[20:21], 1.0
	v_fmac_f64_e32 v[20:21], v[20:21], v[22:23]
	v_div_scale_f64 v[22:23], vcc_lo, 1.0, v[16:17], 1.0
	s_delay_alu instid0(VALU_DEP_1) | instskip(NEXT) | instid1(VALU_DEP_1)
	v_mul_f64_e32 v[204:205], v[22:23], v[20:21]
	v_fma_f64 v[18:19], -v[18:19], v[204:205], v[22:23]
	s_delay_alu instid0(VALU_DEP_1) | instskip(NEXT) | instid1(VALU_DEP_1)
	v_div_fmas_f64 v[18:19], v[18:19], v[20:21], v[204:205]
	v_div_fixup_f64 v[20:21], v[18:19], v[16:17], 1.0
	s_delay_alu instid0(VALU_DEP_1)
	v_mul_f64_e64 v[22:23], v[2:3], -v[20:21]
.LBB77_520:                             ;   in Loop: Header=BB77_3 Depth=1
	s_or_b32 exec_lo, exec_lo, s47
	ds_store_b128 v199, v[20:23]
.LBB77_521:                             ;   in Loop: Header=BB77_3 Depth=1
	s_or_b32 exec_lo, exec_lo, s46
	s_and_not1_saveexec_b32 s35, s35
	s_cbranch_execnz .LBB77_15
	s_branch .LBB77_16
.LBB77_522:                             ;   in Loop: Header=BB77_3 Depth=1
	s_mov_b32 s46, exec_lo
	v_readlane_b32 s47, v203, 10
	s_and_b32 s47, s46, s47
	s_delay_alu instid0(SALU_CYCLE_1)
	s_xor_b32 s46, s47, s46
	s_mov_b32 exec_lo, s47
	s_cbranch_execz .LBB77_526
; %bb.523:                              ;   in Loop: Header=BB77_3 Depth=1
	s_mov_b32 s47, exec_lo
	v_readlane_b32 s91, v203, 24
	s_and_b32 s91, s47, s91
	s_delay_alu instid0(SALU_CYCLE_1)
	s_mov_b32 exec_lo, s91
; %bb.524:                              ;   in Loop: Header=BB77_3 Depth=1
	v_dual_mov_b32 v0, v1 :: v_dual_mov_b32 v2, v1
	v_mov_b32_e32 v3, v1
	ds_store_b128 v128, v[0:3]
; %bb.525:                              ;   in Loop: Header=BB77_3 Depth=1
	s_or_b32 exec_lo, exec_lo, s47
.LBB77_526:                             ;   in Loop: Header=BB77_3 Depth=1
	s_and_not1_saveexec_b32 s46, s46
	s_cbranch_execz .LBB77_532
; %bb.527:                              ;   in Loop: Header=BB77_3 Depth=1
	v_lshl_add_u64 v[2:3], v[30:31], 4, s[40:41]
                                        ; implicit-def: $vgpr20_vgpr21
	global_load_b128 v[16:19], v[2:3], off
	s_wait_loadcnt 0x0
	v_cmp_ngt_f64_e64 s47, |v[16:17]|, |v[18:19]|
	s_and_saveexec_b32 s91, s47
	s_delay_alu instid0(SALU_CYCLE_1)
	s_xor_b32 s47, exec_lo, s91
	s_cbranch_execz .LBB77_529
; %bb.528:                              ;   in Loop: Header=BB77_3 Depth=1
	v_div_scale_f64 v[2:3], null, v[18:19], v[18:19], v[16:17]
	v_div_scale_f64 v[204:205], vcc_lo, v[16:17], v[18:19], v[16:17]
	s_delay_alu instid0(VALU_DEP_2) | instskip(SKIP_1) | instid1(TRANS32_DEP_1)
	v_rcp_f64_e32 v[20:21], v[2:3]
	v_nop
	v_fma_f64 v[22:23], -v[2:3], v[20:21], 1.0
	s_delay_alu instid0(VALU_DEP_1) | instskip(NEXT) | instid1(VALU_DEP_1)
	v_fmac_f64_e32 v[20:21], v[20:21], v[22:23]
	v_fma_f64 v[22:23], -v[2:3], v[20:21], 1.0
	s_delay_alu instid0(VALU_DEP_1) | instskip(NEXT) | instid1(VALU_DEP_1)
	v_fmac_f64_e32 v[20:21], v[20:21], v[22:23]
	v_mul_f64_e32 v[22:23], v[204:205], v[20:21]
	s_delay_alu instid0(VALU_DEP_1) | instskip(NEXT) | instid1(VALU_DEP_1)
	v_fma_f64 v[2:3], -v[2:3], v[22:23], v[204:205]
	v_div_fmas_f64 v[2:3], v[2:3], v[20:21], v[22:23]
	s_delay_alu instid0(VALU_DEP_1) | instskip(NEXT) | instid1(VALU_DEP_1)
	v_div_fixup_f64 v[2:3], v[2:3], v[18:19], v[16:17]
	v_fmac_f64_e32 v[18:19], v[16:17], v[2:3]
	s_delay_alu instid0(VALU_DEP_1) | instskip(NEXT) | instid1(VALU_DEP_1)
	v_div_scale_f64 v[16:17], null, v[18:19], v[18:19], 1.0
	v_rcp_f64_e32 v[20:21], v[16:17]
	v_nop
	s_delay_alu instid0(TRANS32_DEP_1) | instskip(NEXT) | instid1(VALU_DEP_1)
	v_fma_f64 v[22:23], -v[16:17], v[20:21], 1.0
	v_fmac_f64_e32 v[20:21], v[20:21], v[22:23]
	s_delay_alu instid0(VALU_DEP_1) | instskip(NEXT) | instid1(VALU_DEP_1)
	v_fma_f64 v[22:23], -v[16:17], v[20:21], 1.0
	v_fmac_f64_e32 v[20:21], v[20:21], v[22:23]
	v_div_scale_f64 v[22:23], vcc_lo, 1.0, v[18:19], 1.0
	s_delay_alu instid0(VALU_DEP_1) | instskip(NEXT) | instid1(VALU_DEP_1)
	v_mul_f64_e32 v[204:205], v[22:23], v[20:21]
	v_fma_f64 v[16:17], -v[16:17], v[204:205], v[22:23]
	s_delay_alu instid0(VALU_DEP_1) | instskip(NEXT) | instid1(VALU_DEP_1)
	v_div_fmas_f64 v[16:17], v[16:17], v[20:21], v[204:205]
	v_div_fixup_f64 v[22:23], v[16:17], v[18:19], 1.0
                                        ; implicit-def: $vgpr16_vgpr17
	s_delay_alu instid0(VALU_DEP_1)
	v_mul_f64_e32 v[20:21], v[2:3], v[22:23]
	v_xor_b32_e32 v23, 0x80000000, v23
.LBB77_529:                             ;   in Loop: Header=BB77_3 Depth=1
	s_and_not1_saveexec_b32 s47, s47
	s_cbranch_execz .LBB77_531
; %bb.530:                              ;   in Loop: Header=BB77_3 Depth=1
	v_div_scale_f64 v[2:3], null, v[16:17], v[16:17], v[18:19]
	v_div_scale_f64 v[204:205], vcc_lo, v[18:19], v[16:17], v[18:19]
	s_delay_alu instid0(VALU_DEP_2) | instskip(SKIP_1) | instid1(TRANS32_DEP_1)
	v_rcp_f64_e32 v[20:21], v[2:3]
	v_nop
	v_fma_f64 v[22:23], -v[2:3], v[20:21], 1.0
	s_delay_alu instid0(VALU_DEP_1) | instskip(NEXT) | instid1(VALU_DEP_1)
	v_fmac_f64_e32 v[20:21], v[20:21], v[22:23]
	v_fma_f64 v[22:23], -v[2:3], v[20:21], 1.0
	s_delay_alu instid0(VALU_DEP_1) | instskip(NEXT) | instid1(VALU_DEP_1)
	v_fmac_f64_e32 v[20:21], v[20:21], v[22:23]
	v_mul_f64_e32 v[22:23], v[204:205], v[20:21]
	s_delay_alu instid0(VALU_DEP_1) | instskip(NEXT) | instid1(VALU_DEP_1)
	v_fma_f64 v[2:3], -v[2:3], v[22:23], v[204:205]
	v_div_fmas_f64 v[2:3], v[2:3], v[20:21], v[22:23]
	s_delay_alu instid0(VALU_DEP_1) | instskip(NEXT) | instid1(VALU_DEP_1)
	v_div_fixup_f64 v[2:3], v[2:3], v[16:17], v[18:19]
	v_fmac_f64_e32 v[16:17], v[18:19], v[2:3]
	s_delay_alu instid0(VALU_DEP_1) | instskip(NEXT) | instid1(VALU_DEP_1)
	v_div_scale_f64 v[18:19], null, v[16:17], v[16:17], 1.0
	v_rcp_f64_e32 v[20:21], v[18:19]
	v_nop
	s_delay_alu instid0(TRANS32_DEP_1) | instskip(NEXT) | instid1(VALU_DEP_1)
	v_fma_f64 v[22:23], -v[18:19], v[20:21], 1.0
	v_fmac_f64_e32 v[20:21], v[20:21], v[22:23]
	s_delay_alu instid0(VALU_DEP_1) | instskip(NEXT) | instid1(VALU_DEP_1)
	v_fma_f64 v[22:23], -v[18:19], v[20:21], 1.0
	v_fmac_f64_e32 v[20:21], v[20:21], v[22:23]
	v_div_scale_f64 v[22:23], vcc_lo, 1.0, v[16:17], 1.0
	s_delay_alu instid0(VALU_DEP_1) | instskip(NEXT) | instid1(VALU_DEP_1)
	v_mul_f64_e32 v[204:205], v[22:23], v[20:21]
	v_fma_f64 v[18:19], -v[18:19], v[204:205], v[22:23]
	s_delay_alu instid0(VALU_DEP_1) | instskip(NEXT) | instid1(VALU_DEP_1)
	v_div_fmas_f64 v[18:19], v[18:19], v[20:21], v[204:205]
	v_div_fixup_f64 v[20:21], v[18:19], v[16:17], 1.0
	s_delay_alu instid0(VALU_DEP_1)
	v_mul_f64_e64 v[22:23], v[2:3], -v[20:21]
.LBB77_531:                             ;   in Loop: Header=BB77_3 Depth=1
	s_or_b32 exec_lo, exec_lo, s47
	ds_store_b128 v128, v[20:23]
.LBB77_532:                             ;   in Loop: Header=BB77_3 Depth=1
	s_or_b32 exec_lo, exec_lo, s46
	s_and_not1_saveexec_b32 s35, s35
	s_cbranch_execz .LBB77_19
.LBB77_533:                             ;   in Loop: Header=BB77_3 Depth=1
	v_lshl_add_u64 v[2:3], v[30:31], 4, s[40:41]
	global_load_b128 v[16:19], v[2:3], off
	s_wait_loadcnt 0x0
	v_xor_b32_e32 v17, 0x80000000, v17
	v_xor_b32_e32 v19, 0x80000000, v19
	ds_store_b128 v128, v[16:19]
	s_or_b32 exec_lo, exec_lo, s35
	s_and_saveexec_b32 s35, s90
	s_delay_alu instid0(SALU_CYCLE_1)
	s_xor_b32 s35, exec_lo, s35
	s_cbranch_execz .LBB77_20
.LBB77_534:                             ;   in Loop: Header=BB77_3 Depth=1
	s_mov_b32 s46, exec_lo
	v_readlane_b32 s47, v203, 12
	s_and_b32 s47, s46, s47
	s_delay_alu instid0(SALU_CYCLE_1)
	s_xor_b32 s46, s47, s46
	s_mov_b32 exec_lo, s47
	s_cbranch_execz .LBB77_538
; %bb.535:                              ;   in Loop: Header=BB77_3 Depth=1
	s_mov_b32 s47, exec_lo
	v_readlane_b32 s91, v203, 25
	s_and_b32 s91, s47, s91
	s_delay_alu instid0(SALU_CYCLE_1)
	s_mov_b32 exec_lo, s91
; %bb.536:                              ;   in Loop: Header=BB77_3 Depth=1
	v_dual_mov_b32 v0, v1 :: v_dual_mov_b32 v2, v1
	v_mov_b32_e32 v3, v1
	ds_store_b128 v199, v[0:3]
; %bb.537:                              ;   in Loop: Header=BB77_3 Depth=1
	s_or_b32 exec_lo, exec_lo, s47
.LBB77_538:                             ;   in Loop: Header=BB77_3 Depth=1
	s_and_not1_saveexec_b32 s46, s46
	s_cbranch_execz .LBB77_544
; %bb.539:                              ;   in Loop: Header=BB77_3 Depth=1
	v_lshl_add_u64 v[2:3], v[32:33], 4, s[40:41]
                                        ; implicit-def: $vgpr20_vgpr21
	global_load_b128 v[16:19], v[2:3], off
	s_wait_loadcnt 0x0
	v_cmp_ngt_f64_e64 s47, |v[16:17]|, |v[18:19]|
	s_and_saveexec_b32 s91, s47
	s_delay_alu instid0(SALU_CYCLE_1)
	s_xor_b32 s47, exec_lo, s91
	s_cbranch_execz .LBB77_541
; %bb.540:                              ;   in Loop: Header=BB77_3 Depth=1
	v_div_scale_f64 v[2:3], null, v[18:19], v[18:19], v[16:17]
	v_div_scale_f64 v[204:205], vcc_lo, v[16:17], v[18:19], v[16:17]
	s_delay_alu instid0(VALU_DEP_2) | instskip(SKIP_1) | instid1(TRANS32_DEP_1)
	v_rcp_f64_e32 v[20:21], v[2:3]
	v_nop
	v_fma_f64 v[22:23], -v[2:3], v[20:21], 1.0
	s_delay_alu instid0(VALU_DEP_1) | instskip(NEXT) | instid1(VALU_DEP_1)
	v_fmac_f64_e32 v[20:21], v[20:21], v[22:23]
	v_fma_f64 v[22:23], -v[2:3], v[20:21], 1.0
	s_delay_alu instid0(VALU_DEP_1) | instskip(NEXT) | instid1(VALU_DEP_1)
	v_fmac_f64_e32 v[20:21], v[20:21], v[22:23]
	v_mul_f64_e32 v[22:23], v[204:205], v[20:21]
	s_delay_alu instid0(VALU_DEP_1) | instskip(NEXT) | instid1(VALU_DEP_1)
	v_fma_f64 v[2:3], -v[2:3], v[22:23], v[204:205]
	v_div_fmas_f64 v[2:3], v[2:3], v[20:21], v[22:23]
	s_delay_alu instid0(VALU_DEP_1) | instskip(NEXT) | instid1(VALU_DEP_1)
	v_div_fixup_f64 v[2:3], v[2:3], v[18:19], v[16:17]
	v_fmac_f64_e32 v[18:19], v[16:17], v[2:3]
	s_delay_alu instid0(VALU_DEP_1) | instskip(NEXT) | instid1(VALU_DEP_1)
	v_div_scale_f64 v[16:17], null, v[18:19], v[18:19], 1.0
	v_rcp_f64_e32 v[20:21], v[16:17]
	v_nop
	s_delay_alu instid0(TRANS32_DEP_1) | instskip(NEXT) | instid1(VALU_DEP_1)
	v_fma_f64 v[22:23], -v[16:17], v[20:21], 1.0
	v_fmac_f64_e32 v[20:21], v[20:21], v[22:23]
	s_delay_alu instid0(VALU_DEP_1) | instskip(NEXT) | instid1(VALU_DEP_1)
	v_fma_f64 v[22:23], -v[16:17], v[20:21], 1.0
	v_fmac_f64_e32 v[20:21], v[20:21], v[22:23]
	v_div_scale_f64 v[22:23], vcc_lo, 1.0, v[18:19], 1.0
	s_delay_alu instid0(VALU_DEP_1) | instskip(NEXT) | instid1(VALU_DEP_1)
	v_mul_f64_e32 v[204:205], v[22:23], v[20:21]
	v_fma_f64 v[16:17], -v[16:17], v[204:205], v[22:23]
	s_delay_alu instid0(VALU_DEP_1) | instskip(NEXT) | instid1(VALU_DEP_1)
	v_div_fmas_f64 v[16:17], v[16:17], v[20:21], v[204:205]
	v_div_fixup_f64 v[22:23], v[16:17], v[18:19], 1.0
                                        ; implicit-def: $vgpr16_vgpr17
	s_delay_alu instid0(VALU_DEP_1)
	v_mul_f64_e32 v[20:21], v[2:3], v[22:23]
	v_xor_b32_e32 v23, 0x80000000, v23
.LBB77_541:                             ;   in Loop: Header=BB77_3 Depth=1
	s_and_not1_saveexec_b32 s47, s47
	s_cbranch_execz .LBB77_543
; %bb.542:                              ;   in Loop: Header=BB77_3 Depth=1
	v_div_scale_f64 v[2:3], null, v[16:17], v[16:17], v[18:19]
	v_div_scale_f64 v[204:205], vcc_lo, v[18:19], v[16:17], v[18:19]
	s_delay_alu instid0(VALU_DEP_2) | instskip(SKIP_1) | instid1(TRANS32_DEP_1)
	v_rcp_f64_e32 v[20:21], v[2:3]
	v_nop
	v_fma_f64 v[22:23], -v[2:3], v[20:21], 1.0
	s_delay_alu instid0(VALU_DEP_1) | instskip(NEXT) | instid1(VALU_DEP_1)
	v_fmac_f64_e32 v[20:21], v[20:21], v[22:23]
	v_fma_f64 v[22:23], -v[2:3], v[20:21], 1.0
	s_delay_alu instid0(VALU_DEP_1) | instskip(NEXT) | instid1(VALU_DEP_1)
	v_fmac_f64_e32 v[20:21], v[20:21], v[22:23]
	v_mul_f64_e32 v[22:23], v[204:205], v[20:21]
	s_delay_alu instid0(VALU_DEP_1) | instskip(NEXT) | instid1(VALU_DEP_1)
	v_fma_f64 v[2:3], -v[2:3], v[22:23], v[204:205]
	v_div_fmas_f64 v[2:3], v[2:3], v[20:21], v[22:23]
	s_delay_alu instid0(VALU_DEP_1) | instskip(NEXT) | instid1(VALU_DEP_1)
	v_div_fixup_f64 v[2:3], v[2:3], v[16:17], v[18:19]
	v_fmac_f64_e32 v[16:17], v[18:19], v[2:3]
	s_delay_alu instid0(VALU_DEP_1) | instskip(NEXT) | instid1(VALU_DEP_1)
	v_div_scale_f64 v[18:19], null, v[16:17], v[16:17], 1.0
	v_rcp_f64_e32 v[20:21], v[18:19]
	v_nop
	s_delay_alu instid0(TRANS32_DEP_1) | instskip(NEXT) | instid1(VALU_DEP_1)
	v_fma_f64 v[22:23], -v[18:19], v[20:21], 1.0
	v_fmac_f64_e32 v[20:21], v[20:21], v[22:23]
	s_delay_alu instid0(VALU_DEP_1) | instskip(NEXT) | instid1(VALU_DEP_1)
	v_fma_f64 v[22:23], -v[18:19], v[20:21], 1.0
	v_fmac_f64_e32 v[20:21], v[20:21], v[22:23]
	v_div_scale_f64 v[22:23], vcc_lo, 1.0, v[16:17], 1.0
	s_delay_alu instid0(VALU_DEP_1) | instskip(NEXT) | instid1(VALU_DEP_1)
	v_mul_f64_e32 v[204:205], v[22:23], v[20:21]
	v_fma_f64 v[18:19], -v[18:19], v[204:205], v[22:23]
	s_delay_alu instid0(VALU_DEP_1) | instskip(NEXT) | instid1(VALU_DEP_1)
	v_div_fmas_f64 v[18:19], v[18:19], v[20:21], v[204:205]
	v_div_fixup_f64 v[20:21], v[18:19], v[16:17], 1.0
	s_delay_alu instid0(VALU_DEP_1)
	v_mul_f64_e64 v[22:23], v[2:3], -v[20:21]
.LBB77_543:                             ;   in Loop: Header=BB77_3 Depth=1
	s_or_b32 exec_lo, exec_lo, s47
	ds_store_b128 v199, v[20:23]
.LBB77_544:                             ;   in Loop: Header=BB77_3 Depth=1
	s_or_b32 exec_lo, exec_lo, s46
	s_and_not1_saveexec_b32 s35, s35
	s_cbranch_execnz .LBB77_21
	s_branch .LBB77_22
.LBB77_545:                             ;   in Loop: Header=BB77_3 Depth=1
	s_or_b32 exec_lo, exec_lo, s47
	s_delay_alu instid0(SALU_CYCLE_1)
	s_and_b32 vcc_lo, exec_lo, s46
	s_cbranch_vccnz .LBB77_484
.LBB77_546:                             ;   in Loop: Header=BB77_3 Depth=1
	s_delay_alu instid0(VALU_DEP_1) | instskip(NEXT) | instid1(VALU_DEP_3)
	v_mov_b64_e32 v[18:19], v[2:3]
	v_mov_b64_e32 v[16:17], v[20:21]
	;; [unrolled: 1-line block ×3, first 2 shown]
	s_and_saveexec_b32 s46, s35
	s_cbranch_execz .LBB77_548
.LBB77_547:                             ;   in Loop: Header=BB77_3 Depth=1
	s_delay_alu instid0(VALU_DEP_1)
	v_lshl_add_u64 v[2:3], v[2:3], 4, s[40:41]
	global_store_b128 v[2:3], v[16:19], off
.LBB77_548:                             ;   in Loop: Header=BB77_3 Depth=1
	s_wait_xcnt 0x0
	s_or_b32 exec_lo, exec_lo, s46
	global_wb scope:SCOPE_DEV
	s_wait_storecnt 0x0
	global_inv scope:SCOPE_DEV
	s_wait_loadcnt 0x0
	s_barrier_signal -1
	s_barrier_wait -1
	s_and_saveexec_b32 s35, s33
	s_cbranch_execz .LBB77_2
; %bb.549:                              ;   in Loop: Header=BB77_3 Depth=1
	s_lshl_b64 s[40:41], s[56:57], 2
	s_delay_alu instid0(SALU_CYCLE_1)
	s_add_nc_u64 s[40:41], s[54:55], s[40:41]
	global_load_b32 v0, v1, s[40:41]
	s_wait_loadcnt 0x0
	v_add_nc_u32_e32 v0, 1, v0
	global_store_b32 v1, v0, s[40:41]
	s_branch .LBB77_2
.LBB77_550:                             ;   in Loop: Header=BB77_3 Depth=1
	ds_load_b128 v[20:23], v55 offset:16336
	ds_load_b128 v[204:207], v54 offset:15232
	s_wait_dscnt 0x0
	v_mul_f64_e32 v[2:3], v[22:23], v[206:207]
	s_delay_alu instid0(VALU_DEP_1) | instskip(SKIP_1) | instid1(VALU_DEP_2)
	v_fma_f64 v[2:3], v[20:21], v[204:205], -v[2:3]
	v_mul_f64_e32 v[20:21], v[20:21], v[206:207]
	v_add_f64_e32 v[16:17], v[16:17], v[2:3]
	s_delay_alu instid0(VALU_DEP_2) | instskip(NEXT) | instid1(VALU_DEP_1)
	v_fmac_f64_e32 v[20:21], v[22:23], v[204:205]
	v_add_f64_e32 v[18:19], v[18:19], v[20:21]
	s_or_b32 exec_lo, exec_lo, s40
	s_and_saveexec_b32 s40, s12
	s_cbranch_execz .LBB77_45
.LBB77_551:                             ;   in Loop: Header=BB77_3 Depth=1
	ds_load_b128 v[20:23], v55 offset:16352
	ds_load_b128 v[204:207], v54 offset:15744
	s_wait_dscnt 0x0
	v_mul_f64_e32 v[2:3], v[22:23], v[206:207]
	s_delay_alu instid0(VALU_DEP_1) | instskip(SKIP_1) | instid1(VALU_DEP_2)
	v_fma_f64 v[2:3], v[20:21], v[204:205], -v[2:3]
	v_mul_f64_e32 v[20:21], v[20:21], v[206:207]
	v_add_f64_e32 v[16:17], v[16:17], v[2:3]
	s_delay_alu instid0(VALU_DEP_2) | instskip(NEXT) | instid1(VALU_DEP_1)
	v_fmac_f64_e32 v[20:21], v[22:23], v[204:205]
	v_add_f64_e32 v[18:19], v[18:19], v[20:21]
	s_or_b32 exec_lo, exec_lo, s40
	s_and_saveexec_b32 s40, s0
	s_cbranch_execnz .LBB77_46
	s_branch .LBB77_47
.LBB77_552:                             ;   in Loop: Header=BB77_3 Depth=1
	ds_load_b128 v[20:23], v59 offset:16272
	ds_load_b128 v[204:207], v58 offset:13056
	s_wait_dscnt 0x0
	v_mul_f64_e32 v[2:3], v[22:23], v[206:207]
	s_delay_alu instid0(VALU_DEP_1) | instskip(SKIP_1) | instid1(VALU_DEP_2)
	v_fma_f64 v[2:3], v[20:21], v[204:205], -v[2:3]
	v_mul_f64_e32 v[20:21], v[20:21], v[206:207]
	v_add_f64_e32 v[16:17], v[16:17], v[2:3]
	s_delay_alu instid0(VALU_DEP_2) | instskip(NEXT) | instid1(VALU_DEP_1)
	v_fmac_f64_e32 v[20:21], v[22:23], v[204:205]
	v_add_f64_e32 v[18:19], v[18:19], v[20:21]
	s_or_b32 exec_lo, exec_lo, s40
	s_and_saveexec_b32 s40, s14
	s_cbranch_execz .LBB77_87
.LBB77_553:                             ;   in Loop: Header=BB77_3 Depth=1
	ds_load_b128 v[20:23], v59 offset:16288
	ds_load_b128 v[204:207], v58 offset:13568
	s_wait_dscnt 0x0
	v_mul_f64_e32 v[2:3], v[22:23], v[206:207]
	s_delay_alu instid0(VALU_DEP_1) | instskip(SKIP_1) | instid1(VALU_DEP_2)
	v_fma_f64 v[2:3], v[20:21], v[204:205], -v[2:3]
	v_mul_f64_e32 v[20:21], v[20:21], v[206:207]
	v_add_f64_e32 v[16:17], v[16:17], v[2:3]
	s_delay_alu instid0(VALU_DEP_2) | instskip(NEXT) | instid1(VALU_DEP_1)
	v_fmac_f64_e32 v[20:21], v[22:23], v[204:205]
	v_add_f64_e32 v[18:19], v[18:19], v[20:21]
	s_or_b32 exec_lo, exec_lo, s40
	s_and_saveexec_b32 s40, s15
	s_cbranch_execz .LBB77_88
.LBB77_554:                             ;   in Loop: Header=BB77_3 Depth=1
	ds_load_b128 v[20:23], v59 offset:16304
	ds_load_b128 v[204:207], v58 offset:14080
	s_wait_dscnt 0x0
	v_mul_f64_e32 v[2:3], v[22:23], v[206:207]
	s_delay_alu instid0(VALU_DEP_1) | instskip(SKIP_1) | instid1(VALU_DEP_2)
	v_fma_f64 v[2:3], v[20:21], v[204:205], -v[2:3]
	v_mul_f64_e32 v[20:21], v[20:21], v[206:207]
	v_add_f64_e32 v[16:17], v[16:17], v[2:3]
	s_delay_alu instid0(VALU_DEP_2) | instskip(NEXT) | instid1(VALU_DEP_1)
	v_fmac_f64_e32 v[20:21], v[22:23], v[204:205]
	v_add_f64_e32 v[18:19], v[18:19], v[20:21]
	s_or_b32 exec_lo, exec_lo, s40
	s_and_saveexec_b32 s40, s16
	s_cbranch_execz .LBB77_89
.LBB77_555:                             ;   in Loop: Header=BB77_3 Depth=1
	ds_load_b128 v[20:23], v59 offset:16320
	ds_load_b128 v[204:207], v58 offset:14592
	s_wait_dscnt 0x0
	v_mul_f64_e32 v[2:3], v[22:23], v[206:207]
	s_delay_alu instid0(VALU_DEP_1) | instskip(SKIP_1) | instid1(VALU_DEP_2)
	v_fma_f64 v[2:3], v[20:21], v[204:205], -v[2:3]
	v_mul_f64_e32 v[20:21], v[20:21], v[206:207]
	v_add_f64_e32 v[16:17], v[16:17], v[2:3]
	s_delay_alu instid0(VALU_DEP_2) | instskip(NEXT) | instid1(VALU_DEP_1)
	v_fmac_f64_e32 v[20:21], v[22:23], v[204:205]
	v_add_f64_e32 v[18:19], v[18:19], v[20:21]
	s_or_b32 exec_lo, exec_lo, s40
	s_and_saveexec_b32 s40, s17
	s_cbranch_execz .LBB77_90
.LBB77_556:                             ;   in Loop: Header=BB77_3 Depth=1
	ds_load_b128 v[20:23], v59 offset:16336
	ds_load_b128 v[204:207], v58 offset:15104
	s_wait_dscnt 0x0
	v_mul_f64_e32 v[2:3], v[22:23], v[206:207]
	s_delay_alu instid0(VALU_DEP_1) | instskip(SKIP_1) | instid1(VALU_DEP_2)
	v_fma_f64 v[2:3], v[20:21], v[204:205], -v[2:3]
	v_mul_f64_e32 v[20:21], v[20:21], v[206:207]
	v_add_f64_e32 v[16:17], v[16:17], v[2:3]
	s_delay_alu instid0(VALU_DEP_2) | instskip(NEXT) | instid1(VALU_DEP_1)
	v_fmac_f64_e32 v[20:21], v[22:23], v[204:205]
	v_add_f64_e32 v[18:19], v[18:19], v[20:21]
	s_or_b32 exec_lo, exec_lo, s40
	s_and_saveexec_b32 s40, s2
	s_cbranch_execz .LBB77_91
.LBB77_557:                             ;   in Loop: Header=BB77_3 Depth=1
	ds_load_b128 v[20:23], v59 offset:16352
	ds_load_b128 v[204:207], v58 offset:15616
	s_wait_dscnt 0x0
	v_mul_f64_e32 v[2:3], v[22:23], v[206:207]
	s_delay_alu instid0(VALU_DEP_1) | instskip(SKIP_1) | instid1(VALU_DEP_2)
	v_fma_f64 v[2:3], v[20:21], v[204:205], -v[2:3]
	v_mul_f64_e32 v[20:21], v[20:21], v[206:207]
	v_add_f64_e32 v[16:17], v[16:17], v[2:3]
	s_delay_alu instid0(VALU_DEP_2) | instskip(NEXT) | instid1(VALU_DEP_1)
	v_fmac_f64_e32 v[20:21], v[22:23], v[204:205]
	v_add_f64_e32 v[18:19], v[18:19], v[20:21]
	s_or_b32 exec_lo, exec_lo, s40
	s_and_saveexec_b32 s40, s12
	s_cbranch_execnz .LBB77_92
	s_branch .LBB77_93
.LBB77_558:                             ;   in Loop: Header=BB77_3 Depth=1
	ds_load_b128 v[20:23], v55 offset:12112
	ds_load_b128 v[204:207], v54 offset:11008
	s_wait_dscnt 0x0
	v_mul_f64_e32 v[2:3], v[22:23], v[206:207]
	s_delay_alu instid0(VALU_DEP_1) | instskip(SKIP_1) | instid1(VALU_DEP_2)
	v_fma_f64 v[2:3], v[20:21], v[204:205], -v[2:3]
	v_mul_f64_e32 v[20:21], v[20:21], v[206:207]
	v_add_f64_e32 v[16:17], v[16:17], v[2:3]
	s_delay_alu instid0(VALU_DEP_2) | instskip(NEXT) | instid1(VALU_DEP_1)
	v_fmac_f64_e32 v[20:21], v[22:23], v[204:205]
	v_add_f64_e32 v[18:19], v[18:19], v[20:21]
	s_or_b32 exec_lo, exec_lo, s40
	s_and_saveexec_b32 s40, s12
	s_cbranch_execz .LBB77_149
.LBB77_559:                             ;   in Loop: Header=BB77_3 Depth=1
	ds_load_b128 v[20:23], v55 offset:12128
	ds_load_b128 v[204:207], v54 offset:11520
	s_wait_dscnt 0x0
	v_mul_f64_e32 v[2:3], v[22:23], v[206:207]
	s_delay_alu instid0(VALU_DEP_1) | instskip(SKIP_1) | instid1(VALU_DEP_2)
	v_fma_f64 v[2:3], v[20:21], v[204:205], -v[2:3]
	v_mul_f64_e32 v[20:21], v[20:21], v[206:207]
	v_add_f64_e32 v[16:17], v[16:17], v[2:3]
	s_delay_alu instid0(VALU_DEP_2) | instskip(NEXT) | instid1(VALU_DEP_1)
	v_fmac_f64_e32 v[20:21], v[22:23], v[204:205]
	v_add_f64_e32 v[18:19], v[18:19], v[20:21]
	s_or_b32 exec_lo, exec_lo, s40
	s_and_saveexec_b32 s40, s0
	s_cbranch_execnz .LBB77_150
	s_branch .LBB77_151
.LBB77_560:                             ;   in Loop: Header=BB77_3 Depth=1
	ds_load_b128 v[20:23], v71 offset:16304
	ds_load_b128 v[204:207], v70 offset:13824
	s_wait_dscnt 0x0
	v_mul_f64_e32 v[2:3], v[22:23], v[206:207]
	s_delay_alu instid0(VALU_DEP_1) | instskip(SKIP_1) | instid1(VALU_DEP_2)
	v_fma_f64 v[2:3], v[20:21], v[204:205], -v[2:3]
	v_mul_f64_e32 v[20:21], v[20:21], v[206:207]
	v_add_f64_e32 v[16:17], v[16:17], v[2:3]
	s_delay_alu instid0(VALU_DEP_2) | instskip(NEXT) | instid1(VALU_DEP_1)
	v_fmac_f64_e32 v[20:21], v[22:23], v[204:205]
	v_add_f64_e32 v[18:19], v[18:19], v[20:21]
	s_or_b32 exec_lo, exec_lo, s40
	s_and_saveexec_b32 s40, s3
	s_cbranch_execz .LBB77_211
.LBB77_561:                             ;   in Loop: Header=BB77_3 Depth=1
	ds_load_b128 v[20:23], v71 offset:16320
	ds_load_b128 v[204:207], v70 offset:14336
	s_wait_dscnt 0x0
	v_mul_f64_e32 v[2:3], v[22:23], v[206:207]
	s_delay_alu instid0(VALU_DEP_1) | instskip(SKIP_1) | instid1(VALU_DEP_2)
	v_fma_f64 v[2:3], v[20:21], v[204:205], -v[2:3]
	v_mul_f64_e32 v[20:21], v[20:21], v[206:207]
	v_add_f64_e32 v[16:17], v[16:17], v[2:3]
	s_delay_alu instid0(VALU_DEP_2) | instskip(NEXT) | instid1(VALU_DEP_1)
	v_fmac_f64_e32 v[20:21], v[22:23], v[204:205]
	v_add_f64_e32 v[18:19], v[18:19], v[20:21]
	s_or_b32 exec_lo, exec_lo, s40
	s_and_saveexec_b32 s40, s14
	s_cbranch_execz .LBB77_212
.LBB77_562:                             ;   in Loop: Header=BB77_3 Depth=1
	ds_load_b128 v[20:23], v71 offset:16336
	ds_load_b128 v[204:207], v70 offset:14848
	s_wait_dscnt 0x0
	v_mul_f64_e32 v[2:3], v[22:23], v[206:207]
	s_delay_alu instid0(VALU_DEP_1) | instskip(SKIP_1) | instid1(VALU_DEP_2)
	v_fma_f64 v[2:3], v[20:21], v[204:205], -v[2:3]
	v_mul_f64_e32 v[20:21], v[20:21], v[206:207]
	v_add_f64_e32 v[16:17], v[16:17], v[2:3]
	s_delay_alu instid0(VALU_DEP_2) | instskip(NEXT) | instid1(VALU_DEP_1)
	v_fmac_f64_e32 v[20:21], v[22:23], v[204:205]
	v_add_f64_e32 v[18:19], v[18:19], v[20:21]
	s_or_b32 exec_lo, exec_lo, s40
	s_and_saveexec_b32 s40, s16
	s_cbranch_execz .LBB77_213
.LBB77_563:                             ;   in Loop: Header=BB77_3 Depth=1
	ds_load_b128 v[20:23], v71 offset:16352
	ds_load_b128 v[204:207], v70 offset:15360
	s_wait_dscnt 0x0
	v_mul_f64_e32 v[2:3], v[22:23], v[206:207]
	s_delay_alu instid0(VALU_DEP_1) | instskip(SKIP_1) | instid1(VALU_DEP_2)
	v_fma_f64 v[2:3], v[20:21], v[204:205], -v[2:3]
	v_mul_f64_e32 v[20:21], v[20:21], v[206:207]
	v_add_f64_e32 v[16:17], v[16:17], v[2:3]
	s_delay_alu instid0(VALU_DEP_2) | instskip(NEXT) | instid1(VALU_DEP_1)
	v_fmac_f64_e32 v[20:21], v[22:23], v[204:205]
	v_add_f64_e32 v[18:19], v[18:19], v[20:21]
	s_or_b32 exec_lo, exec_lo, s40
	s_and_saveexec_b32 s40, s2
	s_cbranch_execnz .LBB77_214
	s_branch .LBB77_215
.LBB77_564:                             ;   in Loop: Header=BB77_3 Depth=1
	ds_load_b128 v[20:23], v55 offset:7888
	ds_load_b128 v[204:207], v54 offset:6784
	s_wait_dscnt 0x0
	v_mul_f64_e32 v[2:3], v[22:23], v[206:207]
	s_delay_alu instid0(VALU_DEP_1) | instskip(SKIP_1) | instid1(VALU_DEP_2)
	v_fma_f64 v[2:3], v[20:21], v[204:205], -v[2:3]
	v_mul_f64_e32 v[20:21], v[20:21], v[206:207]
	v_add_f64_e32 v[16:17], v[16:17], v[2:3]
	s_delay_alu instid0(VALU_DEP_2) | instskip(NEXT) | instid1(VALU_DEP_1)
	v_fmac_f64_e32 v[20:21], v[22:23], v[204:205]
	v_add_f64_e32 v[18:19], v[18:19], v[20:21]
	s_or_b32 exec_lo, exec_lo, s40
	s_and_saveexec_b32 s40, s12
	s_cbranch_execz .LBB77_303
.LBB77_565:                             ;   in Loop: Header=BB77_3 Depth=1
	ds_load_b128 v[20:23], v55 offset:7904
	ds_load_b128 v[204:207], v54 offset:7296
	s_wait_dscnt 0x0
	v_mul_f64_e32 v[2:3], v[22:23], v[206:207]
	s_delay_alu instid0(VALU_DEP_1) | instskip(SKIP_1) | instid1(VALU_DEP_2)
	v_fma_f64 v[2:3], v[20:21], v[204:205], -v[2:3]
	v_mul_f64_e32 v[20:21], v[20:21], v[206:207]
	v_add_f64_e32 v[16:17], v[16:17], v[2:3]
	s_delay_alu instid0(VALU_DEP_2) | instskip(NEXT) | instid1(VALU_DEP_1)
	v_fmac_f64_e32 v[20:21], v[22:23], v[204:205]
	v_add_f64_e32 v[18:19], v[18:19], v[20:21]
	s_or_b32 exec_lo, exec_lo, s40
	s_and_saveexec_b32 s40, s0
	s_cbranch_execnz .LBB77_304
	s_branch .LBB77_305
.LBB77_566:                             ;   in Loop: Header=BB77_3 Depth=1
	ds_load_b128 v[20:23], v59 offset:7824
	ds_load_b128 v[204:207], v58 offset:4608
	s_wait_dscnt 0x0
	v_mul_f64_e32 v[2:3], v[22:23], v[206:207]
	s_delay_alu instid0(VALU_DEP_1) | instskip(SKIP_1) | instid1(VALU_DEP_2)
	v_fma_f64 v[2:3], v[20:21], v[204:205], -v[2:3]
	v_mul_f64_e32 v[20:21], v[20:21], v[206:207]
	v_add_f64_e32 v[16:17], v[16:17], v[2:3]
	s_delay_alu instid0(VALU_DEP_2) | instskip(NEXT) | instid1(VALU_DEP_1)
	v_fmac_f64_e32 v[20:21], v[22:23], v[204:205]
	v_add_f64_e32 v[18:19], v[18:19], v[20:21]
	s_or_b32 exec_lo, exec_lo, s40
	s_and_saveexec_b32 s40, s14
	s_cbranch_execz .LBB77_345
.LBB77_567:                             ;   in Loop: Header=BB77_3 Depth=1
	ds_load_b128 v[20:23], v59 offset:7840
	ds_load_b128 v[204:207], v58 offset:5120
	s_wait_dscnt 0x0
	v_mul_f64_e32 v[2:3], v[22:23], v[206:207]
	s_delay_alu instid0(VALU_DEP_1) | instskip(SKIP_1) | instid1(VALU_DEP_2)
	v_fma_f64 v[2:3], v[20:21], v[204:205], -v[2:3]
	v_mul_f64_e32 v[20:21], v[20:21], v[206:207]
	v_add_f64_e32 v[16:17], v[16:17], v[2:3]
	s_delay_alu instid0(VALU_DEP_2) | instskip(NEXT) | instid1(VALU_DEP_1)
	v_fmac_f64_e32 v[20:21], v[22:23], v[204:205]
	v_add_f64_e32 v[18:19], v[18:19], v[20:21]
	s_or_b32 exec_lo, exec_lo, s40
	s_and_saveexec_b32 s40, s15
	s_cbranch_execz .LBB77_346
.LBB77_568:                             ;   in Loop: Header=BB77_3 Depth=1
	ds_load_b128 v[20:23], v59 offset:7856
	ds_load_b128 v[204:207], v58 offset:5632
	s_wait_dscnt 0x0
	v_mul_f64_e32 v[2:3], v[22:23], v[206:207]
	s_delay_alu instid0(VALU_DEP_1) | instskip(SKIP_1) | instid1(VALU_DEP_2)
	v_fma_f64 v[2:3], v[20:21], v[204:205], -v[2:3]
	v_mul_f64_e32 v[20:21], v[20:21], v[206:207]
	v_add_f64_e32 v[16:17], v[16:17], v[2:3]
	s_delay_alu instid0(VALU_DEP_2) | instskip(NEXT) | instid1(VALU_DEP_1)
	v_fmac_f64_e32 v[20:21], v[22:23], v[204:205]
	v_add_f64_e32 v[18:19], v[18:19], v[20:21]
	s_or_b32 exec_lo, exec_lo, s40
	s_and_saveexec_b32 s40, s16
	s_cbranch_execz .LBB77_347
.LBB77_569:                             ;   in Loop: Header=BB77_3 Depth=1
	ds_load_b128 v[20:23], v59 offset:7872
	ds_load_b128 v[204:207], v58 offset:6144
	s_wait_dscnt 0x0
	v_mul_f64_e32 v[2:3], v[22:23], v[206:207]
	s_delay_alu instid0(VALU_DEP_1) | instskip(SKIP_1) | instid1(VALU_DEP_2)
	v_fma_f64 v[2:3], v[20:21], v[204:205], -v[2:3]
	v_mul_f64_e32 v[20:21], v[20:21], v[206:207]
	v_add_f64_e32 v[16:17], v[16:17], v[2:3]
	s_delay_alu instid0(VALU_DEP_2) | instskip(NEXT) | instid1(VALU_DEP_1)
	v_fmac_f64_e32 v[20:21], v[22:23], v[204:205]
	v_add_f64_e32 v[18:19], v[18:19], v[20:21]
	s_or_b32 exec_lo, exec_lo, s40
	s_and_saveexec_b32 s40, s17
	s_cbranch_execz .LBB77_348
.LBB77_570:                             ;   in Loop: Header=BB77_3 Depth=1
	ds_load_b128 v[20:23], v59 offset:7888
	ds_load_b128 v[204:207], v58 offset:6656
	s_wait_dscnt 0x0
	v_mul_f64_e32 v[2:3], v[22:23], v[206:207]
	s_delay_alu instid0(VALU_DEP_1) | instskip(SKIP_1) | instid1(VALU_DEP_2)
	v_fma_f64 v[2:3], v[20:21], v[204:205], -v[2:3]
	v_mul_f64_e32 v[20:21], v[20:21], v[206:207]
	v_add_f64_e32 v[16:17], v[16:17], v[2:3]
	s_delay_alu instid0(VALU_DEP_2) | instskip(NEXT) | instid1(VALU_DEP_1)
	v_fmac_f64_e32 v[20:21], v[22:23], v[204:205]
	v_add_f64_e32 v[18:19], v[18:19], v[20:21]
	s_or_b32 exec_lo, exec_lo, s40
	s_and_saveexec_b32 s40, s2
	s_cbranch_execz .LBB77_349
.LBB77_571:                             ;   in Loop: Header=BB77_3 Depth=1
	ds_load_b128 v[20:23], v59 offset:7904
	ds_load_b128 v[204:207], v58 offset:7168
	s_wait_dscnt 0x0
	v_mul_f64_e32 v[2:3], v[22:23], v[206:207]
	s_delay_alu instid0(VALU_DEP_1) | instskip(SKIP_1) | instid1(VALU_DEP_2)
	v_fma_f64 v[2:3], v[20:21], v[204:205], -v[2:3]
	v_mul_f64_e32 v[20:21], v[20:21], v[206:207]
	v_add_f64_e32 v[16:17], v[16:17], v[2:3]
	s_delay_alu instid0(VALU_DEP_2) | instskip(NEXT) | instid1(VALU_DEP_1)
	v_fmac_f64_e32 v[20:21], v[22:23], v[204:205]
	v_add_f64_e32 v[18:19], v[18:19], v[20:21]
	s_or_b32 exec_lo, exec_lo, s40
	s_and_saveexec_b32 s40, s12
	s_cbranch_execnz .LBB77_350
	s_branch .LBB77_351
.LBB77_572:                             ;   in Loop: Header=BB77_3 Depth=1
	ds_load_b128 v[20:23], v55 offset:3664
	ds_load_b128 v[204:207], v54 offset:2560
	s_wait_dscnt 0x0
	v_mul_f64_e32 v[2:3], v[22:23], v[206:207]
	s_delay_alu instid0(VALU_DEP_1) | instskip(SKIP_1) | instid1(VALU_DEP_2)
	v_fma_f64 v[2:3], v[20:21], v[204:205], -v[2:3]
	v_mul_f64_e32 v[20:21], v[20:21], v[206:207]
	v_add_f64_e32 v[16:17], v[16:17], v[2:3]
	s_delay_alu instid0(VALU_DEP_2) | instskip(NEXT) | instid1(VALU_DEP_1)
	v_fmac_f64_e32 v[20:21], v[22:23], v[204:205]
	v_add_f64_e32 v[18:19], v[18:19], v[20:21]
	s_or_b32 exec_lo, exec_lo, s40
	s_and_saveexec_b32 s40, s12
	s_cbranch_execz .LBB77_407
.LBB77_573:                             ;   in Loop: Header=BB77_3 Depth=1
	ds_load_b128 v[20:23], v55 offset:3680
	ds_load_b128 v[204:207], v54 offset:3072
	s_wait_dscnt 0x0
	v_mul_f64_e32 v[2:3], v[22:23], v[206:207]
	s_delay_alu instid0(VALU_DEP_1) | instskip(SKIP_1) | instid1(VALU_DEP_2)
	v_fma_f64 v[2:3], v[20:21], v[204:205], -v[2:3]
	v_mul_f64_e32 v[20:21], v[20:21], v[206:207]
	v_add_f64_e32 v[16:17], v[16:17], v[2:3]
	s_delay_alu instid0(VALU_DEP_2) | instskip(NEXT) | instid1(VALU_DEP_1)
	v_fmac_f64_e32 v[20:21], v[22:23], v[204:205]
	v_add_f64_e32 v[18:19], v[18:19], v[20:21]
	s_or_b32 exec_lo, exec_lo, s40
	s_and_saveexec_b32 s40, s0
	s_cbranch_execnz .LBB77_408
	s_branch .LBB77_409
.LBB77_574:
	s_endpgm
	.section	.rodata,"a",@progbits
	.p2align	6, 0x0
	.amdhsa_kernel _ZL19rocblas_trsv_deviceILi32ELi16ELb0ELb1ELb0ELb0E19rocblas_complex_numIdEPKS1_S3_PS1_EviT7_lllT6_T8_lllPii
		.amdhsa_group_segment_fixed_size 25104
		.amdhsa_private_segment_fixed_size 0
		.amdhsa_kernarg_size 352
		.amdhsa_user_sgpr_count 2
		.amdhsa_user_sgpr_dispatch_ptr 0
		.amdhsa_user_sgpr_queue_ptr 0
		.amdhsa_user_sgpr_kernarg_segment_ptr 1
		.amdhsa_user_sgpr_dispatch_id 0
		.amdhsa_user_sgpr_kernarg_preload_length 0
		.amdhsa_user_sgpr_kernarg_preload_offset 0
		.amdhsa_user_sgpr_private_segment_size 0
		.amdhsa_wavefront_size32 1
		.amdhsa_uses_dynamic_stack 0
		.amdhsa_enable_private_segment 0
		.amdhsa_system_sgpr_workgroup_id_x 1
		.amdhsa_system_sgpr_workgroup_id_y 0
		.amdhsa_system_sgpr_workgroup_id_z 1
		.amdhsa_system_sgpr_workgroup_info 0
		.amdhsa_system_vgpr_workitem_id 1
		.amdhsa_next_free_vgpr 208
		.amdhsa_next_free_sgpr 105
		.amdhsa_named_barrier_count 0
		.amdhsa_reserve_vcc 1
		.amdhsa_float_round_mode_32 0
		.amdhsa_float_round_mode_16_64 0
		.amdhsa_float_denorm_mode_32 3
		.amdhsa_float_denorm_mode_16_64 3
		.amdhsa_fp16_overflow 0
		.amdhsa_memory_ordered 1
		.amdhsa_forward_progress 1
		.amdhsa_inst_pref_size 230
		.amdhsa_round_robin_scheduling 0
		.amdhsa_exception_fp_ieee_invalid_op 0
		.amdhsa_exception_fp_denorm_src 0
		.amdhsa_exception_fp_ieee_div_zero 0
		.amdhsa_exception_fp_ieee_overflow 0
		.amdhsa_exception_fp_ieee_underflow 0
		.amdhsa_exception_fp_ieee_inexact 0
		.amdhsa_exception_int_div_zero 0
	.end_amdhsa_kernel
	.section	.text._ZL19rocblas_trsv_deviceILi32ELi16ELb0ELb1ELb0ELb0E19rocblas_complex_numIdEPKS1_S3_PS1_EviT7_lllT6_T8_lllPii,"axG",@progbits,_ZL19rocblas_trsv_deviceILi32ELi16ELb0ELb1ELb0ELb0E19rocblas_complex_numIdEPKS1_S3_PS1_EviT7_lllT6_T8_lllPii,comdat
.Lfunc_end77:
	.size	_ZL19rocblas_trsv_deviceILi32ELi16ELb0ELb1ELb0ELb0E19rocblas_complex_numIdEPKS1_S3_PS1_EviT7_lllT6_T8_lllPii, .Lfunc_end77-_ZL19rocblas_trsv_deviceILi32ELi16ELb0ELb1ELb0ELb0E19rocblas_complex_numIdEPKS1_S3_PS1_EviT7_lllT6_T8_lllPii
                                        ; -- End function
	.set _ZL19rocblas_trsv_deviceILi32ELi16ELb0ELb1ELb0ELb0E19rocblas_complex_numIdEPKS1_S3_PS1_EviT7_lllT6_T8_lllPii.num_vgpr, 208
	.set _ZL19rocblas_trsv_deviceILi32ELi16ELb0ELb1ELb0ELb0E19rocblas_complex_numIdEPKS1_S3_PS1_EviT7_lllT6_T8_lllPii.num_agpr, 0
	.set _ZL19rocblas_trsv_deviceILi32ELi16ELb0ELb1ELb0ELb0E19rocblas_complex_numIdEPKS1_S3_PS1_EviT7_lllT6_T8_lllPii.numbered_sgpr, 105
	.set _ZL19rocblas_trsv_deviceILi32ELi16ELb0ELb1ELb0ELb0E19rocblas_complex_numIdEPKS1_S3_PS1_EviT7_lllT6_T8_lllPii.num_named_barrier, 0
	.set _ZL19rocblas_trsv_deviceILi32ELi16ELb0ELb1ELb0ELb0E19rocblas_complex_numIdEPKS1_S3_PS1_EviT7_lllT6_T8_lllPii.private_seg_size, 0
	.set _ZL19rocblas_trsv_deviceILi32ELi16ELb0ELb1ELb0ELb0E19rocblas_complex_numIdEPKS1_S3_PS1_EviT7_lllT6_T8_lllPii.uses_vcc, 1
	.set _ZL19rocblas_trsv_deviceILi32ELi16ELb0ELb1ELb0ELb0E19rocblas_complex_numIdEPKS1_S3_PS1_EviT7_lllT6_T8_lllPii.uses_flat_scratch, 0
	.set _ZL19rocblas_trsv_deviceILi32ELi16ELb0ELb1ELb0ELb0E19rocblas_complex_numIdEPKS1_S3_PS1_EviT7_lllT6_T8_lllPii.has_dyn_sized_stack, 0
	.set _ZL19rocblas_trsv_deviceILi32ELi16ELb0ELb1ELb0ELb0E19rocblas_complex_numIdEPKS1_S3_PS1_EviT7_lllT6_T8_lllPii.has_recursion, 0
	.set _ZL19rocblas_trsv_deviceILi32ELi16ELb0ELb1ELb0ELb0E19rocblas_complex_numIdEPKS1_S3_PS1_EviT7_lllT6_T8_lllPii.has_indirect_call, 0
	.section	.AMDGPU.csdata,"",@progbits
; Kernel info:
; codeLenInByte = 29364
; TotalNumSgprs: 107
; NumVgprs: 208
; ScratchSize: 0
; MemoryBound: 1
; FloatMode: 240
; IeeeMode: 1
; LDSByteSize: 25104 bytes/workgroup (compile time only)
; SGPRBlocks: 0
; VGPRBlocks: 12
; NumSGPRsForWavesPerEU: 107
; NumVGPRsForWavesPerEU: 208
; NamedBarCnt: 0
; Occupancy: 4
; WaveLimiterHint : 0
; COMPUTE_PGM_RSRC2:SCRATCH_EN: 0
; COMPUTE_PGM_RSRC2:USER_SGPR: 2
; COMPUTE_PGM_RSRC2:TRAP_HANDLER: 0
; COMPUTE_PGM_RSRC2:TGID_X_EN: 1
; COMPUTE_PGM_RSRC2:TGID_Y_EN: 0
; COMPUTE_PGM_RSRC2:TGID_Z_EN: 1
; COMPUTE_PGM_RSRC2:TIDIG_COMP_CNT: 1
	.section	.text._ZL19rocblas_trsv_deviceILi32ELi16ELb0ELb1ELb1ELb0E19rocblas_complex_numIdEPKS1_S3_PS1_EviT7_lllT6_T8_lllPii,"axG",@progbits,_ZL19rocblas_trsv_deviceILi32ELi16ELb0ELb1ELb1ELb0E19rocblas_complex_numIdEPKS1_S3_PS1_EviT7_lllT6_T8_lllPii,comdat
	.globl	_ZL19rocblas_trsv_deviceILi32ELi16ELb0ELb1ELb1ELb0E19rocblas_complex_numIdEPKS1_S3_PS1_EviT7_lllT6_T8_lllPii ; -- Begin function _ZL19rocblas_trsv_deviceILi32ELi16ELb0ELb1ELb1ELb0E19rocblas_complex_numIdEPKS1_S3_PS1_EviT7_lllT6_T8_lllPii
	.p2align	8
	.type	_ZL19rocblas_trsv_deviceILi32ELi16ELb0ELb1ELb1ELb0E19rocblas_complex_numIdEPKS1_S3_PS1_EviT7_lllT6_T8_lllPii,@function
_ZL19rocblas_trsv_deviceILi32ELi16ELb0ELb1ELb1ELb0E19rocblas_complex_numIdEPKS1_S3_PS1_EviT7_lllT6_T8_lllPii: ; @_ZL19rocblas_trsv_deviceILi32ELi16ELb0ELb1ELb1ELb0E19rocblas_complex_numIdEPKS1_S3_PS1_EviT7_lllT6_T8_lllPii
; %bb.0:
	s_load_b32 s58, s[0:1], 0x58
	s_bfe_u32 s2, ttmp6, 0x40014
	s_lshr_b32 s3, ttmp7, 16
	s_add_co_i32 s2, s2, 1
	s_bfe_u32 s5, ttmp6, 0x40008
	s_mul_i32 s4, s3, s2
	s_getreg_b32 s2, hwreg(HW_REG_IB_STS2, 6, 4)
	s_add_co_i32 s5, s5, s4
	s_cmp_eq_u32 s2, 0
	s_mov_b32 s57, 0
	s_cselect_b32 s56, s3, s5
	s_wait_kmcnt 0x0
	s_cmp_ge_u32 s56, s58
	s_cbranch_scc1 .LBB78_574
; %bb.1:
	s_clause 0x2
	s_load_b512 s[36:51], s[0:1], 0x8
	s_load_b32 s3, s[0:1], 0x6c
	s_load_b32 s59, s[0:1], 0x0
	s_bfe_u32 s5, ttmp6, 0x4000c
	s_and_b32 s4, ttmp6, 15
	s_add_co_i32 s5, s5, 1
	s_load_b128 s[52:55], s[0:1], 0x48
	s_wait_xcnt 0x0
	s_mul_i32 s0, ttmp9, s5
	v_and_b32_e32 v24, 0x3ff, v0
	s_add_co_i32 s8, s4, s0
	v_bfe_u32 v44, v0, 10, 10
	v_mov_b32_e32 v1, 0
                                        ; implicit-def: $vgpr203 : SGPR spill to VGPR lane
	v_and_b32_e32 v13, 1, v0
	v_lshlrev_b32_e32 v6, 5, v24
	v_lshrrev_b32_e32 v12, 10, v0
	v_lshl_add_u32 v10, v44, 5, v24
	v_dual_mov_b32 v27, v1 :: v_dual_mov_b32 v25, v1
	s_delay_alu instid0(VALU_DEP_4)
	v_add_nc_u32_e32 v9, v44, v6
	v_mul_u32_u24_e32 v131, 0x210, v24
	s_wait_kmcnt 0x0
	s_lshl_b64 s[0:1], s[38:39], 4
	s_lshl_b64 s[4:5], s[48:49], 4
	s_cmp_eq_u32 s2, 0
	s_add_nc_u64 s[36:37], s[36:37], s[0:1]
	s_cselect_b32 s48, ttmp9, s8
	s_and_b32 s2, s3, 0xffff
	s_add_co_i32 s3, s59, -1
	s_ashr_i32 s8, s59, 31
	s_ashr_i32 s9, s3, 31
	s_lshr_b32 s8, s8, 27
	s_lshr_b32 s9, s9, 27
	s_add_co_i32 s8, s59, s8
	s_add_co_i32 s3, s3, s9
	s_and_not1_b32 s8, s8, 31
	s_ashr_i32 s3, s3, 5
	s_sub_co_i32 s12, s59, s8
	s_cmp_eq_u32 s3, s48
	v_mad_u32_u24 v26, v44, s2, v24
	s_cselect_b32 s0, -1, 0
	s_cmp_lg_u32 s12, 0
	v_sub_co_u32 v45, s2, s48, 1
	s_cselect_b32 s1, -1, 0
	s_lshl_b32 s10, s48, 5
	s_delay_alu instid0(SALU_CYCLE_1)
	v_dual_add_nc_u32 v8, 16, v44 :: v_dual_add_nc_u32 v7, s10, v44
	s_and_b32 s9, s1, s0
	s_xor_b32 s49, s2, -1
	s_xor_b32 s60, s9, -1
	v_add_nc_u32_e32 v2, s10, v24
	s_cmp_lt_i32 s48, 5
	v_lshl_add_u32 v11, v8, 5, v24
	s_cselect_b32 vcc_lo, -1, 0
	v_dual_cndmask_b32 v9, v10, v9 :: v_dual_add_nc_u32 v6, v8, v6
	s_add_nc_u64 s[6:7], s[40:41], 1
	s_or_b32 vcc_lo, vcc_lo, s9
	v_mad_nc_u64_u32 v[4:5], s6, s10, v[24:25]
	s_delay_alu instid0(VALU_DEP_2) | instskip(SKIP_4) | instid1(VALU_DEP_1)
	v_cndmask_b32_e32 v11, v11, v6, vcc_lo
	v_dual_lshrrev_b32 v6, 1, v10 :: v_dual_lshlrev_b32 v46, 4, v13
	s_ashr_i32 s11, s10, 31
	s_mul_i32 s1, s7, s10
	s_mul_i32 s0, s6, s11
	v_lshlrev_b32_e32 v14, 9, v6
	v_cmp_eq_u32_e64 s2, 1, v13
	v_cmp_eq_u32_e64 s3, 0, v13
	s_add_nc_u64 s[38:39], s[46:47], s[4:5]
	v_add3_u32 v5, s0, s1, v5
	v_cmp_gt_u32_e64 s0, 4, v10
	v_dual_sub_nc_u32 v47, 0, v14 :: v_dual_lshlrev_b32 v48, 4, v24
	v_dual_sub_nc_u32 v49, v46, v14 :: v_dual_bitop2_b32 v14, 3, v0 bitop3:0x40
	v_cmp_eq_u32_e64 s1, 0, v44
	v_cmp_gt_u32_e64 s4, 2, v24
	s_and_b32 s62, s2, s0
	s_and_b32 s63, s3, s0
	v_cmp_gt_u32_e64 s2, 16, v10
	v_cmp_eq_u32_e64 s3, 3, v14
	v_lshl_add_u32 v25, v6, 4, 0x4000
	s_and_b32 s64, s1, s4
	v_lshrrev_b32_e32 v6, 2, v10
	v_cmp_ne_u32_e64 s4, 3, v14
	s_and_b32 s65, s3, s2
	v_cmp_gt_u32_e64 s3, 2, v14
	v_lshlrev_b32_e32 v54, 4, v14
	v_lshlrev_b32_e32 v15, 9, v6
	v_cmp_eq_u32_e64 s5, 2, v14
	v_cmp_eq_u32_e64 s6, 1, v14
	s_and_b32 s66, s4, s2
	v_cmp_eq_u32_e64 s4, 0, v14
	s_and_b32 s68, s3, s2
	v_cmp_gt_u32_e64 s3, 4, v24
	v_and_b32_e32 v14, 7, v0
	s_and_b32 s67, s5, s2
	s_and_b32 s70, s4, s2
	v_sub_nc_u32_e32 v55, 0, v15
	s_and_b32 s71, s1, s3
	v_cmp_gt_u32_e64 s3, 64, v10
	v_cmp_eq_u32_e64 s4, 7, v14
	v_cmp_ne_u32_e64 s5, 7, v14
	v_lshl_add_u32 v53, v6, 4, 0x4000
	s_and_b32 s69, s6, s2
	v_lshlrev_b32_e32 v58, 4, v14
	s_and_b32 s72, s4, s3
	v_cmp_eq_u32_e64 s4, 5, v14
	s_and_b32 s73, s5, s3
	v_cmp_gt_u32_e64 s5, 5, v14
	v_dual_lshrrev_b32 v6, 3, v10 :: v_dual_sub_nc_u32 v56, v54, v15
	s_and_b32 s76, s4, s3
	v_cmp_eq_u32_e64 s4, 4, v14
	v_cmp_eq_u32_e64 s6, 6, v14
	s_and_b32 s77, s5, s3
	v_cmp_gt_u32_e64 s5, 3, v14
	v_bitop3_b32 v12, v0, v12, 0x3ff bitop3:0xa8
	s_and_b32 s78, s4, s3
	v_cmp_eq_u32_e64 s4, 2, v14
	v_dual_lshlrev_b32 v15, 9, v6 :: v_dual_bitop2_b32 v0, 15, v0 bitop3:0x40
	s_and_b32 s74, s6, s3
	v_cmp_gt_u32_e64 s6, 4, v14
	s_and_b32 s81, s5, s3
	v_cmp_gt_u32_e64 s5, 2, v14
	s_and_b32 s82, s4, s3
	v_cmp_gt_u32_e64 s4, 8, v24
	v_cmp_gt_u32_e64 s7, 6, v14
	s_and_b32 s79, s6, s3
	v_cmp_eq_u32_e64 s6, 1, v14
	s_and_b32 s83, s5, s3
	s_and_b32 s86, s1, s4
	v_cmp_gt_u32_e64 s4, 0x100, v10
	v_cmp_eq_u32_e64 s5, 15, v0
	s_and_b32 s75, s7, s3
	v_cmp_eq_u32_e64 s7, 3, v14
	s_and_b32 s84, s6, s3
	v_cmp_ne_u32_e64 s6, 15, v0
	s_and_b32 s5, s5, s4
	v_cmp_eq_u32_e64 s8, 13, v0
	v_writelane_b32 v203, s5, 0
	s_and_b32 s80, s7, s3
	v_cmp_eq_u32_e64 s7, 0, v14
	v_cmp_eq_u32_e64 s5, 14, v0
	s_and_b32 s6, s6, s4
	v_lshl_add_u32 v57, v6, 4, 0x4000
	v_writelane_b32 v203, s6, 1
	s_and_b32 s85, s7, s3
	v_cmp_gt_u32_e64 s7, 14, v0
	s_and_b32 s5, s5, s4
	v_cmp_gt_u32_e64 s6, 13, v0
	v_writelane_b32 v203, s5, 2
	v_dual_lshlrev_b32 v6, 5, v10 :: v_dual_bitop2_b32 v14, -16, v10 bitop3:0x40
	s_and_b32 s5, s7, s4
	s_and_b32 s6, s6, s4
	v_writelane_b32 v203, s5, 3
	s_and_b32 s5, s8, s4
	v_cmp_eq_u32_e64 s7, 11, v0
	v_cmp_gt_u32_e64 s8, 11, v0
	v_and_b32_e32 v6, 0xfffffe00, v6
	v_writelane_b32 v203, s5, 4
	v_cmp_eq_u32_e64 s5, 12, v0
	s_and_b32 s95, s7, s4
	s_and_b32 s96, s8, s4
	v_cmp_gt_u32_e64 s7, 9, v0
	v_writelane_b32 v203, s6, 5
	v_cmp_gt_u32_e64 s6, 12, v0
	s_and_b32 s5, s5, s4
	v_cmp_eq_u32_e64 s8, 8, v0
	s_and_b32 s100, s7, s4
	v_writelane_b32 v203, s5, 6
	v_cmp_eq_u32_e64 s5, 10, v0
	s_and_b32 s6, s6, s4
	s_and_b32 s101, s8, s4
	v_cmp_eq_u32_e64 s7, 6, v0
	v_writelane_b32 v203, s6, 7
	v_cmp_gt_u32_e64 s6, 10, v0
	s_and_b32 s97, s5, s4
	v_cmp_eq_u32_e64 s5, 9, v0
	v_cmp_gt_u32_e64 s8, 6, v0
	v_dual_lshlrev_b32 v70, 4, v0 :: v_dual_sub_nc_u32 v71, 0, v6
	s_and_b32 s98, s6, s4
	v_cmp_gt_u32_e64 s6, 8, v0
	s_and_b32 s99, s5, s4
	v_cmp_eq_u32_e64 s5, 7, v0
	s_and_b32 vcc_hi, s7, s4
	s_and_b32 s18, s8, s4
	s_and_b32 s102, s6, s4
	v_cmp_gt_u32_e64 s6, 7, v0
	s_and_b32 s103, s5, s4
	v_cmp_eq_u32_e64 s5, 5, v0
	v_cmp_gt_u32_e64 s7, 4, v0
	v_cmp_eq_u32_e64 s8, 3, v0
	s_and_b32 s104, s6, s4
	v_cmp_gt_u32_e64 s6, 5, v0
	s_and_b32 s19, s5, s4
	v_cmp_eq_u32_e64 s5, 4, v0
	v_subrev_nc_u32_e32 v28, 32, v7
	v_add_nc_u32_e32 v69, 0x4000, v14
	s_and_b32 s20, s6, s4
	v_cmp_gt_u32_e64 s6, 3, v0
	s_and_b32 s21, s5, s4
	v_cmp_eq_u32_e64 s5, 2, v0
	s_and_b32 s22, s7, s4
	s_and_b32 s23, s8, s4
	;; [unrolled: 1-line block ×3, first 2 shown]
	v_cmp_gt_u32_e64 s6, 2, v0
	v_cmp_eq_u32_e64 s7, 1, v0
	v_cmp_eq_u32_e64 s8, 0, v0
	v_dual_sub_nc_u32 v72, v70, v6 :: v_dual_add_nc_u32 v14, -16, v7
	v_add_nc_u32_e32 v0, s10, v26
	v_add_nc_u64_e32 v[6:7], s[10:11], v[26:27]
	v_cmp_le_i32_e64 s10, s12, v24
	s_and_b32 s25, s5, s4
	v_cmp_gt_u32_e64 s5, 16, v24
	s_xor_b32 s61, vcc_lo, -1
	v_cmp_gt_i32_e32 vcc_lo, s12, v24
	s_and_b32 s31, s10, s9
	s_and_b32 s26, s6, s4
	;; [unrolled: 1-line block ×3, first 2 shown]
	s_xor_b32 s5, s31, -1
	s_and_b32 s27, s7, s4
	s_and_b32 s28, s8, s4
	s_and_b32 s8, s1, s5
	s_cmp_gt_i32 s48, 0
	v_cmp_gt_i32_e64 s6, s59, v14
	s_cselect_b32 s9, -1, 0
	s_and_b32 s5, s1, vcc_lo
	v_cmp_gt_i32_e32 vcc_lo, s59, v28
	v_writelane_b32 v203, s5, 8
	v_cmp_gt_i32_e64 s5, s59, v2
	v_cmp_le_i32_e64 s7, s12, v8
	v_cmp_gt_u32_e64 s29, 0xf0, v10
	v_mad_u32_u24 v13, 0x1f0, v24, v48
	v_dual_ashrrev_i32 v3, 31, v2 :: v_dual_ashrrev_i32 v29, 31, v28
	s_and_b32 s87, vcc_lo, s5
	v_cmp_le_i32_e32 vcc_lo, s12, v44
	s_and_b32 s88, s6, s5
	v_cmp_ge_u32_e64 s6, v24, v44
	s_or_b32 s12, s7, s10
	v_cmp_ge_u32_e64 s7, v24, v8
	s_or_b32 s11, vcc_lo, s10
	v_mad_i32_i24 v52, 0xfffffe10, v24, v13
	s_or_b32 s89, s11, s6
	v_cmp_ne_u32_e64 s11, v24, v44
	s_or_b32 s90, s12, s7
	v_cmp_ne_u32_e64 s12, v24, v8
	v_dual_sub_nc_u32 v59, 0, v15 :: v_dual_sub_nc_u32 v60, v58, v15
	v_writelane_b32 v203, s11, 9
	s_or_b32 s11, s10, s11
	s_or_b32 s10, s10, s12
	v_mad_u32_u24 v15, 0x1f0, v24, v52
	v_mul_u64_e32 v[34:35], s[50:51], v[6:7]
	v_writelane_b32 v203, s11, 10
	v_mul_u64_e32 v[36:37], s[40:41], v[2:3]
	v_mul_u64_e32 v[38:39], s[50:51], v[2:3]
	v_add_nc_u32_e32 v98, 0x3980, v15
	v_add_nc_u32_e32 v99, 0x39b0, v15
	v_writelane_b32 v203, s12, 11
	v_add_nc_u32_e32 v100, 0x39a0, v15
	v_add_nc_u32_e32 v101, 0x3990, v15
	v_mad_i32_i24 v102, 0xfffffe10, v24, v15
	v_add_nc_u32_e32 v103, 0x2d40, v15
	v_writelane_b32 v203, s10, 12
	v_add_nc_u32_e32 v104, 0x2d50, v15
	v_add_nc_u32_e32 v105, 0x1880, v15
	;; [unrolled: 1-line block ×4, first 2 shown]
	v_writelane_b32 v203, s29, 13
	v_cmp_gt_u32_e64 s29, 0xe0, v10
	v_add_nc_u32_e32 v108, 0x1890, v15
	v_add_nc_u32_e32 v109, 0xc40, v15
	;; [unrolled: 1-line block ×3, first 2 shown]
	v_lshlrev_b32_e32 v15, 4, v44
	v_writelane_b32 v203, s29, 14
	v_cmp_gt_u32_e64 s29, 0xd0, v10
	v_mul_u64_e32 v[40:41], s[50:51], v[0:1]
	v_add_nc_u32_e32 v50, 0x3dc0, v13
	v_add_nc_u32_e32 v51, 0x3dd0, v13
	v_add_nc_u32_e32 v61, 0x3100, v13
	v_writelane_b32 v203, s29, 15
	v_cmp_gt_u32_e64 s29, 0xc0, v10
	v_add_nc_u32_e32 v62, 0x3110, v13
	v_add_nc_u32_e32 v63, 0x3120, v13
	v_add_nc_u32_e32 v64, 0x3130, v13
	v_add_nc_u32_e32 v65, 0x3140, v13
	v_writelane_b32 v203, s29, 16
	v_cmp_gt_u32_e64 s29, 0xb0, v10
	v_add_nc_u32_e32 v66, 0x3150, v13
	;; [unrolled: 6-line block ×6, first 2 shown]
	v_add_nc_u32_e32 v86, 0x20e0, v13
	v_add_nc_u32_e32 v87, 0x20f0, v13
	;; [unrolled: 1-line block ×12, first 2 shown]
	v_mad_u32_u24 v13, 0x1f0, v24, v102
	v_writelane_b32 v203, s29, 21
	v_cmp_gt_u32_e64 s29, 0x60, v10
	v_mad_nc_u64_u32 v[30:31], s40, v44, v[4:5]
	v_mad_nc_u64_u32 v[32:33], s40, v8, v[4:5]
	v_mad_i32_i24 v113, 0xfffffe10, v24, v13
	v_add_nc_u32_e32 v111, 0x3580, v13
	v_writelane_b32 v203, s29, 22
	v_cmp_gt_u32_e64 s29, 0x50, v10
	v_add_nc_u32_e32 v112, 0x3590, v13
	v_add_nc_u32_e32 v114, 0x2900, v13
	;; [unrolled: 1-line block ×11, first 2 shown]
	v_mad_u32_u24 v13, 0x1f0, v24, v113
	v_dual_add_nc_u32 v193, 64, v102 :: v_dual_bitop2_b32 v6, v8, v24 bitop3:0x54
	v_writelane_b32 v203, s29, 23
	v_cmp_gt_u32_e64 s33, 32, v12
	v_mad_u32 v31, s41, v44, v31
	v_mad_u32 v33, s41, v8, v33
	v_add_nc_u32_e32 v124, 0x2500, v13
	v_add_nc_u32_e32 v125, 0x2510, v13
	v_mad_i32_i24 v16, 0xfffffe10, v24, v13
	v_add_nc_u32_e32 v126, 0x400, v13
	v_add_nc_u32_e32 v127, 0x410, v13
	v_dual_add_nc_u32 v128, v13, v15 :: v_dual_lshlrev_b32 v13, 9, v24
	v_add_nc_u32_e32 v129, 0x6000, v15
	v_writelane_b32 v203, s33, 24
	v_cmp_gt_u32_e64 s33, 32, v6
	v_add_nc_u32_e32 v130, 0x2120, v16
	v_add_nc_u32_e32 v132, 0x2320, v16
	v_dual_add_nc_u32 v133, 32, v16 :: v_dual_sub_nc_u32 v136, v131, v13
	v_add_nc_u32_e32 v134, 0x220, v16
	v_lshl_add_u32 v135, v44, 9, v16
	v_add_nc_u32_e32 v137, 0x39e0, v52
	v_add_nc_u32_e32 v138, 0x3be0, v52
	;; [unrolled: 1-line block ×59, first 2 shown]
	v_lshl_add_u32 v197, v26, 4, 0x6000
	v_dual_lshlrev_b32 v198, 4, v9 :: v_dual_lshlrev_b32 v199, 4, v11
	v_lshl_add_u32 v200, v10, 4, 0x4000
	v_add_nc_u32_e32 v201, 0x4000, v48
	v_add_nc_u32_e32 v202, v129, v48
	v_cmp_gt_u32_e64 s10, 2, v10
	v_cmp_gt_u32_e64 s11, 12, v10
	;; [unrolled: 1-line block ×8, first 2 shown]
	v_cmp_eq_u32_e64 s29, 0, v12
	v_writelane_b32 v203, s33, 25
	v_cmp_eq_u32_e64 s33, 0, v26
	v_cmp_gt_u32_e64 s34, 32, v26
                                        ; implicit-def: $vgpr4_vgpr5
                                        ; implicit-def: $vgpr8_vgpr9
	s_branch .LBB78_3
.LBB78_2:                               ;   in Loop: Header=BB78_3 Depth=1
	s_wait_xcnt 0x0
	s_or_b32 exec_lo, exec_lo, s35
	s_add_co_i32 s56, s56, 0x10000
	global_wb scope:SCOPE_DEV
	s_wait_storecnt 0x0
	global_inv scope:SCOPE_DEV
	s_cmp_lt_u32 s56, s58
	s_cbranch_scc0 .LBB78_574
.LBB78_3:                               ; =>This Loop Header: Depth=1
                                        ;     Child Loop BB78_453 Depth 2
                                        ;       Child Loop BB78_455 Depth 3
                                        ;     Child Loop BB78_486 Depth 2
	global_load_b128 v[12:15], v1, s[44:45]
	s_mul_u64 s[40:41], s[42:43], s[56:57]
	s_and_not1_b32 vcc_lo, exec_lo, s49
	s_lshl_b64 s[40:41], s[40:41], 4
	s_delay_alu instid0(SALU_CYCLE_1) | instskip(NEXT) | instid1(SALU_CYCLE_1)
	s_add_nc_u64 s[40:41], s[36:37], s[40:41]
	v_lshl_add_u64 v[42:43], v[36:37], 4, s[40:41]
	s_cbranch_vccz .LBB78_6
; %bb.4:                                ;   in Loop: Header=BB78_3 Depth=1
	s_and_not1_b32 vcc_lo, exec_lo, s60
	s_mov_b32 s35, -1
	s_cbranch_vccz .LBB78_11
.LBB78_5:                               ;   in Loop: Header=BB78_3 Depth=1
	s_and_b32 vcc_lo, exec_lo, s35
	s_cbranch_vccnz .LBB78_17
	s_branch .LBB78_23
.LBB78_6:                               ;   in Loop: Header=BB78_3 Depth=1
	v_mov_b64_e32 v[10:11], 0
	v_mov_b64_e32 v[4:5], 0
	;; [unrolled: 1-line block ×3, first 2 shown]
	v_lshl_add_u64 v[2:3], v[28:29], 4, v[42:43]
	s_wait_loadcnt 0x0
	s_barrier_signal -1
	s_barrier_wait -1
	s_wait_xcnt 0x0
	s_and_saveexec_b32 s35, s87
	s_cbranch_execz .LBB78_8
; %bb.7:                                ;   in Loop: Header=BB78_3 Depth=1
	global_load_b128 v[4:7], v[2:3], off
.LBB78_8:                               ;   in Loop: Header=BB78_3 Depth=1
	s_wait_xcnt 0x0
	s_or_b32 exec_lo, exec_lo, s35
	v_mov_b64_e32 v[8:9], 0
	s_wait_loadcnt 0x0
	s_barrier_signal -1
	s_barrier_wait -1
	s_and_saveexec_b32 s35, s88
	s_cbranch_execz .LBB78_10
; %bb.9:                                ;   in Loop: Header=BB78_3 Depth=1
	global_load_b128 v[8:11], v[2:3], off offset:256
.LBB78_10:                              ;   in Loop: Header=BB78_3 Depth=1
	s_wait_xcnt 0x0
	s_or_b32 exec_lo, exec_lo, s35
	s_delay_alu instid0(SALU_CYCLE_1)
	s_and_not1_b32 vcc_lo, exec_lo, s60
	s_mov_b32 s35, -1
	s_cbranch_vccnz .LBB78_5
.LBB78_11:                              ;   in Loop: Header=BB78_3 Depth=1
	s_wait_xcnt 0x0
	s_and_saveexec_b32 s35, s6
	s_delay_alu instid0(SALU_CYCLE_1)
	s_xor_b32 s35, exec_lo, s35
	s_cbranch_execnz .LBB78_499
; %bb.12:                               ;   in Loop: Header=BB78_3 Depth=1
	s_and_not1_saveexec_b32 s35, s35
	s_cbranch_execnz .LBB78_510
.LBB78_13:                              ;   in Loop: Header=BB78_3 Depth=1
	s_or_b32 exec_lo, exec_lo, s35
	s_and_saveexec_b32 s35, s7
	s_delay_alu instid0(SALU_CYCLE_1)
	s_xor_b32 s35, exec_lo, s35
	s_cbranch_execnz .LBB78_511
.LBB78_14:                              ;   in Loop: Header=BB78_3 Depth=1
	s_and_not1_saveexec_b32 s35, s35
	s_cbranch_execz .LBB78_16
.LBB78_15:                              ;   in Loop: Header=BB78_3 Depth=1
	v_lshl_add_u64 v[2:3], v[32:33], 4, s[40:41]
	global_load_b128 v[16:19], v[2:3], off
	s_wait_loadcnt 0x0
	v_xor_b32_e32 v17, 0x80000000, v17
	ds_store_b128 v199, v[16:19]
.LBB78_16:                              ;   in Loop: Header=BB78_3 Depth=1
	s_or_b32 exec_lo, exec_lo, s35
	s_branch .LBB78_23
.LBB78_17:                              ;   in Loop: Header=BB78_3 Depth=1
	s_wait_xcnt 0x0
	s_and_saveexec_b32 s35, s89
	s_delay_alu instid0(SALU_CYCLE_1)
	s_xor_b32 s35, exec_lo, s35
	s_cbranch_execnz .LBB78_522
; %bb.18:                               ;   in Loop: Header=BB78_3 Depth=1
	s_and_not1_saveexec_b32 s35, s35
	s_cbranch_execnz .LBB78_533
.LBB78_19:                              ;   in Loop: Header=BB78_3 Depth=1
	s_or_b32 exec_lo, exec_lo, s35
	s_and_saveexec_b32 s35, s90
	s_delay_alu instid0(SALU_CYCLE_1)
	s_xor_b32 s35, exec_lo, s35
	s_cbranch_execnz .LBB78_534
.LBB78_20:                              ;   in Loop: Header=BB78_3 Depth=1
	s_and_not1_saveexec_b32 s35, s35
	s_cbranch_execz .LBB78_22
.LBB78_21:                              ;   in Loop: Header=BB78_3 Depth=1
	v_lshl_add_u64 v[2:3], v[32:33], 4, s[40:41]
	global_load_b128 v[16:19], v[2:3], off
	s_wait_loadcnt 0x0
	v_xor_b32_e32 v17, 0x80000000, v17
	ds_store_b128 v199, v[16:19]
.LBB78_22:                              ;   in Loop: Header=BB78_3 Depth=1
	s_or_b32 exec_lo, exec_lo, s35
.LBB78_23:                              ;   in Loop: Header=BB78_3 Depth=1
	s_delay_alu instid0(SALU_CYCLE_1)
	s_and_not1_b32 vcc_lo, exec_lo, s61
	s_wait_loadcnt_dscnt 0x0
	s_barrier_signal -1
	s_barrier_wait -1
	s_cbranch_vccnz .LBB78_447
; %bb.24:                               ;   in Loop: Header=BB78_3 Depth=1
	s_and_saveexec_b32 s35, s29
	s_cbranch_execz .LBB78_26
; %bb.25:                               ;   in Loop: Header=BB78_3 Depth=1
	ds_load_b128 v[16:19], v1 offset:16368
	ds_load_b128 v[20:23], v1 offset:15840
	s_wait_dscnt 0x0
	v_mul_f64_e32 v[2:3], v[18:19], v[22:23]
	v_mul_f64_e32 v[204:205], v[16:17], v[22:23]
	s_delay_alu instid0(VALU_DEP_2) | instskip(NEXT) | instid1(VALU_DEP_2)
	v_fma_f64 v[2:3], v[16:17], v[20:21], -v[2:3]
	v_fmac_f64_e32 v[204:205], v[18:19], v[20:21]
	ds_load_b128 v[16:19], v1 offset:16352
	s_wait_dscnt 0x0
	v_mul_f64_e32 v[22:23], v[2:3], v[18:19]
	v_mul_f64_e32 v[20:21], v[204:205], v[18:19]
	s_delay_alu instid0(VALU_DEP_2) | instskip(NEXT) | instid1(VALU_DEP_2)
	v_fmac_f64_e32 v[22:23], v[16:17], v[204:205]
	v_fma_f64 v[20:21], v[16:17], v[2:3], -v[20:21]
	ds_store_b128 v1, v[20:23] offset:16352
	ds_store_b128 v1, v[20:23] offset:15856
.LBB78_26:                              ;   in Loop: Header=BB78_3 Depth=1
	s_or_b32 exec_lo, exec_lo, s35
	v_mov_b64_e32 v[16:17], 0
	v_mov_b64_e32 v[18:19], 0
	s_wait_dscnt 0x0
	s_barrier_signal -1
	s_barrier_wait -1
	global_wb scope:SCOPE_DEV
	s_wait_storecnt 0x0
	global_inv scope:SCOPE_DEV
	s_and_saveexec_b32 s35, s0
	s_cbranch_execz .LBB78_30
; %bb.27:                               ;   in Loop: Header=BB78_3 Depth=1
	ds_load_b128 v[16:19], v47 offset:16352
	ds_load_b128 v[20:23], v46 offset:15808
	s_wait_dscnt 0x0
	v_mul_f64_e32 v[2:3], v[18:19], v[22:23]
	v_mul_f64_e32 v[22:23], v[16:17], v[22:23]
	s_delay_alu instid0(VALU_DEP_2) | instskip(NEXT) | instid1(VALU_DEP_2)
	v_fma_f64 v[2:3], v[16:17], v[20:21], -v[2:3]
	v_fmac_f64_e32 v[22:23], v[18:19], v[20:21]
	s_delay_alu instid0(VALU_DEP_2) | instskip(NEXT) | instid1(VALU_DEP_2)
	v_add_f64_e32 v[16:17], 0, v[2:3]
	v_add_f64_e32 v[18:19], 0, v[22:23]
	s_and_saveexec_b32 s40, s10
	s_cbranch_execz .LBB78_29
; %bb.28:                               ;   in Loop: Header=BB78_3 Depth=1
	ds_load_b128 v[20:23], v1 offset:16368
	ds_load_b128 v[204:207], v48 offset:16320
	s_wait_dscnt 0x0
	v_mul_f64_e32 v[2:3], v[22:23], v[206:207]
	s_delay_alu instid0(VALU_DEP_1) | instskip(SKIP_1) | instid1(VALU_DEP_2)
	v_fma_f64 v[2:3], v[20:21], v[204:205], -v[2:3]
	v_mul_f64_e32 v[20:21], v[20:21], v[206:207]
	v_add_f64_e32 v[16:17], v[16:17], v[2:3]
	s_delay_alu instid0(VALU_DEP_2) | instskip(NEXT) | instid1(VALU_DEP_1)
	v_fmac_f64_e32 v[20:21], v[22:23], v[204:205]
	v_add_f64_e32 v[18:19], v[18:19], v[20:21]
.LBB78_29:                              ;   in Loop: Header=BB78_3 Depth=1
	s_or_b32 exec_lo, exec_lo, s40
.LBB78_30:                              ;   in Loop: Header=BB78_3 Depth=1
	s_delay_alu instid0(SALU_CYCLE_1)
	s_or_b32 exec_lo, exec_lo, s35
	s_and_saveexec_b32 s35, s62
	s_cbranch_execz .LBB78_32
; %bb.31:                               ;   in Loop: Header=BB78_3 Depth=1
	ds_load_b128 v[20:23], v1 offset:15312
	s_wait_dscnt 0x0
	v_mul_f64_e32 v[2:3], v[18:19], v[22:23]
	v_mul_f64_e32 v[22:23], v[16:17], v[22:23]
	s_delay_alu instid0(VALU_DEP_1) | instskip(NEXT) | instid1(VALU_DEP_1)
	v_fmac_f64_e32 v[22:23], v[18:19], v[20:21]
	v_dual_fma_f64 v[2:3], v[16:17], v[20:21], -v[2:3] :: v_dual_mov_b32 v18, v22
	s_delay_alu instid0(VALU_DEP_1) | instskip(NEXT) | instid1(VALU_DEP_3)
	v_xor_b32_e32 v17, 0x80000000, v3
	v_xor_b32_e32 v19, 0x80000000, v23
	s_delay_alu instid0(VALU_DEP_3)
	v_mov_b32_e32 v16, v2
	ds_store_b128 v25, v[16:19]
	v_mov_b64_e32 v[16:17], v[2:3]
	v_mov_b64_e32 v[18:19], v[22:23]
.LBB78_32:                              ;   in Loop: Header=BB78_3 Depth=1
	s_or_b32 exec_lo, exec_lo, s35
	s_wait_loadcnt_dscnt 0x0
	s_barrier_signal -1
	s_barrier_wait -1
	s_and_saveexec_b32 s35, s63
	s_cbranch_execz .LBB78_34
; %bb.33:                               ;   in Loop: Header=BB78_3 Depth=1
	ds_load_b128 v[20:23], v25
	ds_load_b128 v[204:207], v1 offset:15296
	s_wait_dscnt 0x0
	v_mul_f64_e32 v[2:3], v[22:23], v[206:207]
	s_delay_alu instid0(VALU_DEP_1) | instskip(SKIP_1) | instid1(VALU_DEP_2)
	v_fma_f64 v[2:3], v[20:21], v[204:205], -v[2:3]
	v_mul_f64_e32 v[20:21], v[20:21], v[206:207]
	v_add_f64_e64 v[16:17], v[16:17], -v[2:3]
	s_delay_alu instid0(VALU_DEP_2) | instskip(NEXT) | instid1(VALU_DEP_1)
	v_fmac_f64_e32 v[20:21], v[22:23], v[204:205]
	v_add_f64_e64 v[18:19], v[18:19], -v[20:21]
.LBB78_34:                              ;   in Loop: Header=BB78_3 Depth=1
	s_or_b32 exec_lo, exec_lo, s35
	s_barrier_signal -1
	s_barrier_wait -1
	s_and_saveexec_b32 s35, s63
	s_cbranch_execz .LBB78_36
; %bb.35:                               ;   in Loop: Header=BB78_3 Depth=1
	ds_load_b128 v[20:23], v1 offset:14784
	s_wait_dscnt 0x0
	v_mul_f64_e32 v[2:3], v[18:19], v[22:23]
	v_mul_f64_e32 v[22:23], v[16:17], v[22:23]
	s_delay_alu instid0(VALU_DEP_1) | instskip(NEXT) | instid1(VALU_DEP_1)
	v_fmac_f64_e32 v[22:23], v[18:19], v[20:21]
	v_dual_fma_f64 v[2:3], v[16:17], v[20:21], -v[2:3] :: v_dual_mov_b32 v18, v22
	s_delay_alu instid0(VALU_DEP_1) | instskip(NEXT) | instid1(VALU_DEP_3)
	v_xor_b32_e32 v17, 0x80000000, v3
	v_xor_b32_e32 v19, 0x80000000, v23
	s_delay_alu instid0(VALU_DEP_3)
	v_mov_b32_e32 v16, v2
	ds_store_b128 v25, v[16:19]
	v_mov_b64_e32 v[16:17], v[2:3]
	v_mov_b64_e32 v[18:19], v[22:23]
.LBB78_36:                              ;   in Loop: Header=BB78_3 Depth=1
	s_or_b32 exec_lo, exec_lo, s35
	s_wait_dscnt 0x0
	s_barrier_signal -1
	s_barrier_wait -1
	s_barrier_signal -1
	s_barrier_wait -1
	s_and_saveexec_b32 s35, s0
; %bb.37:                               ;   in Loop: Header=BB78_3 Depth=1
	ds_store_b128 v49, v[16:19] offset:16320
; %bb.38:                               ;   in Loop: Header=BB78_3 Depth=1
	s_or_b32 exec_lo, exec_lo, s35
	s_wait_dscnt 0x0
	s_barrier_signal -1
	s_barrier_wait -1
	s_barrier_signal -1
	s_barrier_wait -1
	s_and_saveexec_b32 s35, s64
	s_cbranch_execz .LBB78_40
; %bb.39:                               ;   in Loop: Header=BB78_3 Depth=1
	ds_load_b128 v[16:19], v50
	s_wait_dscnt 0x0
	ds_store_b128 v137, v[16:19]
	ds_load_b128 v[16:19], v51
	s_wait_dscnt 0x0
	ds_store_b128 v138, v[16:19]
.LBB78_40:                              ;   in Loop: Header=BB78_3 Depth=1
	s_or_b32 exec_lo, exec_lo, s35
	s_wait_dscnt 0x0
	s_barrier_signal -1
	s_barrier_wait -1
	s_and_saveexec_b32 s35, s29
	s_cbranch_execz .LBB78_42
; %bb.41:                               ;   in Loop: Header=BB78_3 Depth=1
	ds_load_b128 v[16:19], v1 offset:15312
	ds_load_b128 v[20:23], v1 offset:14784
	s_wait_dscnt 0x0
	v_mul_f64_e32 v[2:3], v[18:19], v[22:23]
	v_mul_f64_e32 v[204:205], v[16:17], v[22:23]
	s_delay_alu instid0(VALU_DEP_2) | instskip(NEXT) | instid1(VALU_DEP_2)
	v_fma_f64 v[2:3], v[16:17], v[20:21], -v[2:3]
	v_fmac_f64_e32 v[204:205], v[18:19], v[20:21]
	ds_load_b128 v[16:19], v1 offset:15296
	s_wait_dscnt 0x0
	v_mul_f64_e32 v[22:23], v[2:3], v[18:19]
	v_mul_f64_e32 v[20:21], v[204:205], v[18:19]
	s_delay_alu instid0(VALU_DEP_2) | instskip(NEXT) | instid1(VALU_DEP_2)
	v_fmac_f64_e32 v[22:23], v[16:17], v[204:205]
	v_fma_f64 v[20:21], v[16:17], v[2:3], -v[20:21]
	ds_store_b128 v1, v[20:23] offset:15296
	ds_store_b128 v1, v[20:23] offset:14800
.LBB78_42:                              ;   in Loop: Header=BB78_3 Depth=1
	s_or_b32 exec_lo, exec_lo, s35
	v_mov_b64_e32 v[18:19], 0
	v_mov_b64_e32 v[16:17], 0
	s_wait_dscnt 0x0
	s_barrier_signal -1
	s_barrier_wait -1
	global_wb scope:SCOPE_DEV
	s_wait_storecnt 0x0
	global_inv scope:SCOPE_DEV
	s_and_saveexec_b32 s35, s2
	s_cbranch_execz .LBB78_48
; %bb.43:                               ;   in Loop: Header=BB78_3 Depth=1
	ds_load_b128 v[16:19], v55 offset:16320
	ds_load_b128 v[20:23], v54 offset:14720
	s_wait_dscnt 0x0
	v_mul_f64_e32 v[2:3], v[18:19], v[22:23]
	v_mul_f64_e32 v[22:23], v[16:17], v[22:23]
	s_delay_alu instid0(VALU_DEP_2) | instskip(NEXT) | instid1(VALU_DEP_2)
	v_fma_f64 v[2:3], v[16:17], v[20:21], -v[2:3]
	v_fmac_f64_e32 v[22:23], v[18:19], v[20:21]
	s_delay_alu instid0(VALU_DEP_2) | instskip(NEXT) | instid1(VALU_DEP_2)
	v_add_f64_e32 v[16:17], 0, v[2:3]
	v_add_f64_e32 v[18:19], 0, v[22:23]
	s_and_saveexec_b32 s40, s11
	s_cbranch_execnz .LBB78_550
; %bb.44:                               ;   in Loop: Header=BB78_3 Depth=1
	s_or_b32 exec_lo, exec_lo, s40
	s_and_saveexec_b32 s40, s12
	s_cbranch_execnz .LBB78_551
.LBB78_45:                              ;   in Loop: Header=BB78_3 Depth=1
	s_or_b32 exec_lo, exec_lo, s40
	s_and_saveexec_b32 s40, s0
	s_cbranch_execz .LBB78_47
.LBB78_46:                              ;   in Loop: Header=BB78_3 Depth=1
	ds_load_b128 v[20:23], v1 offset:16368
	ds_load_b128 v[204:207], v52 offset:16256
	s_wait_dscnt 0x0
	v_mul_f64_e32 v[2:3], v[22:23], v[206:207]
	s_delay_alu instid0(VALU_DEP_1) | instskip(SKIP_1) | instid1(VALU_DEP_2)
	v_fma_f64 v[2:3], v[20:21], v[204:205], -v[2:3]
	v_mul_f64_e32 v[20:21], v[20:21], v[206:207]
	v_add_f64_e32 v[16:17], v[16:17], v[2:3]
	s_delay_alu instid0(VALU_DEP_2) | instskip(NEXT) | instid1(VALU_DEP_1)
	v_fmac_f64_e32 v[20:21], v[22:23], v[204:205]
	v_add_f64_e32 v[18:19], v[18:19], v[20:21]
.LBB78_47:                              ;   in Loop: Header=BB78_3 Depth=1
	s_or_b32 exec_lo, exec_lo, s40
.LBB78_48:                              ;   in Loop: Header=BB78_3 Depth=1
	s_delay_alu instid0(SALU_CYCLE_1)
	s_or_b32 exec_lo, exec_lo, s35
	s_and_saveexec_b32 s35, s65
	s_cbranch_execz .LBB78_50
; %bb.49:                               ;   in Loop: Header=BB78_3 Depth=1
	ds_load_b128 v[20:23], v1 offset:14256
	s_wait_dscnt 0x0
	v_mul_f64_e32 v[2:3], v[18:19], v[22:23]
	v_mul_f64_e32 v[22:23], v[16:17], v[22:23]
	s_delay_alu instid0(VALU_DEP_1) | instskip(NEXT) | instid1(VALU_DEP_1)
	v_fmac_f64_e32 v[22:23], v[18:19], v[20:21]
	v_dual_fma_f64 v[2:3], v[16:17], v[20:21], -v[2:3] :: v_dual_mov_b32 v18, v22
	s_delay_alu instid0(VALU_DEP_1) | instskip(NEXT) | instid1(VALU_DEP_3)
	v_xor_b32_e32 v17, 0x80000000, v3
	v_xor_b32_e32 v19, 0x80000000, v23
	s_delay_alu instid0(VALU_DEP_3)
	v_mov_b32_e32 v16, v2
	ds_store_b128 v53, v[16:19]
	v_mov_b64_e32 v[16:17], v[2:3]
	v_mov_b64_e32 v[18:19], v[22:23]
.LBB78_50:                              ;   in Loop: Header=BB78_3 Depth=1
	s_or_b32 exec_lo, exec_lo, s35
	s_wait_loadcnt_dscnt 0x0
	s_barrier_signal -1
	s_barrier_wait -1
	s_and_saveexec_b32 s35, s66
	s_cbranch_execz .LBB78_52
; %bb.51:                               ;   in Loop: Header=BB78_3 Depth=1
	ds_load_b128 v[20:23], v53
	ds_load_b128 v[204:207], v54 offset:14208
	s_wait_dscnt 0x0
	v_mul_f64_e32 v[2:3], v[22:23], v[206:207]
	s_delay_alu instid0(VALU_DEP_1) | instskip(SKIP_1) | instid1(VALU_DEP_2)
	v_fma_f64 v[2:3], v[20:21], v[204:205], -v[2:3]
	v_mul_f64_e32 v[20:21], v[20:21], v[206:207]
	v_add_f64_e64 v[16:17], v[16:17], -v[2:3]
	s_delay_alu instid0(VALU_DEP_2) | instskip(NEXT) | instid1(VALU_DEP_1)
	v_fmac_f64_e32 v[20:21], v[22:23], v[204:205]
	v_add_f64_e64 v[18:19], v[18:19], -v[20:21]
.LBB78_52:                              ;   in Loop: Header=BB78_3 Depth=1
	s_or_b32 exec_lo, exec_lo, s35
	s_barrier_signal -1
	s_barrier_wait -1
	s_and_saveexec_b32 s35, s67
	s_cbranch_execz .LBB78_54
; %bb.53:                               ;   in Loop: Header=BB78_3 Depth=1
	ds_load_b128 v[20:23], v1 offset:13728
	s_wait_dscnt 0x0
	v_mul_f64_e32 v[2:3], v[18:19], v[22:23]
	v_mul_f64_e32 v[22:23], v[16:17], v[22:23]
	s_delay_alu instid0(VALU_DEP_1) | instskip(NEXT) | instid1(VALU_DEP_1)
	v_fmac_f64_e32 v[22:23], v[18:19], v[20:21]
	v_dual_fma_f64 v[2:3], v[16:17], v[20:21], -v[2:3] :: v_dual_mov_b32 v18, v22
	s_delay_alu instid0(VALU_DEP_1) | instskip(NEXT) | instid1(VALU_DEP_3)
	v_xor_b32_e32 v17, 0x80000000, v3
	v_xor_b32_e32 v19, 0x80000000, v23
	s_delay_alu instid0(VALU_DEP_3)
	v_mov_b32_e32 v16, v2
	ds_store_b128 v53, v[16:19]
	v_mov_b64_e32 v[16:17], v[2:3]
	v_mov_b64_e32 v[18:19], v[22:23]
.LBB78_54:                              ;   in Loop: Header=BB78_3 Depth=1
	s_or_b32 exec_lo, exec_lo, s35
	s_wait_dscnt 0x0
	s_barrier_signal -1
	s_barrier_wait -1
	s_and_saveexec_b32 s35, s68
	s_cbranch_execz .LBB78_56
; %bb.55:                               ;   in Loop: Header=BB78_3 Depth=1
	ds_load_b128 v[20:23], v53
	ds_load_b128 v[204:207], v54 offset:13696
	s_wait_dscnt 0x0
	v_mul_f64_e32 v[2:3], v[22:23], v[206:207]
	s_delay_alu instid0(VALU_DEP_1) | instskip(SKIP_1) | instid1(VALU_DEP_2)
	v_fma_f64 v[2:3], v[20:21], v[204:205], -v[2:3]
	v_mul_f64_e32 v[20:21], v[20:21], v[206:207]
	v_add_f64_e64 v[16:17], v[16:17], -v[2:3]
	s_delay_alu instid0(VALU_DEP_2) | instskip(NEXT) | instid1(VALU_DEP_1)
	v_fmac_f64_e32 v[20:21], v[22:23], v[204:205]
	v_add_f64_e64 v[18:19], v[18:19], -v[20:21]
.LBB78_56:                              ;   in Loop: Header=BB78_3 Depth=1
	s_or_b32 exec_lo, exec_lo, s35
	s_barrier_signal -1
	s_barrier_wait -1
	s_and_saveexec_b32 s35, s69
	s_cbranch_execz .LBB78_58
; %bb.57:                               ;   in Loop: Header=BB78_3 Depth=1
	ds_load_b128 v[20:23], v1 offset:13200
	s_wait_dscnt 0x0
	v_mul_f64_e32 v[2:3], v[18:19], v[22:23]
	v_mul_f64_e32 v[22:23], v[16:17], v[22:23]
	s_delay_alu instid0(VALU_DEP_1) | instskip(NEXT) | instid1(VALU_DEP_1)
	v_fmac_f64_e32 v[22:23], v[18:19], v[20:21]
	v_dual_fma_f64 v[2:3], v[16:17], v[20:21], -v[2:3] :: v_dual_mov_b32 v18, v22
	s_delay_alu instid0(VALU_DEP_1) | instskip(NEXT) | instid1(VALU_DEP_3)
	v_xor_b32_e32 v17, 0x80000000, v3
	v_xor_b32_e32 v19, 0x80000000, v23
	s_delay_alu instid0(VALU_DEP_3)
	v_mov_b32_e32 v16, v2
	ds_store_b128 v53, v[16:19]
	v_mov_b64_e32 v[16:17], v[2:3]
	v_mov_b64_e32 v[18:19], v[22:23]
.LBB78_58:                              ;   in Loop: Header=BB78_3 Depth=1
	s_or_b32 exec_lo, exec_lo, s35
	s_wait_dscnt 0x0
	;; [unrolled: 41-line block ×3, first 2 shown]
	s_barrier_signal -1
	s_barrier_wait -1
	s_barrier_signal -1
	s_barrier_wait -1
	s_and_saveexec_b32 s35, s2
; %bb.63:                               ;   in Loop: Header=BB78_3 Depth=1
	ds_store_b128 v56, v[16:19] offset:16256
; %bb.64:                               ;   in Loop: Header=BB78_3 Depth=1
	s_or_b32 exec_lo, exec_lo, s35
	s_wait_dscnt 0x0
	s_barrier_signal -1
	s_barrier_wait -1
	s_barrier_signal -1
	s_barrier_wait -1
	s_and_saveexec_b32 s35, s71
	s_cbranch_execz .LBB78_66
; %bb.65:                               ;   in Loop: Header=BB78_3 Depth=1
	ds_load_b128 v[16:19], v98
	s_wait_dscnt 0x0
	ds_store_b128 v139, v[16:19]
	ds_load_b128 v[16:19], v101
	s_wait_dscnt 0x0
	ds_store_b128 v142, v[16:19]
	;; [unrolled: 3-line block ×4, first 2 shown]
.LBB78_66:                              ;   in Loop: Header=BB78_3 Depth=1
	s_or_b32 exec_lo, exec_lo, s35
	s_wait_dscnt 0x0
	s_barrier_signal -1
	s_barrier_wait -1
	s_and_saveexec_b32 s35, s29
	s_cbranch_execz .LBB78_68
; %bb.67:                               ;   in Loop: Header=BB78_3 Depth=1
	ds_load_b128 v[16:19], v1 offset:14256
	ds_load_b128 v[20:23], v1 offset:13728
	s_wait_dscnt 0x0
	v_mul_f64_e32 v[2:3], v[18:19], v[22:23]
	v_mul_f64_e32 v[204:205], v[16:17], v[22:23]
	s_delay_alu instid0(VALU_DEP_2) | instskip(NEXT) | instid1(VALU_DEP_2)
	v_fma_f64 v[2:3], v[16:17], v[20:21], -v[2:3]
	v_fmac_f64_e32 v[204:205], v[18:19], v[20:21]
	ds_load_b128 v[16:19], v1 offset:14240
	s_wait_dscnt 0x0
	v_mul_f64_e32 v[22:23], v[2:3], v[18:19]
	v_mul_f64_e32 v[20:21], v[204:205], v[18:19]
	s_delay_alu instid0(VALU_DEP_2) | instskip(NEXT) | instid1(VALU_DEP_2)
	v_fmac_f64_e32 v[22:23], v[16:17], v[204:205]
	v_fma_f64 v[20:21], v[16:17], v[2:3], -v[20:21]
	ds_store_b128 v1, v[20:23] offset:14240
	ds_store_b128 v1, v[20:23] offset:13744
.LBB78_68:                              ;   in Loop: Header=BB78_3 Depth=1
	s_or_b32 exec_lo, exec_lo, s35
	v_mov_b64_e32 v[16:17], 0
	v_mov_b64_e32 v[18:19], 0
	s_wait_dscnt 0x0
	s_barrier_signal -1
	s_barrier_wait -1
	global_wb scope:SCOPE_DEV
	s_wait_storecnt 0x0
	global_inv scope:SCOPE_DEV
	s_and_saveexec_b32 s35, s0
	s_cbranch_execz .LBB78_72
; %bb.69:                               ;   in Loop: Header=BB78_3 Depth=1
	ds_load_b128 v[16:19], v47 offset:14240
	ds_load_b128 v[20:23], v46 offset:13696
	s_wait_dscnt 0x0
	v_mul_f64_e32 v[2:3], v[18:19], v[22:23]
	v_mul_f64_e32 v[22:23], v[16:17], v[22:23]
	s_delay_alu instid0(VALU_DEP_2) | instskip(NEXT) | instid1(VALU_DEP_2)
	v_fma_f64 v[2:3], v[16:17], v[20:21], -v[2:3]
	v_fmac_f64_e32 v[22:23], v[18:19], v[20:21]
	s_delay_alu instid0(VALU_DEP_2) | instskip(NEXT) | instid1(VALU_DEP_2)
	v_add_f64_e32 v[16:17], 0, v[2:3]
	v_add_f64_e32 v[18:19], 0, v[22:23]
	s_and_saveexec_b32 s40, s10
	s_cbranch_execz .LBB78_71
; %bb.70:                               ;   in Loop: Header=BB78_3 Depth=1
	ds_load_b128 v[20:23], v1 offset:14256
	ds_load_b128 v[204:207], v102 offset:14208
	s_wait_dscnt 0x0
	v_mul_f64_e32 v[2:3], v[22:23], v[206:207]
	s_delay_alu instid0(VALU_DEP_1) | instskip(SKIP_1) | instid1(VALU_DEP_2)
	v_fma_f64 v[2:3], v[20:21], v[204:205], -v[2:3]
	v_mul_f64_e32 v[20:21], v[20:21], v[206:207]
	v_add_f64_e32 v[16:17], v[16:17], v[2:3]
	s_delay_alu instid0(VALU_DEP_2) | instskip(NEXT) | instid1(VALU_DEP_1)
	v_fmac_f64_e32 v[20:21], v[22:23], v[204:205]
	v_add_f64_e32 v[18:19], v[18:19], v[20:21]
.LBB78_71:                              ;   in Loop: Header=BB78_3 Depth=1
	s_or_b32 exec_lo, exec_lo, s40
.LBB78_72:                              ;   in Loop: Header=BB78_3 Depth=1
	s_delay_alu instid0(SALU_CYCLE_1)
	s_or_b32 exec_lo, exec_lo, s35
	s_and_saveexec_b32 s35, s62
	s_cbranch_execz .LBB78_74
; %bb.73:                               ;   in Loop: Header=BB78_3 Depth=1
	ds_load_b128 v[20:23], v1 offset:13200
	s_wait_dscnt 0x0
	v_mul_f64_e32 v[2:3], v[18:19], v[22:23]
	v_mul_f64_e32 v[22:23], v[16:17], v[22:23]
	s_delay_alu instid0(VALU_DEP_1) | instskip(NEXT) | instid1(VALU_DEP_1)
	v_fmac_f64_e32 v[22:23], v[18:19], v[20:21]
	v_dual_fma_f64 v[2:3], v[16:17], v[20:21], -v[2:3] :: v_dual_mov_b32 v18, v22
	s_delay_alu instid0(VALU_DEP_1) | instskip(NEXT) | instid1(VALU_DEP_3)
	v_xor_b32_e32 v17, 0x80000000, v3
	v_xor_b32_e32 v19, 0x80000000, v23
	s_delay_alu instid0(VALU_DEP_3)
	v_mov_b32_e32 v16, v2
	ds_store_b128 v25, v[16:19]
	v_mov_b64_e32 v[16:17], v[2:3]
	v_mov_b64_e32 v[18:19], v[22:23]
.LBB78_74:                              ;   in Loop: Header=BB78_3 Depth=1
	s_or_b32 exec_lo, exec_lo, s35
	s_wait_loadcnt_dscnt 0x0
	s_barrier_signal -1
	s_barrier_wait -1
	s_and_saveexec_b32 s35, s63
	s_cbranch_execz .LBB78_76
; %bb.75:                               ;   in Loop: Header=BB78_3 Depth=1
	ds_load_b128 v[20:23], v25
	ds_load_b128 v[204:207], v1 offset:13184
	s_wait_dscnt 0x0
	v_mul_f64_e32 v[2:3], v[22:23], v[206:207]
	s_delay_alu instid0(VALU_DEP_1) | instskip(SKIP_1) | instid1(VALU_DEP_2)
	v_fma_f64 v[2:3], v[20:21], v[204:205], -v[2:3]
	v_mul_f64_e32 v[20:21], v[20:21], v[206:207]
	v_add_f64_e64 v[16:17], v[16:17], -v[2:3]
	s_delay_alu instid0(VALU_DEP_2) | instskip(NEXT) | instid1(VALU_DEP_1)
	v_fmac_f64_e32 v[20:21], v[22:23], v[204:205]
	v_add_f64_e64 v[18:19], v[18:19], -v[20:21]
.LBB78_76:                              ;   in Loop: Header=BB78_3 Depth=1
	s_or_b32 exec_lo, exec_lo, s35
	s_barrier_signal -1
	s_barrier_wait -1
	s_and_saveexec_b32 s35, s63
	s_cbranch_execz .LBB78_78
; %bb.77:                               ;   in Loop: Header=BB78_3 Depth=1
	ds_load_b128 v[20:23], v1 offset:12672
	s_wait_dscnt 0x0
	v_mul_f64_e32 v[2:3], v[18:19], v[22:23]
	v_mul_f64_e32 v[22:23], v[16:17], v[22:23]
	s_delay_alu instid0(VALU_DEP_1) | instskip(NEXT) | instid1(VALU_DEP_1)
	v_fmac_f64_e32 v[22:23], v[18:19], v[20:21]
	v_dual_fma_f64 v[2:3], v[16:17], v[20:21], -v[2:3] :: v_dual_mov_b32 v18, v22
	s_delay_alu instid0(VALU_DEP_1) | instskip(NEXT) | instid1(VALU_DEP_3)
	v_xor_b32_e32 v17, 0x80000000, v3
	v_xor_b32_e32 v19, 0x80000000, v23
	s_delay_alu instid0(VALU_DEP_3)
	v_mov_b32_e32 v16, v2
	ds_store_b128 v25, v[16:19]
	v_mov_b64_e32 v[16:17], v[2:3]
	v_mov_b64_e32 v[18:19], v[22:23]
.LBB78_78:                              ;   in Loop: Header=BB78_3 Depth=1
	s_or_b32 exec_lo, exec_lo, s35
	s_wait_dscnt 0x0
	s_barrier_signal -1
	s_barrier_wait -1
	s_barrier_signal -1
	s_barrier_wait -1
	s_and_saveexec_b32 s35, s0
; %bb.79:                               ;   in Loop: Header=BB78_3 Depth=1
	ds_store_b128 v49, v[16:19] offset:14208
; %bb.80:                               ;   in Loop: Header=BB78_3 Depth=1
	s_or_b32 exec_lo, exec_lo, s35
	s_wait_dscnt 0x0
	s_barrier_signal -1
	s_barrier_wait -1
	s_barrier_signal -1
	s_barrier_wait -1
	s_and_saveexec_b32 s35, s64
	s_cbranch_execz .LBB78_82
; %bb.81:                               ;   in Loop: Header=BB78_3 Depth=1
	ds_load_b128 v[16:19], v111
	s_wait_dscnt 0x0
	ds_store_b128 v143, v[16:19]
	ds_load_b128 v[16:19], v112
	s_wait_dscnt 0x0
	ds_store_b128 v144, v[16:19]
.LBB78_82:                              ;   in Loop: Header=BB78_3 Depth=1
	s_or_b32 exec_lo, exec_lo, s35
	s_wait_dscnt 0x0
	s_barrier_signal -1
	s_barrier_wait -1
	s_and_saveexec_b32 s35, s29
	s_cbranch_execz .LBB78_84
; %bb.83:                               ;   in Loop: Header=BB78_3 Depth=1
	ds_load_b128 v[16:19], v1 offset:13200
	ds_load_b128 v[20:23], v1 offset:12672
	s_wait_dscnt 0x0
	v_mul_f64_e32 v[2:3], v[18:19], v[22:23]
	v_mul_f64_e32 v[204:205], v[16:17], v[22:23]
	s_delay_alu instid0(VALU_DEP_2) | instskip(NEXT) | instid1(VALU_DEP_2)
	v_fma_f64 v[2:3], v[16:17], v[20:21], -v[2:3]
	v_fmac_f64_e32 v[204:205], v[18:19], v[20:21]
	ds_load_b128 v[16:19], v1 offset:13184
	s_wait_dscnt 0x0
	v_mul_f64_e32 v[22:23], v[2:3], v[18:19]
	v_mul_f64_e32 v[20:21], v[204:205], v[18:19]
	s_delay_alu instid0(VALU_DEP_2) | instskip(NEXT) | instid1(VALU_DEP_2)
	v_fmac_f64_e32 v[22:23], v[16:17], v[204:205]
	v_fma_f64 v[20:21], v[16:17], v[2:3], -v[20:21]
	ds_store_b128 v1, v[20:23] offset:13184
	ds_store_b128 v1, v[20:23] offset:12688
.LBB78_84:                              ;   in Loop: Header=BB78_3 Depth=1
	s_or_b32 exec_lo, exec_lo, s35
	v_mov_b64_e32 v[18:19], 0
	v_mov_b64_e32 v[16:17], 0
	s_wait_dscnt 0x0
	s_barrier_signal -1
	s_barrier_wait -1
	global_wb scope:SCOPE_DEV
	s_wait_storecnt 0x0
	global_inv scope:SCOPE_DEV
	s_and_saveexec_b32 s35, s3
	s_cbranch_execz .LBB78_94
; %bb.85:                               ;   in Loop: Header=BB78_3 Depth=1
	ds_load_b128 v[16:19], v59 offset:16256
	ds_load_b128 v[20:23], v58 offset:12544
	s_wait_dscnt 0x0
	v_mul_f64_e32 v[2:3], v[18:19], v[22:23]
	v_mul_f64_e32 v[22:23], v[16:17], v[22:23]
	s_delay_alu instid0(VALU_DEP_2) | instskip(NEXT) | instid1(VALU_DEP_2)
	v_fma_f64 v[2:3], v[16:17], v[20:21], -v[2:3]
	v_fmac_f64_e32 v[22:23], v[18:19], v[20:21]
	s_delay_alu instid0(VALU_DEP_2) | instskip(NEXT) | instid1(VALU_DEP_2)
	v_add_f64_e32 v[16:17], 0, v[2:3]
	v_add_f64_e32 v[18:19], 0, v[22:23]
	s_and_saveexec_b32 s40, s13
	s_cbranch_execnz .LBB78_552
; %bb.86:                               ;   in Loop: Header=BB78_3 Depth=1
	s_or_b32 exec_lo, exec_lo, s40
	s_and_saveexec_b32 s40, s14
	s_cbranch_execnz .LBB78_553
.LBB78_87:                              ;   in Loop: Header=BB78_3 Depth=1
	s_or_b32 exec_lo, exec_lo, s40
	s_and_saveexec_b32 s40, s15
	s_cbranch_execnz .LBB78_554
.LBB78_88:                              ;   in Loop: Header=BB78_3 Depth=1
	s_or_b32 exec_lo, exec_lo, s40
	s_and_saveexec_b32 s40, s16
	s_cbranch_execnz .LBB78_555
.LBB78_89:                              ;   in Loop: Header=BB78_3 Depth=1
	s_or_b32 exec_lo, exec_lo, s40
	s_and_saveexec_b32 s40, s17
	s_cbranch_execnz .LBB78_556
.LBB78_90:                              ;   in Loop: Header=BB78_3 Depth=1
	s_or_b32 exec_lo, exec_lo, s40
	s_and_saveexec_b32 s40, s2
	s_cbranch_execnz .LBB78_557
.LBB78_91:                              ;   in Loop: Header=BB78_3 Depth=1
	s_or_b32 exec_lo, exec_lo, s40
	s_and_saveexec_b32 s40, s12
	s_cbranch_execz .LBB78_93
.LBB78_92:                              ;   in Loop: Header=BB78_3 Depth=1
	ds_load_b128 v[20:23], v1 offset:16368
	ds_load_b128 v[204:207], v48 offset:16128
	s_wait_dscnt 0x0
	v_mul_f64_e32 v[2:3], v[22:23], v[206:207]
	s_delay_alu instid0(VALU_DEP_1) | instskip(SKIP_1) | instid1(VALU_DEP_2)
	v_fma_f64 v[2:3], v[20:21], v[204:205], -v[2:3]
	v_mul_f64_e32 v[20:21], v[20:21], v[206:207]
	v_add_f64_e32 v[16:17], v[16:17], v[2:3]
	s_delay_alu instid0(VALU_DEP_2) | instskip(NEXT) | instid1(VALU_DEP_1)
	v_fmac_f64_e32 v[20:21], v[22:23], v[204:205]
	v_add_f64_e32 v[18:19], v[18:19], v[20:21]
.LBB78_93:                              ;   in Loop: Header=BB78_3 Depth=1
	s_or_b32 exec_lo, exec_lo, s40
.LBB78_94:                              ;   in Loop: Header=BB78_3 Depth=1
	s_delay_alu instid0(SALU_CYCLE_1)
	s_or_b32 exec_lo, exec_lo, s35
	s_and_saveexec_b32 s35, s72
	s_cbranch_execz .LBB78_96
; %bb.95:                               ;   in Loop: Header=BB78_3 Depth=1
	ds_load_b128 v[20:23], v1 offset:12144
	s_wait_dscnt 0x0
	v_mul_f64_e32 v[2:3], v[18:19], v[22:23]
	v_mul_f64_e32 v[22:23], v[16:17], v[22:23]
	s_delay_alu instid0(VALU_DEP_1) | instskip(NEXT) | instid1(VALU_DEP_1)
	v_fmac_f64_e32 v[22:23], v[18:19], v[20:21]
	v_dual_fma_f64 v[2:3], v[16:17], v[20:21], -v[2:3] :: v_dual_mov_b32 v18, v22
	s_delay_alu instid0(VALU_DEP_1) | instskip(NEXT) | instid1(VALU_DEP_3)
	v_xor_b32_e32 v17, 0x80000000, v3
	v_xor_b32_e32 v19, 0x80000000, v23
	s_delay_alu instid0(VALU_DEP_3)
	v_mov_b32_e32 v16, v2
	ds_store_b128 v57, v[16:19]
	v_mov_b64_e32 v[16:17], v[2:3]
	v_mov_b64_e32 v[18:19], v[22:23]
.LBB78_96:                              ;   in Loop: Header=BB78_3 Depth=1
	s_or_b32 exec_lo, exec_lo, s35
	s_wait_loadcnt_dscnt 0x0
	s_barrier_signal -1
	s_barrier_wait -1
	s_and_saveexec_b32 s35, s73
	s_cbranch_execz .LBB78_98
; %bb.97:                               ;   in Loop: Header=BB78_3 Depth=1
	ds_load_b128 v[20:23], v57
	ds_load_b128 v[204:207], v58 offset:12032
	s_wait_dscnt 0x0
	v_mul_f64_e32 v[2:3], v[22:23], v[206:207]
	s_delay_alu instid0(VALU_DEP_1) | instskip(SKIP_1) | instid1(VALU_DEP_2)
	v_fma_f64 v[2:3], v[20:21], v[204:205], -v[2:3]
	v_mul_f64_e32 v[20:21], v[20:21], v[206:207]
	v_add_f64_e64 v[16:17], v[16:17], -v[2:3]
	s_delay_alu instid0(VALU_DEP_2) | instskip(NEXT) | instid1(VALU_DEP_1)
	v_fmac_f64_e32 v[20:21], v[22:23], v[204:205]
	v_add_f64_e64 v[18:19], v[18:19], -v[20:21]
.LBB78_98:                              ;   in Loop: Header=BB78_3 Depth=1
	s_or_b32 exec_lo, exec_lo, s35
	s_barrier_signal -1
	s_barrier_wait -1
	s_and_saveexec_b32 s35, s74
	s_cbranch_execz .LBB78_100
; %bb.99:                               ;   in Loop: Header=BB78_3 Depth=1
	ds_load_b128 v[20:23], v1 offset:11616
	s_wait_dscnt 0x0
	v_mul_f64_e32 v[2:3], v[18:19], v[22:23]
	v_mul_f64_e32 v[22:23], v[16:17], v[22:23]
	s_delay_alu instid0(VALU_DEP_1) | instskip(NEXT) | instid1(VALU_DEP_1)
	v_fmac_f64_e32 v[22:23], v[18:19], v[20:21]
	v_dual_fma_f64 v[2:3], v[16:17], v[20:21], -v[2:3] :: v_dual_mov_b32 v18, v22
	s_delay_alu instid0(VALU_DEP_1) | instskip(NEXT) | instid1(VALU_DEP_3)
	v_xor_b32_e32 v17, 0x80000000, v3
	v_xor_b32_e32 v19, 0x80000000, v23
	s_delay_alu instid0(VALU_DEP_3)
	v_mov_b32_e32 v16, v2
	ds_store_b128 v57, v[16:19]
	v_mov_b64_e32 v[16:17], v[2:3]
	v_mov_b64_e32 v[18:19], v[22:23]
.LBB78_100:                             ;   in Loop: Header=BB78_3 Depth=1
	s_or_b32 exec_lo, exec_lo, s35
	s_wait_dscnt 0x0
	s_barrier_signal -1
	s_barrier_wait -1
	s_and_saveexec_b32 s35, s75
	s_cbranch_execz .LBB78_102
; %bb.101:                              ;   in Loop: Header=BB78_3 Depth=1
	ds_load_b128 v[20:23], v57
	ds_load_b128 v[204:207], v58 offset:11520
	s_wait_dscnt 0x0
	v_mul_f64_e32 v[2:3], v[22:23], v[206:207]
	s_delay_alu instid0(VALU_DEP_1) | instskip(SKIP_1) | instid1(VALU_DEP_2)
	v_fma_f64 v[2:3], v[20:21], v[204:205], -v[2:3]
	v_mul_f64_e32 v[20:21], v[20:21], v[206:207]
	v_add_f64_e64 v[16:17], v[16:17], -v[2:3]
	s_delay_alu instid0(VALU_DEP_2) | instskip(NEXT) | instid1(VALU_DEP_1)
	v_fmac_f64_e32 v[20:21], v[22:23], v[204:205]
	v_add_f64_e64 v[18:19], v[18:19], -v[20:21]
.LBB78_102:                             ;   in Loop: Header=BB78_3 Depth=1
	s_or_b32 exec_lo, exec_lo, s35
	s_barrier_signal -1
	s_barrier_wait -1
	s_and_saveexec_b32 s35, s76
	s_cbranch_execz .LBB78_104
; %bb.103:                              ;   in Loop: Header=BB78_3 Depth=1
	ds_load_b128 v[20:23], v1 offset:11088
	s_wait_dscnt 0x0
	v_mul_f64_e32 v[2:3], v[18:19], v[22:23]
	v_mul_f64_e32 v[22:23], v[16:17], v[22:23]
	s_delay_alu instid0(VALU_DEP_1) | instskip(NEXT) | instid1(VALU_DEP_1)
	v_fmac_f64_e32 v[22:23], v[18:19], v[20:21]
	v_dual_fma_f64 v[2:3], v[16:17], v[20:21], -v[2:3] :: v_dual_mov_b32 v18, v22
	s_delay_alu instid0(VALU_DEP_1) | instskip(NEXT) | instid1(VALU_DEP_3)
	v_xor_b32_e32 v17, 0x80000000, v3
	v_xor_b32_e32 v19, 0x80000000, v23
	s_delay_alu instid0(VALU_DEP_3)
	v_mov_b32_e32 v16, v2
	ds_store_b128 v57, v[16:19]
	v_mov_b64_e32 v[16:17], v[2:3]
	v_mov_b64_e32 v[18:19], v[22:23]
.LBB78_104:                             ;   in Loop: Header=BB78_3 Depth=1
	s_or_b32 exec_lo, exec_lo, s35
	s_wait_dscnt 0x0
	s_barrier_signal -1
	s_barrier_wait -1
	s_and_saveexec_b32 s35, s77
	s_cbranch_execz .LBB78_106
; %bb.105:                              ;   in Loop: Header=BB78_3 Depth=1
	ds_load_b128 v[20:23], v57
	ds_load_b128 v[204:207], v58 offset:11008
	s_wait_dscnt 0x0
	v_mul_f64_e32 v[2:3], v[22:23], v[206:207]
	s_delay_alu instid0(VALU_DEP_1) | instskip(SKIP_1) | instid1(VALU_DEP_2)
	v_fma_f64 v[2:3], v[20:21], v[204:205], -v[2:3]
	v_mul_f64_e32 v[20:21], v[20:21], v[206:207]
	v_add_f64_e64 v[16:17], v[16:17], -v[2:3]
	s_delay_alu instid0(VALU_DEP_2) | instskip(NEXT) | instid1(VALU_DEP_1)
	v_fmac_f64_e32 v[20:21], v[22:23], v[204:205]
	v_add_f64_e64 v[18:19], v[18:19], -v[20:21]
.LBB78_106:                             ;   in Loop: Header=BB78_3 Depth=1
	s_or_b32 exec_lo, exec_lo, s35
	s_barrier_signal -1
	s_barrier_wait -1
	s_and_saveexec_b32 s35, s78
	s_cbranch_execz .LBB78_108
; %bb.107:                              ;   in Loop: Header=BB78_3 Depth=1
	ds_load_b128 v[20:23], v1 offset:10560
	s_wait_dscnt 0x0
	v_mul_f64_e32 v[2:3], v[18:19], v[22:23]
	v_mul_f64_e32 v[22:23], v[16:17], v[22:23]
	s_delay_alu instid0(VALU_DEP_1) | instskip(NEXT) | instid1(VALU_DEP_1)
	v_fmac_f64_e32 v[22:23], v[18:19], v[20:21]
	v_dual_fma_f64 v[2:3], v[16:17], v[20:21], -v[2:3] :: v_dual_mov_b32 v18, v22
	s_delay_alu instid0(VALU_DEP_1) | instskip(NEXT) | instid1(VALU_DEP_3)
	v_xor_b32_e32 v17, 0x80000000, v3
	v_xor_b32_e32 v19, 0x80000000, v23
	s_delay_alu instid0(VALU_DEP_3)
	v_mov_b32_e32 v16, v2
	ds_store_b128 v57, v[16:19]
	v_mov_b64_e32 v[16:17], v[2:3]
	v_mov_b64_e32 v[18:19], v[22:23]
.LBB78_108:                             ;   in Loop: Header=BB78_3 Depth=1
	;; [unrolled: 41-line block ×6, first 2 shown]
	s_or_b32 exec_lo, exec_lo, s35
	s_wait_dscnt 0x0
	s_barrier_signal -1
	s_barrier_wait -1
	s_barrier_signal -1
	s_barrier_wait -1
	s_and_saveexec_b32 s35, s3
; %bb.125:                              ;   in Loop: Header=BB78_3 Depth=1
	ds_store_b128 v60, v[16:19] offset:16128
; %bb.126:                              ;   in Loop: Header=BB78_3 Depth=1
	s_or_b32 exec_lo, exec_lo, s35
	s_wait_dscnt 0x0
	s_barrier_signal -1
	s_barrier_wait -1
	s_barrier_signal -1
	s_barrier_wait -1
	s_and_saveexec_b32 s35, s86
	s_cbranch_execz .LBB78_128
; %bb.127:                              ;   in Loop: Header=BB78_3 Depth=1
	ds_load_b128 v[16:19], v61
	s_wait_dscnt 0x0
	ds_store_b128 v145, v[16:19]
	ds_load_b128 v[16:19], v62
	s_wait_dscnt 0x0
	ds_store_b128 v146, v[16:19]
	;; [unrolled: 3-line block ×8, first 2 shown]
.LBB78_128:                             ;   in Loop: Header=BB78_3 Depth=1
	s_or_b32 exec_lo, exec_lo, s35
	s_wait_dscnt 0x0
	s_barrier_signal -1
	s_barrier_wait -1
	s_and_saveexec_b32 s35, s29
	s_cbranch_execz .LBB78_130
; %bb.129:                              ;   in Loop: Header=BB78_3 Depth=1
	ds_load_b128 v[16:19], v1 offset:12144
	ds_load_b128 v[20:23], v1 offset:11616
	s_wait_dscnt 0x0
	v_mul_f64_e32 v[2:3], v[18:19], v[22:23]
	v_mul_f64_e32 v[204:205], v[16:17], v[22:23]
	s_delay_alu instid0(VALU_DEP_2) | instskip(NEXT) | instid1(VALU_DEP_2)
	v_fma_f64 v[2:3], v[16:17], v[20:21], -v[2:3]
	v_fmac_f64_e32 v[204:205], v[18:19], v[20:21]
	ds_load_b128 v[16:19], v1 offset:12128
	s_wait_dscnt 0x0
	v_mul_f64_e32 v[22:23], v[2:3], v[18:19]
	v_mul_f64_e32 v[20:21], v[204:205], v[18:19]
	s_delay_alu instid0(VALU_DEP_2) | instskip(NEXT) | instid1(VALU_DEP_2)
	v_fmac_f64_e32 v[22:23], v[16:17], v[204:205]
	v_fma_f64 v[20:21], v[16:17], v[2:3], -v[20:21]
	ds_store_b128 v1, v[20:23] offset:12128
	ds_store_b128 v1, v[20:23] offset:11632
.LBB78_130:                             ;   in Loop: Header=BB78_3 Depth=1
	s_or_b32 exec_lo, exec_lo, s35
	v_mov_b64_e32 v[16:17], 0
	v_mov_b64_e32 v[18:19], 0
	s_wait_dscnt 0x0
	s_barrier_signal -1
	s_barrier_wait -1
	global_wb scope:SCOPE_DEV
	s_wait_storecnt 0x0
	global_inv scope:SCOPE_DEV
	s_and_saveexec_b32 s35, s0
	s_cbranch_execz .LBB78_134
; %bb.131:                              ;   in Loop: Header=BB78_3 Depth=1
	ds_load_b128 v[16:19], v47 offset:12128
	ds_load_b128 v[20:23], v46 offset:11584
	s_wait_dscnt 0x0
	v_mul_f64_e32 v[2:3], v[18:19], v[22:23]
	v_mul_f64_e32 v[22:23], v[16:17], v[22:23]
	s_delay_alu instid0(VALU_DEP_2) | instskip(NEXT) | instid1(VALU_DEP_2)
	v_fma_f64 v[2:3], v[16:17], v[20:21], -v[2:3]
	v_fmac_f64_e32 v[22:23], v[18:19], v[20:21]
	s_delay_alu instid0(VALU_DEP_2) | instskip(NEXT) | instid1(VALU_DEP_2)
	v_add_f64_e32 v[16:17], 0, v[2:3]
	v_add_f64_e32 v[18:19], 0, v[22:23]
	s_and_saveexec_b32 s40, s10
	s_cbranch_execz .LBB78_133
; %bb.132:                              ;   in Loop: Header=BB78_3 Depth=1
	ds_load_b128 v[20:23], v1 offset:12144
	ds_load_b128 v[204:207], v52 offset:12096
	s_wait_dscnt 0x0
	v_mul_f64_e32 v[2:3], v[22:23], v[206:207]
	s_delay_alu instid0(VALU_DEP_1) | instskip(SKIP_1) | instid1(VALU_DEP_2)
	v_fma_f64 v[2:3], v[20:21], v[204:205], -v[2:3]
	v_mul_f64_e32 v[20:21], v[20:21], v[206:207]
	v_add_f64_e32 v[16:17], v[16:17], v[2:3]
	s_delay_alu instid0(VALU_DEP_2) | instskip(NEXT) | instid1(VALU_DEP_1)
	v_fmac_f64_e32 v[20:21], v[22:23], v[204:205]
	v_add_f64_e32 v[18:19], v[18:19], v[20:21]
.LBB78_133:                             ;   in Loop: Header=BB78_3 Depth=1
	s_or_b32 exec_lo, exec_lo, s40
.LBB78_134:                             ;   in Loop: Header=BB78_3 Depth=1
	s_delay_alu instid0(SALU_CYCLE_1)
	s_or_b32 exec_lo, exec_lo, s35
	s_and_saveexec_b32 s35, s62
	s_cbranch_execz .LBB78_136
; %bb.135:                              ;   in Loop: Header=BB78_3 Depth=1
	ds_load_b128 v[20:23], v1 offset:11088
	s_wait_dscnt 0x0
	v_mul_f64_e32 v[2:3], v[18:19], v[22:23]
	v_mul_f64_e32 v[22:23], v[16:17], v[22:23]
	s_delay_alu instid0(VALU_DEP_1) | instskip(NEXT) | instid1(VALU_DEP_1)
	v_fmac_f64_e32 v[22:23], v[18:19], v[20:21]
	v_dual_fma_f64 v[2:3], v[16:17], v[20:21], -v[2:3] :: v_dual_mov_b32 v18, v22
	s_delay_alu instid0(VALU_DEP_1) | instskip(NEXT) | instid1(VALU_DEP_3)
	v_xor_b32_e32 v17, 0x80000000, v3
	v_xor_b32_e32 v19, 0x80000000, v23
	s_delay_alu instid0(VALU_DEP_3)
	v_mov_b32_e32 v16, v2
	ds_store_b128 v25, v[16:19]
	v_mov_b64_e32 v[16:17], v[2:3]
	v_mov_b64_e32 v[18:19], v[22:23]
.LBB78_136:                             ;   in Loop: Header=BB78_3 Depth=1
	s_or_b32 exec_lo, exec_lo, s35
	s_wait_loadcnt_dscnt 0x0
	s_barrier_signal -1
	s_barrier_wait -1
	s_and_saveexec_b32 s35, s63
	s_cbranch_execz .LBB78_138
; %bb.137:                              ;   in Loop: Header=BB78_3 Depth=1
	ds_load_b128 v[20:23], v25
	ds_load_b128 v[204:207], v1 offset:11072
	s_wait_dscnt 0x0
	v_mul_f64_e32 v[2:3], v[22:23], v[206:207]
	s_delay_alu instid0(VALU_DEP_1) | instskip(SKIP_1) | instid1(VALU_DEP_2)
	v_fma_f64 v[2:3], v[20:21], v[204:205], -v[2:3]
	v_mul_f64_e32 v[20:21], v[20:21], v[206:207]
	v_add_f64_e64 v[16:17], v[16:17], -v[2:3]
	s_delay_alu instid0(VALU_DEP_2) | instskip(NEXT) | instid1(VALU_DEP_1)
	v_fmac_f64_e32 v[20:21], v[22:23], v[204:205]
	v_add_f64_e64 v[18:19], v[18:19], -v[20:21]
.LBB78_138:                             ;   in Loop: Header=BB78_3 Depth=1
	s_or_b32 exec_lo, exec_lo, s35
	s_barrier_signal -1
	s_barrier_wait -1
	s_and_saveexec_b32 s35, s63
	s_cbranch_execz .LBB78_140
; %bb.139:                              ;   in Loop: Header=BB78_3 Depth=1
	ds_load_b128 v[20:23], v1 offset:10560
	s_wait_dscnt 0x0
	v_mul_f64_e32 v[2:3], v[18:19], v[22:23]
	v_mul_f64_e32 v[22:23], v[16:17], v[22:23]
	s_delay_alu instid0(VALU_DEP_1) | instskip(NEXT) | instid1(VALU_DEP_1)
	v_fmac_f64_e32 v[22:23], v[18:19], v[20:21]
	v_dual_fma_f64 v[2:3], v[16:17], v[20:21], -v[2:3] :: v_dual_mov_b32 v18, v22
	s_delay_alu instid0(VALU_DEP_1) | instskip(NEXT) | instid1(VALU_DEP_3)
	v_xor_b32_e32 v17, 0x80000000, v3
	v_xor_b32_e32 v19, 0x80000000, v23
	s_delay_alu instid0(VALU_DEP_3)
	v_mov_b32_e32 v16, v2
	ds_store_b128 v25, v[16:19]
	v_mov_b64_e32 v[16:17], v[2:3]
	v_mov_b64_e32 v[18:19], v[22:23]
.LBB78_140:                             ;   in Loop: Header=BB78_3 Depth=1
	s_or_b32 exec_lo, exec_lo, s35
	s_wait_dscnt 0x0
	s_barrier_signal -1
	s_barrier_wait -1
	s_barrier_signal -1
	s_barrier_wait -1
	s_and_saveexec_b32 s35, s0
; %bb.141:                              ;   in Loop: Header=BB78_3 Depth=1
	ds_store_b128 v49, v[16:19] offset:12096
; %bb.142:                              ;   in Loop: Header=BB78_3 Depth=1
	s_or_b32 exec_lo, exec_lo, s35
	s_wait_dscnt 0x0
	s_barrier_signal -1
	s_barrier_wait -1
	s_barrier_signal -1
	s_barrier_wait -1
	s_and_saveexec_b32 s35, s64
	s_cbranch_execz .LBB78_144
; %bb.143:                              ;   in Loop: Header=BB78_3 Depth=1
	ds_load_b128 v[16:19], v103
	s_wait_dscnt 0x0
	ds_store_b128 v153, v[16:19]
	ds_load_b128 v[16:19], v104
	s_wait_dscnt 0x0
	ds_store_b128 v154, v[16:19]
.LBB78_144:                             ;   in Loop: Header=BB78_3 Depth=1
	s_or_b32 exec_lo, exec_lo, s35
	s_wait_dscnt 0x0
	s_barrier_signal -1
	s_barrier_wait -1
	s_and_saveexec_b32 s35, s29
	s_cbranch_execz .LBB78_146
; %bb.145:                              ;   in Loop: Header=BB78_3 Depth=1
	ds_load_b128 v[16:19], v1 offset:11088
	ds_load_b128 v[20:23], v1 offset:10560
	s_wait_dscnt 0x0
	v_mul_f64_e32 v[2:3], v[18:19], v[22:23]
	v_mul_f64_e32 v[204:205], v[16:17], v[22:23]
	s_delay_alu instid0(VALU_DEP_2) | instskip(NEXT) | instid1(VALU_DEP_2)
	v_fma_f64 v[2:3], v[16:17], v[20:21], -v[2:3]
	v_fmac_f64_e32 v[204:205], v[18:19], v[20:21]
	ds_load_b128 v[16:19], v1 offset:11072
	s_wait_dscnt 0x0
	v_mul_f64_e32 v[22:23], v[2:3], v[18:19]
	v_mul_f64_e32 v[20:21], v[204:205], v[18:19]
	s_delay_alu instid0(VALU_DEP_2) | instskip(NEXT) | instid1(VALU_DEP_2)
	v_fmac_f64_e32 v[22:23], v[16:17], v[204:205]
	v_fma_f64 v[20:21], v[16:17], v[2:3], -v[20:21]
	ds_store_b128 v1, v[20:23] offset:11072
	ds_store_b128 v1, v[20:23] offset:10576
.LBB78_146:                             ;   in Loop: Header=BB78_3 Depth=1
	s_or_b32 exec_lo, exec_lo, s35
	v_mov_b64_e32 v[18:19], 0
	v_mov_b64_e32 v[16:17], 0
	s_wait_dscnt 0x0
	s_barrier_signal -1
	s_barrier_wait -1
	global_wb scope:SCOPE_DEV
	s_wait_storecnt 0x0
	global_inv scope:SCOPE_DEV
	s_and_saveexec_b32 s35, s2
	s_cbranch_execz .LBB78_152
; %bb.147:                              ;   in Loop: Header=BB78_3 Depth=1
	ds_load_b128 v[16:19], v55 offset:12096
	ds_load_b128 v[20:23], v54 offset:10496
	s_wait_dscnt 0x0
	v_mul_f64_e32 v[2:3], v[18:19], v[22:23]
	v_mul_f64_e32 v[22:23], v[16:17], v[22:23]
	s_delay_alu instid0(VALU_DEP_2) | instskip(NEXT) | instid1(VALU_DEP_2)
	v_fma_f64 v[2:3], v[16:17], v[20:21], -v[2:3]
	v_fmac_f64_e32 v[22:23], v[18:19], v[20:21]
	s_delay_alu instid0(VALU_DEP_2) | instskip(NEXT) | instid1(VALU_DEP_2)
	v_add_f64_e32 v[16:17], 0, v[2:3]
	v_add_f64_e32 v[18:19], 0, v[22:23]
	s_and_saveexec_b32 s40, s11
	s_cbranch_execnz .LBB78_558
; %bb.148:                              ;   in Loop: Header=BB78_3 Depth=1
	s_or_b32 exec_lo, exec_lo, s40
	s_and_saveexec_b32 s40, s12
	s_cbranch_execnz .LBB78_559
.LBB78_149:                             ;   in Loop: Header=BB78_3 Depth=1
	s_or_b32 exec_lo, exec_lo, s40
	s_and_saveexec_b32 s40, s0
	s_cbranch_execz .LBB78_151
.LBB78_150:                             ;   in Loop: Header=BB78_3 Depth=1
	ds_load_b128 v[20:23], v1 offset:12144
	ds_load_b128 v[204:207], v102 offset:12032
	s_wait_dscnt 0x0
	v_mul_f64_e32 v[2:3], v[22:23], v[206:207]
	s_delay_alu instid0(VALU_DEP_1) | instskip(SKIP_1) | instid1(VALU_DEP_2)
	v_fma_f64 v[2:3], v[20:21], v[204:205], -v[2:3]
	v_mul_f64_e32 v[20:21], v[20:21], v[206:207]
	v_add_f64_e32 v[16:17], v[16:17], v[2:3]
	s_delay_alu instid0(VALU_DEP_2) | instskip(NEXT) | instid1(VALU_DEP_1)
	v_fmac_f64_e32 v[20:21], v[22:23], v[204:205]
	v_add_f64_e32 v[18:19], v[18:19], v[20:21]
.LBB78_151:                             ;   in Loop: Header=BB78_3 Depth=1
	s_or_b32 exec_lo, exec_lo, s40
.LBB78_152:                             ;   in Loop: Header=BB78_3 Depth=1
	s_delay_alu instid0(SALU_CYCLE_1)
	s_or_b32 exec_lo, exec_lo, s35
	s_and_saveexec_b32 s35, s65
	s_cbranch_execz .LBB78_154
; %bb.153:                              ;   in Loop: Header=BB78_3 Depth=1
	ds_load_b128 v[20:23], v1 offset:10032
	s_wait_dscnt 0x0
	v_mul_f64_e32 v[2:3], v[18:19], v[22:23]
	v_mul_f64_e32 v[22:23], v[16:17], v[22:23]
	s_delay_alu instid0(VALU_DEP_1) | instskip(NEXT) | instid1(VALU_DEP_1)
	v_fmac_f64_e32 v[22:23], v[18:19], v[20:21]
	v_dual_fma_f64 v[2:3], v[16:17], v[20:21], -v[2:3] :: v_dual_mov_b32 v18, v22
	s_delay_alu instid0(VALU_DEP_1) | instskip(NEXT) | instid1(VALU_DEP_3)
	v_xor_b32_e32 v17, 0x80000000, v3
	v_xor_b32_e32 v19, 0x80000000, v23
	s_delay_alu instid0(VALU_DEP_3)
	v_mov_b32_e32 v16, v2
	ds_store_b128 v53, v[16:19]
	v_mov_b64_e32 v[16:17], v[2:3]
	v_mov_b64_e32 v[18:19], v[22:23]
.LBB78_154:                             ;   in Loop: Header=BB78_3 Depth=1
	s_or_b32 exec_lo, exec_lo, s35
	s_wait_loadcnt_dscnt 0x0
	s_barrier_signal -1
	s_barrier_wait -1
	s_and_saveexec_b32 s35, s66
	s_cbranch_execz .LBB78_156
; %bb.155:                              ;   in Loop: Header=BB78_3 Depth=1
	ds_load_b128 v[20:23], v53
	ds_load_b128 v[204:207], v54 offset:9984
	s_wait_dscnt 0x0
	v_mul_f64_e32 v[2:3], v[22:23], v[206:207]
	s_delay_alu instid0(VALU_DEP_1) | instskip(SKIP_1) | instid1(VALU_DEP_2)
	v_fma_f64 v[2:3], v[20:21], v[204:205], -v[2:3]
	v_mul_f64_e32 v[20:21], v[20:21], v[206:207]
	v_add_f64_e64 v[16:17], v[16:17], -v[2:3]
	s_delay_alu instid0(VALU_DEP_2) | instskip(NEXT) | instid1(VALU_DEP_1)
	v_fmac_f64_e32 v[20:21], v[22:23], v[204:205]
	v_add_f64_e64 v[18:19], v[18:19], -v[20:21]
.LBB78_156:                             ;   in Loop: Header=BB78_3 Depth=1
	s_or_b32 exec_lo, exec_lo, s35
	s_barrier_signal -1
	s_barrier_wait -1
	s_and_saveexec_b32 s35, s67
	s_cbranch_execz .LBB78_158
; %bb.157:                              ;   in Loop: Header=BB78_3 Depth=1
	ds_load_b128 v[20:23], v1 offset:9504
	s_wait_dscnt 0x0
	v_mul_f64_e32 v[2:3], v[18:19], v[22:23]
	v_mul_f64_e32 v[22:23], v[16:17], v[22:23]
	s_delay_alu instid0(VALU_DEP_1) | instskip(NEXT) | instid1(VALU_DEP_1)
	v_fmac_f64_e32 v[22:23], v[18:19], v[20:21]
	v_dual_fma_f64 v[2:3], v[16:17], v[20:21], -v[2:3] :: v_dual_mov_b32 v18, v22
	s_delay_alu instid0(VALU_DEP_1) | instskip(NEXT) | instid1(VALU_DEP_3)
	v_xor_b32_e32 v17, 0x80000000, v3
	v_xor_b32_e32 v19, 0x80000000, v23
	s_delay_alu instid0(VALU_DEP_3)
	v_mov_b32_e32 v16, v2
	ds_store_b128 v53, v[16:19]
	v_mov_b64_e32 v[16:17], v[2:3]
	v_mov_b64_e32 v[18:19], v[22:23]
.LBB78_158:                             ;   in Loop: Header=BB78_3 Depth=1
	s_or_b32 exec_lo, exec_lo, s35
	s_wait_dscnt 0x0
	s_barrier_signal -1
	s_barrier_wait -1
	s_and_saveexec_b32 s35, s68
	s_cbranch_execz .LBB78_160
; %bb.159:                              ;   in Loop: Header=BB78_3 Depth=1
	ds_load_b128 v[20:23], v53
	ds_load_b128 v[204:207], v54 offset:9472
	s_wait_dscnt 0x0
	v_mul_f64_e32 v[2:3], v[22:23], v[206:207]
	s_delay_alu instid0(VALU_DEP_1) | instskip(SKIP_1) | instid1(VALU_DEP_2)
	v_fma_f64 v[2:3], v[20:21], v[204:205], -v[2:3]
	v_mul_f64_e32 v[20:21], v[20:21], v[206:207]
	v_add_f64_e64 v[16:17], v[16:17], -v[2:3]
	s_delay_alu instid0(VALU_DEP_2) | instskip(NEXT) | instid1(VALU_DEP_1)
	v_fmac_f64_e32 v[20:21], v[22:23], v[204:205]
	v_add_f64_e64 v[18:19], v[18:19], -v[20:21]
.LBB78_160:                             ;   in Loop: Header=BB78_3 Depth=1
	s_or_b32 exec_lo, exec_lo, s35
	s_barrier_signal -1
	s_barrier_wait -1
	s_and_saveexec_b32 s35, s69
	s_cbranch_execz .LBB78_162
; %bb.161:                              ;   in Loop: Header=BB78_3 Depth=1
	ds_load_b128 v[20:23], v1 offset:8976
	s_wait_dscnt 0x0
	v_mul_f64_e32 v[2:3], v[18:19], v[22:23]
	v_mul_f64_e32 v[22:23], v[16:17], v[22:23]
	s_delay_alu instid0(VALU_DEP_1) | instskip(NEXT) | instid1(VALU_DEP_1)
	v_fmac_f64_e32 v[22:23], v[18:19], v[20:21]
	v_dual_fma_f64 v[2:3], v[16:17], v[20:21], -v[2:3] :: v_dual_mov_b32 v18, v22
	s_delay_alu instid0(VALU_DEP_1) | instskip(NEXT) | instid1(VALU_DEP_3)
	v_xor_b32_e32 v17, 0x80000000, v3
	v_xor_b32_e32 v19, 0x80000000, v23
	s_delay_alu instid0(VALU_DEP_3)
	v_mov_b32_e32 v16, v2
	ds_store_b128 v53, v[16:19]
	v_mov_b64_e32 v[16:17], v[2:3]
	v_mov_b64_e32 v[18:19], v[22:23]
.LBB78_162:                             ;   in Loop: Header=BB78_3 Depth=1
	s_or_b32 exec_lo, exec_lo, s35
	s_wait_dscnt 0x0
	;; [unrolled: 41-line block ×3, first 2 shown]
	s_barrier_signal -1
	s_barrier_wait -1
	s_barrier_signal -1
	s_barrier_wait -1
	s_and_saveexec_b32 s35, s2
; %bb.167:                              ;   in Loop: Header=BB78_3 Depth=1
	ds_store_b128 v56, v[16:19] offset:12032
; %bb.168:                              ;   in Loop: Header=BB78_3 Depth=1
	s_or_b32 exec_lo, exec_lo, s35
	s_wait_dscnt 0x0
	s_barrier_signal -1
	s_barrier_wait -1
	s_barrier_signal -1
	s_barrier_wait -1
	s_and_saveexec_b32 s35, s71
	s_cbranch_execz .LBB78_170
; %bb.169:                              ;   in Loop: Header=BB78_3 Depth=1
	ds_load_b128 v[16:19], v114
	s_wait_dscnt 0x0
	ds_store_b128 v155, v[16:19]
	ds_load_b128 v[16:19], v117
	s_wait_dscnt 0x0
	ds_store_b128 v158, v[16:19]
	;; [unrolled: 3-line block ×4, first 2 shown]
.LBB78_170:                             ;   in Loop: Header=BB78_3 Depth=1
	s_or_b32 exec_lo, exec_lo, s35
	s_wait_dscnt 0x0
	s_barrier_signal -1
	s_barrier_wait -1
	s_and_saveexec_b32 s35, s29
	s_cbranch_execz .LBB78_172
; %bb.171:                              ;   in Loop: Header=BB78_3 Depth=1
	ds_load_b128 v[16:19], v1 offset:10032
	ds_load_b128 v[20:23], v1 offset:9504
	s_wait_dscnt 0x0
	v_mul_f64_e32 v[2:3], v[18:19], v[22:23]
	v_mul_f64_e32 v[204:205], v[16:17], v[22:23]
	s_delay_alu instid0(VALU_DEP_2) | instskip(NEXT) | instid1(VALU_DEP_2)
	v_fma_f64 v[2:3], v[16:17], v[20:21], -v[2:3]
	v_fmac_f64_e32 v[204:205], v[18:19], v[20:21]
	ds_load_b128 v[16:19], v1 offset:10016
	s_wait_dscnt 0x0
	v_mul_f64_e32 v[22:23], v[2:3], v[18:19]
	v_mul_f64_e32 v[20:21], v[204:205], v[18:19]
	s_delay_alu instid0(VALU_DEP_2) | instskip(NEXT) | instid1(VALU_DEP_2)
	v_fmac_f64_e32 v[22:23], v[16:17], v[204:205]
	v_fma_f64 v[20:21], v[16:17], v[2:3], -v[20:21]
	ds_store_b128 v1, v[20:23] offset:10016
	ds_store_b128 v1, v[20:23] offset:9520
.LBB78_172:                             ;   in Loop: Header=BB78_3 Depth=1
	s_or_b32 exec_lo, exec_lo, s35
	v_mov_b64_e32 v[16:17], 0
	v_mov_b64_e32 v[18:19], 0
	s_wait_dscnt 0x0
	s_barrier_signal -1
	s_barrier_wait -1
	global_wb scope:SCOPE_DEV
	s_wait_storecnt 0x0
	global_inv scope:SCOPE_DEV
	s_and_saveexec_b32 s35, s0
	s_cbranch_execz .LBB78_176
; %bb.173:                              ;   in Loop: Header=BB78_3 Depth=1
	ds_load_b128 v[16:19], v47 offset:10016
	ds_load_b128 v[20:23], v46 offset:9472
	s_wait_dscnt 0x0
	v_mul_f64_e32 v[2:3], v[18:19], v[22:23]
	v_mul_f64_e32 v[22:23], v[16:17], v[22:23]
	s_delay_alu instid0(VALU_DEP_2) | instskip(NEXT) | instid1(VALU_DEP_2)
	v_fma_f64 v[2:3], v[16:17], v[20:21], -v[2:3]
	v_fmac_f64_e32 v[22:23], v[18:19], v[20:21]
	s_delay_alu instid0(VALU_DEP_2) | instskip(NEXT) | instid1(VALU_DEP_2)
	v_add_f64_e32 v[16:17], 0, v[2:3]
	v_add_f64_e32 v[18:19], 0, v[22:23]
	s_and_saveexec_b32 s40, s10
	s_cbranch_execz .LBB78_175
; %bb.174:                              ;   in Loop: Header=BB78_3 Depth=1
	ds_load_b128 v[20:23], v1 offset:10032
	ds_load_b128 v[204:207], v113 offset:9984
	s_wait_dscnt 0x0
	v_mul_f64_e32 v[2:3], v[22:23], v[206:207]
	s_delay_alu instid0(VALU_DEP_1) | instskip(SKIP_1) | instid1(VALU_DEP_2)
	v_fma_f64 v[2:3], v[20:21], v[204:205], -v[2:3]
	v_mul_f64_e32 v[20:21], v[20:21], v[206:207]
	v_add_f64_e32 v[16:17], v[16:17], v[2:3]
	s_delay_alu instid0(VALU_DEP_2) | instskip(NEXT) | instid1(VALU_DEP_1)
	v_fmac_f64_e32 v[20:21], v[22:23], v[204:205]
	v_add_f64_e32 v[18:19], v[18:19], v[20:21]
.LBB78_175:                             ;   in Loop: Header=BB78_3 Depth=1
	s_or_b32 exec_lo, exec_lo, s40
.LBB78_176:                             ;   in Loop: Header=BB78_3 Depth=1
	s_delay_alu instid0(SALU_CYCLE_1)
	s_or_b32 exec_lo, exec_lo, s35
	s_and_saveexec_b32 s35, s62
	s_cbranch_execz .LBB78_178
; %bb.177:                              ;   in Loop: Header=BB78_3 Depth=1
	ds_load_b128 v[20:23], v1 offset:8976
	s_wait_dscnt 0x0
	v_mul_f64_e32 v[2:3], v[18:19], v[22:23]
	v_mul_f64_e32 v[22:23], v[16:17], v[22:23]
	s_delay_alu instid0(VALU_DEP_1) | instskip(NEXT) | instid1(VALU_DEP_1)
	v_fmac_f64_e32 v[22:23], v[18:19], v[20:21]
	v_dual_fma_f64 v[2:3], v[16:17], v[20:21], -v[2:3] :: v_dual_mov_b32 v18, v22
	s_delay_alu instid0(VALU_DEP_1) | instskip(NEXT) | instid1(VALU_DEP_3)
	v_xor_b32_e32 v17, 0x80000000, v3
	v_xor_b32_e32 v19, 0x80000000, v23
	s_delay_alu instid0(VALU_DEP_3)
	v_mov_b32_e32 v16, v2
	ds_store_b128 v25, v[16:19]
	v_mov_b64_e32 v[16:17], v[2:3]
	v_mov_b64_e32 v[18:19], v[22:23]
.LBB78_178:                             ;   in Loop: Header=BB78_3 Depth=1
	s_or_b32 exec_lo, exec_lo, s35
	s_wait_loadcnt_dscnt 0x0
	s_barrier_signal -1
	s_barrier_wait -1
	s_and_saveexec_b32 s35, s63
	s_cbranch_execz .LBB78_180
; %bb.179:                              ;   in Loop: Header=BB78_3 Depth=1
	ds_load_b128 v[20:23], v25
	ds_load_b128 v[204:207], v1 offset:8960
	s_wait_dscnt 0x0
	v_mul_f64_e32 v[2:3], v[22:23], v[206:207]
	s_delay_alu instid0(VALU_DEP_1) | instskip(SKIP_1) | instid1(VALU_DEP_2)
	v_fma_f64 v[2:3], v[20:21], v[204:205], -v[2:3]
	v_mul_f64_e32 v[20:21], v[20:21], v[206:207]
	v_add_f64_e64 v[16:17], v[16:17], -v[2:3]
	s_delay_alu instid0(VALU_DEP_2) | instskip(NEXT) | instid1(VALU_DEP_1)
	v_fmac_f64_e32 v[20:21], v[22:23], v[204:205]
	v_add_f64_e64 v[18:19], v[18:19], -v[20:21]
.LBB78_180:                             ;   in Loop: Header=BB78_3 Depth=1
	s_or_b32 exec_lo, exec_lo, s35
	s_barrier_signal -1
	s_barrier_wait -1
	s_and_saveexec_b32 s35, s63
	s_cbranch_execz .LBB78_182
; %bb.181:                              ;   in Loop: Header=BB78_3 Depth=1
	ds_load_b128 v[20:23], v1 offset:8448
	s_wait_dscnt 0x0
	v_mul_f64_e32 v[2:3], v[18:19], v[22:23]
	v_mul_f64_e32 v[22:23], v[16:17], v[22:23]
	s_delay_alu instid0(VALU_DEP_1) | instskip(NEXT) | instid1(VALU_DEP_1)
	v_fmac_f64_e32 v[22:23], v[18:19], v[20:21]
	v_dual_fma_f64 v[2:3], v[16:17], v[20:21], -v[2:3] :: v_dual_mov_b32 v18, v22
	s_delay_alu instid0(VALU_DEP_1) | instskip(NEXT) | instid1(VALU_DEP_3)
	v_xor_b32_e32 v17, 0x80000000, v3
	v_xor_b32_e32 v19, 0x80000000, v23
	s_delay_alu instid0(VALU_DEP_3)
	v_mov_b32_e32 v16, v2
	ds_store_b128 v25, v[16:19]
	v_mov_b64_e32 v[16:17], v[2:3]
	v_mov_b64_e32 v[18:19], v[22:23]
.LBB78_182:                             ;   in Loop: Header=BB78_3 Depth=1
	s_or_b32 exec_lo, exec_lo, s35
	s_wait_dscnt 0x0
	s_barrier_signal -1
	s_barrier_wait -1
	s_barrier_signal -1
	s_barrier_wait -1
	s_and_saveexec_b32 s35, s0
; %bb.183:                              ;   in Loop: Header=BB78_3 Depth=1
	ds_store_b128 v49, v[16:19] offset:9984
; %bb.184:                              ;   in Loop: Header=BB78_3 Depth=1
	s_or_b32 exec_lo, exec_lo, s35
	s_wait_dscnt 0x0
	s_barrier_signal -1
	s_barrier_wait -1
	s_barrier_signal -1
	s_barrier_wait -1
	s_and_saveexec_b32 s35, s64
	s_cbranch_execz .LBB78_186
; %bb.185:                              ;   in Loop: Header=BB78_3 Depth=1
	ds_load_b128 v[16:19], v124
	s_wait_dscnt 0x0
	ds_store_b128 v130, v[16:19]
	ds_load_b128 v[16:19], v125
	s_wait_dscnt 0x0
	ds_store_b128 v132, v[16:19]
.LBB78_186:                             ;   in Loop: Header=BB78_3 Depth=1
	s_or_b32 exec_lo, exec_lo, s35
	s_wait_dscnt 0x0
	s_barrier_signal -1
	s_barrier_wait -1
	s_and_saveexec_b32 s35, s29
	s_cbranch_execz .LBB78_188
; %bb.187:                              ;   in Loop: Header=BB78_3 Depth=1
	ds_load_b128 v[16:19], v1 offset:8976
	ds_load_b128 v[20:23], v1 offset:8448
	s_wait_dscnt 0x0
	v_mul_f64_e32 v[2:3], v[18:19], v[22:23]
	v_mul_f64_e32 v[204:205], v[16:17], v[22:23]
	s_delay_alu instid0(VALU_DEP_2) | instskip(NEXT) | instid1(VALU_DEP_2)
	v_fma_f64 v[2:3], v[16:17], v[20:21], -v[2:3]
	v_fmac_f64_e32 v[204:205], v[18:19], v[20:21]
	ds_load_b128 v[16:19], v1 offset:8960
	s_wait_dscnt 0x0
	v_mul_f64_e32 v[22:23], v[2:3], v[18:19]
	v_mul_f64_e32 v[20:21], v[204:205], v[18:19]
	s_delay_alu instid0(VALU_DEP_2) | instskip(NEXT) | instid1(VALU_DEP_2)
	v_fmac_f64_e32 v[22:23], v[16:17], v[204:205]
	v_fma_f64 v[20:21], v[16:17], v[2:3], -v[20:21]
	ds_store_b128 v1, v[20:23] offset:8960
	ds_store_b128 v1, v[20:23] offset:8464
.LBB78_188:                             ;   in Loop: Header=BB78_3 Depth=1
	s_or_b32 exec_lo, exec_lo, s35
	v_mov_b64_e32 v[18:19], 0
	v_mov_b64_e32 v[16:17], 0
	s_wait_dscnt 0x0
	s_barrier_signal -1
	s_barrier_wait -1
	global_wb scope:SCOPE_DEV
	s_wait_storecnt 0x0
	global_inv scope:SCOPE_DEV
	s_and_saveexec_b32 s35, s4
	s_cbranch_execz .LBB78_216
; %bb.189:                              ;   in Loop: Header=BB78_3 Depth=1
	ds_load_b128 v[16:19], v71 offset:16128
	ds_load_b128 v[20:23], v70 offset:8192
	s_wait_dscnt 0x0
	v_mul_f64_e32 v[2:3], v[18:19], v[22:23]
	v_mul_f64_e32 v[22:23], v[16:17], v[22:23]
	s_delay_alu instid0(VALU_DEP_2) | instskip(NEXT) | instid1(VALU_DEP_2)
	v_fma_f64 v[2:3], v[16:17], v[20:21], -v[2:3]
	v_fmac_f64_e32 v[22:23], v[18:19], v[20:21]
	s_delay_alu instid0(VALU_DEP_2) | instskip(NEXT) | instid1(VALU_DEP_2)
	v_add_f64_e32 v[16:17], 0, v[2:3]
	v_add_f64_e32 v[18:19], 0, v[22:23]
	s_mov_b32 s40, exec_lo
	v_readlane_b32 s41, v203, 13
	s_and_b32 s41, s40, s41
	s_delay_alu instid0(SALU_CYCLE_1)
	s_mov_b32 exec_lo, s41
	s_cbranch_execz .LBB78_191
; %bb.190:                              ;   in Loop: Header=BB78_3 Depth=1
	ds_load_b128 v[20:23], v71 offset:16144
	ds_load_b128 v[204:207], v70 offset:8704
	s_wait_dscnt 0x0
	v_mul_f64_e32 v[2:3], v[22:23], v[206:207]
	s_delay_alu instid0(VALU_DEP_1) | instskip(SKIP_1) | instid1(VALU_DEP_2)
	v_fma_f64 v[2:3], v[20:21], v[204:205], -v[2:3]
	v_mul_f64_e32 v[20:21], v[20:21], v[206:207]
	v_add_f64_e32 v[16:17], v[16:17], v[2:3]
	s_delay_alu instid0(VALU_DEP_2) | instskip(NEXT) | instid1(VALU_DEP_1)
	v_fmac_f64_e32 v[20:21], v[22:23], v[204:205]
	v_add_f64_e32 v[18:19], v[18:19], v[20:21]
.LBB78_191:                             ;   in Loop: Header=BB78_3 Depth=1
	s_or_b32 exec_lo, exec_lo, s40
	s_delay_alu instid0(SALU_CYCLE_1) | instskip(SKIP_2) | instid1(SALU_CYCLE_1)
	s_mov_b32 s40, exec_lo
	v_readlane_b32 s41, v203, 14
	s_and_b32 s41, s40, s41
	s_mov_b32 exec_lo, s41
	s_cbranch_execz .LBB78_193
; %bb.192:                              ;   in Loop: Header=BB78_3 Depth=1
	ds_load_b128 v[20:23], v71 offset:16160
	ds_load_b128 v[204:207], v70 offset:9216
	s_wait_dscnt 0x0
	v_mul_f64_e32 v[2:3], v[22:23], v[206:207]
	s_delay_alu instid0(VALU_DEP_1) | instskip(SKIP_1) | instid1(VALU_DEP_2)
	v_fma_f64 v[2:3], v[20:21], v[204:205], -v[2:3]
	v_mul_f64_e32 v[20:21], v[20:21], v[206:207]
	v_add_f64_e32 v[16:17], v[16:17], v[2:3]
	s_delay_alu instid0(VALU_DEP_2) | instskip(NEXT) | instid1(VALU_DEP_1)
	v_fmac_f64_e32 v[20:21], v[22:23], v[204:205]
	v_add_f64_e32 v[18:19], v[18:19], v[20:21]
.LBB78_193:                             ;   in Loop: Header=BB78_3 Depth=1
	s_or_b32 exec_lo, exec_lo, s40
	s_delay_alu instid0(SALU_CYCLE_1) | instskip(SKIP_2) | instid1(SALU_CYCLE_1)
	s_mov_b32 s40, exec_lo
	v_readlane_b32 s41, v203, 15
	s_and_b32 s41, s40, s41
	;; [unrolled: 20-line block ×10, first 2 shown]
	s_mov_b32 exec_lo, s41
	s_cbranch_execnz .LBB78_560
; %bb.210:                              ;   in Loop: Header=BB78_3 Depth=1
	s_or_b32 exec_lo, exec_lo, s40
	s_and_saveexec_b32 s40, s3
	s_cbranch_execnz .LBB78_561
.LBB78_211:                             ;   in Loop: Header=BB78_3 Depth=1
	s_or_b32 exec_lo, exec_lo, s40
	s_and_saveexec_b32 s40, s14
	s_cbranch_execnz .LBB78_562
.LBB78_212:                             ;   in Loop: Header=BB78_3 Depth=1
	s_or_b32 exec_lo, exec_lo, s40
	s_and_saveexec_b32 s40, s16
	s_cbranch_execnz .LBB78_563
.LBB78_213:                             ;   in Loop: Header=BB78_3 Depth=1
	s_or_b32 exec_lo, exec_lo, s40
	s_and_saveexec_b32 s40, s2
	s_cbranch_execz .LBB78_215
.LBB78_214:                             ;   in Loop: Header=BB78_3 Depth=1
	ds_load_b128 v[20:23], v1 offset:16368
	ds_load_b128 v[204:207], v48 offset:15872
	s_wait_dscnt 0x0
	v_mul_f64_e32 v[2:3], v[22:23], v[206:207]
	s_delay_alu instid0(VALU_DEP_1) | instskip(SKIP_1) | instid1(VALU_DEP_2)
	v_fma_f64 v[2:3], v[20:21], v[204:205], -v[2:3]
	v_mul_f64_e32 v[20:21], v[20:21], v[206:207]
	v_add_f64_e32 v[16:17], v[16:17], v[2:3]
	s_delay_alu instid0(VALU_DEP_2) | instskip(NEXT) | instid1(VALU_DEP_1)
	v_fmac_f64_e32 v[20:21], v[22:23], v[204:205]
	v_add_f64_e32 v[18:19], v[18:19], v[20:21]
.LBB78_215:                             ;   in Loop: Header=BB78_3 Depth=1
	s_or_b32 exec_lo, exec_lo, s40
.LBB78_216:                             ;   in Loop: Header=BB78_3 Depth=1
	s_delay_alu instid0(SALU_CYCLE_1) | instskip(NEXT) | instid1(SALU_CYCLE_1)
	s_or_b32 exec_lo, exec_lo, s35
	s_mov_b32 s35, exec_lo
	v_readlane_b32 s40, v203, 0
	s_and_b32 s40, s35, s40
	s_delay_alu instid0(SALU_CYCLE_1)
	s_mov_b32 exec_lo, s40
	s_cbranch_execz .LBB78_218
; %bb.217:                              ;   in Loop: Header=BB78_3 Depth=1
	ds_load_b128 v[20:23], v1 offset:7920
	s_wait_dscnt 0x0
	v_mul_f64_e32 v[2:3], v[18:19], v[22:23]
	v_mul_f64_e32 v[22:23], v[16:17], v[22:23]
	s_delay_alu instid0(VALU_DEP_1) | instskip(NEXT) | instid1(VALU_DEP_1)
	v_fmac_f64_e32 v[22:23], v[18:19], v[20:21]
	v_dual_fma_f64 v[2:3], v[16:17], v[20:21], -v[2:3] :: v_dual_mov_b32 v18, v22
	s_delay_alu instid0(VALU_DEP_1) | instskip(NEXT) | instid1(VALU_DEP_3)
	v_xor_b32_e32 v17, 0x80000000, v3
	v_xor_b32_e32 v19, 0x80000000, v23
	s_delay_alu instid0(VALU_DEP_3)
	v_mov_b32_e32 v16, v2
	ds_store_b128 v69, v[16:19]
	v_mov_b64_e32 v[16:17], v[2:3]
	v_mov_b64_e32 v[18:19], v[22:23]
.LBB78_218:                             ;   in Loop: Header=BB78_3 Depth=1
	s_or_b32 exec_lo, exec_lo, s35
	s_wait_loadcnt_dscnt 0x0
	s_barrier_signal -1
	s_barrier_wait -1
	s_mov_b32 s35, exec_lo
	v_readlane_b32 s40, v203, 1
	s_and_b32 s40, s35, s40
	s_delay_alu instid0(SALU_CYCLE_1)
	s_mov_b32 exec_lo, s40
	s_cbranch_execz .LBB78_220
; %bb.219:                              ;   in Loop: Header=BB78_3 Depth=1
	ds_load_b128 v[20:23], v69
	ds_load_b128 v[204:207], v70 offset:7680
	s_wait_dscnt 0x0
	v_mul_f64_e32 v[2:3], v[22:23], v[206:207]
	s_delay_alu instid0(VALU_DEP_1) | instskip(SKIP_1) | instid1(VALU_DEP_2)
	v_fma_f64 v[2:3], v[20:21], v[204:205], -v[2:3]
	v_mul_f64_e32 v[20:21], v[20:21], v[206:207]
	v_add_f64_e64 v[16:17], v[16:17], -v[2:3]
	s_delay_alu instid0(VALU_DEP_2) | instskip(NEXT) | instid1(VALU_DEP_1)
	v_fmac_f64_e32 v[20:21], v[22:23], v[204:205]
	v_add_f64_e64 v[18:19], v[18:19], -v[20:21]
.LBB78_220:                             ;   in Loop: Header=BB78_3 Depth=1
	s_or_b32 exec_lo, exec_lo, s35
	s_barrier_signal -1
	s_barrier_wait -1
	s_mov_b32 s35, exec_lo
	v_readlane_b32 s40, v203, 2
	s_and_b32 s40, s35, s40
	s_delay_alu instid0(SALU_CYCLE_1)
	s_mov_b32 exec_lo, s40
	s_cbranch_execz .LBB78_222
; %bb.221:                              ;   in Loop: Header=BB78_3 Depth=1
	ds_load_b128 v[20:23], v1 offset:7392
	s_wait_dscnt 0x0
	v_mul_f64_e32 v[2:3], v[18:19], v[22:23]
	v_mul_f64_e32 v[22:23], v[16:17], v[22:23]
	s_delay_alu instid0(VALU_DEP_1) | instskip(NEXT) | instid1(VALU_DEP_1)
	v_fmac_f64_e32 v[22:23], v[18:19], v[20:21]
	v_dual_fma_f64 v[2:3], v[16:17], v[20:21], -v[2:3] :: v_dual_mov_b32 v18, v22
	s_delay_alu instid0(VALU_DEP_1) | instskip(NEXT) | instid1(VALU_DEP_3)
	v_xor_b32_e32 v17, 0x80000000, v3
	v_xor_b32_e32 v19, 0x80000000, v23
	s_delay_alu instid0(VALU_DEP_3)
	v_mov_b32_e32 v16, v2
	ds_store_b128 v69, v[16:19]
	v_mov_b64_e32 v[16:17], v[2:3]
	v_mov_b64_e32 v[18:19], v[22:23]
.LBB78_222:                             ;   in Loop: Header=BB78_3 Depth=1
	s_or_b32 exec_lo, exec_lo, s35
	s_wait_dscnt 0x0
	s_barrier_signal -1
	s_barrier_wait -1
	s_mov_b32 s35, exec_lo
	v_readlane_b32 s40, v203, 3
	s_and_b32 s40, s35, s40
	s_delay_alu instid0(SALU_CYCLE_1)
	s_mov_b32 exec_lo, s40
	s_cbranch_execz .LBB78_224
; %bb.223:                              ;   in Loop: Header=BB78_3 Depth=1
	ds_load_b128 v[20:23], v69
	ds_load_b128 v[204:207], v70 offset:7168
	s_wait_dscnt 0x0
	v_mul_f64_e32 v[2:3], v[22:23], v[206:207]
	s_delay_alu instid0(VALU_DEP_1) | instskip(SKIP_1) | instid1(VALU_DEP_2)
	v_fma_f64 v[2:3], v[20:21], v[204:205], -v[2:3]
	v_mul_f64_e32 v[20:21], v[20:21], v[206:207]
	v_add_f64_e64 v[16:17], v[16:17], -v[2:3]
	s_delay_alu instid0(VALU_DEP_2) | instskip(NEXT) | instid1(VALU_DEP_1)
	v_fmac_f64_e32 v[20:21], v[22:23], v[204:205]
	v_add_f64_e64 v[18:19], v[18:19], -v[20:21]
.LBB78_224:                             ;   in Loop: Header=BB78_3 Depth=1
	s_or_b32 exec_lo, exec_lo, s35
	s_barrier_signal -1
	s_barrier_wait -1
	s_mov_b32 s35, exec_lo
	v_readlane_b32 s40, v203, 4
	s_and_b32 s40, s35, s40
	s_delay_alu instid0(SALU_CYCLE_1)
	s_mov_b32 exec_lo, s40
	s_cbranch_execz .LBB78_226
; %bb.225:                              ;   in Loop: Header=BB78_3 Depth=1
	ds_load_b128 v[20:23], v1 offset:6864
	s_wait_dscnt 0x0
	v_mul_f64_e32 v[2:3], v[18:19], v[22:23]
	v_mul_f64_e32 v[22:23], v[16:17], v[22:23]
	s_delay_alu instid0(VALU_DEP_1) | instskip(NEXT) | instid1(VALU_DEP_1)
	v_fmac_f64_e32 v[22:23], v[18:19], v[20:21]
	v_dual_fma_f64 v[2:3], v[16:17], v[20:21], -v[2:3] :: v_dual_mov_b32 v18, v22
	s_delay_alu instid0(VALU_DEP_1) | instskip(NEXT) | instid1(VALU_DEP_3)
	v_xor_b32_e32 v17, 0x80000000, v3
	v_xor_b32_e32 v19, 0x80000000, v23
	s_delay_alu instid0(VALU_DEP_3)
	v_mov_b32_e32 v16, v2
	ds_store_b128 v69, v[16:19]
	v_mov_b64_e32 v[16:17], v[2:3]
	v_mov_b64_e32 v[18:19], v[22:23]
.LBB78_226:                             ;   in Loop: Header=BB78_3 Depth=1
	s_or_b32 exec_lo, exec_lo, s35
	s_wait_dscnt 0x0
	s_barrier_signal -1
	s_barrier_wait -1
	s_mov_b32 s35, exec_lo
	v_readlane_b32 s40, v203, 5
	s_and_b32 s40, s35, s40
	s_delay_alu instid0(SALU_CYCLE_1)
	s_mov_b32 exec_lo, s40
	s_cbranch_execz .LBB78_228
; %bb.227:                              ;   in Loop: Header=BB78_3 Depth=1
	ds_load_b128 v[20:23], v69
	ds_load_b128 v[204:207], v70 offset:6656
	s_wait_dscnt 0x0
	v_mul_f64_e32 v[2:3], v[22:23], v[206:207]
	s_delay_alu instid0(VALU_DEP_1) | instskip(SKIP_1) | instid1(VALU_DEP_2)
	v_fma_f64 v[2:3], v[20:21], v[204:205], -v[2:3]
	v_mul_f64_e32 v[20:21], v[20:21], v[206:207]
	v_add_f64_e64 v[16:17], v[16:17], -v[2:3]
	s_delay_alu instid0(VALU_DEP_2) | instskip(NEXT) | instid1(VALU_DEP_1)
	v_fmac_f64_e32 v[20:21], v[22:23], v[204:205]
	v_add_f64_e64 v[18:19], v[18:19], -v[20:21]
.LBB78_228:                             ;   in Loop: Header=BB78_3 Depth=1
	s_or_b32 exec_lo, exec_lo, s35
	s_barrier_signal -1
	s_barrier_wait -1
	s_mov_b32 s35, exec_lo
	v_readlane_b32 s40, v203, 6
	s_and_b32 s40, s35, s40
	s_delay_alu instid0(SALU_CYCLE_1)
	s_mov_b32 exec_lo, s40
	s_cbranch_execz .LBB78_230
; %bb.229:                              ;   in Loop: Header=BB78_3 Depth=1
	ds_load_b128 v[20:23], v1 offset:6336
	s_wait_dscnt 0x0
	v_mul_f64_e32 v[2:3], v[18:19], v[22:23]
	v_mul_f64_e32 v[22:23], v[16:17], v[22:23]
	s_delay_alu instid0(VALU_DEP_1) | instskip(NEXT) | instid1(VALU_DEP_1)
	v_fmac_f64_e32 v[22:23], v[18:19], v[20:21]
	v_dual_fma_f64 v[2:3], v[16:17], v[20:21], -v[2:3] :: v_dual_mov_b32 v18, v22
	s_delay_alu instid0(VALU_DEP_1) | instskip(NEXT) | instid1(VALU_DEP_3)
	v_xor_b32_e32 v17, 0x80000000, v3
	v_xor_b32_e32 v19, 0x80000000, v23
	s_delay_alu instid0(VALU_DEP_3)
	v_mov_b32_e32 v16, v2
	ds_store_b128 v69, v[16:19]
	v_mov_b64_e32 v[16:17], v[2:3]
	v_mov_b64_e32 v[18:19], v[22:23]
.LBB78_230:                             ;   in Loop: Header=BB78_3 Depth=1
	s_or_b32 exec_lo, exec_lo, s35
	s_wait_dscnt 0x0
	s_barrier_signal -1
	s_barrier_wait -1
	s_mov_b32 s35, exec_lo
	v_readlane_b32 s40, v203, 7
	s_and_b32 s40, s35, s40
	s_delay_alu instid0(SALU_CYCLE_1)
	s_mov_b32 exec_lo, s40
	s_cbranch_execz .LBB78_232
; %bb.231:                              ;   in Loop: Header=BB78_3 Depth=1
	ds_load_b128 v[20:23], v69
	ds_load_b128 v[204:207], v70 offset:6144
	s_wait_dscnt 0x0
	v_mul_f64_e32 v[2:3], v[22:23], v[206:207]
	s_delay_alu instid0(VALU_DEP_1) | instskip(SKIP_1) | instid1(VALU_DEP_2)
	v_fma_f64 v[2:3], v[20:21], v[204:205], -v[2:3]
	v_mul_f64_e32 v[20:21], v[20:21], v[206:207]
	v_add_f64_e64 v[16:17], v[16:17], -v[2:3]
	s_delay_alu instid0(VALU_DEP_2) | instskip(NEXT) | instid1(VALU_DEP_1)
	v_fmac_f64_e32 v[20:21], v[22:23], v[204:205]
	v_add_f64_e64 v[18:19], v[18:19], -v[20:21]
.LBB78_232:                             ;   in Loop: Header=BB78_3 Depth=1
	s_or_b32 exec_lo, exec_lo, s35
	s_barrier_signal -1
	s_barrier_wait -1
	s_and_saveexec_b32 s35, s95
	s_cbranch_execz .LBB78_234
; %bb.233:                              ;   in Loop: Header=BB78_3 Depth=1
	ds_load_b128 v[20:23], v1 offset:5808
	s_wait_dscnt 0x0
	v_mul_f64_e32 v[2:3], v[18:19], v[22:23]
	v_mul_f64_e32 v[22:23], v[16:17], v[22:23]
	s_delay_alu instid0(VALU_DEP_1) | instskip(NEXT) | instid1(VALU_DEP_1)
	v_fmac_f64_e32 v[22:23], v[18:19], v[20:21]
	v_dual_fma_f64 v[2:3], v[16:17], v[20:21], -v[2:3] :: v_dual_mov_b32 v18, v22
	s_delay_alu instid0(VALU_DEP_1) | instskip(NEXT) | instid1(VALU_DEP_3)
	v_xor_b32_e32 v17, 0x80000000, v3
	v_xor_b32_e32 v19, 0x80000000, v23
	s_delay_alu instid0(VALU_DEP_3)
	v_mov_b32_e32 v16, v2
	ds_store_b128 v69, v[16:19]
	v_mov_b64_e32 v[16:17], v[2:3]
	v_mov_b64_e32 v[18:19], v[22:23]
.LBB78_234:                             ;   in Loop: Header=BB78_3 Depth=1
	s_or_b32 exec_lo, exec_lo, s35
	s_wait_dscnt 0x0
	s_barrier_signal -1
	s_barrier_wait -1
	s_and_saveexec_b32 s35, s96
	s_cbranch_execz .LBB78_236
; %bb.235:                              ;   in Loop: Header=BB78_3 Depth=1
	ds_load_b128 v[20:23], v69
	ds_load_b128 v[204:207], v70 offset:5632
	s_wait_dscnt 0x0
	v_mul_f64_e32 v[2:3], v[22:23], v[206:207]
	s_delay_alu instid0(VALU_DEP_1) | instskip(SKIP_1) | instid1(VALU_DEP_2)
	v_fma_f64 v[2:3], v[20:21], v[204:205], -v[2:3]
	v_mul_f64_e32 v[20:21], v[20:21], v[206:207]
	v_add_f64_e64 v[16:17], v[16:17], -v[2:3]
	s_delay_alu instid0(VALU_DEP_2) | instskip(NEXT) | instid1(VALU_DEP_1)
	v_fmac_f64_e32 v[20:21], v[22:23], v[204:205]
	v_add_f64_e64 v[18:19], v[18:19], -v[20:21]
.LBB78_236:                             ;   in Loop: Header=BB78_3 Depth=1
	s_or_b32 exec_lo, exec_lo, s35
	s_barrier_signal -1
	s_barrier_wait -1
	s_and_saveexec_b32 s35, s97
	s_cbranch_execz .LBB78_238
; %bb.237:                              ;   in Loop: Header=BB78_3 Depth=1
	ds_load_b128 v[20:23], v1 offset:5280
	s_wait_dscnt 0x0
	v_mul_f64_e32 v[2:3], v[18:19], v[22:23]
	v_mul_f64_e32 v[22:23], v[16:17], v[22:23]
	s_delay_alu instid0(VALU_DEP_1) | instskip(NEXT) | instid1(VALU_DEP_1)
	v_fmac_f64_e32 v[22:23], v[18:19], v[20:21]
	v_dual_fma_f64 v[2:3], v[16:17], v[20:21], -v[2:3] :: v_dual_mov_b32 v18, v22
	s_delay_alu instid0(VALU_DEP_1) | instskip(NEXT) | instid1(VALU_DEP_3)
	v_xor_b32_e32 v17, 0x80000000, v3
	v_xor_b32_e32 v19, 0x80000000, v23
	s_delay_alu instid0(VALU_DEP_3)
	v_mov_b32_e32 v16, v2
	ds_store_b128 v69, v[16:19]
	v_mov_b64_e32 v[16:17], v[2:3]
	v_mov_b64_e32 v[18:19], v[22:23]
.LBB78_238:                             ;   in Loop: Header=BB78_3 Depth=1
	s_or_b32 exec_lo, exec_lo, s35
	s_wait_dscnt 0x0
	s_barrier_signal -1
	s_barrier_wait -1
	s_and_saveexec_b32 s35, s98
	;; [unrolled: 41-line block ×5, first 2 shown]
	s_cbranch_execz .LBB78_252
; %bb.251:                              ;   in Loop: Header=BB78_3 Depth=1
	ds_load_b128 v[20:23], v69
	ds_load_b128 v[204:207], v70 offset:3584
	s_wait_dscnt 0x0
	v_mul_f64_e32 v[2:3], v[22:23], v[206:207]
	s_delay_alu instid0(VALU_DEP_1) | instskip(SKIP_1) | instid1(VALU_DEP_2)
	v_fma_f64 v[2:3], v[20:21], v[204:205], -v[2:3]
	v_mul_f64_e32 v[20:21], v[20:21], v[206:207]
	v_add_f64_e64 v[16:17], v[16:17], -v[2:3]
	s_delay_alu instid0(VALU_DEP_2) | instskip(NEXT) | instid1(VALU_DEP_1)
	v_fmac_f64_e32 v[20:21], v[22:23], v[204:205]
	v_add_f64_e64 v[18:19], v[18:19], -v[20:21]
.LBB78_252:                             ;   in Loop: Header=BB78_3 Depth=1
	s_or_b32 exec_lo, exec_lo, s35
	s_barrier_signal -1
	s_barrier_wait -1
	s_and_saveexec_b32 s35, vcc_hi
	s_cbranch_execz .LBB78_254
; %bb.253:                              ;   in Loop: Header=BB78_3 Depth=1
	ds_load_b128 v[20:23], v1 offset:3168
	s_wait_dscnt 0x0
	v_mul_f64_e32 v[2:3], v[18:19], v[22:23]
	v_mul_f64_e32 v[22:23], v[16:17], v[22:23]
	s_delay_alu instid0(VALU_DEP_1) | instskip(NEXT) | instid1(VALU_DEP_1)
	v_fmac_f64_e32 v[22:23], v[18:19], v[20:21]
	v_dual_fma_f64 v[2:3], v[16:17], v[20:21], -v[2:3] :: v_dual_mov_b32 v18, v22
	s_delay_alu instid0(VALU_DEP_1) | instskip(NEXT) | instid1(VALU_DEP_3)
	v_xor_b32_e32 v17, 0x80000000, v3
	v_xor_b32_e32 v19, 0x80000000, v23
	s_delay_alu instid0(VALU_DEP_3)
	v_mov_b32_e32 v16, v2
	ds_store_b128 v69, v[16:19]
	v_mov_b64_e32 v[16:17], v[2:3]
	v_mov_b64_e32 v[18:19], v[22:23]
.LBB78_254:                             ;   in Loop: Header=BB78_3 Depth=1
	s_or_b32 exec_lo, exec_lo, s35
	s_wait_dscnt 0x0
	s_barrier_signal -1
	s_barrier_wait -1
	s_and_saveexec_b32 s35, s18
	s_cbranch_execz .LBB78_256
; %bb.255:                              ;   in Loop: Header=BB78_3 Depth=1
	ds_load_b128 v[20:23], v69
	ds_load_b128 v[204:207], v70 offset:3072
	s_wait_dscnt 0x0
	v_mul_f64_e32 v[2:3], v[22:23], v[206:207]
	s_delay_alu instid0(VALU_DEP_1) | instskip(SKIP_1) | instid1(VALU_DEP_2)
	v_fma_f64 v[2:3], v[20:21], v[204:205], -v[2:3]
	v_mul_f64_e32 v[20:21], v[20:21], v[206:207]
	v_add_f64_e64 v[16:17], v[16:17], -v[2:3]
	s_delay_alu instid0(VALU_DEP_2) | instskip(NEXT) | instid1(VALU_DEP_1)
	v_fmac_f64_e32 v[20:21], v[22:23], v[204:205]
	v_add_f64_e64 v[18:19], v[18:19], -v[20:21]
.LBB78_256:                             ;   in Loop: Header=BB78_3 Depth=1
	s_or_b32 exec_lo, exec_lo, s35
	s_barrier_signal -1
	s_barrier_wait -1
	s_and_saveexec_b32 s35, s19
	s_cbranch_execz .LBB78_258
; %bb.257:                              ;   in Loop: Header=BB78_3 Depth=1
	ds_load_b128 v[20:23], v1 offset:2640
	s_wait_dscnt 0x0
	v_mul_f64_e32 v[2:3], v[18:19], v[22:23]
	v_mul_f64_e32 v[22:23], v[16:17], v[22:23]
	s_delay_alu instid0(VALU_DEP_1) | instskip(NEXT) | instid1(VALU_DEP_1)
	v_fmac_f64_e32 v[22:23], v[18:19], v[20:21]
	v_dual_fma_f64 v[2:3], v[16:17], v[20:21], -v[2:3] :: v_dual_mov_b32 v18, v22
	s_delay_alu instid0(VALU_DEP_1) | instskip(NEXT) | instid1(VALU_DEP_3)
	v_xor_b32_e32 v17, 0x80000000, v3
	v_xor_b32_e32 v19, 0x80000000, v23
	s_delay_alu instid0(VALU_DEP_3)
	v_mov_b32_e32 v16, v2
	ds_store_b128 v69, v[16:19]
	v_mov_b64_e32 v[16:17], v[2:3]
	v_mov_b64_e32 v[18:19], v[22:23]
.LBB78_258:                             ;   in Loop: Header=BB78_3 Depth=1
	s_or_b32 exec_lo, exec_lo, s35
	s_wait_dscnt 0x0
	s_barrier_signal -1
	s_barrier_wait -1
	s_and_saveexec_b32 s35, s20
	s_cbranch_execz .LBB78_260
; %bb.259:                              ;   in Loop: Header=BB78_3 Depth=1
	ds_load_b128 v[20:23], v69
	ds_load_b128 v[204:207], v70 offset:2560
	s_wait_dscnt 0x0
	v_mul_f64_e32 v[2:3], v[22:23], v[206:207]
	s_delay_alu instid0(VALU_DEP_1) | instskip(SKIP_1) | instid1(VALU_DEP_2)
	v_fma_f64 v[2:3], v[20:21], v[204:205], -v[2:3]
	v_mul_f64_e32 v[20:21], v[20:21], v[206:207]
	v_add_f64_e64 v[16:17], v[16:17], -v[2:3]
	s_delay_alu instid0(VALU_DEP_2) | instskip(NEXT) | instid1(VALU_DEP_1)
	v_fmac_f64_e32 v[20:21], v[22:23], v[204:205]
	v_add_f64_e64 v[18:19], v[18:19], -v[20:21]
.LBB78_260:                             ;   in Loop: Header=BB78_3 Depth=1
	s_or_b32 exec_lo, exec_lo, s35
	s_barrier_signal -1
	s_barrier_wait -1
	s_and_saveexec_b32 s35, s21
	;; [unrolled: 41-line block ×6, first 2 shown]
	s_cbranch_execz .LBB78_278
; %bb.277:                              ;   in Loop: Header=BB78_3 Depth=1
	ds_load_b128 v[20:23], v1
	s_wait_dscnt 0x0
	v_mul_f64_e32 v[2:3], v[18:19], v[22:23]
	v_mul_f64_e32 v[22:23], v[16:17], v[22:23]
	s_delay_alu instid0(VALU_DEP_1) | instskip(NEXT) | instid1(VALU_DEP_1)
	v_fmac_f64_e32 v[22:23], v[18:19], v[20:21]
	v_dual_fma_f64 v[2:3], v[16:17], v[20:21], -v[2:3] :: v_dual_mov_b32 v18, v22
	s_delay_alu instid0(VALU_DEP_1) | instskip(NEXT) | instid1(VALU_DEP_3)
	v_xor_b32_e32 v17, 0x80000000, v3
	v_xor_b32_e32 v19, 0x80000000, v23
	s_delay_alu instid0(VALU_DEP_3)
	v_mov_b32_e32 v16, v2
	ds_store_b128 v69, v[16:19]
	v_mov_b64_e32 v[16:17], v[2:3]
	v_mov_b64_e32 v[18:19], v[22:23]
.LBB78_278:                             ;   in Loop: Header=BB78_3 Depth=1
	s_or_b32 exec_lo, exec_lo, s35
	s_wait_dscnt 0x0
	s_barrier_signal -1
	s_barrier_wait -1
	s_barrier_signal -1
	s_barrier_wait -1
	s_and_saveexec_b32 s35, s4
; %bb.279:                              ;   in Loop: Header=BB78_3 Depth=1
	ds_store_b128 v72, v[16:19] offset:15872
; %bb.280:                              ;   in Loop: Header=BB78_3 Depth=1
	s_or_b32 exec_lo, exec_lo, s35
	s_wait_dscnt 0x0
	s_barrier_signal -1
	s_barrier_wait -1
	s_barrier_signal -1
	s_barrier_wait -1
	s_and_saveexec_b32 s35, s30
	s_cbranch_execz .LBB78_282
; %bb.281:                              ;   in Loop: Header=BB78_3 Depth=1
	ds_load_b128 v[16:19], v73
	s_wait_dscnt 0x0
	ds_store_b128 v159, v[16:19]
	ds_load_b128 v[16:19], v74
	s_wait_dscnt 0x0
	ds_store_b128 v160, v[16:19]
	;; [unrolled: 3-line block ×16, first 2 shown]
.LBB78_282:                             ;   in Loop: Header=BB78_3 Depth=1
	s_or_b32 exec_lo, exec_lo, s35
	s_wait_dscnt 0x0
	s_barrier_signal -1
	s_barrier_wait -1
	s_and_saveexec_b32 s35, s29
	s_cbranch_execz .LBB78_284
; %bb.283:                              ;   in Loop: Header=BB78_3 Depth=1
	ds_load_b128 v[16:19], v1 offset:7920
	ds_load_b128 v[20:23], v1 offset:7392
	s_wait_dscnt 0x0
	v_mul_f64_e32 v[2:3], v[18:19], v[22:23]
	v_mul_f64_e32 v[204:205], v[16:17], v[22:23]
	s_delay_alu instid0(VALU_DEP_2) | instskip(NEXT) | instid1(VALU_DEP_2)
	v_fma_f64 v[2:3], v[16:17], v[20:21], -v[2:3]
	v_fmac_f64_e32 v[204:205], v[18:19], v[20:21]
	ds_load_b128 v[16:19], v1 offset:7904
	s_wait_dscnt 0x0
	v_mul_f64_e32 v[22:23], v[2:3], v[18:19]
	v_mul_f64_e32 v[20:21], v[204:205], v[18:19]
	s_delay_alu instid0(VALU_DEP_2) | instskip(NEXT) | instid1(VALU_DEP_2)
	v_fmac_f64_e32 v[22:23], v[16:17], v[204:205]
	v_fma_f64 v[20:21], v[16:17], v[2:3], -v[20:21]
	ds_store_b128 v1, v[20:23] offset:7904
	ds_store_b128 v1, v[20:23] offset:7408
.LBB78_284:                             ;   in Loop: Header=BB78_3 Depth=1
	s_or_b32 exec_lo, exec_lo, s35
	v_mov_b64_e32 v[16:17], 0
	v_mov_b64_e32 v[18:19], 0
	s_wait_dscnt 0x0
	s_barrier_signal -1
	s_barrier_wait -1
	global_wb scope:SCOPE_DEV
	s_wait_storecnt 0x0
	global_inv scope:SCOPE_DEV
	s_and_saveexec_b32 s35, s0
	s_cbranch_execz .LBB78_288
; %bb.285:                              ;   in Loop: Header=BB78_3 Depth=1
	ds_load_b128 v[16:19], v47 offset:7904
	ds_load_b128 v[20:23], v46 offset:7360
	s_wait_dscnt 0x0
	v_mul_f64_e32 v[2:3], v[18:19], v[22:23]
	v_mul_f64_e32 v[22:23], v[16:17], v[22:23]
	s_delay_alu instid0(VALU_DEP_2) | instskip(NEXT) | instid1(VALU_DEP_2)
	v_fma_f64 v[2:3], v[16:17], v[20:21], -v[2:3]
	v_fmac_f64_e32 v[22:23], v[18:19], v[20:21]
	s_delay_alu instid0(VALU_DEP_2) | instskip(NEXT) | instid1(VALU_DEP_2)
	v_add_f64_e32 v[16:17], 0, v[2:3]
	v_add_f64_e32 v[18:19], 0, v[22:23]
	s_and_saveexec_b32 s40, s10
	s_cbranch_execz .LBB78_287
; %bb.286:                              ;   in Loop: Header=BB78_3 Depth=1
	ds_load_b128 v[20:23], v1 offset:7920
	ds_load_b128 v[204:207], v48 offset:7872
	s_wait_dscnt 0x0
	v_mul_f64_e32 v[2:3], v[22:23], v[206:207]
	s_delay_alu instid0(VALU_DEP_1) | instskip(SKIP_1) | instid1(VALU_DEP_2)
	v_fma_f64 v[2:3], v[20:21], v[204:205], -v[2:3]
	v_mul_f64_e32 v[20:21], v[20:21], v[206:207]
	v_add_f64_e32 v[16:17], v[16:17], v[2:3]
	s_delay_alu instid0(VALU_DEP_2) | instskip(NEXT) | instid1(VALU_DEP_1)
	v_fmac_f64_e32 v[20:21], v[22:23], v[204:205]
	v_add_f64_e32 v[18:19], v[18:19], v[20:21]
.LBB78_287:                             ;   in Loop: Header=BB78_3 Depth=1
	s_or_b32 exec_lo, exec_lo, s40
.LBB78_288:                             ;   in Loop: Header=BB78_3 Depth=1
	s_delay_alu instid0(SALU_CYCLE_1)
	s_or_b32 exec_lo, exec_lo, s35
	s_and_saveexec_b32 s35, s62
	s_cbranch_execz .LBB78_290
; %bb.289:                              ;   in Loop: Header=BB78_3 Depth=1
	ds_load_b128 v[20:23], v1 offset:6864
	s_wait_dscnt 0x0
	v_mul_f64_e32 v[2:3], v[18:19], v[22:23]
	v_mul_f64_e32 v[22:23], v[16:17], v[22:23]
	s_delay_alu instid0(VALU_DEP_1) | instskip(NEXT) | instid1(VALU_DEP_1)
	v_fmac_f64_e32 v[22:23], v[18:19], v[20:21]
	v_dual_fma_f64 v[2:3], v[16:17], v[20:21], -v[2:3] :: v_dual_mov_b32 v18, v22
	s_delay_alu instid0(VALU_DEP_1) | instskip(NEXT) | instid1(VALU_DEP_3)
	v_xor_b32_e32 v17, 0x80000000, v3
	v_xor_b32_e32 v19, 0x80000000, v23
	s_delay_alu instid0(VALU_DEP_3)
	v_mov_b32_e32 v16, v2
	ds_store_b128 v25, v[16:19]
	v_mov_b64_e32 v[16:17], v[2:3]
	v_mov_b64_e32 v[18:19], v[22:23]
.LBB78_290:                             ;   in Loop: Header=BB78_3 Depth=1
	s_or_b32 exec_lo, exec_lo, s35
	s_wait_loadcnt_dscnt 0x0
	s_barrier_signal -1
	s_barrier_wait -1
	s_and_saveexec_b32 s35, s63
	s_cbranch_execz .LBB78_292
; %bb.291:                              ;   in Loop: Header=BB78_3 Depth=1
	ds_load_b128 v[20:23], v25
	ds_load_b128 v[204:207], v1 offset:6848
	s_wait_dscnt 0x0
	v_mul_f64_e32 v[2:3], v[22:23], v[206:207]
	s_delay_alu instid0(VALU_DEP_1) | instskip(SKIP_1) | instid1(VALU_DEP_2)
	v_fma_f64 v[2:3], v[20:21], v[204:205], -v[2:3]
	v_mul_f64_e32 v[20:21], v[20:21], v[206:207]
	v_add_f64_e64 v[16:17], v[16:17], -v[2:3]
	s_delay_alu instid0(VALU_DEP_2) | instskip(NEXT) | instid1(VALU_DEP_1)
	v_fmac_f64_e32 v[20:21], v[22:23], v[204:205]
	v_add_f64_e64 v[18:19], v[18:19], -v[20:21]
.LBB78_292:                             ;   in Loop: Header=BB78_3 Depth=1
	s_or_b32 exec_lo, exec_lo, s35
	s_barrier_signal -1
	s_barrier_wait -1
	s_and_saveexec_b32 s35, s63
	s_cbranch_execz .LBB78_294
; %bb.293:                              ;   in Loop: Header=BB78_3 Depth=1
	ds_load_b128 v[20:23], v1 offset:6336
	s_wait_dscnt 0x0
	v_mul_f64_e32 v[2:3], v[18:19], v[22:23]
	v_mul_f64_e32 v[22:23], v[16:17], v[22:23]
	s_delay_alu instid0(VALU_DEP_1) | instskip(NEXT) | instid1(VALU_DEP_1)
	v_fmac_f64_e32 v[22:23], v[18:19], v[20:21]
	v_dual_fma_f64 v[2:3], v[16:17], v[20:21], -v[2:3] :: v_dual_mov_b32 v18, v22
	s_delay_alu instid0(VALU_DEP_1) | instskip(NEXT) | instid1(VALU_DEP_3)
	v_xor_b32_e32 v17, 0x80000000, v3
	v_xor_b32_e32 v19, 0x80000000, v23
	s_delay_alu instid0(VALU_DEP_3)
	v_mov_b32_e32 v16, v2
	ds_store_b128 v25, v[16:19]
	v_mov_b64_e32 v[16:17], v[2:3]
	v_mov_b64_e32 v[18:19], v[22:23]
.LBB78_294:                             ;   in Loop: Header=BB78_3 Depth=1
	s_or_b32 exec_lo, exec_lo, s35
	s_wait_dscnt 0x0
	s_barrier_signal -1
	s_barrier_wait -1
	s_barrier_signal -1
	s_barrier_wait -1
	s_and_saveexec_b32 s35, s0
; %bb.295:                              ;   in Loop: Header=BB78_3 Depth=1
	ds_store_b128 v49, v[16:19] offset:7872
; %bb.296:                              ;   in Loop: Header=BB78_3 Depth=1
	s_or_b32 exec_lo, exec_lo, s35
	s_wait_dscnt 0x0
	s_barrier_signal -1
	s_barrier_wait -1
	s_barrier_signal -1
	s_barrier_wait -1
	s_and_saveexec_b32 s35, s64
	s_cbranch_execz .LBB78_298
; %bb.297:                              ;   in Loop: Header=BB78_3 Depth=1
	ds_load_b128 v[16:19], v88
	s_wait_dscnt 0x0
	ds_store_b128 v175, v[16:19]
	ds_load_b128 v[16:19], v89
	s_wait_dscnt 0x0
	ds_store_b128 v176, v[16:19]
.LBB78_298:                             ;   in Loop: Header=BB78_3 Depth=1
	s_or_b32 exec_lo, exec_lo, s35
	s_wait_dscnt 0x0
	s_barrier_signal -1
	s_barrier_wait -1
	s_and_saveexec_b32 s35, s29
	s_cbranch_execz .LBB78_300
; %bb.299:                              ;   in Loop: Header=BB78_3 Depth=1
	ds_load_b128 v[16:19], v1 offset:6864
	ds_load_b128 v[20:23], v1 offset:6336
	s_wait_dscnt 0x0
	v_mul_f64_e32 v[2:3], v[18:19], v[22:23]
	v_mul_f64_e32 v[204:205], v[16:17], v[22:23]
	s_delay_alu instid0(VALU_DEP_2) | instskip(NEXT) | instid1(VALU_DEP_2)
	v_fma_f64 v[2:3], v[16:17], v[20:21], -v[2:3]
	v_fmac_f64_e32 v[204:205], v[18:19], v[20:21]
	ds_load_b128 v[16:19], v1 offset:6848
	s_wait_dscnt 0x0
	v_mul_f64_e32 v[22:23], v[2:3], v[18:19]
	v_mul_f64_e32 v[20:21], v[204:205], v[18:19]
	s_delay_alu instid0(VALU_DEP_2) | instskip(NEXT) | instid1(VALU_DEP_2)
	v_fmac_f64_e32 v[22:23], v[16:17], v[204:205]
	v_fma_f64 v[20:21], v[16:17], v[2:3], -v[20:21]
	ds_store_b128 v1, v[20:23] offset:6848
	ds_store_b128 v1, v[20:23] offset:6352
.LBB78_300:                             ;   in Loop: Header=BB78_3 Depth=1
	s_or_b32 exec_lo, exec_lo, s35
	v_mov_b64_e32 v[18:19], 0
	v_mov_b64_e32 v[16:17], 0
	s_wait_dscnt 0x0
	s_barrier_signal -1
	s_barrier_wait -1
	global_wb scope:SCOPE_DEV
	s_wait_storecnt 0x0
	global_inv scope:SCOPE_DEV
	s_and_saveexec_b32 s35, s2
	s_cbranch_execz .LBB78_306
; %bb.301:                              ;   in Loop: Header=BB78_3 Depth=1
	ds_load_b128 v[16:19], v55 offset:7872
	ds_load_b128 v[20:23], v54 offset:6272
	s_wait_dscnt 0x0
	v_mul_f64_e32 v[2:3], v[18:19], v[22:23]
	v_mul_f64_e32 v[22:23], v[16:17], v[22:23]
	s_delay_alu instid0(VALU_DEP_2) | instskip(NEXT) | instid1(VALU_DEP_2)
	v_fma_f64 v[2:3], v[16:17], v[20:21], -v[2:3]
	v_fmac_f64_e32 v[22:23], v[18:19], v[20:21]
	s_delay_alu instid0(VALU_DEP_2) | instskip(NEXT) | instid1(VALU_DEP_2)
	v_add_f64_e32 v[16:17], 0, v[2:3]
	v_add_f64_e32 v[18:19], 0, v[22:23]
	s_and_saveexec_b32 s40, s11
	s_cbranch_execnz .LBB78_564
; %bb.302:                              ;   in Loop: Header=BB78_3 Depth=1
	s_or_b32 exec_lo, exec_lo, s40
	s_and_saveexec_b32 s40, s12
	s_cbranch_execnz .LBB78_565
.LBB78_303:                             ;   in Loop: Header=BB78_3 Depth=1
	s_or_b32 exec_lo, exec_lo, s40
	s_and_saveexec_b32 s40, s0
	s_cbranch_execz .LBB78_305
.LBB78_304:                             ;   in Loop: Header=BB78_3 Depth=1
	ds_load_b128 v[20:23], v1 offset:7920
	ds_load_b128 v[204:207], v52 offset:7808
	s_wait_dscnt 0x0
	v_mul_f64_e32 v[2:3], v[22:23], v[206:207]
	s_delay_alu instid0(VALU_DEP_1) | instskip(SKIP_1) | instid1(VALU_DEP_2)
	v_fma_f64 v[2:3], v[20:21], v[204:205], -v[2:3]
	v_mul_f64_e32 v[20:21], v[20:21], v[206:207]
	v_add_f64_e32 v[16:17], v[16:17], v[2:3]
	s_delay_alu instid0(VALU_DEP_2) | instskip(NEXT) | instid1(VALU_DEP_1)
	v_fmac_f64_e32 v[20:21], v[22:23], v[204:205]
	v_add_f64_e32 v[18:19], v[18:19], v[20:21]
.LBB78_305:                             ;   in Loop: Header=BB78_3 Depth=1
	s_or_b32 exec_lo, exec_lo, s40
.LBB78_306:                             ;   in Loop: Header=BB78_3 Depth=1
	s_delay_alu instid0(SALU_CYCLE_1)
	s_or_b32 exec_lo, exec_lo, s35
	s_and_saveexec_b32 s35, s65
	s_cbranch_execz .LBB78_308
; %bb.307:                              ;   in Loop: Header=BB78_3 Depth=1
	ds_load_b128 v[20:23], v1 offset:5808
	s_wait_dscnt 0x0
	v_mul_f64_e32 v[2:3], v[18:19], v[22:23]
	v_mul_f64_e32 v[22:23], v[16:17], v[22:23]
	s_delay_alu instid0(VALU_DEP_1) | instskip(NEXT) | instid1(VALU_DEP_1)
	v_fmac_f64_e32 v[22:23], v[18:19], v[20:21]
	v_dual_fma_f64 v[2:3], v[16:17], v[20:21], -v[2:3] :: v_dual_mov_b32 v18, v22
	s_delay_alu instid0(VALU_DEP_1) | instskip(NEXT) | instid1(VALU_DEP_3)
	v_xor_b32_e32 v17, 0x80000000, v3
	v_xor_b32_e32 v19, 0x80000000, v23
	s_delay_alu instid0(VALU_DEP_3)
	v_mov_b32_e32 v16, v2
	ds_store_b128 v53, v[16:19]
	v_mov_b64_e32 v[16:17], v[2:3]
	v_mov_b64_e32 v[18:19], v[22:23]
.LBB78_308:                             ;   in Loop: Header=BB78_3 Depth=1
	s_or_b32 exec_lo, exec_lo, s35
	s_wait_loadcnt_dscnt 0x0
	s_barrier_signal -1
	s_barrier_wait -1
	s_and_saveexec_b32 s35, s66
	s_cbranch_execz .LBB78_310
; %bb.309:                              ;   in Loop: Header=BB78_3 Depth=1
	ds_load_b128 v[20:23], v53
	ds_load_b128 v[204:207], v54 offset:5760
	s_wait_dscnt 0x0
	v_mul_f64_e32 v[2:3], v[22:23], v[206:207]
	s_delay_alu instid0(VALU_DEP_1) | instskip(SKIP_1) | instid1(VALU_DEP_2)
	v_fma_f64 v[2:3], v[20:21], v[204:205], -v[2:3]
	v_mul_f64_e32 v[20:21], v[20:21], v[206:207]
	v_add_f64_e64 v[16:17], v[16:17], -v[2:3]
	s_delay_alu instid0(VALU_DEP_2) | instskip(NEXT) | instid1(VALU_DEP_1)
	v_fmac_f64_e32 v[20:21], v[22:23], v[204:205]
	v_add_f64_e64 v[18:19], v[18:19], -v[20:21]
.LBB78_310:                             ;   in Loop: Header=BB78_3 Depth=1
	s_or_b32 exec_lo, exec_lo, s35
	s_barrier_signal -1
	s_barrier_wait -1
	s_and_saveexec_b32 s35, s67
	s_cbranch_execz .LBB78_312
; %bb.311:                              ;   in Loop: Header=BB78_3 Depth=1
	ds_load_b128 v[20:23], v1 offset:5280
	s_wait_dscnt 0x0
	v_mul_f64_e32 v[2:3], v[18:19], v[22:23]
	v_mul_f64_e32 v[22:23], v[16:17], v[22:23]
	s_delay_alu instid0(VALU_DEP_1) | instskip(NEXT) | instid1(VALU_DEP_1)
	v_fmac_f64_e32 v[22:23], v[18:19], v[20:21]
	v_dual_fma_f64 v[2:3], v[16:17], v[20:21], -v[2:3] :: v_dual_mov_b32 v18, v22
	s_delay_alu instid0(VALU_DEP_1) | instskip(NEXT) | instid1(VALU_DEP_3)
	v_xor_b32_e32 v17, 0x80000000, v3
	v_xor_b32_e32 v19, 0x80000000, v23
	s_delay_alu instid0(VALU_DEP_3)
	v_mov_b32_e32 v16, v2
	ds_store_b128 v53, v[16:19]
	v_mov_b64_e32 v[16:17], v[2:3]
	v_mov_b64_e32 v[18:19], v[22:23]
.LBB78_312:                             ;   in Loop: Header=BB78_3 Depth=1
	s_or_b32 exec_lo, exec_lo, s35
	s_wait_dscnt 0x0
	s_barrier_signal -1
	s_barrier_wait -1
	s_and_saveexec_b32 s35, s68
	s_cbranch_execz .LBB78_314
; %bb.313:                              ;   in Loop: Header=BB78_3 Depth=1
	ds_load_b128 v[20:23], v53
	ds_load_b128 v[204:207], v54 offset:5248
	s_wait_dscnt 0x0
	v_mul_f64_e32 v[2:3], v[22:23], v[206:207]
	s_delay_alu instid0(VALU_DEP_1) | instskip(SKIP_1) | instid1(VALU_DEP_2)
	v_fma_f64 v[2:3], v[20:21], v[204:205], -v[2:3]
	v_mul_f64_e32 v[20:21], v[20:21], v[206:207]
	v_add_f64_e64 v[16:17], v[16:17], -v[2:3]
	s_delay_alu instid0(VALU_DEP_2) | instskip(NEXT) | instid1(VALU_DEP_1)
	v_fmac_f64_e32 v[20:21], v[22:23], v[204:205]
	v_add_f64_e64 v[18:19], v[18:19], -v[20:21]
.LBB78_314:                             ;   in Loop: Header=BB78_3 Depth=1
	s_or_b32 exec_lo, exec_lo, s35
	s_barrier_signal -1
	s_barrier_wait -1
	s_and_saveexec_b32 s35, s69
	s_cbranch_execz .LBB78_316
; %bb.315:                              ;   in Loop: Header=BB78_3 Depth=1
	ds_load_b128 v[20:23], v1 offset:4752
	s_wait_dscnt 0x0
	v_mul_f64_e32 v[2:3], v[18:19], v[22:23]
	v_mul_f64_e32 v[22:23], v[16:17], v[22:23]
	s_delay_alu instid0(VALU_DEP_1) | instskip(NEXT) | instid1(VALU_DEP_1)
	v_fmac_f64_e32 v[22:23], v[18:19], v[20:21]
	v_dual_fma_f64 v[2:3], v[16:17], v[20:21], -v[2:3] :: v_dual_mov_b32 v18, v22
	s_delay_alu instid0(VALU_DEP_1) | instskip(NEXT) | instid1(VALU_DEP_3)
	v_xor_b32_e32 v17, 0x80000000, v3
	v_xor_b32_e32 v19, 0x80000000, v23
	s_delay_alu instid0(VALU_DEP_3)
	v_mov_b32_e32 v16, v2
	ds_store_b128 v53, v[16:19]
	v_mov_b64_e32 v[16:17], v[2:3]
	v_mov_b64_e32 v[18:19], v[22:23]
.LBB78_316:                             ;   in Loop: Header=BB78_3 Depth=1
	s_or_b32 exec_lo, exec_lo, s35
	s_wait_dscnt 0x0
	;; [unrolled: 41-line block ×3, first 2 shown]
	s_barrier_signal -1
	s_barrier_wait -1
	s_barrier_signal -1
	s_barrier_wait -1
	s_and_saveexec_b32 s35, s2
; %bb.321:                              ;   in Loop: Header=BB78_3 Depth=1
	ds_store_b128 v56, v[16:19] offset:7808
; %bb.322:                              ;   in Loop: Header=BB78_3 Depth=1
	s_or_b32 exec_lo, exec_lo, s35
	s_wait_dscnt 0x0
	s_barrier_signal -1
	s_barrier_wait -1
	s_barrier_signal -1
	s_barrier_wait -1
	s_and_saveexec_b32 s35, s71
	s_cbranch_execz .LBB78_324
; %bb.323:                              ;   in Loop: Header=BB78_3 Depth=1
	ds_load_b128 v[16:19], v105
	s_wait_dscnt 0x0
	ds_store_b128 v177, v[16:19]
	ds_load_b128 v[16:19], v108
	s_wait_dscnt 0x0
	ds_store_b128 v180, v[16:19]
	ds_load_b128 v[16:19], v107
	s_wait_dscnt 0x0
	ds_store_b128 v179, v[16:19]
	ds_load_b128 v[16:19], v106
	s_wait_dscnt 0x0
	ds_store_b128 v178, v[16:19]
.LBB78_324:                             ;   in Loop: Header=BB78_3 Depth=1
	s_or_b32 exec_lo, exec_lo, s35
	s_wait_dscnt 0x0
	s_barrier_signal -1
	s_barrier_wait -1
	s_and_saveexec_b32 s35, s29
	s_cbranch_execz .LBB78_326
; %bb.325:                              ;   in Loop: Header=BB78_3 Depth=1
	ds_load_b128 v[16:19], v1 offset:5808
	ds_load_b128 v[20:23], v1 offset:5280
	s_wait_dscnt 0x0
	v_mul_f64_e32 v[2:3], v[18:19], v[22:23]
	v_mul_f64_e32 v[204:205], v[16:17], v[22:23]
	s_delay_alu instid0(VALU_DEP_2) | instskip(NEXT) | instid1(VALU_DEP_2)
	v_fma_f64 v[2:3], v[16:17], v[20:21], -v[2:3]
	v_fmac_f64_e32 v[204:205], v[18:19], v[20:21]
	ds_load_b128 v[16:19], v1 offset:5792
	s_wait_dscnt 0x0
	v_mul_f64_e32 v[22:23], v[2:3], v[18:19]
	v_mul_f64_e32 v[20:21], v[204:205], v[18:19]
	s_delay_alu instid0(VALU_DEP_2) | instskip(NEXT) | instid1(VALU_DEP_2)
	v_fmac_f64_e32 v[22:23], v[16:17], v[204:205]
	v_fma_f64 v[20:21], v[16:17], v[2:3], -v[20:21]
	ds_store_b128 v1, v[20:23] offset:5792
	ds_store_b128 v1, v[20:23] offset:5296
.LBB78_326:                             ;   in Loop: Header=BB78_3 Depth=1
	s_or_b32 exec_lo, exec_lo, s35
	v_mov_b64_e32 v[16:17], 0
	v_mov_b64_e32 v[18:19], 0
	s_wait_dscnt 0x0
	s_barrier_signal -1
	s_barrier_wait -1
	global_wb scope:SCOPE_DEV
	s_wait_storecnt 0x0
	global_inv scope:SCOPE_DEV
	s_and_saveexec_b32 s35, s0
	s_cbranch_execz .LBB78_330
; %bb.327:                              ;   in Loop: Header=BB78_3 Depth=1
	ds_load_b128 v[16:19], v47 offset:5792
	ds_load_b128 v[20:23], v46 offset:5248
	s_wait_dscnt 0x0
	v_mul_f64_e32 v[2:3], v[18:19], v[22:23]
	v_mul_f64_e32 v[22:23], v[16:17], v[22:23]
	s_delay_alu instid0(VALU_DEP_2) | instskip(NEXT) | instid1(VALU_DEP_2)
	v_fma_f64 v[2:3], v[16:17], v[20:21], -v[2:3]
	v_fmac_f64_e32 v[22:23], v[18:19], v[20:21]
	s_delay_alu instid0(VALU_DEP_2) | instskip(NEXT) | instid1(VALU_DEP_2)
	v_add_f64_e32 v[16:17], 0, v[2:3]
	v_add_f64_e32 v[18:19], 0, v[22:23]
	s_and_saveexec_b32 s40, s10
	s_cbranch_execz .LBB78_329
; %bb.328:                              ;   in Loop: Header=BB78_3 Depth=1
	ds_load_b128 v[20:23], v1 offset:5808
	ds_load_b128 v[204:207], v102 offset:5760
	s_wait_dscnt 0x0
	v_mul_f64_e32 v[2:3], v[22:23], v[206:207]
	s_delay_alu instid0(VALU_DEP_1) | instskip(SKIP_1) | instid1(VALU_DEP_2)
	v_fma_f64 v[2:3], v[20:21], v[204:205], -v[2:3]
	v_mul_f64_e32 v[20:21], v[20:21], v[206:207]
	v_add_f64_e32 v[16:17], v[16:17], v[2:3]
	s_delay_alu instid0(VALU_DEP_2) | instskip(NEXT) | instid1(VALU_DEP_1)
	v_fmac_f64_e32 v[20:21], v[22:23], v[204:205]
	v_add_f64_e32 v[18:19], v[18:19], v[20:21]
.LBB78_329:                             ;   in Loop: Header=BB78_3 Depth=1
	s_or_b32 exec_lo, exec_lo, s40
.LBB78_330:                             ;   in Loop: Header=BB78_3 Depth=1
	s_delay_alu instid0(SALU_CYCLE_1)
	s_or_b32 exec_lo, exec_lo, s35
	s_and_saveexec_b32 s35, s62
	s_cbranch_execz .LBB78_332
; %bb.331:                              ;   in Loop: Header=BB78_3 Depth=1
	ds_load_b128 v[20:23], v1 offset:4752
	s_wait_dscnt 0x0
	v_mul_f64_e32 v[2:3], v[18:19], v[22:23]
	v_mul_f64_e32 v[22:23], v[16:17], v[22:23]
	s_delay_alu instid0(VALU_DEP_1) | instskip(NEXT) | instid1(VALU_DEP_1)
	v_fmac_f64_e32 v[22:23], v[18:19], v[20:21]
	v_dual_fma_f64 v[2:3], v[16:17], v[20:21], -v[2:3] :: v_dual_mov_b32 v18, v22
	s_delay_alu instid0(VALU_DEP_1) | instskip(NEXT) | instid1(VALU_DEP_3)
	v_xor_b32_e32 v17, 0x80000000, v3
	v_xor_b32_e32 v19, 0x80000000, v23
	s_delay_alu instid0(VALU_DEP_3)
	v_mov_b32_e32 v16, v2
	ds_store_b128 v25, v[16:19]
	v_mov_b64_e32 v[16:17], v[2:3]
	v_mov_b64_e32 v[18:19], v[22:23]
.LBB78_332:                             ;   in Loop: Header=BB78_3 Depth=1
	s_or_b32 exec_lo, exec_lo, s35
	s_wait_loadcnt_dscnt 0x0
	s_barrier_signal -1
	s_barrier_wait -1
	s_and_saveexec_b32 s35, s63
	s_cbranch_execz .LBB78_334
; %bb.333:                              ;   in Loop: Header=BB78_3 Depth=1
	ds_load_b128 v[20:23], v25
	ds_load_b128 v[204:207], v1 offset:4736
	s_wait_dscnt 0x0
	v_mul_f64_e32 v[2:3], v[22:23], v[206:207]
	s_delay_alu instid0(VALU_DEP_1) | instskip(SKIP_1) | instid1(VALU_DEP_2)
	v_fma_f64 v[2:3], v[20:21], v[204:205], -v[2:3]
	v_mul_f64_e32 v[20:21], v[20:21], v[206:207]
	v_add_f64_e64 v[16:17], v[16:17], -v[2:3]
	s_delay_alu instid0(VALU_DEP_2) | instskip(NEXT) | instid1(VALU_DEP_1)
	v_fmac_f64_e32 v[20:21], v[22:23], v[204:205]
	v_add_f64_e64 v[18:19], v[18:19], -v[20:21]
.LBB78_334:                             ;   in Loop: Header=BB78_3 Depth=1
	s_or_b32 exec_lo, exec_lo, s35
	s_barrier_signal -1
	s_barrier_wait -1
	s_and_saveexec_b32 s35, s63
	s_cbranch_execz .LBB78_336
; %bb.335:                              ;   in Loop: Header=BB78_3 Depth=1
	ds_load_b128 v[20:23], v1 offset:4224
	s_wait_dscnt 0x0
	v_mul_f64_e32 v[2:3], v[18:19], v[22:23]
	v_mul_f64_e32 v[22:23], v[16:17], v[22:23]
	s_delay_alu instid0(VALU_DEP_1) | instskip(NEXT) | instid1(VALU_DEP_1)
	v_fmac_f64_e32 v[22:23], v[18:19], v[20:21]
	v_dual_fma_f64 v[2:3], v[16:17], v[20:21], -v[2:3] :: v_dual_mov_b32 v18, v22
	s_delay_alu instid0(VALU_DEP_1) | instskip(NEXT) | instid1(VALU_DEP_3)
	v_xor_b32_e32 v17, 0x80000000, v3
	v_xor_b32_e32 v19, 0x80000000, v23
	s_delay_alu instid0(VALU_DEP_3)
	v_mov_b32_e32 v16, v2
	ds_store_b128 v25, v[16:19]
	v_mov_b64_e32 v[16:17], v[2:3]
	v_mov_b64_e32 v[18:19], v[22:23]
.LBB78_336:                             ;   in Loop: Header=BB78_3 Depth=1
	s_or_b32 exec_lo, exec_lo, s35
	s_wait_dscnt 0x0
	s_barrier_signal -1
	s_barrier_wait -1
	s_barrier_signal -1
	s_barrier_wait -1
	s_and_saveexec_b32 s35, s0
; %bb.337:                              ;   in Loop: Header=BB78_3 Depth=1
	ds_store_b128 v49, v[16:19] offset:5760
; %bb.338:                              ;   in Loop: Header=BB78_3 Depth=1
	s_or_b32 exec_lo, exec_lo, s35
	s_wait_dscnt 0x0
	s_barrier_signal -1
	s_barrier_wait -1
	s_barrier_signal -1
	s_barrier_wait -1
	s_and_saveexec_b32 s35, s64
	s_cbranch_execz .LBB78_340
; %bb.339:                              ;   in Loop: Header=BB78_3 Depth=1
	ds_load_b128 v[16:19], v118
	s_wait_dscnt 0x0
	ds_store_b128 v181, v[16:19]
	ds_load_b128 v[16:19], v119
	s_wait_dscnt 0x0
	ds_store_b128 v182, v[16:19]
.LBB78_340:                             ;   in Loop: Header=BB78_3 Depth=1
	s_or_b32 exec_lo, exec_lo, s35
	s_wait_dscnt 0x0
	s_barrier_signal -1
	s_barrier_wait -1
	s_and_saveexec_b32 s35, s29
	s_cbranch_execz .LBB78_342
; %bb.341:                              ;   in Loop: Header=BB78_3 Depth=1
	ds_load_b128 v[16:19], v1 offset:4752
	ds_load_b128 v[20:23], v1 offset:4224
	s_wait_dscnt 0x0
	v_mul_f64_e32 v[2:3], v[18:19], v[22:23]
	v_mul_f64_e32 v[204:205], v[16:17], v[22:23]
	s_delay_alu instid0(VALU_DEP_2) | instskip(NEXT) | instid1(VALU_DEP_2)
	v_fma_f64 v[2:3], v[16:17], v[20:21], -v[2:3]
	v_fmac_f64_e32 v[204:205], v[18:19], v[20:21]
	ds_load_b128 v[16:19], v1 offset:4736
	s_wait_dscnt 0x0
	v_mul_f64_e32 v[22:23], v[2:3], v[18:19]
	v_mul_f64_e32 v[20:21], v[204:205], v[18:19]
	s_delay_alu instid0(VALU_DEP_2) | instskip(NEXT) | instid1(VALU_DEP_2)
	v_fmac_f64_e32 v[22:23], v[16:17], v[204:205]
	v_fma_f64 v[20:21], v[16:17], v[2:3], -v[20:21]
	ds_store_b128 v1, v[20:23] offset:4736
	ds_store_b128 v1, v[20:23] offset:4240
.LBB78_342:                             ;   in Loop: Header=BB78_3 Depth=1
	s_or_b32 exec_lo, exec_lo, s35
	v_mov_b64_e32 v[18:19], 0
	v_mov_b64_e32 v[16:17], 0
	s_wait_dscnt 0x0
	s_barrier_signal -1
	s_barrier_wait -1
	global_wb scope:SCOPE_DEV
	s_wait_storecnt 0x0
	global_inv scope:SCOPE_DEV
	s_and_saveexec_b32 s35, s3
	s_cbranch_execz .LBB78_352
; %bb.343:                              ;   in Loop: Header=BB78_3 Depth=1
	ds_load_b128 v[16:19], v59 offset:7808
	ds_load_b128 v[20:23], v58 offset:4096
	s_wait_dscnt 0x0
	v_mul_f64_e32 v[2:3], v[18:19], v[22:23]
	v_mul_f64_e32 v[22:23], v[16:17], v[22:23]
	s_delay_alu instid0(VALU_DEP_2) | instskip(NEXT) | instid1(VALU_DEP_2)
	v_fma_f64 v[2:3], v[16:17], v[20:21], -v[2:3]
	v_fmac_f64_e32 v[22:23], v[18:19], v[20:21]
	s_delay_alu instid0(VALU_DEP_2) | instskip(NEXT) | instid1(VALU_DEP_2)
	v_add_f64_e32 v[16:17], 0, v[2:3]
	v_add_f64_e32 v[18:19], 0, v[22:23]
	s_and_saveexec_b32 s40, s13
	s_cbranch_execnz .LBB78_566
; %bb.344:                              ;   in Loop: Header=BB78_3 Depth=1
	s_or_b32 exec_lo, exec_lo, s40
	s_and_saveexec_b32 s40, s14
	s_cbranch_execnz .LBB78_567
.LBB78_345:                             ;   in Loop: Header=BB78_3 Depth=1
	s_or_b32 exec_lo, exec_lo, s40
	s_and_saveexec_b32 s40, s15
	s_cbranch_execnz .LBB78_568
.LBB78_346:                             ;   in Loop: Header=BB78_3 Depth=1
	s_or_b32 exec_lo, exec_lo, s40
	s_and_saveexec_b32 s40, s16
	s_cbranch_execnz .LBB78_569
.LBB78_347:                             ;   in Loop: Header=BB78_3 Depth=1
	s_or_b32 exec_lo, exec_lo, s40
	s_and_saveexec_b32 s40, s17
	s_cbranch_execnz .LBB78_570
.LBB78_348:                             ;   in Loop: Header=BB78_3 Depth=1
	s_or_b32 exec_lo, exec_lo, s40
	s_and_saveexec_b32 s40, s2
	s_cbranch_execnz .LBB78_571
.LBB78_349:                             ;   in Loop: Header=BB78_3 Depth=1
	s_or_b32 exec_lo, exec_lo, s40
	s_and_saveexec_b32 s40, s12
	s_cbranch_execz .LBB78_351
.LBB78_350:                             ;   in Loop: Header=BB78_3 Depth=1
	ds_load_b128 v[20:23], v1 offset:7920
	ds_load_b128 v[204:207], v48 offset:7680
	s_wait_dscnt 0x0
	v_mul_f64_e32 v[2:3], v[22:23], v[206:207]
	s_delay_alu instid0(VALU_DEP_1) | instskip(SKIP_1) | instid1(VALU_DEP_2)
	v_fma_f64 v[2:3], v[20:21], v[204:205], -v[2:3]
	v_mul_f64_e32 v[20:21], v[20:21], v[206:207]
	v_add_f64_e32 v[16:17], v[16:17], v[2:3]
	s_delay_alu instid0(VALU_DEP_2) | instskip(NEXT) | instid1(VALU_DEP_1)
	v_fmac_f64_e32 v[20:21], v[22:23], v[204:205]
	v_add_f64_e32 v[18:19], v[18:19], v[20:21]
.LBB78_351:                             ;   in Loop: Header=BB78_3 Depth=1
	s_or_b32 exec_lo, exec_lo, s40
.LBB78_352:                             ;   in Loop: Header=BB78_3 Depth=1
	s_delay_alu instid0(SALU_CYCLE_1)
	s_or_b32 exec_lo, exec_lo, s35
	s_and_saveexec_b32 s35, s72
	s_cbranch_execz .LBB78_354
; %bb.353:                              ;   in Loop: Header=BB78_3 Depth=1
	ds_load_b128 v[20:23], v1 offset:3696
	s_wait_dscnt 0x0
	v_mul_f64_e32 v[2:3], v[18:19], v[22:23]
	v_mul_f64_e32 v[22:23], v[16:17], v[22:23]
	s_delay_alu instid0(VALU_DEP_1) | instskip(NEXT) | instid1(VALU_DEP_1)
	v_fmac_f64_e32 v[22:23], v[18:19], v[20:21]
	v_dual_fma_f64 v[2:3], v[16:17], v[20:21], -v[2:3] :: v_dual_mov_b32 v18, v22
	s_delay_alu instid0(VALU_DEP_1) | instskip(NEXT) | instid1(VALU_DEP_3)
	v_xor_b32_e32 v17, 0x80000000, v3
	v_xor_b32_e32 v19, 0x80000000, v23
	s_delay_alu instid0(VALU_DEP_3)
	v_mov_b32_e32 v16, v2
	ds_store_b128 v57, v[16:19]
	v_mov_b64_e32 v[16:17], v[2:3]
	v_mov_b64_e32 v[18:19], v[22:23]
.LBB78_354:                             ;   in Loop: Header=BB78_3 Depth=1
	s_or_b32 exec_lo, exec_lo, s35
	s_wait_loadcnt_dscnt 0x0
	s_barrier_signal -1
	s_barrier_wait -1
	s_and_saveexec_b32 s35, s73
	s_cbranch_execz .LBB78_356
; %bb.355:                              ;   in Loop: Header=BB78_3 Depth=1
	ds_load_b128 v[20:23], v57
	ds_load_b128 v[204:207], v58 offset:3584
	s_wait_dscnt 0x0
	v_mul_f64_e32 v[2:3], v[22:23], v[206:207]
	s_delay_alu instid0(VALU_DEP_1) | instskip(SKIP_1) | instid1(VALU_DEP_2)
	v_fma_f64 v[2:3], v[20:21], v[204:205], -v[2:3]
	v_mul_f64_e32 v[20:21], v[20:21], v[206:207]
	v_add_f64_e64 v[16:17], v[16:17], -v[2:3]
	s_delay_alu instid0(VALU_DEP_2) | instskip(NEXT) | instid1(VALU_DEP_1)
	v_fmac_f64_e32 v[20:21], v[22:23], v[204:205]
	v_add_f64_e64 v[18:19], v[18:19], -v[20:21]
.LBB78_356:                             ;   in Loop: Header=BB78_3 Depth=1
	s_or_b32 exec_lo, exec_lo, s35
	s_barrier_signal -1
	s_barrier_wait -1
	s_and_saveexec_b32 s35, s74
	s_cbranch_execz .LBB78_358
; %bb.357:                              ;   in Loop: Header=BB78_3 Depth=1
	ds_load_b128 v[20:23], v1 offset:3168
	s_wait_dscnt 0x0
	v_mul_f64_e32 v[2:3], v[18:19], v[22:23]
	v_mul_f64_e32 v[22:23], v[16:17], v[22:23]
	s_delay_alu instid0(VALU_DEP_1) | instskip(NEXT) | instid1(VALU_DEP_1)
	v_fmac_f64_e32 v[22:23], v[18:19], v[20:21]
	v_dual_fma_f64 v[2:3], v[16:17], v[20:21], -v[2:3] :: v_dual_mov_b32 v18, v22
	s_delay_alu instid0(VALU_DEP_1) | instskip(NEXT) | instid1(VALU_DEP_3)
	v_xor_b32_e32 v17, 0x80000000, v3
	v_xor_b32_e32 v19, 0x80000000, v23
	s_delay_alu instid0(VALU_DEP_3)
	v_mov_b32_e32 v16, v2
	ds_store_b128 v57, v[16:19]
	v_mov_b64_e32 v[16:17], v[2:3]
	v_mov_b64_e32 v[18:19], v[22:23]
.LBB78_358:                             ;   in Loop: Header=BB78_3 Depth=1
	s_or_b32 exec_lo, exec_lo, s35
	s_wait_dscnt 0x0
	s_barrier_signal -1
	s_barrier_wait -1
	s_and_saveexec_b32 s35, s75
	s_cbranch_execz .LBB78_360
; %bb.359:                              ;   in Loop: Header=BB78_3 Depth=1
	ds_load_b128 v[20:23], v57
	ds_load_b128 v[204:207], v58 offset:3072
	s_wait_dscnt 0x0
	v_mul_f64_e32 v[2:3], v[22:23], v[206:207]
	s_delay_alu instid0(VALU_DEP_1) | instskip(SKIP_1) | instid1(VALU_DEP_2)
	v_fma_f64 v[2:3], v[20:21], v[204:205], -v[2:3]
	v_mul_f64_e32 v[20:21], v[20:21], v[206:207]
	v_add_f64_e64 v[16:17], v[16:17], -v[2:3]
	s_delay_alu instid0(VALU_DEP_2) | instskip(NEXT) | instid1(VALU_DEP_1)
	v_fmac_f64_e32 v[20:21], v[22:23], v[204:205]
	v_add_f64_e64 v[18:19], v[18:19], -v[20:21]
.LBB78_360:                             ;   in Loop: Header=BB78_3 Depth=1
	s_or_b32 exec_lo, exec_lo, s35
	s_barrier_signal -1
	s_barrier_wait -1
	s_and_saveexec_b32 s35, s76
	s_cbranch_execz .LBB78_362
; %bb.361:                              ;   in Loop: Header=BB78_3 Depth=1
	ds_load_b128 v[20:23], v1 offset:2640
	s_wait_dscnt 0x0
	v_mul_f64_e32 v[2:3], v[18:19], v[22:23]
	v_mul_f64_e32 v[22:23], v[16:17], v[22:23]
	s_delay_alu instid0(VALU_DEP_1) | instskip(NEXT) | instid1(VALU_DEP_1)
	v_fmac_f64_e32 v[22:23], v[18:19], v[20:21]
	v_dual_fma_f64 v[2:3], v[16:17], v[20:21], -v[2:3] :: v_dual_mov_b32 v18, v22
	s_delay_alu instid0(VALU_DEP_1) | instskip(NEXT) | instid1(VALU_DEP_3)
	v_xor_b32_e32 v17, 0x80000000, v3
	v_xor_b32_e32 v19, 0x80000000, v23
	s_delay_alu instid0(VALU_DEP_3)
	v_mov_b32_e32 v16, v2
	ds_store_b128 v57, v[16:19]
	v_mov_b64_e32 v[16:17], v[2:3]
	v_mov_b64_e32 v[18:19], v[22:23]
.LBB78_362:                             ;   in Loop: Header=BB78_3 Depth=1
	s_or_b32 exec_lo, exec_lo, s35
	s_wait_dscnt 0x0
	s_barrier_signal -1
	s_barrier_wait -1
	s_and_saveexec_b32 s35, s77
	s_cbranch_execz .LBB78_364
; %bb.363:                              ;   in Loop: Header=BB78_3 Depth=1
	ds_load_b128 v[20:23], v57
	ds_load_b128 v[204:207], v58 offset:2560
	s_wait_dscnt 0x0
	v_mul_f64_e32 v[2:3], v[22:23], v[206:207]
	s_delay_alu instid0(VALU_DEP_1) | instskip(SKIP_1) | instid1(VALU_DEP_2)
	v_fma_f64 v[2:3], v[20:21], v[204:205], -v[2:3]
	v_mul_f64_e32 v[20:21], v[20:21], v[206:207]
	v_add_f64_e64 v[16:17], v[16:17], -v[2:3]
	s_delay_alu instid0(VALU_DEP_2) | instskip(NEXT) | instid1(VALU_DEP_1)
	v_fmac_f64_e32 v[20:21], v[22:23], v[204:205]
	v_add_f64_e64 v[18:19], v[18:19], -v[20:21]
.LBB78_364:                             ;   in Loop: Header=BB78_3 Depth=1
	s_or_b32 exec_lo, exec_lo, s35
	s_barrier_signal -1
	s_barrier_wait -1
	s_and_saveexec_b32 s35, s78
	s_cbranch_execz .LBB78_366
; %bb.365:                              ;   in Loop: Header=BB78_3 Depth=1
	ds_load_b128 v[20:23], v1 offset:2112
	s_wait_dscnt 0x0
	v_mul_f64_e32 v[2:3], v[18:19], v[22:23]
	v_mul_f64_e32 v[22:23], v[16:17], v[22:23]
	s_delay_alu instid0(VALU_DEP_1) | instskip(NEXT) | instid1(VALU_DEP_1)
	v_fmac_f64_e32 v[22:23], v[18:19], v[20:21]
	v_dual_fma_f64 v[2:3], v[16:17], v[20:21], -v[2:3] :: v_dual_mov_b32 v18, v22
	s_delay_alu instid0(VALU_DEP_1) | instskip(NEXT) | instid1(VALU_DEP_3)
	v_xor_b32_e32 v17, 0x80000000, v3
	v_xor_b32_e32 v19, 0x80000000, v23
	s_delay_alu instid0(VALU_DEP_3)
	v_mov_b32_e32 v16, v2
	ds_store_b128 v57, v[16:19]
	v_mov_b64_e32 v[16:17], v[2:3]
	v_mov_b64_e32 v[18:19], v[22:23]
.LBB78_366:                             ;   in Loop: Header=BB78_3 Depth=1
	s_or_b32 exec_lo, exec_lo, s35
	s_wait_dscnt 0x0
	s_barrier_signal -1
	s_barrier_wait -1
	s_and_saveexec_b32 s35, s79
	s_cbranch_execz .LBB78_368
; %bb.367:                              ;   in Loop: Header=BB78_3 Depth=1
	ds_load_b128 v[20:23], v57
	ds_load_b128 v[204:207], v58 offset:2048
	s_wait_dscnt 0x0
	v_mul_f64_e32 v[2:3], v[22:23], v[206:207]
	s_delay_alu instid0(VALU_DEP_1) | instskip(SKIP_1) | instid1(VALU_DEP_2)
	v_fma_f64 v[2:3], v[20:21], v[204:205], -v[2:3]
	v_mul_f64_e32 v[20:21], v[20:21], v[206:207]
	v_add_f64_e64 v[16:17], v[16:17], -v[2:3]
	s_delay_alu instid0(VALU_DEP_2) | instskip(NEXT) | instid1(VALU_DEP_1)
	v_fmac_f64_e32 v[20:21], v[22:23], v[204:205]
	v_add_f64_e64 v[18:19], v[18:19], -v[20:21]
.LBB78_368:                             ;   in Loop: Header=BB78_3 Depth=1
	s_or_b32 exec_lo, exec_lo, s35
	s_barrier_signal -1
	s_barrier_wait -1
	s_and_saveexec_b32 s35, s80
	s_cbranch_execz .LBB78_370
; %bb.369:                              ;   in Loop: Header=BB78_3 Depth=1
	ds_load_b128 v[20:23], v1 offset:1584
	s_wait_dscnt 0x0
	v_mul_f64_e32 v[2:3], v[18:19], v[22:23]
	v_mul_f64_e32 v[22:23], v[16:17], v[22:23]
	s_delay_alu instid0(VALU_DEP_1) | instskip(NEXT) | instid1(VALU_DEP_1)
	v_fmac_f64_e32 v[22:23], v[18:19], v[20:21]
	v_dual_fma_f64 v[2:3], v[16:17], v[20:21], -v[2:3] :: v_dual_mov_b32 v18, v22
	s_delay_alu instid0(VALU_DEP_1) | instskip(NEXT) | instid1(VALU_DEP_3)
	v_xor_b32_e32 v17, 0x80000000, v3
	v_xor_b32_e32 v19, 0x80000000, v23
	s_delay_alu instid0(VALU_DEP_3)
	v_mov_b32_e32 v16, v2
	ds_store_b128 v57, v[16:19]
	v_mov_b64_e32 v[16:17], v[2:3]
	v_mov_b64_e32 v[18:19], v[22:23]
.LBB78_370:                             ;   in Loop: Header=BB78_3 Depth=1
	s_or_b32 exec_lo, exec_lo, s35
	s_wait_dscnt 0x0
	s_barrier_signal -1
	s_barrier_wait -1
	s_and_saveexec_b32 s35, s81
	s_cbranch_execz .LBB78_372
; %bb.371:                              ;   in Loop: Header=BB78_3 Depth=1
	ds_load_b128 v[20:23], v57
	ds_load_b128 v[204:207], v58 offset:1536
	s_wait_dscnt 0x0
	v_mul_f64_e32 v[2:3], v[22:23], v[206:207]
	s_delay_alu instid0(VALU_DEP_1) | instskip(SKIP_1) | instid1(VALU_DEP_2)
	v_fma_f64 v[2:3], v[20:21], v[204:205], -v[2:3]
	v_mul_f64_e32 v[20:21], v[20:21], v[206:207]
	v_add_f64_e64 v[16:17], v[16:17], -v[2:3]
	s_delay_alu instid0(VALU_DEP_2) | instskip(NEXT) | instid1(VALU_DEP_1)
	v_fmac_f64_e32 v[20:21], v[22:23], v[204:205]
	v_add_f64_e64 v[18:19], v[18:19], -v[20:21]
.LBB78_372:                             ;   in Loop: Header=BB78_3 Depth=1
	s_or_b32 exec_lo, exec_lo, s35
	s_barrier_signal -1
	s_barrier_wait -1
	s_and_saveexec_b32 s35, s82
	s_cbranch_execz .LBB78_374
; %bb.373:                              ;   in Loop: Header=BB78_3 Depth=1
	ds_load_b128 v[20:23], v1 offset:1056
	s_wait_dscnt 0x0
	v_mul_f64_e32 v[2:3], v[18:19], v[22:23]
	v_mul_f64_e32 v[22:23], v[16:17], v[22:23]
	s_delay_alu instid0(VALU_DEP_1) | instskip(NEXT) | instid1(VALU_DEP_1)
	v_fmac_f64_e32 v[22:23], v[18:19], v[20:21]
	v_dual_fma_f64 v[2:3], v[16:17], v[20:21], -v[2:3] :: v_dual_mov_b32 v18, v22
	s_delay_alu instid0(VALU_DEP_1) | instskip(NEXT) | instid1(VALU_DEP_3)
	v_xor_b32_e32 v17, 0x80000000, v3
	v_xor_b32_e32 v19, 0x80000000, v23
	s_delay_alu instid0(VALU_DEP_3)
	v_mov_b32_e32 v16, v2
	ds_store_b128 v57, v[16:19]
	v_mov_b64_e32 v[16:17], v[2:3]
	v_mov_b64_e32 v[18:19], v[22:23]
.LBB78_374:                             ;   in Loop: Header=BB78_3 Depth=1
	s_or_b32 exec_lo, exec_lo, s35
	s_wait_dscnt 0x0
	s_barrier_signal -1
	s_barrier_wait -1
	s_and_saveexec_b32 s35, s83
	s_cbranch_execz .LBB78_376
; %bb.375:                              ;   in Loop: Header=BB78_3 Depth=1
	ds_load_b128 v[20:23], v57
	ds_load_b128 v[204:207], v58 offset:1024
	s_wait_dscnt 0x0
	v_mul_f64_e32 v[2:3], v[22:23], v[206:207]
	s_delay_alu instid0(VALU_DEP_1) | instskip(SKIP_1) | instid1(VALU_DEP_2)
	v_fma_f64 v[2:3], v[20:21], v[204:205], -v[2:3]
	v_mul_f64_e32 v[20:21], v[20:21], v[206:207]
	v_add_f64_e64 v[16:17], v[16:17], -v[2:3]
	s_delay_alu instid0(VALU_DEP_2) | instskip(NEXT) | instid1(VALU_DEP_1)
	v_fmac_f64_e32 v[20:21], v[22:23], v[204:205]
	v_add_f64_e64 v[18:19], v[18:19], -v[20:21]
.LBB78_376:                             ;   in Loop: Header=BB78_3 Depth=1
	s_or_b32 exec_lo, exec_lo, s35
	s_barrier_signal -1
	s_barrier_wait -1
	s_and_saveexec_b32 s35, s84
	s_cbranch_execz .LBB78_378
; %bb.377:                              ;   in Loop: Header=BB78_3 Depth=1
	ds_load_b128 v[20:23], v1 offset:528
	s_wait_dscnt 0x0
	v_mul_f64_e32 v[2:3], v[18:19], v[22:23]
	v_mul_f64_e32 v[22:23], v[16:17], v[22:23]
	s_delay_alu instid0(VALU_DEP_1) | instskip(NEXT) | instid1(VALU_DEP_1)
	v_fmac_f64_e32 v[22:23], v[18:19], v[20:21]
	v_dual_fma_f64 v[2:3], v[16:17], v[20:21], -v[2:3] :: v_dual_mov_b32 v18, v22
	s_delay_alu instid0(VALU_DEP_1) | instskip(NEXT) | instid1(VALU_DEP_3)
	v_xor_b32_e32 v17, 0x80000000, v3
	v_xor_b32_e32 v19, 0x80000000, v23
	s_delay_alu instid0(VALU_DEP_3)
	v_mov_b32_e32 v16, v2
	ds_store_b128 v57, v[16:19]
	v_mov_b64_e32 v[16:17], v[2:3]
	v_mov_b64_e32 v[18:19], v[22:23]
.LBB78_378:                             ;   in Loop: Header=BB78_3 Depth=1
	s_or_b32 exec_lo, exec_lo, s35
	s_wait_dscnt 0x0
	s_barrier_signal -1
	s_barrier_wait -1
	s_and_saveexec_b32 s35, s85
	s_cbranch_execz .LBB78_380
; %bb.379:                              ;   in Loop: Header=BB78_3 Depth=1
	ds_load_b128 v[20:23], v57
	ds_load_b128 v[204:207], v1 offset:512
	s_wait_dscnt 0x0
	v_mul_f64_e32 v[2:3], v[22:23], v[206:207]
	s_delay_alu instid0(VALU_DEP_1) | instskip(SKIP_1) | instid1(VALU_DEP_2)
	v_fma_f64 v[2:3], v[20:21], v[204:205], -v[2:3]
	v_mul_f64_e32 v[20:21], v[20:21], v[206:207]
	v_add_f64_e64 v[16:17], v[16:17], -v[2:3]
	s_delay_alu instid0(VALU_DEP_2) | instskip(NEXT) | instid1(VALU_DEP_1)
	v_fmac_f64_e32 v[20:21], v[22:23], v[204:205]
	v_add_f64_e64 v[18:19], v[18:19], -v[20:21]
.LBB78_380:                             ;   in Loop: Header=BB78_3 Depth=1
	s_or_b32 exec_lo, exec_lo, s35
	s_barrier_signal -1
	s_barrier_wait -1
	s_and_saveexec_b32 s35, s85
	s_cbranch_execz .LBB78_382
; %bb.381:                              ;   in Loop: Header=BB78_3 Depth=1
	ds_load_b128 v[20:23], v1
	s_wait_dscnt 0x0
	v_mul_f64_e32 v[2:3], v[18:19], v[22:23]
	v_mul_f64_e32 v[22:23], v[16:17], v[22:23]
	s_delay_alu instid0(VALU_DEP_1) | instskip(NEXT) | instid1(VALU_DEP_1)
	v_fmac_f64_e32 v[22:23], v[18:19], v[20:21]
	v_dual_fma_f64 v[2:3], v[16:17], v[20:21], -v[2:3] :: v_dual_mov_b32 v18, v22
	s_delay_alu instid0(VALU_DEP_1) | instskip(NEXT) | instid1(VALU_DEP_3)
	v_xor_b32_e32 v17, 0x80000000, v3
	v_xor_b32_e32 v19, 0x80000000, v23
	s_delay_alu instid0(VALU_DEP_3)
	v_mov_b32_e32 v16, v2
	ds_store_b128 v57, v[16:19]
	v_mov_b64_e32 v[16:17], v[2:3]
	v_mov_b64_e32 v[18:19], v[22:23]
.LBB78_382:                             ;   in Loop: Header=BB78_3 Depth=1
	s_or_b32 exec_lo, exec_lo, s35
	s_wait_dscnt 0x0
	s_barrier_signal -1
	s_barrier_wait -1
	s_barrier_signal -1
	s_barrier_wait -1
	s_and_saveexec_b32 s35, s3
; %bb.383:                              ;   in Loop: Header=BB78_3 Depth=1
	ds_store_b128 v60, v[16:19] offset:7680
; %bb.384:                              ;   in Loop: Header=BB78_3 Depth=1
	s_or_b32 exec_lo, exec_lo, s35
	s_wait_dscnt 0x0
	s_barrier_signal -1
	s_barrier_wait -1
	s_barrier_signal -1
	s_barrier_wait -1
	s_and_saveexec_b32 s35, s86
	s_cbranch_execz .LBB78_386
; %bb.385:                              ;   in Loop: Header=BB78_3 Depth=1
	ds_load_b128 v[16:19], v90
	s_wait_dscnt 0x0
	ds_store_b128 v183, v[16:19]
	ds_load_b128 v[16:19], v91
	s_wait_dscnt 0x0
	ds_store_b128 v184, v[16:19]
	;; [unrolled: 3-line block ×8, first 2 shown]
.LBB78_386:                             ;   in Loop: Header=BB78_3 Depth=1
	s_or_b32 exec_lo, exec_lo, s35
	s_wait_dscnt 0x0
	s_barrier_signal -1
	s_barrier_wait -1
	s_and_saveexec_b32 s35, s29
	s_cbranch_execz .LBB78_388
; %bb.387:                              ;   in Loop: Header=BB78_3 Depth=1
	ds_load_b128 v[16:19], v1 offset:3696
	ds_load_b128 v[20:23], v1 offset:3168
	s_wait_dscnt 0x0
	v_mul_f64_e32 v[2:3], v[18:19], v[22:23]
	v_mul_f64_e32 v[204:205], v[16:17], v[22:23]
	s_delay_alu instid0(VALU_DEP_2) | instskip(NEXT) | instid1(VALU_DEP_2)
	v_fma_f64 v[2:3], v[16:17], v[20:21], -v[2:3]
	v_fmac_f64_e32 v[204:205], v[18:19], v[20:21]
	ds_load_b128 v[16:19], v1 offset:3680
	s_wait_dscnt 0x0
	v_mul_f64_e32 v[22:23], v[2:3], v[18:19]
	v_mul_f64_e32 v[20:21], v[204:205], v[18:19]
	s_delay_alu instid0(VALU_DEP_2) | instskip(NEXT) | instid1(VALU_DEP_2)
	v_fmac_f64_e32 v[22:23], v[16:17], v[204:205]
	v_fma_f64 v[20:21], v[16:17], v[2:3], -v[20:21]
	ds_store_b128 v1, v[20:23] offset:3680
	ds_store_b128 v1, v[20:23] offset:3184
.LBB78_388:                             ;   in Loop: Header=BB78_3 Depth=1
	s_or_b32 exec_lo, exec_lo, s35
	v_mov_b64_e32 v[16:17], 0
	v_mov_b64_e32 v[18:19], 0
	s_wait_dscnt 0x0
	s_barrier_signal -1
	s_barrier_wait -1
	global_wb scope:SCOPE_DEV
	s_wait_storecnt 0x0
	global_inv scope:SCOPE_DEV
	s_and_saveexec_b32 s35, s0
	s_cbranch_execz .LBB78_392
; %bb.389:                              ;   in Loop: Header=BB78_3 Depth=1
	ds_load_b128 v[16:19], v47 offset:3680
	ds_load_b128 v[20:23], v46 offset:3136
	s_wait_dscnt 0x0
	v_mul_f64_e32 v[2:3], v[18:19], v[22:23]
	v_mul_f64_e32 v[22:23], v[16:17], v[22:23]
	s_delay_alu instid0(VALU_DEP_2) | instskip(NEXT) | instid1(VALU_DEP_2)
	v_fma_f64 v[2:3], v[16:17], v[20:21], -v[2:3]
	v_fmac_f64_e32 v[22:23], v[18:19], v[20:21]
	s_delay_alu instid0(VALU_DEP_2) | instskip(NEXT) | instid1(VALU_DEP_2)
	v_add_f64_e32 v[16:17], 0, v[2:3]
	v_add_f64_e32 v[18:19], 0, v[22:23]
	s_and_saveexec_b32 s40, s10
	s_cbranch_execz .LBB78_391
; %bb.390:                              ;   in Loop: Header=BB78_3 Depth=1
	ds_load_b128 v[20:23], v1 offset:3696
	ds_load_b128 v[204:207], v52 offset:3648
	s_wait_dscnt 0x0
	v_mul_f64_e32 v[2:3], v[22:23], v[206:207]
	s_delay_alu instid0(VALU_DEP_1) | instskip(SKIP_1) | instid1(VALU_DEP_2)
	v_fma_f64 v[2:3], v[20:21], v[204:205], -v[2:3]
	v_mul_f64_e32 v[20:21], v[20:21], v[206:207]
	v_add_f64_e32 v[16:17], v[16:17], v[2:3]
	s_delay_alu instid0(VALU_DEP_2) | instskip(NEXT) | instid1(VALU_DEP_1)
	v_fmac_f64_e32 v[20:21], v[22:23], v[204:205]
	v_add_f64_e32 v[18:19], v[18:19], v[20:21]
.LBB78_391:                             ;   in Loop: Header=BB78_3 Depth=1
	s_or_b32 exec_lo, exec_lo, s40
.LBB78_392:                             ;   in Loop: Header=BB78_3 Depth=1
	s_delay_alu instid0(SALU_CYCLE_1)
	s_or_b32 exec_lo, exec_lo, s35
	s_and_saveexec_b32 s35, s62
	s_cbranch_execz .LBB78_394
; %bb.393:                              ;   in Loop: Header=BB78_3 Depth=1
	ds_load_b128 v[20:23], v1 offset:2640
	s_wait_dscnt 0x0
	v_mul_f64_e32 v[2:3], v[18:19], v[22:23]
	v_mul_f64_e32 v[22:23], v[16:17], v[22:23]
	s_delay_alu instid0(VALU_DEP_1) | instskip(NEXT) | instid1(VALU_DEP_1)
	v_fmac_f64_e32 v[22:23], v[18:19], v[20:21]
	v_dual_fma_f64 v[2:3], v[16:17], v[20:21], -v[2:3] :: v_dual_mov_b32 v18, v22
	s_delay_alu instid0(VALU_DEP_1) | instskip(NEXT) | instid1(VALU_DEP_3)
	v_xor_b32_e32 v17, 0x80000000, v3
	v_xor_b32_e32 v19, 0x80000000, v23
	s_delay_alu instid0(VALU_DEP_3)
	v_mov_b32_e32 v16, v2
	ds_store_b128 v25, v[16:19]
	v_mov_b64_e32 v[16:17], v[2:3]
	v_mov_b64_e32 v[18:19], v[22:23]
.LBB78_394:                             ;   in Loop: Header=BB78_3 Depth=1
	s_or_b32 exec_lo, exec_lo, s35
	s_wait_loadcnt_dscnt 0x0
	s_barrier_signal -1
	s_barrier_wait -1
	s_and_saveexec_b32 s35, s63
	s_cbranch_execz .LBB78_396
; %bb.395:                              ;   in Loop: Header=BB78_3 Depth=1
	ds_load_b128 v[20:23], v25
	ds_load_b128 v[204:207], v1 offset:2624
	s_wait_dscnt 0x0
	v_mul_f64_e32 v[2:3], v[22:23], v[206:207]
	s_delay_alu instid0(VALU_DEP_1) | instskip(SKIP_1) | instid1(VALU_DEP_2)
	v_fma_f64 v[2:3], v[20:21], v[204:205], -v[2:3]
	v_mul_f64_e32 v[20:21], v[20:21], v[206:207]
	v_add_f64_e64 v[16:17], v[16:17], -v[2:3]
	s_delay_alu instid0(VALU_DEP_2) | instskip(NEXT) | instid1(VALU_DEP_1)
	v_fmac_f64_e32 v[20:21], v[22:23], v[204:205]
	v_add_f64_e64 v[18:19], v[18:19], -v[20:21]
.LBB78_396:                             ;   in Loop: Header=BB78_3 Depth=1
	s_or_b32 exec_lo, exec_lo, s35
	s_barrier_signal -1
	s_barrier_wait -1
	s_and_saveexec_b32 s35, s63
	s_cbranch_execz .LBB78_398
; %bb.397:                              ;   in Loop: Header=BB78_3 Depth=1
	ds_load_b128 v[20:23], v1 offset:2112
	s_wait_dscnt 0x0
	v_mul_f64_e32 v[2:3], v[18:19], v[22:23]
	v_mul_f64_e32 v[22:23], v[16:17], v[22:23]
	s_delay_alu instid0(VALU_DEP_1) | instskip(NEXT) | instid1(VALU_DEP_1)
	v_fmac_f64_e32 v[22:23], v[18:19], v[20:21]
	v_dual_fma_f64 v[2:3], v[16:17], v[20:21], -v[2:3] :: v_dual_mov_b32 v18, v22
	s_delay_alu instid0(VALU_DEP_1) | instskip(NEXT) | instid1(VALU_DEP_3)
	v_xor_b32_e32 v17, 0x80000000, v3
	v_xor_b32_e32 v19, 0x80000000, v23
	s_delay_alu instid0(VALU_DEP_3)
	v_mov_b32_e32 v16, v2
	ds_store_b128 v25, v[16:19]
	v_mov_b64_e32 v[16:17], v[2:3]
	v_mov_b64_e32 v[18:19], v[22:23]
.LBB78_398:                             ;   in Loop: Header=BB78_3 Depth=1
	s_or_b32 exec_lo, exec_lo, s35
	s_wait_dscnt 0x0
	s_barrier_signal -1
	s_barrier_wait -1
	s_barrier_signal -1
	s_barrier_wait -1
	s_and_saveexec_b32 s35, s0
; %bb.399:                              ;   in Loop: Header=BB78_3 Depth=1
	ds_store_b128 v49, v[16:19] offset:3648
; %bb.400:                              ;   in Loop: Header=BB78_3 Depth=1
	s_or_b32 exec_lo, exec_lo, s35
	s_wait_dscnt 0x0
	s_barrier_signal -1
	s_barrier_wait -1
	s_barrier_signal -1
	s_barrier_wait -1
	s_and_saveexec_b32 s35, s64
	s_cbranch_execz .LBB78_402
; %bb.401:                              ;   in Loop: Header=BB78_3 Depth=1
	ds_load_b128 v[16:19], v109
	s_wait_dscnt 0x0
	ds_store_b128 v191, v[16:19]
	ds_load_b128 v[16:19], v110
	s_wait_dscnt 0x0
	ds_store_b128 v192, v[16:19]
.LBB78_402:                             ;   in Loop: Header=BB78_3 Depth=1
	s_or_b32 exec_lo, exec_lo, s35
	s_wait_dscnt 0x0
	s_barrier_signal -1
	s_barrier_wait -1
	s_and_saveexec_b32 s35, s29
	s_cbranch_execz .LBB78_404
; %bb.403:                              ;   in Loop: Header=BB78_3 Depth=1
	ds_load_b128 v[16:19], v1 offset:2640
	ds_load_b128 v[20:23], v1 offset:2112
	s_wait_dscnt 0x0
	v_mul_f64_e32 v[2:3], v[18:19], v[22:23]
	v_mul_f64_e32 v[204:205], v[16:17], v[22:23]
	s_delay_alu instid0(VALU_DEP_2) | instskip(NEXT) | instid1(VALU_DEP_2)
	v_fma_f64 v[2:3], v[16:17], v[20:21], -v[2:3]
	v_fmac_f64_e32 v[204:205], v[18:19], v[20:21]
	ds_load_b128 v[16:19], v1 offset:2624
	s_wait_dscnt 0x0
	v_mul_f64_e32 v[22:23], v[2:3], v[18:19]
	v_mul_f64_e32 v[20:21], v[204:205], v[18:19]
	s_delay_alu instid0(VALU_DEP_2) | instskip(NEXT) | instid1(VALU_DEP_2)
	v_fmac_f64_e32 v[22:23], v[16:17], v[204:205]
	v_fma_f64 v[20:21], v[16:17], v[2:3], -v[20:21]
	ds_store_b128 v1, v[20:23] offset:2624
	ds_store_b128 v1, v[20:23] offset:2128
.LBB78_404:                             ;   in Loop: Header=BB78_3 Depth=1
	s_or_b32 exec_lo, exec_lo, s35
	v_mov_b64_e32 v[18:19], 0
	v_mov_b64_e32 v[16:17], 0
	s_wait_dscnt 0x0
	s_barrier_signal -1
	s_barrier_wait -1
	global_wb scope:SCOPE_DEV
	s_wait_storecnt 0x0
	global_inv scope:SCOPE_DEV
	s_and_saveexec_b32 s35, s2
	s_cbranch_execz .LBB78_410
; %bb.405:                              ;   in Loop: Header=BB78_3 Depth=1
	ds_load_b128 v[16:19], v55 offset:3648
	ds_load_b128 v[20:23], v54 offset:2048
	s_wait_dscnt 0x0
	v_mul_f64_e32 v[2:3], v[18:19], v[22:23]
	v_mul_f64_e32 v[22:23], v[16:17], v[22:23]
	s_delay_alu instid0(VALU_DEP_2) | instskip(NEXT) | instid1(VALU_DEP_2)
	v_fma_f64 v[2:3], v[16:17], v[20:21], -v[2:3]
	v_fmac_f64_e32 v[22:23], v[18:19], v[20:21]
	s_delay_alu instid0(VALU_DEP_2) | instskip(NEXT) | instid1(VALU_DEP_2)
	v_add_f64_e32 v[16:17], 0, v[2:3]
	v_add_f64_e32 v[18:19], 0, v[22:23]
	s_and_saveexec_b32 s40, s11
	s_cbranch_execnz .LBB78_572
; %bb.406:                              ;   in Loop: Header=BB78_3 Depth=1
	s_or_b32 exec_lo, exec_lo, s40
	s_and_saveexec_b32 s40, s12
	s_cbranch_execnz .LBB78_573
.LBB78_407:                             ;   in Loop: Header=BB78_3 Depth=1
	s_or_b32 exec_lo, exec_lo, s40
	s_and_saveexec_b32 s40, s0
	s_cbranch_execz .LBB78_409
.LBB78_408:                             ;   in Loop: Header=BB78_3 Depth=1
	ds_load_b128 v[20:23], v1 offset:3696
	ds_load_b128 v[204:207], v102 offset:3584
	s_wait_dscnt 0x0
	v_mul_f64_e32 v[2:3], v[22:23], v[206:207]
	s_delay_alu instid0(VALU_DEP_1) | instskip(SKIP_1) | instid1(VALU_DEP_2)
	v_fma_f64 v[2:3], v[20:21], v[204:205], -v[2:3]
	v_mul_f64_e32 v[20:21], v[20:21], v[206:207]
	v_add_f64_e32 v[16:17], v[16:17], v[2:3]
	s_delay_alu instid0(VALU_DEP_2) | instskip(NEXT) | instid1(VALU_DEP_1)
	v_fmac_f64_e32 v[20:21], v[22:23], v[204:205]
	v_add_f64_e32 v[18:19], v[18:19], v[20:21]
.LBB78_409:                             ;   in Loop: Header=BB78_3 Depth=1
	s_or_b32 exec_lo, exec_lo, s40
.LBB78_410:                             ;   in Loop: Header=BB78_3 Depth=1
	s_delay_alu instid0(SALU_CYCLE_1)
	s_or_b32 exec_lo, exec_lo, s35
	s_and_saveexec_b32 s35, s65
	s_cbranch_execz .LBB78_412
; %bb.411:                              ;   in Loop: Header=BB78_3 Depth=1
	ds_load_b128 v[20:23], v1 offset:1584
	s_wait_dscnt 0x0
	v_mul_f64_e32 v[2:3], v[18:19], v[22:23]
	v_mul_f64_e32 v[22:23], v[16:17], v[22:23]
	s_delay_alu instid0(VALU_DEP_1) | instskip(NEXT) | instid1(VALU_DEP_1)
	v_fmac_f64_e32 v[22:23], v[18:19], v[20:21]
	v_dual_fma_f64 v[2:3], v[16:17], v[20:21], -v[2:3] :: v_dual_mov_b32 v18, v22
	s_delay_alu instid0(VALU_DEP_1) | instskip(NEXT) | instid1(VALU_DEP_3)
	v_xor_b32_e32 v17, 0x80000000, v3
	v_xor_b32_e32 v19, 0x80000000, v23
	s_delay_alu instid0(VALU_DEP_3)
	v_mov_b32_e32 v16, v2
	ds_store_b128 v53, v[16:19]
	v_mov_b64_e32 v[16:17], v[2:3]
	v_mov_b64_e32 v[18:19], v[22:23]
.LBB78_412:                             ;   in Loop: Header=BB78_3 Depth=1
	s_or_b32 exec_lo, exec_lo, s35
	s_wait_loadcnt_dscnt 0x0
	s_barrier_signal -1
	s_barrier_wait -1
	s_and_saveexec_b32 s35, s66
	s_cbranch_execz .LBB78_414
; %bb.413:                              ;   in Loop: Header=BB78_3 Depth=1
	ds_load_b128 v[20:23], v53
	ds_load_b128 v[204:207], v54 offset:1536
	s_wait_dscnt 0x0
	v_mul_f64_e32 v[2:3], v[22:23], v[206:207]
	s_delay_alu instid0(VALU_DEP_1) | instskip(SKIP_1) | instid1(VALU_DEP_2)
	v_fma_f64 v[2:3], v[20:21], v[204:205], -v[2:3]
	v_mul_f64_e32 v[20:21], v[20:21], v[206:207]
	v_add_f64_e64 v[16:17], v[16:17], -v[2:3]
	s_delay_alu instid0(VALU_DEP_2) | instskip(NEXT) | instid1(VALU_DEP_1)
	v_fmac_f64_e32 v[20:21], v[22:23], v[204:205]
	v_add_f64_e64 v[18:19], v[18:19], -v[20:21]
.LBB78_414:                             ;   in Loop: Header=BB78_3 Depth=1
	s_or_b32 exec_lo, exec_lo, s35
	s_barrier_signal -1
	s_barrier_wait -1
	s_and_saveexec_b32 s35, s67
	s_cbranch_execz .LBB78_416
; %bb.415:                              ;   in Loop: Header=BB78_3 Depth=1
	ds_load_b128 v[20:23], v1 offset:1056
	s_wait_dscnt 0x0
	v_mul_f64_e32 v[2:3], v[18:19], v[22:23]
	v_mul_f64_e32 v[22:23], v[16:17], v[22:23]
	s_delay_alu instid0(VALU_DEP_1) | instskip(NEXT) | instid1(VALU_DEP_1)
	v_fmac_f64_e32 v[22:23], v[18:19], v[20:21]
	v_dual_fma_f64 v[2:3], v[16:17], v[20:21], -v[2:3] :: v_dual_mov_b32 v18, v22
	s_delay_alu instid0(VALU_DEP_1) | instskip(NEXT) | instid1(VALU_DEP_3)
	v_xor_b32_e32 v17, 0x80000000, v3
	v_xor_b32_e32 v19, 0x80000000, v23
	s_delay_alu instid0(VALU_DEP_3)
	v_mov_b32_e32 v16, v2
	ds_store_b128 v53, v[16:19]
	v_mov_b64_e32 v[16:17], v[2:3]
	v_mov_b64_e32 v[18:19], v[22:23]
.LBB78_416:                             ;   in Loop: Header=BB78_3 Depth=1
	s_or_b32 exec_lo, exec_lo, s35
	s_wait_dscnt 0x0
	s_barrier_signal -1
	s_barrier_wait -1
	s_and_saveexec_b32 s35, s68
	s_cbranch_execz .LBB78_418
; %bb.417:                              ;   in Loop: Header=BB78_3 Depth=1
	ds_load_b128 v[20:23], v53
	ds_load_b128 v[204:207], v54 offset:1024
	s_wait_dscnt 0x0
	v_mul_f64_e32 v[2:3], v[22:23], v[206:207]
	s_delay_alu instid0(VALU_DEP_1) | instskip(SKIP_1) | instid1(VALU_DEP_2)
	v_fma_f64 v[2:3], v[20:21], v[204:205], -v[2:3]
	v_mul_f64_e32 v[20:21], v[20:21], v[206:207]
	v_add_f64_e64 v[16:17], v[16:17], -v[2:3]
	s_delay_alu instid0(VALU_DEP_2) | instskip(NEXT) | instid1(VALU_DEP_1)
	v_fmac_f64_e32 v[20:21], v[22:23], v[204:205]
	v_add_f64_e64 v[18:19], v[18:19], -v[20:21]
.LBB78_418:                             ;   in Loop: Header=BB78_3 Depth=1
	s_or_b32 exec_lo, exec_lo, s35
	s_barrier_signal -1
	s_barrier_wait -1
	s_and_saveexec_b32 s35, s69
	s_cbranch_execz .LBB78_420
; %bb.419:                              ;   in Loop: Header=BB78_3 Depth=1
	ds_load_b128 v[20:23], v1 offset:528
	s_wait_dscnt 0x0
	v_mul_f64_e32 v[2:3], v[18:19], v[22:23]
	v_mul_f64_e32 v[22:23], v[16:17], v[22:23]
	s_delay_alu instid0(VALU_DEP_1) | instskip(NEXT) | instid1(VALU_DEP_1)
	v_fmac_f64_e32 v[22:23], v[18:19], v[20:21]
	v_dual_fma_f64 v[2:3], v[16:17], v[20:21], -v[2:3] :: v_dual_mov_b32 v18, v22
	s_delay_alu instid0(VALU_DEP_1) | instskip(NEXT) | instid1(VALU_DEP_3)
	v_xor_b32_e32 v17, 0x80000000, v3
	v_xor_b32_e32 v19, 0x80000000, v23
	s_delay_alu instid0(VALU_DEP_3)
	v_mov_b32_e32 v16, v2
	ds_store_b128 v53, v[16:19]
	v_mov_b64_e32 v[16:17], v[2:3]
	v_mov_b64_e32 v[18:19], v[22:23]
.LBB78_420:                             ;   in Loop: Header=BB78_3 Depth=1
	s_or_b32 exec_lo, exec_lo, s35
	s_wait_dscnt 0x0
	s_barrier_signal -1
	s_barrier_wait -1
	s_and_saveexec_b32 s35, s70
	s_cbranch_execz .LBB78_422
; %bb.421:                              ;   in Loop: Header=BB78_3 Depth=1
	ds_load_b128 v[20:23], v53
	ds_load_b128 v[204:207], v1 offset:512
	s_wait_dscnt 0x0
	v_mul_f64_e32 v[2:3], v[22:23], v[206:207]
	s_delay_alu instid0(VALU_DEP_1) | instskip(SKIP_1) | instid1(VALU_DEP_2)
	v_fma_f64 v[2:3], v[20:21], v[204:205], -v[2:3]
	v_mul_f64_e32 v[20:21], v[20:21], v[206:207]
	v_add_f64_e64 v[16:17], v[16:17], -v[2:3]
	s_delay_alu instid0(VALU_DEP_2) | instskip(NEXT) | instid1(VALU_DEP_1)
	v_fmac_f64_e32 v[20:21], v[22:23], v[204:205]
	v_add_f64_e64 v[18:19], v[18:19], -v[20:21]
.LBB78_422:                             ;   in Loop: Header=BB78_3 Depth=1
	s_or_b32 exec_lo, exec_lo, s35
	s_barrier_signal -1
	s_barrier_wait -1
	s_and_saveexec_b32 s35, s70
	s_cbranch_execz .LBB78_424
; %bb.423:                              ;   in Loop: Header=BB78_3 Depth=1
	ds_load_b128 v[20:23], v1
	s_wait_dscnt 0x0
	v_mul_f64_e32 v[2:3], v[18:19], v[22:23]
	v_mul_f64_e32 v[22:23], v[16:17], v[22:23]
	s_delay_alu instid0(VALU_DEP_1) | instskip(NEXT) | instid1(VALU_DEP_1)
	v_fmac_f64_e32 v[22:23], v[18:19], v[20:21]
	v_dual_fma_f64 v[2:3], v[16:17], v[20:21], -v[2:3] :: v_dual_mov_b32 v18, v22
	s_delay_alu instid0(VALU_DEP_1) | instskip(NEXT) | instid1(VALU_DEP_3)
	v_xor_b32_e32 v17, 0x80000000, v3
	v_xor_b32_e32 v19, 0x80000000, v23
	s_delay_alu instid0(VALU_DEP_3)
	v_mov_b32_e32 v16, v2
	ds_store_b128 v53, v[16:19]
	v_mov_b64_e32 v[16:17], v[2:3]
	v_mov_b64_e32 v[18:19], v[22:23]
.LBB78_424:                             ;   in Loop: Header=BB78_3 Depth=1
	s_or_b32 exec_lo, exec_lo, s35
	s_wait_dscnt 0x0
	s_barrier_signal -1
	s_barrier_wait -1
	s_barrier_signal -1
	s_barrier_wait -1
	s_and_saveexec_b32 s35, s2
; %bb.425:                              ;   in Loop: Header=BB78_3 Depth=1
	ds_store_b128 v56, v[16:19] offset:3584
; %bb.426:                              ;   in Loop: Header=BB78_3 Depth=1
	s_or_b32 exec_lo, exec_lo, s35
	s_wait_dscnt 0x0
	s_barrier_signal -1
	s_barrier_wait -1
	s_barrier_signal -1
	s_barrier_wait -1
	s_and_saveexec_b32 s35, s71
	s_cbranch_execz .LBB78_428
; %bb.427:                              ;   in Loop: Header=BB78_3 Depth=1
	ds_load_b128 v[16:19], v120
	s_wait_dscnt 0x0
	ds_store_b128 v193, v[16:19]
	ds_load_b128 v[16:19], v123
	s_wait_dscnt 0x0
	ds_store_b128 v196, v[16:19]
	;; [unrolled: 3-line block ×4, first 2 shown]
.LBB78_428:                             ;   in Loop: Header=BB78_3 Depth=1
	s_or_b32 exec_lo, exec_lo, s35
	s_wait_dscnt 0x0
	s_barrier_signal -1
	s_barrier_wait -1
	s_and_saveexec_b32 s35, s29
	s_cbranch_execz .LBB78_430
; %bb.429:                              ;   in Loop: Header=BB78_3 Depth=1
	ds_load_b128 v[16:19], v1 offset:1584
	ds_load_b128 v[20:23], v1 offset:1056
	s_wait_dscnt 0x0
	v_mul_f64_e32 v[2:3], v[18:19], v[22:23]
	v_mul_f64_e32 v[204:205], v[16:17], v[22:23]
	s_delay_alu instid0(VALU_DEP_2) | instskip(NEXT) | instid1(VALU_DEP_2)
	v_fma_f64 v[2:3], v[16:17], v[20:21], -v[2:3]
	v_fmac_f64_e32 v[204:205], v[18:19], v[20:21]
	ds_load_b128 v[16:19], v1 offset:1568
	s_wait_dscnt 0x0
	v_mul_f64_e32 v[22:23], v[2:3], v[18:19]
	v_mul_f64_e32 v[20:21], v[204:205], v[18:19]
	s_delay_alu instid0(VALU_DEP_2) | instskip(NEXT) | instid1(VALU_DEP_2)
	v_fmac_f64_e32 v[22:23], v[16:17], v[204:205]
	v_fma_f64 v[20:21], v[16:17], v[2:3], -v[20:21]
	ds_store_b128 v1, v[20:23] offset:1568
	ds_store_b128 v1, v[20:23] offset:1072
.LBB78_430:                             ;   in Loop: Header=BB78_3 Depth=1
	s_or_b32 exec_lo, exec_lo, s35
	v_mov_b64_e32 v[16:17], 0
	v_mov_b64_e32 v[18:19], 0
	s_wait_dscnt 0x0
	s_barrier_signal -1
	s_barrier_wait -1
	global_wb scope:SCOPE_DEV
	s_wait_storecnt 0x0
	global_inv scope:SCOPE_DEV
	s_and_saveexec_b32 s35, s0
	s_cbranch_execz .LBB78_434
; %bb.431:                              ;   in Loop: Header=BB78_3 Depth=1
	ds_load_b128 v[16:19], v47 offset:1568
	ds_load_b128 v[20:23], v46 offset:1024
	s_wait_dscnt 0x0
	v_mul_f64_e32 v[2:3], v[18:19], v[22:23]
	v_mul_f64_e32 v[22:23], v[16:17], v[22:23]
	s_delay_alu instid0(VALU_DEP_2) | instskip(NEXT) | instid1(VALU_DEP_2)
	v_fma_f64 v[2:3], v[16:17], v[20:21], -v[2:3]
	v_fmac_f64_e32 v[22:23], v[18:19], v[20:21]
	s_delay_alu instid0(VALU_DEP_2) | instskip(NEXT) | instid1(VALU_DEP_2)
	v_add_f64_e32 v[16:17], 0, v[2:3]
	v_add_f64_e32 v[18:19], 0, v[22:23]
	s_and_saveexec_b32 s40, s10
	s_cbranch_execz .LBB78_433
; %bb.432:                              ;   in Loop: Header=BB78_3 Depth=1
	ds_load_b128 v[20:23], v1 offset:1584
	ds_load_b128 v[204:207], v113 offset:1536
	s_wait_dscnt 0x0
	v_mul_f64_e32 v[2:3], v[22:23], v[206:207]
	s_delay_alu instid0(VALU_DEP_1) | instskip(SKIP_1) | instid1(VALU_DEP_2)
	v_fma_f64 v[2:3], v[20:21], v[204:205], -v[2:3]
	v_mul_f64_e32 v[20:21], v[20:21], v[206:207]
	v_add_f64_e32 v[16:17], v[16:17], v[2:3]
	s_delay_alu instid0(VALU_DEP_2) | instskip(NEXT) | instid1(VALU_DEP_1)
	v_fmac_f64_e32 v[20:21], v[22:23], v[204:205]
	v_add_f64_e32 v[18:19], v[18:19], v[20:21]
.LBB78_433:                             ;   in Loop: Header=BB78_3 Depth=1
	s_or_b32 exec_lo, exec_lo, s40
.LBB78_434:                             ;   in Loop: Header=BB78_3 Depth=1
	s_delay_alu instid0(SALU_CYCLE_1)
	s_or_b32 exec_lo, exec_lo, s35
	s_and_saveexec_b32 s35, s62
	s_cbranch_execz .LBB78_436
; %bb.435:                              ;   in Loop: Header=BB78_3 Depth=1
	ds_load_b128 v[20:23], v1 offset:528
	s_wait_dscnt 0x0
	v_mul_f64_e32 v[2:3], v[18:19], v[22:23]
	v_mul_f64_e32 v[22:23], v[16:17], v[22:23]
	s_delay_alu instid0(VALU_DEP_1) | instskip(NEXT) | instid1(VALU_DEP_1)
	v_fmac_f64_e32 v[22:23], v[18:19], v[20:21]
	v_dual_fma_f64 v[2:3], v[16:17], v[20:21], -v[2:3] :: v_dual_mov_b32 v18, v22
	s_delay_alu instid0(VALU_DEP_1) | instskip(NEXT) | instid1(VALU_DEP_3)
	v_xor_b32_e32 v17, 0x80000000, v3
	v_xor_b32_e32 v19, 0x80000000, v23
	s_delay_alu instid0(VALU_DEP_3)
	v_mov_b32_e32 v16, v2
	ds_store_b128 v25, v[16:19]
	v_mov_b64_e32 v[16:17], v[2:3]
	v_mov_b64_e32 v[18:19], v[22:23]
.LBB78_436:                             ;   in Loop: Header=BB78_3 Depth=1
	s_or_b32 exec_lo, exec_lo, s35
	s_wait_loadcnt_dscnt 0x0
	s_barrier_signal -1
	s_barrier_wait -1
	s_and_saveexec_b32 s35, s63
	s_cbranch_execz .LBB78_438
; %bb.437:                              ;   in Loop: Header=BB78_3 Depth=1
	ds_load_b128 v[20:23], v25
	ds_load_b128 v[204:207], v1 offset:512
	s_wait_dscnt 0x0
	v_mul_f64_e32 v[2:3], v[22:23], v[206:207]
	s_delay_alu instid0(VALU_DEP_1) | instskip(SKIP_1) | instid1(VALU_DEP_2)
	v_fma_f64 v[2:3], v[20:21], v[204:205], -v[2:3]
	v_mul_f64_e32 v[20:21], v[20:21], v[206:207]
	v_add_f64_e64 v[16:17], v[16:17], -v[2:3]
	s_delay_alu instid0(VALU_DEP_2) | instskip(NEXT) | instid1(VALU_DEP_1)
	v_fmac_f64_e32 v[20:21], v[22:23], v[204:205]
	v_add_f64_e64 v[18:19], v[18:19], -v[20:21]
.LBB78_438:                             ;   in Loop: Header=BB78_3 Depth=1
	s_or_b32 exec_lo, exec_lo, s35
	s_barrier_signal -1
	s_barrier_wait -1
	s_and_saveexec_b32 s35, s63
	s_cbranch_execz .LBB78_440
; %bb.439:                              ;   in Loop: Header=BB78_3 Depth=1
	ds_load_b128 v[20:23], v1
	s_wait_dscnt 0x0
	v_mul_f64_e32 v[2:3], v[18:19], v[22:23]
	v_mul_f64_e32 v[22:23], v[16:17], v[22:23]
	s_delay_alu instid0(VALU_DEP_1) | instskip(NEXT) | instid1(VALU_DEP_1)
	v_fmac_f64_e32 v[22:23], v[18:19], v[20:21]
	v_dual_fma_f64 v[2:3], v[16:17], v[20:21], -v[2:3] :: v_dual_mov_b32 v18, v22
	s_delay_alu instid0(VALU_DEP_1) | instskip(NEXT) | instid1(VALU_DEP_3)
	v_xor_b32_e32 v17, 0x80000000, v3
	v_xor_b32_e32 v19, 0x80000000, v23
	s_delay_alu instid0(VALU_DEP_3)
	v_mov_b32_e32 v16, v2
	ds_store_b128 v25, v[16:19]
	v_mov_b64_e32 v[16:17], v[2:3]
	v_mov_b64_e32 v[18:19], v[22:23]
.LBB78_440:                             ;   in Loop: Header=BB78_3 Depth=1
	s_or_b32 exec_lo, exec_lo, s35
	s_wait_dscnt 0x0
	s_barrier_signal -1
	s_barrier_wait -1
	s_barrier_signal -1
	s_barrier_wait -1
	s_and_saveexec_b32 s35, s0
; %bb.441:                              ;   in Loop: Header=BB78_3 Depth=1
	ds_store_b128 v49, v[16:19] offset:1536
; %bb.442:                              ;   in Loop: Header=BB78_3 Depth=1
	s_or_b32 exec_lo, exec_lo, s35
	s_wait_dscnt 0x0
	s_barrier_signal -1
	s_barrier_wait -1
	s_barrier_signal -1
	s_barrier_wait -1
	s_and_saveexec_b32 s35, s64
	s_cbranch_execz .LBB78_444
; %bb.443:                              ;   in Loop: Header=BB78_3 Depth=1
	ds_load_b128 v[16:19], v126
	s_wait_dscnt 0x0
	ds_store_b128 v133, v[16:19]
	ds_load_b128 v[16:19], v127
	s_wait_dscnt 0x0
	ds_store_b128 v134, v[16:19]
.LBB78_444:                             ;   in Loop: Header=BB78_3 Depth=1
	s_or_b32 exec_lo, exec_lo, s35
	s_wait_dscnt 0x0
	s_barrier_signal -1
	s_barrier_wait -1
	s_and_saveexec_b32 s35, s29
	s_cbranch_execz .LBB78_446
; %bb.445:                              ;   in Loop: Header=BB78_3 Depth=1
	ds_load_b128 v[16:19], v1 offset:528
	ds_load_b128 v[20:23], v1
	s_wait_dscnt 0x0
	v_mul_f64_e32 v[2:3], v[18:19], v[22:23]
	v_mul_f64_e32 v[204:205], v[16:17], v[22:23]
	s_delay_alu instid0(VALU_DEP_2) | instskip(NEXT) | instid1(VALU_DEP_2)
	v_fma_f64 v[2:3], v[16:17], v[20:21], -v[2:3]
	v_fmac_f64_e32 v[204:205], v[18:19], v[20:21]
	ds_load_b128 v[16:19], v1 offset:512
	s_wait_dscnt 0x0
	v_mul_f64_e32 v[22:23], v[2:3], v[18:19]
	v_mul_f64_e32 v[20:21], v[204:205], v[18:19]
	s_delay_alu instid0(VALU_DEP_2) | instskip(NEXT) | instid1(VALU_DEP_2)
	v_fmac_f64_e32 v[22:23], v[16:17], v[204:205]
	v_fma_f64 v[20:21], v[16:17], v[2:3], -v[20:21]
	ds_store_b128 v1, v[20:23] offset:512
	ds_store_b128 v1, v[20:23] offset:16
.LBB78_446:                             ;   in Loop: Header=BB78_3 Depth=1
	s_or_b32 exec_lo, exec_lo, s35
.LBB78_447:                             ;   in Loop: Header=BB78_3 Depth=1
	v_mov_b64_e32 v[16:17], 0
	v_mov_b64_e32 v[18:19], 0
	s_mul_u64 s[40:41], s[52:53], s[56:57]
	s_wait_dscnt 0x0
	s_lshl_b64 s[40:41], s[40:41], 4
	s_barrier_signal -1
	s_add_nc_u64 s[40:41], s[38:39], s[40:41]
	s_barrier_wait -1
	s_and_saveexec_b32 s35, s8
	s_cbranch_execz .LBB78_449
; %bb.448:                              ;   in Loop: Header=BB78_3 Depth=1
	v_lshl_add_u64 v[2:3], v[38:39], 4, s[40:41]
	global_load_b128 v[18:21], v[2:3], off
	s_wait_loadcnt 0x0
	v_mul_f64_e32 v[2:3], v[12:13], v[18:19]
	s_delay_alu instid0(VALU_DEP_1) | instskip(SKIP_1) | instid1(VALU_DEP_1)
	v_fma_f64 v[16:17], v[14:15], v[20:21], -v[2:3]
	v_mul_f64_e32 v[2:3], v[12:13], v[20:21]
	v_fma_f64 v[18:19], v[18:19], -v[14:15], -v[2:3]
.LBB78_449:                             ;   in Loop: Header=BB78_3 Depth=1
	s_or_b32 exec_lo, exec_lo, s35
	s_delay_alu instid0(SALU_CYCLE_1)
	s_and_not1_b32 vcc_lo, exec_lo, s9
	s_cbranch_vccnz .LBB78_472
; %bb.450:                              ;   in Loop: Header=BB78_3 Depth=1
	v_mov_b32_e32 v20, -1
	s_lshl_b64 s[46:47], s[56:57], 2
	s_mov_b32 s91, 0
	s_add_nc_u64 s[46:47], s[54:55], s[46:47]
	s_branch .LBB78_453
.LBB78_451:                             ;   in Loop: Header=BB78_453 Depth=2
	ds_load_b128 v[204:207], v129 offset:256
	s_wait_loadcnt_dscnt 0x0
	v_mul_f64_e32 v[2:3], v[14:15], v[206:207]
	v_mul_f64_e32 v[14:15], v[14:15], v[204:205]
	s_delay_alu instid0(VALU_DEP_2) | instskip(NEXT) | instid1(VALU_DEP_2)
	v_fmac_f64_e32 v[2:3], v[12:13], v[204:205]
	v_fma_f64 v[12:13], v[12:13], v[206:207], -v[14:15]
	s_delay_alu instid0(VALU_DEP_2) | instskip(NEXT) | instid1(VALU_DEP_2)
	v_add_f64_e32 v[16:17], v[16:17], v[2:3]
	v_add_f64_e32 v[18:19], v[18:19], v[12:13]
.LBB78_452:                             ;   in Loop: Header=BB78_453 Depth=2
	s_or_b32 exec_lo, exec_lo, s35
	s_add_co_i32 s91, s91, 1
	s_delay_alu instid0(SALU_CYCLE_1)
	s_cmp_eq_u32 s91, s48
	s_cbranch_scc1 .LBB78_472
.LBB78_453:                             ;   Parent Loop BB78_3 Depth=1
                                        ; =>  This Loop Header: Depth=2
                                        ;       Child Loop BB78_455 Depth 3
	v_cmp_gt_i32_e32 vcc_lo, s91, v20
	s_and_b32 s92, s33, vcc_lo
	s_delay_alu instid0(SALU_CYCLE_1)
	s_and_saveexec_b32 s35, s92
	s_cbranch_execz .LBB78_456
; %bb.454:                              ;   in Loop: Header=BB78_453 Depth=2
	global_load_b32 v20, v1, s[46:47]
	s_wait_loadcnt 0x0
	v_cmp_le_i32_e32 vcc_lo, s91, v20
	s_cbranch_vccnz .LBB78_456
.LBB78_455:                             ;   Parent Loop BB78_3 Depth=1
                                        ;     Parent Loop BB78_453 Depth=2
                                        ; =>    This Inner Loop Header: Depth=3
	global_wb scope:SCOPE_DEV
	s_wait_storecnt 0x0
	global_inv scope:SCOPE_DEV
	global_load_b32 v20, v1, s[46:47]
	s_wait_loadcnt 0x0
	v_cmp_gt_i32_e32 vcc_lo, s91, v20
	s_cbranch_vccnz .LBB78_455
.LBB78_456:                             ;   in Loop: Header=BB78_453 Depth=2
	s_or_b32 exec_lo, exec_lo, s35
	s_lshl_b32 s35, s91, 5
	global_wb scope:SCOPE_DEV
	s_wait_storecnt 0x0
	global_inv scope:SCOPE_DEV
	s_wait_loadcnt 0x0
	s_barrier_signal -1
	s_barrier_wait -1
	s_and_saveexec_b32 s92, s34
	s_cbranch_execz .LBB78_461
; %bb.457:                              ;   in Loop: Header=BB78_453 Depth=2
	v_or_b32_e32 v0, s35, v26
	s_delay_alu instid0(VALU_DEP_1) | instskip(SKIP_1) | instid1(SALU_CYCLE_1)
	v_cmp_le_i32_e32 vcc_lo, s59, v0
	s_and_saveexec_b32 s93, vcc_lo
	s_xor_b32 vcc_lo, exec_lo, s93
; %bb.458:                              ;   in Loop: Header=BB78_453 Depth=2
	v_dual_mov_b32 v0, v1 :: v_dual_mov_b32 v2, v1
	v_mov_b32_e32 v3, v1
	ds_store_b128 v197, v[0:3]
; %bb.459:                              ;   in Loop: Header=BB78_453 Depth=2
	s_and_not1_saveexec_b32 s93, vcc_lo
	s_cbranch_execz .LBB78_461
; %bb.460:                              ;   in Loop: Header=BB78_453 Depth=2
	v_mul_u64_e32 v[2:3], s[50:51], v[0:1]
	s_delay_alu instid0(VALU_DEP_1)
	v_lshl_add_u64 v[2:3], v[2:3], 4, s[40:41]
	global_load_b128 v[12:15], v[2:3], off
	s_wait_loadcnt 0x0
	ds_store_2addr_b64 v197, v[12:13], v[14:15] offset1:1
.LBB78_461:                             ;   in Loop: Header=BB78_453 Depth=2
	s_or_b32 exec_lo, exec_lo, s92
	v_add_nc_u32_e32 v0, s35, v44
	v_cmp_ne_u32_e32 vcc_lo, s91, v45
	s_wait_dscnt 0x0
	s_barrier_signal -1
	s_barrier_wait -1
	v_cmp_gt_i32_e64 s35, s59, v0
	v_lshl_add_u64 v[2:3], v[0:1], 4, v[42:43]
	v_cndmask_b32_e64 v21, 0, 1, vcc_lo
	s_and_b32 s92, s35, s5
	s_delay_alu instid0(SALU_CYCLE_1)
	s_and_saveexec_b32 s35, s92
	s_cbranch_execz .LBB78_467
; %bb.462:                              ;   in Loop: Header=BB78_453 Depth=2
	v_mov_b64_e32 v[12:13], v[4:5]
	s_and_not1_b32 vcc_lo, exec_lo, vcc_lo
	s_cbranch_vccnz .LBB78_464
; %bb.463:                              ;   in Loop: Header=BB78_453 Depth=2
	global_load_b64 v[12:13], v[2:3], off
.LBB78_464:                             ;   in Loop: Header=BB78_453 Depth=2
	v_cmp_ne_u32_e32 vcc_lo, 1, v21
	v_mov_b64_e32 v[14:15], v[6:7]
	s_cbranch_vccnz .LBB78_466
; %bb.465:                              ;   in Loop: Header=BB78_453 Depth=2
	global_load_b64 v[14:15], v[2:3], off offset:8
.LBB78_466:                             ;   in Loop: Header=BB78_453 Depth=2
	ds_load_b128 v[204:207], v129
	s_wait_loadcnt_dscnt 0x0
	v_mul_f64_e32 v[22:23], v[14:15], v[206:207]
	v_mul_f64_e32 v[14:15], v[14:15], v[204:205]
	s_delay_alu instid0(VALU_DEP_2) | instskip(NEXT) | instid1(VALU_DEP_2)
	v_fmac_f64_e32 v[22:23], v[12:13], v[204:205]
	v_fma_f64 v[12:13], v[12:13], v[206:207], -v[14:15]
	s_delay_alu instid0(VALU_DEP_2) | instskip(NEXT) | instid1(VALU_DEP_2)
	v_add_f64_e32 v[16:17], v[16:17], v[22:23]
	v_add_f64_e32 v[18:19], v[18:19], v[12:13]
.LBB78_467:                             ;   in Loop: Header=BB78_453 Depth=2
	s_or_b32 exec_lo, exec_lo, s35
	v_add_nc_u32_e32 v0, 16, v0
	s_delay_alu instid0(VALU_DEP_1) | instskip(SKIP_1) | instid1(SALU_CYCLE_1)
	v_cmp_gt_i32_e32 vcc_lo, s59, v0
	s_and_b32 s92, vcc_lo, s5
	s_and_saveexec_b32 s35, s92
	s_cbranch_execz .LBB78_452
; %bb.468:                              ;   in Loop: Header=BB78_453 Depth=2
	v_cmp_ne_u32_e32 vcc_lo, 1, v21
	v_mov_b64_e32 v[12:13], v[8:9]
	s_cbranch_vccnz .LBB78_470
; %bb.469:                              ;   in Loop: Header=BB78_453 Depth=2
	global_load_b64 v[12:13], v[2:3], off offset:256
.LBB78_470:                             ;   in Loop: Header=BB78_453 Depth=2
	v_cmp_ne_u32_e32 vcc_lo, 1, v21
	v_mov_b64_e32 v[14:15], v[10:11]
	s_cbranch_vccnz .LBB78_451
; %bb.471:                              ;   in Loop: Header=BB78_453 Depth=2
	global_load_b64 v[14:15], v[2:3], off offset:264
	s_branch .LBB78_451
.LBB78_472:                             ;   in Loop: Header=BB78_3 Depth=1
	ds_store_b128 v200, v[16:19]
	s_wait_dscnt 0x0
	s_barrier_signal -1
	s_barrier_wait -1
	s_and_saveexec_b32 s35, s1
	s_cbranch_execz .LBB78_474
; %bb.473:                              ;   in Loop: Header=BB78_3 Depth=1
	ds_load_b128 v[12:15], v201 offset:512
	s_wait_dscnt 0x0
	v_add_f64_e32 v[2:3], v[16:17], v[12:13]
	v_add_f64_e32 v[16:17], v[18:19], v[14:15]
	ds_load_b128 v[12:15], v201 offset:1024
	s_wait_dscnt 0x0
	v_add_f64_e32 v[2:3], v[2:3], v[12:13]
	v_add_f64_e32 v[16:17], v[16:17], v[14:15]
	ds_load_b128 v[12:15], v201 offset:1536
	s_wait_dscnt 0x0
	v_add_f64_e32 v[2:3], v[2:3], v[12:13]
	v_add_f64_e32 v[16:17], v[16:17], v[14:15]
	ds_load_b128 v[12:15], v201 offset:2048
	s_wait_dscnt 0x0
	v_add_f64_e32 v[2:3], v[2:3], v[12:13]
	v_add_f64_e32 v[16:17], v[16:17], v[14:15]
	ds_load_b128 v[12:15], v201 offset:2560
	s_wait_dscnt 0x0
	v_add_f64_e32 v[2:3], v[2:3], v[12:13]
	v_add_f64_e32 v[16:17], v[16:17], v[14:15]
	ds_load_b128 v[12:15], v201 offset:3072
	s_wait_dscnt 0x0
	v_add_f64_e32 v[2:3], v[2:3], v[12:13]
	v_add_f64_e32 v[16:17], v[16:17], v[14:15]
	ds_load_b128 v[12:15], v201 offset:3584
	s_wait_dscnt 0x0
	v_add_f64_e32 v[2:3], v[2:3], v[12:13]
	v_add_f64_e32 v[16:17], v[16:17], v[14:15]
	ds_load_b128 v[12:15], v201 offset:4096
	s_wait_dscnt 0x0
	v_add_f64_e32 v[2:3], v[2:3], v[12:13]
	v_add_f64_e32 v[16:17], v[16:17], v[14:15]
	ds_load_b128 v[12:15], v201 offset:4608
	s_wait_dscnt 0x0
	v_add_f64_e32 v[2:3], v[2:3], v[12:13]
	v_add_f64_e32 v[16:17], v[16:17], v[14:15]
	ds_load_b128 v[12:15], v201 offset:5120
	s_wait_dscnt 0x0
	v_add_f64_e32 v[2:3], v[2:3], v[12:13]
	v_add_f64_e32 v[16:17], v[16:17], v[14:15]
	ds_load_b128 v[12:15], v201 offset:5632
	s_wait_dscnt 0x0
	v_add_f64_e32 v[2:3], v[2:3], v[12:13]
	v_add_f64_e32 v[16:17], v[16:17], v[14:15]
	ds_load_b128 v[12:15], v201 offset:6144
	s_wait_dscnt 0x0
	v_add_f64_e32 v[2:3], v[2:3], v[12:13]
	v_add_f64_e32 v[16:17], v[16:17], v[14:15]
	ds_load_b128 v[12:15], v201 offset:6656
	s_wait_dscnt 0x0
	v_add_f64_e32 v[2:3], v[2:3], v[12:13]
	v_add_f64_e32 v[16:17], v[16:17], v[14:15]
	ds_load_b128 v[12:15], v201 offset:7168
	s_wait_dscnt 0x0
	v_add_f64_e32 v[2:3], v[2:3], v[12:13]
	v_add_f64_e32 v[16:17], v[16:17], v[14:15]
	ds_load_b128 v[12:15], v201 offset:7680
	s_wait_dscnt 0x0
	v_add_f64_e32 v[2:3], v[2:3], v[12:13]
	v_add_f64_e32 v[12:13], v[16:17], v[14:15]
	s_delay_alu instid0(VALU_DEP_2) | instskip(NEXT) | instid1(VALU_DEP_2)
	v_xor_b32_e32 v0, 0x80000000, v3
	v_xor_b32_e32 v3, 0x80000000, v13
	s_delay_alu instid0(VALU_DEP_4) | instskip(NEXT) | instid1(VALU_DEP_4)
	v_cndmask_b32_e64 v16, v2, 0, s31
	v_cndmask_b32_e64 v18, v12, 0, s31
	s_delay_alu instid0(VALU_DEP_4) | instskip(NEXT) | instid1(VALU_DEP_4)
	v_cndmask_b32_e64 v17, v0, 0, s31
	v_cndmask_b32_e64 v19, v3, 0, s31
.LBB78_474:                             ;   in Loop: Header=BB78_3 Depth=1
	s_or_b32 exec_lo, exec_lo, s35
	s_delay_alu instid0(SALU_CYCLE_1)
	s_and_not1_b32 vcc_lo, exec_lo, s61
	s_cbranch_vccnz .LBB78_483
; %bb.475:                              ;   in Loop: Header=BB78_3 Depth=1
	s_and_saveexec_b32 s35, s1
; %bb.476:                              ;   in Loop: Header=BB78_3 Depth=1
	ds_store_b128 v202, v[16:19]
; %bb.477:                              ;   in Loop: Header=BB78_3 Depth=1
	s_or_b32 exec_lo, exec_lo, s35
	v_mov_b64_e32 v[12:13], 0
	v_mov_b64_e32 v[14:15], 0
	s_wait_dscnt 0x0
	s_barrier_signal -1
	s_barrier_wait -1
	s_and_saveexec_b32 s35, s6
	s_cbranch_execz .LBB78_479
; %bb.478:                              ;   in Loop: Header=BB78_3 Depth=1
	ds_load_b128 v[12:15], v129
	ds_load_b128 v[20:23], v135
	s_wait_dscnt 0x0
	v_mul_f64_e32 v[2:3], v[14:15], v[22:23]
	v_mul_f64_e32 v[22:23], v[12:13], v[22:23]
	s_delay_alu instid0(VALU_DEP_2) | instskip(NEXT) | instid1(VALU_DEP_2)
	v_fma_f64 v[2:3], v[12:13], v[20:21], -v[2:3]
	v_fmac_f64_e32 v[22:23], v[14:15], v[20:21]
	s_delay_alu instid0(VALU_DEP_2) | instskip(NEXT) | instid1(VALU_DEP_2)
	v_add_f64_e32 v[12:13], 0, v[2:3]
	v_add_f64_e32 v[14:15], 0, v[22:23]
.LBB78_479:                             ;   in Loop: Header=BB78_3 Depth=1
	s_or_b32 exec_lo, exec_lo, s35
	s_and_saveexec_b32 s35, s7
	s_cbranch_execz .LBB78_481
; %bb.480:                              ;   in Loop: Header=BB78_3 Depth=1
	ds_load_b128 v[20:23], v129 offset:256
	ds_load_b128 v[204:207], v135 offset:8192
	s_wait_dscnt 0x0
	v_mul_f64_e32 v[2:3], v[22:23], v[206:207]
	s_delay_alu instid0(VALU_DEP_1) | instskip(SKIP_1) | instid1(VALU_DEP_2)
	v_fma_f64 v[2:3], v[20:21], v[204:205], -v[2:3]
	v_mul_f64_e32 v[20:21], v[20:21], v[206:207]
	v_add_f64_e32 v[12:13], v[12:13], v[2:3]
	s_delay_alu instid0(VALU_DEP_2) | instskip(NEXT) | instid1(VALU_DEP_1)
	v_fmac_f64_e32 v[20:21], v[22:23], v[204:205]
	v_add_f64_e32 v[14:15], v[14:15], v[20:21]
.LBB78_481:                             ;   in Loop: Header=BB78_3 Depth=1
	s_or_b32 exec_lo, exec_lo, s35
	s_mov_b32 s46, 0
	s_mov_b32 s35, 0
	ds_store_b128 v200, v[12:15]
	s_wait_dscnt 0x0
	s_barrier_signal -1
	s_barrier_wait -1
                                        ; implicit-def: $vgpr2_vgpr3
                                        ; implicit-def: $vgpr20_vgpr21
	s_and_saveexec_b32 s47, s1
	s_cbranch_execz .LBB78_545
; %bb.482:                              ;   in Loop: Header=BB78_3 Depth=1
	ds_load_b128 v[20:23], v201 offset:512
	s_mov_b32 s35, exec_lo
	s_wait_dscnt 0x0
	v_add_f64_e32 v[2:3], v[12:13], v[20:21]
	v_add_f64_e32 v[20:21], v[14:15], v[22:23]
	ds_load_b128 v[12:15], v201 offset:1024
	s_wait_dscnt 0x0
	v_add_f64_e32 v[2:3], v[2:3], v[12:13]
	v_add_f64_e32 v[20:21], v[20:21], v[14:15]
	ds_load_b128 v[12:15], v201 offset:1536
	;; [unrolled: 4-line block ×14, first 2 shown]
	s_wait_dscnt 0x0
	v_add_f64_e32 v[20:21], v[2:3], v[12:13]
	v_add_f64_e32 v[2:3], v[22:23], v[14:15]
	s_or_b32 exec_lo, exec_lo, s47
	s_delay_alu instid0(SALU_CYCLE_1)
	s_and_b32 vcc_lo, exec_lo, s46
	s_cbranch_vccnz .LBB78_484
	s_branch .LBB78_546
.LBB78_483:                             ;   in Loop: Header=BB78_3 Depth=1
	s_mov_b32 s35, 0
                                        ; implicit-def: $vgpr2_vgpr3
                                        ; implicit-def: $vgpr20_vgpr21
	s_cbranch_execz .LBB78_546
.LBB78_484:                             ;   in Loop: Header=BB78_3 Depth=1
	v_dual_mov_b32 v0, v24 :: v_dual_mov_b32 v2, v136
	s_mov_b32 s46, 0
	s_branch .LBB78_486
.LBB78_485:                             ;   in Loop: Header=BB78_486 Depth=2
	s_or_b32 exec_lo, exec_lo, s47
	v_add_nc_u32_e32 v2, 0x400, v2
	v_add_nc_u32_e32 v0, -2, v0
	s_add_co_i32 s46, s46, 2
	s_delay_alu instid0(SALU_CYCLE_1)
	s_cmp_lg_u32 s46, 32
	s_barrier_signal -1
	s_barrier_wait -1
	s_cbranch_scc0 .LBB78_494
.LBB78_486:                             ;   Parent Loop BB78_3 Depth=1
                                        ; =>  This Inner Loop Header: Depth=2
	s_delay_alu instid0(VALU_DEP_1) | instskip(SKIP_1) | instid1(SALU_CYCLE_1)
	v_cmp_eq_u32_e32 vcc_lo, 0, v0
	s_and_b32 s91, s1, vcc_lo
	s_and_saveexec_b32 s47, s91
	s_cbranch_execz .LBB78_488
; %bb.487:                              ;   in Loop: Header=BB78_486 Depth=2
	ds_load_b128 v[12:15], v131
	s_wait_dscnt 0x0
	v_mul_f64_e32 v[20:21], v[18:19], v[14:15]
	v_mul_f64_e32 v[22:23], v[16:17], v[14:15]
	s_delay_alu instid0(VALU_DEP_2) | instskip(NEXT) | instid1(VALU_DEP_2)
	v_fma_f64 v[20:21], v[16:17], v[12:13], -v[20:21]
	v_fmac_f64_e32 v[22:23], v[18:19], v[12:13]
	s_delay_alu instid0(VALU_DEP_2) | instskip(NEXT) | instid1(VALU_DEP_2)
	v_mov_b64_e32 v[16:17], v[20:21]
	v_mov_b64_e32 v[18:19], v[22:23]
	ds_store_b128 v1, v[20:23] offset:25088
.LBB78_488:                             ;   in Loop: Header=BB78_486 Depth=2
	s_or_b32 exec_lo, exec_lo, s47
	v_cmp_lt_u32_e32 vcc_lo, s46, v24
	s_wait_dscnt 0x0
	s_barrier_signal -1
	s_barrier_wait -1
	s_and_b32 s91, s1, vcc_lo
	s_delay_alu instid0(SALU_CYCLE_1)
	s_and_saveexec_b32 s47, s91
	s_cbranch_execz .LBB78_490
; %bb.489:                              ;   in Loop: Header=BB78_486 Depth=2
	ds_load_b128 v[12:15], v1 offset:25088
	ds_load_b128 v[20:23], v2
	s_wait_dscnt 0x0
	v_mul_f64_e32 v[42:43], v[14:15], v[22:23]
	s_delay_alu instid0(VALU_DEP_1) | instskip(SKIP_1) | instid1(VALU_DEP_2)
	v_fma_f64 v[42:43], v[12:13], v[20:21], -v[42:43]
	v_mul_f64_e32 v[12:13], v[12:13], v[22:23]
	v_add_f64_e32 v[16:17], v[16:17], v[42:43]
	s_delay_alu instid0(VALU_DEP_2) | instskip(NEXT) | instid1(VALU_DEP_1)
	v_fmac_f64_e32 v[12:13], v[14:15], v[20:21]
	v_add_f64_e32 v[18:19], v[18:19], v[12:13]
.LBB78_490:                             ;   in Loop: Header=BB78_486 Depth=2
	s_or_b32 exec_lo, exec_lo, s47
	s_or_b32 s47, s46, 1
	s_delay_alu instid0(SALU_CYCLE_1) | instskip(SKIP_3) | instid1(SALU_CYCLE_1)
	v_cmp_eq_u32_e32 vcc_lo, s47, v24
	s_barrier_signal -1
	s_barrier_wait -1
	s_and_b32 s92, s1, vcc_lo
	s_and_saveexec_b32 s91, s92
	s_cbranch_execz .LBB78_492
; %bb.491:                              ;   in Loop: Header=BB78_486 Depth=2
	ds_load_b128 v[12:15], v131
	s_wait_dscnt 0x0
	v_mul_f64_e32 v[20:21], v[18:19], v[14:15]
	v_mul_f64_e32 v[22:23], v[16:17], v[14:15]
	s_delay_alu instid0(VALU_DEP_2) | instskip(NEXT) | instid1(VALU_DEP_2)
	v_fma_f64 v[20:21], v[16:17], v[12:13], -v[20:21]
	v_fmac_f64_e32 v[22:23], v[18:19], v[12:13]
	s_delay_alu instid0(VALU_DEP_2) | instskip(NEXT) | instid1(VALU_DEP_2)
	v_mov_b64_e32 v[16:17], v[20:21]
	v_mov_b64_e32 v[18:19], v[22:23]
	ds_store_b128 v1, v[20:23] offset:25088
.LBB78_492:                             ;   in Loop: Header=BB78_486 Depth=2
	s_or_b32 exec_lo, exec_lo, s91
	v_cmp_lt_u32_e32 vcc_lo, s47, v24
	s_wait_dscnt 0x0
	s_barrier_signal -1
	s_barrier_wait -1
	s_and_b32 s91, s1, vcc_lo
	s_delay_alu instid0(SALU_CYCLE_1)
	s_and_saveexec_b32 s47, s91
	s_cbranch_execz .LBB78_485
; %bb.493:                              ;   in Loop: Header=BB78_486 Depth=2
	ds_load_b128 v[12:15], v1 offset:25088
	ds_load_b128 v[20:23], v2 offset:512
	s_wait_dscnt 0x0
	v_mul_f64_e32 v[42:43], v[14:15], v[22:23]
	s_delay_alu instid0(VALU_DEP_1) | instskip(SKIP_1) | instid1(VALU_DEP_2)
	v_fma_f64 v[42:43], v[12:13], v[20:21], -v[42:43]
	v_mul_f64_e32 v[12:13], v[12:13], v[22:23]
	v_add_f64_e32 v[16:17], v[16:17], v[42:43]
	s_delay_alu instid0(VALU_DEP_2) | instskip(NEXT) | instid1(VALU_DEP_1)
	v_fmac_f64_e32 v[12:13], v[14:15], v[20:21]
	v_add_f64_e32 v[18:19], v[18:19], v[12:13]
	s_branch .LBB78_485
.LBB78_494:                             ;   in Loop: Header=BB78_3 Depth=1
	s_and_b32 vcc_lo, exec_lo, s60
	s_mov_b32 s46, -1
	s_cbranch_vccz .LBB78_496
; %bb.495:                              ;   in Loop: Header=BB78_3 Depth=1
	s_and_not1_b32 s35, s35, exec_lo
	s_and_b32 s47, s1, exec_lo
	s_mov_b32 s46, 0
	s_or_b32 s35, s35, s47
.LBB78_496:                             ;   in Loop: Header=BB78_3 Depth=1
	s_and_not1_b32 vcc_lo, exec_lo, s46
	s_cbranch_vccnz .LBB78_498
; %bb.497:                              ;   in Loop: Header=BB78_3 Depth=1
	v_readlane_b32 s46, v203, 8
	s_and_not1_b32 s35, s35, exec_lo
	s_and_b32 s46, s46, exec_lo
	s_delay_alu instid0(SALU_CYCLE_1)
	s_or_b32 s35, s35, s46
.LBB78_498:                             ;   in Loop: Header=BB78_3 Depth=1
	v_mov_b64_e32 v[2:3], v[34:35]
	s_and_saveexec_b32 s46, s35
	s_cbranch_execnz .LBB78_547
	s_branch .LBB78_548
.LBB78_499:                             ;   in Loop: Header=BB78_3 Depth=1
	s_mov_b32 s46, exec_lo
	v_readlane_b32 s47, v203, 9
	s_and_b32 s47, s46, s47
	s_delay_alu instid0(SALU_CYCLE_1)
	s_xor_b32 s46, s47, s46
	s_mov_b32 exec_lo, s47
	s_cbranch_execz .LBB78_503
; %bb.500:                              ;   in Loop: Header=BB78_3 Depth=1
	s_mov_b32 s47, exec_lo
	v_readlane_b32 s91, v203, 24
	s_and_b32 s91, s47, s91
	s_delay_alu instid0(SALU_CYCLE_1)
	s_mov_b32 exec_lo, s91
; %bb.501:                              ;   in Loop: Header=BB78_3 Depth=1
	v_dual_mov_b32 v0, v1 :: v_dual_mov_b32 v2, v1
	v_mov_b32_e32 v3, v1
	ds_store_b128 v198, v[0:3]
; %bb.502:                              ;   in Loop: Header=BB78_3 Depth=1
	s_or_b32 exec_lo, exec_lo, s47
.LBB78_503:                             ;   in Loop: Header=BB78_3 Depth=1
	s_and_not1_saveexec_b32 s46, s46
	s_cbranch_execz .LBB78_509
; %bb.504:                              ;   in Loop: Header=BB78_3 Depth=1
	v_lshl_add_u64 v[2:3], v[30:31], 4, s[40:41]
                                        ; implicit-def: $vgpr20_vgpr21
	global_load_b128 v[16:19], v[2:3], off
	s_wait_loadcnt 0x0
	v_cmp_ngt_f64_e64 s47, |v[16:17]|, |v[18:19]|
	s_and_saveexec_b32 s91, s47
	s_delay_alu instid0(SALU_CYCLE_1)
	s_xor_b32 s47, exec_lo, s91
	s_cbranch_execz .LBB78_506
; %bb.505:                              ;   in Loop: Header=BB78_3 Depth=1
	v_div_scale_f64 v[2:3], null, -v[18:19], -v[18:19], v[16:17]
	v_div_scale_f64 v[204:205], vcc_lo, v[16:17], -v[18:19], v[16:17]
	s_delay_alu instid0(VALU_DEP_2) | instskip(SKIP_1) | instid1(TRANS32_DEP_1)
	v_rcp_f64_e32 v[20:21], v[2:3]
	v_nop
	v_fma_f64 v[22:23], -v[2:3], v[20:21], 1.0
	s_delay_alu instid0(VALU_DEP_1) | instskip(NEXT) | instid1(VALU_DEP_1)
	v_fmac_f64_e32 v[20:21], v[20:21], v[22:23]
	v_fma_f64 v[22:23], -v[2:3], v[20:21], 1.0
	s_delay_alu instid0(VALU_DEP_1) | instskip(NEXT) | instid1(VALU_DEP_1)
	v_fmac_f64_e32 v[20:21], v[20:21], v[22:23]
	v_mul_f64_e32 v[22:23], v[204:205], v[20:21]
	s_delay_alu instid0(VALU_DEP_1) | instskip(NEXT) | instid1(VALU_DEP_1)
	v_fma_f64 v[2:3], -v[2:3], v[22:23], v[204:205]
	v_div_fmas_f64 v[2:3], v[2:3], v[20:21], v[22:23]
	s_delay_alu instid0(VALU_DEP_1) | instskip(NEXT) | instid1(VALU_DEP_1)
	v_div_fixup_f64 v[2:3], v[2:3], -v[18:19], v[16:17]
	v_fma_f64 v[16:17], v[16:17], v[2:3], -v[18:19]
	s_delay_alu instid0(VALU_DEP_1) | instskip(NEXT) | instid1(VALU_DEP_1)
	v_div_scale_f64 v[18:19], null, v[16:17], v[16:17], 1.0
	v_rcp_f64_e32 v[20:21], v[18:19]
	v_nop
	s_delay_alu instid0(TRANS32_DEP_1) | instskip(NEXT) | instid1(VALU_DEP_1)
	v_fma_f64 v[22:23], -v[18:19], v[20:21], 1.0
	v_fmac_f64_e32 v[20:21], v[20:21], v[22:23]
	s_delay_alu instid0(VALU_DEP_1) | instskip(NEXT) | instid1(VALU_DEP_1)
	v_fma_f64 v[22:23], -v[18:19], v[20:21], 1.0
	v_fmac_f64_e32 v[20:21], v[20:21], v[22:23]
	v_div_scale_f64 v[22:23], vcc_lo, 1.0, v[16:17], 1.0
	s_delay_alu instid0(VALU_DEP_1) | instskip(NEXT) | instid1(VALU_DEP_1)
	v_mul_f64_e32 v[204:205], v[22:23], v[20:21]
	v_fma_f64 v[18:19], -v[18:19], v[204:205], v[22:23]
	s_delay_alu instid0(VALU_DEP_1) | instskip(NEXT) | instid1(VALU_DEP_1)
	v_div_fmas_f64 v[18:19], v[18:19], v[20:21], v[204:205]
	v_div_fixup_f64 v[22:23], v[18:19], v[16:17], 1.0
                                        ; implicit-def: $vgpr16_vgpr17
	s_delay_alu instid0(VALU_DEP_1)
	v_mul_f64_e32 v[20:21], v[2:3], v[22:23]
	v_xor_b32_e32 v23, 0x80000000, v23
.LBB78_506:                             ;   in Loop: Header=BB78_3 Depth=1
	s_and_not1_saveexec_b32 s47, s47
	s_cbranch_execz .LBB78_508
; %bb.507:                              ;   in Loop: Header=BB78_3 Depth=1
	v_div_scale_f64 v[2:3], null, v[16:17], v[16:17], -v[18:19]
	v_div_scale_f64 v[204:205], vcc_lo, -v[18:19], v[16:17], -v[18:19]
	s_delay_alu instid0(VALU_DEP_2) | instskip(SKIP_1) | instid1(TRANS32_DEP_1)
	v_rcp_f64_e32 v[20:21], v[2:3]
	v_nop
	v_fma_f64 v[22:23], -v[2:3], v[20:21], 1.0
	s_delay_alu instid0(VALU_DEP_1) | instskip(NEXT) | instid1(VALU_DEP_1)
	v_fmac_f64_e32 v[20:21], v[20:21], v[22:23]
	v_fma_f64 v[22:23], -v[2:3], v[20:21], 1.0
	s_delay_alu instid0(VALU_DEP_1) | instskip(NEXT) | instid1(VALU_DEP_1)
	v_fmac_f64_e32 v[20:21], v[20:21], v[22:23]
	v_mul_f64_e32 v[22:23], v[204:205], v[20:21]
	s_delay_alu instid0(VALU_DEP_1) | instskip(NEXT) | instid1(VALU_DEP_1)
	v_fma_f64 v[2:3], -v[2:3], v[22:23], v[204:205]
	v_div_fmas_f64 v[2:3], v[2:3], v[20:21], v[22:23]
	s_delay_alu instid0(VALU_DEP_1) | instskip(NEXT) | instid1(VALU_DEP_1)
	v_div_fixup_f64 v[2:3], v[2:3], v[16:17], -v[18:19]
	v_fma_f64 v[16:17], -v[18:19], v[2:3], v[16:17]
	s_delay_alu instid0(VALU_DEP_1) | instskip(NEXT) | instid1(VALU_DEP_1)
	v_div_scale_f64 v[18:19], null, v[16:17], v[16:17], 1.0
	v_rcp_f64_e32 v[20:21], v[18:19]
	v_nop
	s_delay_alu instid0(TRANS32_DEP_1) | instskip(NEXT) | instid1(VALU_DEP_1)
	v_fma_f64 v[22:23], -v[18:19], v[20:21], 1.0
	v_fmac_f64_e32 v[20:21], v[20:21], v[22:23]
	s_delay_alu instid0(VALU_DEP_1) | instskip(NEXT) | instid1(VALU_DEP_1)
	v_fma_f64 v[22:23], -v[18:19], v[20:21], 1.0
	v_fmac_f64_e32 v[20:21], v[20:21], v[22:23]
	v_div_scale_f64 v[22:23], vcc_lo, 1.0, v[16:17], 1.0
	s_delay_alu instid0(VALU_DEP_1) | instskip(NEXT) | instid1(VALU_DEP_1)
	v_mul_f64_e32 v[204:205], v[22:23], v[20:21]
	v_fma_f64 v[18:19], -v[18:19], v[204:205], v[22:23]
	s_delay_alu instid0(VALU_DEP_1) | instskip(NEXT) | instid1(VALU_DEP_1)
	v_div_fmas_f64 v[18:19], v[18:19], v[20:21], v[204:205]
	v_div_fixup_f64 v[20:21], v[18:19], v[16:17], 1.0
	s_delay_alu instid0(VALU_DEP_1)
	v_mul_f64_e64 v[22:23], v[2:3], -v[20:21]
.LBB78_508:                             ;   in Loop: Header=BB78_3 Depth=1
	s_or_b32 exec_lo, exec_lo, s47
	ds_store_b128 v198, v[20:23]
.LBB78_509:                             ;   in Loop: Header=BB78_3 Depth=1
	s_or_b32 exec_lo, exec_lo, s46
	s_and_not1_saveexec_b32 s35, s35
	s_cbranch_execz .LBB78_13
.LBB78_510:                             ;   in Loop: Header=BB78_3 Depth=1
	v_lshl_add_u64 v[2:3], v[30:31], 4, s[40:41]
	global_load_b128 v[16:19], v[2:3], off
	s_wait_loadcnt 0x0
	v_xor_b32_e32 v17, 0x80000000, v17
	ds_store_b128 v198, v[16:19]
	s_or_b32 exec_lo, exec_lo, s35
	s_and_saveexec_b32 s35, s7
	s_delay_alu instid0(SALU_CYCLE_1)
	s_xor_b32 s35, exec_lo, s35
	s_cbranch_execz .LBB78_14
.LBB78_511:                             ;   in Loop: Header=BB78_3 Depth=1
	s_mov_b32 s46, exec_lo
	v_readlane_b32 s47, v203, 11
	s_and_b32 s47, s46, s47
	s_delay_alu instid0(SALU_CYCLE_1)
	s_xor_b32 s46, s47, s46
	s_mov_b32 exec_lo, s47
	s_cbranch_execz .LBB78_515
; %bb.512:                              ;   in Loop: Header=BB78_3 Depth=1
	s_mov_b32 s47, exec_lo
	v_readlane_b32 s91, v203, 25
	s_and_b32 s91, s47, s91
	s_delay_alu instid0(SALU_CYCLE_1)
	s_mov_b32 exec_lo, s91
; %bb.513:                              ;   in Loop: Header=BB78_3 Depth=1
	v_dual_mov_b32 v0, v1 :: v_dual_mov_b32 v2, v1
	v_mov_b32_e32 v3, v1
	ds_store_b128 v199, v[0:3]
; %bb.514:                              ;   in Loop: Header=BB78_3 Depth=1
	s_or_b32 exec_lo, exec_lo, s47
.LBB78_515:                             ;   in Loop: Header=BB78_3 Depth=1
	s_and_not1_saveexec_b32 s46, s46
	s_cbranch_execz .LBB78_521
; %bb.516:                              ;   in Loop: Header=BB78_3 Depth=1
	v_lshl_add_u64 v[2:3], v[32:33], 4, s[40:41]
                                        ; implicit-def: $vgpr20_vgpr21
	global_load_b128 v[16:19], v[2:3], off
	s_wait_loadcnt 0x0
	v_cmp_ngt_f64_e64 s47, |v[16:17]|, |v[18:19]|
	s_and_saveexec_b32 s91, s47
	s_delay_alu instid0(SALU_CYCLE_1)
	s_xor_b32 s47, exec_lo, s91
	s_cbranch_execz .LBB78_518
; %bb.517:                              ;   in Loop: Header=BB78_3 Depth=1
	v_div_scale_f64 v[2:3], null, -v[18:19], -v[18:19], v[16:17]
	v_div_scale_f64 v[204:205], vcc_lo, v[16:17], -v[18:19], v[16:17]
	s_delay_alu instid0(VALU_DEP_2) | instskip(SKIP_1) | instid1(TRANS32_DEP_1)
	v_rcp_f64_e32 v[20:21], v[2:3]
	v_nop
	v_fma_f64 v[22:23], -v[2:3], v[20:21], 1.0
	s_delay_alu instid0(VALU_DEP_1) | instskip(NEXT) | instid1(VALU_DEP_1)
	v_fmac_f64_e32 v[20:21], v[20:21], v[22:23]
	v_fma_f64 v[22:23], -v[2:3], v[20:21], 1.0
	s_delay_alu instid0(VALU_DEP_1) | instskip(NEXT) | instid1(VALU_DEP_1)
	v_fmac_f64_e32 v[20:21], v[20:21], v[22:23]
	v_mul_f64_e32 v[22:23], v[204:205], v[20:21]
	s_delay_alu instid0(VALU_DEP_1) | instskip(NEXT) | instid1(VALU_DEP_1)
	v_fma_f64 v[2:3], -v[2:3], v[22:23], v[204:205]
	v_div_fmas_f64 v[2:3], v[2:3], v[20:21], v[22:23]
	s_delay_alu instid0(VALU_DEP_1) | instskip(NEXT) | instid1(VALU_DEP_1)
	v_div_fixup_f64 v[2:3], v[2:3], -v[18:19], v[16:17]
	v_fma_f64 v[16:17], v[16:17], v[2:3], -v[18:19]
	s_delay_alu instid0(VALU_DEP_1) | instskip(NEXT) | instid1(VALU_DEP_1)
	v_div_scale_f64 v[18:19], null, v[16:17], v[16:17], 1.0
	v_rcp_f64_e32 v[20:21], v[18:19]
	v_nop
	s_delay_alu instid0(TRANS32_DEP_1) | instskip(NEXT) | instid1(VALU_DEP_1)
	v_fma_f64 v[22:23], -v[18:19], v[20:21], 1.0
	v_fmac_f64_e32 v[20:21], v[20:21], v[22:23]
	s_delay_alu instid0(VALU_DEP_1) | instskip(NEXT) | instid1(VALU_DEP_1)
	v_fma_f64 v[22:23], -v[18:19], v[20:21], 1.0
	v_fmac_f64_e32 v[20:21], v[20:21], v[22:23]
	v_div_scale_f64 v[22:23], vcc_lo, 1.0, v[16:17], 1.0
	s_delay_alu instid0(VALU_DEP_1) | instskip(NEXT) | instid1(VALU_DEP_1)
	v_mul_f64_e32 v[204:205], v[22:23], v[20:21]
	v_fma_f64 v[18:19], -v[18:19], v[204:205], v[22:23]
	s_delay_alu instid0(VALU_DEP_1) | instskip(NEXT) | instid1(VALU_DEP_1)
	v_div_fmas_f64 v[18:19], v[18:19], v[20:21], v[204:205]
	v_div_fixup_f64 v[22:23], v[18:19], v[16:17], 1.0
                                        ; implicit-def: $vgpr16_vgpr17
	s_delay_alu instid0(VALU_DEP_1)
	v_mul_f64_e32 v[20:21], v[2:3], v[22:23]
	v_xor_b32_e32 v23, 0x80000000, v23
.LBB78_518:                             ;   in Loop: Header=BB78_3 Depth=1
	s_and_not1_saveexec_b32 s47, s47
	s_cbranch_execz .LBB78_520
; %bb.519:                              ;   in Loop: Header=BB78_3 Depth=1
	v_div_scale_f64 v[2:3], null, v[16:17], v[16:17], -v[18:19]
	v_div_scale_f64 v[204:205], vcc_lo, -v[18:19], v[16:17], -v[18:19]
	s_delay_alu instid0(VALU_DEP_2) | instskip(SKIP_1) | instid1(TRANS32_DEP_1)
	v_rcp_f64_e32 v[20:21], v[2:3]
	v_nop
	v_fma_f64 v[22:23], -v[2:3], v[20:21], 1.0
	s_delay_alu instid0(VALU_DEP_1) | instskip(NEXT) | instid1(VALU_DEP_1)
	v_fmac_f64_e32 v[20:21], v[20:21], v[22:23]
	v_fma_f64 v[22:23], -v[2:3], v[20:21], 1.0
	s_delay_alu instid0(VALU_DEP_1) | instskip(NEXT) | instid1(VALU_DEP_1)
	v_fmac_f64_e32 v[20:21], v[20:21], v[22:23]
	v_mul_f64_e32 v[22:23], v[204:205], v[20:21]
	s_delay_alu instid0(VALU_DEP_1) | instskip(NEXT) | instid1(VALU_DEP_1)
	v_fma_f64 v[2:3], -v[2:3], v[22:23], v[204:205]
	v_div_fmas_f64 v[2:3], v[2:3], v[20:21], v[22:23]
	s_delay_alu instid0(VALU_DEP_1) | instskip(NEXT) | instid1(VALU_DEP_1)
	v_div_fixup_f64 v[2:3], v[2:3], v[16:17], -v[18:19]
	v_fma_f64 v[16:17], -v[18:19], v[2:3], v[16:17]
	s_delay_alu instid0(VALU_DEP_1) | instskip(NEXT) | instid1(VALU_DEP_1)
	v_div_scale_f64 v[18:19], null, v[16:17], v[16:17], 1.0
	v_rcp_f64_e32 v[20:21], v[18:19]
	v_nop
	s_delay_alu instid0(TRANS32_DEP_1) | instskip(NEXT) | instid1(VALU_DEP_1)
	v_fma_f64 v[22:23], -v[18:19], v[20:21], 1.0
	v_fmac_f64_e32 v[20:21], v[20:21], v[22:23]
	s_delay_alu instid0(VALU_DEP_1) | instskip(NEXT) | instid1(VALU_DEP_1)
	v_fma_f64 v[22:23], -v[18:19], v[20:21], 1.0
	v_fmac_f64_e32 v[20:21], v[20:21], v[22:23]
	v_div_scale_f64 v[22:23], vcc_lo, 1.0, v[16:17], 1.0
	s_delay_alu instid0(VALU_DEP_1) | instskip(NEXT) | instid1(VALU_DEP_1)
	v_mul_f64_e32 v[204:205], v[22:23], v[20:21]
	v_fma_f64 v[18:19], -v[18:19], v[204:205], v[22:23]
	s_delay_alu instid0(VALU_DEP_1) | instskip(NEXT) | instid1(VALU_DEP_1)
	v_div_fmas_f64 v[18:19], v[18:19], v[20:21], v[204:205]
	v_div_fixup_f64 v[20:21], v[18:19], v[16:17], 1.0
	s_delay_alu instid0(VALU_DEP_1)
	v_mul_f64_e64 v[22:23], v[2:3], -v[20:21]
.LBB78_520:                             ;   in Loop: Header=BB78_3 Depth=1
	s_or_b32 exec_lo, exec_lo, s47
	ds_store_b128 v199, v[20:23]
.LBB78_521:                             ;   in Loop: Header=BB78_3 Depth=1
	s_or_b32 exec_lo, exec_lo, s46
	s_and_not1_saveexec_b32 s35, s35
	s_cbranch_execnz .LBB78_15
	s_branch .LBB78_16
.LBB78_522:                             ;   in Loop: Header=BB78_3 Depth=1
	s_mov_b32 s46, exec_lo
	v_readlane_b32 s47, v203, 10
	s_and_b32 s47, s46, s47
	s_delay_alu instid0(SALU_CYCLE_1)
	s_xor_b32 s46, s47, s46
	s_mov_b32 exec_lo, s47
	s_cbranch_execz .LBB78_526
; %bb.523:                              ;   in Loop: Header=BB78_3 Depth=1
	s_mov_b32 s47, exec_lo
	v_readlane_b32 s91, v203, 24
	s_and_b32 s91, s47, s91
	s_delay_alu instid0(SALU_CYCLE_1)
	s_mov_b32 exec_lo, s91
; %bb.524:                              ;   in Loop: Header=BB78_3 Depth=1
	v_dual_mov_b32 v0, v1 :: v_dual_mov_b32 v2, v1
	v_mov_b32_e32 v3, v1
	ds_store_b128 v128, v[0:3]
; %bb.525:                              ;   in Loop: Header=BB78_3 Depth=1
	s_or_b32 exec_lo, exec_lo, s47
.LBB78_526:                             ;   in Loop: Header=BB78_3 Depth=1
	s_and_not1_saveexec_b32 s46, s46
	s_cbranch_execz .LBB78_532
; %bb.527:                              ;   in Loop: Header=BB78_3 Depth=1
	v_lshl_add_u64 v[2:3], v[30:31], 4, s[40:41]
                                        ; implicit-def: $vgpr20_vgpr21
	global_load_b128 v[16:19], v[2:3], off
	s_wait_loadcnt 0x0
	v_cmp_ngt_f64_e64 s47, |v[16:17]|, |v[18:19]|
	s_and_saveexec_b32 s91, s47
	s_delay_alu instid0(SALU_CYCLE_1)
	s_xor_b32 s47, exec_lo, s91
	s_cbranch_execz .LBB78_529
; %bb.528:                              ;   in Loop: Header=BB78_3 Depth=1
	v_div_scale_f64 v[2:3], null, -v[18:19], -v[18:19], v[16:17]
	v_div_scale_f64 v[204:205], vcc_lo, v[16:17], -v[18:19], v[16:17]
	s_delay_alu instid0(VALU_DEP_2) | instskip(SKIP_1) | instid1(TRANS32_DEP_1)
	v_rcp_f64_e32 v[20:21], v[2:3]
	v_nop
	v_fma_f64 v[22:23], -v[2:3], v[20:21], 1.0
	s_delay_alu instid0(VALU_DEP_1) | instskip(NEXT) | instid1(VALU_DEP_1)
	v_fmac_f64_e32 v[20:21], v[20:21], v[22:23]
	v_fma_f64 v[22:23], -v[2:3], v[20:21], 1.0
	s_delay_alu instid0(VALU_DEP_1) | instskip(NEXT) | instid1(VALU_DEP_1)
	v_fmac_f64_e32 v[20:21], v[20:21], v[22:23]
	v_mul_f64_e32 v[22:23], v[204:205], v[20:21]
	s_delay_alu instid0(VALU_DEP_1) | instskip(NEXT) | instid1(VALU_DEP_1)
	v_fma_f64 v[2:3], -v[2:3], v[22:23], v[204:205]
	v_div_fmas_f64 v[2:3], v[2:3], v[20:21], v[22:23]
	s_delay_alu instid0(VALU_DEP_1) | instskip(NEXT) | instid1(VALU_DEP_1)
	v_div_fixup_f64 v[2:3], v[2:3], -v[18:19], v[16:17]
	v_fma_f64 v[16:17], v[16:17], v[2:3], -v[18:19]
	s_delay_alu instid0(VALU_DEP_1) | instskip(NEXT) | instid1(VALU_DEP_1)
	v_div_scale_f64 v[18:19], null, v[16:17], v[16:17], 1.0
	v_rcp_f64_e32 v[20:21], v[18:19]
	v_nop
	s_delay_alu instid0(TRANS32_DEP_1) | instskip(NEXT) | instid1(VALU_DEP_1)
	v_fma_f64 v[22:23], -v[18:19], v[20:21], 1.0
	v_fmac_f64_e32 v[20:21], v[20:21], v[22:23]
	s_delay_alu instid0(VALU_DEP_1) | instskip(NEXT) | instid1(VALU_DEP_1)
	v_fma_f64 v[22:23], -v[18:19], v[20:21], 1.0
	v_fmac_f64_e32 v[20:21], v[20:21], v[22:23]
	v_div_scale_f64 v[22:23], vcc_lo, 1.0, v[16:17], 1.0
	s_delay_alu instid0(VALU_DEP_1) | instskip(NEXT) | instid1(VALU_DEP_1)
	v_mul_f64_e32 v[204:205], v[22:23], v[20:21]
	v_fma_f64 v[18:19], -v[18:19], v[204:205], v[22:23]
	s_delay_alu instid0(VALU_DEP_1) | instskip(NEXT) | instid1(VALU_DEP_1)
	v_div_fmas_f64 v[18:19], v[18:19], v[20:21], v[204:205]
	v_div_fixup_f64 v[22:23], v[18:19], v[16:17], 1.0
                                        ; implicit-def: $vgpr16_vgpr17
	s_delay_alu instid0(VALU_DEP_1)
	v_mul_f64_e32 v[20:21], v[2:3], v[22:23]
	v_xor_b32_e32 v23, 0x80000000, v23
.LBB78_529:                             ;   in Loop: Header=BB78_3 Depth=1
	s_and_not1_saveexec_b32 s47, s47
	s_cbranch_execz .LBB78_531
; %bb.530:                              ;   in Loop: Header=BB78_3 Depth=1
	v_div_scale_f64 v[2:3], null, v[16:17], v[16:17], -v[18:19]
	v_div_scale_f64 v[204:205], vcc_lo, -v[18:19], v[16:17], -v[18:19]
	s_delay_alu instid0(VALU_DEP_2) | instskip(SKIP_1) | instid1(TRANS32_DEP_1)
	v_rcp_f64_e32 v[20:21], v[2:3]
	v_nop
	v_fma_f64 v[22:23], -v[2:3], v[20:21], 1.0
	s_delay_alu instid0(VALU_DEP_1) | instskip(NEXT) | instid1(VALU_DEP_1)
	v_fmac_f64_e32 v[20:21], v[20:21], v[22:23]
	v_fma_f64 v[22:23], -v[2:3], v[20:21], 1.0
	s_delay_alu instid0(VALU_DEP_1) | instskip(NEXT) | instid1(VALU_DEP_1)
	v_fmac_f64_e32 v[20:21], v[20:21], v[22:23]
	v_mul_f64_e32 v[22:23], v[204:205], v[20:21]
	s_delay_alu instid0(VALU_DEP_1) | instskip(NEXT) | instid1(VALU_DEP_1)
	v_fma_f64 v[2:3], -v[2:3], v[22:23], v[204:205]
	v_div_fmas_f64 v[2:3], v[2:3], v[20:21], v[22:23]
	s_delay_alu instid0(VALU_DEP_1) | instskip(NEXT) | instid1(VALU_DEP_1)
	v_div_fixup_f64 v[2:3], v[2:3], v[16:17], -v[18:19]
	v_fma_f64 v[16:17], -v[18:19], v[2:3], v[16:17]
	s_delay_alu instid0(VALU_DEP_1) | instskip(NEXT) | instid1(VALU_DEP_1)
	v_div_scale_f64 v[18:19], null, v[16:17], v[16:17], 1.0
	v_rcp_f64_e32 v[20:21], v[18:19]
	v_nop
	s_delay_alu instid0(TRANS32_DEP_1) | instskip(NEXT) | instid1(VALU_DEP_1)
	v_fma_f64 v[22:23], -v[18:19], v[20:21], 1.0
	v_fmac_f64_e32 v[20:21], v[20:21], v[22:23]
	s_delay_alu instid0(VALU_DEP_1) | instskip(NEXT) | instid1(VALU_DEP_1)
	v_fma_f64 v[22:23], -v[18:19], v[20:21], 1.0
	v_fmac_f64_e32 v[20:21], v[20:21], v[22:23]
	v_div_scale_f64 v[22:23], vcc_lo, 1.0, v[16:17], 1.0
	s_delay_alu instid0(VALU_DEP_1) | instskip(NEXT) | instid1(VALU_DEP_1)
	v_mul_f64_e32 v[204:205], v[22:23], v[20:21]
	v_fma_f64 v[18:19], -v[18:19], v[204:205], v[22:23]
	s_delay_alu instid0(VALU_DEP_1) | instskip(NEXT) | instid1(VALU_DEP_1)
	v_div_fmas_f64 v[18:19], v[18:19], v[20:21], v[204:205]
	v_div_fixup_f64 v[20:21], v[18:19], v[16:17], 1.0
	s_delay_alu instid0(VALU_DEP_1)
	v_mul_f64_e64 v[22:23], v[2:3], -v[20:21]
.LBB78_531:                             ;   in Loop: Header=BB78_3 Depth=1
	s_or_b32 exec_lo, exec_lo, s47
	ds_store_b128 v128, v[20:23]
.LBB78_532:                             ;   in Loop: Header=BB78_3 Depth=1
	s_or_b32 exec_lo, exec_lo, s46
	s_and_not1_saveexec_b32 s35, s35
	s_cbranch_execz .LBB78_19
.LBB78_533:                             ;   in Loop: Header=BB78_3 Depth=1
	v_lshl_add_u64 v[2:3], v[30:31], 4, s[40:41]
	global_load_b128 v[16:19], v[2:3], off
	s_wait_loadcnt 0x0
	v_xor_b32_e32 v17, 0x80000000, v17
	ds_store_b128 v128, v[16:19]
	s_or_b32 exec_lo, exec_lo, s35
	s_and_saveexec_b32 s35, s90
	s_delay_alu instid0(SALU_CYCLE_1)
	s_xor_b32 s35, exec_lo, s35
	s_cbranch_execz .LBB78_20
.LBB78_534:                             ;   in Loop: Header=BB78_3 Depth=1
	s_mov_b32 s46, exec_lo
	v_readlane_b32 s47, v203, 12
	s_and_b32 s47, s46, s47
	s_delay_alu instid0(SALU_CYCLE_1)
	s_xor_b32 s46, s47, s46
	s_mov_b32 exec_lo, s47
	s_cbranch_execz .LBB78_538
; %bb.535:                              ;   in Loop: Header=BB78_3 Depth=1
	s_mov_b32 s47, exec_lo
	v_readlane_b32 s91, v203, 25
	s_and_b32 s91, s47, s91
	s_delay_alu instid0(SALU_CYCLE_1)
	s_mov_b32 exec_lo, s91
; %bb.536:                              ;   in Loop: Header=BB78_3 Depth=1
	v_dual_mov_b32 v0, v1 :: v_dual_mov_b32 v2, v1
	v_mov_b32_e32 v3, v1
	ds_store_b128 v199, v[0:3]
; %bb.537:                              ;   in Loop: Header=BB78_3 Depth=1
	s_or_b32 exec_lo, exec_lo, s47
.LBB78_538:                             ;   in Loop: Header=BB78_3 Depth=1
	s_and_not1_saveexec_b32 s46, s46
	s_cbranch_execz .LBB78_544
; %bb.539:                              ;   in Loop: Header=BB78_3 Depth=1
	v_lshl_add_u64 v[2:3], v[32:33], 4, s[40:41]
                                        ; implicit-def: $vgpr20_vgpr21
	global_load_b128 v[16:19], v[2:3], off
	s_wait_loadcnt 0x0
	v_cmp_ngt_f64_e64 s47, |v[16:17]|, |v[18:19]|
	s_and_saveexec_b32 s91, s47
	s_delay_alu instid0(SALU_CYCLE_1)
	s_xor_b32 s47, exec_lo, s91
	s_cbranch_execz .LBB78_541
; %bb.540:                              ;   in Loop: Header=BB78_3 Depth=1
	v_div_scale_f64 v[2:3], null, -v[18:19], -v[18:19], v[16:17]
	v_div_scale_f64 v[204:205], vcc_lo, v[16:17], -v[18:19], v[16:17]
	s_delay_alu instid0(VALU_DEP_2) | instskip(SKIP_1) | instid1(TRANS32_DEP_1)
	v_rcp_f64_e32 v[20:21], v[2:3]
	v_nop
	v_fma_f64 v[22:23], -v[2:3], v[20:21], 1.0
	s_delay_alu instid0(VALU_DEP_1) | instskip(NEXT) | instid1(VALU_DEP_1)
	v_fmac_f64_e32 v[20:21], v[20:21], v[22:23]
	v_fma_f64 v[22:23], -v[2:3], v[20:21], 1.0
	s_delay_alu instid0(VALU_DEP_1) | instskip(NEXT) | instid1(VALU_DEP_1)
	v_fmac_f64_e32 v[20:21], v[20:21], v[22:23]
	v_mul_f64_e32 v[22:23], v[204:205], v[20:21]
	s_delay_alu instid0(VALU_DEP_1) | instskip(NEXT) | instid1(VALU_DEP_1)
	v_fma_f64 v[2:3], -v[2:3], v[22:23], v[204:205]
	v_div_fmas_f64 v[2:3], v[2:3], v[20:21], v[22:23]
	s_delay_alu instid0(VALU_DEP_1) | instskip(NEXT) | instid1(VALU_DEP_1)
	v_div_fixup_f64 v[2:3], v[2:3], -v[18:19], v[16:17]
	v_fma_f64 v[16:17], v[16:17], v[2:3], -v[18:19]
	s_delay_alu instid0(VALU_DEP_1) | instskip(NEXT) | instid1(VALU_DEP_1)
	v_div_scale_f64 v[18:19], null, v[16:17], v[16:17], 1.0
	v_rcp_f64_e32 v[20:21], v[18:19]
	v_nop
	s_delay_alu instid0(TRANS32_DEP_1) | instskip(NEXT) | instid1(VALU_DEP_1)
	v_fma_f64 v[22:23], -v[18:19], v[20:21], 1.0
	v_fmac_f64_e32 v[20:21], v[20:21], v[22:23]
	s_delay_alu instid0(VALU_DEP_1) | instskip(NEXT) | instid1(VALU_DEP_1)
	v_fma_f64 v[22:23], -v[18:19], v[20:21], 1.0
	v_fmac_f64_e32 v[20:21], v[20:21], v[22:23]
	v_div_scale_f64 v[22:23], vcc_lo, 1.0, v[16:17], 1.0
	s_delay_alu instid0(VALU_DEP_1) | instskip(NEXT) | instid1(VALU_DEP_1)
	v_mul_f64_e32 v[204:205], v[22:23], v[20:21]
	v_fma_f64 v[18:19], -v[18:19], v[204:205], v[22:23]
	s_delay_alu instid0(VALU_DEP_1) | instskip(NEXT) | instid1(VALU_DEP_1)
	v_div_fmas_f64 v[18:19], v[18:19], v[20:21], v[204:205]
	v_div_fixup_f64 v[22:23], v[18:19], v[16:17], 1.0
                                        ; implicit-def: $vgpr16_vgpr17
	s_delay_alu instid0(VALU_DEP_1)
	v_mul_f64_e32 v[20:21], v[2:3], v[22:23]
	v_xor_b32_e32 v23, 0x80000000, v23
.LBB78_541:                             ;   in Loop: Header=BB78_3 Depth=1
	s_and_not1_saveexec_b32 s47, s47
	s_cbranch_execz .LBB78_543
; %bb.542:                              ;   in Loop: Header=BB78_3 Depth=1
	v_div_scale_f64 v[2:3], null, v[16:17], v[16:17], -v[18:19]
	v_div_scale_f64 v[204:205], vcc_lo, -v[18:19], v[16:17], -v[18:19]
	s_delay_alu instid0(VALU_DEP_2) | instskip(SKIP_1) | instid1(TRANS32_DEP_1)
	v_rcp_f64_e32 v[20:21], v[2:3]
	v_nop
	v_fma_f64 v[22:23], -v[2:3], v[20:21], 1.0
	s_delay_alu instid0(VALU_DEP_1) | instskip(NEXT) | instid1(VALU_DEP_1)
	v_fmac_f64_e32 v[20:21], v[20:21], v[22:23]
	v_fma_f64 v[22:23], -v[2:3], v[20:21], 1.0
	s_delay_alu instid0(VALU_DEP_1) | instskip(NEXT) | instid1(VALU_DEP_1)
	v_fmac_f64_e32 v[20:21], v[20:21], v[22:23]
	v_mul_f64_e32 v[22:23], v[204:205], v[20:21]
	s_delay_alu instid0(VALU_DEP_1) | instskip(NEXT) | instid1(VALU_DEP_1)
	v_fma_f64 v[2:3], -v[2:3], v[22:23], v[204:205]
	v_div_fmas_f64 v[2:3], v[2:3], v[20:21], v[22:23]
	s_delay_alu instid0(VALU_DEP_1) | instskip(NEXT) | instid1(VALU_DEP_1)
	v_div_fixup_f64 v[2:3], v[2:3], v[16:17], -v[18:19]
	v_fma_f64 v[16:17], -v[18:19], v[2:3], v[16:17]
	s_delay_alu instid0(VALU_DEP_1) | instskip(NEXT) | instid1(VALU_DEP_1)
	v_div_scale_f64 v[18:19], null, v[16:17], v[16:17], 1.0
	v_rcp_f64_e32 v[20:21], v[18:19]
	v_nop
	s_delay_alu instid0(TRANS32_DEP_1) | instskip(NEXT) | instid1(VALU_DEP_1)
	v_fma_f64 v[22:23], -v[18:19], v[20:21], 1.0
	v_fmac_f64_e32 v[20:21], v[20:21], v[22:23]
	s_delay_alu instid0(VALU_DEP_1) | instskip(NEXT) | instid1(VALU_DEP_1)
	v_fma_f64 v[22:23], -v[18:19], v[20:21], 1.0
	v_fmac_f64_e32 v[20:21], v[20:21], v[22:23]
	v_div_scale_f64 v[22:23], vcc_lo, 1.0, v[16:17], 1.0
	s_delay_alu instid0(VALU_DEP_1) | instskip(NEXT) | instid1(VALU_DEP_1)
	v_mul_f64_e32 v[204:205], v[22:23], v[20:21]
	v_fma_f64 v[18:19], -v[18:19], v[204:205], v[22:23]
	s_delay_alu instid0(VALU_DEP_1) | instskip(NEXT) | instid1(VALU_DEP_1)
	v_div_fmas_f64 v[18:19], v[18:19], v[20:21], v[204:205]
	v_div_fixup_f64 v[20:21], v[18:19], v[16:17], 1.0
	s_delay_alu instid0(VALU_DEP_1)
	v_mul_f64_e64 v[22:23], v[2:3], -v[20:21]
.LBB78_543:                             ;   in Loop: Header=BB78_3 Depth=1
	s_or_b32 exec_lo, exec_lo, s47
	ds_store_b128 v199, v[20:23]
.LBB78_544:                             ;   in Loop: Header=BB78_3 Depth=1
	s_or_b32 exec_lo, exec_lo, s46
	s_and_not1_saveexec_b32 s35, s35
	s_cbranch_execnz .LBB78_21
	s_branch .LBB78_22
.LBB78_545:                             ;   in Loop: Header=BB78_3 Depth=1
	s_or_b32 exec_lo, exec_lo, s47
	s_delay_alu instid0(SALU_CYCLE_1)
	s_and_b32 vcc_lo, exec_lo, s46
	s_cbranch_vccnz .LBB78_484
.LBB78_546:                             ;   in Loop: Header=BB78_3 Depth=1
	s_delay_alu instid0(VALU_DEP_1) | instskip(NEXT) | instid1(VALU_DEP_3)
	v_mov_b64_e32 v[18:19], v[2:3]
	v_mov_b64_e32 v[16:17], v[20:21]
	;; [unrolled: 1-line block ×3, first 2 shown]
	s_and_saveexec_b32 s46, s35
	s_cbranch_execz .LBB78_548
.LBB78_547:                             ;   in Loop: Header=BB78_3 Depth=1
	s_delay_alu instid0(VALU_DEP_1)
	v_lshl_add_u64 v[2:3], v[2:3], 4, s[40:41]
	global_store_b128 v[2:3], v[16:19], off
.LBB78_548:                             ;   in Loop: Header=BB78_3 Depth=1
	s_wait_xcnt 0x0
	s_or_b32 exec_lo, exec_lo, s46
	global_wb scope:SCOPE_DEV
	s_wait_storecnt 0x0
	global_inv scope:SCOPE_DEV
	s_wait_loadcnt 0x0
	s_barrier_signal -1
	s_barrier_wait -1
	s_and_saveexec_b32 s35, s33
	s_cbranch_execz .LBB78_2
; %bb.549:                              ;   in Loop: Header=BB78_3 Depth=1
	s_lshl_b64 s[40:41], s[56:57], 2
	s_delay_alu instid0(SALU_CYCLE_1)
	s_add_nc_u64 s[40:41], s[54:55], s[40:41]
	global_load_b32 v0, v1, s[40:41]
	s_wait_loadcnt 0x0
	v_add_nc_u32_e32 v0, 1, v0
	global_store_b32 v1, v0, s[40:41]
	s_branch .LBB78_2
.LBB78_550:                             ;   in Loop: Header=BB78_3 Depth=1
	ds_load_b128 v[20:23], v55 offset:16336
	ds_load_b128 v[204:207], v54 offset:15232
	s_wait_dscnt 0x0
	v_mul_f64_e32 v[2:3], v[22:23], v[206:207]
	s_delay_alu instid0(VALU_DEP_1) | instskip(SKIP_1) | instid1(VALU_DEP_2)
	v_fma_f64 v[2:3], v[20:21], v[204:205], -v[2:3]
	v_mul_f64_e32 v[20:21], v[20:21], v[206:207]
	v_add_f64_e32 v[16:17], v[16:17], v[2:3]
	s_delay_alu instid0(VALU_DEP_2) | instskip(NEXT) | instid1(VALU_DEP_1)
	v_fmac_f64_e32 v[20:21], v[22:23], v[204:205]
	v_add_f64_e32 v[18:19], v[18:19], v[20:21]
	s_or_b32 exec_lo, exec_lo, s40
	s_and_saveexec_b32 s40, s12
	s_cbranch_execz .LBB78_45
.LBB78_551:                             ;   in Loop: Header=BB78_3 Depth=1
	ds_load_b128 v[20:23], v55 offset:16352
	ds_load_b128 v[204:207], v54 offset:15744
	s_wait_dscnt 0x0
	v_mul_f64_e32 v[2:3], v[22:23], v[206:207]
	s_delay_alu instid0(VALU_DEP_1) | instskip(SKIP_1) | instid1(VALU_DEP_2)
	v_fma_f64 v[2:3], v[20:21], v[204:205], -v[2:3]
	v_mul_f64_e32 v[20:21], v[20:21], v[206:207]
	v_add_f64_e32 v[16:17], v[16:17], v[2:3]
	s_delay_alu instid0(VALU_DEP_2) | instskip(NEXT) | instid1(VALU_DEP_1)
	v_fmac_f64_e32 v[20:21], v[22:23], v[204:205]
	v_add_f64_e32 v[18:19], v[18:19], v[20:21]
	s_or_b32 exec_lo, exec_lo, s40
	s_and_saveexec_b32 s40, s0
	s_cbranch_execnz .LBB78_46
	s_branch .LBB78_47
.LBB78_552:                             ;   in Loop: Header=BB78_3 Depth=1
	ds_load_b128 v[20:23], v59 offset:16272
	ds_load_b128 v[204:207], v58 offset:13056
	s_wait_dscnt 0x0
	v_mul_f64_e32 v[2:3], v[22:23], v[206:207]
	s_delay_alu instid0(VALU_DEP_1) | instskip(SKIP_1) | instid1(VALU_DEP_2)
	v_fma_f64 v[2:3], v[20:21], v[204:205], -v[2:3]
	v_mul_f64_e32 v[20:21], v[20:21], v[206:207]
	v_add_f64_e32 v[16:17], v[16:17], v[2:3]
	s_delay_alu instid0(VALU_DEP_2) | instskip(NEXT) | instid1(VALU_DEP_1)
	v_fmac_f64_e32 v[20:21], v[22:23], v[204:205]
	v_add_f64_e32 v[18:19], v[18:19], v[20:21]
	s_or_b32 exec_lo, exec_lo, s40
	s_and_saveexec_b32 s40, s14
	s_cbranch_execz .LBB78_87
.LBB78_553:                             ;   in Loop: Header=BB78_3 Depth=1
	ds_load_b128 v[20:23], v59 offset:16288
	ds_load_b128 v[204:207], v58 offset:13568
	s_wait_dscnt 0x0
	v_mul_f64_e32 v[2:3], v[22:23], v[206:207]
	s_delay_alu instid0(VALU_DEP_1) | instskip(SKIP_1) | instid1(VALU_DEP_2)
	v_fma_f64 v[2:3], v[20:21], v[204:205], -v[2:3]
	v_mul_f64_e32 v[20:21], v[20:21], v[206:207]
	v_add_f64_e32 v[16:17], v[16:17], v[2:3]
	s_delay_alu instid0(VALU_DEP_2) | instskip(NEXT) | instid1(VALU_DEP_1)
	v_fmac_f64_e32 v[20:21], v[22:23], v[204:205]
	v_add_f64_e32 v[18:19], v[18:19], v[20:21]
	s_or_b32 exec_lo, exec_lo, s40
	s_and_saveexec_b32 s40, s15
	s_cbranch_execz .LBB78_88
.LBB78_554:                             ;   in Loop: Header=BB78_3 Depth=1
	ds_load_b128 v[20:23], v59 offset:16304
	ds_load_b128 v[204:207], v58 offset:14080
	s_wait_dscnt 0x0
	v_mul_f64_e32 v[2:3], v[22:23], v[206:207]
	s_delay_alu instid0(VALU_DEP_1) | instskip(SKIP_1) | instid1(VALU_DEP_2)
	v_fma_f64 v[2:3], v[20:21], v[204:205], -v[2:3]
	v_mul_f64_e32 v[20:21], v[20:21], v[206:207]
	v_add_f64_e32 v[16:17], v[16:17], v[2:3]
	s_delay_alu instid0(VALU_DEP_2) | instskip(NEXT) | instid1(VALU_DEP_1)
	v_fmac_f64_e32 v[20:21], v[22:23], v[204:205]
	v_add_f64_e32 v[18:19], v[18:19], v[20:21]
	s_or_b32 exec_lo, exec_lo, s40
	s_and_saveexec_b32 s40, s16
	s_cbranch_execz .LBB78_89
.LBB78_555:                             ;   in Loop: Header=BB78_3 Depth=1
	ds_load_b128 v[20:23], v59 offset:16320
	ds_load_b128 v[204:207], v58 offset:14592
	s_wait_dscnt 0x0
	v_mul_f64_e32 v[2:3], v[22:23], v[206:207]
	s_delay_alu instid0(VALU_DEP_1) | instskip(SKIP_1) | instid1(VALU_DEP_2)
	v_fma_f64 v[2:3], v[20:21], v[204:205], -v[2:3]
	v_mul_f64_e32 v[20:21], v[20:21], v[206:207]
	v_add_f64_e32 v[16:17], v[16:17], v[2:3]
	s_delay_alu instid0(VALU_DEP_2) | instskip(NEXT) | instid1(VALU_DEP_1)
	v_fmac_f64_e32 v[20:21], v[22:23], v[204:205]
	v_add_f64_e32 v[18:19], v[18:19], v[20:21]
	s_or_b32 exec_lo, exec_lo, s40
	s_and_saveexec_b32 s40, s17
	s_cbranch_execz .LBB78_90
.LBB78_556:                             ;   in Loop: Header=BB78_3 Depth=1
	ds_load_b128 v[20:23], v59 offset:16336
	ds_load_b128 v[204:207], v58 offset:15104
	s_wait_dscnt 0x0
	v_mul_f64_e32 v[2:3], v[22:23], v[206:207]
	s_delay_alu instid0(VALU_DEP_1) | instskip(SKIP_1) | instid1(VALU_DEP_2)
	v_fma_f64 v[2:3], v[20:21], v[204:205], -v[2:3]
	v_mul_f64_e32 v[20:21], v[20:21], v[206:207]
	v_add_f64_e32 v[16:17], v[16:17], v[2:3]
	s_delay_alu instid0(VALU_DEP_2) | instskip(NEXT) | instid1(VALU_DEP_1)
	v_fmac_f64_e32 v[20:21], v[22:23], v[204:205]
	v_add_f64_e32 v[18:19], v[18:19], v[20:21]
	s_or_b32 exec_lo, exec_lo, s40
	s_and_saveexec_b32 s40, s2
	s_cbranch_execz .LBB78_91
.LBB78_557:                             ;   in Loop: Header=BB78_3 Depth=1
	ds_load_b128 v[20:23], v59 offset:16352
	ds_load_b128 v[204:207], v58 offset:15616
	s_wait_dscnt 0x0
	v_mul_f64_e32 v[2:3], v[22:23], v[206:207]
	s_delay_alu instid0(VALU_DEP_1) | instskip(SKIP_1) | instid1(VALU_DEP_2)
	v_fma_f64 v[2:3], v[20:21], v[204:205], -v[2:3]
	v_mul_f64_e32 v[20:21], v[20:21], v[206:207]
	v_add_f64_e32 v[16:17], v[16:17], v[2:3]
	s_delay_alu instid0(VALU_DEP_2) | instskip(NEXT) | instid1(VALU_DEP_1)
	v_fmac_f64_e32 v[20:21], v[22:23], v[204:205]
	v_add_f64_e32 v[18:19], v[18:19], v[20:21]
	s_or_b32 exec_lo, exec_lo, s40
	s_and_saveexec_b32 s40, s12
	s_cbranch_execnz .LBB78_92
	s_branch .LBB78_93
.LBB78_558:                             ;   in Loop: Header=BB78_3 Depth=1
	ds_load_b128 v[20:23], v55 offset:12112
	ds_load_b128 v[204:207], v54 offset:11008
	s_wait_dscnt 0x0
	v_mul_f64_e32 v[2:3], v[22:23], v[206:207]
	s_delay_alu instid0(VALU_DEP_1) | instskip(SKIP_1) | instid1(VALU_DEP_2)
	v_fma_f64 v[2:3], v[20:21], v[204:205], -v[2:3]
	v_mul_f64_e32 v[20:21], v[20:21], v[206:207]
	v_add_f64_e32 v[16:17], v[16:17], v[2:3]
	s_delay_alu instid0(VALU_DEP_2) | instskip(NEXT) | instid1(VALU_DEP_1)
	v_fmac_f64_e32 v[20:21], v[22:23], v[204:205]
	v_add_f64_e32 v[18:19], v[18:19], v[20:21]
	s_or_b32 exec_lo, exec_lo, s40
	s_and_saveexec_b32 s40, s12
	s_cbranch_execz .LBB78_149
.LBB78_559:                             ;   in Loop: Header=BB78_3 Depth=1
	ds_load_b128 v[20:23], v55 offset:12128
	ds_load_b128 v[204:207], v54 offset:11520
	s_wait_dscnt 0x0
	v_mul_f64_e32 v[2:3], v[22:23], v[206:207]
	s_delay_alu instid0(VALU_DEP_1) | instskip(SKIP_1) | instid1(VALU_DEP_2)
	v_fma_f64 v[2:3], v[20:21], v[204:205], -v[2:3]
	v_mul_f64_e32 v[20:21], v[20:21], v[206:207]
	v_add_f64_e32 v[16:17], v[16:17], v[2:3]
	s_delay_alu instid0(VALU_DEP_2) | instskip(NEXT) | instid1(VALU_DEP_1)
	v_fmac_f64_e32 v[20:21], v[22:23], v[204:205]
	v_add_f64_e32 v[18:19], v[18:19], v[20:21]
	s_or_b32 exec_lo, exec_lo, s40
	s_and_saveexec_b32 s40, s0
	s_cbranch_execnz .LBB78_150
	s_branch .LBB78_151
.LBB78_560:                             ;   in Loop: Header=BB78_3 Depth=1
	ds_load_b128 v[20:23], v71 offset:16304
	ds_load_b128 v[204:207], v70 offset:13824
	s_wait_dscnt 0x0
	v_mul_f64_e32 v[2:3], v[22:23], v[206:207]
	s_delay_alu instid0(VALU_DEP_1) | instskip(SKIP_1) | instid1(VALU_DEP_2)
	v_fma_f64 v[2:3], v[20:21], v[204:205], -v[2:3]
	v_mul_f64_e32 v[20:21], v[20:21], v[206:207]
	v_add_f64_e32 v[16:17], v[16:17], v[2:3]
	s_delay_alu instid0(VALU_DEP_2) | instskip(NEXT) | instid1(VALU_DEP_1)
	v_fmac_f64_e32 v[20:21], v[22:23], v[204:205]
	v_add_f64_e32 v[18:19], v[18:19], v[20:21]
	s_or_b32 exec_lo, exec_lo, s40
	s_and_saveexec_b32 s40, s3
	s_cbranch_execz .LBB78_211
.LBB78_561:                             ;   in Loop: Header=BB78_3 Depth=1
	ds_load_b128 v[20:23], v71 offset:16320
	ds_load_b128 v[204:207], v70 offset:14336
	s_wait_dscnt 0x0
	v_mul_f64_e32 v[2:3], v[22:23], v[206:207]
	s_delay_alu instid0(VALU_DEP_1) | instskip(SKIP_1) | instid1(VALU_DEP_2)
	v_fma_f64 v[2:3], v[20:21], v[204:205], -v[2:3]
	v_mul_f64_e32 v[20:21], v[20:21], v[206:207]
	v_add_f64_e32 v[16:17], v[16:17], v[2:3]
	s_delay_alu instid0(VALU_DEP_2) | instskip(NEXT) | instid1(VALU_DEP_1)
	v_fmac_f64_e32 v[20:21], v[22:23], v[204:205]
	v_add_f64_e32 v[18:19], v[18:19], v[20:21]
	s_or_b32 exec_lo, exec_lo, s40
	s_and_saveexec_b32 s40, s14
	s_cbranch_execz .LBB78_212
.LBB78_562:                             ;   in Loop: Header=BB78_3 Depth=1
	ds_load_b128 v[20:23], v71 offset:16336
	ds_load_b128 v[204:207], v70 offset:14848
	s_wait_dscnt 0x0
	v_mul_f64_e32 v[2:3], v[22:23], v[206:207]
	s_delay_alu instid0(VALU_DEP_1) | instskip(SKIP_1) | instid1(VALU_DEP_2)
	v_fma_f64 v[2:3], v[20:21], v[204:205], -v[2:3]
	v_mul_f64_e32 v[20:21], v[20:21], v[206:207]
	v_add_f64_e32 v[16:17], v[16:17], v[2:3]
	s_delay_alu instid0(VALU_DEP_2) | instskip(NEXT) | instid1(VALU_DEP_1)
	v_fmac_f64_e32 v[20:21], v[22:23], v[204:205]
	v_add_f64_e32 v[18:19], v[18:19], v[20:21]
	s_or_b32 exec_lo, exec_lo, s40
	s_and_saveexec_b32 s40, s16
	s_cbranch_execz .LBB78_213
.LBB78_563:                             ;   in Loop: Header=BB78_3 Depth=1
	ds_load_b128 v[20:23], v71 offset:16352
	ds_load_b128 v[204:207], v70 offset:15360
	s_wait_dscnt 0x0
	v_mul_f64_e32 v[2:3], v[22:23], v[206:207]
	s_delay_alu instid0(VALU_DEP_1) | instskip(SKIP_1) | instid1(VALU_DEP_2)
	v_fma_f64 v[2:3], v[20:21], v[204:205], -v[2:3]
	v_mul_f64_e32 v[20:21], v[20:21], v[206:207]
	v_add_f64_e32 v[16:17], v[16:17], v[2:3]
	s_delay_alu instid0(VALU_DEP_2) | instskip(NEXT) | instid1(VALU_DEP_1)
	v_fmac_f64_e32 v[20:21], v[22:23], v[204:205]
	v_add_f64_e32 v[18:19], v[18:19], v[20:21]
	s_or_b32 exec_lo, exec_lo, s40
	s_and_saveexec_b32 s40, s2
	s_cbranch_execnz .LBB78_214
	s_branch .LBB78_215
.LBB78_564:                             ;   in Loop: Header=BB78_3 Depth=1
	ds_load_b128 v[20:23], v55 offset:7888
	ds_load_b128 v[204:207], v54 offset:6784
	s_wait_dscnt 0x0
	v_mul_f64_e32 v[2:3], v[22:23], v[206:207]
	s_delay_alu instid0(VALU_DEP_1) | instskip(SKIP_1) | instid1(VALU_DEP_2)
	v_fma_f64 v[2:3], v[20:21], v[204:205], -v[2:3]
	v_mul_f64_e32 v[20:21], v[20:21], v[206:207]
	v_add_f64_e32 v[16:17], v[16:17], v[2:3]
	s_delay_alu instid0(VALU_DEP_2) | instskip(NEXT) | instid1(VALU_DEP_1)
	v_fmac_f64_e32 v[20:21], v[22:23], v[204:205]
	v_add_f64_e32 v[18:19], v[18:19], v[20:21]
	s_or_b32 exec_lo, exec_lo, s40
	s_and_saveexec_b32 s40, s12
	s_cbranch_execz .LBB78_303
.LBB78_565:                             ;   in Loop: Header=BB78_3 Depth=1
	ds_load_b128 v[20:23], v55 offset:7904
	ds_load_b128 v[204:207], v54 offset:7296
	s_wait_dscnt 0x0
	v_mul_f64_e32 v[2:3], v[22:23], v[206:207]
	s_delay_alu instid0(VALU_DEP_1) | instskip(SKIP_1) | instid1(VALU_DEP_2)
	v_fma_f64 v[2:3], v[20:21], v[204:205], -v[2:3]
	v_mul_f64_e32 v[20:21], v[20:21], v[206:207]
	v_add_f64_e32 v[16:17], v[16:17], v[2:3]
	s_delay_alu instid0(VALU_DEP_2) | instskip(NEXT) | instid1(VALU_DEP_1)
	v_fmac_f64_e32 v[20:21], v[22:23], v[204:205]
	v_add_f64_e32 v[18:19], v[18:19], v[20:21]
	s_or_b32 exec_lo, exec_lo, s40
	s_and_saveexec_b32 s40, s0
	s_cbranch_execnz .LBB78_304
	s_branch .LBB78_305
.LBB78_566:                             ;   in Loop: Header=BB78_3 Depth=1
	ds_load_b128 v[20:23], v59 offset:7824
	ds_load_b128 v[204:207], v58 offset:4608
	s_wait_dscnt 0x0
	v_mul_f64_e32 v[2:3], v[22:23], v[206:207]
	s_delay_alu instid0(VALU_DEP_1) | instskip(SKIP_1) | instid1(VALU_DEP_2)
	v_fma_f64 v[2:3], v[20:21], v[204:205], -v[2:3]
	v_mul_f64_e32 v[20:21], v[20:21], v[206:207]
	v_add_f64_e32 v[16:17], v[16:17], v[2:3]
	s_delay_alu instid0(VALU_DEP_2) | instskip(NEXT) | instid1(VALU_DEP_1)
	v_fmac_f64_e32 v[20:21], v[22:23], v[204:205]
	v_add_f64_e32 v[18:19], v[18:19], v[20:21]
	s_or_b32 exec_lo, exec_lo, s40
	s_and_saveexec_b32 s40, s14
	s_cbranch_execz .LBB78_345
.LBB78_567:                             ;   in Loop: Header=BB78_3 Depth=1
	ds_load_b128 v[20:23], v59 offset:7840
	ds_load_b128 v[204:207], v58 offset:5120
	s_wait_dscnt 0x0
	v_mul_f64_e32 v[2:3], v[22:23], v[206:207]
	s_delay_alu instid0(VALU_DEP_1) | instskip(SKIP_1) | instid1(VALU_DEP_2)
	v_fma_f64 v[2:3], v[20:21], v[204:205], -v[2:3]
	v_mul_f64_e32 v[20:21], v[20:21], v[206:207]
	v_add_f64_e32 v[16:17], v[16:17], v[2:3]
	s_delay_alu instid0(VALU_DEP_2) | instskip(NEXT) | instid1(VALU_DEP_1)
	v_fmac_f64_e32 v[20:21], v[22:23], v[204:205]
	v_add_f64_e32 v[18:19], v[18:19], v[20:21]
	s_or_b32 exec_lo, exec_lo, s40
	s_and_saveexec_b32 s40, s15
	s_cbranch_execz .LBB78_346
.LBB78_568:                             ;   in Loop: Header=BB78_3 Depth=1
	ds_load_b128 v[20:23], v59 offset:7856
	ds_load_b128 v[204:207], v58 offset:5632
	s_wait_dscnt 0x0
	v_mul_f64_e32 v[2:3], v[22:23], v[206:207]
	s_delay_alu instid0(VALU_DEP_1) | instskip(SKIP_1) | instid1(VALU_DEP_2)
	v_fma_f64 v[2:3], v[20:21], v[204:205], -v[2:3]
	v_mul_f64_e32 v[20:21], v[20:21], v[206:207]
	v_add_f64_e32 v[16:17], v[16:17], v[2:3]
	s_delay_alu instid0(VALU_DEP_2) | instskip(NEXT) | instid1(VALU_DEP_1)
	v_fmac_f64_e32 v[20:21], v[22:23], v[204:205]
	v_add_f64_e32 v[18:19], v[18:19], v[20:21]
	s_or_b32 exec_lo, exec_lo, s40
	s_and_saveexec_b32 s40, s16
	s_cbranch_execz .LBB78_347
.LBB78_569:                             ;   in Loop: Header=BB78_3 Depth=1
	ds_load_b128 v[20:23], v59 offset:7872
	ds_load_b128 v[204:207], v58 offset:6144
	s_wait_dscnt 0x0
	v_mul_f64_e32 v[2:3], v[22:23], v[206:207]
	s_delay_alu instid0(VALU_DEP_1) | instskip(SKIP_1) | instid1(VALU_DEP_2)
	v_fma_f64 v[2:3], v[20:21], v[204:205], -v[2:3]
	v_mul_f64_e32 v[20:21], v[20:21], v[206:207]
	v_add_f64_e32 v[16:17], v[16:17], v[2:3]
	s_delay_alu instid0(VALU_DEP_2) | instskip(NEXT) | instid1(VALU_DEP_1)
	v_fmac_f64_e32 v[20:21], v[22:23], v[204:205]
	v_add_f64_e32 v[18:19], v[18:19], v[20:21]
	s_or_b32 exec_lo, exec_lo, s40
	s_and_saveexec_b32 s40, s17
	s_cbranch_execz .LBB78_348
.LBB78_570:                             ;   in Loop: Header=BB78_3 Depth=1
	ds_load_b128 v[20:23], v59 offset:7888
	ds_load_b128 v[204:207], v58 offset:6656
	s_wait_dscnt 0x0
	v_mul_f64_e32 v[2:3], v[22:23], v[206:207]
	s_delay_alu instid0(VALU_DEP_1) | instskip(SKIP_1) | instid1(VALU_DEP_2)
	v_fma_f64 v[2:3], v[20:21], v[204:205], -v[2:3]
	v_mul_f64_e32 v[20:21], v[20:21], v[206:207]
	v_add_f64_e32 v[16:17], v[16:17], v[2:3]
	s_delay_alu instid0(VALU_DEP_2) | instskip(NEXT) | instid1(VALU_DEP_1)
	v_fmac_f64_e32 v[20:21], v[22:23], v[204:205]
	v_add_f64_e32 v[18:19], v[18:19], v[20:21]
	s_or_b32 exec_lo, exec_lo, s40
	s_and_saveexec_b32 s40, s2
	s_cbranch_execz .LBB78_349
.LBB78_571:                             ;   in Loop: Header=BB78_3 Depth=1
	ds_load_b128 v[20:23], v59 offset:7904
	ds_load_b128 v[204:207], v58 offset:7168
	s_wait_dscnt 0x0
	v_mul_f64_e32 v[2:3], v[22:23], v[206:207]
	s_delay_alu instid0(VALU_DEP_1) | instskip(SKIP_1) | instid1(VALU_DEP_2)
	v_fma_f64 v[2:3], v[20:21], v[204:205], -v[2:3]
	v_mul_f64_e32 v[20:21], v[20:21], v[206:207]
	v_add_f64_e32 v[16:17], v[16:17], v[2:3]
	s_delay_alu instid0(VALU_DEP_2) | instskip(NEXT) | instid1(VALU_DEP_1)
	v_fmac_f64_e32 v[20:21], v[22:23], v[204:205]
	v_add_f64_e32 v[18:19], v[18:19], v[20:21]
	s_or_b32 exec_lo, exec_lo, s40
	s_and_saveexec_b32 s40, s12
	s_cbranch_execnz .LBB78_350
	s_branch .LBB78_351
.LBB78_572:                             ;   in Loop: Header=BB78_3 Depth=1
	ds_load_b128 v[20:23], v55 offset:3664
	ds_load_b128 v[204:207], v54 offset:2560
	s_wait_dscnt 0x0
	v_mul_f64_e32 v[2:3], v[22:23], v[206:207]
	s_delay_alu instid0(VALU_DEP_1) | instskip(SKIP_1) | instid1(VALU_DEP_2)
	v_fma_f64 v[2:3], v[20:21], v[204:205], -v[2:3]
	v_mul_f64_e32 v[20:21], v[20:21], v[206:207]
	v_add_f64_e32 v[16:17], v[16:17], v[2:3]
	s_delay_alu instid0(VALU_DEP_2) | instskip(NEXT) | instid1(VALU_DEP_1)
	v_fmac_f64_e32 v[20:21], v[22:23], v[204:205]
	v_add_f64_e32 v[18:19], v[18:19], v[20:21]
	s_or_b32 exec_lo, exec_lo, s40
	s_and_saveexec_b32 s40, s12
	s_cbranch_execz .LBB78_407
.LBB78_573:                             ;   in Loop: Header=BB78_3 Depth=1
	ds_load_b128 v[20:23], v55 offset:3680
	ds_load_b128 v[204:207], v54 offset:3072
	s_wait_dscnt 0x0
	v_mul_f64_e32 v[2:3], v[22:23], v[206:207]
	s_delay_alu instid0(VALU_DEP_1) | instskip(SKIP_1) | instid1(VALU_DEP_2)
	v_fma_f64 v[2:3], v[20:21], v[204:205], -v[2:3]
	v_mul_f64_e32 v[20:21], v[20:21], v[206:207]
	v_add_f64_e32 v[16:17], v[16:17], v[2:3]
	s_delay_alu instid0(VALU_DEP_2) | instskip(NEXT) | instid1(VALU_DEP_1)
	v_fmac_f64_e32 v[20:21], v[22:23], v[204:205]
	v_add_f64_e32 v[18:19], v[18:19], v[20:21]
	s_or_b32 exec_lo, exec_lo, s40
	s_and_saveexec_b32 s40, s0
	s_cbranch_execnz .LBB78_408
	s_branch .LBB78_409
.LBB78_574:
	s_endpgm
	.section	.rodata,"a",@progbits
	.p2align	6, 0x0
	.amdhsa_kernel _ZL19rocblas_trsv_deviceILi32ELi16ELb0ELb1ELb1ELb0E19rocblas_complex_numIdEPKS1_S3_PS1_EviT7_lllT6_T8_lllPii
		.amdhsa_group_segment_fixed_size 25104
		.amdhsa_private_segment_fixed_size 0
		.amdhsa_kernarg_size 352
		.amdhsa_user_sgpr_count 2
		.amdhsa_user_sgpr_dispatch_ptr 0
		.amdhsa_user_sgpr_queue_ptr 0
		.amdhsa_user_sgpr_kernarg_segment_ptr 1
		.amdhsa_user_sgpr_dispatch_id 0
		.amdhsa_user_sgpr_kernarg_preload_length 0
		.amdhsa_user_sgpr_kernarg_preload_offset 0
		.amdhsa_user_sgpr_private_segment_size 0
		.amdhsa_wavefront_size32 1
		.amdhsa_uses_dynamic_stack 0
		.amdhsa_enable_private_segment 0
		.amdhsa_system_sgpr_workgroup_id_x 1
		.amdhsa_system_sgpr_workgroup_id_y 0
		.amdhsa_system_sgpr_workgroup_id_z 1
		.amdhsa_system_sgpr_workgroup_info 0
		.amdhsa_system_vgpr_workitem_id 1
		.amdhsa_next_free_vgpr 208
		.amdhsa_next_free_sgpr 105
		.amdhsa_named_barrier_count 0
		.amdhsa_reserve_vcc 1
		.amdhsa_float_round_mode_32 0
		.amdhsa_float_round_mode_16_64 0
		.amdhsa_float_denorm_mode_32 3
		.amdhsa_float_denorm_mode_16_64 3
		.amdhsa_fp16_overflow 0
		.amdhsa_memory_ordered 1
		.amdhsa_forward_progress 1
		.amdhsa_inst_pref_size 230
		.amdhsa_round_robin_scheduling 0
		.amdhsa_exception_fp_ieee_invalid_op 0
		.amdhsa_exception_fp_denorm_src 0
		.amdhsa_exception_fp_ieee_div_zero 0
		.amdhsa_exception_fp_ieee_overflow 0
		.amdhsa_exception_fp_ieee_underflow 0
		.amdhsa_exception_fp_ieee_inexact 0
		.amdhsa_exception_int_div_zero 0
	.end_amdhsa_kernel
	.section	.text._ZL19rocblas_trsv_deviceILi32ELi16ELb0ELb1ELb1ELb0E19rocblas_complex_numIdEPKS1_S3_PS1_EviT7_lllT6_T8_lllPii,"axG",@progbits,_ZL19rocblas_trsv_deviceILi32ELi16ELb0ELb1ELb1ELb0E19rocblas_complex_numIdEPKS1_S3_PS1_EviT7_lllT6_T8_lllPii,comdat
.Lfunc_end78:
	.size	_ZL19rocblas_trsv_deviceILi32ELi16ELb0ELb1ELb1ELb0E19rocblas_complex_numIdEPKS1_S3_PS1_EviT7_lllT6_T8_lllPii, .Lfunc_end78-_ZL19rocblas_trsv_deviceILi32ELi16ELb0ELb1ELb1ELb0E19rocblas_complex_numIdEPKS1_S3_PS1_EviT7_lllT6_T8_lllPii
                                        ; -- End function
	.set _ZL19rocblas_trsv_deviceILi32ELi16ELb0ELb1ELb1ELb0E19rocblas_complex_numIdEPKS1_S3_PS1_EviT7_lllT6_T8_lllPii.num_vgpr, 208
	.set _ZL19rocblas_trsv_deviceILi32ELi16ELb0ELb1ELb1ELb0E19rocblas_complex_numIdEPKS1_S3_PS1_EviT7_lllT6_T8_lllPii.num_agpr, 0
	.set _ZL19rocblas_trsv_deviceILi32ELi16ELb0ELb1ELb1ELb0E19rocblas_complex_numIdEPKS1_S3_PS1_EviT7_lllT6_T8_lllPii.numbered_sgpr, 105
	.set _ZL19rocblas_trsv_deviceILi32ELi16ELb0ELb1ELb1ELb0E19rocblas_complex_numIdEPKS1_S3_PS1_EviT7_lllT6_T8_lllPii.num_named_barrier, 0
	.set _ZL19rocblas_trsv_deviceILi32ELi16ELb0ELb1ELb1ELb0E19rocblas_complex_numIdEPKS1_S3_PS1_EviT7_lllT6_T8_lllPii.private_seg_size, 0
	.set _ZL19rocblas_trsv_deviceILi32ELi16ELb0ELb1ELb1ELb0E19rocblas_complex_numIdEPKS1_S3_PS1_EviT7_lllT6_T8_lllPii.uses_vcc, 1
	.set _ZL19rocblas_trsv_deviceILi32ELi16ELb0ELb1ELb1ELb0E19rocblas_complex_numIdEPKS1_S3_PS1_EviT7_lllT6_T8_lllPii.uses_flat_scratch, 0
	.set _ZL19rocblas_trsv_deviceILi32ELi16ELb0ELb1ELb1ELb0E19rocblas_complex_numIdEPKS1_S3_PS1_EviT7_lllT6_T8_lllPii.has_dyn_sized_stack, 0
	.set _ZL19rocblas_trsv_deviceILi32ELi16ELb0ELb1ELb1ELb0E19rocblas_complex_numIdEPKS1_S3_PS1_EviT7_lllT6_T8_lllPii.has_recursion, 0
	.set _ZL19rocblas_trsv_deviceILi32ELi16ELb0ELb1ELb1ELb0E19rocblas_complex_numIdEPKS1_S3_PS1_EviT7_lllT6_T8_lllPii.has_indirect_call, 0
	.section	.AMDGPU.csdata,"",@progbits
; Kernel info:
; codeLenInByte = 29364
; TotalNumSgprs: 107
; NumVgprs: 208
; ScratchSize: 0
; MemoryBound: 1
; FloatMode: 240
; IeeeMode: 1
; LDSByteSize: 25104 bytes/workgroup (compile time only)
; SGPRBlocks: 0
; VGPRBlocks: 12
; NumSGPRsForWavesPerEU: 107
; NumVGPRsForWavesPerEU: 208
; NamedBarCnt: 0
; Occupancy: 4
; WaveLimiterHint : 0
; COMPUTE_PGM_RSRC2:SCRATCH_EN: 0
; COMPUTE_PGM_RSRC2:USER_SGPR: 2
; COMPUTE_PGM_RSRC2:TRAP_HANDLER: 0
; COMPUTE_PGM_RSRC2:TGID_X_EN: 1
; COMPUTE_PGM_RSRC2:TGID_Y_EN: 0
; COMPUTE_PGM_RSRC2:TGID_Z_EN: 1
; COMPUTE_PGM_RSRC2:TIDIG_COMP_CNT: 1
	.section	.text._ZL19rocblas_trsv_deviceILi32ELi16ELb1ELb0ELb0ELb1E19rocblas_complex_numIdEPKS1_S3_PS1_EviT7_lllT6_T8_lllPii,"axG",@progbits,_ZL19rocblas_trsv_deviceILi32ELi16ELb1ELb0ELb0ELb1E19rocblas_complex_numIdEPKS1_S3_PS1_EviT7_lllT6_T8_lllPii,comdat
	.globl	_ZL19rocblas_trsv_deviceILi32ELi16ELb1ELb0ELb0ELb1E19rocblas_complex_numIdEPKS1_S3_PS1_EviT7_lllT6_T8_lllPii ; -- Begin function _ZL19rocblas_trsv_deviceILi32ELi16ELb1ELb0ELb0ELb1E19rocblas_complex_numIdEPKS1_S3_PS1_EviT7_lllT6_T8_lllPii
	.p2align	8
	.type	_ZL19rocblas_trsv_deviceILi32ELi16ELb1ELb0ELb0ELb1E19rocblas_complex_numIdEPKS1_S3_PS1_EviT7_lllT6_T8_lllPii,@function
_ZL19rocblas_trsv_deviceILi32ELi16ELb1ELb0ELb0ELb1E19rocblas_complex_numIdEPKS1_S3_PS1_EviT7_lllT6_T8_lllPii: ; @_ZL19rocblas_trsv_deviceILi32ELi16ELb1ELb0ELb0ELb1E19rocblas_complex_numIdEPKS1_S3_PS1_EviT7_lllT6_T8_lllPii
; %bb.0:
	s_load_b32 s64, s[0:1], 0x58
	s_bfe_u32 s2, ttmp6, 0x40014
	s_lshr_b32 s3, ttmp7, 16
	s_add_co_i32 s2, s2, 1
	s_bfe_u32 s5, ttmp6, 0x40008
	s_mul_i32 s4, s3, s2
	s_getreg_b32 s2, hwreg(HW_REG_IB_STS2, 6, 4)
	s_add_co_i32 s5, s5, s4
	s_cmp_eq_u32 s2, 0
	s_mov_b32 s57, 0
	s_cselect_b32 s56, s3, s5
	s_wait_kmcnt 0x0
	s_cmp_ge_u32 s56, s64
	s_cbranch_scc1 .LBB79_512
; %bb.1:
	s_clause 0x2
	s_load_b512 s[36:51], s[0:1], 0x8
	s_load_b32 s3, s[0:1], 0x6c
	s_load_b32 s65, s[0:1], 0x0
	s_bfe_u32 s5, ttmp6, 0x4000c
	s_and_b32 s4, ttmp6, 15
	s_add_co_i32 s5, s5, 1
	s_load_b128 s[52:55], s[0:1], 0x48
	s_wait_xcnt 0x0
	s_mul_i32 s0, ttmp9, s5
	v_bfe_u32 v22, v0, 10, 10
	s_add_co_i32 s8, s4, s0
	v_and_b32_e32 v24, 0x3ff, v0
	v_dual_mov_b32 v3, 0 :: v_dual_lshrrev_b32 v1, 10, v0
	s_delay_alu instid0(VALU_DEP_3) | instskip(SKIP_1) | instid1(VALU_DEP_4)
	v_lshlrev_b32_e32 v2, 5, v22
                                        ; implicit-def: $vgpr76 : SGPR spill to VGPR lane
	v_lshl_add_u32 v62, v22, 4, 0x6000
	v_cmp_ge_u32_e64 s30, v24, v22
	s_delay_alu instid0(VALU_DEP_4) | instskip(NEXT) | instid1(VALU_DEP_4)
	v_dual_mov_b32 v27, v3 :: v_dual_mov_b32 v39, v3
	v_add_nc_u16 v9, v2, v24
	v_add_nc_u32_e32 v8, 16, v22
	s_wait_kmcnt 0x0
	s_lshl_b64 s[0:1], s[38:39], 4
	s_lshl_b64 s[4:5], s[48:49], 4
	s_cmp_eq_u32 s2, 0
	s_add_nc_u64 s[48:49], s[36:37], s[0:1]
	s_cselect_b32 s66, ttmp9, s8
	s_and_b32 s2, s3, 0xffff
	s_add_co_i32 s3, s65, -1
	s_ashr_i32 s8, s65, 31
	s_ashr_i32 s9, s3, 31
	s_lshr_b32 s8, s8, 27
	s_lshr_b32 s9, s9, 27
	s_add_co_i32 s8, s65, s8
	s_add_co_i32 s3, s3, s9
	s_and_not1_b32 s8, s8, 31
	s_ashr_i32 s3, s3, 5
	s_sub_co_i32 s12, s65, s8
	s_cmp_eq_u32 s3, s66
	v_mad_u32_u24 v26, v22, s2, v24
	s_cselect_b32 s0, -1, 0
	s_cmp_lg_u32 s12, 0
	v_sub_co_u32 v25, s2, s66, 1
	s_cselect_b32 s1, -1, 0
	s_lshl_b32 s10, s66, 5
	s_delay_alu instid0(SALU_CYCLE_1) | instskip(SKIP_3) | instid1(VALU_DEP_3)
	v_dual_add_nc_u32 v10, s10, v22 :: v_dual_bitop2_b32 v11, 1, v0 bitop3:0x40
	v_dual_add_nc_u32 v28, s10, v24 :: v_dual_add_nc_u32 v12, v2, v24
	s_xor_b32 s67, s2, -1
	v_add_nc_u32_e32 v2, s10, v26
	v_subrev_nc_u32_e32 v4, 32, v10
	v_cmp_eq_u32_e64 s2, 1, v11
	v_lshrrev_b16 v9, 1, v9
	v_dual_lshlrev_b32 v11, 4, v11 :: v_dual_lshrrev_b32 v16, 2, v12
	s_delay_alu instid0(VALU_DEP_4)
	v_ashrrev_i32_e32 v5, 31, v4
	s_and_b32 s13, s1, s0
	s_ashr_i32 s11, s10, 31
	s_xor_b32 s68, s13, -1
	v_and_b32_e32 v9, 0xffff, v9
	v_mul_u64_e32 v[30:31], s[40:41], v[4:5]
	v_bitop3_b32 v5, v0, v1, 0x3ff bitop3:0xa8
	v_lshrrev_b32_e32 v1, 3, v12
	v_and_b32_e32 v14, 7, v0
	v_and_b32_e32 v15, 15, v0
	v_mul_u32_u24_e32 v45, 0x210, v16
	v_and_b32_e32 v13, 3, v0
	v_lshlrev_b32_e32 v0, 4, v16
	s_cmp_gt_i32 s66, 4
	v_cmp_gt_u32_e64 s0, 4, v12
	s_cselect_b32 s1, -1, 0
	v_add_nc_u64_e32 v[6:7], s[10:11], v[26:27]
	s_and_b32 s69, s1, s68
	v_cmp_gt_u32_e64 s1, 16, v12
	v_lshl_add_u32 v27, v9, 4, 0x4000
	v_lshl_or_b32 v44, v9, 9, v11
	v_mul_u32_u24_e32 v46, 0x210, v9
	v_sub_nc_u32_e32 v9, v45, v0
	v_cmp_eq_u32_e64 s3, 0, v13
	s_add_nc_u64 s[46:47], s[46:47], s[4:5]
	s_xor_b32 s4, s2, -1
	s_and_b32 s71, s2, s0
	v_cmp_eq_u32_e64 s2, 1, v13
	s_and_b32 s72, s3, s1
	v_cmp_lt_u32_e64 s3, 1, v13
	s_and_b32 s70, s4, s0
	v_cmp_ne_u32_e64 s4, 0, v13
	s_and_b32 s74, s2, s1
	v_cmp_gt_u32_e64 s2, 64, v12
	s_and_b32 s75, s3, s1
	v_add_nc_u32_e32 v49, 0x4000, v0
	v_lshlrev_b32_e32 v0, 4, v1
	v_cmp_ne_u32_e64 s3, 0, v14
	s_add_nc_u64 s[6:7], s[40:41], 1
	s_and_b32 s73, s4, s1
	s_mul_u64 s[8:9], s[6:7], s[10:11]
	v_cmp_eq_u32_e64 s4, 2, v13
	v_cmp_eq_u32_e64 s5, 3, v13
	;; [unrolled: 1-line block ×3, first 2 shown]
	s_and_b32 s79, s3, s2
	v_cmp_eq_u32_e64 s3, 2, v14
	s_and_b32 s76, s4, s1
	s_and_b32 s77, s5, s1
	;; [unrolled: 1-line block ×3, first 2 shown]
	v_cmp_eq_u32_e64 s4, 1, v14
	v_cmp_lt_u32_e64 s5, 1, v14
	v_cmp_lt_u32_e64 s6, 2, v14
	s_and_b32 s82, s3, s2
	v_cmp_lt_u32_e64 s3, 3, v14
	s_and_b32 s80, s4, s2
	s_and_b32 s81, s5, s2
	v_cmp_eq_u32_e64 s4, 3, v14
	s_and_b32 s83, s6, s2
	v_cmp_eq_u32_e64 s5, 4, v14
	v_cmp_eq_u32_e64 s6, 5, v14
	s_and_b32 s85, s3, s2
	v_cmp_lt_u32_e64 s3, 5, v14
	s_and_b32 s84, s4, s2
	v_cmp_lt_u32_e64 s4, 4, v14
	s_and_b32 s86, s5, s2
	s_and_b32 s88, s6, s2
	v_cmp_eq_u32_e64 s5, 7, v14
	s_and_b32 s89, s3, s2
	v_cmp_gt_u32_e64 s3, 0x100, v12
	v_lshlrev_b32_e32 v53, 4, v14
	v_cmp_eq_u32_e64 s6, 0, v15
	s_and_b32 s87, s4, s2
	v_cmp_eq_u32_e64 s4, 6, v14
	v_cmp_ne_u32_e64 s7, 0, v15
	s_and_b32 s91, s5, s2
	s_and_b32 s5, s6, s3
	v_cmp_eq_u32_e64 s6, 2, v15
	v_writelane_b32 v76, s5, 0
	s_and_b32 s90, s4, s2
	v_cmp_eq_u32_e64 s4, 1, v15
	s_and_b32 s5, s7, s3
	v_cmp_eq_u32_e64 s7, 3, v15
	v_writelane_b32 v76, s5, 1
	v_cmp_lt_u32_e64 s5, 1, v15
	s_and_b32 s4, s4, s3
	v_cmp_gt_i32_e32 vcc_lo, s12, v24
	v_cmp_gt_u32_e64 s17, 0xf0, v12
	v_writelane_b32 v76, s4, 2
	s_and_b32 s5, s5, s3
	v_cmp_lt_u32_e64 s4, 2, v15
	v_dual_ashrrev_i32 v29, 31, v28 :: v_dual_lshlrev_b32 v48, 4, v13
	v_writelane_b32 v76, s5, 3
	s_and_b32 s5, s6, s3
	s_and_b32 s4, s4, s3
	v_cmp_lt_u32_e64 s6, 4, v15
	v_mul_u32_u24_e32 v50, 0x210, v1
	v_writelane_b32 v76, s5, 4
	v_cmp_lt_u32_e64 s5, 3, v15
	v_add_nc_u32_e32 v52, v9, v48
	v_and_b32_e32 v54, 0x7ff0, v12
	v_dual_sub_nc_u32 v9, v50, v0 :: v_dual_mov_b32 v23, v3
	v_writelane_b32 v76, s4, 5
	s_and_b32 s4, s7, s3
	s_and_b32 s5, s5, s3
	v_cmp_lt_u32_e64 s7, 5, v15
	v_dual_lshlrev_b32 v47, 4, v24 :: v_dual_add_nc_u32 v59, v9, v53
	v_writelane_b32 v76, s4, 6
	v_cmp_eq_u32_e64 s4, 4, v15
	v_add_nc_u32_e32 v9, -16, v10
	v_add_nc_u32_e32 v60, 0x4000, v54
	v_add_nc_u32_e32 v57, 0x4000, v0
	v_writelane_b32 v76, s5, 7
	s_and_b32 s4, s4, s3
	v_cmp_eq_u32_e64 s5, 5, v15
	v_lshl_or_b32 v58, v1, 9, v53
	v_mul_u64_e32 v[0:1], s[50:51], v[28:29]
	v_writelane_b32 v76, s4, 8
	s_and_b32 s4, s6, s3
	s_and_b32 s5, s5, s3
	v_cmp_eq_u32_e64 s6, 7, v15
	v_mul_u64_e32 v[32:33], s[50:51], v[2:3]
	v_writelane_b32 v76, s4, 9
	v_cmp_eq_u32_e64 s4, 6, v15
	v_mul_u64_e32 v[34:35], s[50:51], v[6:7]
	v_mul_u64_e32 v[36:37], s[40:41], v[22:23]
	v_dual_lshlrev_b32 v11, 5, v12 :: v_dual_add_nc_u32 v67, v62, v47
	v_writelane_b32 v76, s5, 10
	s_and_b32 s5, s7, s3
	s_and_b32 s4, s4, s3
	v_cmp_eq_u32_e64 s7, 8, v15
	v_and_b32_e32 v55, 0xfffffe00, v11
	v_writelane_b32 v76, s5, 11
	v_cmp_lt_u32_e64 s5, 6, v15
	v_lshlrev_b32_e32 v56, 4, v15
	s_and_b32 s19, s7, s3
	v_cmp_lt_u32_e64 s7, 10, v15
	v_writelane_b32 v76, s4, 12
	s_and_b32 s5, s5, s3
	v_cmp_lt_u32_e64 s4, 7, v15
	v_dual_lshlrev_b32 v38, 4, v24 :: v_dual_bitop2_b32 v2, v8, v24 bitop3:0x54
	v_writelane_b32 v76, s5, 13
	s_and_b32 s5, s6, s3
	s_and_b32 s18, s4, s3
	v_cmp_eq_u32_e64 s4, 9, v15
	v_cmp_lt_u32_e64 s6, 9, v15
	v_writelane_b32 v76, s5, 14
	v_cmp_lt_u32_e64 s5, 8, v15
	s_and_b32 s24, s7, s3
	s_and_b32 s21, s4, s3
	v_cmp_eq_u32_e64 s4, 11, v15
	s_and_b32 s22, s6, s3
	s_and_b32 s20, s5, s3
	v_cmp_eq_u32_e64 s5, 10, v15
	v_cmp_eq_u32_e64 s6, 12, v15
	;; [unrolled: 1-line block ×3, first 2 shown]
	s_and_b32 s25, s4, s3
	v_cmp_lt_u32_e64 s4, 12, v15
	s_and_b32 s23, s5, s3
	v_cmp_lt_u32_e64 s5, 11, v15
	s_and_b32 s27, s6, s3
	v_cmp_le_i32_e64 s6, s12, v24
	s_and_b32 s93, s7, s3
	v_cmp_eq_u32_e64 s7, 14, v15
	s_and_b32 s26, s5, s3
	v_cmp_lt_u32_e64 s5, 13, v15
	s_and_b32 s92, s4, s3
	v_cmp_eq_u32_e64 s4, 0, v22
	s_and_b32 s95, s6, s13
	s_and_b32 s96, s7, s3
	s_and_b32 s94, s5, s3
	v_cmp_eq_u32_e64 s5, 15, v15
	s_xor_b32 s7, s95, -1
	v_lshl_or_b32 v51, v16, 9, v48
	s_and_b32 s98, s4, s7
	v_cmp_le_i32_e64 s7, s12, v8
	s_and_b32 s97, s5, s3
	s_cmp_gt_i32 s66, 0
	v_cmp_le_i32_e64 s5, s12, v22
	s_cselect_b32 s99, -1, 0
	s_and_b32 s12, s4, vcc_lo
	s_or_b32 s11, s7, s6
	v_writelane_b32 v76, s12, 15
	v_cmp_gt_i32_e64 s7, s65, v9
	v_mov_b32_e32 v9, v3
	s_or_b32 s10, s5, s6
	v_cmp_gt_i32_e64 s5, s65, v28
	v_writelane_b32 v76, s17, 16
	v_cmp_gt_u32_e64 s17, 0xe0, v12
	v_mul_u64_e32 v[40:41], s[40:41], v[8:9]
	v_cmp_gt_i32_e64 s6, s65, v4
	s_and_b32 s101, s5, s7
	v_cmp_le_u32_e64 s7, v24, v8
	v_writelane_b32 v76, s17, 17
	v_cmp_gt_u32_e64 s17, 0xd0, v12
	s_and_b32 s100, s5, s6
	v_cmp_le_u32_e64 s6, v24, v22
	v_or_b32_e32 v61, v55, v56
	v_lshl_add_u32 v63, v26, 4, 0x6000
	v_writelane_b32 v76, s17, 18
	v_cmp_gt_u32_e64 s17, 0xc0, v12
	v_lshl_add_u32 v64, v12, 4, 0x4000
	v_add_nc_u32_e32 v65, 0x4000, v47
	v_lshl_add_u32 v66, v22, 9, v47
	v_lshl_add_u32 v23, v8, 9, v47
	v_writelane_b32 v76, s17, 19
	v_cmp_gt_u32_e64 s17, 0xb0, v12
	s_or_b32 s102, s10, s6
	s_or_b32 s103, s11, s7
	s_lshl_b64 s[58:59], s[8:9], 4
	v_cmp_eq_u32_e64 s8, 0, v5
	v_writelane_b32 v76, s17, 20
	v_cmp_gt_u32_e64 s17, 0xa0, v12
	v_cmp_gt_u32_e64 s9, 2, v12
	;; [unrolled: 1-line block ×5, first 2 shown]
	v_writelane_b32 v76, s17, 21
	v_cmp_gt_u32_e64 s17, 0x90, v12
	v_cmp_gt_u32_e64 s13, 48, v12
	;; [unrolled: 1-line block ×5, first 2 shown]
	v_writelane_b32 v76, s17, 22
	v_cmp_gt_u32_e64 s17, 0x80, v12
	v_cmp_eq_u32_e64 s28, 0, v26
	v_cmp_gt_u32_e64 s29, 32, v26
	v_cmp_ge_u32_e64 s31, v24, v8
	v_cmp_gt_u32_e64 s33, 32, v5
	v_writelane_b32 v76, s17, 23
	v_cmp_gt_u32_e64 s17, 0x70, v12
	v_cmp_gt_u32_e64 s34, 32, v2
	s_lshl_b64 s[60:61], s[40:41], 8
	s_mov_b32 s37, 0x3ff00000
                                        ; implicit-def: $vgpr6_vgpr7
                                        ; implicit-def: $vgpr10_vgpr11
	v_writelane_b32 v76, s17, 24
	v_cmp_gt_u32_e64 s17, 0x60, v12
	s_delay_alu instid0(VALU_DEP_1) | instskip(SKIP_1) | instid1(VALU_DEP_1)
	v_writelane_b32 v76, s17, 25
	v_cmp_gt_u32_e64 s17, 0x50, v12
	v_writelane_b32 v76, s17, 26
	s_branch .LBB79_3
.LBB79_2:                               ;   in Loop: Header=BB79_3 Depth=1
	s_wait_xcnt 0x0
	s_or_b32 exec_lo, exec_lo, s35
	s_add_co_i32 s56, s56, 0x10000
	global_wb scope:SCOPE_DEV
	s_wait_storecnt 0x0
	global_inv scope:SCOPE_DEV
	s_cmp_lt_u32 s56, s64
	s_cbranch_scc0 .LBB79_512
.LBB79_3:                               ; =>This Loop Header: Depth=1
                                        ;     Child Loop BB79_427 Depth 2
                                        ;       Child Loop BB79_429 Depth 3
                                        ;     Child Loop BB79_460 Depth 2
	global_load_b128 v[14:17], v3, s[44:45]
	s_mul_u64 s[38:39], s[42:43], s[56:57]
	s_and_not1_b32 vcc_lo, exec_lo, s67
	s_lshl_b64 s[38:39], s[38:39], 4
	s_delay_alu instid0(SALU_CYCLE_1)
	s_add_nc_u64 s[62:63], s[48:49], s[38:39]
	s_cbranch_vccnz .LBB79_9
; %bb.4:                                ;   in Loop: Header=BB79_3 Depth=1
	v_lshl_add_u64 v[4:5], v[30:31], 4, s[62:63]
	v_mov_b64_e32 v[12:13], 0
	v_mov_b64_e32 v[6:7], 0
	;; [unrolled: 1-line block ×3, first 2 shown]
	s_wait_loadcnt 0x0
	v_lshl_add_u64 v[4:5], v[28:29], 4, v[4:5]
	s_barrier_signal -1
	s_barrier_wait -1
	s_wait_xcnt 0x0
	s_and_saveexec_b32 s35, s100
	s_cbranch_execz .LBB79_6
; %bb.5:                                ;   in Loop: Header=BB79_3 Depth=1
	global_load_b128 v[6:9], v[4:5], off
.LBB79_6:                               ;   in Loop: Header=BB79_3 Depth=1
	s_wait_xcnt 0x0
	s_or_b32 exec_lo, exec_lo, s35
	v_mov_b64_e32 v[10:11], 0
	s_wait_loadcnt 0x0
	s_barrier_signal -1
	s_barrier_wait -1
	s_and_saveexec_b32 s35, s101
	s_cbranch_execz .LBB79_8
; %bb.7:                                ;   in Loop: Header=BB79_3 Depth=1
	v_add_nc_u64_e32 v[4:5], s[60:61], v[4:5]
	global_load_b128 v[10:13], v[4:5], off
.LBB79_8:                               ;   in Loop: Header=BB79_3 Depth=1
	s_wait_xcnt 0x0
	s_or_b32 exec_lo, exec_lo, s35
.LBB79_9:                               ;   in Loop: Header=BB79_3 Depth=1
	s_add_nc_u64 s[38:39], s[62:63], s[58:59]
	s_and_not1_b32 vcc_lo, exec_lo, s68
	v_add_nc_u64_e32 v[42:43], s[38:39], v[38:39]
	s_mov_b32 s35, -1
	s_cbranch_vccnz .LBB79_18
; %bb.10:                               ;   in Loop: Header=BB79_3 Depth=1
	s_mov_b32 s35, 0
	s_wait_xcnt 0x0
	s_and_saveexec_b32 s36, s6
	s_delay_alu instid0(SALU_CYCLE_1)
	s_xor_b32 s36, exec_lo, s36
; %bb.11:                               ;   in Loop: Header=BB79_3 Depth=1
	s_and_b32 s35, s33, exec_lo
; %bb.12:                               ;   in Loop: Header=BB79_3 Depth=1
	s_or_saveexec_b32 s36, s36
	v_mov_b64_e32 v[20:21], 0
	v_mov_b64_e32 v[18:19], 0
	s_xor_b32 exec_lo, exec_lo, s36
	s_cbranch_execnz .LBB79_473
; %bb.13:                               ;   in Loop: Header=BB79_3 Depth=1
	s_or_b32 exec_lo, exec_lo, s36
	s_and_saveexec_b32 s36, s35
	s_cbranch_execnz .LBB79_474
.LBB79_14:                              ;   in Loop: Header=BB79_3 Depth=1
	s_or_b32 exec_lo, exec_lo, s36
	s_and_saveexec_b32 s35, s7
	s_delay_alu instid0(SALU_CYCLE_1)
	s_xor_b32 s35, exec_lo, s35
	s_cbranch_execnz .LBB79_475
.LBB79_15:                              ;   in Loop: Header=BB79_3 Depth=1
	s_and_not1_saveexec_b32 s35, s35
	s_cbranch_execz .LBB79_17
.LBB79_16:                              ;   in Loop: Header=BB79_3 Depth=1
	v_lshl_add_u64 v[4:5], v[40:41], 4, v[42:43]
	global_load_b128 v[18:21], v[4:5], off
	s_wait_loadcnt 0x0
	v_xor_b32_e32 v19, 0x80000000, v19
	v_xor_b32_e32 v21, 0x80000000, v21
	ds_store_b128 v23, v[18:21]
.LBB79_17:                              ;   in Loop: Header=BB79_3 Depth=1
	s_or_b32 exec_lo, exec_lo, s35
	s_mov_b32 s35, 0
.LBB79_18:                              ;   in Loop: Header=BB79_3 Depth=1
	s_delay_alu instid0(SALU_CYCLE_1)
	s_and_b32 vcc_lo, exec_lo, s35
	s_cbranch_vccz .LBB79_27
; %bb.19:                               ;   in Loop: Header=BB79_3 Depth=1
	s_mov_b32 s35, 0
	s_wait_xcnt 0x0
	s_and_saveexec_b32 s36, s102
	s_delay_alu instid0(SALU_CYCLE_1)
	s_xor_b32 s36, exec_lo, s36
; %bb.20:                               ;   in Loop: Header=BB79_3 Depth=1
	s_and_b32 s35, s33, exec_lo
; %bb.21:                               ;   in Loop: Header=BB79_3 Depth=1
	s_or_saveexec_b32 s36, s36
	v_mov_b64_e32 v[20:21], 0
	v_mov_b64_e32 v[18:19], 0
	s_xor_b32 exec_lo, exec_lo, s36
	s_cbranch_execnz .LBB79_478
; %bb.22:                               ;   in Loop: Header=BB79_3 Depth=1
	s_or_b32 exec_lo, exec_lo, s36
	s_and_saveexec_b32 s36, s35
	s_cbranch_execnz .LBB79_479
.LBB79_23:                              ;   in Loop: Header=BB79_3 Depth=1
	s_or_b32 exec_lo, exec_lo, s36
	s_and_saveexec_b32 s35, s103
	s_delay_alu instid0(SALU_CYCLE_1)
	s_xor_b32 s35, exec_lo, s35
	s_cbranch_execnz .LBB79_480
.LBB79_24:                              ;   in Loop: Header=BB79_3 Depth=1
	s_and_not1_saveexec_b32 s35, s35
	s_cbranch_execz .LBB79_26
.LBB79_25:                              ;   in Loop: Header=BB79_3 Depth=1
	v_lshl_add_u64 v[4:5], v[40:41], 4, v[42:43]
	global_load_b128 v[18:21], v[4:5], off
	s_wait_loadcnt 0x0
	v_xor_b32_e32 v19, 0x80000000, v19
	v_xor_b32_e32 v21, 0x80000000, v21
	ds_store_b128 v23, v[18:21]
.LBB79_26:                              ;   in Loop: Header=BB79_3 Depth=1
	s_or_b32 exec_lo, exec_lo, s35
.LBB79_27:                              ;   in Loop: Header=BB79_3 Depth=1
	s_delay_alu instid0(SALU_CYCLE_1)
	s_and_not1_b32 vcc_lo, exec_lo, s69
	s_wait_loadcnt_dscnt 0x0
	s_barrier_signal -1
	s_barrier_wait -1
	s_cbranch_vccnz .LBB79_421
; %bb.28:                               ;   in Loop: Header=BB79_3 Depth=1
	s_and_saveexec_b32 s35, s8
	s_cbranch_execz .LBB79_30
; %bb.29:                               ;   in Loop: Header=BB79_3 Depth=1
	s_mov_b32 s36, s57
	s_mov_b32 s38, s57
	;; [unrolled: 1-line block ×3, first 2 shown]
	v_mov_b64_e32 v[18:19], s[36:37]
	v_mov_b64_e32 v[20:21], s[38:39]
	ds_store_b128 v3, v[18:21]
	ds_store_b128 v3, v[18:21] offset:528
.LBB79_30:                              ;   in Loop: Header=BB79_3 Depth=1
	s_or_b32 exec_lo, exec_lo, s35
	v_mov_b64_e32 v[20:21], 0
	v_mov_b64_e32 v[18:19], 0
	s_wait_dscnt 0x0
	s_barrier_signal -1
	s_barrier_wait -1
	s_and_saveexec_b32 s35, s0
	s_cbranch_execz .LBB79_34
; %bb.31:                               ;   in Loop: Header=BB79_3 Depth=1
	ds_load_b128 v[18:21], v46
	ds_load_b128 v[68:71], v44 offset:32
	s_wait_dscnt 0x0
	v_mul_f64_e32 v[4:5], v[20:21], v[70:71]
	v_mul_f64_e32 v[42:43], v[18:19], v[70:71]
	s_delay_alu instid0(VALU_DEP_2) | instskip(NEXT) | instid1(VALU_DEP_2)
	v_fma_f64 v[4:5], v[18:19], v[68:69], -v[4:5]
	v_fmac_f64_e32 v[42:43], v[20:21], v[68:69]
	s_delay_alu instid0(VALU_DEP_2) | instskip(NEXT) | instid1(VALU_DEP_2)
	v_add_f64_e32 v[18:19], 0, v[4:5]
	v_add_f64_e32 v[20:21], 0, v[42:43]
	s_and_saveexec_b32 s36, s9
	s_cbranch_execz .LBB79_33
; %bb.32:                               ;   in Loop: Header=BB79_3 Depth=1
	ds_load_b128 v[68:71], v3 offset:16
	ds_load_b128 v[72:75], v47 offset:544
	s_wait_dscnt 0x0
	v_mul_f64_e32 v[4:5], v[70:71], v[74:75]
	v_mul_f64_e32 v[42:43], v[68:69], v[74:75]
	s_delay_alu instid0(VALU_DEP_2) | instskip(NEXT) | instid1(VALU_DEP_2)
	v_fma_f64 v[4:5], v[68:69], v[72:73], -v[4:5]
	v_fmac_f64_e32 v[42:43], v[70:71], v[72:73]
	s_delay_alu instid0(VALU_DEP_2) | instskip(NEXT) | instid1(VALU_DEP_2)
	v_add_f64_e32 v[18:19], v[18:19], v[4:5]
	v_add_f64_e32 v[20:21], v[20:21], v[42:43]
.LBB79_33:                              ;   in Loop: Header=BB79_3 Depth=1
	s_or_b32 exec_lo, exec_lo, s36
	s_delay_alu instid0(VALU_DEP_2) | instskip(NEXT) | instid1(VALU_DEP_2)
	v_xor_b32_e32 v19, 0x80000000, v19
	v_xor_b32_e32 v21, 0x80000000, v21
.LBB79_34:                              ;   in Loop: Header=BB79_3 Depth=1
	s_or_b32 exec_lo, exec_lo, s35
	s_and_saveexec_b32 s35, s70
; %bb.35:                               ;   in Loop: Header=BB79_3 Depth=1
	ds_store_b128 v27, v[18:21]
; %bb.36:                               ;   in Loop: Header=BB79_3 Depth=1
	s_or_b32 exec_lo, exec_lo, s35
	s_wait_dscnt 0x0
	s_barrier_signal -1
	s_barrier_wait -1
	s_and_saveexec_b32 s35, s71
	s_cbranch_execz .LBB79_38
; %bb.37:                               ;   in Loop: Header=BB79_3 Depth=1
	ds_load_b128 v[68:71], v27
	ds_load_b128 v[72:75], v3 offset:1072
	s_wait_dscnt 0x0
	v_mul_f64_e32 v[4:5], v[70:71], v[74:75]
	v_mul_f64_e32 v[42:43], v[68:69], v[74:75]
	s_delay_alu instid0(VALU_DEP_2) | instskip(NEXT) | instid1(VALU_DEP_2)
	v_fma_f64 v[4:5], v[68:69], v[72:73], -v[4:5]
	v_fmac_f64_e32 v[42:43], v[70:71], v[72:73]
	s_delay_alu instid0(VALU_DEP_2) | instskip(NEXT) | instid1(VALU_DEP_2)
	v_add_f64_e32 v[18:19], v[18:19], v[4:5]
	v_add_f64_e32 v[20:21], v[20:21], v[42:43]
.LBB79_38:                              ;   in Loop: Header=BB79_3 Depth=1
	s_or_b32 exec_lo, exec_lo, s35
	s_barrier_signal -1
	s_barrier_wait -1
	s_and_saveexec_b32 s35, s71
; %bb.39:                               ;   in Loop: Header=BB79_3 Depth=1
	ds_store_b128 v27, v[18:21]
; %bb.40:                               ;   in Loop: Header=BB79_3 Depth=1
	s_or_b32 exec_lo, exec_lo, s35
	s_wait_dscnt 0x0
	s_barrier_signal -1
	s_barrier_wait -1
	s_barrier_signal -1
	s_barrier_wait -1
	s_and_saveexec_b32 s35, s0
; %bb.41:                               ;   in Loop: Header=BB79_3 Depth=1
	v_xor_b32_e32 v19, 0x80000000, v19
	v_xor_b32_e32 v21, 0x80000000, v21
	ds_store_b128 v44, v[18:21] offset:32
; %bb.42:                               ;   in Loop: Header=BB79_3 Depth=1
	s_or_b32 exec_lo, exec_lo, s35
	s_wait_dscnt 0x0
	s_barrier_signal -1
	s_barrier_wait -1
	s_barrier_signal -1
	s_barrier_wait -1
	s_and_saveexec_b32 s35, s8
	s_cbranch_execz .LBB79_44
; %bb.43:                               ;   in Loop: Header=BB79_3 Depth=1
	s_mov_b32 s36, s57
	s_mov_b32 s38, s57
	;; [unrolled: 1-line block ×3, first 2 shown]
	v_mov_b64_e32 v[18:19], s[36:37]
	v_mov_b64_e32 v[20:21], s[38:39]
	ds_store_b128 v3, v[18:21] offset:1056
	ds_store_b128 v3, v[18:21] offset:1584
.LBB79_44:                              ;   in Loop: Header=BB79_3 Depth=1
	s_or_b32 exec_lo, exec_lo, s35
	v_mov_b64_e32 v[20:21], 0
	v_mov_b64_e32 v[18:19], 0
	s_wait_dscnt 0x0
	s_barrier_signal -1
	s_barrier_wait -1
	s_and_saveexec_b32 s35, s1
	s_cbranch_execz .LBB79_50
; %bb.45:                               ;   in Loop: Header=BB79_3 Depth=1
	ds_load_b128 v[18:21], v45
	ds_load_b128 v[68:71], v51 offset:64
	s_wait_dscnt 0x0
	v_mul_f64_e32 v[4:5], v[20:21], v[70:71]
	v_mul_f64_e32 v[42:43], v[18:19], v[70:71]
	s_delay_alu instid0(VALU_DEP_2) | instskip(NEXT) | instid1(VALU_DEP_2)
	v_fma_f64 v[4:5], v[18:19], v[68:69], -v[4:5]
	v_fmac_f64_e32 v[42:43], v[20:21], v[68:69]
	s_delay_alu instid0(VALU_DEP_2) | instskip(NEXT) | instid1(VALU_DEP_2)
	v_add_f64_e32 v[18:19], 0, v[4:5]
	v_add_f64_e32 v[20:21], 0, v[42:43]
	s_and_saveexec_b32 s36, s10
	s_cbranch_execnz .LBB79_488
; %bb.46:                               ;   in Loop: Header=BB79_3 Depth=1
	s_or_b32 exec_lo, exec_lo, s36
	s_and_saveexec_b32 s36, s11
	s_cbranch_execnz .LBB79_489
.LBB79_47:                              ;   in Loop: Header=BB79_3 Depth=1
	s_or_b32 exec_lo, exec_lo, s36
	s_and_saveexec_b32 s36, s0
	s_cbranch_execz .LBB79_49
.LBB79_48:                              ;   in Loop: Header=BB79_3 Depth=1
	ds_load_b128 v[68:71], v3 offset:48
	ds_load_b128 v[72:75], v47 offset:1600
	s_wait_dscnt 0x0
	v_mul_f64_e32 v[4:5], v[70:71], v[74:75]
	v_mul_f64_e32 v[42:43], v[68:69], v[74:75]
	s_delay_alu instid0(VALU_DEP_2) | instskip(NEXT) | instid1(VALU_DEP_2)
	v_fma_f64 v[4:5], v[68:69], v[72:73], -v[4:5]
	v_fmac_f64_e32 v[42:43], v[70:71], v[72:73]
	s_delay_alu instid0(VALU_DEP_2) | instskip(NEXT) | instid1(VALU_DEP_2)
	v_add_f64_e32 v[18:19], v[18:19], v[4:5]
	v_add_f64_e32 v[20:21], v[20:21], v[42:43]
.LBB79_49:                              ;   in Loop: Header=BB79_3 Depth=1
	s_or_b32 exec_lo, exec_lo, s36
	s_delay_alu instid0(VALU_DEP_2) | instskip(NEXT) | instid1(VALU_DEP_2)
	v_xor_b32_e32 v19, 0x80000000, v19
	v_xor_b32_e32 v21, 0x80000000, v21
.LBB79_50:                              ;   in Loop: Header=BB79_3 Depth=1
	s_or_b32 exec_lo, exec_lo, s35
	s_and_saveexec_b32 s35, s72
; %bb.51:                               ;   in Loop: Header=BB79_3 Depth=1
	ds_store_b128 v49, v[18:21]
; %bb.52:                               ;   in Loop: Header=BB79_3 Depth=1
	s_or_b32 exec_lo, exec_lo, s35
	s_wait_dscnt 0x0
	s_barrier_signal -1
	s_barrier_wait -1
	s_and_saveexec_b32 s35, s73
	s_cbranch_execz .LBB79_54
; %bb.53:                               ;   in Loop: Header=BB79_3 Depth=1
	ds_load_b128 v[68:71], v49
	ds_load_b128 v[72:75], v48 offset:2112
	s_wait_dscnt 0x0
	v_mul_f64_e32 v[4:5], v[70:71], v[74:75]
	v_mul_f64_e32 v[42:43], v[68:69], v[74:75]
	s_delay_alu instid0(VALU_DEP_2) | instskip(NEXT) | instid1(VALU_DEP_2)
	v_fma_f64 v[4:5], v[68:69], v[72:73], -v[4:5]
	v_fmac_f64_e32 v[42:43], v[70:71], v[72:73]
	s_delay_alu instid0(VALU_DEP_2) | instskip(NEXT) | instid1(VALU_DEP_2)
	v_add_f64_e32 v[18:19], v[18:19], v[4:5]
	v_add_f64_e32 v[20:21], v[20:21], v[42:43]
.LBB79_54:                              ;   in Loop: Header=BB79_3 Depth=1
	s_or_b32 exec_lo, exec_lo, s35
	s_barrier_signal -1
	s_barrier_wait -1
	s_and_saveexec_b32 s35, s74
; %bb.55:                               ;   in Loop: Header=BB79_3 Depth=1
	ds_store_b128 v49, v[18:21]
; %bb.56:                               ;   in Loop: Header=BB79_3 Depth=1
	s_or_b32 exec_lo, exec_lo, s35
	s_wait_dscnt 0x0
	s_barrier_signal -1
	s_barrier_wait -1
	s_and_saveexec_b32 s35, s75
	s_cbranch_execz .LBB79_58
; %bb.57:                               ;   in Loop: Header=BB79_3 Depth=1
	ds_load_b128 v[68:71], v49
	ds_load_b128 v[72:75], v48 offset:2624
	s_wait_dscnt 0x0
	v_mul_f64_e32 v[4:5], v[70:71], v[74:75]
	v_mul_f64_e32 v[42:43], v[68:69], v[74:75]
	s_delay_alu instid0(VALU_DEP_2) | instskip(NEXT) | instid1(VALU_DEP_2)
	v_fma_f64 v[4:5], v[68:69], v[72:73], -v[4:5]
	v_fmac_f64_e32 v[42:43], v[70:71], v[72:73]
	s_delay_alu instid0(VALU_DEP_2) | instskip(NEXT) | instid1(VALU_DEP_2)
	v_add_f64_e32 v[18:19], v[18:19], v[4:5]
	v_add_f64_e32 v[20:21], v[20:21], v[42:43]
.LBB79_58:                              ;   in Loop: Header=BB79_3 Depth=1
	s_or_b32 exec_lo, exec_lo, s35
	s_barrier_signal -1
	s_barrier_wait -1
	;; [unrolled: 26-line block ×3, first 2 shown]
	s_and_saveexec_b32 s35, s77
; %bb.63:                               ;   in Loop: Header=BB79_3 Depth=1
	ds_store_b128 v49, v[18:21]
; %bb.64:                               ;   in Loop: Header=BB79_3 Depth=1
	s_or_b32 exec_lo, exec_lo, s35
	s_wait_dscnt 0x0
	s_barrier_signal -1
	s_barrier_wait -1
	s_barrier_signal -1
	s_barrier_wait -1
	s_and_saveexec_b32 s35, s1
; %bb.65:                               ;   in Loop: Header=BB79_3 Depth=1
	v_xor_b32_e32 v21, 0x80000000, v21
	v_xor_b32_e32 v19, 0x80000000, v19
	ds_store_b128 v51, v[18:21] offset:64
; %bb.66:                               ;   in Loop: Header=BB79_3 Depth=1
	s_or_b32 exec_lo, exec_lo, s35
	s_wait_dscnt 0x0
	s_barrier_signal -1
	s_barrier_wait -1
	s_barrier_signal -1
	s_barrier_wait -1
	s_and_saveexec_b32 s35, s8
	s_cbranch_execz .LBB79_68
; %bb.67:                               ;   in Loop: Header=BB79_3 Depth=1
	s_mov_b32 s36, s57
	s_mov_b32 s38, s57
	;; [unrolled: 1-line block ×3, first 2 shown]
	v_mov_b64_e32 v[18:19], s[36:37]
	v_mov_b64_e32 v[20:21], s[38:39]
	ds_store_b128 v3, v[18:21] offset:2112
	ds_store_b128 v3, v[18:21] offset:2640
.LBB79_68:                              ;   in Loop: Header=BB79_3 Depth=1
	s_or_b32 exec_lo, exec_lo, s35
	v_mov_b64_e32 v[20:21], 0
	v_mov_b64_e32 v[18:19], 0
	s_wait_dscnt 0x0
	s_barrier_signal -1
	s_barrier_wait -1
	s_and_saveexec_b32 s35, s0
	s_cbranch_execz .LBB79_72
; %bb.69:                               ;   in Loop: Header=BB79_3 Depth=1
	ds_load_b128 v[18:21], v46 offset:2112
	ds_load_b128 v[68:71], v44 offset:2144
	s_wait_dscnt 0x0
	v_mul_f64_e32 v[4:5], v[20:21], v[70:71]
	v_mul_f64_e32 v[42:43], v[18:19], v[70:71]
	s_delay_alu instid0(VALU_DEP_2) | instskip(NEXT) | instid1(VALU_DEP_2)
	v_fma_f64 v[4:5], v[18:19], v[68:69], -v[4:5]
	v_fmac_f64_e32 v[42:43], v[20:21], v[68:69]
	s_delay_alu instid0(VALU_DEP_2) | instskip(NEXT) | instid1(VALU_DEP_2)
	v_add_f64_e32 v[18:19], 0, v[4:5]
	v_add_f64_e32 v[20:21], 0, v[42:43]
	s_and_saveexec_b32 s36, s9
	s_cbranch_execz .LBB79_71
; %bb.70:                               ;   in Loop: Header=BB79_3 Depth=1
	ds_load_b128 v[68:71], v3 offset:2128
	ds_load_b128 v[72:75], v47 offset:2656
	s_wait_dscnt 0x0
	v_mul_f64_e32 v[4:5], v[70:71], v[74:75]
	v_mul_f64_e32 v[42:43], v[68:69], v[74:75]
	s_delay_alu instid0(VALU_DEP_2) | instskip(NEXT) | instid1(VALU_DEP_2)
	v_fma_f64 v[4:5], v[68:69], v[72:73], -v[4:5]
	v_fmac_f64_e32 v[42:43], v[70:71], v[72:73]
	s_delay_alu instid0(VALU_DEP_2) | instskip(NEXT) | instid1(VALU_DEP_2)
	v_add_f64_e32 v[18:19], v[18:19], v[4:5]
	v_add_f64_e32 v[20:21], v[20:21], v[42:43]
.LBB79_71:                              ;   in Loop: Header=BB79_3 Depth=1
	s_or_b32 exec_lo, exec_lo, s36
	s_delay_alu instid0(VALU_DEP_2) | instskip(NEXT) | instid1(VALU_DEP_2)
	v_xor_b32_e32 v19, 0x80000000, v19
	v_xor_b32_e32 v21, 0x80000000, v21
.LBB79_72:                              ;   in Loop: Header=BB79_3 Depth=1
	s_or_b32 exec_lo, exec_lo, s35
	s_and_saveexec_b32 s35, s70
; %bb.73:                               ;   in Loop: Header=BB79_3 Depth=1
	ds_store_b128 v27, v[18:21]
; %bb.74:                               ;   in Loop: Header=BB79_3 Depth=1
	s_or_b32 exec_lo, exec_lo, s35
	s_wait_dscnt 0x0
	s_barrier_signal -1
	s_barrier_wait -1
	s_and_saveexec_b32 s35, s71
	s_cbranch_execz .LBB79_76
; %bb.75:                               ;   in Loop: Header=BB79_3 Depth=1
	ds_load_b128 v[68:71], v27
	ds_load_b128 v[72:75], v3 offset:3184
	s_wait_dscnt 0x0
	v_mul_f64_e32 v[4:5], v[70:71], v[74:75]
	v_mul_f64_e32 v[42:43], v[68:69], v[74:75]
	s_delay_alu instid0(VALU_DEP_2) | instskip(NEXT) | instid1(VALU_DEP_2)
	v_fma_f64 v[4:5], v[68:69], v[72:73], -v[4:5]
	v_fmac_f64_e32 v[42:43], v[70:71], v[72:73]
	s_delay_alu instid0(VALU_DEP_2) | instskip(NEXT) | instid1(VALU_DEP_2)
	v_add_f64_e32 v[18:19], v[18:19], v[4:5]
	v_add_f64_e32 v[20:21], v[20:21], v[42:43]
.LBB79_76:                              ;   in Loop: Header=BB79_3 Depth=1
	s_or_b32 exec_lo, exec_lo, s35
	s_barrier_signal -1
	s_barrier_wait -1
	s_and_saveexec_b32 s35, s71
; %bb.77:                               ;   in Loop: Header=BB79_3 Depth=1
	ds_store_b128 v27, v[18:21]
; %bb.78:                               ;   in Loop: Header=BB79_3 Depth=1
	s_or_b32 exec_lo, exec_lo, s35
	s_wait_dscnt 0x0
	s_barrier_signal -1
	s_barrier_wait -1
	s_barrier_signal -1
	s_barrier_wait -1
	s_and_saveexec_b32 s35, s0
; %bb.79:                               ;   in Loop: Header=BB79_3 Depth=1
	v_xor_b32_e32 v19, 0x80000000, v19
	v_xor_b32_e32 v21, 0x80000000, v21
	ds_store_b128 v44, v[18:21] offset:2144
; %bb.80:                               ;   in Loop: Header=BB79_3 Depth=1
	s_or_b32 exec_lo, exec_lo, s35
	s_wait_dscnt 0x0
	s_barrier_signal -1
	s_barrier_wait -1
	s_barrier_signal -1
	s_barrier_wait -1
	s_and_saveexec_b32 s35, s8
	s_cbranch_execz .LBB79_82
; %bb.81:                               ;   in Loop: Header=BB79_3 Depth=1
	s_mov_b32 s36, s57
	s_mov_b32 s38, s57
	;; [unrolled: 1-line block ×3, first 2 shown]
	v_mov_b64_e32 v[18:19], s[36:37]
	v_mov_b64_e32 v[20:21], s[38:39]
	ds_store_b128 v3, v[18:21] offset:3168
	ds_store_b128 v3, v[18:21] offset:3696
.LBB79_82:                              ;   in Loop: Header=BB79_3 Depth=1
	s_or_b32 exec_lo, exec_lo, s35
	v_mov_b64_e32 v[20:21], 0
	v_mov_b64_e32 v[18:19], 0
	s_wait_dscnt 0x0
	s_barrier_signal -1
	s_barrier_wait -1
	s_and_saveexec_b32 s35, s2
	s_cbranch_execz .LBB79_92
; %bb.83:                               ;   in Loop: Header=BB79_3 Depth=1
	ds_load_b128 v[18:21], v50
	ds_load_b128 v[68:71], v58 offset:128
	s_wait_dscnt 0x0
	v_mul_f64_e32 v[4:5], v[20:21], v[70:71]
	v_mul_f64_e32 v[42:43], v[18:19], v[70:71]
	s_delay_alu instid0(VALU_DEP_2) | instskip(NEXT) | instid1(VALU_DEP_2)
	v_fma_f64 v[4:5], v[18:19], v[68:69], -v[4:5]
	v_fmac_f64_e32 v[42:43], v[20:21], v[68:69]
	s_delay_alu instid0(VALU_DEP_2) | instskip(NEXT) | instid1(VALU_DEP_2)
	v_add_f64_e32 v[18:19], 0, v[4:5]
	v_add_f64_e32 v[20:21], 0, v[42:43]
	s_and_saveexec_b32 s36, s12
	s_cbranch_execnz .LBB79_490
; %bb.84:                               ;   in Loop: Header=BB79_3 Depth=1
	s_or_b32 exec_lo, exec_lo, s36
	s_and_saveexec_b32 s36, s13
	s_cbranch_execnz .LBB79_491
.LBB79_85:                              ;   in Loop: Header=BB79_3 Depth=1
	s_or_b32 exec_lo, exec_lo, s36
	s_and_saveexec_b32 s36, s14
	s_cbranch_execnz .LBB79_492
.LBB79_86:                              ;   in Loop: Header=BB79_3 Depth=1
	s_or_b32 exec_lo, exec_lo, s36
	s_and_saveexec_b32 s36, s15
	s_cbranch_execnz .LBB79_493
.LBB79_87:                              ;   in Loop: Header=BB79_3 Depth=1
	s_or_b32 exec_lo, exec_lo, s36
	s_and_saveexec_b32 s36, s16
	s_cbranch_execnz .LBB79_494
.LBB79_88:                              ;   in Loop: Header=BB79_3 Depth=1
	s_or_b32 exec_lo, exec_lo, s36
	s_and_saveexec_b32 s36, s1
	s_cbranch_execnz .LBB79_495
.LBB79_89:                              ;   in Loop: Header=BB79_3 Depth=1
	s_or_b32 exec_lo, exec_lo, s36
	s_and_saveexec_b32 s36, s11
	s_cbranch_execz .LBB79_91
.LBB79_90:                              ;   in Loop: Header=BB79_3 Depth=1
	ds_load_b128 v[68:71], v3 offset:112
	ds_load_b128 v[72:75], v47 offset:3712
	s_wait_dscnt 0x0
	v_mul_f64_e32 v[4:5], v[70:71], v[74:75]
	v_mul_f64_e32 v[42:43], v[68:69], v[74:75]
	s_delay_alu instid0(VALU_DEP_2) | instskip(NEXT) | instid1(VALU_DEP_2)
	v_fma_f64 v[4:5], v[68:69], v[72:73], -v[4:5]
	v_fmac_f64_e32 v[42:43], v[70:71], v[72:73]
	s_delay_alu instid0(VALU_DEP_2) | instskip(NEXT) | instid1(VALU_DEP_2)
	v_add_f64_e32 v[18:19], v[18:19], v[4:5]
	v_add_f64_e32 v[20:21], v[20:21], v[42:43]
.LBB79_91:                              ;   in Loop: Header=BB79_3 Depth=1
	s_or_b32 exec_lo, exec_lo, s36
	s_delay_alu instid0(VALU_DEP_2) | instskip(NEXT) | instid1(VALU_DEP_2)
	v_xor_b32_e32 v19, 0x80000000, v19
	v_xor_b32_e32 v21, 0x80000000, v21
.LBB79_92:                              ;   in Loop: Header=BB79_3 Depth=1
	s_or_b32 exec_lo, exec_lo, s35
	s_and_saveexec_b32 s35, s78
; %bb.93:                               ;   in Loop: Header=BB79_3 Depth=1
	ds_store_b128 v57, v[18:21]
; %bb.94:                               ;   in Loop: Header=BB79_3 Depth=1
	s_or_b32 exec_lo, exec_lo, s35
	s_wait_dscnt 0x0
	s_barrier_signal -1
	s_barrier_wait -1
	s_and_saveexec_b32 s35, s79
	s_cbranch_execz .LBB79_96
; %bb.95:                               ;   in Loop: Header=BB79_3 Depth=1
	ds_load_b128 v[68:71], v57
	ds_load_b128 v[72:75], v53 offset:4224
	s_wait_dscnt 0x0
	v_mul_f64_e32 v[4:5], v[70:71], v[74:75]
	v_mul_f64_e32 v[42:43], v[68:69], v[74:75]
	s_delay_alu instid0(VALU_DEP_2) | instskip(NEXT) | instid1(VALU_DEP_2)
	v_fma_f64 v[4:5], v[68:69], v[72:73], -v[4:5]
	v_fmac_f64_e32 v[42:43], v[70:71], v[72:73]
	s_delay_alu instid0(VALU_DEP_2) | instskip(NEXT) | instid1(VALU_DEP_2)
	v_add_f64_e32 v[18:19], v[18:19], v[4:5]
	v_add_f64_e32 v[20:21], v[20:21], v[42:43]
.LBB79_96:                              ;   in Loop: Header=BB79_3 Depth=1
	s_or_b32 exec_lo, exec_lo, s35
	s_barrier_signal -1
	s_barrier_wait -1
	s_and_saveexec_b32 s35, s80
; %bb.97:                               ;   in Loop: Header=BB79_3 Depth=1
	ds_store_b128 v57, v[18:21]
; %bb.98:                               ;   in Loop: Header=BB79_3 Depth=1
	s_or_b32 exec_lo, exec_lo, s35
	s_wait_dscnt 0x0
	s_barrier_signal -1
	s_barrier_wait -1
	s_and_saveexec_b32 s35, s81
	s_cbranch_execz .LBB79_100
; %bb.99:                               ;   in Loop: Header=BB79_3 Depth=1
	ds_load_b128 v[68:71], v57
	ds_load_b128 v[72:75], v53 offset:4736
	s_wait_dscnt 0x0
	v_mul_f64_e32 v[4:5], v[70:71], v[74:75]
	v_mul_f64_e32 v[42:43], v[68:69], v[74:75]
	s_delay_alu instid0(VALU_DEP_2) | instskip(NEXT) | instid1(VALU_DEP_2)
	v_fma_f64 v[4:5], v[68:69], v[72:73], -v[4:5]
	v_fmac_f64_e32 v[42:43], v[70:71], v[72:73]
	s_delay_alu instid0(VALU_DEP_2) | instskip(NEXT) | instid1(VALU_DEP_2)
	v_add_f64_e32 v[18:19], v[18:19], v[4:5]
	v_add_f64_e32 v[20:21], v[20:21], v[42:43]
.LBB79_100:                             ;   in Loop: Header=BB79_3 Depth=1
	s_or_b32 exec_lo, exec_lo, s35
	s_barrier_signal -1
	s_barrier_wait -1
	s_and_saveexec_b32 s35, s82
; %bb.101:                              ;   in Loop: Header=BB79_3 Depth=1
	ds_store_b128 v57, v[18:21]
; %bb.102:                              ;   in Loop: Header=BB79_3 Depth=1
	s_or_b32 exec_lo, exec_lo, s35
	s_wait_dscnt 0x0
	s_barrier_signal -1
	s_barrier_wait -1
	s_and_saveexec_b32 s35, s83
	s_cbranch_execz .LBB79_104
; %bb.103:                              ;   in Loop: Header=BB79_3 Depth=1
	ds_load_b128 v[68:71], v57
	ds_load_b128 v[72:75], v53 offset:5248
	s_wait_dscnt 0x0
	v_mul_f64_e32 v[4:5], v[70:71], v[74:75]
	v_mul_f64_e32 v[42:43], v[68:69], v[74:75]
	s_delay_alu instid0(VALU_DEP_2) | instskip(NEXT) | instid1(VALU_DEP_2)
	v_fma_f64 v[4:5], v[68:69], v[72:73], -v[4:5]
	v_fmac_f64_e32 v[42:43], v[70:71], v[72:73]
	s_delay_alu instid0(VALU_DEP_2) | instskip(NEXT) | instid1(VALU_DEP_2)
	v_add_f64_e32 v[18:19], v[18:19], v[4:5]
	v_add_f64_e32 v[20:21], v[20:21], v[42:43]
.LBB79_104:                             ;   in Loop: Header=BB79_3 Depth=1
	s_or_b32 exec_lo, exec_lo, s35
	s_barrier_signal -1
	s_barrier_wait -1
	s_and_saveexec_b32 s35, s84
; %bb.105:                              ;   in Loop: Header=BB79_3 Depth=1
	ds_store_b128 v57, v[18:21]
; %bb.106:                              ;   in Loop: Header=BB79_3 Depth=1
	s_or_b32 exec_lo, exec_lo, s35
	s_wait_dscnt 0x0
	s_barrier_signal -1
	s_barrier_wait -1
	s_and_saveexec_b32 s35, s85
	s_cbranch_execz .LBB79_108
; %bb.107:                              ;   in Loop: Header=BB79_3 Depth=1
	ds_load_b128 v[68:71], v57
	ds_load_b128 v[72:75], v53 offset:5760
	s_wait_dscnt 0x0
	v_mul_f64_e32 v[4:5], v[70:71], v[74:75]
	v_mul_f64_e32 v[42:43], v[68:69], v[74:75]
	s_delay_alu instid0(VALU_DEP_2) | instskip(NEXT) | instid1(VALU_DEP_2)
	v_fma_f64 v[4:5], v[68:69], v[72:73], -v[4:5]
	v_fmac_f64_e32 v[42:43], v[70:71], v[72:73]
	s_delay_alu instid0(VALU_DEP_2) | instskip(NEXT) | instid1(VALU_DEP_2)
	v_add_f64_e32 v[18:19], v[18:19], v[4:5]
	v_add_f64_e32 v[20:21], v[20:21], v[42:43]
.LBB79_108:                             ;   in Loop: Header=BB79_3 Depth=1
	;; [unrolled: 26-line block ×5, first 2 shown]
	s_or_b32 exec_lo, exec_lo, s35
	s_barrier_signal -1
	s_barrier_wait -1
	s_and_saveexec_b32 s35, s91
; %bb.121:                              ;   in Loop: Header=BB79_3 Depth=1
	ds_store_b128 v57, v[18:21]
; %bb.122:                              ;   in Loop: Header=BB79_3 Depth=1
	s_or_b32 exec_lo, exec_lo, s35
	s_wait_dscnt 0x0
	s_barrier_signal -1
	s_barrier_wait -1
	s_barrier_signal -1
	s_barrier_wait -1
	s_and_saveexec_b32 s35, s2
; %bb.123:                              ;   in Loop: Header=BB79_3 Depth=1
	v_xor_b32_e32 v19, 0x80000000, v19
	v_xor_b32_e32 v21, 0x80000000, v21
	ds_store_b128 v58, v[18:21] offset:128
; %bb.124:                              ;   in Loop: Header=BB79_3 Depth=1
	s_or_b32 exec_lo, exec_lo, s35
	s_wait_dscnt 0x0
	s_barrier_signal -1
	s_barrier_wait -1
	s_barrier_signal -1
	s_barrier_wait -1
	s_and_saveexec_b32 s35, s8
	s_cbranch_execz .LBB79_126
; %bb.125:                              ;   in Loop: Header=BB79_3 Depth=1
	s_mov_b32 s36, s57
	s_mov_b32 s38, s57
	;; [unrolled: 1-line block ×3, first 2 shown]
	v_mov_b64_e32 v[18:19], s[36:37]
	v_mov_b64_e32 v[20:21], s[38:39]
	ds_store_b128 v3, v[18:21] offset:4224
	ds_store_b128 v3, v[18:21] offset:4752
.LBB79_126:                             ;   in Loop: Header=BB79_3 Depth=1
	s_or_b32 exec_lo, exec_lo, s35
	v_mov_b64_e32 v[20:21], 0
	v_mov_b64_e32 v[18:19], 0
	s_wait_dscnt 0x0
	s_barrier_signal -1
	s_barrier_wait -1
	s_and_saveexec_b32 s35, s0
	s_cbranch_execz .LBB79_130
; %bb.127:                              ;   in Loop: Header=BB79_3 Depth=1
	ds_load_b128 v[18:21], v46 offset:4224
	ds_load_b128 v[68:71], v44 offset:4256
	s_wait_dscnt 0x0
	v_mul_f64_e32 v[4:5], v[20:21], v[70:71]
	v_mul_f64_e32 v[42:43], v[18:19], v[70:71]
	s_delay_alu instid0(VALU_DEP_2) | instskip(NEXT) | instid1(VALU_DEP_2)
	v_fma_f64 v[4:5], v[18:19], v[68:69], -v[4:5]
	v_fmac_f64_e32 v[42:43], v[20:21], v[68:69]
	s_delay_alu instid0(VALU_DEP_2) | instskip(NEXT) | instid1(VALU_DEP_2)
	v_add_f64_e32 v[18:19], 0, v[4:5]
	v_add_f64_e32 v[20:21], 0, v[42:43]
	s_and_saveexec_b32 s36, s9
	s_cbranch_execz .LBB79_129
; %bb.128:                              ;   in Loop: Header=BB79_3 Depth=1
	ds_load_b128 v[68:71], v3 offset:4240
	ds_load_b128 v[72:75], v47 offset:4768
	s_wait_dscnt 0x0
	v_mul_f64_e32 v[4:5], v[70:71], v[74:75]
	v_mul_f64_e32 v[42:43], v[68:69], v[74:75]
	s_delay_alu instid0(VALU_DEP_2) | instskip(NEXT) | instid1(VALU_DEP_2)
	v_fma_f64 v[4:5], v[68:69], v[72:73], -v[4:5]
	v_fmac_f64_e32 v[42:43], v[70:71], v[72:73]
	s_delay_alu instid0(VALU_DEP_2) | instskip(NEXT) | instid1(VALU_DEP_2)
	v_add_f64_e32 v[18:19], v[18:19], v[4:5]
	v_add_f64_e32 v[20:21], v[20:21], v[42:43]
.LBB79_129:                             ;   in Loop: Header=BB79_3 Depth=1
	s_or_b32 exec_lo, exec_lo, s36
	s_delay_alu instid0(VALU_DEP_2) | instskip(NEXT) | instid1(VALU_DEP_2)
	v_xor_b32_e32 v19, 0x80000000, v19
	v_xor_b32_e32 v21, 0x80000000, v21
.LBB79_130:                             ;   in Loop: Header=BB79_3 Depth=1
	s_or_b32 exec_lo, exec_lo, s35
	s_and_saveexec_b32 s35, s70
; %bb.131:                              ;   in Loop: Header=BB79_3 Depth=1
	ds_store_b128 v27, v[18:21]
; %bb.132:                              ;   in Loop: Header=BB79_3 Depth=1
	s_or_b32 exec_lo, exec_lo, s35
	s_wait_dscnt 0x0
	s_barrier_signal -1
	s_barrier_wait -1
	s_and_saveexec_b32 s35, s71
	s_cbranch_execz .LBB79_134
; %bb.133:                              ;   in Loop: Header=BB79_3 Depth=1
	ds_load_b128 v[68:71], v27
	ds_load_b128 v[72:75], v3 offset:5296
	s_wait_dscnt 0x0
	v_mul_f64_e32 v[4:5], v[70:71], v[74:75]
	v_mul_f64_e32 v[42:43], v[68:69], v[74:75]
	s_delay_alu instid0(VALU_DEP_2) | instskip(NEXT) | instid1(VALU_DEP_2)
	v_fma_f64 v[4:5], v[68:69], v[72:73], -v[4:5]
	v_fmac_f64_e32 v[42:43], v[70:71], v[72:73]
	s_delay_alu instid0(VALU_DEP_2) | instskip(NEXT) | instid1(VALU_DEP_2)
	v_add_f64_e32 v[18:19], v[18:19], v[4:5]
	v_add_f64_e32 v[20:21], v[20:21], v[42:43]
.LBB79_134:                             ;   in Loop: Header=BB79_3 Depth=1
	s_or_b32 exec_lo, exec_lo, s35
	s_barrier_signal -1
	s_barrier_wait -1
	s_and_saveexec_b32 s35, s71
; %bb.135:                              ;   in Loop: Header=BB79_3 Depth=1
	ds_store_b128 v27, v[18:21]
; %bb.136:                              ;   in Loop: Header=BB79_3 Depth=1
	s_or_b32 exec_lo, exec_lo, s35
	s_wait_dscnt 0x0
	s_barrier_signal -1
	s_barrier_wait -1
	s_barrier_signal -1
	s_barrier_wait -1
	s_and_saveexec_b32 s35, s0
; %bb.137:                              ;   in Loop: Header=BB79_3 Depth=1
	v_xor_b32_e32 v19, 0x80000000, v19
	v_xor_b32_e32 v21, 0x80000000, v21
	ds_store_b128 v44, v[18:21] offset:4256
; %bb.138:                              ;   in Loop: Header=BB79_3 Depth=1
	s_or_b32 exec_lo, exec_lo, s35
	s_wait_dscnt 0x0
	s_barrier_signal -1
	s_barrier_wait -1
	s_barrier_signal -1
	s_barrier_wait -1
	s_and_saveexec_b32 s35, s8
	s_cbranch_execz .LBB79_140
; %bb.139:                              ;   in Loop: Header=BB79_3 Depth=1
	s_mov_b32 s36, s57
	s_mov_b32 s38, s57
	;; [unrolled: 1-line block ×3, first 2 shown]
	v_mov_b64_e32 v[18:19], s[36:37]
	v_mov_b64_e32 v[20:21], s[38:39]
	ds_store_b128 v3, v[18:21] offset:5280
	ds_store_b128 v3, v[18:21] offset:5808
.LBB79_140:                             ;   in Loop: Header=BB79_3 Depth=1
	s_or_b32 exec_lo, exec_lo, s35
	v_mov_b64_e32 v[20:21], 0
	v_mov_b64_e32 v[18:19], 0
	s_wait_dscnt 0x0
	s_barrier_signal -1
	s_barrier_wait -1
	s_and_saveexec_b32 s35, s1
	s_cbranch_execz .LBB79_146
; %bb.141:                              ;   in Loop: Header=BB79_3 Depth=1
	ds_load_b128 v[18:21], v45 offset:4224
	ds_load_b128 v[68:71], v51 offset:4288
	s_wait_dscnt 0x0
	v_mul_f64_e32 v[4:5], v[20:21], v[70:71]
	v_mul_f64_e32 v[42:43], v[18:19], v[70:71]
	s_delay_alu instid0(VALU_DEP_2) | instskip(NEXT) | instid1(VALU_DEP_2)
	v_fma_f64 v[4:5], v[18:19], v[68:69], -v[4:5]
	v_fmac_f64_e32 v[42:43], v[20:21], v[68:69]
	s_delay_alu instid0(VALU_DEP_2) | instskip(NEXT) | instid1(VALU_DEP_2)
	v_add_f64_e32 v[18:19], 0, v[4:5]
	v_add_f64_e32 v[20:21], 0, v[42:43]
	s_and_saveexec_b32 s36, s10
	s_cbranch_execnz .LBB79_496
; %bb.142:                              ;   in Loop: Header=BB79_3 Depth=1
	s_or_b32 exec_lo, exec_lo, s36
	s_and_saveexec_b32 s36, s11
	s_cbranch_execnz .LBB79_497
.LBB79_143:                             ;   in Loop: Header=BB79_3 Depth=1
	s_or_b32 exec_lo, exec_lo, s36
	s_and_saveexec_b32 s36, s0
	s_cbranch_execz .LBB79_145
.LBB79_144:                             ;   in Loop: Header=BB79_3 Depth=1
	ds_load_b128 v[68:71], v3 offset:4272
	ds_load_b128 v[72:75], v47 offset:5824
	s_wait_dscnt 0x0
	v_mul_f64_e32 v[4:5], v[70:71], v[74:75]
	v_mul_f64_e32 v[42:43], v[68:69], v[74:75]
	s_delay_alu instid0(VALU_DEP_2) | instskip(NEXT) | instid1(VALU_DEP_2)
	v_fma_f64 v[4:5], v[68:69], v[72:73], -v[4:5]
	v_fmac_f64_e32 v[42:43], v[70:71], v[72:73]
	s_delay_alu instid0(VALU_DEP_2) | instskip(NEXT) | instid1(VALU_DEP_2)
	v_add_f64_e32 v[18:19], v[18:19], v[4:5]
	v_add_f64_e32 v[20:21], v[20:21], v[42:43]
.LBB79_145:                             ;   in Loop: Header=BB79_3 Depth=1
	s_or_b32 exec_lo, exec_lo, s36
	s_delay_alu instid0(VALU_DEP_2) | instskip(NEXT) | instid1(VALU_DEP_2)
	v_xor_b32_e32 v19, 0x80000000, v19
	v_xor_b32_e32 v21, 0x80000000, v21
.LBB79_146:                             ;   in Loop: Header=BB79_3 Depth=1
	s_or_b32 exec_lo, exec_lo, s35
	s_and_saveexec_b32 s35, s72
; %bb.147:                              ;   in Loop: Header=BB79_3 Depth=1
	ds_store_b128 v49, v[18:21]
; %bb.148:                              ;   in Loop: Header=BB79_3 Depth=1
	s_or_b32 exec_lo, exec_lo, s35
	s_wait_dscnt 0x0
	s_barrier_signal -1
	s_barrier_wait -1
	s_and_saveexec_b32 s35, s73
	s_cbranch_execz .LBB79_150
; %bb.149:                              ;   in Loop: Header=BB79_3 Depth=1
	ds_load_b128 v[68:71], v49
	ds_load_b128 v[72:75], v48 offset:6336
	s_wait_dscnt 0x0
	v_mul_f64_e32 v[4:5], v[70:71], v[74:75]
	v_mul_f64_e32 v[42:43], v[68:69], v[74:75]
	s_delay_alu instid0(VALU_DEP_2) | instskip(NEXT) | instid1(VALU_DEP_2)
	v_fma_f64 v[4:5], v[68:69], v[72:73], -v[4:5]
	v_fmac_f64_e32 v[42:43], v[70:71], v[72:73]
	s_delay_alu instid0(VALU_DEP_2) | instskip(NEXT) | instid1(VALU_DEP_2)
	v_add_f64_e32 v[18:19], v[18:19], v[4:5]
	v_add_f64_e32 v[20:21], v[20:21], v[42:43]
.LBB79_150:                             ;   in Loop: Header=BB79_3 Depth=1
	s_or_b32 exec_lo, exec_lo, s35
	s_barrier_signal -1
	s_barrier_wait -1
	s_and_saveexec_b32 s35, s74
; %bb.151:                              ;   in Loop: Header=BB79_3 Depth=1
	ds_store_b128 v49, v[18:21]
; %bb.152:                              ;   in Loop: Header=BB79_3 Depth=1
	s_or_b32 exec_lo, exec_lo, s35
	s_wait_dscnt 0x0
	s_barrier_signal -1
	s_barrier_wait -1
	s_and_saveexec_b32 s35, s75
	s_cbranch_execz .LBB79_154
; %bb.153:                              ;   in Loop: Header=BB79_3 Depth=1
	ds_load_b128 v[68:71], v49
	ds_load_b128 v[72:75], v48 offset:6848
	s_wait_dscnt 0x0
	v_mul_f64_e32 v[4:5], v[70:71], v[74:75]
	v_mul_f64_e32 v[42:43], v[68:69], v[74:75]
	s_delay_alu instid0(VALU_DEP_2) | instskip(NEXT) | instid1(VALU_DEP_2)
	v_fma_f64 v[4:5], v[68:69], v[72:73], -v[4:5]
	v_fmac_f64_e32 v[42:43], v[70:71], v[72:73]
	s_delay_alu instid0(VALU_DEP_2) | instskip(NEXT) | instid1(VALU_DEP_2)
	v_add_f64_e32 v[18:19], v[18:19], v[4:5]
	v_add_f64_e32 v[20:21], v[20:21], v[42:43]
.LBB79_154:                             ;   in Loop: Header=BB79_3 Depth=1
	s_or_b32 exec_lo, exec_lo, s35
	s_barrier_signal -1
	s_barrier_wait -1
	;; [unrolled: 26-line block ×3, first 2 shown]
	s_and_saveexec_b32 s35, s77
; %bb.159:                              ;   in Loop: Header=BB79_3 Depth=1
	ds_store_b128 v49, v[18:21]
; %bb.160:                              ;   in Loop: Header=BB79_3 Depth=1
	s_or_b32 exec_lo, exec_lo, s35
	s_wait_dscnt 0x0
	s_barrier_signal -1
	s_barrier_wait -1
	s_barrier_signal -1
	s_barrier_wait -1
	s_and_saveexec_b32 s35, s1
; %bb.161:                              ;   in Loop: Header=BB79_3 Depth=1
	v_xor_b32_e32 v21, 0x80000000, v21
	v_xor_b32_e32 v19, 0x80000000, v19
	ds_store_b128 v51, v[18:21] offset:4288
; %bb.162:                              ;   in Loop: Header=BB79_3 Depth=1
	s_or_b32 exec_lo, exec_lo, s35
	s_wait_dscnt 0x0
	s_barrier_signal -1
	s_barrier_wait -1
	s_barrier_signal -1
	s_barrier_wait -1
	s_and_saveexec_b32 s35, s8
	s_cbranch_execz .LBB79_164
; %bb.163:                              ;   in Loop: Header=BB79_3 Depth=1
	s_mov_b32 s36, s57
	s_mov_b32 s38, s57
	;; [unrolled: 1-line block ×3, first 2 shown]
	v_mov_b64_e32 v[18:19], s[36:37]
	v_mov_b64_e32 v[20:21], s[38:39]
	ds_store_b128 v3, v[18:21] offset:6336
	ds_store_b128 v3, v[18:21] offset:6864
.LBB79_164:                             ;   in Loop: Header=BB79_3 Depth=1
	s_or_b32 exec_lo, exec_lo, s35
	v_mov_b64_e32 v[20:21], 0
	v_mov_b64_e32 v[18:19], 0
	s_wait_dscnt 0x0
	s_barrier_signal -1
	s_barrier_wait -1
	s_and_saveexec_b32 s35, s0
	s_cbranch_execz .LBB79_168
; %bb.165:                              ;   in Loop: Header=BB79_3 Depth=1
	ds_load_b128 v[18:21], v46 offset:6336
	ds_load_b128 v[68:71], v44 offset:6368
	s_wait_dscnt 0x0
	v_mul_f64_e32 v[4:5], v[20:21], v[70:71]
	v_mul_f64_e32 v[42:43], v[18:19], v[70:71]
	s_delay_alu instid0(VALU_DEP_2) | instskip(NEXT) | instid1(VALU_DEP_2)
	v_fma_f64 v[4:5], v[18:19], v[68:69], -v[4:5]
	v_fmac_f64_e32 v[42:43], v[20:21], v[68:69]
	s_delay_alu instid0(VALU_DEP_2) | instskip(NEXT) | instid1(VALU_DEP_2)
	v_add_f64_e32 v[18:19], 0, v[4:5]
	v_add_f64_e32 v[20:21], 0, v[42:43]
	s_and_saveexec_b32 s36, s9
	s_cbranch_execz .LBB79_167
; %bb.166:                              ;   in Loop: Header=BB79_3 Depth=1
	ds_load_b128 v[68:71], v3 offset:6352
	ds_load_b128 v[72:75], v47 offset:6880
	s_wait_dscnt 0x0
	v_mul_f64_e32 v[4:5], v[70:71], v[74:75]
	v_mul_f64_e32 v[42:43], v[68:69], v[74:75]
	s_delay_alu instid0(VALU_DEP_2) | instskip(NEXT) | instid1(VALU_DEP_2)
	v_fma_f64 v[4:5], v[68:69], v[72:73], -v[4:5]
	v_fmac_f64_e32 v[42:43], v[70:71], v[72:73]
	s_delay_alu instid0(VALU_DEP_2) | instskip(NEXT) | instid1(VALU_DEP_2)
	v_add_f64_e32 v[18:19], v[18:19], v[4:5]
	v_add_f64_e32 v[20:21], v[20:21], v[42:43]
.LBB79_167:                             ;   in Loop: Header=BB79_3 Depth=1
	s_or_b32 exec_lo, exec_lo, s36
	s_delay_alu instid0(VALU_DEP_2) | instskip(NEXT) | instid1(VALU_DEP_2)
	v_xor_b32_e32 v19, 0x80000000, v19
	v_xor_b32_e32 v21, 0x80000000, v21
.LBB79_168:                             ;   in Loop: Header=BB79_3 Depth=1
	s_or_b32 exec_lo, exec_lo, s35
	s_and_saveexec_b32 s35, s70
; %bb.169:                              ;   in Loop: Header=BB79_3 Depth=1
	ds_store_b128 v27, v[18:21]
; %bb.170:                              ;   in Loop: Header=BB79_3 Depth=1
	s_or_b32 exec_lo, exec_lo, s35
	s_wait_dscnt 0x0
	s_barrier_signal -1
	s_barrier_wait -1
	s_and_saveexec_b32 s35, s71
	s_cbranch_execz .LBB79_172
; %bb.171:                              ;   in Loop: Header=BB79_3 Depth=1
	ds_load_b128 v[68:71], v27
	ds_load_b128 v[72:75], v3 offset:7408
	s_wait_dscnt 0x0
	v_mul_f64_e32 v[4:5], v[70:71], v[74:75]
	v_mul_f64_e32 v[42:43], v[68:69], v[74:75]
	s_delay_alu instid0(VALU_DEP_2) | instskip(NEXT) | instid1(VALU_DEP_2)
	v_fma_f64 v[4:5], v[68:69], v[72:73], -v[4:5]
	v_fmac_f64_e32 v[42:43], v[70:71], v[72:73]
	s_delay_alu instid0(VALU_DEP_2) | instskip(NEXT) | instid1(VALU_DEP_2)
	v_add_f64_e32 v[18:19], v[18:19], v[4:5]
	v_add_f64_e32 v[20:21], v[20:21], v[42:43]
.LBB79_172:                             ;   in Loop: Header=BB79_3 Depth=1
	s_or_b32 exec_lo, exec_lo, s35
	s_barrier_signal -1
	s_barrier_wait -1
	s_and_saveexec_b32 s35, s71
; %bb.173:                              ;   in Loop: Header=BB79_3 Depth=1
	ds_store_b128 v27, v[18:21]
; %bb.174:                              ;   in Loop: Header=BB79_3 Depth=1
	s_or_b32 exec_lo, exec_lo, s35
	s_wait_dscnt 0x0
	s_barrier_signal -1
	s_barrier_wait -1
	s_barrier_signal -1
	s_barrier_wait -1
	s_and_saveexec_b32 s35, s0
; %bb.175:                              ;   in Loop: Header=BB79_3 Depth=1
	v_xor_b32_e32 v19, 0x80000000, v19
	v_xor_b32_e32 v21, 0x80000000, v21
	ds_store_b128 v44, v[18:21] offset:6368
; %bb.176:                              ;   in Loop: Header=BB79_3 Depth=1
	s_or_b32 exec_lo, exec_lo, s35
	s_wait_dscnt 0x0
	s_barrier_signal -1
	s_barrier_wait -1
	s_barrier_signal -1
	s_barrier_wait -1
	s_and_saveexec_b32 s35, s8
	s_cbranch_execz .LBB79_178
; %bb.177:                              ;   in Loop: Header=BB79_3 Depth=1
	s_mov_b32 s36, s57
	s_mov_b32 s38, s57
	;; [unrolled: 1-line block ×3, first 2 shown]
	v_mov_b64_e32 v[18:19], s[36:37]
	v_mov_b64_e32 v[20:21], s[38:39]
	ds_store_b128 v3, v[18:21] offset:7392
	ds_store_b128 v3, v[18:21] offset:7920
.LBB79_178:                             ;   in Loop: Header=BB79_3 Depth=1
	s_or_b32 exec_lo, exec_lo, s35
	v_mov_b64_e32 v[20:21], 0
	v_mov_b64_e32 v[18:19], 0
	s_wait_dscnt 0x0
	s_barrier_signal -1
	s_barrier_wait -1
	s_and_saveexec_b32 s35, s3
	s_cbranch_execz .LBB79_206
; %bb.179:                              ;   in Loop: Header=BB79_3 Depth=1
	v_add_nc_u32_e32 v2, v55, v54
	v_readlane_b32 s17, v76, 16
	ds_load_b128 v[18:21], v61 offset:256
	ds_load_b128 v[68:71], v2
	s_wait_dscnt 0x0
	v_mul_f64_e32 v[4:5], v[70:71], v[20:21]
	v_mul_f64_e32 v[20:21], v[68:69], v[20:21]
	s_delay_alu instid0(VALU_DEP_2) | instskip(NEXT) | instid1(VALU_DEP_2)
	v_fma_f64 v[4:5], v[68:69], v[18:19], -v[4:5]
	v_fmac_f64_e32 v[20:21], v[70:71], v[18:19]
	s_delay_alu instid0(VALU_DEP_2) | instskip(NEXT) | instid1(VALU_DEP_2)
	v_add_f64_e32 v[18:19], 0, v[4:5]
	v_add_f64_e32 v[20:21], 0, v[20:21]
	s_and_saveexec_b32 s36, s17
	s_cbranch_execz .LBB79_181
; %bb.180:                              ;   in Loop: Header=BB79_3 Depth=1
	ds_load_b128 v[68:71], v2 offset:16
	ds_load_b128 v[72:75], v61 offset:768
	s_wait_dscnt 0x0
	v_mul_f64_e32 v[4:5], v[70:71], v[74:75]
	v_mul_f64_e32 v[42:43], v[68:69], v[74:75]
	s_delay_alu instid0(VALU_DEP_2) | instskip(NEXT) | instid1(VALU_DEP_2)
	v_fma_f64 v[4:5], v[68:69], v[72:73], -v[4:5]
	v_fmac_f64_e32 v[42:43], v[70:71], v[72:73]
	s_delay_alu instid0(VALU_DEP_2) | instskip(NEXT) | instid1(VALU_DEP_2)
	v_add_f64_e32 v[18:19], v[18:19], v[4:5]
	v_add_f64_e32 v[20:21], v[20:21], v[42:43]
.LBB79_181:                             ;   in Loop: Header=BB79_3 Depth=1
	s_or_b32 exec_lo, exec_lo, s36
	v_readlane_b32 s17, v76, 17
	s_and_saveexec_b32 s36, s17
	s_cbranch_execz .LBB79_183
; %bb.182:                              ;   in Loop: Header=BB79_3 Depth=1
	ds_load_b128 v[68:71], v2 offset:32
	ds_load_b128 v[72:75], v61 offset:1280
	s_wait_dscnt 0x0
	v_mul_f64_e32 v[4:5], v[70:71], v[74:75]
	v_mul_f64_e32 v[42:43], v[68:69], v[74:75]
	s_delay_alu instid0(VALU_DEP_2) | instskip(NEXT) | instid1(VALU_DEP_2)
	v_fma_f64 v[4:5], v[68:69], v[72:73], -v[4:5]
	v_fmac_f64_e32 v[42:43], v[70:71], v[72:73]
	s_delay_alu instid0(VALU_DEP_2) | instskip(NEXT) | instid1(VALU_DEP_2)
	v_add_f64_e32 v[18:19], v[18:19], v[4:5]
	v_add_f64_e32 v[20:21], v[20:21], v[42:43]
.LBB79_183:                             ;   in Loop: Header=BB79_3 Depth=1
	s_or_b32 exec_lo, exec_lo, s36
	v_readlane_b32 s17, v76, 18
	;; [unrolled: 17-line block ×10, first 2 shown]
	s_and_saveexec_b32 s36, s17
	s_cbranch_execnz .LBB79_498
; %bb.200:                              ;   in Loop: Header=BB79_3 Depth=1
	s_or_b32 exec_lo, exec_lo, s36
	s_and_saveexec_b32 s36, s2
	s_cbranch_execnz .LBB79_499
.LBB79_201:                             ;   in Loop: Header=BB79_3 Depth=1
	s_or_b32 exec_lo, exec_lo, s36
	s_and_saveexec_b32 s36, s13
	s_cbranch_execnz .LBB79_500
.LBB79_202:                             ;   in Loop: Header=BB79_3 Depth=1
	s_or_b32 exec_lo, exec_lo, s36
	s_and_saveexec_b32 s36, s15
	s_cbranch_execnz .LBB79_501
.LBB79_203:                             ;   in Loop: Header=BB79_3 Depth=1
	s_or_b32 exec_lo, exec_lo, s36
	s_and_saveexec_b32 s36, s1
	s_cbranch_execz .LBB79_205
.LBB79_204:                             ;   in Loop: Header=BB79_3 Depth=1
	ds_load_b128 v[68:71], v3 offset:240
	ds_load_b128 v[72:75], v47 offset:7936
	s_wait_dscnt 0x0
	v_mul_f64_e32 v[4:5], v[70:71], v[74:75]
	v_mul_f64_e32 v[42:43], v[68:69], v[74:75]
	s_delay_alu instid0(VALU_DEP_2) | instskip(NEXT) | instid1(VALU_DEP_2)
	v_fma_f64 v[4:5], v[68:69], v[72:73], -v[4:5]
	v_fmac_f64_e32 v[42:43], v[70:71], v[72:73]
	s_delay_alu instid0(VALU_DEP_2) | instskip(NEXT) | instid1(VALU_DEP_2)
	v_add_f64_e32 v[18:19], v[18:19], v[4:5]
	v_add_f64_e32 v[20:21], v[20:21], v[42:43]
.LBB79_205:                             ;   in Loop: Header=BB79_3 Depth=1
	s_or_b32 exec_lo, exec_lo, s36
	s_delay_alu instid0(VALU_DEP_2) | instskip(NEXT) | instid1(VALU_DEP_2)
	v_xor_b32_e32 v19, 0x80000000, v19
	v_xor_b32_e32 v21, 0x80000000, v21
.LBB79_206:                             ;   in Loop: Header=BB79_3 Depth=1
	s_or_b32 exec_lo, exec_lo, s35
	v_readlane_b32 s17, v76, 0
	s_and_saveexec_b32 s35, s17
; %bb.207:                              ;   in Loop: Header=BB79_3 Depth=1
	ds_store_b128 v60, v[18:21]
; %bb.208:                              ;   in Loop: Header=BB79_3 Depth=1
	s_or_b32 exec_lo, exec_lo, s35
	v_readlane_b32 s17, v76, 1
	s_wait_dscnt 0x0
	s_barrier_signal -1
	s_barrier_wait -1
	s_and_saveexec_b32 s35, s17
	s_cbranch_execz .LBB79_210
; %bb.209:                              ;   in Loop: Header=BB79_3 Depth=1
	ds_load_b128 v[68:71], v60
	ds_load_b128 v[72:75], v56 offset:8448
	s_wait_dscnt 0x0
	v_mul_f64_e32 v[4:5], v[70:71], v[74:75]
	v_mul_f64_e32 v[42:43], v[68:69], v[74:75]
	s_delay_alu instid0(VALU_DEP_2) | instskip(NEXT) | instid1(VALU_DEP_2)
	v_fma_f64 v[4:5], v[68:69], v[72:73], -v[4:5]
	v_fmac_f64_e32 v[42:43], v[70:71], v[72:73]
	s_delay_alu instid0(VALU_DEP_2) | instskip(NEXT) | instid1(VALU_DEP_2)
	v_add_f64_e32 v[18:19], v[18:19], v[4:5]
	v_add_f64_e32 v[20:21], v[20:21], v[42:43]
.LBB79_210:                             ;   in Loop: Header=BB79_3 Depth=1
	s_or_b32 exec_lo, exec_lo, s35
	v_readlane_b32 s17, v76, 2
	s_barrier_signal -1
	s_barrier_wait -1
	s_and_saveexec_b32 s35, s17
; %bb.211:                              ;   in Loop: Header=BB79_3 Depth=1
	ds_store_b128 v60, v[18:21]
; %bb.212:                              ;   in Loop: Header=BB79_3 Depth=1
	s_or_b32 exec_lo, exec_lo, s35
	v_readlane_b32 s17, v76, 3
	s_wait_dscnt 0x0
	s_barrier_signal -1
	s_barrier_wait -1
	s_and_saveexec_b32 s35, s17
	s_cbranch_execz .LBB79_214
; %bb.213:                              ;   in Loop: Header=BB79_3 Depth=1
	ds_load_b128 v[68:71], v60
	ds_load_b128 v[72:75], v56 offset:8960
	s_wait_dscnt 0x0
	v_mul_f64_e32 v[4:5], v[70:71], v[74:75]
	v_mul_f64_e32 v[42:43], v[68:69], v[74:75]
	s_delay_alu instid0(VALU_DEP_2) | instskip(NEXT) | instid1(VALU_DEP_2)
	v_fma_f64 v[4:5], v[68:69], v[72:73], -v[4:5]
	v_fmac_f64_e32 v[42:43], v[70:71], v[72:73]
	s_delay_alu instid0(VALU_DEP_2) | instskip(NEXT) | instid1(VALU_DEP_2)
	v_add_f64_e32 v[18:19], v[18:19], v[4:5]
	v_add_f64_e32 v[20:21], v[20:21], v[42:43]
.LBB79_214:                             ;   in Loop: Header=BB79_3 Depth=1
	s_or_b32 exec_lo, exec_lo, s35
	v_readlane_b32 s17, v76, 4
	s_barrier_signal -1
	s_barrier_wait -1
	s_and_saveexec_b32 s35, s17
; %bb.215:                              ;   in Loop: Header=BB79_3 Depth=1
	ds_store_b128 v60, v[18:21]
; %bb.216:                              ;   in Loop: Header=BB79_3 Depth=1
	s_or_b32 exec_lo, exec_lo, s35
	v_readlane_b32 s17, v76, 5
	s_wait_dscnt 0x0
	s_barrier_signal -1
	s_barrier_wait -1
	s_and_saveexec_b32 s35, s17
	s_cbranch_execz .LBB79_218
; %bb.217:                              ;   in Loop: Header=BB79_3 Depth=1
	ds_load_b128 v[68:71], v60
	ds_load_b128 v[72:75], v56 offset:9472
	s_wait_dscnt 0x0
	v_mul_f64_e32 v[4:5], v[70:71], v[74:75]
	v_mul_f64_e32 v[42:43], v[68:69], v[74:75]
	s_delay_alu instid0(VALU_DEP_2) | instskip(NEXT) | instid1(VALU_DEP_2)
	v_fma_f64 v[4:5], v[68:69], v[72:73], -v[4:5]
	v_fmac_f64_e32 v[42:43], v[70:71], v[72:73]
	s_delay_alu instid0(VALU_DEP_2) | instskip(NEXT) | instid1(VALU_DEP_2)
	v_add_f64_e32 v[18:19], v[18:19], v[4:5]
	v_add_f64_e32 v[20:21], v[20:21], v[42:43]
.LBB79_218:                             ;   in Loop: Header=BB79_3 Depth=1
	s_or_b32 exec_lo, exec_lo, s35
	v_readlane_b32 s17, v76, 6
	s_barrier_signal -1
	s_barrier_wait -1
	s_and_saveexec_b32 s35, s17
; %bb.219:                              ;   in Loop: Header=BB79_3 Depth=1
	ds_store_b128 v60, v[18:21]
; %bb.220:                              ;   in Loop: Header=BB79_3 Depth=1
	s_or_b32 exec_lo, exec_lo, s35
	v_readlane_b32 s17, v76, 7
	s_wait_dscnt 0x0
	s_barrier_signal -1
	s_barrier_wait -1
	s_and_saveexec_b32 s35, s17
	s_cbranch_execz .LBB79_222
; %bb.221:                              ;   in Loop: Header=BB79_3 Depth=1
	ds_load_b128 v[68:71], v60
	ds_load_b128 v[72:75], v56 offset:9984
	s_wait_dscnt 0x0
	v_mul_f64_e32 v[4:5], v[70:71], v[74:75]
	v_mul_f64_e32 v[42:43], v[68:69], v[74:75]
	s_delay_alu instid0(VALU_DEP_2) | instskip(NEXT) | instid1(VALU_DEP_2)
	v_fma_f64 v[4:5], v[68:69], v[72:73], -v[4:5]
	v_fmac_f64_e32 v[42:43], v[70:71], v[72:73]
	s_delay_alu instid0(VALU_DEP_2) | instskip(NEXT) | instid1(VALU_DEP_2)
	v_add_f64_e32 v[18:19], v[18:19], v[4:5]
	v_add_f64_e32 v[20:21], v[20:21], v[42:43]
.LBB79_222:                             ;   in Loop: Header=BB79_3 Depth=1
	s_or_b32 exec_lo, exec_lo, s35
	v_readlane_b32 s17, v76, 8
	s_barrier_signal -1
	s_barrier_wait -1
	s_and_saveexec_b32 s35, s17
; %bb.223:                              ;   in Loop: Header=BB79_3 Depth=1
	ds_store_b128 v60, v[18:21]
; %bb.224:                              ;   in Loop: Header=BB79_3 Depth=1
	s_or_b32 exec_lo, exec_lo, s35
	v_readlane_b32 s17, v76, 9
	s_wait_dscnt 0x0
	s_barrier_signal -1
	s_barrier_wait -1
	s_and_saveexec_b32 s35, s17
	s_cbranch_execz .LBB79_226
; %bb.225:                              ;   in Loop: Header=BB79_3 Depth=1
	ds_load_b128 v[68:71], v60
	ds_load_b128 v[72:75], v56 offset:10496
	s_wait_dscnt 0x0
	v_mul_f64_e32 v[4:5], v[70:71], v[74:75]
	v_mul_f64_e32 v[42:43], v[68:69], v[74:75]
	s_delay_alu instid0(VALU_DEP_2) | instskip(NEXT) | instid1(VALU_DEP_2)
	v_fma_f64 v[4:5], v[68:69], v[72:73], -v[4:5]
	v_fmac_f64_e32 v[42:43], v[70:71], v[72:73]
	s_delay_alu instid0(VALU_DEP_2) | instskip(NEXT) | instid1(VALU_DEP_2)
	v_add_f64_e32 v[18:19], v[18:19], v[4:5]
	v_add_f64_e32 v[20:21], v[20:21], v[42:43]
.LBB79_226:                             ;   in Loop: Header=BB79_3 Depth=1
	s_or_b32 exec_lo, exec_lo, s35
	v_readlane_b32 s17, v76, 10
	s_barrier_signal -1
	s_barrier_wait -1
	s_and_saveexec_b32 s35, s17
; %bb.227:                              ;   in Loop: Header=BB79_3 Depth=1
	ds_store_b128 v60, v[18:21]
; %bb.228:                              ;   in Loop: Header=BB79_3 Depth=1
	s_or_b32 exec_lo, exec_lo, s35
	v_readlane_b32 s17, v76, 11
	s_wait_dscnt 0x0
	s_barrier_signal -1
	s_barrier_wait -1
	s_and_saveexec_b32 s35, s17
	s_cbranch_execz .LBB79_230
; %bb.229:                              ;   in Loop: Header=BB79_3 Depth=1
	ds_load_b128 v[68:71], v60
	ds_load_b128 v[72:75], v56 offset:11008
	s_wait_dscnt 0x0
	v_mul_f64_e32 v[4:5], v[70:71], v[74:75]
	v_mul_f64_e32 v[42:43], v[68:69], v[74:75]
	s_delay_alu instid0(VALU_DEP_2) | instskip(NEXT) | instid1(VALU_DEP_2)
	v_fma_f64 v[4:5], v[68:69], v[72:73], -v[4:5]
	v_fmac_f64_e32 v[42:43], v[70:71], v[72:73]
	s_delay_alu instid0(VALU_DEP_2) | instskip(NEXT) | instid1(VALU_DEP_2)
	v_add_f64_e32 v[18:19], v[18:19], v[4:5]
	v_add_f64_e32 v[20:21], v[20:21], v[42:43]
.LBB79_230:                             ;   in Loop: Header=BB79_3 Depth=1
	s_or_b32 exec_lo, exec_lo, s35
	v_readlane_b32 s17, v76, 12
	s_barrier_signal -1
	s_barrier_wait -1
	s_and_saveexec_b32 s35, s17
; %bb.231:                              ;   in Loop: Header=BB79_3 Depth=1
	ds_store_b128 v60, v[18:21]
; %bb.232:                              ;   in Loop: Header=BB79_3 Depth=1
	s_or_b32 exec_lo, exec_lo, s35
	v_readlane_b32 s17, v76, 13
	s_wait_dscnt 0x0
	s_barrier_signal -1
	s_barrier_wait -1
	s_and_saveexec_b32 s35, s17
	s_cbranch_execz .LBB79_234
; %bb.233:                              ;   in Loop: Header=BB79_3 Depth=1
	ds_load_b128 v[68:71], v60
	ds_load_b128 v[72:75], v56 offset:11520
	s_wait_dscnt 0x0
	v_mul_f64_e32 v[4:5], v[70:71], v[74:75]
	v_mul_f64_e32 v[42:43], v[68:69], v[74:75]
	s_delay_alu instid0(VALU_DEP_2) | instskip(NEXT) | instid1(VALU_DEP_2)
	v_fma_f64 v[4:5], v[68:69], v[72:73], -v[4:5]
	v_fmac_f64_e32 v[42:43], v[70:71], v[72:73]
	s_delay_alu instid0(VALU_DEP_2) | instskip(NEXT) | instid1(VALU_DEP_2)
	v_add_f64_e32 v[18:19], v[18:19], v[4:5]
	v_add_f64_e32 v[20:21], v[20:21], v[42:43]
.LBB79_234:                             ;   in Loop: Header=BB79_3 Depth=1
	s_or_b32 exec_lo, exec_lo, s35
	v_readlane_b32 s17, v76, 14
	s_barrier_signal -1
	s_barrier_wait -1
	s_and_saveexec_b32 s35, s17
; %bb.235:                              ;   in Loop: Header=BB79_3 Depth=1
	ds_store_b128 v60, v[18:21]
; %bb.236:                              ;   in Loop: Header=BB79_3 Depth=1
	s_or_b32 exec_lo, exec_lo, s35
	s_wait_dscnt 0x0
	s_barrier_signal -1
	s_barrier_wait -1
	s_and_saveexec_b32 s35, s18
	s_cbranch_execz .LBB79_238
; %bb.237:                              ;   in Loop: Header=BB79_3 Depth=1
	ds_load_b128 v[68:71], v60
	ds_load_b128 v[72:75], v56 offset:12032
	s_wait_dscnt 0x0
	v_mul_f64_e32 v[4:5], v[70:71], v[74:75]
	v_mul_f64_e32 v[42:43], v[68:69], v[74:75]
	s_delay_alu instid0(VALU_DEP_2) | instskip(NEXT) | instid1(VALU_DEP_2)
	v_fma_f64 v[4:5], v[68:69], v[72:73], -v[4:5]
	v_fmac_f64_e32 v[42:43], v[70:71], v[72:73]
	s_delay_alu instid0(VALU_DEP_2) | instskip(NEXT) | instid1(VALU_DEP_2)
	v_add_f64_e32 v[18:19], v[18:19], v[4:5]
	v_add_f64_e32 v[20:21], v[20:21], v[42:43]
.LBB79_238:                             ;   in Loop: Header=BB79_3 Depth=1
	s_or_b32 exec_lo, exec_lo, s35
	s_barrier_signal -1
	s_barrier_wait -1
	s_and_saveexec_b32 s35, s19
; %bb.239:                              ;   in Loop: Header=BB79_3 Depth=1
	ds_store_b128 v60, v[18:21]
; %bb.240:                              ;   in Loop: Header=BB79_3 Depth=1
	s_or_b32 exec_lo, exec_lo, s35
	s_wait_dscnt 0x0
	s_barrier_signal -1
	s_barrier_wait -1
	s_and_saveexec_b32 s35, s20
	s_cbranch_execz .LBB79_242
; %bb.241:                              ;   in Loop: Header=BB79_3 Depth=1
	ds_load_b128 v[68:71], v60
	ds_load_b128 v[72:75], v56 offset:12544
	s_wait_dscnt 0x0
	v_mul_f64_e32 v[4:5], v[70:71], v[74:75]
	v_mul_f64_e32 v[42:43], v[68:69], v[74:75]
	s_delay_alu instid0(VALU_DEP_2) | instskip(NEXT) | instid1(VALU_DEP_2)
	v_fma_f64 v[4:5], v[68:69], v[72:73], -v[4:5]
	v_fmac_f64_e32 v[42:43], v[70:71], v[72:73]
	s_delay_alu instid0(VALU_DEP_2) | instskip(NEXT) | instid1(VALU_DEP_2)
	v_add_f64_e32 v[18:19], v[18:19], v[4:5]
	v_add_f64_e32 v[20:21], v[20:21], v[42:43]
.LBB79_242:                             ;   in Loop: Header=BB79_3 Depth=1
	s_or_b32 exec_lo, exec_lo, s35
	s_barrier_signal -1
	s_barrier_wait -1
	;; [unrolled: 26-line block ×8, first 2 shown]
	s_and_saveexec_b32 s35, s97
; %bb.267:                              ;   in Loop: Header=BB79_3 Depth=1
	ds_store_b128 v60, v[18:21]
; %bb.268:                              ;   in Loop: Header=BB79_3 Depth=1
	s_or_b32 exec_lo, exec_lo, s35
	s_wait_dscnt 0x0
	s_barrier_signal -1
	s_barrier_wait -1
	s_barrier_signal -1
	s_barrier_wait -1
	s_and_saveexec_b32 s35, s3
; %bb.269:                              ;   in Loop: Header=BB79_3 Depth=1
	v_xor_b32_e32 v21, 0x80000000, v21
	v_xor_b32_e32 v19, 0x80000000, v19
	ds_store_b128 v61, v[18:21] offset:256
; %bb.270:                              ;   in Loop: Header=BB79_3 Depth=1
	s_or_b32 exec_lo, exec_lo, s35
	s_wait_dscnt 0x0
	s_barrier_signal -1
	s_barrier_wait -1
	s_barrier_signal -1
	s_barrier_wait -1
	s_and_saveexec_b32 s35, s8
	s_cbranch_execz .LBB79_272
; %bb.271:                              ;   in Loop: Header=BB79_3 Depth=1
	s_mov_b32 s36, s57
	s_mov_b32 s38, s57
	;; [unrolled: 1-line block ×3, first 2 shown]
	v_mov_b64_e32 v[18:19], s[36:37]
	v_mov_b64_e32 v[20:21], s[38:39]
	ds_store_b128 v3, v[18:21] offset:8448
	ds_store_b128 v3, v[18:21] offset:8976
.LBB79_272:                             ;   in Loop: Header=BB79_3 Depth=1
	s_or_b32 exec_lo, exec_lo, s35
	v_mov_b64_e32 v[20:21], 0
	v_mov_b64_e32 v[18:19], 0
	s_wait_dscnt 0x0
	s_barrier_signal -1
	s_barrier_wait -1
	s_and_saveexec_b32 s35, s0
	s_cbranch_execz .LBB79_276
; %bb.273:                              ;   in Loop: Header=BB79_3 Depth=1
	ds_load_b128 v[18:21], v46 offset:8448
	ds_load_b128 v[68:71], v44 offset:8480
	s_wait_dscnt 0x0
	v_mul_f64_e32 v[4:5], v[20:21], v[70:71]
	v_mul_f64_e32 v[42:43], v[18:19], v[70:71]
	s_delay_alu instid0(VALU_DEP_2) | instskip(NEXT) | instid1(VALU_DEP_2)
	v_fma_f64 v[4:5], v[18:19], v[68:69], -v[4:5]
	v_fmac_f64_e32 v[42:43], v[20:21], v[68:69]
	s_delay_alu instid0(VALU_DEP_2) | instskip(NEXT) | instid1(VALU_DEP_2)
	v_add_f64_e32 v[18:19], 0, v[4:5]
	v_add_f64_e32 v[20:21], 0, v[42:43]
	s_and_saveexec_b32 s36, s9
	s_cbranch_execz .LBB79_275
; %bb.274:                              ;   in Loop: Header=BB79_3 Depth=1
	ds_load_b128 v[68:71], v3 offset:8464
	ds_load_b128 v[72:75], v47 offset:8992
	s_wait_dscnt 0x0
	v_mul_f64_e32 v[4:5], v[70:71], v[74:75]
	v_mul_f64_e32 v[42:43], v[68:69], v[74:75]
	s_delay_alu instid0(VALU_DEP_2) | instskip(NEXT) | instid1(VALU_DEP_2)
	v_fma_f64 v[4:5], v[68:69], v[72:73], -v[4:5]
	v_fmac_f64_e32 v[42:43], v[70:71], v[72:73]
	s_delay_alu instid0(VALU_DEP_2) | instskip(NEXT) | instid1(VALU_DEP_2)
	v_add_f64_e32 v[18:19], v[18:19], v[4:5]
	v_add_f64_e32 v[20:21], v[20:21], v[42:43]
.LBB79_275:                             ;   in Loop: Header=BB79_3 Depth=1
	s_or_b32 exec_lo, exec_lo, s36
	s_delay_alu instid0(VALU_DEP_2) | instskip(NEXT) | instid1(VALU_DEP_2)
	v_xor_b32_e32 v19, 0x80000000, v19
	v_xor_b32_e32 v21, 0x80000000, v21
.LBB79_276:                             ;   in Loop: Header=BB79_3 Depth=1
	s_or_b32 exec_lo, exec_lo, s35
	s_and_saveexec_b32 s35, s70
; %bb.277:                              ;   in Loop: Header=BB79_3 Depth=1
	ds_store_b128 v27, v[18:21]
; %bb.278:                              ;   in Loop: Header=BB79_3 Depth=1
	s_or_b32 exec_lo, exec_lo, s35
	s_wait_dscnt 0x0
	s_barrier_signal -1
	s_barrier_wait -1
	s_and_saveexec_b32 s35, s71
	s_cbranch_execz .LBB79_280
; %bb.279:                              ;   in Loop: Header=BB79_3 Depth=1
	ds_load_b128 v[68:71], v27
	ds_load_b128 v[72:75], v3 offset:9520
	s_wait_dscnt 0x0
	v_mul_f64_e32 v[4:5], v[70:71], v[74:75]
	v_mul_f64_e32 v[42:43], v[68:69], v[74:75]
	s_delay_alu instid0(VALU_DEP_2) | instskip(NEXT) | instid1(VALU_DEP_2)
	v_fma_f64 v[4:5], v[68:69], v[72:73], -v[4:5]
	v_fmac_f64_e32 v[42:43], v[70:71], v[72:73]
	s_delay_alu instid0(VALU_DEP_2) | instskip(NEXT) | instid1(VALU_DEP_2)
	v_add_f64_e32 v[18:19], v[18:19], v[4:5]
	v_add_f64_e32 v[20:21], v[20:21], v[42:43]
.LBB79_280:                             ;   in Loop: Header=BB79_3 Depth=1
	s_or_b32 exec_lo, exec_lo, s35
	s_barrier_signal -1
	s_barrier_wait -1
	s_and_saveexec_b32 s35, s71
; %bb.281:                              ;   in Loop: Header=BB79_3 Depth=1
	ds_store_b128 v27, v[18:21]
; %bb.282:                              ;   in Loop: Header=BB79_3 Depth=1
	s_or_b32 exec_lo, exec_lo, s35
	s_wait_dscnt 0x0
	s_barrier_signal -1
	s_barrier_wait -1
	s_barrier_signal -1
	s_barrier_wait -1
	s_and_saveexec_b32 s35, s0
; %bb.283:                              ;   in Loop: Header=BB79_3 Depth=1
	v_xor_b32_e32 v19, 0x80000000, v19
	v_xor_b32_e32 v21, 0x80000000, v21
	ds_store_b128 v44, v[18:21] offset:8480
; %bb.284:                              ;   in Loop: Header=BB79_3 Depth=1
	s_or_b32 exec_lo, exec_lo, s35
	s_wait_dscnt 0x0
	s_barrier_signal -1
	s_barrier_wait -1
	s_barrier_signal -1
	s_barrier_wait -1
	s_and_saveexec_b32 s35, s8
	s_cbranch_execz .LBB79_286
; %bb.285:                              ;   in Loop: Header=BB79_3 Depth=1
	s_mov_b32 s36, s57
	s_mov_b32 s38, s57
	;; [unrolled: 1-line block ×3, first 2 shown]
	v_mov_b64_e32 v[18:19], s[36:37]
	v_mov_b64_e32 v[20:21], s[38:39]
	ds_store_b128 v3, v[18:21] offset:9504
	ds_store_b128 v3, v[18:21] offset:10032
.LBB79_286:                             ;   in Loop: Header=BB79_3 Depth=1
	s_or_b32 exec_lo, exec_lo, s35
	v_mov_b64_e32 v[20:21], 0
	v_mov_b64_e32 v[18:19], 0
	s_wait_dscnt 0x0
	s_barrier_signal -1
	s_barrier_wait -1
	s_and_saveexec_b32 s35, s1
	s_cbranch_execz .LBB79_292
; %bb.287:                              ;   in Loop: Header=BB79_3 Depth=1
	ds_load_b128 v[18:21], v45 offset:8448
	ds_load_b128 v[68:71], v51 offset:8512
	s_wait_dscnt 0x0
	v_mul_f64_e32 v[4:5], v[20:21], v[70:71]
	v_mul_f64_e32 v[42:43], v[18:19], v[70:71]
	s_delay_alu instid0(VALU_DEP_2) | instskip(NEXT) | instid1(VALU_DEP_2)
	v_fma_f64 v[4:5], v[18:19], v[68:69], -v[4:5]
	v_fmac_f64_e32 v[42:43], v[20:21], v[68:69]
	s_delay_alu instid0(VALU_DEP_2) | instskip(NEXT) | instid1(VALU_DEP_2)
	v_add_f64_e32 v[18:19], 0, v[4:5]
	v_add_f64_e32 v[20:21], 0, v[42:43]
	s_and_saveexec_b32 s36, s10
	s_cbranch_execnz .LBB79_502
; %bb.288:                              ;   in Loop: Header=BB79_3 Depth=1
	s_or_b32 exec_lo, exec_lo, s36
	s_and_saveexec_b32 s36, s11
	s_cbranch_execnz .LBB79_503
.LBB79_289:                             ;   in Loop: Header=BB79_3 Depth=1
	s_or_b32 exec_lo, exec_lo, s36
	s_and_saveexec_b32 s36, s0
	s_cbranch_execz .LBB79_291
.LBB79_290:                             ;   in Loop: Header=BB79_3 Depth=1
	ds_load_b128 v[68:71], v3 offset:8496
	ds_load_b128 v[72:75], v47 offset:10048
	s_wait_dscnt 0x0
	v_mul_f64_e32 v[4:5], v[70:71], v[74:75]
	v_mul_f64_e32 v[42:43], v[68:69], v[74:75]
	s_delay_alu instid0(VALU_DEP_2) | instskip(NEXT) | instid1(VALU_DEP_2)
	v_fma_f64 v[4:5], v[68:69], v[72:73], -v[4:5]
	v_fmac_f64_e32 v[42:43], v[70:71], v[72:73]
	s_delay_alu instid0(VALU_DEP_2) | instskip(NEXT) | instid1(VALU_DEP_2)
	v_add_f64_e32 v[18:19], v[18:19], v[4:5]
	v_add_f64_e32 v[20:21], v[20:21], v[42:43]
.LBB79_291:                             ;   in Loop: Header=BB79_3 Depth=1
	s_or_b32 exec_lo, exec_lo, s36
	s_delay_alu instid0(VALU_DEP_2) | instskip(NEXT) | instid1(VALU_DEP_2)
	v_xor_b32_e32 v19, 0x80000000, v19
	v_xor_b32_e32 v21, 0x80000000, v21
.LBB79_292:                             ;   in Loop: Header=BB79_3 Depth=1
	s_or_b32 exec_lo, exec_lo, s35
	s_and_saveexec_b32 s35, s72
; %bb.293:                              ;   in Loop: Header=BB79_3 Depth=1
	ds_store_b128 v49, v[18:21]
; %bb.294:                              ;   in Loop: Header=BB79_3 Depth=1
	s_or_b32 exec_lo, exec_lo, s35
	s_wait_dscnt 0x0
	s_barrier_signal -1
	s_barrier_wait -1
	s_and_saveexec_b32 s35, s73
	s_cbranch_execz .LBB79_296
; %bb.295:                              ;   in Loop: Header=BB79_3 Depth=1
	ds_load_b128 v[68:71], v49
	ds_load_b128 v[72:75], v48 offset:10560
	s_wait_dscnt 0x0
	v_mul_f64_e32 v[4:5], v[70:71], v[74:75]
	v_mul_f64_e32 v[42:43], v[68:69], v[74:75]
	s_delay_alu instid0(VALU_DEP_2) | instskip(NEXT) | instid1(VALU_DEP_2)
	v_fma_f64 v[4:5], v[68:69], v[72:73], -v[4:5]
	v_fmac_f64_e32 v[42:43], v[70:71], v[72:73]
	s_delay_alu instid0(VALU_DEP_2) | instskip(NEXT) | instid1(VALU_DEP_2)
	v_add_f64_e32 v[18:19], v[18:19], v[4:5]
	v_add_f64_e32 v[20:21], v[20:21], v[42:43]
.LBB79_296:                             ;   in Loop: Header=BB79_3 Depth=1
	s_or_b32 exec_lo, exec_lo, s35
	s_barrier_signal -1
	s_barrier_wait -1
	s_and_saveexec_b32 s35, s74
; %bb.297:                              ;   in Loop: Header=BB79_3 Depth=1
	ds_store_b128 v49, v[18:21]
; %bb.298:                              ;   in Loop: Header=BB79_3 Depth=1
	s_or_b32 exec_lo, exec_lo, s35
	s_wait_dscnt 0x0
	s_barrier_signal -1
	s_barrier_wait -1
	s_and_saveexec_b32 s35, s75
	s_cbranch_execz .LBB79_300
; %bb.299:                              ;   in Loop: Header=BB79_3 Depth=1
	ds_load_b128 v[68:71], v49
	ds_load_b128 v[72:75], v48 offset:11072
	s_wait_dscnt 0x0
	v_mul_f64_e32 v[4:5], v[70:71], v[74:75]
	v_mul_f64_e32 v[42:43], v[68:69], v[74:75]
	s_delay_alu instid0(VALU_DEP_2) | instskip(NEXT) | instid1(VALU_DEP_2)
	v_fma_f64 v[4:5], v[68:69], v[72:73], -v[4:5]
	v_fmac_f64_e32 v[42:43], v[70:71], v[72:73]
	s_delay_alu instid0(VALU_DEP_2) | instskip(NEXT) | instid1(VALU_DEP_2)
	v_add_f64_e32 v[18:19], v[18:19], v[4:5]
	v_add_f64_e32 v[20:21], v[20:21], v[42:43]
.LBB79_300:                             ;   in Loop: Header=BB79_3 Depth=1
	s_or_b32 exec_lo, exec_lo, s35
	s_barrier_signal -1
	s_barrier_wait -1
	;; [unrolled: 26-line block ×3, first 2 shown]
	s_and_saveexec_b32 s35, s77
; %bb.305:                              ;   in Loop: Header=BB79_3 Depth=1
	ds_store_b128 v49, v[18:21]
; %bb.306:                              ;   in Loop: Header=BB79_3 Depth=1
	s_or_b32 exec_lo, exec_lo, s35
	s_wait_dscnt 0x0
	s_barrier_signal -1
	s_barrier_wait -1
	s_barrier_signal -1
	s_barrier_wait -1
	s_and_saveexec_b32 s35, s1
; %bb.307:                              ;   in Loop: Header=BB79_3 Depth=1
	v_xor_b32_e32 v21, 0x80000000, v21
	v_xor_b32_e32 v19, 0x80000000, v19
	ds_store_b128 v51, v[18:21] offset:8512
; %bb.308:                              ;   in Loop: Header=BB79_3 Depth=1
	s_or_b32 exec_lo, exec_lo, s35
	s_wait_dscnt 0x0
	s_barrier_signal -1
	s_barrier_wait -1
	s_barrier_signal -1
	s_barrier_wait -1
	s_and_saveexec_b32 s35, s8
	s_cbranch_execz .LBB79_310
; %bb.309:                              ;   in Loop: Header=BB79_3 Depth=1
	s_mov_b32 s36, s57
	s_mov_b32 s38, s57
	;; [unrolled: 1-line block ×3, first 2 shown]
	v_mov_b64_e32 v[18:19], s[36:37]
	v_mov_b64_e32 v[20:21], s[38:39]
	ds_store_b128 v3, v[18:21] offset:10560
	ds_store_b128 v3, v[18:21] offset:11088
.LBB79_310:                             ;   in Loop: Header=BB79_3 Depth=1
	s_or_b32 exec_lo, exec_lo, s35
	v_mov_b64_e32 v[20:21], 0
	v_mov_b64_e32 v[18:19], 0
	s_wait_dscnt 0x0
	s_barrier_signal -1
	s_barrier_wait -1
	s_and_saveexec_b32 s35, s0
	s_cbranch_execz .LBB79_314
; %bb.311:                              ;   in Loop: Header=BB79_3 Depth=1
	ds_load_b128 v[18:21], v46 offset:10560
	ds_load_b128 v[68:71], v44 offset:10592
	s_wait_dscnt 0x0
	v_mul_f64_e32 v[4:5], v[20:21], v[70:71]
	v_mul_f64_e32 v[42:43], v[18:19], v[70:71]
	s_delay_alu instid0(VALU_DEP_2) | instskip(NEXT) | instid1(VALU_DEP_2)
	v_fma_f64 v[4:5], v[18:19], v[68:69], -v[4:5]
	v_fmac_f64_e32 v[42:43], v[20:21], v[68:69]
	s_delay_alu instid0(VALU_DEP_2) | instskip(NEXT) | instid1(VALU_DEP_2)
	v_add_f64_e32 v[18:19], 0, v[4:5]
	v_add_f64_e32 v[20:21], 0, v[42:43]
	s_and_saveexec_b32 s36, s9
	s_cbranch_execz .LBB79_313
; %bb.312:                              ;   in Loop: Header=BB79_3 Depth=1
	ds_load_b128 v[68:71], v3 offset:10576
	ds_load_b128 v[72:75], v47 offset:11104
	s_wait_dscnt 0x0
	v_mul_f64_e32 v[4:5], v[70:71], v[74:75]
	v_mul_f64_e32 v[42:43], v[68:69], v[74:75]
	s_delay_alu instid0(VALU_DEP_2) | instskip(NEXT) | instid1(VALU_DEP_2)
	v_fma_f64 v[4:5], v[68:69], v[72:73], -v[4:5]
	v_fmac_f64_e32 v[42:43], v[70:71], v[72:73]
	s_delay_alu instid0(VALU_DEP_2) | instskip(NEXT) | instid1(VALU_DEP_2)
	v_add_f64_e32 v[18:19], v[18:19], v[4:5]
	v_add_f64_e32 v[20:21], v[20:21], v[42:43]
.LBB79_313:                             ;   in Loop: Header=BB79_3 Depth=1
	s_or_b32 exec_lo, exec_lo, s36
	s_delay_alu instid0(VALU_DEP_2) | instskip(NEXT) | instid1(VALU_DEP_2)
	v_xor_b32_e32 v19, 0x80000000, v19
	v_xor_b32_e32 v21, 0x80000000, v21
.LBB79_314:                             ;   in Loop: Header=BB79_3 Depth=1
	s_or_b32 exec_lo, exec_lo, s35
	s_and_saveexec_b32 s35, s70
; %bb.315:                              ;   in Loop: Header=BB79_3 Depth=1
	ds_store_b128 v27, v[18:21]
; %bb.316:                              ;   in Loop: Header=BB79_3 Depth=1
	s_or_b32 exec_lo, exec_lo, s35
	s_wait_dscnt 0x0
	s_barrier_signal -1
	s_barrier_wait -1
	s_and_saveexec_b32 s35, s71
	s_cbranch_execz .LBB79_318
; %bb.317:                              ;   in Loop: Header=BB79_3 Depth=1
	ds_load_b128 v[68:71], v27
	ds_load_b128 v[72:75], v3 offset:11632
	s_wait_dscnt 0x0
	v_mul_f64_e32 v[4:5], v[70:71], v[74:75]
	v_mul_f64_e32 v[42:43], v[68:69], v[74:75]
	s_delay_alu instid0(VALU_DEP_2) | instskip(NEXT) | instid1(VALU_DEP_2)
	v_fma_f64 v[4:5], v[68:69], v[72:73], -v[4:5]
	v_fmac_f64_e32 v[42:43], v[70:71], v[72:73]
	s_delay_alu instid0(VALU_DEP_2) | instskip(NEXT) | instid1(VALU_DEP_2)
	v_add_f64_e32 v[18:19], v[18:19], v[4:5]
	v_add_f64_e32 v[20:21], v[20:21], v[42:43]
.LBB79_318:                             ;   in Loop: Header=BB79_3 Depth=1
	s_or_b32 exec_lo, exec_lo, s35
	s_barrier_signal -1
	s_barrier_wait -1
	s_and_saveexec_b32 s35, s71
; %bb.319:                              ;   in Loop: Header=BB79_3 Depth=1
	ds_store_b128 v27, v[18:21]
; %bb.320:                              ;   in Loop: Header=BB79_3 Depth=1
	s_or_b32 exec_lo, exec_lo, s35
	s_wait_dscnt 0x0
	s_barrier_signal -1
	s_barrier_wait -1
	s_barrier_signal -1
	s_barrier_wait -1
	s_and_saveexec_b32 s35, s0
; %bb.321:                              ;   in Loop: Header=BB79_3 Depth=1
	v_xor_b32_e32 v19, 0x80000000, v19
	v_xor_b32_e32 v21, 0x80000000, v21
	ds_store_b128 v44, v[18:21] offset:10592
; %bb.322:                              ;   in Loop: Header=BB79_3 Depth=1
	s_or_b32 exec_lo, exec_lo, s35
	s_wait_dscnt 0x0
	s_barrier_signal -1
	s_barrier_wait -1
	s_barrier_signal -1
	s_barrier_wait -1
	s_and_saveexec_b32 s35, s8
	s_cbranch_execz .LBB79_324
; %bb.323:                              ;   in Loop: Header=BB79_3 Depth=1
	s_mov_b32 s36, s57
	s_mov_b32 s38, s57
	;; [unrolled: 1-line block ×3, first 2 shown]
	v_mov_b64_e32 v[18:19], s[36:37]
	v_mov_b64_e32 v[20:21], s[38:39]
	ds_store_b128 v3, v[18:21] offset:11616
	ds_store_b128 v3, v[18:21] offset:12144
.LBB79_324:                             ;   in Loop: Header=BB79_3 Depth=1
	s_or_b32 exec_lo, exec_lo, s35
	v_mov_b64_e32 v[20:21], 0
	v_mov_b64_e32 v[18:19], 0
	s_wait_dscnt 0x0
	s_barrier_signal -1
	s_barrier_wait -1
	s_and_saveexec_b32 s35, s2
	s_cbranch_execz .LBB79_334
; %bb.325:                              ;   in Loop: Header=BB79_3 Depth=1
	ds_load_b128 v[18:21], v50 offset:8448
	ds_load_b128 v[68:71], v58 offset:8576
	s_wait_dscnt 0x0
	v_mul_f64_e32 v[4:5], v[20:21], v[70:71]
	v_mul_f64_e32 v[42:43], v[18:19], v[70:71]
	s_delay_alu instid0(VALU_DEP_2) | instskip(NEXT) | instid1(VALU_DEP_2)
	v_fma_f64 v[4:5], v[18:19], v[68:69], -v[4:5]
	v_fmac_f64_e32 v[42:43], v[20:21], v[68:69]
	s_delay_alu instid0(VALU_DEP_2) | instskip(NEXT) | instid1(VALU_DEP_2)
	v_add_f64_e32 v[18:19], 0, v[4:5]
	v_add_f64_e32 v[20:21], 0, v[42:43]
	s_and_saveexec_b32 s36, s12
	s_cbranch_execnz .LBB79_504
; %bb.326:                              ;   in Loop: Header=BB79_3 Depth=1
	s_or_b32 exec_lo, exec_lo, s36
	s_and_saveexec_b32 s36, s13
	s_cbranch_execnz .LBB79_505
.LBB79_327:                             ;   in Loop: Header=BB79_3 Depth=1
	s_or_b32 exec_lo, exec_lo, s36
	s_and_saveexec_b32 s36, s14
	s_cbranch_execnz .LBB79_506
.LBB79_328:                             ;   in Loop: Header=BB79_3 Depth=1
	s_or_b32 exec_lo, exec_lo, s36
	s_and_saveexec_b32 s36, s15
	s_cbranch_execnz .LBB79_507
.LBB79_329:                             ;   in Loop: Header=BB79_3 Depth=1
	s_or_b32 exec_lo, exec_lo, s36
	s_and_saveexec_b32 s36, s16
	s_cbranch_execnz .LBB79_508
.LBB79_330:                             ;   in Loop: Header=BB79_3 Depth=1
	s_or_b32 exec_lo, exec_lo, s36
	s_and_saveexec_b32 s36, s1
	s_cbranch_execnz .LBB79_509
.LBB79_331:                             ;   in Loop: Header=BB79_3 Depth=1
	s_or_b32 exec_lo, exec_lo, s36
	s_and_saveexec_b32 s36, s11
	s_cbranch_execz .LBB79_333
.LBB79_332:                             ;   in Loop: Header=BB79_3 Depth=1
	ds_load_b128 v[68:71], v3 offset:8560
	ds_load_b128 v[72:75], v47 offset:12160
	s_wait_dscnt 0x0
	v_mul_f64_e32 v[4:5], v[70:71], v[74:75]
	v_mul_f64_e32 v[42:43], v[68:69], v[74:75]
	s_delay_alu instid0(VALU_DEP_2) | instskip(NEXT) | instid1(VALU_DEP_2)
	v_fma_f64 v[4:5], v[68:69], v[72:73], -v[4:5]
	v_fmac_f64_e32 v[42:43], v[70:71], v[72:73]
	s_delay_alu instid0(VALU_DEP_2) | instskip(NEXT) | instid1(VALU_DEP_2)
	v_add_f64_e32 v[18:19], v[18:19], v[4:5]
	v_add_f64_e32 v[20:21], v[20:21], v[42:43]
.LBB79_333:                             ;   in Loop: Header=BB79_3 Depth=1
	s_or_b32 exec_lo, exec_lo, s36
	s_delay_alu instid0(VALU_DEP_2) | instskip(NEXT) | instid1(VALU_DEP_2)
	v_xor_b32_e32 v19, 0x80000000, v19
	v_xor_b32_e32 v21, 0x80000000, v21
.LBB79_334:                             ;   in Loop: Header=BB79_3 Depth=1
	s_or_b32 exec_lo, exec_lo, s35
	s_and_saveexec_b32 s35, s78
; %bb.335:                              ;   in Loop: Header=BB79_3 Depth=1
	ds_store_b128 v57, v[18:21]
; %bb.336:                              ;   in Loop: Header=BB79_3 Depth=1
	s_or_b32 exec_lo, exec_lo, s35
	s_wait_dscnt 0x0
	s_barrier_signal -1
	s_barrier_wait -1
	s_and_saveexec_b32 s35, s79
	s_cbranch_execz .LBB79_338
; %bb.337:                              ;   in Loop: Header=BB79_3 Depth=1
	ds_load_b128 v[68:71], v57
	ds_load_b128 v[72:75], v53 offset:12672
	s_wait_dscnt 0x0
	v_mul_f64_e32 v[4:5], v[70:71], v[74:75]
	v_mul_f64_e32 v[42:43], v[68:69], v[74:75]
	s_delay_alu instid0(VALU_DEP_2) | instskip(NEXT) | instid1(VALU_DEP_2)
	v_fma_f64 v[4:5], v[68:69], v[72:73], -v[4:5]
	v_fmac_f64_e32 v[42:43], v[70:71], v[72:73]
	s_delay_alu instid0(VALU_DEP_2) | instskip(NEXT) | instid1(VALU_DEP_2)
	v_add_f64_e32 v[18:19], v[18:19], v[4:5]
	v_add_f64_e32 v[20:21], v[20:21], v[42:43]
.LBB79_338:                             ;   in Loop: Header=BB79_3 Depth=1
	s_or_b32 exec_lo, exec_lo, s35
	s_barrier_signal -1
	s_barrier_wait -1
	s_and_saveexec_b32 s35, s80
; %bb.339:                              ;   in Loop: Header=BB79_3 Depth=1
	ds_store_b128 v57, v[18:21]
; %bb.340:                              ;   in Loop: Header=BB79_3 Depth=1
	s_or_b32 exec_lo, exec_lo, s35
	s_wait_dscnt 0x0
	s_barrier_signal -1
	s_barrier_wait -1
	s_and_saveexec_b32 s35, s81
	s_cbranch_execz .LBB79_342
; %bb.341:                              ;   in Loop: Header=BB79_3 Depth=1
	ds_load_b128 v[68:71], v57
	ds_load_b128 v[72:75], v53 offset:13184
	s_wait_dscnt 0x0
	v_mul_f64_e32 v[4:5], v[70:71], v[74:75]
	v_mul_f64_e32 v[42:43], v[68:69], v[74:75]
	s_delay_alu instid0(VALU_DEP_2) | instskip(NEXT) | instid1(VALU_DEP_2)
	v_fma_f64 v[4:5], v[68:69], v[72:73], -v[4:5]
	v_fmac_f64_e32 v[42:43], v[70:71], v[72:73]
	s_delay_alu instid0(VALU_DEP_2) | instskip(NEXT) | instid1(VALU_DEP_2)
	v_add_f64_e32 v[18:19], v[18:19], v[4:5]
	v_add_f64_e32 v[20:21], v[20:21], v[42:43]
.LBB79_342:                             ;   in Loop: Header=BB79_3 Depth=1
	s_or_b32 exec_lo, exec_lo, s35
	s_barrier_signal -1
	s_barrier_wait -1
	;; [unrolled: 26-line block ×7, first 2 shown]
	s_and_saveexec_b32 s35, s91
; %bb.363:                              ;   in Loop: Header=BB79_3 Depth=1
	ds_store_b128 v57, v[18:21]
; %bb.364:                              ;   in Loop: Header=BB79_3 Depth=1
	s_or_b32 exec_lo, exec_lo, s35
	s_wait_dscnt 0x0
	s_barrier_signal -1
	s_barrier_wait -1
	s_barrier_signal -1
	s_barrier_wait -1
	s_and_saveexec_b32 s35, s2
; %bb.365:                              ;   in Loop: Header=BB79_3 Depth=1
	v_xor_b32_e32 v19, 0x80000000, v19
	v_xor_b32_e32 v21, 0x80000000, v21
	ds_store_b128 v58, v[18:21] offset:8576
; %bb.366:                              ;   in Loop: Header=BB79_3 Depth=1
	s_or_b32 exec_lo, exec_lo, s35
	s_wait_dscnt 0x0
	s_barrier_signal -1
	s_barrier_wait -1
	s_barrier_signal -1
	s_barrier_wait -1
	s_and_saveexec_b32 s35, s8
	s_cbranch_execz .LBB79_368
; %bb.367:                              ;   in Loop: Header=BB79_3 Depth=1
	s_mov_b32 s36, s57
	s_mov_b32 s38, s57
	;; [unrolled: 1-line block ×3, first 2 shown]
	v_mov_b64_e32 v[18:19], s[36:37]
	v_mov_b64_e32 v[20:21], s[38:39]
	ds_store_b128 v3, v[18:21] offset:12672
	ds_store_b128 v3, v[18:21] offset:13200
.LBB79_368:                             ;   in Loop: Header=BB79_3 Depth=1
	s_or_b32 exec_lo, exec_lo, s35
	v_mov_b64_e32 v[20:21], 0
	v_mov_b64_e32 v[18:19], 0
	s_wait_dscnt 0x0
	s_barrier_signal -1
	s_barrier_wait -1
	s_and_saveexec_b32 s35, s0
	s_cbranch_execz .LBB79_372
; %bb.369:                              ;   in Loop: Header=BB79_3 Depth=1
	ds_load_b128 v[18:21], v46 offset:12672
	ds_load_b128 v[68:71], v44 offset:12704
	s_wait_dscnt 0x0
	v_mul_f64_e32 v[4:5], v[20:21], v[70:71]
	v_mul_f64_e32 v[42:43], v[18:19], v[70:71]
	s_delay_alu instid0(VALU_DEP_2) | instskip(NEXT) | instid1(VALU_DEP_2)
	v_fma_f64 v[4:5], v[18:19], v[68:69], -v[4:5]
	v_fmac_f64_e32 v[42:43], v[20:21], v[68:69]
	s_delay_alu instid0(VALU_DEP_2) | instskip(NEXT) | instid1(VALU_DEP_2)
	v_add_f64_e32 v[18:19], 0, v[4:5]
	v_add_f64_e32 v[20:21], 0, v[42:43]
	s_and_saveexec_b32 s36, s9
	s_cbranch_execz .LBB79_371
; %bb.370:                              ;   in Loop: Header=BB79_3 Depth=1
	ds_load_b128 v[68:71], v3 offset:12688
	ds_load_b128 v[72:75], v47 offset:13216
	s_wait_dscnt 0x0
	v_mul_f64_e32 v[4:5], v[70:71], v[74:75]
	v_mul_f64_e32 v[42:43], v[68:69], v[74:75]
	s_delay_alu instid0(VALU_DEP_2) | instskip(NEXT) | instid1(VALU_DEP_2)
	v_fma_f64 v[4:5], v[68:69], v[72:73], -v[4:5]
	v_fmac_f64_e32 v[42:43], v[70:71], v[72:73]
	s_delay_alu instid0(VALU_DEP_2) | instskip(NEXT) | instid1(VALU_DEP_2)
	v_add_f64_e32 v[18:19], v[18:19], v[4:5]
	v_add_f64_e32 v[20:21], v[20:21], v[42:43]
.LBB79_371:                             ;   in Loop: Header=BB79_3 Depth=1
	s_or_b32 exec_lo, exec_lo, s36
	s_delay_alu instid0(VALU_DEP_2) | instskip(NEXT) | instid1(VALU_DEP_2)
	v_xor_b32_e32 v19, 0x80000000, v19
	v_xor_b32_e32 v21, 0x80000000, v21
.LBB79_372:                             ;   in Loop: Header=BB79_3 Depth=1
	s_or_b32 exec_lo, exec_lo, s35
	s_and_saveexec_b32 s35, s70
; %bb.373:                              ;   in Loop: Header=BB79_3 Depth=1
	ds_store_b128 v27, v[18:21]
; %bb.374:                              ;   in Loop: Header=BB79_3 Depth=1
	s_or_b32 exec_lo, exec_lo, s35
	s_wait_dscnt 0x0
	s_barrier_signal -1
	s_barrier_wait -1
	s_and_saveexec_b32 s35, s71
	s_cbranch_execz .LBB79_376
; %bb.375:                              ;   in Loop: Header=BB79_3 Depth=1
	ds_load_b128 v[68:71], v27
	ds_load_b128 v[72:75], v3 offset:13744
	s_wait_dscnt 0x0
	v_mul_f64_e32 v[4:5], v[70:71], v[74:75]
	v_mul_f64_e32 v[42:43], v[68:69], v[74:75]
	s_delay_alu instid0(VALU_DEP_2) | instskip(NEXT) | instid1(VALU_DEP_2)
	v_fma_f64 v[4:5], v[68:69], v[72:73], -v[4:5]
	v_fmac_f64_e32 v[42:43], v[70:71], v[72:73]
	s_delay_alu instid0(VALU_DEP_2) | instskip(NEXT) | instid1(VALU_DEP_2)
	v_add_f64_e32 v[18:19], v[18:19], v[4:5]
	v_add_f64_e32 v[20:21], v[20:21], v[42:43]
.LBB79_376:                             ;   in Loop: Header=BB79_3 Depth=1
	s_or_b32 exec_lo, exec_lo, s35
	s_barrier_signal -1
	s_barrier_wait -1
	s_and_saveexec_b32 s35, s71
; %bb.377:                              ;   in Loop: Header=BB79_3 Depth=1
	ds_store_b128 v27, v[18:21]
; %bb.378:                              ;   in Loop: Header=BB79_3 Depth=1
	s_or_b32 exec_lo, exec_lo, s35
	s_wait_dscnt 0x0
	s_barrier_signal -1
	s_barrier_wait -1
	s_barrier_signal -1
	s_barrier_wait -1
	s_and_saveexec_b32 s35, s0
; %bb.379:                              ;   in Loop: Header=BB79_3 Depth=1
	v_xor_b32_e32 v19, 0x80000000, v19
	v_xor_b32_e32 v21, 0x80000000, v21
	ds_store_b128 v44, v[18:21] offset:12704
; %bb.380:                              ;   in Loop: Header=BB79_3 Depth=1
	s_or_b32 exec_lo, exec_lo, s35
	s_wait_dscnt 0x0
	s_barrier_signal -1
	s_barrier_wait -1
	s_barrier_signal -1
	s_barrier_wait -1
	s_and_saveexec_b32 s35, s8
	s_cbranch_execz .LBB79_382
; %bb.381:                              ;   in Loop: Header=BB79_3 Depth=1
	s_mov_b32 s36, s57
	s_mov_b32 s38, s57
	;; [unrolled: 1-line block ×3, first 2 shown]
	v_mov_b64_e32 v[18:19], s[36:37]
	v_mov_b64_e32 v[20:21], s[38:39]
	ds_store_b128 v3, v[18:21] offset:13728
	ds_store_b128 v3, v[18:21] offset:14256
.LBB79_382:                             ;   in Loop: Header=BB79_3 Depth=1
	s_or_b32 exec_lo, exec_lo, s35
	v_mov_b64_e32 v[20:21], 0
	v_mov_b64_e32 v[18:19], 0
	s_wait_dscnt 0x0
	s_barrier_signal -1
	s_barrier_wait -1
	s_and_saveexec_b32 s35, s1
	s_cbranch_execz .LBB79_388
; %bb.383:                              ;   in Loop: Header=BB79_3 Depth=1
	ds_load_b128 v[18:21], v45 offset:12672
	ds_load_b128 v[68:71], v51 offset:12736
	s_wait_dscnt 0x0
	v_mul_f64_e32 v[4:5], v[20:21], v[70:71]
	v_mul_f64_e32 v[42:43], v[18:19], v[70:71]
	s_delay_alu instid0(VALU_DEP_2) | instskip(NEXT) | instid1(VALU_DEP_2)
	v_fma_f64 v[4:5], v[18:19], v[68:69], -v[4:5]
	v_fmac_f64_e32 v[42:43], v[20:21], v[68:69]
	s_delay_alu instid0(VALU_DEP_2) | instskip(NEXT) | instid1(VALU_DEP_2)
	v_add_f64_e32 v[18:19], 0, v[4:5]
	v_add_f64_e32 v[20:21], 0, v[42:43]
	s_and_saveexec_b32 s36, s10
	s_cbranch_execnz .LBB79_510
; %bb.384:                              ;   in Loop: Header=BB79_3 Depth=1
	s_or_b32 exec_lo, exec_lo, s36
	s_and_saveexec_b32 s36, s11
	s_cbranch_execnz .LBB79_511
.LBB79_385:                             ;   in Loop: Header=BB79_3 Depth=1
	s_or_b32 exec_lo, exec_lo, s36
	s_and_saveexec_b32 s36, s0
	s_cbranch_execz .LBB79_387
.LBB79_386:                             ;   in Loop: Header=BB79_3 Depth=1
	ds_load_b128 v[68:71], v3 offset:12720
	ds_load_b128 v[72:75], v47 offset:14272
	s_wait_dscnt 0x0
	v_mul_f64_e32 v[4:5], v[70:71], v[74:75]
	v_mul_f64_e32 v[42:43], v[68:69], v[74:75]
	s_delay_alu instid0(VALU_DEP_2) | instskip(NEXT) | instid1(VALU_DEP_2)
	v_fma_f64 v[4:5], v[68:69], v[72:73], -v[4:5]
	v_fmac_f64_e32 v[42:43], v[70:71], v[72:73]
	s_delay_alu instid0(VALU_DEP_2) | instskip(NEXT) | instid1(VALU_DEP_2)
	v_add_f64_e32 v[18:19], v[18:19], v[4:5]
	v_add_f64_e32 v[20:21], v[20:21], v[42:43]
.LBB79_387:                             ;   in Loop: Header=BB79_3 Depth=1
	s_or_b32 exec_lo, exec_lo, s36
	s_delay_alu instid0(VALU_DEP_2) | instskip(NEXT) | instid1(VALU_DEP_2)
	v_xor_b32_e32 v19, 0x80000000, v19
	v_xor_b32_e32 v21, 0x80000000, v21
.LBB79_388:                             ;   in Loop: Header=BB79_3 Depth=1
	s_or_b32 exec_lo, exec_lo, s35
	s_and_saveexec_b32 s35, s72
; %bb.389:                              ;   in Loop: Header=BB79_3 Depth=1
	ds_store_b128 v49, v[18:21]
; %bb.390:                              ;   in Loop: Header=BB79_3 Depth=1
	s_or_b32 exec_lo, exec_lo, s35
	s_wait_dscnt 0x0
	s_barrier_signal -1
	s_barrier_wait -1
	s_and_saveexec_b32 s35, s73
	s_cbranch_execz .LBB79_392
; %bb.391:                              ;   in Loop: Header=BB79_3 Depth=1
	ds_load_b128 v[68:71], v49
	ds_load_b128 v[72:75], v48 offset:14784
	s_wait_dscnt 0x0
	v_mul_f64_e32 v[4:5], v[70:71], v[74:75]
	v_mul_f64_e32 v[42:43], v[68:69], v[74:75]
	s_delay_alu instid0(VALU_DEP_2) | instskip(NEXT) | instid1(VALU_DEP_2)
	v_fma_f64 v[4:5], v[68:69], v[72:73], -v[4:5]
	v_fmac_f64_e32 v[42:43], v[70:71], v[72:73]
	s_delay_alu instid0(VALU_DEP_2) | instskip(NEXT) | instid1(VALU_DEP_2)
	v_add_f64_e32 v[18:19], v[18:19], v[4:5]
	v_add_f64_e32 v[20:21], v[20:21], v[42:43]
.LBB79_392:                             ;   in Loop: Header=BB79_3 Depth=1
	s_or_b32 exec_lo, exec_lo, s35
	s_barrier_signal -1
	s_barrier_wait -1
	s_and_saveexec_b32 s35, s74
; %bb.393:                              ;   in Loop: Header=BB79_3 Depth=1
	ds_store_b128 v49, v[18:21]
; %bb.394:                              ;   in Loop: Header=BB79_3 Depth=1
	s_or_b32 exec_lo, exec_lo, s35
	s_wait_dscnt 0x0
	s_barrier_signal -1
	s_barrier_wait -1
	s_and_saveexec_b32 s35, s75
	s_cbranch_execz .LBB79_396
; %bb.395:                              ;   in Loop: Header=BB79_3 Depth=1
	ds_load_b128 v[68:71], v49
	ds_load_b128 v[72:75], v48 offset:15296
	s_wait_dscnt 0x0
	v_mul_f64_e32 v[4:5], v[70:71], v[74:75]
	v_mul_f64_e32 v[42:43], v[68:69], v[74:75]
	s_delay_alu instid0(VALU_DEP_2) | instskip(NEXT) | instid1(VALU_DEP_2)
	v_fma_f64 v[4:5], v[68:69], v[72:73], -v[4:5]
	v_fmac_f64_e32 v[42:43], v[70:71], v[72:73]
	s_delay_alu instid0(VALU_DEP_2) | instskip(NEXT) | instid1(VALU_DEP_2)
	v_add_f64_e32 v[18:19], v[18:19], v[4:5]
	v_add_f64_e32 v[20:21], v[20:21], v[42:43]
.LBB79_396:                             ;   in Loop: Header=BB79_3 Depth=1
	s_or_b32 exec_lo, exec_lo, s35
	s_barrier_signal -1
	s_barrier_wait -1
	;; [unrolled: 26-line block ×3, first 2 shown]
	s_and_saveexec_b32 s35, s77
; %bb.401:                              ;   in Loop: Header=BB79_3 Depth=1
	ds_store_b128 v49, v[18:21]
; %bb.402:                              ;   in Loop: Header=BB79_3 Depth=1
	s_or_b32 exec_lo, exec_lo, s35
	s_wait_dscnt 0x0
	s_barrier_signal -1
	s_barrier_wait -1
	s_barrier_signal -1
	s_barrier_wait -1
	s_and_saveexec_b32 s35, s1
; %bb.403:                              ;   in Loop: Header=BB79_3 Depth=1
	v_xor_b32_e32 v21, 0x80000000, v21
	v_xor_b32_e32 v19, 0x80000000, v19
	ds_store_b128 v51, v[18:21] offset:12736
; %bb.404:                              ;   in Loop: Header=BB79_3 Depth=1
	s_or_b32 exec_lo, exec_lo, s35
	s_wait_dscnt 0x0
	s_barrier_signal -1
	s_barrier_wait -1
	s_barrier_signal -1
	s_barrier_wait -1
	s_and_saveexec_b32 s35, s8
	s_cbranch_execz .LBB79_406
; %bb.405:                              ;   in Loop: Header=BB79_3 Depth=1
	s_mov_b32 s36, s57
	s_mov_b32 s38, s57
	s_mov_b32 s39, s57
	v_mov_b64_e32 v[18:19], s[36:37]
	v_mov_b64_e32 v[20:21], s[38:39]
	ds_store_b128 v3, v[18:21] offset:14784
	ds_store_b128 v3, v[18:21] offset:15312
.LBB79_406:                             ;   in Loop: Header=BB79_3 Depth=1
	s_or_b32 exec_lo, exec_lo, s35
	v_mov_b64_e32 v[20:21], 0
	v_mov_b64_e32 v[18:19], 0
	s_wait_dscnt 0x0
	s_barrier_signal -1
	s_barrier_wait -1
	s_and_saveexec_b32 s35, s0
	s_cbranch_execz .LBB79_410
; %bb.407:                              ;   in Loop: Header=BB79_3 Depth=1
	ds_load_b128 v[18:21], v46 offset:14784
	ds_load_b128 v[68:71], v44 offset:14816
	s_wait_dscnt 0x0
	v_mul_f64_e32 v[4:5], v[20:21], v[70:71]
	v_mul_f64_e32 v[42:43], v[18:19], v[70:71]
	s_delay_alu instid0(VALU_DEP_2) | instskip(NEXT) | instid1(VALU_DEP_2)
	v_fma_f64 v[4:5], v[18:19], v[68:69], -v[4:5]
	v_fmac_f64_e32 v[42:43], v[20:21], v[68:69]
	s_delay_alu instid0(VALU_DEP_2) | instskip(NEXT) | instid1(VALU_DEP_2)
	v_add_f64_e32 v[18:19], 0, v[4:5]
	v_add_f64_e32 v[20:21], 0, v[42:43]
	s_and_saveexec_b32 s36, s9
	s_cbranch_execz .LBB79_409
; %bb.408:                              ;   in Loop: Header=BB79_3 Depth=1
	ds_load_b128 v[68:71], v3 offset:14800
	ds_load_b128 v[72:75], v47 offset:15328
	s_wait_dscnt 0x0
	v_mul_f64_e32 v[4:5], v[70:71], v[74:75]
	v_mul_f64_e32 v[42:43], v[68:69], v[74:75]
	s_delay_alu instid0(VALU_DEP_2) | instskip(NEXT) | instid1(VALU_DEP_2)
	v_fma_f64 v[4:5], v[68:69], v[72:73], -v[4:5]
	v_fmac_f64_e32 v[42:43], v[70:71], v[72:73]
	s_delay_alu instid0(VALU_DEP_2) | instskip(NEXT) | instid1(VALU_DEP_2)
	v_add_f64_e32 v[18:19], v[18:19], v[4:5]
	v_add_f64_e32 v[20:21], v[20:21], v[42:43]
.LBB79_409:                             ;   in Loop: Header=BB79_3 Depth=1
	s_or_b32 exec_lo, exec_lo, s36
	s_delay_alu instid0(VALU_DEP_2) | instskip(NEXT) | instid1(VALU_DEP_2)
	v_xor_b32_e32 v19, 0x80000000, v19
	v_xor_b32_e32 v21, 0x80000000, v21
.LBB79_410:                             ;   in Loop: Header=BB79_3 Depth=1
	s_or_b32 exec_lo, exec_lo, s35
	s_and_saveexec_b32 s35, s70
; %bb.411:                              ;   in Loop: Header=BB79_3 Depth=1
	ds_store_b128 v27, v[18:21]
; %bb.412:                              ;   in Loop: Header=BB79_3 Depth=1
	s_or_b32 exec_lo, exec_lo, s35
	s_wait_dscnt 0x0
	s_barrier_signal -1
	s_barrier_wait -1
	s_and_saveexec_b32 s35, s71
	s_cbranch_execz .LBB79_414
; %bb.413:                              ;   in Loop: Header=BB79_3 Depth=1
	ds_load_b128 v[68:71], v27
	ds_load_b128 v[72:75], v3 offset:15856
	s_wait_dscnt 0x0
	v_mul_f64_e32 v[4:5], v[70:71], v[74:75]
	v_mul_f64_e32 v[42:43], v[68:69], v[74:75]
	s_delay_alu instid0(VALU_DEP_2) | instskip(NEXT) | instid1(VALU_DEP_2)
	v_fma_f64 v[4:5], v[68:69], v[72:73], -v[4:5]
	v_fmac_f64_e32 v[42:43], v[70:71], v[72:73]
	s_delay_alu instid0(VALU_DEP_2) | instskip(NEXT) | instid1(VALU_DEP_2)
	v_add_f64_e32 v[18:19], v[18:19], v[4:5]
	v_add_f64_e32 v[20:21], v[20:21], v[42:43]
.LBB79_414:                             ;   in Loop: Header=BB79_3 Depth=1
	s_or_b32 exec_lo, exec_lo, s35
	s_barrier_signal -1
	s_barrier_wait -1
	s_and_saveexec_b32 s35, s71
; %bb.415:                              ;   in Loop: Header=BB79_3 Depth=1
	ds_store_b128 v27, v[18:21]
; %bb.416:                              ;   in Loop: Header=BB79_3 Depth=1
	s_or_b32 exec_lo, exec_lo, s35
	s_wait_dscnt 0x0
	s_barrier_signal -1
	s_barrier_wait -1
	s_barrier_signal -1
	s_barrier_wait -1
	s_and_saveexec_b32 s35, s0
; %bb.417:                              ;   in Loop: Header=BB79_3 Depth=1
	v_xor_b32_e32 v19, 0x80000000, v19
	v_xor_b32_e32 v21, 0x80000000, v21
	ds_store_b128 v44, v[18:21] offset:14816
; %bb.418:                              ;   in Loop: Header=BB79_3 Depth=1
	s_or_b32 exec_lo, exec_lo, s35
	s_wait_dscnt 0x0
	s_barrier_signal -1
	s_barrier_wait -1
	s_barrier_signal -1
	s_barrier_wait -1
	s_and_saveexec_b32 s35, s8
	s_cbranch_execz .LBB79_420
; %bb.419:                              ;   in Loop: Header=BB79_3 Depth=1
	s_mov_b32 s36, s57
	s_mov_b32 s38, s57
	;; [unrolled: 1-line block ×3, first 2 shown]
	v_mov_b64_e32 v[18:19], s[36:37]
	v_mov_b64_e32 v[20:21], s[38:39]
	ds_store_b128 v3, v[18:21] offset:15840
	ds_store_b128 v3, v[18:21] offset:16368
.LBB79_420:                             ;   in Loop: Header=BB79_3 Depth=1
	s_or_b32 exec_lo, exec_lo, s35
.LBB79_421:                             ;   in Loop: Header=BB79_3 Depth=1
	v_mov_b64_e32 v[18:19], 0
	s_mul_u64 s[38:39], s[52:53], s[56:57]
	s_wait_dscnt 0x0
	s_lshl_b64 s[38:39], s[38:39], 4
	s_barrier_signal -1
	s_add_nc_u64 s[38:39], s[46:47], s[38:39]
	s_barrier_wait -1
	v_mov_b64_e32 v[20:21], v[18:19]
	s_and_saveexec_b32 s35, s98
	s_cbranch_execz .LBB79_423
; %bb.422:                              ;   in Loop: Header=BB79_3 Depth=1
	v_lshl_add_u64 v[4:5], v[0:1], 4, s[38:39]
	global_load_b128 v[68:71], v[4:5], off
	s_wait_loadcnt 0x0
	v_mul_f64_e32 v[4:5], v[14:15], v[68:69]
	v_mul_f64_e32 v[14:15], v[14:15], v[70:71]
	s_delay_alu instid0(VALU_DEP_2) | instskip(NEXT) | instid1(VALU_DEP_2)
	v_fma_f64 v[18:19], v[16:17], v[70:71], -v[4:5]
	v_fma_f64 v[20:21], v[68:69], -v[16:17], -v[14:15]
.LBB79_423:                             ;   in Loop: Header=BB79_3 Depth=1
	s_or_b32 exec_lo, exec_lo, s35
	s_delay_alu instid0(SALU_CYCLE_1)
	s_and_not1_b32 vcc_lo, exec_lo, s99
	s_cbranch_vccnz .LBB79_446
; %bb.424:                              ;   in Loop: Header=BB79_3 Depth=1
	v_lshl_add_u64 v[14:15], v[28:29], 4, s[62:63]
	v_mov_b32_e32 v68, -1
	s_lshl_b64 vcc, s[56:57], 2
	s_mov_b32 s36, 0
	s_add_nc_u64 s[62:63], s[54:55], vcc
	s_branch .LBB79_427
.LBB79_425:                             ;   in Loop: Header=BB79_427 Depth=2
	ds_load_b128 v[70:73], v62 offset:256
	s_wait_loadcnt_dscnt 0x0
	v_mul_f64_e32 v[16:17], v[42:43], v[72:73]
	v_mul_f64_e32 v[72:73], v[4:5], v[72:73]
	s_delay_alu instid0(VALU_DEP_2) | instskip(NEXT) | instid1(VALU_DEP_2)
	v_fma_f64 v[4:5], v[4:5], v[70:71], -v[16:17]
	v_fmac_f64_e32 v[72:73], v[42:43], v[70:71]
	s_delay_alu instid0(VALU_DEP_2) | instskip(NEXT) | instid1(VALU_DEP_2)
	v_add_f64_e32 v[18:19], v[18:19], v[4:5]
	v_add_f64_e32 v[20:21], v[20:21], v[72:73]
.LBB79_426:                             ;   in Loop: Header=BB79_427 Depth=2
	s_or_b32 exec_lo, exec_lo, s35
	s_add_co_i32 s36, s36, 1
	s_delay_alu instid0(SALU_CYCLE_1)
	s_cmp_eq_u32 s36, s66
	s_cbranch_scc1 .LBB79_446
.LBB79_427:                             ;   Parent Loop BB79_3 Depth=1
                                        ; =>  This Loop Header: Depth=2
                                        ;       Child Loop BB79_429 Depth 3
	v_cmp_gt_i32_e32 vcc_lo, s36, v68
	s_and_b32 s104, s28, vcc_lo
	s_delay_alu instid0(SALU_CYCLE_1)
	s_and_saveexec_b32 s35, s104
	s_cbranch_execz .LBB79_430
; %bb.428:                              ;   in Loop: Header=BB79_427 Depth=2
	global_load_b32 v68, v3, s[62:63]
	s_wait_loadcnt 0x0
	v_cmp_le_i32_e32 vcc_lo, s36, v68
	s_cbranch_vccnz .LBB79_430
.LBB79_429:                             ;   Parent Loop BB79_3 Depth=1
                                        ;     Parent Loop BB79_427 Depth=2
                                        ; =>    This Inner Loop Header: Depth=3
	global_wb scope:SCOPE_DEV
	s_wait_storecnt 0x0
	global_inv scope:SCOPE_DEV
	global_load_b32 v68, v3, s[62:63]
	s_wait_loadcnt 0x0
	v_cmp_gt_i32_e32 vcc_lo, s36, v68
	s_cbranch_vccnz .LBB79_429
.LBB79_430:                             ;   in Loop: Header=BB79_427 Depth=2
	s_or_b32 exec_lo, exec_lo, s35
	s_lshl_b32 s35, s36, 5
	global_wb scope:SCOPE_DEV
	s_wait_storecnt 0x0
	global_inv scope:SCOPE_DEV
	s_wait_loadcnt 0x0
	s_barrier_signal -1
	s_barrier_wait -1
	s_and_saveexec_b32 s104, s29
	s_cbranch_execz .LBB79_435
; %bb.431:                              ;   in Loop: Header=BB79_427 Depth=2
	v_or_b32_e32 v2, s35, v26
	s_delay_alu instid0(VALU_DEP_1) | instskip(SKIP_1) | instid1(SALU_CYCLE_1)
	v_cmp_le_i32_e32 vcc_lo, s65, v2
	s_and_saveexec_b32 vcc_hi, vcc_lo
	s_xor_b32 vcc_lo, exec_lo, vcc_hi
; %bb.432:                              ;   in Loop: Header=BB79_427 Depth=2
	v_dual_mov_b32 v2, v3 :: v_dual_mov_b32 v4, v3
	v_mov_b32_e32 v5, v3
	ds_store_b128 v63, v[2:5]
; %bb.433:                              ;   in Loop: Header=BB79_427 Depth=2
	s_and_not1_saveexec_b32 s17, vcc_lo
	s_cbranch_execz .LBB79_435
; %bb.434:                              ;   in Loop: Header=BB79_427 Depth=2
	v_mul_u64_e32 v[4:5], s[50:51], v[2:3]
	s_delay_alu instid0(VALU_DEP_1)
	v_lshl_add_u64 v[4:5], v[4:5], 4, s[38:39]
	global_load_b128 v[70:73], v[4:5], off
	s_wait_loadcnt 0x0
	ds_store_2addr_b64 v63, v[70:71], v[72:73] offset1:1
.LBB79_435:                             ;   in Loop: Header=BB79_427 Depth=2
	s_or_b32 exec_lo, exec_lo, s104
	v_add_nc_u32_e32 v2, s35, v22
	v_cmp_ne_u32_e32 vcc_lo, s36, v25
	s_wait_dscnt 0x0
	s_barrier_signal -1
	s_barrier_wait -1
	v_mul_u64_e32 v[4:5], s[40:41], v[2:3]
	v_cmp_gt_i32_e64 s35, s65, v2
	v_cndmask_b32_e64 v69, 0, 1, vcc_lo
	s_and_b32 s17, s5, s35
	v_lshl_add_u64 v[4:5], v[4:5], 4, v[14:15]
	s_and_saveexec_b32 s35, s17
	s_cbranch_execz .LBB79_441
; %bb.436:                              ;   in Loop: Header=BB79_427 Depth=2
	v_mov_b64_e32 v[16:17], v[6:7]
	s_and_not1_b32 vcc_lo, exec_lo, vcc_lo
	s_cbranch_vccnz .LBB79_438
; %bb.437:                              ;   in Loop: Header=BB79_427 Depth=2
	global_load_b64 v[16:17], v[4:5], off
.LBB79_438:                             ;   in Loop: Header=BB79_427 Depth=2
	v_cmp_ne_u32_e32 vcc_lo, 1, v69
	v_mov_b64_e32 v[42:43], v[8:9]
	s_cbranch_vccnz .LBB79_440
; %bb.439:                              ;   in Loop: Header=BB79_427 Depth=2
	global_load_b64 v[42:43], v[4:5], off offset:8
.LBB79_440:                             ;   in Loop: Header=BB79_427 Depth=2
	ds_load_b128 v[70:73], v62
	s_wait_loadcnt_dscnt 0x0
	v_mul_f64_e32 v[74:75], v[42:43], v[72:73]
	v_mul_f64_e32 v[72:73], v[16:17], v[72:73]
	s_delay_alu instid0(VALU_DEP_2) | instskip(NEXT) | instid1(VALU_DEP_2)
	v_fma_f64 v[16:17], v[16:17], v[70:71], -v[74:75]
	v_fmac_f64_e32 v[72:73], v[42:43], v[70:71]
	s_delay_alu instid0(VALU_DEP_2) | instskip(NEXT) | instid1(VALU_DEP_2)
	v_add_f64_e32 v[18:19], v[18:19], v[16:17]
	v_add_f64_e32 v[20:21], v[20:21], v[72:73]
.LBB79_441:                             ;   in Loop: Header=BB79_427 Depth=2
	s_or_b32 exec_lo, exec_lo, s35
	v_add_nc_u32_e32 v2, 16, v2
	s_delay_alu instid0(VALU_DEP_1) | instskip(SKIP_1) | instid1(SALU_CYCLE_1)
	v_cmp_gt_i32_e32 vcc_lo, s65, v2
	s_and_b32 s17, s5, vcc_lo
	s_and_saveexec_b32 s35, s17
	s_cbranch_execz .LBB79_426
; %bb.442:                              ;   in Loop: Header=BB79_427 Depth=2
	v_cmp_ne_u32_e32 vcc_lo, 1, v69
	v_add_nc_u64_e32 v[16:17], s[60:61], v[4:5]
	v_mov_b64_e32 v[4:5], v[10:11]
	s_cbranch_vccnz .LBB79_444
; %bb.443:                              ;   in Loop: Header=BB79_427 Depth=2
	global_load_b64 v[4:5], v[16:17], off
.LBB79_444:                             ;   in Loop: Header=BB79_427 Depth=2
	v_cmp_ne_u32_e32 vcc_lo, 1, v69
	v_mov_b64_e32 v[42:43], v[12:13]
	s_cbranch_vccnz .LBB79_425
; %bb.445:                              ;   in Loop: Header=BB79_427 Depth=2
	global_load_b64 v[42:43], v[16:17], off offset:8
	s_branch .LBB79_425
.LBB79_446:                             ;   in Loop: Header=BB79_3 Depth=1
	ds_store_b128 v64, v[18:21]
	s_wait_dscnt 0x0
	s_barrier_signal -1
	s_barrier_wait -1
	s_and_saveexec_b32 s35, s4
	s_cbranch_execz .LBB79_448
; %bb.447:                              ;   in Loop: Header=BB79_3 Depth=1
	ds_load_b128 v[14:17], v65 offset:512
	ds_load_b128 v[68:71], v65 offset:1024
	s_wait_dscnt 0x1
	v_add_f64_e32 v[4:5], v[18:19], v[14:15]
	v_add_f64_e32 v[14:15], v[20:21], v[16:17]
	s_wait_dscnt 0x0
	s_delay_alu instid0(VALU_DEP_2) | instskip(NEXT) | instid1(VALU_DEP_2)
	v_add_f64_e32 v[4:5], v[4:5], v[68:69]
	v_add_f64_e32 v[42:43], v[14:15], v[70:71]
	ds_load_b128 v[14:17], v65 offset:1536
	ds_load_b128 v[18:21], v65 offset:2048
	s_wait_dscnt 0x1
	v_add_f64_e32 v[4:5], v[4:5], v[14:15]
	v_add_f64_e32 v[14:15], v[42:43], v[16:17]
	s_wait_dscnt 0x0
	s_delay_alu instid0(VALU_DEP_2) | instskip(NEXT) | instid1(VALU_DEP_2)
	v_add_f64_e32 v[4:5], v[4:5], v[18:19]
	v_add_f64_e32 v[42:43], v[14:15], v[20:21]
	;; [unrolled: 9-line block ×7, first 2 shown]
	ds_load_b128 v[14:17], v65 offset:7680
	s_wait_dscnt 0x0
	v_add_f64_e32 v[4:5], v[4:5], v[14:15]
	v_add_f64_e32 v[14:15], v[18:19], v[16:17]
	s_delay_alu instid0(VALU_DEP_2) | instskip(NEXT) | instid1(VALU_DEP_2)
	v_xor_b32_e32 v2, 0x80000000, v5
	v_xor_b32_e32 v5, 0x80000000, v15
	s_delay_alu instid0(VALU_DEP_4) | instskip(NEXT) | instid1(VALU_DEP_4)
	v_cndmask_b32_e64 v18, v4, 0, s95
	v_cndmask_b32_e64 v20, v14, 0, s95
	s_delay_alu instid0(VALU_DEP_4) | instskip(NEXT) | instid1(VALU_DEP_4)
	v_cndmask_b32_e64 v19, v2, 0, s95
	v_cndmask_b32_e64 v21, v5, 0, s95
.LBB79_448:                             ;   in Loop: Header=BB79_3 Depth=1
	s_or_b32 exec_lo, exec_lo, s35
	s_delay_alu instid0(SALU_CYCLE_1)
	s_and_not1_b32 vcc_lo, exec_lo, s69
	s_cbranch_vccnz .LBB79_457
; %bb.449:                              ;   in Loop: Header=BB79_3 Depth=1
	s_and_saveexec_b32 s35, s4
; %bb.450:                              ;   in Loop: Header=BB79_3 Depth=1
	ds_store_b128 v67, v[18:21]
; %bb.451:                              ;   in Loop: Header=BB79_3 Depth=1
	s_or_b32 exec_lo, exec_lo, s35
	v_mov_b64_e32 v[14:15], 0
	v_mov_b64_e32 v[16:17], 0
	s_wait_dscnt 0x0
	s_barrier_signal -1
	s_barrier_wait -1
	s_and_saveexec_b32 s35, s30
	s_cbranch_execz .LBB79_453
; %bb.452:                              ;   in Loop: Header=BB79_3 Depth=1
	ds_load_b128 v[14:17], v62
	ds_load_b128 v[68:71], v66
	s_wait_dscnt 0x0
	v_mul_f64_e32 v[4:5], v[16:17], v[70:71]
	v_mul_f64_e32 v[42:43], v[14:15], v[70:71]
	s_delay_alu instid0(VALU_DEP_2) | instskip(NEXT) | instid1(VALU_DEP_2)
	v_fma_f64 v[4:5], v[14:15], v[68:69], -v[4:5]
	v_fmac_f64_e32 v[42:43], v[16:17], v[68:69]
	s_delay_alu instid0(VALU_DEP_2) | instskip(NEXT) | instid1(VALU_DEP_2)
	v_add_f64_e32 v[14:15], 0, v[4:5]
	v_add_f64_e32 v[16:17], 0, v[42:43]
.LBB79_453:                             ;   in Loop: Header=BB79_3 Depth=1
	s_or_b32 exec_lo, exec_lo, s35
	s_and_saveexec_b32 s35, s31
	s_cbranch_execz .LBB79_455
; %bb.454:                              ;   in Loop: Header=BB79_3 Depth=1
	ds_load_b128 v[68:71], v62 offset:256
	ds_load_b128 v[72:75], v66 offset:8192
	s_wait_dscnt 0x0
	v_mul_f64_e32 v[4:5], v[70:71], v[74:75]
	v_mul_f64_e32 v[42:43], v[68:69], v[74:75]
	s_delay_alu instid0(VALU_DEP_2) | instskip(NEXT) | instid1(VALU_DEP_2)
	v_fma_f64 v[4:5], v[68:69], v[72:73], -v[4:5]
	v_fmac_f64_e32 v[42:43], v[70:71], v[72:73]
	s_delay_alu instid0(VALU_DEP_2) | instskip(NEXT) | instid1(VALU_DEP_2)
	v_add_f64_e32 v[14:15], v[14:15], v[4:5]
	v_add_f64_e32 v[16:17], v[16:17], v[42:43]
.LBB79_455:                             ;   in Loop: Header=BB79_3 Depth=1
	s_or_b32 exec_lo, exec_lo, s35
	s_mov_b32 s36, 0
	s_mov_b32 s35, 0
	ds_store_b128 v64, v[14:17]
	s_wait_dscnt 0x0
	s_barrier_signal -1
	s_barrier_wait -1
                                        ; implicit-def: $vgpr4_vgpr5
                                        ; implicit-def: $vgpr42_vgpr43
	s_and_saveexec_b32 s62, s4
	s_cbranch_execz .LBB79_483
; %bb.456:                              ;   in Loop: Header=BB79_3 Depth=1
	ds_load_b128 v[68:71], v65 offset:512
	ds_load_b128 v[72:75], v65 offset:1024
	s_mov_b32 s35, exec_lo
	s_wait_dscnt 0x1
	v_add_f64_e32 v[4:5], v[14:15], v[68:69]
	v_add_f64_e32 v[14:15], v[16:17], v[70:71]
	s_wait_dscnt 0x0
	s_delay_alu instid0(VALU_DEP_2) | instskip(NEXT) | instid1(VALU_DEP_2)
	v_add_f64_e32 v[4:5], v[4:5], v[72:73]
	v_add_f64_e32 v[42:43], v[14:15], v[74:75]
	ds_load_b128 v[14:17], v65 offset:1536
	ds_load_b128 v[68:71], v65 offset:2048
	s_wait_dscnt 0x1
	v_add_f64_e32 v[4:5], v[4:5], v[14:15]
	v_add_f64_e32 v[14:15], v[42:43], v[16:17]
	s_wait_dscnt 0x0
	s_delay_alu instid0(VALU_DEP_2) | instskip(NEXT) | instid1(VALU_DEP_2)
	v_add_f64_e32 v[4:5], v[4:5], v[68:69]
	v_add_f64_e32 v[42:43], v[14:15], v[70:71]
	ds_load_b128 v[14:17], v65 offset:2560
	ds_load_b128 v[68:71], v65 offset:3072
	;; [unrolled: 9-line block ×6, first 2 shown]
	s_wait_dscnt 0x1
	v_add_f64_e32 v[4:5], v[4:5], v[14:15]
	v_add_f64_e32 v[14:15], v[42:43], v[16:17]
	s_wait_dscnt 0x0
	s_delay_alu instid0(VALU_DEP_2) | instskip(NEXT) | instid1(VALU_DEP_2)
	v_add_f64_e32 v[4:5], v[4:5], v[68:69]
	v_add_f64_e32 v[68:69], v[14:15], v[70:71]
	ds_load_b128 v[14:17], v65 offset:7680
	s_wait_dscnt 0x0
	v_add_f64_e32 v[42:43], v[4:5], v[14:15]
	v_add_f64_e32 v[4:5], v[68:69], v[16:17]
	s_or_b32 exec_lo, exec_lo, s62
	s_delay_alu instid0(SALU_CYCLE_1)
	s_and_b32 vcc_lo, exec_lo, s36
	s_cbranch_vccnz .LBB79_458
	s_branch .LBB79_484
.LBB79_457:                             ;   in Loop: Header=BB79_3 Depth=1
	s_mov_b32 s35, 0
                                        ; implicit-def: $vgpr4_vgpr5
                                        ; implicit-def: $vgpr42_vgpr43
	s_cbranch_execz .LBB79_484
.LBB79_458:                             ;   in Loop: Header=BB79_3 Depth=1
	v_dual_mov_b32 v2, v24 :: v_dual_mov_b32 v4, v47
	s_mov_b32 s36, 0
	s_branch .LBB79_460
.LBB79_459:                             ;   in Loop: Header=BB79_460 Depth=2
	s_or_b32 exec_lo, exec_lo, s62
	v_add_nc_u32_e32 v4, 0x400, v4
	v_add_nc_u32_e32 v2, -2, v2
	s_add_co_i32 s36, s36, 2
	s_delay_alu instid0(SALU_CYCLE_1)
	s_cmp_lg_u32 s36, 32
	s_barrier_signal -1
	s_barrier_wait -1
	s_cbranch_scc0 .LBB79_468
.LBB79_460:                             ;   Parent Loop BB79_3 Depth=1
                                        ; =>  This Inner Loop Header: Depth=2
	s_delay_alu instid0(VALU_DEP_1) | instskip(SKIP_1) | instid1(SALU_CYCLE_1)
	v_cmp_eq_u32_e32 vcc_lo, 0, v2
	s_and_b32 s17, s4, vcc_lo
	s_and_saveexec_b32 s62, s17
; %bb.461:                              ;   in Loop: Header=BB79_460 Depth=2
	ds_store_b128 v3, v[18:21] offset:25088
; %bb.462:                              ;   in Loop: Header=BB79_460 Depth=2
	s_or_b32 exec_lo, exec_lo, s62
	v_cmp_lt_u32_e32 vcc_lo, s36, v24
	s_wait_dscnt 0x0
	s_barrier_signal -1
	s_barrier_wait -1
	s_and_b32 s17, s4, vcc_lo
	s_delay_alu instid0(SALU_CYCLE_1)
	s_and_saveexec_b32 s62, s17
	s_cbranch_execz .LBB79_464
; %bb.463:                              ;   in Loop: Header=BB79_460 Depth=2
	ds_load_b128 v[14:17], v3 offset:25088
	ds_load_b128 v[68:71], v4
	s_wait_dscnt 0x0
	v_mul_f64_e32 v[42:43], v[16:17], v[70:71]
	v_mul_f64_e32 v[70:71], v[14:15], v[70:71]
	s_delay_alu instid0(VALU_DEP_2) | instskip(NEXT) | instid1(VALU_DEP_2)
	v_fma_f64 v[14:15], v[14:15], v[68:69], -v[42:43]
	v_fmac_f64_e32 v[70:71], v[16:17], v[68:69]
	s_delay_alu instid0(VALU_DEP_2) | instskip(NEXT) | instid1(VALU_DEP_2)
	v_add_f64_e32 v[18:19], v[18:19], v[14:15]
	v_add_f64_e32 v[20:21], v[20:21], v[70:71]
.LBB79_464:                             ;   in Loop: Header=BB79_460 Depth=2
	s_or_b32 exec_lo, exec_lo, s62
	s_or_b32 s62, s36, 1
	s_delay_alu instid0(SALU_CYCLE_1) | instskip(SKIP_3) | instid1(SALU_CYCLE_1)
	v_cmp_eq_u32_e32 vcc_lo, s62, v24
	s_barrier_signal -1
	s_barrier_wait -1
	s_and_b32 s17, s4, vcc_lo
	s_and_saveexec_b32 s63, s17
; %bb.465:                              ;   in Loop: Header=BB79_460 Depth=2
	ds_store_b128 v3, v[18:21] offset:25088
; %bb.466:                              ;   in Loop: Header=BB79_460 Depth=2
	s_or_b32 exec_lo, exec_lo, s63
	v_cmp_lt_u32_e32 vcc_lo, s62, v24
	s_wait_dscnt 0x0
	s_barrier_signal -1
	s_barrier_wait -1
	s_and_b32 s17, s4, vcc_lo
	s_delay_alu instid0(SALU_CYCLE_1)
	s_and_saveexec_b32 s62, s17
	s_cbranch_execz .LBB79_459
; %bb.467:                              ;   in Loop: Header=BB79_460 Depth=2
	ds_load_b128 v[14:17], v3 offset:25088
	ds_load_b128 v[68:71], v4 offset:512
	s_wait_dscnt 0x0
	v_mul_f64_e32 v[42:43], v[16:17], v[70:71]
	v_mul_f64_e32 v[70:71], v[14:15], v[70:71]
	s_delay_alu instid0(VALU_DEP_2) | instskip(NEXT) | instid1(VALU_DEP_2)
	v_fma_f64 v[14:15], v[14:15], v[68:69], -v[42:43]
	v_fmac_f64_e32 v[70:71], v[16:17], v[68:69]
	s_delay_alu instid0(VALU_DEP_2) | instskip(NEXT) | instid1(VALU_DEP_2)
	v_add_f64_e32 v[18:19], v[18:19], v[14:15]
	v_add_f64_e32 v[20:21], v[20:21], v[70:71]
	s_branch .LBB79_459
.LBB79_468:                             ;   in Loop: Header=BB79_3 Depth=1
	s_and_b32 vcc_lo, exec_lo, s68
	s_mov_b32 s36, -1
	s_cbranch_vccz .LBB79_470
; %bb.469:                              ;   in Loop: Header=BB79_3 Depth=1
	s_and_not1_b32 s17, s35, exec_lo
	s_and_b32 s35, s4, exec_lo
	s_mov_b32 s36, 0
	s_or_b32 s35, s17, s35
.LBB79_470:                             ;   in Loop: Header=BB79_3 Depth=1
	s_and_not1_b32 vcc_lo, exec_lo, s36
	s_cbranch_vccnz .LBB79_472
; %bb.471:                              ;   in Loop: Header=BB79_3 Depth=1
	s_and_not1_b32 s17, s35, exec_lo
	v_readlane_b32 s35, v76, 15
	s_and_b32 s35, s35, exec_lo
	s_delay_alu instid0(SALU_CYCLE_1)
	s_or_b32 s35, s17, s35
.LBB79_472:                             ;   in Loop: Header=BB79_3 Depth=1
	v_mov_b64_e32 v[4:5], v[34:35]
	s_and_saveexec_b32 s36, s35
	s_cbranch_execnz .LBB79_485
	s_branch .LBB79_486
.LBB79_473:                             ;   in Loop: Header=BB79_3 Depth=1
	v_lshl_add_u64 v[4:5], v[36:37], 4, v[42:43]
	s_or_b32 s35, s35, exec_lo
	global_load_b128 v[18:21], v[4:5], off
	s_wait_loadcnt 0x0
	v_xor_b32_e32 v19, 0x80000000, v19
	v_xor_b32_e32 v21, 0x80000000, v21
	s_or_b32 exec_lo, exec_lo, s36
	s_and_saveexec_b32 s36, s35
	s_cbranch_execz .LBB79_14
.LBB79_474:                             ;   in Loop: Header=BB79_3 Depth=1
	ds_store_b128 v66, v[18:21]
	s_or_b32 exec_lo, exec_lo, s36
	s_and_saveexec_b32 s35, s7
	s_delay_alu instid0(SALU_CYCLE_1)
	s_xor_b32 s35, exec_lo, s35
	s_cbranch_execz .LBB79_15
.LBB79_475:                             ;   in Loop: Header=BB79_3 Depth=1
	s_and_saveexec_b32 s36, s34
; %bb.476:                              ;   in Loop: Header=BB79_3 Depth=1
	v_dual_mov_b32 v2, v3 :: v_dual_mov_b32 v4, v3
	v_mov_b32_e32 v5, v3
	ds_store_b128 v23, v[2:5]
; %bb.477:                              ;   in Loop: Header=BB79_3 Depth=1
	s_or_b32 exec_lo, exec_lo, s36
	s_and_not1_saveexec_b32 s35, s35
	s_cbranch_execnz .LBB79_16
	s_branch .LBB79_17
.LBB79_478:                             ;   in Loop: Header=BB79_3 Depth=1
	v_lshl_add_u64 v[4:5], v[36:37], 4, v[42:43]
	s_or_b32 s35, s35, exec_lo
	global_load_b128 v[18:21], v[4:5], off
	s_wait_loadcnt 0x0
	v_xor_b32_e32 v19, 0x80000000, v19
	v_xor_b32_e32 v21, 0x80000000, v21
	s_or_b32 exec_lo, exec_lo, s36
	s_and_saveexec_b32 s36, s35
	s_cbranch_execz .LBB79_23
.LBB79_479:                             ;   in Loop: Header=BB79_3 Depth=1
	ds_store_b128 v66, v[18:21]
	s_or_b32 exec_lo, exec_lo, s36
	s_and_saveexec_b32 s35, s103
	s_delay_alu instid0(SALU_CYCLE_1)
	s_xor_b32 s35, exec_lo, s35
	s_cbranch_execz .LBB79_24
.LBB79_480:                             ;   in Loop: Header=BB79_3 Depth=1
	s_and_saveexec_b32 s36, s34
; %bb.481:                              ;   in Loop: Header=BB79_3 Depth=1
	v_dual_mov_b32 v2, v3 :: v_dual_mov_b32 v4, v3
	v_mov_b32_e32 v5, v3
	ds_store_b128 v23, v[2:5]
; %bb.482:                              ;   in Loop: Header=BB79_3 Depth=1
	s_or_b32 exec_lo, exec_lo, s36
                                        ; implicit-def: $vgpr42_vgpr43
	s_and_not1_saveexec_b32 s35, s35
	s_cbranch_execnz .LBB79_25
	s_branch .LBB79_26
.LBB79_483:                             ;   in Loop: Header=BB79_3 Depth=1
	s_or_b32 exec_lo, exec_lo, s62
	s_delay_alu instid0(SALU_CYCLE_1)
	s_and_b32 vcc_lo, exec_lo, s36
	s_cbranch_vccnz .LBB79_458
.LBB79_484:                             ;   in Loop: Header=BB79_3 Depth=1
	s_delay_alu instid0(VALU_DEP_1) | instskip(NEXT) | instid1(VALU_DEP_3)
	v_mov_b64_e32 v[20:21], v[4:5]
	v_mov_b64_e32 v[18:19], v[42:43]
	;; [unrolled: 1-line block ×3, first 2 shown]
	s_and_saveexec_b32 s36, s35
	s_cbranch_execz .LBB79_486
.LBB79_485:                             ;   in Loop: Header=BB79_3 Depth=1
	s_delay_alu instid0(VALU_DEP_1)
	v_lshl_add_u64 v[4:5], v[4:5], 4, s[38:39]
	global_store_b128 v[4:5], v[18:21], off
.LBB79_486:                             ;   in Loop: Header=BB79_3 Depth=1
	s_wait_xcnt 0x0
	s_or_b32 exec_lo, exec_lo, s36
	global_wb scope:SCOPE_DEV
	s_wait_storecnt 0x0
	global_inv scope:SCOPE_DEV
	s_wait_loadcnt 0x0
	s_barrier_signal -1
	s_barrier_wait -1
	s_and_saveexec_b32 s35, s28
	s_cbranch_execz .LBB79_2
; %bb.487:                              ;   in Loop: Header=BB79_3 Depth=1
	s_lshl_b64 s[38:39], s[56:57], 2
	s_delay_alu instid0(SALU_CYCLE_1)
	s_add_nc_u64 s[38:39], s[54:55], s[38:39]
	global_load_b32 v2, v3, s[38:39]
	s_wait_loadcnt 0x0
	v_add_nc_u32_e32 v2, 1, v2
	global_store_b32 v3, v2, s[38:39]
	s_branch .LBB79_2
.LBB79_488:                             ;   in Loop: Header=BB79_3 Depth=1
	ds_load_b128 v[68:71], v45 offset:16
	ds_load_b128 v[72:75], v52 offset:576
	s_wait_dscnt 0x0
	v_mul_f64_e32 v[4:5], v[70:71], v[74:75]
	v_mul_f64_e32 v[42:43], v[68:69], v[74:75]
	s_delay_alu instid0(VALU_DEP_2) | instskip(NEXT) | instid1(VALU_DEP_2)
	v_fma_f64 v[4:5], v[68:69], v[72:73], -v[4:5]
	v_fmac_f64_e32 v[42:43], v[70:71], v[72:73]
	s_delay_alu instid0(VALU_DEP_2) | instskip(NEXT) | instid1(VALU_DEP_2)
	v_add_f64_e32 v[18:19], v[18:19], v[4:5]
	v_add_f64_e32 v[20:21], v[20:21], v[42:43]
	s_or_b32 exec_lo, exec_lo, s36
	s_and_saveexec_b32 s36, s11
	s_cbranch_execz .LBB79_47
.LBB79_489:                             ;   in Loop: Header=BB79_3 Depth=1
	ds_load_b128 v[68:71], v45 offset:32
	ds_load_b128 v[72:75], v51 offset:1088
	s_wait_dscnt 0x0
	v_mul_f64_e32 v[4:5], v[70:71], v[74:75]
	v_mul_f64_e32 v[42:43], v[68:69], v[74:75]
	s_delay_alu instid0(VALU_DEP_2) | instskip(NEXT) | instid1(VALU_DEP_2)
	v_fma_f64 v[4:5], v[68:69], v[72:73], -v[4:5]
	v_fmac_f64_e32 v[42:43], v[70:71], v[72:73]
	s_delay_alu instid0(VALU_DEP_2) | instskip(NEXT) | instid1(VALU_DEP_2)
	v_add_f64_e32 v[18:19], v[18:19], v[4:5]
	v_add_f64_e32 v[20:21], v[20:21], v[42:43]
	s_or_b32 exec_lo, exec_lo, s36
	s_and_saveexec_b32 s36, s0
	s_cbranch_execnz .LBB79_48
	s_branch .LBB79_49
.LBB79_490:                             ;   in Loop: Header=BB79_3 Depth=1
	ds_load_b128 v[68:71], v50 offset:16
	ds_load_b128 v[72:75], v59 offset:640
	s_wait_dscnt 0x0
	v_mul_f64_e32 v[4:5], v[70:71], v[74:75]
	v_mul_f64_e32 v[42:43], v[68:69], v[74:75]
	s_delay_alu instid0(VALU_DEP_2) | instskip(NEXT) | instid1(VALU_DEP_2)
	v_fma_f64 v[4:5], v[68:69], v[72:73], -v[4:5]
	v_fmac_f64_e32 v[42:43], v[70:71], v[72:73]
	s_delay_alu instid0(VALU_DEP_2) | instskip(NEXT) | instid1(VALU_DEP_2)
	v_add_f64_e32 v[18:19], v[18:19], v[4:5]
	v_add_f64_e32 v[20:21], v[20:21], v[42:43]
	s_or_b32 exec_lo, exec_lo, s36
	s_and_saveexec_b32 s36, s13
	s_cbranch_execz .LBB79_85
.LBB79_491:                             ;   in Loop: Header=BB79_3 Depth=1
	ds_load_b128 v[68:71], v50 offset:32
	ds_load_b128 v[72:75], v59 offset:1152
	s_wait_dscnt 0x0
	v_mul_f64_e32 v[4:5], v[70:71], v[74:75]
	v_mul_f64_e32 v[42:43], v[68:69], v[74:75]
	s_delay_alu instid0(VALU_DEP_2) | instskip(NEXT) | instid1(VALU_DEP_2)
	v_fma_f64 v[4:5], v[68:69], v[72:73], -v[4:5]
	v_fmac_f64_e32 v[42:43], v[70:71], v[72:73]
	s_delay_alu instid0(VALU_DEP_2) | instskip(NEXT) | instid1(VALU_DEP_2)
	v_add_f64_e32 v[18:19], v[18:19], v[4:5]
	v_add_f64_e32 v[20:21], v[20:21], v[42:43]
	s_or_b32 exec_lo, exec_lo, s36
	s_and_saveexec_b32 s36, s14
	s_cbranch_execz .LBB79_86
.LBB79_492:                             ;   in Loop: Header=BB79_3 Depth=1
	ds_load_b128 v[68:71], v50 offset:48
	ds_load_b128 v[72:75], v59 offset:1664
	s_wait_dscnt 0x0
	v_mul_f64_e32 v[4:5], v[70:71], v[74:75]
	v_mul_f64_e32 v[42:43], v[68:69], v[74:75]
	s_delay_alu instid0(VALU_DEP_2) | instskip(NEXT) | instid1(VALU_DEP_2)
	v_fma_f64 v[4:5], v[68:69], v[72:73], -v[4:5]
	v_fmac_f64_e32 v[42:43], v[70:71], v[72:73]
	s_delay_alu instid0(VALU_DEP_2) | instskip(NEXT) | instid1(VALU_DEP_2)
	v_add_f64_e32 v[18:19], v[18:19], v[4:5]
	v_add_f64_e32 v[20:21], v[20:21], v[42:43]
	s_or_b32 exec_lo, exec_lo, s36
	s_and_saveexec_b32 s36, s15
	s_cbranch_execz .LBB79_87
.LBB79_493:                             ;   in Loop: Header=BB79_3 Depth=1
	ds_load_b128 v[68:71], v50 offset:64
	ds_load_b128 v[72:75], v58 offset:2176
	s_wait_dscnt 0x0
	v_mul_f64_e32 v[4:5], v[70:71], v[74:75]
	v_mul_f64_e32 v[42:43], v[68:69], v[74:75]
	s_delay_alu instid0(VALU_DEP_2) | instskip(NEXT) | instid1(VALU_DEP_2)
	v_fma_f64 v[4:5], v[68:69], v[72:73], -v[4:5]
	v_fmac_f64_e32 v[42:43], v[70:71], v[72:73]
	s_delay_alu instid0(VALU_DEP_2) | instskip(NEXT) | instid1(VALU_DEP_2)
	v_add_f64_e32 v[18:19], v[18:19], v[4:5]
	v_add_f64_e32 v[20:21], v[20:21], v[42:43]
	s_or_b32 exec_lo, exec_lo, s36
	s_and_saveexec_b32 s36, s16
	s_cbranch_execz .LBB79_88
.LBB79_494:                             ;   in Loop: Header=BB79_3 Depth=1
	ds_load_b128 v[68:71], v50 offset:80
	ds_load_b128 v[72:75], v59 offset:2688
	s_wait_dscnt 0x0
	v_mul_f64_e32 v[4:5], v[70:71], v[74:75]
	v_mul_f64_e32 v[42:43], v[68:69], v[74:75]
	s_delay_alu instid0(VALU_DEP_2) | instskip(NEXT) | instid1(VALU_DEP_2)
	v_fma_f64 v[4:5], v[68:69], v[72:73], -v[4:5]
	v_fmac_f64_e32 v[42:43], v[70:71], v[72:73]
	s_delay_alu instid0(VALU_DEP_2) | instskip(NEXT) | instid1(VALU_DEP_2)
	v_add_f64_e32 v[18:19], v[18:19], v[4:5]
	v_add_f64_e32 v[20:21], v[20:21], v[42:43]
	s_or_b32 exec_lo, exec_lo, s36
	s_and_saveexec_b32 s36, s1
	s_cbranch_execz .LBB79_89
.LBB79_495:                             ;   in Loop: Header=BB79_3 Depth=1
	ds_load_b128 v[68:71], v50 offset:96
	ds_load_b128 v[72:75], v58 offset:3200
	s_wait_dscnt 0x0
	v_mul_f64_e32 v[4:5], v[70:71], v[74:75]
	v_mul_f64_e32 v[42:43], v[68:69], v[74:75]
	s_delay_alu instid0(VALU_DEP_2) | instskip(NEXT) | instid1(VALU_DEP_2)
	v_fma_f64 v[4:5], v[68:69], v[72:73], -v[4:5]
	v_fmac_f64_e32 v[42:43], v[70:71], v[72:73]
	s_delay_alu instid0(VALU_DEP_2) | instskip(NEXT) | instid1(VALU_DEP_2)
	v_add_f64_e32 v[18:19], v[18:19], v[4:5]
	v_add_f64_e32 v[20:21], v[20:21], v[42:43]
	s_or_b32 exec_lo, exec_lo, s36
	s_and_saveexec_b32 s36, s11
	s_cbranch_execnz .LBB79_90
	s_branch .LBB79_91
.LBB79_496:                             ;   in Loop: Header=BB79_3 Depth=1
	ds_load_b128 v[68:71], v45 offset:4240
	ds_load_b128 v[72:75], v52 offset:4800
	s_wait_dscnt 0x0
	v_mul_f64_e32 v[4:5], v[70:71], v[74:75]
	v_mul_f64_e32 v[42:43], v[68:69], v[74:75]
	s_delay_alu instid0(VALU_DEP_2) | instskip(NEXT) | instid1(VALU_DEP_2)
	v_fma_f64 v[4:5], v[68:69], v[72:73], -v[4:5]
	v_fmac_f64_e32 v[42:43], v[70:71], v[72:73]
	s_delay_alu instid0(VALU_DEP_2) | instskip(NEXT) | instid1(VALU_DEP_2)
	v_add_f64_e32 v[18:19], v[18:19], v[4:5]
	v_add_f64_e32 v[20:21], v[20:21], v[42:43]
	s_or_b32 exec_lo, exec_lo, s36
	s_and_saveexec_b32 s36, s11
	s_cbranch_execz .LBB79_143
.LBB79_497:                             ;   in Loop: Header=BB79_3 Depth=1
	ds_load_b128 v[68:71], v45 offset:4256
	ds_load_b128 v[72:75], v51 offset:5312
	s_wait_dscnt 0x0
	v_mul_f64_e32 v[4:5], v[70:71], v[74:75]
	v_mul_f64_e32 v[42:43], v[68:69], v[74:75]
	s_delay_alu instid0(VALU_DEP_2) | instskip(NEXT) | instid1(VALU_DEP_2)
	v_fma_f64 v[4:5], v[68:69], v[72:73], -v[4:5]
	v_fmac_f64_e32 v[42:43], v[70:71], v[72:73]
	s_delay_alu instid0(VALU_DEP_2) | instskip(NEXT) | instid1(VALU_DEP_2)
	v_add_f64_e32 v[18:19], v[18:19], v[4:5]
	v_add_f64_e32 v[20:21], v[20:21], v[42:43]
	s_or_b32 exec_lo, exec_lo, s36
	s_and_saveexec_b32 s36, s0
	s_cbranch_execnz .LBB79_144
	s_branch .LBB79_145
.LBB79_498:                             ;   in Loop: Header=BB79_3 Depth=1
	ds_load_b128 v[68:71], v2 offset:176
	ds_load_b128 v[72:75], v61 offset:5888
	s_wait_dscnt 0x0
	v_mul_f64_e32 v[4:5], v[70:71], v[74:75]
	v_mul_f64_e32 v[42:43], v[68:69], v[74:75]
	s_delay_alu instid0(VALU_DEP_2) | instskip(NEXT) | instid1(VALU_DEP_2)
	v_fma_f64 v[4:5], v[68:69], v[72:73], -v[4:5]
	v_fmac_f64_e32 v[42:43], v[70:71], v[72:73]
	s_delay_alu instid0(VALU_DEP_2) | instskip(NEXT) | instid1(VALU_DEP_2)
	v_add_f64_e32 v[18:19], v[18:19], v[4:5]
	v_add_f64_e32 v[20:21], v[20:21], v[42:43]
	s_or_b32 exec_lo, exec_lo, s36
	s_and_saveexec_b32 s36, s2
	s_cbranch_execz .LBB79_201
.LBB79_499:                             ;   in Loop: Header=BB79_3 Depth=1
	ds_load_b128 v[68:71], v2 offset:192
	ds_load_b128 v[72:75], v61 offset:6400
	s_wait_dscnt 0x0
	v_mul_f64_e32 v[4:5], v[70:71], v[74:75]
	v_mul_f64_e32 v[42:43], v[68:69], v[74:75]
	s_delay_alu instid0(VALU_DEP_2) | instskip(NEXT) | instid1(VALU_DEP_2)
	v_fma_f64 v[4:5], v[68:69], v[72:73], -v[4:5]
	v_fmac_f64_e32 v[42:43], v[70:71], v[72:73]
	s_delay_alu instid0(VALU_DEP_2) | instskip(NEXT) | instid1(VALU_DEP_2)
	v_add_f64_e32 v[18:19], v[18:19], v[4:5]
	v_add_f64_e32 v[20:21], v[20:21], v[42:43]
	s_or_b32 exec_lo, exec_lo, s36
	s_and_saveexec_b32 s36, s13
	s_cbranch_execz .LBB79_202
.LBB79_500:                             ;   in Loop: Header=BB79_3 Depth=1
	ds_load_b128 v[68:71], v2 offset:208
	ds_load_b128 v[72:75], v61 offset:6912
	s_wait_dscnt 0x0
	v_mul_f64_e32 v[4:5], v[70:71], v[74:75]
	v_mul_f64_e32 v[42:43], v[68:69], v[74:75]
	s_delay_alu instid0(VALU_DEP_2) | instskip(NEXT) | instid1(VALU_DEP_2)
	v_fma_f64 v[4:5], v[68:69], v[72:73], -v[4:5]
	v_fmac_f64_e32 v[42:43], v[70:71], v[72:73]
	s_delay_alu instid0(VALU_DEP_2) | instskip(NEXT) | instid1(VALU_DEP_2)
	v_add_f64_e32 v[18:19], v[18:19], v[4:5]
	v_add_f64_e32 v[20:21], v[20:21], v[42:43]
	s_or_b32 exec_lo, exec_lo, s36
	s_and_saveexec_b32 s36, s15
	s_cbranch_execz .LBB79_203
.LBB79_501:                             ;   in Loop: Header=BB79_3 Depth=1
	ds_load_b128 v[68:71], v2 offset:224
	ds_load_b128 v[72:75], v61 offset:7424
	s_wait_dscnt 0x0
	v_mul_f64_e32 v[4:5], v[70:71], v[74:75]
	v_mul_f64_e32 v[42:43], v[68:69], v[74:75]
	s_delay_alu instid0(VALU_DEP_2) | instskip(NEXT) | instid1(VALU_DEP_2)
	v_fma_f64 v[4:5], v[68:69], v[72:73], -v[4:5]
	v_fmac_f64_e32 v[42:43], v[70:71], v[72:73]
	s_delay_alu instid0(VALU_DEP_2) | instskip(NEXT) | instid1(VALU_DEP_2)
	v_add_f64_e32 v[18:19], v[18:19], v[4:5]
	v_add_f64_e32 v[20:21], v[20:21], v[42:43]
	s_or_b32 exec_lo, exec_lo, s36
	s_and_saveexec_b32 s36, s1
	s_cbranch_execnz .LBB79_204
	s_branch .LBB79_205
.LBB79_502:                             ;   in Loop: Header=BB79_3 Depth=1
	ds_load_b128 v[68:71], v45 offset:8464
	ds_load_b128 v[72:75], v52 offset:9024
	s_wait_dscnt 0x0
	v_mul_f64_e32 v[4:5], v[70:71], v[74:75]
	v_mul_f64_e32 v[42:43], v[68:69], v[74:75]
	s_delay_alu instid0(VALU_DEP_2) | instskip(NEXT) | instid1(VALU_DEP_2)
	v_fma_f64 v[4:5], v[68:69], v[72:73], -v[4:5]
	v_fmac_f64_e32 v[42:43], v[70:71], v[72:73]
	s_delay_alu instid0(VALU_DEP_2) | instskip(NEXT) | instid1(VALU_DEP_2)
	v_add_f64_e32 v[18:19], v[18:19], v[4:5]
	v_add_f64_e32 v[20:21], v[20:21], v[42:43]
	s_or_b32 exec_lo, exec_lo, s36
	s_and_saveexec_b32 s36, s11
	s_cbranch_execz .LBB79_289
.LBB79_503:                             ;   in Loop: Header=BB79_3 Depth=1
	ds_load_b128 v[68:71], v45 offset:8480
	ds_load_b128 v[72:75], v51 offset:9536
	s_wait_dscnt 0x0
	v_mul_f64_e32 v[4:5], v[70:71], v[74:75]
	v_mul_f64_e32 v[42:43], v[68:69], v[74:75]
	s_delay_alu instid0(VALU_DEP_2) | instskip(NEXT) | instid1(VALU_DEP_2)
	v_fma_f64 v[4:5], v[68:69], v[72:73], -v[4:5]
	v_fmac_f64_e32 v[42:43], v[70:71], v[72:73]
	s_delay_alu instid0(VALU_DEP_2) | instskip(NEXT) | instid1(VALU_DEP_2)
	v_add_f64_e32 v[18:19], v[18:19], v[4:5]
	v_add_f64_e32 v[20:21], v[20:21], v[42:43]
	s_or_b32 exec_lo, exec_lo, s36
	s_and_saveexec_b32 s36, s0
	s_cbranch_execnz .LBB79_290
	s_branch .LBB79_291
.LBB79_504:                             ;   in Loop: Header=BB79_3 Depth=1
	ds_load_b128 v[68:71], v50 offset:8464
	ds_load_b128 v[72:75], v59 offset:9088
	s_wait_dscnt 0x0
	v_mul_f64_e32 v[4:5], v[70:71], v[74:75]
	v_mul_f64_e32 v[42:43], v[68:69], v[74:75]
	s_delay_alu instid0(VALU_DEP_2) | instskip(NEXT) | instid1(VALU_DEP_2)
	v_fma_f64 v[4:5], v[68:69], v[72:73], -v[4:5]
	v_fmac_f64_e32 v[42:43], v[70:71], v[72:73]
	s_delay_alu instid0(VALU_DEP_2) | instskip(NEXT) | instid1(VALU_DEP_2)
	v_add_f64_e32 v[18:19], v[18:19], v[4:5]
	v_add_f64_e32 v[20:21], v[20:21], v[42:43]
	s_or_b32 exec_lo, exec_lo, s36
	s_and_saveexec_b32 s36, s13
	s_cbranch_execz .LBB79_327
.LBB79_505:                             ;   in Loop: Header=BB79_3 Depth=1
	ds_load_b128 v[68:71], v50 offset:8480
	ds_load_b128 v[72:75], v59 offset:9600
	s_wait_dscnt 0x0
	v_mul_f64_e32 v[4:5], v[70:71], v[74:75]
	v_mul_f64_e32 v[42:43], v[68:69], v[74:75]
	s_delay_alu instid0(VALU_DEP_2) | instskip(NEXT) | instid1(VALU_DEP_2)
	v_fma_f64 v[4:5], v[68:69], v[72:73], -v[4:5]
	v_fmac_f64_e32 v[42:43], v[70:71], v[72:73]
	s_delay_alu instid0(VALU_DEP_2) | instskip(NEXT) | instid1(VALU_DEP_2)
	v_add_f64_e32 v[18:19], v[18:19], v[4:5]
	v_add_f64_e32 v[20:21], v[20:21], v[42:43]
	s_or_b32 exec_lo, exec_lo, s36
	s_and_saveexec_b32 s36, s14
	s_cbranch_execz .LBB79_328
.LBB79_506:                             ;   in Loop: Header=BB79_3 Depth=1
	ds_load_b128 v[68:71], v50 offset:8496
	ds_load_b128 v[72:75], v59 offset:10112
	s_wait_dscnt 0x0
	v_mul_f64_e32 v[4:5], v[70:71], v[74:75]
	v_mul_f64_e32 v[42:43], v[68:69], v[74:75]
	s_delay_alu instid0(VALU_DEP_2) | instskip(NEXT) | instid1(VALU_DEP_2)
	v_fma_f64 v[4:5], v[68:69], v[72:73], -v[4:5]
	v_fmac_f64_e32 v[42:43], v[70:71], v[72:73]
	s_delay_alu instid0(VALU_DEP_2) | instskip(NEXT) | instid1(VALU_DEP_2)
	v_add_f64_e32 v[18:19], v[18:19], v[4:5]
	v_add_f64_e32 v[20:21], v[20:21], v[42:43]
	s_or_b32 exec_lo, exec_lo, s36
	s_and_saveexec_b32 s36, s15
	s_cbranch_execz .LBB79_329
.LBB79_507:                             ;   in Loop: Header=BB79_3 Depth=1
	ds_load_b128 v[68:71], v50 offset:8512
	ds_load_b128 v[72:75], v58 offset:10624
	s_wait_dscnt 0x0
	v_mul_f64_e32 v[4:5], v[70:71], v[74:75]
	v_mul_f64_e32 v[42:43], v[68:69], v[74:75]
	s_delay_alu instid0(VALU_DEP_2) | instskip(NEXT) | instid1(VALU_DEP_2)
	v_fma_f64 v[4:5], v[68:69], v[72:73], -v[4:5]
	v_fmac_f64_e32 v[42:43], v[70:71], v[72:73]
	s_delay_alu instid0(VALU_DEP_2) | instskip(NEXT) | instid1(VALU_DEP_2)
	v_add_f64_e32 v[18:19], v[18:19], v[4:5]
	v_add_f64_e32 v[20:21], v[20:21], v[42:43]
	s_or_b32 exec_lo, exec_lo, s36
	s_and_saveexec_b32 s36, s16
	s_cbranch_execz .LBB79_330
.LBB79_508:                             ;   in Loop: Header=BB79_3 Depth=1
	ds_load_b128 v[68:71], v50 offset:8528
	ds_load_b128 v[72:75], v59 offset:11136
	s_wait_dscnt 0x0
	v_mul_f64_e32 v[4:5], v[70:71], v[74:75]
	v_mul_f64_e32 v[42:43], v[68:69], v[74:75]
	s_delay_alu instid0(VALU_DEP_2) | instskip(NEXT) | instid1(VALU_DEP_2)
	v_fma_f64 v[4:5], v[68:69], v[72:73], -v[4:5]
	v_fmac_f64_e32 v[42:43], v[70:71], v[72:73]
	s_delay_alu instid0(VALU_DEP_2) | instskip(NEXT) | instid1(VALU_DEP_2)
	v_add_f64_e32 v[18:19], v[18:19], v[4:5]
	v_add_f64_e32 v[20:21], v[20:21], v[42:43]
	s_or_b32 exec_lo, exec_lo, s36
	s_and_saveexec_b32 s36, s1
	s_cbranch_execz .LBB79_331
.LBB79_509:                             ;   in Loop: Header=BB79_3 Depth=1
	ds_load_b128 v[68:71], v50 offset:8544
	ds_load_b128 v[72:75], v58 offset:11648
	s_wait_dscnt 0x0
	v_mul_f64_e32 v[4:5], v[70:71], v[74:75]
	v_mul_f64_e32 v[42:43], v[68:69], v[74:75]
	s_delay_alu instid0(VALU_DEP_2) | instskip(NEXT) | instid1(VALU_DEP_2)
	v_fma_f64 v[4:5], v[68:69], v[72:73], -v[4:5]
	v_fmac_f64_e32 v[42:43], v[70:71], v[72:73]
	s_delay_alu instid0(VALU_DEP_2) | instskip(NEXT) | instid1(VALU_DEP_2)
	v_add_f64_e32 v[18:19], v[18:19], v[4:5]
	v_add_f64_e32 v[20:21], v[20:21], v[42:43]
	s_or_b32 exec_lo, exec_lo, s36
	s_and_saveexec_b32 s36, s11
	s_cbranch_execnz .LBB79_332
	s_branch .LBB79_333
.LBB79_510:                             ;   in Loop: Header=BB79_3 Depth=1
	ds_load_b128 v[68:71], v45 offset:12688
	ds_load_b128 v[72:75], v52 offset:13248
	s_wait_dscnt 0x0
	v_mul_f64_e32 v[4:5], v[70:71], v[74:75]
	v_mul_f64_e32 v[42:43], v[68:69], v[74:75]
	s_delay_alu instid0(VALU_DEP_2) | instskip(NEXT) | instid1(VALU_DEP_2)
	v_fma_f64 v[4:5], v[68:69], v[72:73], -v[4:5]
	v_fmac_f64_e32 v[42:43], v[70:71], v[72:73]
	s_delay_alu instid0(VALU_DEP_2) | instskip(NEXT) | instid1(VALU_DEP_2)
	v_add_f64_e32 v[18:19], v[18:19], v[4:5]
	v_add_f64_e32 v[20:21], v[20:21], v[42:43]
	s_or_b32 exec_lo, exec_lo, s36
	s_and_saveexec_b32 s36, s11
	s_cbranch_execz .LBB79_385
.LBB79_511:                             ;   in Loop: Header=BB79_3 Depth=1
	ds_load_b128 v[68:71], v45 offset:12704
	ds_load_b128 v[72:75], v51 offset:13760
	s_wait_dscnt 0x0
	v_mul_f64_e32 v[4:5], v[70:71], v[74:75]
	v_mul_f64_e32 v[42:43], v[68:69], v[74:75]
	s_delay_alu instid0(VALU_DEP_2) | instskip(NEXT) | instid1(VALU_DEP_2)
	v_fma_f64 v[4:5], v[68:69], v[72:73], -v[4:5]
	v_fmac_f64_e32 v[42:43], v[70:71], v[72:73]
	s_delay_alu instid0(VALU_DEP_2) | instskip(NEXT) | instid1(VALU_DEP_2)
	v_add_f64_e32 v[18:19], v[18:19], v[4:5]
	v_add_f64_e32 v[20:21], v[20:21], v[42:43]
	s_or_b32 exec_lo, exec_lo, s36
	s_and_saveexec_b32 s36, s0
	s_cbranch_execnz .LBB79_386
	s_branch .LBB79_387
.LBB79_512:
	s_endpgm
	.section	.rodata,"a",@progbits
	.p2align	6, 0x0
	.amdhsa_kernel _ZL19rocblas_trsv_deviceILi32ELi16ELb1ELb0ELb0ELb1E19rocblas_complex_numIdEPKS1_S3_PS1_EviT7_lllT6_T8_lllPii
		.amdhsa_group_segment_fixed_size 25104
		.amdhsa_private_segment_fixed_size 0
		.amdhsa_kernarg_size 352
		.amdhsa_user_sgpr_count 2
		.amdhsa_user_sgpr_dispatch_ptr 0
		.amdhsa_user_sgpr_queue_ptr 0
		.amdhsa_user_sgpr_kernarg_segment_ptr 1
		.amdhsa_user_sgpr_dispatch_id 0
		.amdhsa_user_sgpr_kernarg_preload_length 0
		.amdhsa_user_sgpr_kernarg_preload_offset 0
		.amdhsa_user_sgpr_private_segment_size 0
		.amdhsa_wavefront_size32 1
		.amdhsa_uses_dynamic_stack 0
		.amdhsa_enable_private_segment 0
		.amdhsa_system_sgpr_workgroup_id_x 1
		.amdhsa_system_sgpr_workgroup_id_y 0
		.amdhsa_system_sgpr_workgroup_id_z 1
		.amdhsa_system_sgpr_workgroup_info 0
		.amdhsa_system_vgpr_workitem_id 1
		.amdhsa_next_free_vgpr 77
		.amdhsa_next_free_sgpr 105
		.amdhsa_named_barrier_count 0
		.amdhsa_reserve_vcc 1
		.amdhsa_float_round_mode_32 0
		.amdhsa_float_round_mode_16_64 0
		.amdhsa_float_denorm_mode_32 3
		.amdhsa_float_denorm_mode_16_64 3
		.amdhsa_fp16_overflow 0
		.amdhsa_memory_ordered 1
		.amdhsa_forward_progress 1
		.amdhsa_inst_pref_size 139
		.amdhsa_round_robin_scheduling 0
		.amdhsa_exception_fp_ieee_invalid_op 0
		.amdhsa_exception_fp_denorm_src 0
		.amdhsa_exception_fp_ieee_div_zero 0
		.amdhsa_exception_fp_ieee_overflow 0
		.amdhsa_exception_fp_ieee_underflow 0
		.amdhsa_exception_fp_ieee_inexact 0
		.amdhsa_exception_int_div_zero 0
	.end_amdhsa_kernel
	.section	.text._ZL19rocblas_trsv_deviceILi32ELi16ELb1ELb0ELb0ELb1E19rocblas_complex_numIdEPKS1_S3_PS1_EviT7_lllT6_T8_lllPii,"axG",@progbits,_ZL19rocblas_trsv_deviceILi32ELi16ELb1ELb0ELb0ELb1E19rocblas_complex_numIdEPKS1_S3_PS1_EviT7_lllT6_T8_lllPii,comdat
.Lfunc_end79:
	.size	_ZL19rocblas_trsv_deviceILi32ELi16ELb1ELb0ELb0ELb1E19rocblas_complex_numIdEPKS1_S3_PS1_EviT7_lllT6_T8_lllPii, .Lfunc_end79-_ZL19rocblas_trsv_deviceILi32ELi16ELb1ELb0ELb0ELb1E19rocblas_complex_numIdEPKS1_S3_PS1_EviT7_lllT6_T8_lllPii
                                        ; -- End function
	.set _ZL19rocblas_trsv_deviceILi32ELi16ELb1ELb0ELb0ELb1E19rocblas_complex_numIdEPKS1_S3_PS1_EviT7_lllT6_T8_lllPii.num_vgpr, 77
	.set _ZL19rocblas_trsv_deviceILi32ELi16ELb1ELb0ELb0ELb1E19rocblas_complex_numIdEPKS1_S3_PS1_EviT7_lllT6_T8_lllPii.num_agpr, 0
	.set _ZL19rocblas_trsv_deviceILi32ELi16ELb1ELb0ELb0ELb1E19rocblas_complex_numIdEPKS1_S3_PS1_EviT7_lllT6_T8_lllPii.numbered_sgpr, 105
	.set _ZL19rocblas_trsv_deviceILi32ELi16ELb1ELb0ELb0ELb1E19rocblas_complex_numIdEPKS1_S3_PS1_EviT7_lllT6_T8_lllPii.num_named_barrier, 0
	.set _ZL19rocblas_trsv_deviceILi32ELi16ELb1ELb0ELb0ELb1E19rocblas_complex_numIdEPKS1_S3_PS1_EviT7_lllT6_T8_lllPii.private_seg_size, 0
	.set _ZL19rocblas_trsv_deviceILi32ELi16ELb1ELb0ELb0ELb1E19rocblas_complex_numIdEPKS1_S3_PS1_EviT7_lllT6_T8_lllPii.uses_vcc, 1
	.set _ZL19rocblas_trsv_deviceILi32ELi16ELb1ELb0ELb0ELb1E19rocblas_complex_numIdEPKS1_S3_PS1_EviT7_lllT6_T8_lllPii.uses_flat_scratch, 0
	.set _ZL19rocblas_trsv_deviceILi32ELi16ELb1ELb0ELb0ELb1E19rocblas_complex_numIdEPKS1_S3_PS1_EviT7_lllT6_T8_lllPii.has_dyn_sized_stack, 0
	.set _ZL19rocblas_trsv_deviceILi32ELi16ELb1ELb0ELb0ELb1E19rocblas_complex_numIdEPKS1_S3_PS1_EviT7_lllT6_T8_lllPii.has_recursion, 0
	.set _ZL19rocblas_trsv_deviceILi32ELi16ELb1ELb0ELb0ELb1E19rocblas_complex_numIdEPKS1_S3_PS1_EviT7_lllT6_T8_lllPii.has_indirect_call, 0
	.section	.AMDGPU.csdata,"",@progbits
; Kernel info:
; codeLenInByte = 17712
; TotalNumSgprs: 107
; NumVgprs: 77
; ScratchSize: 0
; MemoryBound: 1
; FloatMode: 240
; IeeeMode: 1
; LDSByteSize: 25104 bytes/workgroup (compile time only)
; SGPRBlocks: 0
; VGPRBlocks: 4
; NumSGPRsForWavesPerEU: 107
; NumVGPRsForWavesPerEU: 77
; NamedBarCnt: 0
; Occupancy: 12
; WaveLimiterHint : 0
; COMPUTE_PGM_RSRC2:SCRATCH_EN: 0
; COMPUTE_PGM_RSRC2:USER_SGPR: 2
; COMPUTE_PGM_RSRC2:TRAP_HANDLER: 0
; COMPUTE_PGM_RSRC2:TGID_X_EN: 1
; COMPUTE_PGM_RSRC2:TGID_Y_EN: 0
; COMPUTE_PGM_RSRC2:TGID_Z_EN: 1
; COMPUTE_PGM_RSRC2:TIDIG_COMP_CNT: 1
	.section	.text._ZL19rocblas_trsv_deviceILi32ELi16ELb1ELb1ELb0ELb1E19rocblas_complex_numIdEPKS1_S3_PS1_EviT7_lllT6_T8_lllPii,"axG",@progbits,_ZL19rocblas_trsv_deviceILi32ELi16ELb1ELb1ELb0ELb1E19rocblas_complex_numIdEPKS1_S3_PS1_EviT7_lllT6_T8_lllPii,comdat
	.globl	_ZL19rocblas_trsv_deviceILi32ELi16ELb1ELb1ELb0ELb1E19rocblas_complex_numIdEPKS1_S3_PS1_EviT7_lllT6_T8_lllPii ; -- Begin function _ZL19rocblas_trsv_deviceILi32ELi16ELb1ELb1ELb0ELb1E19rocblas_complex_numIdEPKS1_S3_PS1_EviT7_lllT6_T8_lllPii
	.p2align	8
	.type	_ZL19rocblas_trsv_deviceILi32ELi16ELb1ELb1ELb0ELb1E19rocblas_complex_numIdEPKS1_S3_PS1_EviT7_lllT6_T8_lllPii,@function
_ZL19rocblas_trsv_deviceILi32ELi16ELb1ELb1ELb0ELb1E19rocblas_complex_numIdEPKS1_S3_PS1_EviT7_lllT6_T8_lllPii: ; @_ZL19rocblas_trsv_deviceILi32ELi16ELb1ELb1ELb0ELb1E19rocblas_complex_numIdEPKS1_S3_PS1_EviT7_lllT6_T8_lllPii
; %bb.0:
	s_load_b32 s33, s[0:1], 0x58
	s_bfe_u32 s2, ttmp6, 0x40014
	s_lshr_b32 s3, ttmp7, 16
	s_add_co_i32 s2, s2, 1
	s_bfe_u32 s5, ttmp6, 0x40008
	s_mul_i32 s4, s3, s2
	s_getreg_b32 s2, hwreg(HW_REG_IB_STS2, 6, 4)
	s_add_co_i32 s5, s5, s4
	s_cmp_eq_u32 s2, 0
	s_mov_b32 s35, 0
	s_cselect_b32 s34, s3, s5
	s_wait_kmcnt 0x0
	s_cmp_ge_u32 s34, s33
	s_cbranch_scc1 .LBB80_542
; %bb.1:
	s_clause 0x3
	s_load_b512 s[36:51], s[0:1], 0x8
	s_load_b32 s3, s[0:1], 0x6c
	s_load_b32 s61, s[0:1], 0x60
	;; [unrolled: 1-line block ×3, first 2 shown]
	s_bfe_u32 s5, ttmp6, 0x4000c
	s_and_b32 s4, ttmp6, 15
	s_add_co_i32 s5, s5, 1
	s_load_b128 s[52:55], s[0:1], 0x48
	s_wait_xcnt 0x0
	s_mul_i32 s0, ttmp9, s5
	v_bfe_u32 v22, v0, 10, 10
	s_add_co_i32 s4, s4, s0
	v_and_b32_e32 v24, 0x3ff, v0
	v_mov_b32_e32 v2, 0
                                        ; implicit-def: $vgpr203 : SGPR spill to VGPR lane
	s_delay_alu instid0(VALU_DEP_3) | instskip(NEXT) | instid1(VALU_DEP_3)
	v_dual_add_nc_u32 v4, 16, v22 :: v_dual_lshlrev_b32 v40, 4, v22
	v_dual_lshlrev_b32 v38, 9, v24 :: v_dual_lshlrev_b32 v1, 5, v24
	s_delay_alu instid0(VALU_DEP_3)
	v_mov_b32_e32 v27, v2
	v_lshl_add_u32 v3, v22, 5, v24
	s_wait_kmcnt 0x0
	s_lshl_b64 s[10:11], s[38:39], 4
	s_lshl_b64 s[12:13], s[48:49], 4
	s_cmp_eq_u32 s2, 0
	v_dual_add_nc_u32 v5, v22, v1 :: v_dual_add_nc_u32 v1, v4, v1
	s_cselect_b32 s60, ttmp9, s4
	s_add_co_i32 s0, s56, -1
	s_ashr_i32 s57, s56, 31
	s_ashr_i32 s1, s0, 31
	s_and_b32 s2, s3, 0xffff
	s_lshr_b32 s3, s57, 27
	s_lshr_b32 s1, s1, 27
	s_add_co_i32 s3, s56, s3
	s_add_co_i32 s61, s61, -1
	s_add_co_i32 s0, s0, s1
	s_and_not1_b32 s3, s3, 31
	s_sub_co_i32 s97, s61, s60
	s_ashr_i32 s0, s0, 5
	s_sub_co_i32 s9, s56, s3
	s_cmp_eq_u32 s0, s97
	v_lshl_add_u32 v6, v4, 5, v24
	s_cselect_b32 s0, -1, 0
	s_cmp_lg_u32 s9, 0
	v_mad_u32_u24 v26, v22, s2, v24
	s_cselect_b32 s1, -1, 0
	v_dual_lshrrev_b32 v15, 1, v3 :: v_dual_bitop2_b32 v14, 15, v0 bitop3:0x40
	s_and_b32 s27, s1, s0
	s_add_nc_u64 s[0:1], s[40:41], 1
	s_xor_b32 s62, s27, -1
	s_cmp_lg_u32 s60, 0
	v_cmp_lt_u32_e64 s8, 2, v14
	s_cselect_b32 s63, -1, 0
	s_lshl_b32 s16, s97, 5
	s_cmp_lt_i32 s60, 5
	v_dual_add_nc_u32 v10, s16, v22 :: v_dual_add_nc_u32 v8, s16, v24
	s_cselect_b32 vcc_lo, -1, 0
	s_delay_alu instid0(SALU_CYCLE_1) | instskip(SKIP_3) | instid1(VALU_DEP_1)
	v_dual_cndmask_b32 v12, v3, v5, vcc_lo :: v_dual_bitop2_b32 v11, 1, v0 bitop3:0x40
	s_ashr_i32 s17, s16, 31
	s_or_b32 vcc_lo, vcc_lo, s27
	s_mul_u64 s[14:15], s[0:1], s[16:17]
	v_cmp_eq_u32_e64 s2, 1, v11
	v_dual_cndmask_b32 v13, v6, v1, vcc_lo :: v_dual_bitop2_b32 v1, 3, v0 bitop3:0x40
	s_xor_b32 s64, vcc_lo, -1
	v_cmp_gt_u32_e64 s0, 4, v3
	v_cmp_eq_u32_e64 s1, 0, v22
	v_cmp_gt_u32_e32 vcc_lo, 2, v24
	s_xor_b32 s3, s2, -1
	v_cmp_eq_u32_e64 s4, 1, v1
	s_and_b32 s65, s3, s0
	s_and_b32 s66, s2, s0
	v_cmp_gt_u32_e64 s2, 16, v3
	v_cmp_eq_u32_e64 s3, 0, v1
	s_and_b32 s67, s1, vcc_lo
	v_cmp_ne_u32_e32 vcc_lo, 0, v1
	v_dual_add_nc_u32 v28, 32, v10 :: v_dual_bitop2_b32 v5, 7, v0 bitop3:0x40
	s_and_b32 s68, s3, s2
	v_cmp_eq_u32_e64 s3, 2, v1
	s_and_b32 s69, vcc_lo, s2
	s_and_b32 s70, s4, s2
	v_cmp_eq_u32_e32 vcc_lo, 3, v1
	v_cmp_gt_u32_e64 s4, 4, v24
	v_cmp_lt_u32_e64 s5, 1, v1
	s_and_b32 s72, s3, s2
	v_cmp_gt_u32_e64 s3, 64, v3
	s_and_b32 s73, vcc_lo, s2
	s_and_b32 s74, s1, s4
	v_cmp_eq_u32_e32 vcc_lo, 0, v5
	v_cmp_ne_u32_e64 s4, 0, v5
	s_and_b32 s71, s5, s2
	v_cmp_eq_u32_e64 s5, 1, v5
	v_cmp_lt_u32_e64 s6, 1, v5
	s_and_b32 s75, vcc_lo, s3
	s_and_b32 s76, s4, s3
	v_cmp_lt_u32_e32 vcc_lo, 2, v5
	v_cmp_eq_u32_e64 s4, 3, v5
	s_and_b32 s77, s5, s3
	s_and_b32 s78, s6, s3
	v_cmp_lt_u32_e64 s5, 3, v5
	v_cmp_eq_u32_e64 s6, 4, v5
	s_and_b32 s80, vcc_lo, s3
	s_and_b32 s81, s4, s3
	v_cmp_eq_u32_e32 vcc_lo, 5, v5
	v_cmp_lt_u32_e64 s4, 5, v5
	s_and_b32 s82, s5, s3
	s_and_b32 s83, s6, s3
	v_cmp_eq_u32_e64 s5, 6, v5
	v_cmp_eq_u32_e64 s6, 7, v5
	s_and_b32 s85, vcc_lo, s3
	s_and_b32 s86, s4, s3
	v_cmp_gt_u32_e64 s4, 0x100, v3
	v_cmp_eq_u32_e32 vcc_lo, 0, v14
	v_cmp_eq_u32_e64 s7, 2, v5
	s_and_b32 s87, s5, s3
	s_and_b32 s88, s6, s3
	v_cmp_ne_u32_e64 s5, 0, v14
	s_and_b32 s6, vcc_lo, s4
	s_and_b32 s79, s7, s3
	v_writelane_b32 v203, s6, 0
	v_cmp_lt_u32_e64 s7, 4, v5
	v_cmp_eq_u32_e32 vcc_lo, 1, v14
	s_and_b32 s5, s5, s4
	v_cmp_lt_u32_e64 s6, 1, v14
	v_writelane_b32 v203, s5, 1
	s_and_b32 s84, s7, s3
	v_cmp_gt_u32_e64 s7, 8, v24
	s_and_b32 s5, vcc_lo, s4
	v_cmp_eq_u32_e32 vcc_lo, 3, v14
	v_writelane_b32 v203, s5, 2
	s_and_b32 s5, s6, s4
	s_and_b32 s89, s1, s7
	v_cmp_eq_u32_e64 s7, 2, v14
	s_and_b32 s18, vcc_lo, s4
	v_writelane_b32 v203, s5, 3
	v_cmp_eq_u32_e64 s6, 4, v14
	v_cmp_lt_u32_e32 vcc_lo, 5, v14
	s_and_b32 s5, s7, s4
	v_cmp_lt_u32_e64 s7, 4, v14
	v_writelane_b32 v203, s5, 4
	s_and_b32 s5, s8, s4
	v_cmp_eq_u32_e64 s8, 5, v14
	v_add_nc_u64_e32 v[6:7], s[16:17], v[26:27]
	v_dual_lshlrev_b32 v25, 4, v24 :: v_dual_lshrrev_b32 v17, 2, v3
	v_writelane_b32 v203, s5, 5
	v_cmp_lt_u32_e64 s5, 3, v14
	v_dual_lshlrev_b32 v29, 5, v3 :: v_dual_lshlrev_b32 v59, 4, v14
	s_delay_alu instid0(VALU_DEP_4)
	v_mad_u32_u24 v16, 0x1f0, v24, v25
	v_writelane_b32 v203, s18, 6
	s_and_b32 s5, s5, s4
	s_and_b32 s18, vcc_lo, s4
	v_cmp_eq_u32_e32 vcc_lo, 8, v14
	v_mad_i32_i24 v44, 0xfffffe10, v24, v16
	v_writelane_b32 v203, s5, 7
	s_and_b32 s5, s6, s4
	v_cmp_lt_u32_e64 s6, 6, v14
	v_dual_ashrrev_i32 v9, 31, v8 :: v_dual_lshrrev_b32 v19, 3, v3
	v_writelane_b32 v203, s5, 8
	s_and_b32 s5, s7, s4
	v_cmp_eq_u32_e64 s7, 7, v14
	v_mad_u32_u24 v23, 0x1f0, v24, v44
	v_dual_lshrrev_b32 v18, 10, v0 :: v_dual_lshlrev_b32 v20, 4, v17
	v_writelane_b32 v203, s5, 9
	s_and_b32 s5, s8, s4
	v_cmp_lt_u32_e64 s8, 7, v14
	v_mad_i32_i24 v71, 0xfffffe10, v24, v23
	v_mul_u32_u24_e32 v45, 0x210, v17
	v_writelane_b32 v203, s5, 10
	v_cmp_eq_u32_e64 s5, 6, v14
	v_dual_lshlrev_b32 v21, 4, v19 :: v_dual_add_nc_u32 v47, 32, v16
	v_mul_u32_u24_e32 v46, 0x210, v19
	v_writelane_b32 v203, s18, 11
	s_and_b32 s5, s5, s4
	s_and_b32 s18, vcc_lo, s4
	v_cmp_lt_u32_e32 vcc_lo, 10, v14
	v_and_b32_e32 v58, 0xfffffe00, v29
	v_writelane_b32 v203, s5, 12
	s_and_b32 s5, s6, s4
	v_cmp_eq_u32_e64 s6, 9, v14
	s_and_b32 s23, vcc_lo, s4
	v_cmp_eq_u32_e32 vcc_lo, 13, v14
	v_writelane_b32 v203, s5, 13
	s_and_b32 s5, s7, s4
	v_cmp_lt_u32_e64 s7, 9, v14
	s_and_b32 s20, s6, s4
	v_cmp_lt_u32_e64 s6, 11, v14
	v_writelane_b32 v203, s5, 14
	s_and_b32 s5, s8, s4
	v_cmp_eq_u32_e64 s8, 10, v14
	s_and_b32 s21, s7, s4
	v_cmp_eq_u32_e64 s7, 12, v14
	v_writelane_b32 v203, s5, 15
	v_cmp_lt_u32_e64 s5, 8, v14
	s_and_b32 s22, s8, s4
	v_cmp_lt_u32_e64 s8, 12, v14
	s_and_b32 s16, s7, s4
	v_cmp_le_i32_e64 s7, s9, v24
	s_and_b32 s19, s5, s4
	v_cmp_eq_u32_e64 s5, 11, v14
	s_and_b32 s26, vcc_lo, s4
	v_cmp_eq_u32_e32 vcc_lo, 15, v14
	s_and_b32 s25, s6, s4
	v_cmp_eq_u32_e64 s6, 14, v14
	s_and_b32 s24, s5, s4
	v_cmp_lt_u32_e64 s5, 13, v14
	s_and_b32 s17, s8, s4
	v_cmp_gt_u32_e64 s8, 16, v24
	s_and_b32 s93, s7, s27
	s_and_b32 s92, vcc_lo, s4
	s_and_b32 s90, s5, s4
	s_xor_b32 s5, s93, -1
	v_cmp_le_i32_e32 vcc_lo, s9, v22
	s_and_b32 s91, s6, s4
	s_and_b32 s94, s1, s8
	;; [unrolled: 1-line block ×3, first 2 shown]
	s_cmp_gt_i32 s60, 0
	v_writelane_b32 v203, s18, 16
	s_cselect_b32 s96, -1, 0
	s_or_b32 s8, vcc_lo, s7
	v_cmp_le_i32_e32 vcc_lo, s9, v4
	v_cmp_gt_u32_e64 s18, 0xf0, v3
	v_mad_u32_u24 v14, 0x1f0, v24, v71
	v_dual_add_nc_u32 v48, 48, v16 :: v_dual_sub_nc_u32 v35, v46, v21
	s_or_b32 s27, vcc_lo, s7
	v_cmp_gt_i32_e32 vcc_lo, s9, v24
	s_delay_alu instid0(VALU_DEP_3) | instskip(SKIP_3) | instid1(VALU_DEP_3)
	v_mad_i32_i24 v82, 0xfffffe10, v24, v14
	v_dual_sub_nc_u32 v34, v45, v20 :: v_dual_add_nc_u32 v49, 64, v23
	v_add_nc_u32_e32 v50, 0x80, v16
	s_and_b32 s5, s1, vcc_lo
	v_mad_u32_u24 v36, 0x1f0, v24, v82
	v_writelane_b32 v203, s5, 17
	v_add_nc_u32_e32 v52, 0xa0, v16
	v_add_nc_u32_e32 v69, 0x70, v23
	;; [unrolled: 1-line block ×4, first 2 shown]
	v_writelane_b32 v203, s18, 18
	v_cmp_gt_u32_e64 s18, 0xe0, v3
	v_add_nc_u32_e32 v73, 0x10a0, v23
	v_add_nc_u32_e32 v74, 0x10b0, v23
	;; [unrolled: 1-line block ×4, first 2 shown]
	v_writelane_b32 v203, s18, 19
	v_cmp_gt_u32_e64 s18, 0xd0, v3
	v_add_nc_u32_e32 v77, 0x2160, v23
	v_add_nc_u32_e32 v78, 0x2150, v23
	v_add_nc_u32_e32 v79, 0x31a0, v23
	v_mad_i32_i24 v37, 0xfffffe10, v24, v36
	v_writelane_b32 v203, s18, 20
	v_cmp_gt_u32_e64 s18, 0xc0, v3
	v_dual_lshlrev_b32 v181, 4, v1 :: v_dual_bitop2_b32 v154, v58, v59 bitop3:0x54
	v_bitop3_b32 v18, v0, v18, 0x3ff bitop3:0xa8
	v_dual_lshlrev_b32 v0, 4, v11 :: v_dual_lshlrev_b32 v184, 4, v5
	v_dual_mov_b32 v5, v2 :: v_dual_add_nc_u32 v192, 0x31b0, v23
	v_mov_b32_e32 v23, v2
	v_writelane_b32 v203, s18, 21
	v_cmp_gt_u32_e64 s18, 0xb0, v3
	v_add_nc_u32_e32 v92, 0x18e0, v36
	v_add_nc_u32_e32 v93, 0x18f0, v36
	;; [unrolled: 1-line block ×6, first 2 shown]
	v_mul_u64_e32 v[30:31], s[40:41], v[8:9]
	v_mul_u64_e32 v[32:33], s[50:51], v[8:9]
	v_lshl_or_b32 v182, v15, 9, v0
	v_dual_add_nc_u32 v187, v34, v181 :: v_dual_add_nc_u32 v190, v35, v184
	v_add_nc_u32_e32 v194, 0x39f0, v36
	v_add_nc_u32_e32 v195, 0x3fc0, v37
	v_mul_u64_e32 v[0:1], s[50:51], v[6:7]
	v_mul_u64_e32 v[34:35], s[40:41], v[4:5]
	;; [unrolled: 1-line block ×3, first 2 shown]
	v_writelane_b32 v203, s18, 22
	v_cmp_gt_u32_e64 s18, 0xa0, v3
	v_dual_add_nc_u32 v196, v38, v40 :: v_dual_add_nc_u32 v10, 48, v10
	v_cmp_gt_i32_e64 s5, s56, v8
	v_cmp_gt_i32_e32 vcc_lo, s56, v28
	s_delay_alu instid0(VALU_DEP_4)
	v_writelane_b32 v203, s18, 23
	v_cmp_gt_u32_e64 s18, 0x90, v3
	v_mad_i32_i24 v39, 0xfffffe10, v24, v38
	v_add_nc_u32_e32 v113, 0x6000, v40
	v_or_b32_e32 v9, v4, v24
	v_dual_ashrrev_i32 v29, 31, v28 :: v_dual_bitop2_b32 v148, -16, v3 bitop3:0x40
	v_writelane_b32 v203, s18, 24
	v_cmp_gt_u32_e64 s18, 0x80, v3
	v_cmp_le_u32_e64 s6, v24, v22
	v_cmp_le_u32_e64 s7, v24, v4
	s_and_b32 s98, vcc_lo, s5
	v_cmp_gt_i32_e32 vcc_lo, s56, v10
	v_writelane_b32 v203, s18, 25
	v_cmp_gt_u32_e64 s18, 0x70, v3
	v_lshl_add_u32 v27, v15, 4, 0x4000
	v_add_nc_u32_e32 v51, 0x90, v16
	v_add_nc_u32_e32 v53, 0xb0, v16
	;; [unrolled: 1-line block ×3, first 2 shown]
	v_writelane_b32 v203, s18, 26
	v_cmp_gt_u32_e64 s18, 0x60, v3
	v_add_nc_u32_e32 v55, 0xd0, v16
	v_add_nc_u32_e32 v56, 0xe0, v16
	;; [unrolled: 1-line block ×23, first 2 shown]
	v_or_b32_e32 v98, 0x100, v38
	v_or_b32_e32 v99, 0x110, v38
	;; [unrolled: 1-line block ×15, first 2 shown]
	v_add_nc_u32_e32 v114, 0x2000, v39
	v_add_nc_u32_e32 v115, 0x2200, v39
	;; [unrolled: 1-line block ×61, first 2 shown]
	v_lshl_add_u32 v177, v26, 4, 0x6000
	v_lshl_add_u32 v178, v3, 4, 0x4000
	v_add_nc_u32_e32 v179, 0x4000, v25
	v_add_nc_u32_e32 v180, v113, v25
	s_add_nc_u64 s[48:49], s[36:37], s[10:11]
	s_add_nc_u64 s[46:47], s[46:47], s[12:13]
	v_mul_u32_u24_e32 v183, 0x210, v15
	v_add_nc_u32_e32 v185, 0x4000, v20
	v_lshl_or_b32 v186, v17, 9, v181
	v_add_nc_u32_e32 v188, 0x4000, v21
	v_lshl_or_b32 v189, v19, 9, v184
	v_add_nc_u32_e32 v191, 0x21f0, v16
	v_add_nc_u32_e32 v193, 0x31d0, v14
	v_or_b32_e32 v197, 0x1f0, v38
	v_lshl_add_u32 v198, v22, 9, v39
	v_dual_lshlrev_b32 v199, 4, v12 :: v_dual_lshlrev_b32 v200, 4, v13
	v_add_nc_u32_e32 v201, 0x3c00, v25
	s_or_b32 s100, s8, s6
	v_subrev_nc_u32_e32 v202, 31, v24
	s_or_b32 s101, s27, s7
	s_lshl_b64 s[40:41], s[14:15], 4
	v_lshlrev_b32_e32 v38, 4, v24
	v_cmp_gt_u32_e64 s8, 2, v3
	v_cmp_gt_u32_e64 s9, 12, v3
	;; [unrolled: 1-line block ×8, first 2 shown]
	v_writelane_b32 v203, s18, 27
	v_cmp_gt_u32_e64 s18, 0x50, v3
	v_cmp_eq_u32_e64 s27, 0, v18
	v_cmp_gt_u32_e64 s28, 32, v18
	v_cmp_gt_u32_e64 s29, 32, v9
	v_cmp_eq_u32_e64 s30, 0, v26
	v_cmp_gt_u32_e64 s31, 32, v26
	s_add_co_i32 s97, s97, 1
	s_and_b32 s99, vcc_lo, s5
	s_mov_b32 s37, 0x3ff00000
                                        ; implicit-def: $vgpr6_vgpr7
                                        ; implicit-def: $vgpr10_vgpr11
	v_writelane_b32 v203, s18, 28
	s_branch .LBB80_3
.LBB80_2:                               ;   in Loop: Header=BB80_3 Depth=1
	s_wait_xcnt 0x0
	s_or_b32 exec_lo, exec_lo, s36
	s_add_co_i32 s34, s34, 0x10000
	global_wb scope:SCOPE_DEV
	s_wait_storecnt 0x0
	global_inv scope:SCOPE_DEV
	s_cmp_lt_u32 s34, s33
	s_cbranch_scc0 .LBB80_542
.LBB80_3:                               ; =>This Loop Header: Depth=1
                                        ;     Child Loop BB80_453 Depth 2
                                        ;       Child Loop BB80_455 Depth 3
                                        ;     Child Loop BB80_486 Depth 2
	global_load_b128 v[14:17], v2, s[44:45]
	s_mul_u64 s[38:39], s[42:43], s[34:35]
	s_and_not1_b32 vcc_lo, exec_lo, s63
	s_lshl_b64 s[38:39], s[38:39], 4
	s_delay_alu instid0(SALU_CYCLE_1) | instskip(NEXT) | instid1(SALU_CYCLE_1)
	s_add_nc_u64 s[38:39], s[48:49], s[38:39]
	v_lshl_add_u64 v[40:41], v[30:31], 4, s[38:39]
	s_cbranch_vccnz .LBB80_9
; %bb.4:                                ;   in Loop: Header=BB80_3 Depth=1
	v_mov_b64_e32 v[12:13], 0
	v_mov_b64_e32 v[6:7], 0
	;; [unrolled: 1-line block ×3, first 2 shown]
	v_lshl_add_u64 v[4:5], v[28:29], 4, v[40:41]
	s_wait_loadcnt 0x0
	s_barrier_signal -1
	s_barrier_wait -1
	s_wait_xcnt 0x0
	s_and_saveexec_b32 s36, s98
	s_cbranch_execz .LBB80_6
; %bb.5:                                ;   in Loop: Header=BB80_3 Depth=1
	global_load_b128 v[6:9], v[4:5], off
.LBB80_6:                               ;   in Loop: Header=BB80_3 Depth=1
	s_wait_xcnt 0x0
	s_or_b32 exec_lo, exec_lo, s36
	v_mov_b64_e32 v[10:11], 0
	s_wait_loadcnt 0x0
	s_barrier_signal -1
	s_barrier_wait -1
	s_and_saveexec_b32 s36, s99
	s_cbranch_execz .LBB80_8
; %bb.7:                                ;   in Loop: Header=BB80_3 Depth=1
	global_load_b128 v[10:13], v[4:5], off offset:256
.LBB80_8:                               ;   in Loop: Header=BB80_3 Depth=1
	s_wait_xcnt 0x0
	s_or_b32 exec_lo, exec_lo, s36
.LBB80_9:                               ;   in Loop: Header=BB80_3 Depth=1
	v_mov_b32_e32 v39, v2
	s_add_nc_u64 s[38:39], s[38:39], s[40:41]
	s_and_not1_b32 vcc_lo, exec_lo, s62
	s_mov_b32 s36, -1
	s_delay_alu instid0(VALU_DEP_1)
	v_add_nc_u64_e32 v[18:19], s[38:39], v[38:39]
	s_cbranch_vccnz .LBB80_16
; %bb.10:                               ;   in Loop: Header=BB80_3 Depth=1
	s_wait_xcnt 0x0
	s_and_saveexec_b32 s36, s6
	s_delay_alu instid0(SALU_CYCLE_1)
	s_xor_b32 s36, exec_lo, s36
	s_cbranch_execnz .LBB80_500
; %bb.11:                               ;   in Loop: Header=BB80_3 Depth=1
	s_and_not1_saveexec_b32 s36, s36
	s_cbranch_execnz .LBB80_503
.LBB80_12:                              ;   in Loop: Header=BB80_3 Depth=1
	s_or_b32 exec_lo, exec_lo, s36
	s_and_saveexec_b32 s36, s7
	s_delay_alu instid0(SALU_CYCLE_1)
	s_xor_b32 s36, exec_lo, s36
	s_cbranch_execnz .LBB80_504
.LBB80_13:                              ;   in Loop: Header=BB80_3 Depth=1
	s_and_not1_saveexec_b32 s36, s36
	s_cbranch_execz .LBB80_15
.LBB80_14:                              ;   in Loop: Header=BB80_3 Depth=1
	v_lshl_add_u64 v[4:5], v[34:35], 4, v[18:19]
	global_load_b128 v[204:207], v[4:5], off
	s_wait_loadcnt 0x0
	v_xor_b32_e32 v205, 0x80000000, v205
	v_xor_b32_e32 v207, 0x80000000, v207
	ds_store_b128 v200, v[204:207]
.LBB80_15:                              ;   in Loop: Header=BB80_3 Depth=1
	s_or_b32 exec_lo, exec_lo, s36
	s_mov_b32 s36, 0
.LBB80_16:                              ;   in Loop: Header=BB80_3 Depth=1
	s_delay_alu instid0(SALU_CYCLE_1)
	s_and_b32 vcc_lo, exec_lo, s36
	s_cbranch_vccz .LBB80_23
; %bb.17:                               ;   in Loop: Header=BB80_3 Depth=1
	s_wait_xcnt 0x0
	s_and_saveexec_b32 s36, s100
	s_delay_alu instid0(SALU_CYCLE_1)
	s_xor_b32 s36, exec_lo, s36
	s_cbranch_execnz .LBB80_507
; %bb.18:                               ;   in Loop: Header=BB80_3 Depth=1
	s_and_not1_saveexec_b32 s36, s36
	s_cbranch_execnz .LBB80_510
.LBB80_19:                              ;   in Loop: Header=BB80_3 Depth=1
	s_or_b32 exec_lo, exec_lo, s36
	s_and_saveexec_b32 s36, s101
	s_delay_alu instid0(SALU_CYCLE_1)
	s_xor_b32 s36, exec_lo, s36
	s_cbranch_execnz .LBB80_511
.LBB80_20:                              ;   in Loop: Header=BB80_3 Depth=1
	s_and_not1_saveexec_b32 s36, s36
	s_cbranch_execz .LBB80_22
.LBB80_21:                              ;   in Loop: Header=BB80_3 Depth=1
	v_lshl_add_u64 v[4:5], v[34:35], 4, v[18:19]
	global_load_b128 v[18:21], v[4:5], off
	s_wait_loadcnt 0x0
	v_xor_b32_e32 v19, 0x80000000, v19
	v_xor_b32_e32 v21, 0x80000000, v21
	ds_store_b128 v200, v[18:21]
.LBB80_22:                              ;   in Loop: Header=BB80_3 Depth=1
	s_or_b32 exec_lo, exec_lo, s36
.LBB80_23:                              ;   in Loop: Header=BB80_3 Depth=1
	s_delay_alu instid0(SALU_CYCLE_1)
	s_and_not1_b32 vcc_lo, exec_lo, s64
	s_wait_loadcnt_dscnt 0x0
	s_barrier_signal -1
	s_barrier_wait -1
	s_cbranch_vccnz .LBB80_447
; %bb.24:                               ;   in Loop: Header=BB80_3 Depth=1
	s_and_saveexec_b32 s58, s27
	s_cbranch_execz .LBB80_26
; %bb.25:                               ;   in Loop: Header=BB80_3 Depth=1
	s_mov_b32 s36, s35
	s_mov_b32 s38, s35
	s_mov_b32 s39, s35
	v_mov_b64_e32 v[18:19], s[36:37]
	v_mov_b64_e32 v[20:21], s[38:39]
	ds_store_b128 v2, v[18:21]
	ds_store_b128 v2, v[18:21] offset:528
	ds_load_b128 v[18:21], v2 offset:16
	s_wait_dscnt 0x0
	ds_store_b128 v2, v[18:21] offset:512
.LBB80_26:                              ;   in Loop: Header=BB80_3 Depth=1
	s_or_b32 exec_lo, exec_lo, s58
	v_mov_b64_e32 v[20:21], 0
	v_mov_b64_e32 v[18:19], 0
	s_wait_dscnt 0x0
	s_barrier_signal -1
	s_barrier_wait -1
	s_and_saveexec_b32 s36, s0
	s_cbranch_execz .LBB80_30
; %bb.27:                               ;   in Loop: Header=BB80_3 Depth=1
	ds_load_b128 v[18:21], v183
	ds_load_b128 v[204:207], v182 offset:32
	s_wait_dscnt 0x0
	v_mul_f64_e32 v[4:5], v[20:21], v[206:207]
	v_mul_f64_e32 v[42:43], v[18:19], v[206:207]
	s_delay_alu instid0(VALU_DEP_2) | instskip(NEXT) | instid1(VALU_DEP_2)
	v_fma_f64 v[4:5], v[18:19], v[204:205], -v[4:5]
	v_fmac_f64_e32 v[42:43], v[20:21], v[204:205]
	s_delay_alu instid0(VALU_DEP_2) | instskip(NEXT) | instid1(VALU_DEP_2)
	v_add_f64_e32 v[18:19], 0, v[4:5]
	v_add_f64_e32 v[20:21], 0, v[42:43]
	s_and_saveexec_b32 s38, s8
	s_cbranch_execz .LBB80_29
; %bb.28:                               ;   in Loop: Header=BB80_3 Depth=1
	ds_load_b128 v[204:207], v2 offset:16
	ds_load_b128 v[208:211], v25 offset:544
	s_wait_dscnt 0x0
	v_mul_f64_e32 v[4:5], v[206:207], v[210:211]
	v_mul_f64_e32 v[42:43], v[204:205], v[210:211]
	s_delay_alu instid0(VALU_DEP_2) | instskip(NEXT) | instid1(VALU_DEP_2)
	v_fma_f64 v[4:5], v[204:205], v[208:209], -v[4:5]
	v_fmac_f64_e32 v[42:43], v[206:207], v[208:209]
	s_delay_alu instid0(VALU_DEP_2) | instskip(NEXT) | instid1(VALU_DEP_2)
	v_add_f64_e32 v[18:19], v[18:19], v[4:5]
	v_add_f64_e32 v[20:21], v[20:21], v[42:43]
.LBB80_29:                              ;   in Loop: Header=BB80_3 Depth=1
	s_or_b32 exec_lo, exec_lo, s38
	s_delay_alu instid0(VALU_DEP_2) | instskip(NEXT) | instid1(VALU_DEP_2)
	v_xor_b32_e32 v19, 0x80000000, v19
	v_xor_b32_e32 v21, 0x80000000, v21
.LBB80_30:                              ;   in Loop: Header=BB80_3 Depth=1
	s_or_b32 exec_lo, exec_lo, s36
	s_and_saveexec_b32 s36, s65
; %bb.31:                               ;   in Loop: Header=BB80_3 Depth=1
	ds_store_b128 v27, v[18:21]
; %bb.32:                               ;   in Loop: Header=BB80_3 Depth=1
	s_or_b32 exec_lo, exec_lo, s36
	s_wait_dscnt 0x0
	s_barrier_signal -1
	s_barrier_wait -1
	s_and_saveexec_b32 s36, s66
	s_cbranch_execz .LBB80_34
; %bb.33:                               ;   in Loop: Header=BB80_3 Depth=1
	ds_load_b128 v[204:207], v27
	ds_load_b128 v[208:211], v2 offset:1072
	s_wait_dscnt 0x0
	v_mul_f64_e32 v[4:5], v[206:207], v[210:211]
	v_mul_f64_e32 v[42:43], v[204:205], v[210:211]
	s_delay_alu instid0(VALU_DEP_2) | instskip(NEXT) | instid1(VALU_DEP_2)
	v_fma_f64 v[4:5], v[204:205], v[208:209], -v[4:5]
	v_fmac_f64_e32 v[42:43], v[206:207], v[208:209]
	s_delay_alu instid0(VALU_DEP_2) | instskip(NEXT) | instid1(VALU_DEP_2)
	v_add_f64_e32 v[18:19], v[18:19], v[4:5]
	v_add_f64_e32 v[20:21], v[20:21], v[42:43]
.LBB80_34:                              ;   in Loop: Header=BB80_3 Depth=1
	s_or_b32 exec_lo, exec_lo, s36
	s_barrier_signal -1
	s_barrier_wait -1
	s_and_saveexec_b32 s36, s66
; %bb.35:                               ;   in Loop: Header=BB80_3 Depth=1
	ds_store_b128 v27, v[18:21]
; %bb.36:                               ;   in Loop: Header=BB80_3 Depth=1
	s_or_b32 exec_lo, exec_lo, s36
	s_wait_dscnt 0x0
	s_barrier_signal -1
	s_barrier_wait -1
	s_barrier_signal -1
	s_barrier_wait -1
	s_and_saveexec_b32 s36, s0
; %bb.37:                               ;   in Loop: Header=BB80_3 Depth=1
	v_xor_b32_e32 v19, 0x80000000, v19
	v_xor_b32_e32 v21, 0x80000000, v21
	ds_store_b128 v182, v[18:21] offset:32
; %bb.38:                               ;   in Loop: Header=BB80_3 Depth=1
	s_or_b32 exec_lo, exec_lo, s36
	s_wait_dscnt 0x0
	s_barrier_signal -1
	s_barrier_wait -1
	s_barrier_signal -1
	s_barrier_wait -1
	s_and_saveexec_b32 s36, s67
	s_cbranch_execz .LBB80_40
; %bb.39:                               ;   in Loop: Header=BB80_3 Depth=1
	ds_load_b128 v[18:21], v47
	s_wait_dscnt 0x0
	ds_store_b128 v130, v[18:21]
	ds_load_b128 v[18:21], v48
	s_wait_dscnt 0x0
	ds_store_b128 v131, v[18:21]
.LBB80_40:                              ;   in Loop: Header=BB80_3 Depth=1
	s_or_b32 exec_lo, exec_lo, s36
	s_wait_dscnt 0x0
	s_barrier_signal -1
	s_barrier_wait -1
	s_and_saveexec_b32 s58, s27
	s_cbranch_execz .LBB80_42
; %bb.41:                               ;   in Loop: Header=BB80_3 Depth=1
	s_mov_b32 s36, s35
	s_mov_b32 s38, s35
	;; [unrolled: 1-line block ×3, first 2 shown]
	v_mov_b64_e32 v[18:19], s[36:37]
	v_mov_b64_e32 v[20:21], s[38:39]
	ds_store_b128 v2, v[18:21] offset:1056
	ds_store_b128 v2, v[18:21] offset:1584
	ds_load_b128 v[18:21], v2 offset:1072
	s_wait_dscnt 0x0
	ds_store_b128 v2, v[18:21] offset:1568
.LBB80_42:                              ;   in Loop: Header=BB80_3 Depth=1
	s_or_b32 exec_lo, exec_lo, s58
	v_mov_b64_e32 v[20:21], 0
	v_mov_b64_e32 v[18:19], 0
	s_wait_dscnt 0x0
	s_barrier_signal -1
	s_barrier_wait -1
	s_and_saveexec_b32 s36, s2
	s_cbranch_execz .LBB80_48
; %bb.43:                               ;   in Loop: Header=BB80_3 Depth=1
	ds_load_b128 v[18:21], v45
	ds_load_b128 v[204:207], v186 offset:64
	s_wait_dscnt 0x0
	v_mul_f64_e32 v[4:5], v[20:21], v[206:207]
	v_mul_f64_e32 v[42:43], v[18:19], v[206:207]
	s_delay_alu instid0(VALU_DEP_2) | instskip(NEXT) | instid1(VALU_DEP_2)
	v_fma_f64 v[4:5], v[18:19], v[204:205], -v[4:5]
	v_fmac_f64_e32 v[42:43], v[20:21], v[204:205]
	s_delay_alu instid0(VALU_DEP_2) | instskip(NEXT) | instid1(VALU_DEP_2)
	v_add_f64_e32 v[18:19], 0, v[4:5]
	v_add_f64_e32 v[20:21], 0, v[42:43]
	s_and_saveexec_b32 s38, s9
	s_cbranch_execnz .LBB80_518
; %bb.44:                               ;   in Loop: Header=BB80_3 Depth=1
	s_or_b32 exec_lo, exec_lo, s38
	s_and_saveexec_b32 s38, s10
	s_cbranch_execnz .LBB80_519
.LBB80_45:                              ;   in Loop: Header=BB80_3 Depth=1
	s_or_b32 exec_lo, exec_lo, s38
	s_and_saveexec_b32 s38, s0
	s_cbranch_execz .LBB80_47
.LBB80_46:                              ;   in Loop: Header=BB80_3 Depth=1
	ds_load_b128 v[204:207], v2 offset:48
	ds_load_b128 v[208:211], v44 offset:1600
	s_wait_dscnt 0x0
	v_mul_f64_e32 v[4:5], v[206:207], v[210:211]
	v_mul_f64_e32 v[42:43], v[204:205], v[210:211]
	s_delay_alu instid0(VALU_DEP_2) | instskip(NEXT) | instid1(VALU_DEP_2)
	v_fma_f64 v[4:5], v[204:205], v[208:209], -v[4:5]
	v_fmac_f64_e32 v[42:43], v[206:207], v[208:209]
	s_delay_alu instid0(VALU_DEP_2) | instskip(NEXT) | instid1(VALU_DEP_2)
	v_add_f64_e32 v[18:19], v[18:19], v[4:5]
	v_add_f64_e32 v[20:21], v[20:21], v[42:43]
.LBB80_47:                              ;   in Loop: Header=BB80_3 Depth=1
	s_or_b32 exec_lo, exec_lo, s38
	s_delay_alu instid0(VALU_DEP_2) | instskip(NEXT) | instid1(VALU_DEP_2)
	v_xor_b32_e32 v19, 0x80000000, v19
	v_xor_b32_e32 v21, 0x80000000, v21
.LBB80_48:                              ;   in Loop: Header=BB80_3 Depth=1
	s_or_b32 exec_lo, exec_lo, s36
	s_and_saveexec_b32 s36, s68
; %bb.49:                               ;   in Loop: Header=BB80_3 Depth=1
	ds_store_b128 v185, v[18:21]
; %bb.50:                               ;   in Loop: Header=BB80_3 Depth=1
	s_or_b32 exec_lo, exec_lo, s36
	s_wait_dscnt 0x0
	s_barrier_signal -1
	s_barrier_wait -1
	s_and_saveexec_b32 s36, s69
	s_cbranch_execz .LBB80_52
; %bb.51:                               ;   in Loop: Header=BB80_3 Depth=1
	ds_load_b128 v[204:207], v185
	ds_load_b128 v[208:211], v181 offset:2112
	s_wait_dscnt 0x0
	v_mul_f64_e32 v[4:5], v[206:207], v[210:211]
	v_mul_f64_e32 v[42:43], v[204:205], v[210:211]
	s_delay_alu instid0(VALU_DEP_2) | instskip(NEXT) | instid1(VALU_DEP_2)
	v_fma_f64 v[4:5], v[204:205], v[208:209], -v[4:5]
	v_fmac_f64_e32 v[42:43], v[206:207], v[208:209]
	s_delay_alu instid0(VALU_DEP_2) | instskip(NEXT) | instid1(VALU_DEP_2)
	v_add_f64_e32 v[18:19], v[18:19], v[4:5]
	v_add_f64_e32 v[20:21], v[20:21], v[42:43]
.LBB80_52:                              ;   in Loop: Header=BB80_3 Depth=1
	s_or_b32 exec_lo, exec_lo, s36
	s_barrier_signal -1
	s_barrier_wait -1
	s_and_saveexec_b32 s36, s70
; %bb.53:                               ;   in Loop: Header=BB80_3 Depth=1
	ds_store_b128 v185, v[18:21]
; %bb.54:                               ;   in Loop: Header=BB80_3 Depth=1
	s_or_b32 exec_lo, exec_lo, s36
	s_wait_dscnt 0x0
	s_barrier_signal -1
	s_barrier_wait -1
	s_and_saveexec_b32 s36, s71
	s_cbranch_execz .LBB80_56
; %bb.55:                               ;   in Loop: Header=BB80_3 Depth=1
	ds_load_b128 v[204:207], v185
	ds_load_b128 v[208:211], v181 offset:2624
	s_wait_dscnt 0x0
	v_mul_f64_e32 v[4:5], v[206:207], v[210:211]
	v_mul_f64_e32 v[42:43], v[204:205], v[210:211]
	s_delay_alu instid0(VALU_DEP_2) | instskip(NEXT) | instid1(VALU_DEP_2)
	v_fma_f64 v[4:5], v[204:205], v[208:209], -v[4:5]
	v_fmac_f64_e32 v[42:43], v[206:207], v[208:209]
	s_delay_alu instid0(VALU_DEP_2) | instskip(NEXT) | instid1(VALU_DEP_2)
	v_add_f64_e32 v[18:19], v[18:19], v[4:5]
	v_add_f64_e32 v[20:21], v[20:21], v[42:43]
.LBB80_56:                              ;   in Loop: Header=BB80_3 Depth=1
	s_or_b32 exec_lo, exec_lo, s36
	s_barrier_signal -1
	s_barrier_wait -1
	s_and_saveexec_b32 s36, s72
; %bb.57:                               ;   in Loop: Header=BB80_3 Depth=1
	ds_store_b128 v185, v[18:21]
; %bb.58:                               ;   in Loop: Header=BB80_3 Depth=1
	s_or_b32 exec_lo, exec_lo, s36
	s_wait_dscnt 0x0
	s_barrier_signal -1
	s_barrier_wait -1
	s_and_saveexec_b32 s36, s73
	s_cbranch_execz .LBB80_60
; %bb.59:                               ;   in Loop: Header=BB80_3 Depth=1
	ds_load_b128 v[204:207], v185
	ds_load_b128 v[208:211], v2 offset:3184
	s_wait_dscnt 0x0
	v_mul_f64_e32 v[4:5], v[206:207], v[210:211]
	v_mul_f64_e32 v[42:43], v[204:205], v[210:211]
	s_delay_alu instid0(VALU_DEP_2) | instskip(NEXT) | instid1(VALU_DEP_2)
	v_fma_f64 v[4:5], v[204:205], v[208:209], -v[4:5]
	v_fmac_f64_e32 v[42:43], v[206:207], v[208:209]
	s_delay_alu instid0(VALU_DEP_2) | instskip(NEXT) | instid1(VALU_DEP_2)
	v_add_f64_e32 v[18:19], v[18:19], v[4:5]
	v_add_f64_e32 v[20:21], v[20:21], v[42:43]
.LBB80_60:                              ;   in Loop: Header=BB80_3 Depth=1
	s_or_b32 exec_lo, exec_lo, s36
	s_barrier_signal -1
	s_barrier_wait -1
	s_and_saveexec_b32 s36, s73
; %bb.61:                               ;   in Loop: Header=BB80_3 Depth=1
	ds_store_b128 v185, v[18:21]
; %bb.62:                               ;   in Loop: Header=BB80_3 Depth=1
	s_or_b32 exec_lo, exec_lo, s36
	s_wait_dscnt 0x0
	s_barrier_signal -1
	s_barrier_wait -1
	s_barrier_signal -1
	s_barrier_wait -1
	s_and_saveexec_b32 s36, s2
; %bb.63:                               ;   in Loop: Header=BB80_3 Depth=1
	v_xor_b32_e32 v21, 0x80000000, v21
	v_xor_b32_e32 v19, 0x80000000, v19
	ds_store_b128 v186, v[18:21] offset:64
; %bb.64:                               ;   in Loop: Header=BB80_3 Depth=1
	s_or_b32 exec_lo, exec_lo, s36
	s_wait_dscnt 0x0
	s_barrier_signal -1
	s_barrier_wait -1
	s_barrier_signal -1
	s_barrier_wait -1
	s_and_saveexec_b32 s36, s74
	s_cbranch_execz .LBB80_66
; %bb.65:                               ;   in Loop: Header=BB80_3 Depth=1
	ds_load_b128 v[18:21], v49
	s_wait_dscnt 0x0
	ds_store_b128 v132, v[18:21]
	ds_load_b128 v[18:21], v72
	s_wait_dscnt 0x0
	ds_store_b128 v135, v[18:21]
	;; [unrolled: 3-line block ×4, first 2 shown]
.LBB80_66:                              ;   in Loop: Header=BB80_3 Depth=1
	s_or_b32 exec_lo, exec_lo, s36
	s_wait_dscnt 0x0
	s_barrier_signal -1
	s_barrier_wait -1
	s_and_saveexec_b32 s58, s27
	s_cbranch_execz .LBB80_68
; %bb.67:                               ;   in Loop: Header=BB80_3 Depth=1
	s_mov_b32 s36, s35
	s_mov_b32 s38, s35
	;; [unrolled: 1-line block ×3, first 2 shown]
	v_mov_b64_e32 v[18:19], s[36:37]
	v_mov_b64_e32 v[20:21], s[38:39]
	ds_store_b128 v2, v[18:21] offset:2112
	ds_store_b128 v2, v[18:21] offset:2640
	ds_load_b128 v[18:21], v2 offset:2128
	s_wait_dscnt 0x0
	ds_store_b128 v2, v[18:21] offset:2624
.LBB80_68:                              ;   in Loop: Header=BB80_3 Depth=1
	s_or_b32 exec_lo, exec_lo, s58
	v_mov_b64_e32 v[20:21], 0
	v_mov_b64_e32 v[18:19], 0
	s_wait_dscnt 0x0
	s_barrier_signal -1
	s_barrier_wait -1
	s_and_saveexec_b32 s36, s0
	s_cbranch_execz .LBB80_72
; %bb.69:                               ;   in Loop: Header=BB80_3 Depth=1
	ds_load_b128 v[18:21], v183 offset:2112
	ds_load_b128 v[204:207], v182 offset:2144
	s_wait_dscnt 0x0
	v_mul_f64_e32 v[4:5], v[20:21], v[206:207]
	v_mul_f64_e32 v[42:43], v[18:19], v[206:207]
	s_delay_alu instid0(VALU_DEP_2) | instskip(NEXT) | instid1(VALU_DEP_2)
	v_fma_f64 v[4:5], v[18:19], v[204:205], -v[4:5]
	v_fmac_f64_e32 v[42:43], v[20:21], v[204:205]
	s_delay_alu instid0(VALU_DEP_2) | instskip(NEXT) | instid1(VALU_DEP_2)
	v_add_f64_e32 v[18:19], 0, v[4:5]
	v_add_f64_e32 v[20:21], 0, v[42:43]
	s_and_saveexec_b32 s38, s8
	s_cbranch_execz .LBB80_71
; %bb.70:                               ;   in Loop: Header=BB80_3 Depth=1
	ds_load_b128 v[204:207], v2 offset:2128
	ds_load_b128 v[208:211], v71 offset:2656
	s_wait_dscnt 0x0
	v_mul_f64_e32 v[4:5], v[206:207], v[210:211]
	v_mul_f64_e32 v[42:43], v[204:205], v[210:211]
	s_delay_alu instid0(VALU_DEP_2) | instskip(NEXT) | instid1(VALU_DEP_2)
	v_fma_f64 v[4:5], v[204:205], v[208:209], -v[4:5]
	v_fmac_f64_e32 v[42:43], v[206:207], v[208:209]
	s_delay_alu instid0(VALU_DEP_2) | instskip(NEXT) | instid1(VALU_DEP_2)
	v_add_f64_e32 v[18:19], v[18:19], v[4:5]
	v_add_f64_e32 v[20:21], v[20:21], v[42:43]
.LBB80_71:                              ;   in Loop: Header=BB80_3 Depth=1
	s_or_b32 exec_lo, exec_lo, s38
	s_delay_alu instid0(VALU_DEP_2) | instskip(NEXT) | instid1(VALU_DEP_2)
	v_xor_b32_e32 v19, 0x80000000, v19
	v_xor_b32_e32 v21, 0x80000000, v21
.LBB80_72:                              ;   in Loop: Header=BB80_3 Depth=1
	s_or_b32 exec_lo, exec_lo, s36
	s_and_saveexec_b32 s36, s65
; %bb.73:                               ;   in Loop: Header=BB80_3 Depth=1
	ds_store_b128 v27, v[18:21]
; %bb.74:                               ;   in Loop: Header=BB80_3 Depth=1
	s_or_b32 exec_lo, exec_lo, s36
	s_wait_dscnt 0x0
	s_barrier_signal -1
	s_barrier_wait -1
	s_and_saveexec_b32 s36, s66
	s_cbranch_execz .LBB80_76
; %bb.75:                               ;   in Loop: Header=BB80_3 Depth=1
	ds_load_b128 v[204:207], v27
	ds_load_b128 v[208:211], v2 offset:3184
	s_wait_dscnt 0x0
	v_mul_f64_e32 v[4:5], v[206:207], v[210:211]
	v_mul_f64_e32 v[42:43], v[204:205], v[210:211]
	s_delay_alu instid0(VALU_DEP_2) | instskip(NEXT) | instid1(VALU_DEP_2)
	v_fma_f64 v[4:5], v[204:205], v[208:209], -v[4:5]
	v_fmac_f64_e32 v[42:43], v[206:207], v[208:209]
	s_delay_alu instid0(VALU_DEP_2) | instskip(NEXT) | instid1(VALU_DEP_2)
	v_add_f64_e32 v[18:19], v[18:19], v[4:5]
	v_add_f64_e32 v[20:21], v[20:21], v[42:43]
.LBB80_76:                              ;   in Loop: Header=BB80_3 Depth=1
	s_or_b32 exec_lo, exec_lo, s36
	s_barrier_signal -1
	s_barrier_wait -1
	s_and_saveexec_b32 s36, s66
; %bb.77:                               ;   in Loop: Header=BB80_3 Depth=1
	ds_store_b128 v27, v[18:21]
; %bb.78:                               ;   in Loop: Header=BB80_3 Depth=1
	s_or_b32 exec_lo, exec_lo, s36
	s_wait_dscnt 0x0
	s_barrier_signal -1
	s_barrier_wait -1
	s_barrier_signal -1
	s_barrier_wait -1
	s_and_saveexec_b32 s36, s0
; %bb.79:                               ;   in Loop: Header=BB80_3 Depth=1
	v_xor_b32_e32 v19, 0x80000000, v19
	v_xor_b32_e32 v21, 0x80000000, v21
	ds_store_b128 v182, v[18:21] offset:2144
; %bb.80:                               ;   in Loop: Header=BB80_3 Depth=1
	s_or_b32 exec_lo, exec_lo, s36
	s_wait_dscnt 0x0
	s_barrier_signal -1
	s_barrier_wait -1
	s_barrier_signal -1
	s_barrier_wait -1
	s_and_saveexec_b32 s36, s67
	s_cbranch_execz .LBB80_82
; %bb.81:                               ;   in Loop: Header=BB80_3 Depth=1
	ds_load_b128 v[18:21], v80
	s_wait_dscnt 0x0
	ds_store_b128 v136, v[18:21]
	ds_load_b128 v[18:21], v81
	s_wait_dscnt 0x0
	ds_store_b128 v137, v[18:21]
.LBB80_82:                              ;   in Loop: Header=BB80_3 Depth=1
	s_or_b32 exec_lo, exec_lo, s36
	s_wait_dscnt 0x0
	s_barrier_signal -1
	s_barrier_wait -1
	s_and_saveexec_b32 s58, s27
	s_cbranch_execz .LBB80_84
; %bb.83:                               ;   in Loop: Header=BB80_3 Depth=1
	s_mov_b32 s36, s35
	s_mov_b32 s38, s35
	;; [unrolled: 1-line block ×3, first 2 shown]
	v_mov_b64_e32 v[18:19], s[36:37]
	v_mov_b64_e32 v[20:21], s[38:39]
	ds_store_b128 v2, v[18:21] offset:3168
	ds_store_b128 v2, v[18:21] offset:3696
	ds_load_b128 v[18:21], v2 offset:3184
	s_wait_dscnt 0x0
	ds_store_b128 v2, v[18:21] offset:3680
.LBB80_84:                              ;   in Loop: Header=BB80_3 Depth=1
	s_or_b32 exec_lo, exec_lo, s58
	v_mov_b64_e32 v[20:21], 0
	v_mov_b64_e32 v[18:19], 0
	s_wait_dscnt 0x0
	s_barrier_signal -1
	s_barrier_wait -1
	s_and_saveexec_b32 s36, s3
	s_cbranch_execz .LBB80_94
; %bb.85:                               ;   in Loop: Header=BB80_3 Depth=1
	ds_load_b128 v[18:21], v46
	ds_load_b128 v[204:207], v189 offset:128
	s_wait_dscnt 0x0
	v_mul_f64_e32 v[4:5], v[20:21], v[206:207]
	v_mul_f64_e32 v[42:43], v[18:19], v[206:207]
	s_delay_alu instid0(VALU_DEP_2) | instskip(NEXT) | instid1(VALU_DEP_2)
	v_fma_f64 v[4:5], v[18:19], v[204:205], -v[4:5]
	v_fmac_f64_e32 v[42:43], v[20:21], v[204:205]
	s_delay_alu instid0(VALU_DEP_2) | instskip(NEXT) | instid1(VALU_DEP_2)
	v_add_f64_e32 v[18:19], 0, v[4:5]
	v_add_f64_e32 v[20:21], 0, v[42:43]
	s_and_saveexec_b32 s38, s11
	s_cbranch_execnz .LBB80_520
; %bb.86:                               ;   in Loop: Header=BB80_3 Depth=1
	s_or_b32 exec_lo, exec_lo, s38
	s_and_saveexec_b32 s38, s12
	s_cbranch_execnz .LBB80_521
.LBB80_87:                              ;   in Loop: Header=BB80_3 Depth=1
	s_or_b32 exec_lo, exec_lo, s38
	s_and_saveexec_b32 s38, s13
	s_cbranch_execnz .LBB80_522
.LBB80_88:                              ;   in Loop: Header=BB80_3 Depth=1
	s_or_b32 exec_lo, exec_lo, s38
	s_and_saveexec_b32 s38, s14
	s_cbranch_execnz .LBB80_523
.LBB80_89:                              ;   in Loop: Header=BB80_3 Depth=1
	s_or_b32 exec_lo, exec_lo, s38
	s_and_saveexec_b32 s38, s15
	s_cbranch_execnz .LBB80_524
.LBB80_90:                              ;   in Loop: Header=BB80_3 Depth=1
	s_or_b32 exec_lo, exec_lo, s38
	s_and_saveexec_b32 s38, s2
	s_cbranch_execnz .LBB80_525
.LBB80_91:                              ;   in Loop: Header=BB80_3 Depth=1
	s_or_b32 exec_lo, exec_lo, s38
	s_and_saveexec_b32 s38, s10
	s_cbranch_execz .LBB80_93
.LBB80_92:                              ;   in Loop: Header=BB80_3 Depth=1
	ds_load_b128 v[204:207], v2 offset:112
	ds_load_b128 v[208:211], v25 offset:3712
	s_wait_dscnt 0x0
	v_mul_f64_e32 v[4:5], v[206:207], v[210:211]
	v_mul_f64_e32 v[42:43], v[204:205], v[210:211]
	s_delay_alu instid0(VALU_DEP_2) | instskip(NEXT) | instid1(VALU_DEP_2)
	v_fma_f64 v[4:5], v[204:205], v[208:209], -v[4:5]
	v_fmac_f64_e32 v[42:43], v[206:207], v[208:209]
	s_delay_alu instid0(VALU_DEP_2) | instskip(NEXT) | instid1(VALU_DEP_2)
	v_add_f64_e32 v[18:19], v[18:19], v[4:5]
	v_add_f64_e32 v[20:21], v[20:21], v[42:43]
.LBB80_93:                              ;   in Loop: Header=BB80_3 Depth=1
	s_or_b32 exec_lo, exec_lo, s38
	s_delay_alu instid0(VALU_DEP_2) | instskip(NEXT) | instid1(VALU_DEP_2)
	v_xor_b32_e32 v19, 0x80000000, v19
	v_xor_b32_e32 v21, 0x80000000, v21
.LBB80_94:                              ;   in Loop: Header=BB80_3 Depth=1
	s_or_b32 exec_lo, exec_lo, s36
	s_and_saveexec_b32 s36, s75
; %bb.95:                               ;   in Loop: Header=BB80_3 Depth=1
	ds_store_b128 v188, v[18:21]
; %bb.96:                               ;   in Loop: Header=BB80_3 Depth=1
	s_or_b32 exec_lo, exec_lo, s36
	s_wait_dscnt 0x0
	s_barrier_signal -1
	s_barrier_wait -1
	s_and_saveexec_b32 s36, s76
	s_cbranch_execz .LBB80_98
; %bb.97:                               ;   in Loop: Header=BB80_3 Depth=1
	ds_load_b128 v[204:207], v188
	ds_load_b128 v[208:211], v184 offset:4224
	s_wait_dscnt 0x0
	v_mul_f64_e32 v[4:5], v[206:207], v[210:211]
	v_mul_f64_e32 v[42:43], v[204:205], v[210:211]
	s_delay_alu instid0(VALU_DEP_2) | instskip(NEXT) | instid1(VALU_DEP_2)
	v_fma_f64 v[4:5], v[204:205], v[208:209], -v[4:5]
	v_fmac_f64_e32 v[42:43], v[206:207], v[208:209]
	s_delay_alu instid0(VALU_DEP_2) | instskip(NEXT) | instid1(VALU_DEP_2)
	v_add_f64_e32 v[18:19], v[18:19], v[4:5]
	v_add_f64_e32 v[20:21], v[20:21], v[42:43]
.LBB80_98:                              ;   in Loop: Header=BB80_3 Depth=1
	s_or_b32 exec_lo, exec_lo, s36
	s_barrier_signal -1
	s_barrier_wait -1
	s_and_saveexec_b32 s36, s77
; %bb.99:                               ;   in Loop: Header=BB80_3 Depth=1
	ds_store_b128 v188, v[18:21]
; %bb.100:                              ;   in Loop: Header=BB80_3 Depth=1
	s_or_b32 exec_lo, exec_lo, s36
	s_wait_dscnt 0x0
	s_barrier_signal -1
	s_barrier_wait -1
	s_and_saveexec_b32 s36, s78
	s_cbranch_execz .LBB80_102
; %bb.101:                              ;   in Loop: Header=BB80_3 Depth=1
	ds_load_b128 v[204:207], v188
	ds_load_b128 v[208:211], v184 offset:4736
	s_wait_dscnt 0x0
	v_mul_f64_e32 v[4:5], v[206:207], v[210:211]
	v_mul_f64_e32 v[42:43], v[204:205], v[210:211]
	s_delay_alu instid0(VALU_DEP_2) | instskip(NEXT) | instid1(VALU_DEP_2)
	v_fma_f64 v[4:5], v[204:205], v[208:209], -v[4:5]
	v_fmac_f64_e32 v[42:43], v[206:207], v[208:209]
	s_delay_alu instid0(VALU_DEP_2) | instskip(NEXT) | instid1(VALU_DEP_2)
	v_add_f64_e32 v[18:19], v[18:19], v[4:5]
	v_add_f64_e32 v[20:21], v[20:21], v[42:43]
.LBB80_102:                             ;   in Loop: Header=BB80_3 Depth=1
	s_or_b32 exec_lo, exec_lo, s36
	s_barrier_signal -1
	s_barrier_wait -1
	s_and_saveexec_b32 s36, s79
; %bb.103:                              ;   in Loop: Header=BB80_3 Depth=1
	ds_store_b128 v188, v[18:21]
; %bb.104:                              ;   in Loop: Header=BB80_3 Depth=1
	s_or_b32 exec_lo, exec_lo, s36
	s_wait_dscnt 0x0
	s_barrier_signal -1
	s_barrier_wait -1
	s_and_saveexec_b32 s36, s80
	s_cbranch_execz .LBB80_106
; %bb.105:                              ;   in Loop: Header=BB80_3 Depth=1
	ds_load_b128 v[204:207], v188
	ds_load_b128 v[208:211], v184 offset:5248
	s_wait_dscnt 0x0
	v_mul_f64_e32 v[4:5], v[206:207], v[210:211]
	v_mul_f64_e32 v[42:43], v[204:205], v[210:211]
	s_delay_alu instid0(VALU_DEP_2) | instskip(NEXT) | instid1(VALU_DEP_2)
	v_fma_f64 v[4:5], v[204:205], v[208:209], -v[4:5]
	v_fmac_f64_e32 v[42:43], v[206:207], v[208:209]
	s_delay_alu instid0(VALU_DEP_2) | instskip(NEXT) | instid1(VALU_DEP_2)
	v_add_f64_e32 v[18:19], v[18:19], v[4:5]
	v_add_f64_e32 v[20:21], v[20:21], v[42:43]
.LBB80_106:                             ;   in Loop: Header=BB80_3 Depth=1
	s_or_b32 exec_lo, exec_lo, s36
	s_barrier_signal -1
	s_barrier_wait -1
	s_and_saveexec_b32 s36, s81
; %bb.107:                              ;   in Loop: Header=BB80_3 Depth=1
	;; [unrolled: 26-line block ×6, first 2 shown]
	ds_store_b128 v188, v[18:21]
; %bb.124:                              ;   in Loop: Header=BB80_3 Depth=1
	s_or_b32 exec_lo, exec_lo, s36
	s_wait_dscnt 0x0
	s_barrier_signal -1
	s_barrier_wait -1
	s_barrier_signal -1
	s_barrier_wait -1
	s_and_saveexec_b32 s36, s3
; %bb.125:                              ;   in Loop: Header=BB80_3 Depth=1
	v_xor_b32_e32 v19, 0x80000000, v19
	v_xor_b32_e32 v21, 0x80000000, v21
	ds_store_b128 v189, v[18:21] offset:128
; %bb.126:                              ;   in Loop: Header=BB80_3 Depth=1
	s_or_b32 exec_lo, exec_lo, s36
	s_wait_dscnt 0x0
	s_barrier_signal -1
	s_barrier_wait -1
	s_barrier_signal -1
	s_barrier_wait -1
	s_and_saveexec_b32 s36, s89
	s_cbranch_execz .LBB80_128
; %bb.127:                              ;   in Loop: Header=BB80_3 Depth=1
	ds_load_b128 v[18:21], v50
	s_wait_dscnt 0x0
	ds_store_b128 v138, v[18:21]
	ds_load_b128 v[18:21], v51
	s_wait_dscnt 0x0
	ds_store_b128 v139, v[18:21]
	;; [unrolled: 3-line block ×8, first 2 shown]
.LBB80_128:                             ;   in Loop: Header=BB80_3 Depth=1
	s_or_b32 exec_lo, exec_lo, s36
	s_wait_dscnt 0x0
	s_barrier_signal -1
	s_barrier_wait -1
	s_and_saveexec_b32 s58, s27
	s_cbranch_execz .LBB80_130
; %bb.129:                              ;   in Loop: Header=BB80_3 Depth=1
	s_mov_b32 s36, s35
	s_mov_b32 s38, s35
	;; [unrolled: 1-line block ×3, first 2 shown]
	v_mov_b64_e32 v[18:19], s[36:37]
	v_mov_b64_e32 v[20:21], s[38:39]
	ds_store_b128 v2, v[18:21] offset:4224
	ds_store_b128 v2, v[18:21] offset:4752
	ds_load_b128 v[18:21], v2 offset:4240
	s_wait_dscnt 0x0
	ds_store_b128 v2, v[18:21] offset:4736
.LBB80_130:                             ;   in Loop: Header=BB80_3 Depth=1
	s_or_b32 exec_lo, exec_lo, s58
	v_mov_b64_e32 v[20:21], 0
	v_mov_b64_e32 v[18:19], 0
	s_wait_dscnt 0x0
	s_barrier_signal -1
	s_barrier_wait -1
	s_and_saveexec_b32 s36, s0
	s_cbranch_execz .LBB80_134
; %bb.131:                              ;   in Loop: Header=BB80_3 Depth=1
	ds_load_b128 v[18:21], v183 offset:4224
	ds_load_b128 v[204:207], v182 offset:4256
	s_wait_dscnt 0x0
	v_mul_f64_e32 v[4:5], v[20:21], v[206:207]
	v_mul_f64_e32 v[42:43], v[18:19], v[206:207]
	s_delay_alu instid0(VALU_DEP_2) | instskip(NEXT) | instid1(VALU_DEP_2)
	v_fma_f64 v[4:5], v[18:19], v[204:205], -v[4:5]
	v_fmac_f64_e32 v[42:43], v[20:21], v[204:205]
	s_delay_alu instid0(VALU_DEP_2) | instskip(NEXT) | instid1(VALU_DEP_2)
	v_add_f64_e32 v[18:19], 0, v[4:5]
	v_add_f64_e32 v[20:21], 0, v[42:43]
	s_and_saveexec_b32 s38, s8
	s_cbranch_execz .LBB80_133
; %bb.132:                              ;   in Loop: Header=BB80_3 Depth=1
	ds_load_b128 v[204:207], v2 offset:4240
	ds_load_b128 v[208:211], v44 offset:4768
	s_wait_dscnt 0x0
	v_mul_f64_e32 v[4:5], v[206:207], v[210:211]
	v_mul_f64_e32 v[42:43], v[204:205], v[210:211]
	s_delay_alu instid0(VALU_DEP_2) | instskip(NEXT) | instid1(VALU_DEP_2)
	v_fma_f64 v[4:5], v[204:205], v[208:209], -v[4:5]
	v_fmac_f64_e32 v[42:43], v[206:207], v[208:209]
	s_delay_alu instid0(VALU_DEP_2) | instskip(NEXT) | instid1(VALU_DEP_2)
	v_add_f64_e32 v[18:19], v[18:19], v[4:5]
	v_add_f64_e32 v[20:21], v[20:21], v[42:43]
.LBB80_133:                             ;   in Loop: Header=BB80_3 Depth=1
	s_or_b32 exec_lo, exec_lo, s38
	s_delay_alu instid0(VALU_DEP_2) | instskip(NEXT) | instid1(VALU_DEP_2)
	v_xor_b32_e32 v19, 0x80000000, v19
	v_xor_b32_e32 v21, 0x80000000, v21
.LBB80_134:                             ;   in Loop: Header=BB80_3 Depth=1
	s_or_b32 exec_lo, exec_lo, s36
	s_and_saveexec_b32 s36, s65
; %bb.135:                              ;   in Loop: Header=BB80_3 Depth=1
	ds_store_b128 v27, v[18:21]
; %bb.136:                              ;   in Loop: Header=BB80_3 Depth=1
	s_or_b32 exec_lo, exec_lo, s36
	s_wait_dscnt 0x0
	s_barrier_signal -1
	s_barrier_wait -1
	s_and_saveexec_b32 s36, s66
	s_cbranch_execz .LBB80_138
; %bb.137:                              ;   in Loop: Header=BB80_3 Depth=1
	ds_load_b128 v[204:207], v27
	ds_load_b128 v[208:211], v2 offset:5296
	s_wait_dscnt 0x0
	v_mul_f64_e32 v[4:5], v[206:207], v[210:211]
	v_mul_f64_e32 v[42:43], v[204:205], v[210:211]
	s_delay_alu instid0(VALU_DEP_2) | instskip(NEXT) | instid1(VALU_DEP_2)
	v_fma_f64 v[4:5], v[204:205], v[208:209], -v[4:5]
	v_fmac_f64_e32 v[42:43], v[206:207], v[208:209]
	s_delay_alu instid0(VALU_DEP_2) | instskip(NEXT) | instid1(VALU_DEP_2)
	v_add_f64_e32 v[18:19], v[18:19], v[4:5]
	v_add_f64_e32 v[20:21], v[20:21], v[42:43]
.LBB80_138:                             ;   in Loop: Header=BB80_3 Depth=1
	s_or_b32 exec_lo, exec_lo, s36
	s_barrier_signal -1
	s_barrier_wait -1
	s_and_saveexec_b32 s36, s66
; %bb.139:                              ;   in Loop: Header=BB80_3 Depth=1
	ds_store_b128 v27, v[18:21]
; %bb.140:                              ;   in Loop: Header=BB80_3 Depth=1
	s_or_b32 exec_lo, exec_lo, s36
	s_wait_dscnt 0x0
	s_barrier_signal -1
	s_barrier_wait -1
	s_barrier_signal -1
	s_barrier_wait -1
	s_and_saveexec_b32 s36, s0
; %bb.141:                              ;   in Loop: Header=BB80_3 Depth=1
	v_xor_b32_e32 v19, 0x80000000, v19
	v_xor_b32_e32 v21, 0x80000000, v21
	ds_store_b128 v182, v[18:21] offset:4256
; %bb.142:                              ;   in Loop: Header=BB80_3 Depth=1
	s_or_b32 exec_lo, exec_lo, s36
	s_wait_dscnt 0x0
	s_barrier_signal -1
	s_barrier_wait -1
	s_barrier_signal -1
	s_barrier_wait -1
	s_and_saveexec_b32 s36, s67
	s_cbranch_execz .LBB80_144
; %bb.143:                              ;   in Loop: Header=BB80_3 Depth=1
	ds_load_b128 v[18:21], v73
	s_wait_dscnt 0x0
	ds_store_b128 v146, v[18:21]
	ds_load_b128 v[18:21], v74
	s_wait_dscnt 0x0
	ds_store_b128 v147, v[18:21]
.LBB80_144:                             ;   in Loop: Header=BB80_3 Depth=1
	s_or_b32 exec_lo, exec_lo, s36
	s_wait_dscnt 0x0
	s_barrier_signal -1
	s_barrier_wait -1
	s_and_saveexec_b32 s58, s27
	s_cbranch_execz .LBB80_146
; %bb.145:                              ;   in Loop: Header=BB80_3 Depth=1
	s_mov_b32 s36, s35
	s_mov_b32 s38, s35
	;; [unrolled: 1-line block ×3, first 2 shown]
	v_mov_b64_e32 v[18:19], s[36:37]
	v_mov_b64_e32 v[20:21], s[38:39]
	ds_store_b128 v2, v[18:21] offset:5280
	ds_store_b128 v2, v[18:21] offset:5808
	ds_load_b128 v[18:21], v2 offset:5296
	s_wait_dscnt 0x0
	ds_store_b128 v2, v[18:21] offset:5792
.LBB80_146:                             ;   in Loop: Header=BB80_3 Depth=1
	s_or_b32 exec_lo, exec_lo, s58
	v_mov_b64_e32 v[20:21], 0
	v_mov_b64_e32 v[18:19], 0
	s_wait_dscnt 0x0
	s_barrier_signal -1
	s_barrier_wait -1
	s_and_saveexec_b32 s36, s2
	s_cbranch_execz .LBB80_152
; %bb.147:                              ;   in Loop: Header=BB80_3 Depth=1
	ds_load_b128 v[18:21], v45 offset:4224
	ds_load_b128 v[204:207], v186 offset:4288
	s_wait_dscnt 0x0
	v_mul_f64_e32 v[4:5], v[20:21], v[206:207]
	v_mul_f64_e32 v[42:43], v[18:19], v[206:207]
	s_delay_alu instid0(VALU_DEP_2) | instskip(NEXT) | instid1(VALU_DEP_2)
	v_fma_f64 v[4:5], v[18:19], v[204:205], -v[4:5]
	v_fmac_f64_e32 v[42:43], v[20:21], v[204:205]
	s_delay_alu instid0(VALU_DEP_2) | instskip(NEXT) | instid1(VALU_DEP_2)
	v_add_f64_e32 v[18:19], 0, v[4:5]
	v_add_f64_e32 v[20:21], 0, v[42:43]
	s_and_saveexec_b32 s38, s9
	s_cbranch_execnz .LBB80_526
; %bb.148:                              ;   in Loop: Header=BB80_3 Depth=1
	s_or_b32 exec_lo, exec_lo, s38
	s_and_saveexec_b32 s38, s10
	s_cbranch_execnz .LBB80_527
.LBB80_149:                             ;   in Loop: Header=BB80_3 Depth=1
	s_or_b32 exec_lo, exec_lo, s38
	s_and_saveexec_b32 s38, s0
	s_cbranch_execz .LBB80_151
.LBB80_150:                             ;   in Loop: Header=BB80_3 Depth=1
	ds_load_b128 v[204:207], v2 offset:4272
	ds_load_b128 v[208:211], v71 offset:5824
	s_wait_dscnt 0x0
	v_mul_f64_e32 v[4:5], v[206:207], v[210:211]
	v_mul_f64_e32 v[42:43], v[204:205], v[210:211]
	s_delay_alu instid0(VALU_DEP_2) | instskip(NEXT) | instid1(VALU_DEP_2)
	v_fma_f64 v[4:5], v[204:205], v[208:209], -v[4:5]
	v_fmac_f64_e32 v[42:43], v[206:207], v[208:209]
	s_delay_alu instid0(VALU_DEP_2) | instskip(NEXT) | instid1(VALU_DEP_2)
	v_add_f64_e32 v[18:19], v[18:19], v[4:5]
	v_add_f64_e32 v[20:21], v[20:21], v[42:43]
.LBB80_151:                             ;   in Loop: Header=BB80_3 Depth=1
	s_or_b32 exec_lo, exec_lo, s38
	s_delay_alu instid0(VALU_DEP_2) | instskip(NEXT) | instid1(VALU_DEP_2)
	v_xor_b32_e32 v19, 0x80000000, v19
	v_xor_b32_e32 v21, 0x80000000, v21
.LBB80_152:                             ;   in Loop: Header=BB80_3 Depth=1
	s_or_b32 exec_lo, exec_lo, s36
	s_and_saveexec_b32 s36, s68
; %bb.153:                              ;   in Loop: Header=BB80_3 Depth=1
	ds_store_b128 v185, v[18:21]
; %bb.154:                              ;   in Loop: Header=BB80_3 Depth=1
	s_or_b32 exec_lo, exec_lo, s36
	s_wait_dscnt 0x0
	s_barrier_signal -1
	s_barrier_wait -1
	s_and_saveexec_b32 s36, s69
	s_cbranch_execz .LBB80_156
; %bb.155:                              ;   in Loop: Header=BB80_3 Depth=1
	ds_load_b128 v[204:207], v185
	ds_load_b128 v[208:211], v181 offset:6336
	s_wait_dscnt 0x0
	v_mul_f64_e32 v[4:5], v[206:207], v[210:211]
	v_mul_f64_e32 v[42:43], v[204:205], v[210:211]
	s_delay_alu instid0(VALU_DEP_2) | instskip(NEXT) | instid1(VALU_DEP_2)
	v_fma_f64 v[4:5], v[204:205], v[208:209], -v[4:5]
	v_fmac_f64_e32 v[42:43], v[206:207], v[208:209]
	s_delay_alu instid0(VALU_DEP_2) | instskip(NEXT) | instid1(VALU_DEP_2)
	v_add_f64_e32 v[18:19], v[18:19], v[4:5]
	v_add_f64_e32 v[20:21], v[20:21], v[42:43]
.LBB80_156:                             ;   in Loop: Header=BB80_3 Depth=1
	s_or_b32 exec_lo, exec_lo, s36
	s_barrier_signal -1
	s_barrier_wait -1
	s_and_saveexec_b32 s36, s70
; %bb.157:                              ;   in Loop: Header=BB80_3 Depth=1
	ds_store_b128 v185, v[18:21]
; %bb.158:                              ;   in Loop: Header=BB80_3 Depth=1
	s_or_b32 exec_lo, exec_lo, s36
	s_wait_dscnt 0x0
	s_barrier_signal -1
	s_barrier_wait -1
	s_and_saveexec_b32 s36, s71
	s_cbranch_execz .LBB80_160
; %bb.159:                              ;   in Loop: Header=BB80_3 Depth=1
	ds_load_b128 v[204:207], v185
	ds_load_b128 v[208:211], v181 offset:6848
	s_wait_dscnt 0x0
	v_mul_f64_e32 v[4:5], v[206:207], v[210:211]
	v_mul_f64_e32 v[42:43], v[204:205], v[210:211]
	s_delay_alu instid0(VALU_DEP_2) | instskip(NEXT) | instid1(VALU_DEP_2)
	v_fma_f64 v[4:5], v[204:205], v[208:209], -v[4:5]
	v_fmac_f64_e32 v[42:43], v[206:207], v[208:209]
	s_delay_alu instid0(VALU_DEP_2) | instskip(NEXT) | instid1(VALU_DEP_2)
	v_add_f64_e32 v[18:19], v[18:19], v[4:5]
	v_add_f64_e32 v[20:21], v[20:21], v[42:43]
.LBB80_160:                             ;   in Loop: Header=BB80_3 Depth=1
	s_or_b32 exec_lo, exec_lo, s36
	s_barrier_signal -1
	s_barrier_wait -1
	;; [unrolled: 26-line block ×3, first 2 shown]
	s_and_saveexec_b32 s36, s73
; %bb.165:                              ;   in Loop: Header=BB80_3 Depth=1
	ds_store_b128 v185, v[18:21]
; %bb.166:                              ;   in Loop: Header=BB80_3 Depth=1
	s_or_b32 exec_lo, exec_lo, s36
	s_wait_dscnt 0x0
	s_barrier_signal -1
	s_barrier_wait -1
	s_barrier_signal -1
	s_barrier_wait -1
	s_and_saveexec_b32 s36, s2
; %bb.167:                              ;   in Loop: Header=BB80_3 Depth=1
	v_xor_b32_e32 v21, 0x80000000, v21
	v_xor_b32_e32 v19, 0x80000000, v19
	ds_store_b128 v186, v[18:21] offset:4288
; %bb.168:                              ;   in Loop: Header=BB80_3 Depth=1
	s_or_b32 exec_lo, exec_lo, s36
	s_wait_dscnt 0x0
	s_barrier_signal -1
	s_barrier_wait -1
	s_barrier_signal -1
	s_barrier_wait -1
	s_and_saveexec_b32 s36, s74
	s_cbranch_execz .LBB80_170
; %bb.169:                              ;   in Loop: Header=BB80_3 Depth=1
	ds_load_b128 v[18:21], v83
	s_wait_dscnt 0x0
	ds_store_b128 v149, v[18:21]
	ds_load_b128 v[18:21], v86
	s_wait_dscnt 0x0
	ds_store_b128 v152, v[18:21]
	;; [unrolled: 3-line block ×4, first 2 shown]
.LBB80_170:                             ;   in Loop: Header=BB80_3 Depth=1
	s_or_b32 exec_lo, exec_lo, s36
	s_wait_dscnt 0x0
	s_barrier_signal -1
	s_barrier_wait -1
	s_and_saveexec_b32 s58, s27
	s_cbranch_execz .LBB80_172
; %bb.171:                              ;   in Loop: Header=BB80_3 Depth=1
	s_mov_b32 s36, s35
	s_mov_b32 s38, s35
	;; [unrolled: 1-line block ×3, first 2 shown]
	v_mov_b64_e32 v[18:19], s[36:37]
	v_mov_b64_e32 v[20:21], s[38:39]
	ds_store_b128 v2, v[18:21] offset:6336
	ds_store_b128 v2, v[18:21] offset:6864
	ds_load_b128 v[18:21], v2 offset:6352
	s_wait_dscnt 0x0
	ds_store_b128 v2, v[18:21] offset:6848
.LBB80_172:                             ;   in Loop: Header=BB80_3 Depth=1
	s_or_b32 exec_lo, exec_lo, s58
	v_mov_b64_e32 v[20:21], 0
	v_mov_b64_e32 v[18:19], 0
	s_wait_dscnt 0x0
	s_barrier_signal -1
	s_barrier_wait -1
	s_and_saveexec_b32 s36, s0
	s_cbranch_execz .LBB80_176
; %bb.173:                              ;   in Loop: Header=BB80_3 Depth=1
	ds_load_b128 v[18:21], v183 offset:6336
	ds_load_b128 v[204:207], v182 offset:6368
	s_wait_dscnt 0x0
	v_mul_f64_e32 v[4:5], v[20:21], v[206:207]
	v_mul_f64_e32 v[42:43], v[18:19], v[206:207]
	s_delay_alu instid0(VALU_DEP_2) | instskip(NEXT) | instid1(VALU_DEP_2)
	v_fma_f64 v[4:5], v[18:19], v[204:205], -v[4:5]
	v_fmac_f64_e32 v[42:43], v[20:21], v[204:205]
	s_delay_alu instid0(VALU_DEP_2) | instskip(NEXT) | instid1(VALU_DEP_2)
	v_add_f64_e32 v[18:19], 0, v[4:5]
	v_add_f64_e32 v[20:21], 0, v[42:43]
	s_and_saveexec_b32 s38, s8
	s_cbranch_execz .LBB80_175
; %bb.174:                              ;   in Loop: Header=BB80_3 Depth=1
	ds_load_b128 v[204:207], v2 offset:6352
	ds_load_b128 v[208:211], v82 offset:6880
	s_wait_dscnt 0x0
	v_mul_f64_e32 v[4:5], v[206:207], v[210:211]
	v_mul_f64_e32 v[42:43], v[204:205], v[210:211]
	s_delay_alu instid0(VALU_DEP_2) | instskip(NEXT) | instid1(VALU_DEP_2)
	v_fma_f64 v[4:5], v[204:205], v[208:209], -v[4:5]
	v_fmac_f64_e32 v[42:43], v[206:207], v[208:209]
	s_delay_alu instid0(VALU_DEP_2) | instskip(NEXT) | instid1(VALU_DEP_2)
	v_add_f64_e32 v[18:19], v[18:19], v[4:5]
	v_add_f64_e32 v[20:21], v[20:21], v[42:43]
.LBB80_175:                             ;   in Loop: Header=BB80_3 Depth=1
	s_or_b32 exec_lo, exec_lo, s38
	s_delay_alu instid0(VALU_DEP_2) | instskip(NEXT) | instid1(VALU_DEP_2)
	v_xor_b32_e32 v19, 0x80000000, v19
	v_xor_b32_e32 v21, 0x80000000, v21
.LBB80_176:                             ;   in Loop: Header=BB80_3 Depth=1
	s_or_b32 exec_lo, exec_lo, s36
	s_and_saveexec_b32 s36, s65
; %bb.177:                              ;   in Loop: Header=BB80_3 Depth=1
	ds_store_b128 v27, v[18:21]
; %bb.178:                              ;   in Loop: Header=BB80_3 Depth=1
	s_or_b32 exec_lo, exec_lo, s36
	s_wait_dscnt 0x0
	s_barrier_signal -1
	s_barrier_wait -1
	s_and_saveexec_b32 s36, s66
	s_cbranch_execz .LBB80_180
; %bb.179:                              ;   in Loop: Header=BB80_3 Depth=1
	ds_load_b128 v[204:207], v27
	ds_load_b128 v[208:211], v2 offset:7408
	s_wait_dscnt 0x0
	v_mul_f64_e32 v[4:5], v[206:207], v[210:211]
	v_mul_f64_e32 v[42:43], v[204:205], v[210:211]
	s_delay_alu instid0(VALU_DEP_2) | instskip(NEXT) | instid1(VALU_DEP_2)
	v_fma_f64 v[4:5], v[204:205], v[208:209], -v[4:5]
	v_fmac_f64_e32 v[42:43], v[206:207], v[208:209]
	s_delay_alu instid0(VALU_DEP_2) | instskip(NEXT) | instid1(VALU_DEP_2)
	v_add_f64_e32 v[18:19], v[18:19], v[4:5]
	v_add_f64_e32 v[20:21], v[20:21], v[42:43]
.LBB80_180:                             ;   in Loop: Header=BB80_3 Depth=1
	s_or_b32 exec_lo, exec_lo, s36
	s_barrier_signal -1
	s_barrier_wait -1
	s_and_saveexec_b32 s36, s66
; %bb.181:                              ;   in Loop: Header=BB80_3 Depth=1
	ds_store_b128 v27, v[18:21]
; %bb.182:                              ;   in Loop: Header=BB80_3 Depth=1
	s_or_b32 exec_lo, exec_lo, s36
	s_wait_dscnt 0x0
	s_barrier_signal -1
	s_barrier_wait -1
	s_barrier_signal -1
	s_barrier_wait -1
	s_and_saveexec_b32 s36, s0
; %bb.183:                              ;   in Loop: Header=BB80_3 Depth=1
	v_xor_b32_e32 v19, 0x80000000, v19
	v_xor_b32_e32 v21, 0x80000000, v21
	ds_store_b128 v182, v[18:21] offset:6368
; %bb.184:                              ;   in Loop: Header=BB80_3 Depth=1
	s_or_b32 exec_lo, exec_lo, s36
	s_wait_dscnt 0x0
	s_barrier_signal -1
	s_barrier_wait -1
	s_barrier_signal -1
	s_barrier_wait -1
	s_and_saveexec_b32 s36, s67
	s_cbranch_execz .LBB80_186
; %bb.185:                              ;   in Loop: Header=BB80_3 Depth=1
	ds_load_b128 v[18:21], v92
	s_wait_dscnt 0x0
	ds_store_b128 v95, v[18:21]
	ds_load_b128 v[18:21], v93
	s_wait_dscnt 0x0
	ds_store_b128 v96, v[18:21]
.LBB80_186:                             ;   in Loop: Header=BB80_3 Depth=1
	s_or_b32 exec_lo, exec_lo, s36
	s_wait_dscnt 0x0
	s_barrier_signal -1
	s_barrier_wait -1
	s_and_saveexec_b32 s58, s27
	s_cbranch_execz .LBB80_188
; %bb.187:                              ;   in Loop: Header=BB80_3 Depth=1
	s_mov_b32 s36, s35
	s_mov_b32 s38, s35
	;; [unrolled: 1-line block ×3, first 2 shown]
	v_mov_b64_e32 v[18:19], s[36:37]
	v_mov_b64_e32 v[20:21], s[38:39]
	ds_store_b128 v2, v[18:21] offset:7392
	ds_store_b128 v2, v[18:21] offset:7920
	ds_load_b128 v[18:21], v2 offset:7408
	s_wait_dscnt 0x0
	ds_store_b128 v2, v[18:21] offset:7904
.LBB80_188:                             ;   in Loop: Header=BB80_3 Depth=1
	s_or_b32 exec_lo, exec_lo, s58
	v_mov_b64_e32 v[20:21], 0
	v_mov_b64_e32 v[18:19], 0
	s_wait_dscnt 0x0
	s_barrier_signal -1
	s_barrier_wait -1
	s_and_saveexec_b32 s36, s4
	s_cbranch_execz .LBB80_216
; %bb.189:                              ;   in Loop: Header=BB80_3 Depth=1
	v_add_nc_u32_e32 v3, v58, v148
	v_readlane_b32 s18, v203, 18
	ds_load_b128 v[18:21], v3
	ds_load_b128 v[204:207], v154 offset:256
	s_wait_dscnt 0x0
	v_mul_f64_e32 v[4:5], v[20:21], v[206:207]
	v_mul_f64_e32 v[42:43], v[18:19], v[206:207]
	s_delay_alu instid0(VALU_DEP_2) | instskip(NEXT) | instid1(VALU_DEP_2)
	v_fma_f64 v[4:5], v[18:19], v[204:205], -v[4:5]
	v_fmac_f64_e32 v[42:43], v[20:21], v[204:205]
	s_delay_alu instid0(VALU_DEP_2) | instskip(NEXT) | instid1(VALU_DEP_2)
	v_add_f64_e32 v[18:19], 0, v[4:5]
	v_add_f64_e32 v[20:21], 0, v[42:43]
	s_and_saveexec_b32 s38, s18
	s_cbranch_execz .LBB80_191
; %bb.190:                              ;   in Loop: Header=BB80_3 Depth=1
	ds_load_b128 v[204:207], v3 offset:16
	ds_load_b128 v[208:211], v154 offset:768
	s_wait_dscnt 0x0
	v_mul_f64_e32 v[4:5], v[206:207], v[210:211]
	v_mul_f64_e32 v[42:43], v[204:205], v[210:211]
	s_delay_alu instid0(VALU_DEP_2) | instskip(NEXT) | instid1(VALU_DEP_2)
	v_fma_f64 v[4:5], v[204:205], v[208:209], -v[4:5]
	v_fmac_f64_e32 v[42:43], v[206:207], v[208:209]
	s_delay_alu instid0(VALU_DEP_2) | instskip(NEXT) | instid1(VALU_DEP_2)
	v_add_f64_e32 v[18:19], v[18:19], v[4:5]
	v_add_f64_e32 v[20:21], v[20:21], v[42:43]
.LBB80_191:                             ;   in Loop: Header=BB80_3 Depth=1
	s_or_b32 exec_lo, exec_lo, s38
	v_readlane_b32 s18, v203, 19
	s_and_saveexec_b32 s38, s18
	s_cbranch_execz .LBB80_193
; %bb.192:                              ;   in Loop: Header=BB80_3 Depth=1
	ds_load_b128 v[204:207], v3 offset:32
	ds_load_b128 v[208:211], v154 offset:1280
	s_wait_dscnt 0x0
	v_mul_f64_e32 v[4:5], v[206:207], v[210:211]
	v_mul_f64_e32 v[42:43], v[204:205], v[210:211]
	s_delay_alu instid0(VALU_DEP_2) | instskip(NEXT) | instid1(VALU_DEP_2)
	v_fma_f64 v[4:5], v[204:205], v[208:209], -v[4:5]
	v_fmac_f64_e32 v[42:43], v[206:207], v[208:209]
	s_delay_alu instid0(VALU_DEP_2) | instskip(NEXT) | instid1(VALU_DEP_2)
	v_add_f64_e32 v[18:19], v[18:19], v[4:5]
	v_add_f64_e32 v[20:21], v[20:21], v[42:43]
.LBB80_193:                             ;   in Loop: Header=BB80_3 Depth=1
	s_or_b32 exec_lo, exec_lo, s38
	v_readlane_b32 s18, v203, 20
	;; [unrolled: 17-line block ×10, first 2 shown]
	s_and_saveexec_b32 s38, s18
	s_cbranch_execnz .LBB80_528
; %bb.210:                              ;   in Loop: Header=BB80_3 Depth=1
	s_or_b32 exec_lo, exec_lo, s38
	s_and_saveexec_b32 s38, s3
	s_cbranch_execnz .LBB80_529
.LBB80_211:                             ;   in Loop: Header=BB80_3 Depth=1
	s_or_b32 exec_lo, exec_lo, s38
	s_and_saveexec_b32 s38, s12
	s_cbranch_execnz .LBB80_530
.LBB80_212:                             ;   in Loop: Header=BB80_3 Depth=1
	s_or_b32 exec_lo, exec_lo, s38
	s_and_saveexec_b32 s38, s14
	s_cbranch_execnz .LBB80_531
.LBB80_213:                             ;   in Loop: Header=BB80_3 Depth=1
	s_or_b32 exec_lo, exec_lo, s38
	s_and_saveexec_b32 s38, s2
	s_cbranch_execz .LBB80_215
.LBB80_214:                             ;   in Loop: Header=BB80_3 Depth=1
	ds_load_b128 v[204:207], v2 offset:240
	ds_load_b128 v[208:211], v25 offset:7936
	s_wait_dscnt 0x0
	v_mul_f64_e32 v[4:5], v[206:207], v[210:211]
	v_mul_f64_e32 v[42:43], v[204:205], v[210:211]
	s_delay_alu instid0(VALU_DEP_2) | instskip(NEXT) | instid1(VALU_DEP_2)
	v_fma_f64 v[4:5], v[204:205], v[208:209], -v[4:5]
	v_fmac_f64_e32 v[42:43], v[206:207], v[208:209]
	s_delay_alu instid0(VALU_DEP_2) | instskip(NEXT) | instid1(VALU_DEP_2)
	v_add_f64_e32 v[18:19], v[18:19], v[4:5]
	v_add_f64_e32 v[20:21], v[20:21], v[42:43]
.LBB80_215:                             ;   in Loop: Header=BB80_3 Depth=1
	s_or_b32 exec_lo, exec_lo, s38
	s_delay_alu instid0(VALU_DEP_2) | instskip(NEXT) | instid1(VALU_DEP_2)
	v_xor_b32_e32 v19, 0x80000000, v19
	v_xor_b32_e32 v21, 0x80000000, v21
.LBB80_216:                             ;   in Loop: Header=BB80_3 Depth=1
	s_or_b32 exec_lo, exec_lo, s36
	v_readlane_b32 s18, v203, 0
	s_and_saveexec_b32 s36, s18
; %bb.217:                              ;   in Loop: Header=BB80_3 Depth=1
	ds_store_b128 v153, v[18:21]
; %bb.218:                              ;   in Loop: Header=BB80_3 Depth=1
	s_or_b32 exec_lo, exec_lo, s36
	v_readlane_b32 s18, v203, 1
	s_wait_dscnt 0x0
	s_barrier_signal -1
	s_barrier_wait -1
	s_and_saveexec_b32 s36, s18
	s_cbranch_execz .LBB80_220
; %bb.219:                              ;   in Loop: Header=BB80_3 Depth=1
	ds_load_b128 v[204:207], v153
	ds_load_b128 v[208:211], v59 offset:8448
	s_wait_dscnt 0x0
	v_mul_f64_e32 v[4:5], v[206:207], v[210:211]
	v_mul_f64_e32 v[42:43], v[204:205], v[210:211]
	s_delay_alu instid0(VALU_DEP_2) | instskip(NEXT) | instid1(VALU_DEP_2)
	v_fma_f64 v[4:5], v[204:205], v[208:209], -v[4:5]
	v_fmac_f64_e32 v[42:43], v[206:207], v[208:209]
	s_delay_alu instid0(VALU_DEP_2) | instskip(NEXT) | instid1(VALU_DEP_2)
	v_add_f64_e32 v[18:19], v[18:19], v[4:5]
	v_add_f64_e32 v[20:21], v[20:21], v[42:43]
.LBB80_220:                             ;   in Loop: Header=BB80_3 Depth=1
	s_or_b32 exec_lo, exec_lo, s36
	v_readlane_b32 s18, v203, 2
	s_barrier_signal -1
	s_barrier_wait -1
	s_and_saveexec_b32 s36, s18
; %bb.221:                              ;   in Loop: Header=BB80_3 Depth=1
	ds_store_b128 v153, v[18:21]
; %bb.222:                              ;   in Loop: Header=BB80_3 Depth=1
	s_or_b32 exec_lo, exec_lo, s36
	v_readlane_b32 s18, v203, 3
	s_wait_dscnt 0x0
	s_barrier_signal -1
	s_barrier_wait -1
	s_and_saveexec_b32 s36, s18
	s_cbranch_execz .LBB80_224
; %bb.223:                              ;   in Loop: Header=BB80_3 Depth=1
	ds_load_b128 v[204:207], v153
	ds_load_b128 v[208:211], v59 offset:8960
	s_wait_dscnt 0x0
	v_mul_f64_e32 v[4:5], v[206:207], v[210:211]
	v_mul_f64_e32 v[42:43], v[204:205], v[210:211]
	s_delay_alu instid0(VALU_DEP_2) | instskip(NEXT) | instid1(VALU_DEP_2)
	v_fma_f64 v[4:5], v[204:205], v[208:209], -v[4:5]
	v_fmac_f64_e32 v[42:43], v[206:207], v[208:209]
	s_delay_alu instid0(VALU_DEP_2) | instskip(NEXT) | instid1(VALU_DEP_2)
	v_add_f64_e32 v[18:19], v[18:19], v[4:5]
	v_add_f64_e32 v[20:21], v[20:21], v[42:43]
.LBB80_224:                             ;   in Loop: Header=BB80_3 Depth=1
	s_or_b32 exec_lo, exec_lo, s36
	v_readlane_b32 s18, v203, 4
	s_barrier_signal -1
	s_barrier_wait -1
	;; [unrolled: 28-line block ×8, first 2 shown]
	s_and_saveexec_b32 s36, s18
; %bb.249:                              ;   in Loop: Header=BB80_3 Depth=1
	ds_store_b128 v153, v[18:21]
; %bb.250:                              ;   in Loop: Header=BB80_3 Depth=1
	s_or_b32 exec_lo, exec_lo, s36
	s_wait_dscnt 0x0
	s_barrier_signal -1
	s_barrier_wait -1
	s_and_saveexec_b32 s36, s19
	s_cbranch_execz .LBB80_252
; %bb.251:                              ;   in Loop: Header=BB80_3 Depth=1
	ds_load_b128 v[204:207], v153
	ds_load_b128 v[208:211], v59 offset:12544
	s_wait_dscnt 0x0
	v_mul_f64_e32 v[4:5], v[206:207], v[210:211]
	v_mul_f64_e32 v[42:43], v[204:205], v[210:211]
	s_delay_alu instid0(VALU_DEP_2) | instskip(NEXT) | instid1(VALU_DEP_2)
	v_fma_f64 v[4:5], v[204:205], v[208:209], -v[4:5]
	v_fmac_f64_e32 v[42:43], v[206:207], v[208:209]
	s_delay_alu instid0(VALU_DEP_2) | instskip(NEXT) | instid1(VALU_DEP_2)
	v_add_f64_e32 v[18:19], v[18:19], v[4:5]
	v_add_f64_e32 v[20:21], v[20:21], v[42:43]
.LBB80_252:                             ;   in Loop: Header=BB80_3 Depth=1
	s_or_b32 exec_lo, exec_lo, s36
	s_barrier_signal -1
	s_barrier_wait -1
	s_and_saveexec_b32 s36, s20
; %bb.253:                              ;   in Loop: Header=BB80_3 Depth=1
	ds_store_b128 v153, v[18:21]
; %bb.254:                              ;   in Loop: Header=BB80_3 Depth=1
	s_or_b32 exec_lo, exec_lo, s36
	s_wait_dscnt 0x0
	s_barrier_signal -1
	s_barrier_wait -1
	s_and_saveexec_b32 s36, s21
	s_cbranch_execz .LBB80_256
; %bb.255:                              ;   in Loop: Header=BB80_3 Depth=1
	ds_load_b128 v[204:207], v153
	ds_load_b128 v[208:211], v59 offset:13056
	s_wait_dscnt 0x0
	v_mul_f64_e32 v[4:5], v[206:207], v[210:211]
	v_mul_f64_e32 v[42:43], v[204:205], v[210:211]
	s_delay_alu instid0(VALU_DEP_2) | instskip(NEXT) | instid1(VALU_DEP_2)
	v_fma_f64 v[4:5], v[204:205], v[208:209], -v[4:5]
	v_fmac_f64_e32 v[42:43], v[206:207], v[208:209]
	s_delay_alu instid0(VALU_DEP_2) | instskip(NEXT) | instid1(VALU_DEP_2)
	v_add_f64_e32 v[18:19], v[18:19], v[4:5]
	v_add_f64_e32 v[20:21], v[20:21], v[42:43]
.LBB80_256:                             ;   in Loop: Header=BB80_3 Depth=1
	s_or_b32 exec_lo, exec_lo, s36
	s_barrier_signal -1
	s_barrier_wait -1
	;; [unrolled: 26-line block ×7, first 2 shown]
	s_and_saveexec_b32 s36, s92
; %bb.277:                              ;   in Loop: Header=BB80_3 Depth=1
	ds_store_b128 v153, v[18:21]
; %bb.278:                              ;   in Loop: Header=BB80_3 Depth=1
	s_or_b32 exec_lo, exec_lo, s36
	s_wait_dscnt 0x0
	s_barrier_signal -1
	s_barrier_wait -1
	s_barrier_signal -1
	s_barrier_wait -1
	s_and_saveexec_b32 s36, s4
; %bb.279:                              ;   in Loop: Header=BB80_3 Depth=1
	v_xor_b32_e32 v21, 0x80000000, v21
	v_xor_b32_e32 v19, 0x80000000, v19
	ds_store_b128 v154, v[18:21] offset:256
; %bb.280:                              ;   in Loop: Header=BB80_3 Depth=1
	s_or_b32 exec_lo, exec_lo, s36
	s_wait_dscnt 0x0
	s_barrier_signal -1
	s_barrier_wait -1
	s_barrier_signal -1
	s_barrier_wait -1
	s_and_saveexec_b32 s36, s94
	s_cbranch_execz .LBB80_282
; %bb.281:                              ;   in Loop: Header=BB80_3 Depth=1
	ds_load_b128 v[18:21], v98
	s_wait_dscnt 0x0
	ds_store_b128 v114, v[18:21]
	ds_load_b128 v[18:21], v99
	s_wait_dscnt 0x0
	ds_store_b128 v115, v[18:21]
	ds_load_b128 v[18:21], v100
	s_wait_dscnt 0x0
	ds_store_b128 v116, v[18:21]
	ds_load_b128 v[18:21], v101
	s_wait_dscnt 0x0
	ds_store_b128 v117, v[18:21]
	ds_load_b128 v[18:21], v102
	s_wait_dscnt 0x0
	ds_store_b128 v118, v[18:21]
	ds_load_b128 v[18:21], v103
	s_wait_dscnt 0x0
	ds_store_b128 v119, v[18:21]
	ds_load_b128 v[18:21], v104
	s_wait_dscnt 0x0
	ds_store_b128 v120, v[18:21]
	ds_load_b128 v[18:21], v105
	s_wait_dscnt 0x0
	ds_store_b128 v121, v[18:21]
	ds_load_b128 v[18:21], v106
	s_wait_dscnt 0x0
	ds_store_b128 v122, v[18:21]
	ds_load_b128 v[18:21], v107
	s_wait_dscnt 0x0
	ds_store_b128 v123, v[18:21]
	ds_load_b128 v[18:21], v108
	s_wait_dscnt 0x0
	ds_store_b128 v124, v[18:21]
	ds_load_b128 v[18:21], v109
	s_wait_dscnt 0x0
	ds_store_b128 v125, v[18:21]
	ds_load_b128 v[18:21], v110
	s_wait_dscnt 0x0
	ds_store_b128 v126, v[18:21]
	ds_load_b128 v[18:21], v111
	s_wait_dscnt 0x0
	ds_store_b128 v127, v[18:21]
	ds_load_b128 v[18:21], v112
	s_wait_dscnt 0x0
	ds_store_b128 v128, v[18:21]
	ds_load_b128 v[18:21], v197
	s_wait_dscnt 0x0
	ds_store_b128 v129, v[18:21]
.LBB80_282:                             ;   in Loop: Header=BB80_3 Depth=1
	s_or_b32 exec_lo, exec_lo, s36
	s_wait_dscnt 0x0
	s_barrier_signal -1
	s_barrier_wait -1
	s_and_saveexec_b32 s58, s27
	s_cbranch_execz .LBB80_284
; %bb.283:                              ;   in Loop: Header=BB80_3 Depth=1
	s_mov_b32 s36, s35
	s_mov_b32 s38, s35
	;; [unrolled: 1-line block ×3, first 2 shown]
	v_mov_b64_e32 v[18:19], s[36:37]
	v_mov_b64_e32 v[20:21], s[38:39]
	ds_store_b128 v2, v[18:21] offset:8448
	ds_store_b128 v2, v[18:21] offset:8976
	ds_load_b128 v[18:21], v2 offset:8464
	s_wait_dscnt 0x0
	ds_store_b128 v2, v[18:21] offset:8960
.LBB80_284:                             ;   in Loop: Header=BB80_3 Depth=1
	s_or_b32 exec_lo, exec_lo, s58
	v_mov_b64_e32 v[20:21], 0
	v_mov_b64_e32 v[18:19], 0
	s_wait_dscnt 0x0
	s_barrier_signal -1
	s_barrier_wait -1
	s_and_saveexec_b32 s36, s0
	s_cbranch_execz .LBB80_288
; %bb.285:                              ;   in Loop: Header=BB80_3 Depth=1
	ds_load_b128 v[18:21], v183 offset:8448
	ds_load_b128 v[204:207], v182 offset:8480
	s_wait_dscnt 0x0
	v_mul_f64_e32 v[4:5], v[20:21], v[206:207]
	v_mul_f64_e32 v[42:43], v[18:19], v[206:207]
	s_delay_alu instid0(VALU_DEP_2) | instskip(NEXT) | instid1(VALU_DEP_2)
	v_fma_f64 v[4:5], v[18:19], v[204:205], -v[4:5]
	v_fmac_f64_e32 v[42:43], v[20:21], v[204:205]
	s_delay_alu instid0(VALU_DEP_2) | instskip(NEXT) | instid1(VALU_DEP_2)
	v_add_f64_e32 v[18:19], 0, v[4:5]
	v_add_f64_e32 v[20:21], 0, v[42:43]
	s_and_saveexec_b32 s38, s8
	s_cbranch_execz .LBB80_287
; %bb.286:                              ;   in Loop: Header=BB80_3 Depth=1
	ds_load_b128 v[204:207], v2 offset:8464
	ds_load_b128 v[208:211], v25 offset:8992
	s_wait_dscnt 0x0
	v_mul_f64_e32 v[4:5], v[206:207], v[210:211]
	v_mul_f64_e32 v[42:43], v[204:205], v[210:211]
	s_delay_alu instid0(VALU_DEP_2) | instskip(NEXT) | instid1(VALU_DEP_2)
	v_fma_f64 v[4:5], v[204:205], v[208:209], -v[4:5]
	v_fmac_f64_e32 v[42:43], v[206:207], v[208:209]
	s_delay_alu instid0(VALU_DEP_2) | instskip(NEXT) | instid1(VALU_DEP_2)
	v_add_f64_e32 v[18:19], v[18:19], v[4:5]
	v_add_f64_e32 v[20:21], v[20:21], v[42:43]
.LBB80_287:                             ;   in Loop: Header=BB80_3 Depth=1
	s_or_b32 exec_lo, exec_lo, s38
	s_delay_alu instid0(VALU_DEP_2) | instskip(NEXT) | instid1(VALU_DEP_2)
	v_xor_b32_e32 v19, 0x80000000, v19
	v_xor_b32_e32 v21, 0x80000000, v21
.LBB80_288:                             ;   in Loop: Header=BB80_3 Depth=1
	s_or_b32 exec_lo, exec_lo, s36
	s_and_saveexec_b32 s36, s65
; %bb.289:                              ;   in Loop: Header=BB80_3 Depth=1
	ds_store_b128 v27, v[18:21]
; %bb.290:                              ;   in Loop: Header=BB80_3 Depth=1
	s_or_b32 exec_lo, exec_lo, s36
	s_wait_dscnt 0x0
	s_barrier_signal -1
	s_barrier_wait -1
	s_and_saveexec_b32 s36, s66
	s_cbranch_execz .LBB80_292
; %bb.291:                              ;   in Loop: Header=BB80_3 Depth=1
	ds_load_b128 v[204:207], v27
	ds_load_b128 v[208:211], v2 offset:9520
	s_wait_dscnt 0x0
	v_mul_f64_e32 v[4:5], v[206:207], v[210:211]
	v_mul_f64_e32 v[42:43], v[204:205], v[210:211]
	s_delay_alu instid0(VALU_DEP_2) | instskip(NEXT) | instid1(VALU_DEP_2)
	v_fma_f64 v[4:5], v[204:205], v[208:209], -v[4:5]
	v_fmac_f64_e32 v[42:43], v[206:207], v[208:209]
	s_delay_alu instid0(VALU_DEP_2) | instskip(NEXT) | instid1(VALU_DEP_2)
	v_add_f64_e32 v[18:19], v[18:19], v[4:5]
	v_add_f64_e32 v[20:21], v[20:21], v[42:43]
.LBB80_292:                             ;   in Loop: Header=BB80_3 Depth=1
	s_or_b32 exec_lo, exec_lo, s36
	s_barrier_signal -1
	s_barrier_wait -1
	s_and_saveexec_b32 s36, s66
; %bb.293:                              ;   in Loop: Header=BB80_3 Depth=1
	ds_store_b128 v27, v[18:21]
; %bb.294:                              ;   in Loop: Header=BB80_3 Depth=1
	s_or_b32 exec_lo, exec_lo, s36
	s_wait_dscnt 0x0
	s_barrier_signal -1
	s_barrier_wait -1
	s_barrier_signal -1
	s_barrier_wait -1
	s_and_saveexec_b32 s36, s0
; %bb.295:                              ;   in Loop: Header=BB80_3 Depth=1
	v_xor_b32_e32 v19, 0x80000000, v19
	v_xor_b32_e32 v21, 0x80000000, v21
	ds_store_b128 v182, v[18:21] offset:8480
; %bb.296:                              ;   in Loop: Header=BB80_3 Depth=1
	s_or_b32 exec_lo, exec_lo, s36
	s_wait_dscnt 0x0
	s_barrier_signal -1
	s_barrier_wait -1
	s_barrier_signal -1
	s_barrier_wait -1
	s_and_saveexec_b32 s36, s67
	s_cbranch_execz .LBB80_298
; %bb.297:                              ;   in Loop: Header=BB80_3 Depth=1
	ds_load_b128 v[18:21], v60
	s_wait_dscnt 0x0
	ds_store_b128 v155, v[18:21]
	ds_load_b128 v[18:21], v61
	s_wait_dscnt 0x0
	ds_store_b128 v156, v[18:21]
.LBB80_298:                             ;   in Loop: Header=BB80_3 Depth=1
	s_or_b32 exec_lo, exec_lo, s36
	s_wait_dscnt 0x0
	s_barrier_signal -1
	s_barrier_wait -1
	s_and_saveexec_b32 s58, s27
	s_cbranch_execz .LBB80_300
; %bb.299:                              ;   in Loop: Header=BB80_3 Depth=1
	s_mov_b32 s36, s35
	s_mov_b32 s38, s35
	;; [unrolled: 1-line block ×3, first 2 shown]
	v_mov_b64_e32 v[18:19], s[36:37]
	v_mov_b64_e32 v[20:21], s[38:39]
	ds_store_b128 v2, v[18:21] offset:9504
	ds_store_b128 v2, v[18:21] offset:10032
	ds_load_b128 v[18:21], v2 offset:9520
	s_wait_dscnt 0x0
	ds_store_b128 v2, v[18:21] offset:10016
.LBB80_300:                             ;   in Loop: Header=BB80_3 Depth=1
	s_or_b32 exec_lo, exec_lo, s58
	v_mov_b64_e32 v[20:21], 0
	v_mov_b64_e32 v[18:19], 0
	s_wait_dscnt 0x0
	s_barrier_signal -1
	s_barrier_wait -1
	s_and_saveexec_b32 s36, s2
	s_cbranch_execz .LBB80_306
; %bb.301:                              ;   in Loop: Header=BB80_3 Depth=1
	ds_load_b128 v[18:21], v45 offset:8448
	ds_load_b128 v[204:207], v186 offset:8512
	s_wait_dscnt 0x0
	v_mul_f64_e32 v[4:5], v[20:21], v[206:207]
	v_mul_f64_e32 v[42:43], v[18:19], v[206:207]
	s_delay_alu instid0(VALU_DEP_2) | instskip(NEXT) | instid1(VALU_DEP_2)
	v_fma_f64 v[4:5], v[18:19], v[204:205], -v[4:5]
	v_fmac_f64_e32 v[42:43], v[20:21], v[204:205]
	s_delay_alu instid0(VALU_DEP_2) | instskip(NEXT) | instid1(VALU_DEP_2)
	v_add_f64_e32 v[18:19], 0, v[4:5]
	v_add_f64_e32 v[20:21], 0, v[42:43]
	s_and_saveexec_b32 s38, s9
	s_cbranch_execnz .LBB80_532
; %bb.302:                              ;   in Loop: Header=BB80_3 Depth=1
	s_or_b32 exec_lo, exec_lo, s38
	s_and_saveexec_b32 s38, s10
	s_cbranch_execnz .LBB80_533
.LBB80_303:                             ;   in Loop: Header=BB80_3 Depth=1
	s_or_b32 exec_lo, exec_lo, s38
	s_and_saveexec_b32 s38, s0
	s_cbranch_execz .LBB80_305
.LBB80_304:                             ;   in Loop: Header=BB80_3 Depth=1
	ds_load_b128 v[204:207], v2 offset:8496
	ds_load_b128 v[208:211], v44 offset:10048
	s_wait_dscnt 0x0
	v_mul_f64_e32 v[4:5], v[206:207], v[210:211]
	v_mul_f64_e32 v[42:43], v[204:205], v[210:211]
	s_delay_alu instid0(VALU_DEP_2) | instskip(NEXT) | instid1(VALU_DEP_2)
	v_fma_f64 v[4:5], v[204:205], v[208:209], -v[4:5]
	v_fmac_f64_e32 v[42:43], v[206:207], v[208:209]
	s_delay_alu instid0(VALU_DEP_2) | instskip(NEXT) | instid1(VALU_DEP_2)
	v_add_f64_e32 v[18:19], v[18:19], v[4:5]
	v_add_f64_e32 v[20:21], v[20:21], v[42:43]
.LBB80_305:                             ;   in Loop: Header=BB80_3 Depth=1
	s_or_b32 exec_lo, exec_lo, s38
	s_delay_alu instid0(VALU_DEP_2) | instskip(NEXT) | instid1(VALU_DEP_2)
	v_xor_b32_e32 v19, 0x80000000, v19
	v_xor_b32_e32 v21, 0x80000000, v21
.LBB80_306:                             ;   in Loop: Header=BB80_3 Depth=1
	s_or_b32 exec_lo, exec_lo, s36
	s_and_saveexec_b32 s36, s68
; %bb.307:                              ;   in Loop: Header=BB80_3 Depth=1
	ds_store_b128 v185, v[18:21]
; %bb.308:                              ;   in Loop: Header=BB80_3 Depth=1
	s_or_b32 exec_lo, exec_lo, s36
	s_wait_dscnt 0x0
	s_barrier_signal -1
	s_barrier_wait -1
	s_and_saveexec_b32 s36, s69
	s_cbranch_execz .LBB80_310
; %bb.309:                              ;   in Loop: Header=BB80_3 Depth=1
	ds_load_b128 v[204:207], v185
	ds_load_b128 v[208:211], v181 offset:10560
	s_wait_dscnt 0x0
	v_mul_f64_e32 v[4:5], v[206:207], v[210:211]
	v_mul_f64_e32 v[42:43], v[204:205], v[210:211]
	s_delay_alu instid0(VALU_DEP_2) | instskip(NEXT) | instid1(VALU_DEP_2)
	v_fma_f64 v[4:5], v[204:205], v[208:209], -v[4:5]
	v_fmac_f64_e32 v[42:43], v[206:207], v[208:209]
	s_delay_alu instid0(VALU_DEP_2) | instskip(NEXT) | instid1(VALU_DEP_2)
	v_add_f64_e32 v[18:19], v[18:19], v[4:5]
	v_add_f64_e32 v[20:21], v[20:21], v[42:43]
.LBB80_310:                             ;   in Loop: Header=BB80_3 Depth=1
	s_or_b32 exec_lo, exec_lo, s36
	s_barrier_signal -1
	s_barrier_wait -1
	s_and_saveexec_b32 s36, s70
; %bb.311:                              ;   in Loop: Header=BB80_3 Depth=1
	ds_store_b128 v185, v[18:21]
; %bb.312:                              ;   in Loop: Header=BB80_3 Depth=1
	s_or_b32 exec_lo, exec_lo, s36
	s_wait_dscnt 0x0
	s_barrier_signal -1
	s_barrier_wait -1
	s_and_saveexec_b32 s36, s71
	s_cbranch_execz .LBB80_314
; %bb.313:                              ;   in Loop: Header=BB80_3 Depth=1
	ds_load_b128 v[204:207], v185
	ds_load_b128 v[208:211], v181 offset:11072
	s_wait_dscnt 0x0
	v_mul_f64_e32 v[4:5], v[206:207], v[210:211]
	v_mul_f64_e32 v[42:43], v[204:205], v[210:211]
	s_delay_alu instid0(VALU_DEP_2) | instskip(NEXT) | instid1(VALU_DEP_2)
	v_fma_f64 v[4:5], v[204:205], v[208:209], -v[4:5]
	v_fmac_f64_e32 v[42:43], v[206:207], v[208:209]
	s_delay_alu instid0(VALU_DEP_2) | instskip(NEXT) | instid1(VALU_DEP_2)
	v_add_f64_e32 v[18:19], v[18:19], v[4:5]
	v_add_f64_e32 v[20:21], v[20:21], v[42:43]
.LBB80_314:                             ;   in Loop: Header=BB80_3 Depth=1
	s_or_b32 exec_lo, exec_lo, s36
	s_barrier_signal -1
	s_barrier_wait -1
	;; [unrolled: 26-line block ×3, first 2 shown]
	s_and_saveexec_b32 s36, s73
; %bb.319:                              ;   in Loop: Header=BB80_3 Depth=1
	ds_store_b128 v185, v[18:21]
; %bb.320:                              ;   in Loop: Header=BB80_3 Depth=1
	s_or_b32 exec_lo, exec_lo, s36
	s_wait_dscnt 0x0
	s_barrier_signal -1
	s_barrier_wait -1
	s_barrier_signal -1
	s_barrier_wait -1
	s_and_saveexec_b32 s36, s2
; %bb.321:                              ;   in Loop: Header=BB80_3 Depth=1
	v_xor_b32_e32 v21, 0x80000000, v21
	v_xor_b32_e32 v19, 0x80000000, v19
	ds_store_b128 v186, v[18:21] offset:8512
; %bb.322:                              ;   in Loop: Header=BB80_3 Depth=1
	s_or_b32 exec_lo, exec_lo, s36
	s_wait_dscnt 0x0
	s_barrier_signal -1
	s_barrier_wait -1
	s_barrier_signal -1
	s_barrier_wait -1
	s_and_saveexec_b32 s36, s74
	s_cbranch_execz .LBB80_324
; %bb.323:                              ;   in Loop: Header=BB80_3 Depth=1
	ds_load_b128 v[18:21], v75
	s_wait_dscnt 0x0
	ds_store_b128 v157, v[18:21]
	ds_load_b128 v[18:21], v78
	s_wait_dscnt 0x0
	ds_store_b128 v160, v[18:21]
	;; [unrolled: 3-line block ×4, first 2 shown]
.LBB80_324:                             ;   in Loop: Header=BB80_3 Depth=1
	s_or_b32 exec_lo, exec_lo, s36
	s_wait_dscnt 0x0
	s_barrier_signal -1
	s_barrier_wait -1
	s_and_saveexec_b32 s58, s27
	s_cbranch_execz .LBB80_326
; %bb.325:                              ;   in Loop: Header=BB80_3 Depth=1
	s_mov_b32 s36, s35
	s_mov_b32 s38, s35
	;; [unrolled: 1-line block ×3, first 2 shown]
	v_mov_b64_e32 v[18:19], s[36:37]
	v_mov_b64_e32 v[20:21], s[38:39]
	ds_store_b128 v2, v[18:21] offset:10560
	ds_store_b128 v2, v[18:21] offset:11088
	ds_load_b128 v[18:21], v2 offset:10576
	s_wait_dscnt 0x0
	ds_store_b128 v2, v[18:21] offset:11072
.LBB80_326:                             ;   in Loop: Header=BB80_3 Depth=1
	s_or_b32 exec_lo, exec_lo, s58
	v_mov_b64_e32 v[20:21], 0
	v_mov_b64_e32 v[18:19], 0
	s_wait_dscnt 0x0
	s_barrier_signal -1
	s_barrier_wait -1
	s_and_saveexec_b32 s36, s0
	s_cbranch_execz .LBB80_330
; %bb.327:                              ;   in Loop: Header=BB80_3 Depth=1
	ds_load_b128 v[18:21], v183 offset:10560
	ds_load_b128 v[204:207], v182 offset:10592
	s_wait_dscnt 0x0
	v_mul_f64_e32 v[4:5], v[20:21], v[206:207]
	v_mul_f64_e32 v[42:43], v[18:19], v[206:207]
	s_delay_alu instid0(VALU_DEP_2) | instskip(NEXT) | instid1(VALU_DEP_2)
	v_fma_f64 v[4:5], v[18:19], v[204:205], -v[4:5]
	v_fmac_f64_e32 v[42:43], v[20:21], v[204:205]
	s_delay_alu instid0(VALU_DEP_2) | instskip(NEXT) | instid1(VALU_DEP_2)
	v_add_f64_e32 v[18:19], 0, v[4:5]
	v_add_f64_e32 v[20:21], 0, v[42:43]
	s_and_saveexec_b32 s38, s8
	s_cbranch_execz .LBB80_329
; %bb.328:                              ;   in Loop: Header=BB80_3 Depth=1
	ds_load_b128 v[204:207], v2 offset:10576
	ds_load_b128 v[208:211], v71 offset:11104
	s_wait_dscnt 0x0
	v_mul_f64_e32 v[4:5], v[206:207], v[210:211]
	v_mul_f64_e32 v[42:43], v[204:205], v[210:211]
	s_delay_alu instid0(VALU_DEP_2) | instskip(NEXT) | instid1(VALU_DEP_2)
	v_fma_f64 v[4:5], v[204:205], v[208:209], -v[4:5]
	v_fmac_f64_e32 v[42:43], v[206:207], v[208:209]
	s_delay_alu instid0(VALU_DEP_2) | instskip(NEXT) | instid1(VALU_DEP_2)
	v_add_f64_e32 v[18:19], v[18:19], v[4:5]
	v_add_f64_e32 v[20:21], v[20:21], v[42:43]
.LBB80_329:                             ;   in Loop: Header=BB80_3 Depth=1
	s_or_b32 exec_lo, exec_lo, s38
	s_delay_alu instid0(VALU_DEP_2) | instskip(NEXT) | instid1(VALU_DEP_2)
	v_xor_b32_e32 v19, 0x80000000, v19
	v_xor_b32_e32 v21, 0x80000000, v21
.LBB80_330:                             ;   in Loop: Header=BB80_3 Depth=1
	s_or_b32 exec_lo, exec_lo, s36
	s_and_saveexec_b32 s36, s65
; %bb.331:                              ;   in Loop: Header=BB80_3 Depth=1
	ds_store_b128 v27, v[18:21]
; %bb.332:                              ;   in Loop: Header=BB80_3 Depth=1
	s_or_b32 exec_lo, exec_lo, s36
	s_wait_dscnt 0x0
	s_barrier_signal -1
	s_barrier_wait -1
	s_and_saveexec_b32 s36, s66
	s_cbranch_execz .LBB80_334
; %bb.333:                              ;   in Loop: Header=BB80_3 Depth=1
	ds_load_b128 v[204:207], v27
	ds_load_b128 v[208:211], v2 offset:11632
	s_wait_dscnt 0x0
	v_mul_f64_e32 v[4:5], v[206:207], v[210:211]
	v_mul_f64_e32 v[42:43], v[204:205], v[210:211]
	s_delay_alu instid0(VALU_DEP_2) | instskip(NEXT) | instid1(VALU_DEP_2)
	v_fma_f64 v[4:5], v[204:205], v[208:209], -v[4:5]
	v_fmac_f64_e32 v[42:43], v[206:207], v[208:209]
	s_delay_alu instid0(VALU_DEP_2) | instskip(NEXT) | instid1(VALU_DEP_2)
	v_add_f64_e32 v[18:19], v[18:19], v[4:5]
	v_add_f64_e32 v[20:21], v[20:21], v[42:43]
.LBB80_334:                             ;   in Loop: Header=BB80_3 Depth=1
	s_or_b32 exec_lo, exec_lo, s36
	s_barrier_signal -1
	s_barrier_wait -1
	s_and_saveexec_b32 s36, s66
; %bb.335:                              ;   in Loop: Header=BB80_3 Depth=1
	ds_store_b128 v27, v[18:21]
; %bb.336:                              ;   in Loop: Header=BB80_3 Depth=1
	s_or_b32 exec_lo, exec_lo, s36
	s_wait_dscnt 0x0
	s_barrier_signal -1
	s_barrier_wait -1
	s_barrier_signal -1
	s_barrier_wait -1
	s_and_saveexec_b32 s36, s0
; %bb.337:                              ;   in Loop: Header=BB80_3 Depth=1
	v_xor_b32_e32 v19, 0x80000000, v19
	v_xor_b32_e32 v21, 0x80000000, v21
	ds_store_b128 v182, v[18:21] offset:10592
; %bb.338:                              ;   in Loop: Header=BB80_3 Depth=1
	s_or_b32 exec_lo, exec_lo, s36
	s_wait_dscnt 0x0
	s_barrier_signal -1
	s_barrier_wait -1
	s_barrier_signal -1
	s_barrier_wait -1
	s_and_saveexec_b32 s36, s67
	s_cbranch_execz .LBB80_340
; %bb.339:                              ;   in Loop: Header=BB80_3 Depth=1
	ds_load_b128 v[18:21], v87
	s_wait_dscnt 0x0
	ds_store_b128 v161, v[18:21]
	ds_load_b128 v[18:21], v88
	s_wait_dscnt 0x0
	ds_store_b128 v162, v[18:21]
.LBB80_340:                             ;   in Loop: Header=BB80_3 Depth=1
	s_or_b32 exec_lo, exec_lo, s36
	s_wait_dscnt 0x0
	s_barrier_signal -1
	s_barrier_wait -1
	s_and_saveexec_b32 s58, s27
	s_cbranch_execz .LBB80_342
; %bb.341:                              ;   in Loop: Header=BB80_3 Depth=1
	s_mov_b32 s36, s35
	s_mov_b32 s38, s35
	;; [unrolled: 1-line block ×3, first 2 shown]
	v_mov_b64_e32 v[18:19], s[36:37]
	v_mov_b64_e32 v[20:21], s[38:39]
	ds_store_b128 v2, v[18:21] offset:11616
	ds_store_b128 v2, v[18:21] offset:12144
	ds_load_b128 v[18:21], v2 offset:11632
	s_wait_dscnt 0x0
	ds_store_b128 v2, v[18:21] offset:12128
.LBB80_342:                             ;   in Loop: Header=BB80_3 Depth=1
	s_or_b32 exec_lo, exec_lo, s58
	v_mov_b64_e32 v[20:21], 0
	v_mov_b64_e32 v[18:19], 0
	s_wait_dscnt 0x0
	s_barrier_signal -1
	s_barrier_wait -1
	s_and_saveexec_b32 s36, s3
	s_cbranch_execz .LBB80_352
; %bb.343:                              ;   in Loop: Header=BB80_3 Depth=1
	ds_load_b128 v[18:21], v46 offset:8448
	ds_load_b128 v[204:207], v189 offset:8576
	s_wait_dscnt 0x0
	v_mul_f64_e32 v[4:5], v[20:21], v[206:207]
	v_mul_f64_e32 v[42:43], v[18:19], v[206:207]
	s_delay_alu instid0(VALU_DEP_2) | instskip(NEXT) | instid1(VALU_DEP_2)
	v_fma_f64 v[4:5], v[18:19], v[204:205], -v[4:5]
	v_fmac_f64_e32 v[42:43], v[20:21], v[204:205]
	s_delay_alu instid0(VALU_DEP_2) | instskip(NEXT) | instid1(VALU_DEP_2)
	v_add_f64_e32 v[18:19], 0, v[4:5]
	v_add_f64_e32 v[20:21], 0, v[42:43]
	s_and_saveexec_b32 s38, s11
	s_cbranch_execnz .LBB80_534
; %bb.344:                              ;   in Loop: Header=BB80_3 Depth=1
	s_or_b32 exec_lo, exec_lo, s38
	s_and_saveexec_b32 s38, s12
	s_cbranch_execnz .LBB80_535
.LBB80_345:                             ;   in Loop: Header=BB80_3 Depth=1
	s_or_b32 exec_lo, exec_lo, s38
	s_and_saveexec_b32 s38, s13
	s_cbranch_execnz .LBB80_536
.LBB80_346:                             ;   in Loop: Header=BB80_3 Depth=1
	s_or_b32 exec_lo, exec_lo, s38
	s_and_saveexec_b32 s38, s14
	s_cbranch_execnz .LBB80_537
.LBB80_347:                             ;   in Loop: Header=BB80_3 Depth=1
	s_or_b32 exec_lo, exec_lo, s38
	s_and_saveexec_b32 s38, s15
	s_cbranch_execnz .LBB80_538
.LBB80_348:                             ;   in Loop: Header=BB80_3 Depth=1
	s_or_b32 exec_lo, exec_lo, s38
	s_and_saveexec_b32 s38, s2
	s_cbranch_execnz .LBB80_539
.LBB80_349:                             ;   in Loop: Header=BB80_3 Depth=1
	s_or_b32 exec_lo, exec_lo, s38
	s_and_saveexec_b32 s38, s10
	s_cbranch_execz .LBB80_351
.LBB80_350:                             ;   in Loop: Header=BB80_3 Depth=1
	ds_load_b128 v[204:207], v2 offset:8560
	ds_load_b128 v[208:211], v25 offset:12160
	s_wait_dscnt 0x0
	v_mul_f64_e32 v[4:5], v[206:207], v[210:211]
	v_mul_f64_e32 v[42:43], v[204:205], v[210:211]
	s_delay_alu instid0(VALU_DEP_2) | instskip(NEXT) | instid1(VALU_DEP_2)
	v_fma_f64 v[4:5], v[204:205], v[208:209], -v[4:5]
	v_fmac_f64_e32 v[42:43], v[206:207], v[208:209]
	s_delay_alu instid0(VALU_DEP_2) | instskip(NEXT) | instid1(VALU_DEP_2)
	v_add_f64_e32 v[18:19], v[18:19], v[4:5]
	v_add_f64_e32 v[20:21], v[20:21], v[42:43]
.LBB80_351:                             ;   in Loop: Header=BB80_3 Depth=1
	s_or_b32 exec_lo, exec_lo, s38
	s_delay_alu instid0(VALU_DEP_2) | instskip(NEXT) | instid1(VALU_DEP_2)
	v_xor_b32_e32 v19, 0x80000000, v19
	v_xor_b32_e32 v21, 0x80000000, v21
.LBB80_352:                             ;   in Loop: Header=BB80_3 Depth=1
	s_or_b32 exec_lo, exec_lo, s36
	s_and_saveexec_b32 s36, s75
; %bb.353:                              ;   in Loop: Header=BB80_3 Depth=1
	ds_store_b128 v188, v[18:21]
; %bb.354:                              ;   in Loop: Header=BB80_3 Depth=1
	s_or_b32 exec_lo, exec_lo, s36
	s_wait_dscnt 0x0
	s_barrier_signal -1
	s_barrier_wait -1
	s_and_saveexec_b32 s36, s76
	s_cbranch_execz .LBB80_356
; %bb.355:                              ;   in Loop: Header=BB80_3 Depth=1
	ds_load_b128 v[204:207], v188
	ds_load_b128 v[208:211], v184 offset:12672
	s_wait_dscnt 0x0
	v_mul_f64_e32 v[4:5], v[206:207], v[210:211]
	v_mul_f64_e32 v[42:43], v[204:205], v[210:211]
	s_delay_alu instid0(VALU_DEP_2) | instskip(NEXT) | instid1(VALU_DEP_2)
	v_fma_f64 v[4:5], v[204:205], v[208:209], -v[4:5]
	v_fmac_f64_e32 v[42:43], v[206:207], v[208:209]
	s_delay_alu instid0(VALU_DEP_2) | instskip(NEXT) | instid1(VALU_DEP_2)
	v_add_f64_e32 v[18:19], v[18:19], v[4:5]
	v_add_f64_e32 v[20:21], v[20:21], v[42:43]
.LBB80_356:                             ;   in Loop: Header=BB80_3 Depth=1
	s_or_b32 exec_lo, exec_lo, s36
	s_barrier_signal -1
	s_barrier_wait -1
	s_and_saveexec_b32 s36, s77
; %bb.357:                              ;   in Loop: Header=BB80_3 Depth=1
	ds_store_b128 v188, v[18:21]
; %bb.358:                              ;   in Loop: Header=BB80_3 Depth=1
	s_or_b32 exec_lo, exec_lo, s36
	s_wait_dscnt 0x0
	s_barrier_signal -1
	s_barrier_wait -1
	s_and_saveexec_b32 s36, s78
	s_cbranch_execz .LBB80_360
; %bb.359:                              ;   in Loop: Header=BB80_3 Depth=1
	ds_load_b128 v[204:207], v188
	ds_load_b128 v[208:211], v184 offset:13184
	s_wait_dscnt 0x0
	v_mul_f64_e32 v[4:5], v[206:207], v[210:211]
	v_mul_f64_e32 v[42:43], v[204:205], v[210:211]
	s_delay_alu instid0(VALU_DEP_2) | instskip(NEXT) | instid1(VALU_DEP_2)
	v_fma_f64 v[4:5], v[204:205], v[208:209], -v[4:5]
	v_fmac_f64_e32 v[42:43], v[206:207], v[208:209]
	s_delay_alu instid0(VALU_DEP_2) | instskip(NEXT) | instid1(VALU_DEP_2)
	v_add_f64_e32 v[18:19], v[18:19], v[4:5]
	v_add_f64_e32 v[20:21], v[20:21], v[42:43]
.LBB80_360:                             ;   in Loop: Header=BB80_3 Depth=1
	s_or_b32 exec_lo, exec_lo, s36
	s_barrier_signal -1
	s_barrier_wait -1
	;; [unrolled: 26-line block ×7, first 2 shown]
	s_and_saveexec_b32 s36, s88
; %bb.381:                              ;   in Loop: Header=BB80_3 Depth=1
	ds_store_b128 v188, v[18:21]
; %bb.382:                              ;   in Loop: Header=BB80_3 Depth=1
	s_or_b32 exec_lo, exec_lo, s36
	s_wait_dscnt 0x0
	s_barrier_signal -1
	s_barrier_wait -1
	s_barrier_signal -1
	s_barrier_wait -1
	s_and_saveexec_b32 s36, s3
; %bb.383:                              ;   in Loop: Header=BB80_3 Depth=1
	v_xor_b32_e32 v19, 0x80000000, v19
	v_xor_b32_e32 v21, 0x80000000, v21
	ds_store_b128 v189, v[18:21] offset:8576
; %bb.384:                              ;   in Loop: Header=BB80_3 Depth=1
	s_or_b32 exec_lo, exec_lo, s36
	s_wait_dscnt 0x0
	s_barrier_signal -1
	s_barrier_wait -1
	s_barrier_signal -1
	s_barrier_wait -1
	s_and_saveexec_b32 s36, s89
	s_cbranch_execz .LBB80_386
; %bb.385:                              ;   in Loop: Header=BB80_3 Depth=1
	ds_load_b128 v[18:21], v62
	s_wait_dscnt 0x0
	ds_store_b128 v163, v[18:21]
	ds_load_b128 v[18:21], v63
	s_wait_dscnt 0x0
	ds_store_b128 v164, v[18:21]
	;; [unrolled: 3-line block ×8, first 2 shown]
.LBB80_386:                             ;   in Loop: Header=BB80_3 Depth=1
	s_or_b32 exec_lo, exec_lo, s36
	s_wait_dscnt 0x0
	s_barrier_signal -1
	s_barrier_wait -1
	s_and_saveexec_b32 s58, s27
	s_cbranch_execz .LBB80_388
; %bb.387:                              ;   in Loop: Header=BB80_3 Depth=1
	s_mov_b32 s36, s35
	s_mov_b32 s38, s35
	;; [unrolled: 1-line block ×3, first 2 shown]
	v_mov_b64_e32 v[18:19], s[36:37]
	v_mov_b64_e32 v[20:21], s[38:39]
	ds_store_b128 v2, v[18:21] offset:12672
	ds_store_b128 v2, v[18:21] offset:13200
	ds_load_b128 v[18:21], v2 offset:12688
	s_wait_dscnt 0x0
	ds_store_b128 v2, v[18:21] offset:13184
.LBB80_388:                             ;   in Loop: Header=BB80_3 Depth=1
	s_or_b32 exec_lo, exec_lo, s58
	v_mov_b64_e32 v[20:21], 0
	v_mov_b64_e32 v[18:19], 0
	s_wait_dscnt 0x0
	s_barrier_signal -1
	s_barrier_wait -1
	s_and_saveexec_b32 s36, s0
	s_cbranch_execz .LBB80_392
; %bb.389:                              ;   in Loop: Header=BB80_3 Depth=1
	ds_load_b128 v[18:21], v183 offset:12672
	ds_load_b128 v[204:207], v182 offset:12704
	s_wait_dscnt 0x0
	v_mul_f64_e32 v[4:5], v[20:21], v[206:207]
	v_mul_f64_e32 v[42:43], v[18:19], v[206:207]
	s_delay_alu instid0(VALU_DEP_2) | instskip(NEXT) | instid1(VALU_DEP_2)
	v_fma_f64 v[4:5], v[18:19], v[204:205], -v[4:5]
	v_fmac_f64_e32 v[42:43], v[20:21], v[204:205]
	s_delay_alu instid0(VALU_DEP_2) | instskip(NEXT) | instid1(VALU_DEP_2)
	v_add_f64_e32 v[18:19], 0, v[4:5]
	v_add_f64_e32 v[20:21], 0, v[42:43]
	s_and_saveexec_b32 s38, s8
	s_cbranch_execz .LBB80_391
; %bb.390:                              ;   in Loop: Header=BB80_3 Depth=1
	ds_load_b128 v[204:207], v2 offset:12688
	ds_load_b128 v[208:211], v44 offset:13216
	s_wait_dscnt 0x0
	v_mul_f64_e32 v[4:5], v[206:207], v[210:211]
	v_mul_f64_e32 v[42:43], v[204:205], v[210:211]
	s_delay_alu instid0(VALU_DEP_2) | instskip(NEXT) | instid1(VALU_DEP_2)
	v_fma_f64 v[4:5], v[204:205], v[208:209], -v[4:5]
	v_fmac_f64_e32 v[42:43], v[206:207], v[208:209]
	s_delay_alu instid0(VALU_DEP_2) | instskip(NEXT) | instid1(VALU_DEP_2)
	v_add_f64_e32 v[18:19], v[18:19], v[4:5]
	v_add_f64_e32 v[20:21], v[20:21], v[42:43]
.LBB80_391:                             ;   in Loop: Header=BB80_3 Depth=1
	s_or_b32 exec_lo, exec_lo, s38
	s_delay_alu instid0(VALU_DEP_2) | instskip(NEXT) | instid1(VALU_DEP_2)
	v_xor_b32_e32 v19, 0x80000000, v19
	v_xor_b32_e32 v21, 0x80000000, v21
.LBB80_392:                             ;   in Loop: Header=BB80_3 Depth=1
	s_or_b32 exec_lo, exec_lo, s36
	s_and_saveexec_b32 s36, s65
; %bb.393:                              ;   in Loop: Header=BB80_3 Depth=1
	ds_store_b128 v27, v[18:21]
; %bb.394:                              ;   in Loop: Header=BB80_3 Depth=1
	s_or_b32 exec_lo, exec_lo, s36
	s_wait_dscnt 0x0
	s_barrier_signal -1
	s_barrier_wait -1
	s_and_saveexec_b32 s36, s66
	s_cbranch_execz .LBB80_396
; %bb.395:                              ;   in Loop: Header=BB80_3 Depth=1
	ds_load_b128 v[204:207], v27
	ds_load_b128 v[208:211], v2 offset:13744
	s_wait_dscnt 0x0
	v_mul_f64_e32 v[4:5], v[206:207], v[210:211]
	v_mul_f64_e32 v[42:43], v[204:205], v[210:211]
	s_delay_alu instid0(VALU_DEP_2) | instskip(NEXT) | instid1(VALU_DEP_2)
	v_fma_f64 v[4:5], v[204:205], v[208:209], -v[4:5]
	v_fmac_f64_e32 v[42:43], v[206:207], v[208:209]
	s_delay_alu instid0(VALU_DEP_2) | instskip(NEXT) | instid1(VALU_DEP_2)
	v_add_f64_e32 v[18:19], v[18:19], v[4:5]
	v_add_f64_e32 v[20:21], v[20:21], v[42:43]
.LBB80_396:                             ;   in Loop: Header=BB80_3 Depth=1
	s_or_b32 exec_lo, exec_lo, s36
	s_barrier_signal -1
	s_barrier_wait -1
	s_and_saveexec_b32 s36, s66
; %bb.397:                              ;   in Loop: Header=BB80_3 Depth=1
	ds_store_b128 v27, v[18:21]
; %bb.398:                              ;   in Loop: Header=BB80_3 Depth=1
	s_or_b32 exec_lo, exec_lo, s36
	s_wait_dscnt 0x0
	s_barrier_signal -1
	s_barrier_wait -1
	s_barrier_signal -1
	s_barrier_wait -1
	s_and_saveexec_b32 s36, s0
; %bb.399:                              ;   in Loop: Header=BB80_3 Depth=1
	v_xor_b32_e32 v19, 0x80000000, v19
	v_xor_b32_e32 v21, 0x80000000, v21
	ds_store_b128 v182, v[18:21] offset:12704
; %bb.400:                              ;   in Loop: Header=BB80_3 Depth=1
	s_or_b32 exec_lo, exec_lo, s36
	s_wait_dscnt 0x0
	s_barrier_signal -1
	s_barrier_wait -1
	s_barrier_signal -1
	s_barrier_wait -1
	s_and_saveexec_b32 s36, s67
	s_cbranch_execz .LBB80_402
; %bb.401:                              ;   in Loop: Header=BB80_3 Depth=1
	ds_load_b128 v[18:21], v79
	s_wait_dscnt 0x0
	ds_store_b128 v171, v[18:21]
	ds_load_b128 v[18:21], v192
	s_wait_dscnt 0x0
	ds_store_b128 v172, v[18:21]
.LBB80_402:                             ;   in Loop: Header=BB80_3 Depth=1
	s_or_b32 exec_lo, exec_lo, s36
	s_wait_dscnt 0x0
	s_barrier_signal -1
	s_barrier_wait -1
	s_and_saveexec_b32 s58, s27
	s_cbranch_execz .LBB80_404
; %bb.403:                              ;   in Loop: Header=BB80_3 Depth=1
	s_mov_b32 s36, s35
	s_mov_b32 s38, s35
	;; [unrolled: 1-line block ×3, first 2 shown]
	v_mov_b64_e32 v[18:19], s[36:37]
	v_mov_b64_e32 v[20:21], s[38:39]
	ds_store_b128 v2, v[18:21] offset:13728
	ds_store_b128 v2, v[18:21] offset:14256
	ds_load_b128 v[18:21], v2 offset:13744
	s_wait_dscnt 0x0
	ds_store_b128 v2, v[18:21] offset:14240
.LBB80_404:                             ;   in Loop: Header=BB80_3 Depth=1
	s_or_b32 exec_lo, exec_lo, s58
	v_mov_b64_e32 v[20:21], 0
	v_mov_b64_e32 v[18:19], 0
	s_wait_dscnt 0x0
	s_barrier_signal -1
	s_barrier_wait -1
	s_and_saveexec_b32 s36, s2
	s_cbranch_execz .LBB80_410
; %bb.405:                              ;   in Loop: Header=BB80_3 Depth=1
	ds_load_b128 v[18:21], v45 offset:12672
	ds_load_b128 v[204:207], v186 offset:12736
	s_wait_dscnt 0x0
	v_mul_f64_e32 v[4:5], v[20:21], v[206:207]
	v_mul_f64_e32 v[42:43], v[18:19], v[206:207]
	s_delay_alu instid0(VALU_DEP_2) | instskip(NEXT) | instid1(VALU_DEP_2)
	v_fma_f64 v[4:5], v[18:19], v[204:205], -v[4:5]
	v_fmac_f64_e32 v[42:43], v[20:21], v[204:205]
	s_delay_alu instid0(VALU_DEP_2) | instskip(NEXT) | instid1(VALU_DEP_2)
	v_add_f64_e32 v[18:19], 0, v[4:5]
	v_add_f64_e32 v[20:21], 0, v[42:43]
	s_and_saveexec_b32 s38, s9
	s_cbranch_execnz .LBB80_540
; %bb.406:                              ;   in Loop: Header=BB80_3 Depth=1
	s_or_b32 exec_lo, exec_lo, s38
	s_and_saveexec_b32 s38, s10
	s_cbranch_execnz .LBB80_541
.LBB80_407:                             ;   in Loop: Header=BB80_3 Depth=1
	s_or_b32 exec_lo, exec_lo, s38
	s_and_saveexec_b32 s38, s0
	s_cbranch_execz .LBB80_409
.LBB80_408:                             ;   in Loop: Header=BB80_3 Depth=1
	ds_load_b128 v[204:207], v2 offset:12720
	ds_load_b128 v[208:211], v71 offset:14272
	s_wait_dscnt 0x0
	v_mul_f64_e32 v[4:5], v[206:207], v[210:211]
	v_mul_f64_e32 v[42:43], v[204:205], v[210:211]
	s_delay_alu instid0(VALU_DEP_2) | instskip(NEXT) | instid1(VALU_DEP_2)
	v_fma_f64 v[4:5], v[204:205], v[208:209], -v[4:5]
	v_fmac_f64_e32 v[42:43], v[206:207], v[208:209]
	s_delay_alu instid0(VALU_DEP_2) | instskip(NEXT) | instid1(VALU_DEP_2)
	v_add_f64_e32 v[18:19], v[18:19], v[4:5]
	v_add_f64_e32 v[20:21], v[20:21], v[42:43]
.LBB80_409:                             ;   in Loop: Header=BB80_3 Depth=1
	s_or_b32 exec_lo, exec_lo, s38
	s_delay_alu instid0(VALU_DEP_2) | instskip(NEXT) | instid1(VALU_DEP_2)
	v_xor_b32_e32 v19, 0x80000000, v19
	v_xor_b32_e32 v21, 0x80000000, v21
.LBB80_410:                             ;   in Loop: Header=BB80_3 Depth=1
	s_or_b32 exec_lo, exec_lo, s36
	s_and_saveexec_b32 s36, s68
; %bb.411:                              ;   in Loop: Header=BB80_3 Depth=1
	ds_store_b128 v185, v[18:21]
; %bb.412:                              ;   in Loop: Header=BB80_3 Depth=1
	s_or_b32 exec_lo, exec_lo, s36
	s_wait_dscnt 0x0
	s_barrier_signal -1
	s_barrier_wait -1
	s_and_saveexec_b32 s36, s69
	s_cbranch_execz .LBB80_414
; %bb.413:                              ;   in Loop: Header=BB80_3 Depth=1
	ds_load_b128 v[204:207], v185
	ds_load_b128 v[208:211], v181 offset:14784
	s_wait_dscnt 0x0
	v_mul_f64_e32 v[4:5], v[206:207], v[210:211]
	v_mul_f64_e32 v[42:43], v[204:205], v[210:211]
	s_delay_alu instid0(VALU_DEP_2) | instskip(NEXT) | instid1(VALU_DEP_2)
	v_fma_f64 v[4:5], v[204:205], v[208:209], -v[4:5]
	v_fmac_f64_e32 v[42:43], v[206:207], v[208:209]
	s_delay_alu instid0(VALU_DEP_2) | instskip(NEXT) | instid1(VALU_DEP_2)
	v_add_f64_e32 v[18:19], v[18:19], v[4:5]
	v_add_f64_e32 v[20:21], v[20:21], v[42:43]
.LBB80_414:                             ;   in Loop: Header=BB80_3 Depth=1
	s_or_b32 exec_lo, exec_lo, s36
	s_barrier_signal -1
	s_barrier_wait -1
	s_and_saveexec_b32 s36, s70
; %bb.415:                              ;   in Loop: Header=BB80_3 Depth=1
	ds_store_b128 v185, v[18:21]
; %bb.416:                              ;   in Loop: Header=BB80_3 Depth=1
	s_or_b32 exec_lo, exec_lo, s36
	s_wait_dscnt 0x0
	s_barrier_signal -1
	s_barrier_wait -1
	s_and_saveexec_b32 s36, s71
	s_cbranch_execz .LBB80_418
; %bb.417:                              ;   in Loop: Header=BB80_3 Depth=1
	ds_load_b128 v[204:207], v185
	ds_load_b128 v[208:211], v181 offset:15296
	s_wait_dscnt 0x0
	v_mul_f64_e32 v[4:5], v[206:207], v[210:211]
	v_mul_f64_e32 v[42:43], v[204:205], v[210:211]
	s_delay_alu instid0(VALU_DEP_2) | instskip(NEXT) | instid1(VALU_DEP_2)
	v_fma_f64 v[4:5], v[204:205], v[208:209], -v[4:5]
	v_fmac_f64_e32 v[42:43], v[206:207], v[208:209]
	s_delay_alu instid0(VALU_DEP_2) | instskip(NEXT) | instid1(VALU_DEP_2)
	v_add_f64_e32 v[18:19], v[18:19], v[4:5]
	v_add_f64_e32 v[20:21], v[20:21], v[42:43]
.LBB80_418:                             ;   in Loop: Header=BB80_3 Depth=1
	s_or_b32 exec_lo, exec_lo, s36
	s_barrier_signal -1
	s_barrier_wait -1
	s_and_saveexec_b32 s36, s72
; %bb.419:                              ;   in Loop: Header=BB80_3 Depth=1
	ds_store_b128 v185, v[18:21]
; %bb.420:                              ;   in Loop: Header=BB80_3 Depth=1
	s_or_b32 exec_lo, exec_lo, s36
	s_wait_dscnt 0x0
	s_barrier_signal -1
	s_barrier_wait -1
	s_and_saveexec_b32 s36, s73
	s_cbranch_execz .LBB80_422
; %bb.421:                              ;   in Loop: Header=BB80_3 Depth=1
	ds_load_b128 v[204:207], v185
	ds_load_b128 v[208:211], v2 offset:15856
	s_wait_dscnt 0x0
	v_mul_f64_e32 v[4:5], v[206:207], v[210:211]
	v_mul_f64_e32 v[42:43], v[204:205], v[210:211]
	s_delay_alu instid0(VALU_DEP_2) | instskip(NEXT) | instid1(VALU_DEP_2)
	v_fma_f64 v[4:5], v[204:205], v[208:209], -v[4:5]
	v_fmac_f64_e32 v[42:43], v[206:207], v[208:209]
	s_delay_alu instid0(VALU_DEP_2) | instskip(NEXT) | instid1(VALU_DEP_2)
	v_add_f64_e32 v[18:19], v[18:19], v[4:5]
	v_add_f64_e32 v[20:21], v[20:21], v[42:43]
.LBB80_422:                             ;   in Loop: Header=BB80_3 Depth=1
	s_or_b32 exec_lo, exec_lo, s36
	s_barrier_signal -1
	s_barrier_wait -1
	s_and_saveexec_b32 s36, s73
; %bb.423:                              ;   in Loop: Header=BB80_3 Depth=1
	ds_store_b128 v185, v[18:21]
; %bb.424:                              ;   in Loop: Header=BB80_3 Depth=1
	s_or_b32 exec_lo, exec_lo, s36
	s_wait_dscnt 0x0
	s_barrier_signal -1
	s_barrier_wait -1
	s_barrier_signal -1
	s_barrier_wait -1
	s_and_saveexec_b32 s36, s2
; %bb.425:                              ;   in Loop: Header=BB80_3 Depth=1
	v_xor_b32_e32 v21, 0x80000000, v21
	v_xor_b32_e32 v19, 0x80000000, v19
	ds_store_b128 v186, v[18:21] offset:12736
; %bb.426:                              ;   in Loop: Header=BB80_3 Depth=1
	s_or_b32 exec_lo, exec_lo, s36
	s_wait_dscnt 0x0
	s_barrier_signal -1
	s_barrier_wait -1
	s_barrier_signal -1
	s_barrier_wait -1
	s_and_saveexec_b32 s36, s74
	s_cbranch_execz .LBB80_428
; %bb.427:                              ;   in Loop: Header=BB80_3 Depth=1
	ds_load_b128 v[18:21], v89
	s_wait_dscnt 0x0
	ds_store_b128 v173, v[18:21]
	ds_load_b128 v[18:21], v193
	s_wait_dscnt 0x0
	ds_store_b128 v176, v[18:21]
	;; [unrolled: 3-line block ×4, first 2 shown]
.LBB80_428:                             ;   in Loop: Header=BB80_3 Depth=1
	s_or_b32 exec_lo, exec_lo, s36
	s_wait_dscnt 0x0
	s_barrier_signal -1
	s_barrier_wait -1
	s_and_saveexec_b32 s58, s27
	s_cbranch_execz .LBB80_430
; %bb.429:                              ;   in Loop: Header=BB80_3 Depth=1
	s_mov_b32 s36, s35
	s_mov_b32 s38, s35
	;; [unrolled: 1-line block ×3, first 2 shown]
	v_mov_b64_e32 v[18:19], s[36:37]
	v_mov_b64_e32 v[20:21], s[38:39]
	ds_store_b128 v2, v[18:21] offset:14784
	ds_store_b128 v2, v[18:21] offset:15312
	ds_load_b128 v[18:21], v2 offset:14800
	s_wait_dscnt 0x0
	ds_store_b128 v2, v[18:21] offset:15296
.LBB80_430:                             ;   in Loop: Header=BB80_3 Depth=1
	s_or_b32 exec_lo, exec_lo, s58
	v_mov_b64_e32 v[20:21], 0
	v_mov_b64_e32 v[18:19], 0
	s_wait_dscnt 0x0
	s_barrier_signal -1
	s_barrier_wait -1
	s_and_saveexec_b32 s36, s0
	s_cbranch_execz .LBB80_434
; %bb.431:                              ;   in Loop: Header=BB80_3 Depth=1
	ds_load_b128 v[18:21], v183 offset:14784
	ds_load_b128 v[204:207], v182 offset:14816
	s_wait_dscnt 0x0
	v_mul_f64_e32 v[4:5], v[20:21], v[206:207]
	v_mul_f64_e32 v[42:43], v[18:19], v[206:207]
	s_delay_alu instid0(VALU_DEP_2) | instskip(NEXT) | instid1(VALU_DEP_2)
	v_fma_f64 v[4:5], v[18:19], v[204:205], -v[4:5]
	v_fmac_f64_e32 v[42:43], v[20:21], v[204:205]
	s_delay_alu instid0(VALU_DEP_2) | instskip(NEXT) | instid1(VALU_DEP_2)
	v_add_f64_e32 v[18:19], 0, v[4:5]
	v_add_f64_e32 v[20:21], 0, v[42:43]
	s_and_saveexec_b32 s38, s8
	s_cbranch_execz .LBB80_433
; %bb.432:                              ;   in Loop: Header=BB80_3 Depth=1
	ds_load_b128 v[204:207], v2 offset:14800
	ds_load_b128 v[208:211], v82 offset:15328
	s_wait_dscnt 0x0
	v_mul_f64_e32 v[4:5], v[206:207], v[210:211]
	v_mul_f64_e32 v[42:43], v[204:205], v[210:211]
	s_delay_alu instid0(VALU_DEP_2) | instskip(NEXT) | instid1(VALU_DEP_2)
	v_fma_f64 v[4:5], v[204:205], v[208:209], -v[4:5]
	v_fmac_f64_e32 v[42:43], v[206:207], v[208:209]
	s_delay_alu instid0(VALU_DEP_2) | instskip(NEXT) | instid1(VALU_DEP_2)
	v_add_f64_e32 v[18:19], v[18:19], v[4:5]
	v_add_f64_e32 v[20:21], v[20:21], v[42:43]
.LBB80_433:                             ;   in Loop: Header=BB80_3 Depth=1
	s_or_b32 exec_lo, exec_lo, s38
	s_delay_alu instid0(VALU_DEP_2) | instskip(NEXT) | instid1(VALU_DEP_2)
	v_xor_b32_e32 v19, 0x80000000, v19
	v_xor_b32_e32 v21, 0x80000000, v21
.LBB80_434:                             ;   in Loop: Header=BB80_3 Depth=1
	s_or_b32 exec_lo, exec_lo, s36
	s_and_saveexec_b32 s36, s65
; %bb.435:                              ;   in Loop: Header=BB80_3 Depth=1
	ds_store_b128 v27, v[18:21]
; %bb.436:                              ;   in Loop: Header=BB80_3 Depth=1
	s_or_b32 exec_lo, exec_lo, s36
	s_wait_dscnt 0x0
	s_barrier_signal -1
	s_barrier_wait -1
	s_and_saveexec_b32 s36, s66
	s_cbranch_execz .LBB80_438
; %bb.437:                              ;   in Loop: Header=BB80_3 Depth=1
	ds_load_b128 v[204:207], v27
	ds_load_b128 v[208:211], v2 offset:15856
	s_wait_dscnt 0x0
	v_mul_f64_e32 v[4:5], v[206:207], v[210:211]
	v_mul_f64_e32 v[42:43], v[204:205], v[210:211]
	s_delay_alu instid0(VALU_DEP_2) | instskip(NEXT) | instid1(VALU_DEP_2)
	v_fma_f64 v[4:5], v[204:205], v[208:209], -v[4:5]
	v_fmac_f64_e32 v[42:43], v[206:207], v[208:209]
	s_delay_alu instid0(VALU_DEP_2) | instskip(NEXT) | instid1(VALU_DEP_2)
	v_add_f64_e32 v[18:19], v[18:19], v[4:5]
	v_add_f64_e32 v[20:21], v[20:21], v[42:43]
.LBB80_438:                             ;   in Loop: Header=BB80_3 Depth=1
	s_or_b32 exec_lo, exec_lo, s36
	s_barrier_signal -1
	s_barrier_wait -1
	s_and_saveexec_b32 s36, s66
; %bb.439:                              ;   in Loop: Header=BB80_3 Depth=1
	ds_store_b128 v27, v[18:21]
; %bb.440:                              ;   in Loop: Header=BB80_3 Depth=1
	s_or_b32 exec_lo, exec_lo, s36
	s_wait_dscnt 0x0
	s_barrier_signal -1
	s_barrier_wait -1
	s_barrier_signal -1
	s_barrier_wait -1
	s_and_saveexec_b32 s36, s0
; %bb.441:                              ;   in Loop: Header=BB80_3 Depth=1
	v_xor_b32_e32 v19, 0x80000000, v19
	v_xor_b32_e32 v21, 0x80000000, v21
	ds_store_b128 v182, v[18:21] offset:14816
; %bb.442:                              ;   in Loop: Header=BB80_3 Depth=1
	s_or_b32 exec_lo, exec_lo, s36
	s_wait_dscnt 0x0
	s_barrier_signal -1
	s_barrier_wait -1
	s_barrier_signal -1
	s_barrier_wait -1
	s_and_saveexec_b32 s36, s67
	s_cbranch_execz .LBB80_444
; %bb.443:                              ;   in Loop: Header=BB80_3 Depth=1
	ds_load_b128 v[18:21], v94
	s_wait_dscnt 0x0
	ds_store_b128 v97, v[18:21]
	ds_load_b128 v[18:21], v194
	s_wait_dscnt 0x0
	ds_store_b128 v195, v[18:21]
.LBB80_444:                             ;   in Loop: Header=BB80_3 Depth=1
	s_or_b32 exec_lo, exec_lo, s36
	s_wait_dscnt 0x0
	s_barrier_signal -1
	s_barrier_wait -1
	s_and_saveexec_b32 s58, s27
	s_cbranch_execz .LBB80_446
; %bb.445:                              ;   in Loop: Header=BB80_3 Depth=1
	s_mov_b32 s36, s35
	s_mov_b32 s38, s35
	;; [unrolled: 1-line block ×3, first 2 shown]
	v_mov_b64_e32 v[18:19], s[36:37]
	v_mov_b64_e32 v[20:21], s[38:39]
	ds_store_b128 v2, v[18:21] offset:15840
	ds_store_b128 v2, v[18:21] offset:16368
	ds_load_b128 v[18:21], v2 offset:15856
	s_wait_dscnt 0x0
	ds_store_b128 v2, v[18:21] offset:16352
.LBB80_446:                             ;   in Loop: Header=BB80_3 Depth=1
	s_or_b32 exec_lo, exec_lo, s58
.LBB80_447:                             ;   in Loop: Header=BB80_3 Depth=1
	v_mov_b64_e32 v[18:19], 0
	s_mul_u64 s[38:39], s[52:53], s[34:35]
	s_wait_dscnt 0x0
	s_lshl_b64 s[38:39], s[38:39], 4
	s_barrier_signal -1
	s_add_nc_u64 s[38:39], s[46:47], s[38:39]
	s_barrier_wait -1
	v_mov_b64_e32 v[20:21], v[18:19]
	s_and_saveexec_b32 s36, s95
	s_cbranch_execz .LBB80_449
; %bb.448:                              ;   in Loop: Header=BB80_3 Depth=1
	v_lshl_add_u64 v[4:5], v[32:33], 4, s[38:39]
	global_load_b128 v[204:207], v[4:5], off
	s_wait_loadcnt 0x0
	v_mul_f64_e32 v[4:5], v[14:15], v[204:205]
	s_delay_alu instid0(VALU_DEP_1) | instskip(SKIP_1) | instid1(VALU_DEP_1)
	v_fma_f64 v[18:19], v[16:17], v[206:207], -v[4:5]
	v_mul_f64_e32 v[4:5], v[14:15], v[206:207]
	v_fma_f64 v[20:21], v[204:205], -v[16:17], -v[4:5]
.LBB80_449:                             ;   in Loop: Header=BB80_3 Depth=1
	s_or_b32 exec_lo, exec_lo, s36
	s_delay_alu instid0(SALU_CYCLE_1)
	s_and_not1_b32 vcc_lo, exec_lo, s96
	s_cbranch_vccnz .LBB80_472
; %bb.450:                              ;   in Loop: Header=BB80_3 Depth=1
	v_mov_b32_e32 v23, -1
	s_lshl_b64 s[58:59], s[34:35], 2
	s_mov_b32 s36, 0
	s_add_nc_u64 s[58:59], s[54:55], s[58:59]
	s_branch .LBB80_453
.LBB80_451:                             ;   in Loop: Header=BB80_453 Depth=2
	ds_load_b128 v[204:207], v113 offset:256
	s_wait_loadcnt_dscnt 0x0
	v_mul_f64_e32 v[4:5], v[16:17], v[206:207]
	s_delay_alu instid0(VALU_DEP_1) | instskip(SKIP_1) | instid1(VALU_DEP_2)
	v_fma_f64 v[4:5], v[14:15], v[204:205], -v[4:5]
	v_mul_f64_e32 v[14:15], v[14:15], v[206:207]
	v_add_f64_e32 v[18:19], v[18:19], v[4:5]
	s_delay_alu instid0(VALU_DEP_2) | instskip(NEXT) | instid1(VALU_DEP_1)
	v_fmac_f64_e32 v[14:15], v[16:17], v[204:205]
	v_add_f64_e32 v[20:21], v[20:21], v[14:15]
.LBB80_452:                             ;   in Loop: Header=BB80_453 Depth=2
	s_or_b32 exec_lo, exec_lo, s102
	s_add_co_i32 s36, s36, 1
	s_delay_alu instid0(SALU_CYCLE_1)
	s_cmp_eq_u32 s36, s60
	s_cbranch_scc1 .LBB80_472
.LBB80_453:                             ;   Parent Loop BB80_3 Depth=1
                                        ; =>  This Loop Header: Depth=2
                                        ;       Child Loop BB80_455 Depth 3
	v_cmp_gt_i32_e32 vcc_lo, s36, v23
	s_and_b32 s103, s30, vcc_lo
	s_delay_alu instid0(SALU_CYCLE_1)
	s_and_saveexec_b32 s102, s103
	s_cbranch_execz .LBB80_456
; %bb.454:                              ;   in Loop: Header=BB80_453 Depth=2
	global_load_b32 v23, v2, s[58:59]
	s_wait_loadcnt 0x0
	v_cmp_le_i32_e32 vcc_lo, s36, v23
	s_cbranch_vccnz .LBB80_456
.LBB80_455:                             ;   Parent Loop BB80_3 Depth=1
                                        ;     Parent Loop BB80_453 Depth=2
                                        ; =>    This Inner Loop Header: Depth=3
	global_wb scope:SCOPE_DEV
	s_wait_storecnt 0x0
	global_inv scope:SCOPE_DEV
	global_load_b32 v23, v2, s[58:59]
	s_wait_loadcnt 0x0
	v_cmp_gt_i32_e32 vcc_lo, s36, v23
	s_cbranch_vccnz .LBB80_455
.LBB80_456:                             ;   in Loop: Header=BB80_453 Depth=2
	s_or_b32 exec_lo, exec_lo, s102
	s_sub_co_i32 s102, s61, s36
	global_wb scope:SCOPE_DEV
	s_wait_storecnt 0x0
	global_inv scope:SCOPE_DEV
	s_lshl_b32 s103, s102, 5
	s_wait_loadcnt 0x0
	s_barrier_signal -1
	s_barrier_wait -1
	s_and_saveexec_b32 s104, s31
	s_cbranch_execz .LBB80_461
; %bb.457:                              ;   in Loop: Header=BB80_453 Depth=2
	s_ashr_i32 vcc_lo, s103, 31
	s_delay_alu instid0(SALU_CYCLE_1) | instskip(NEXT) | instid1(VALU_DEP_1)
	v_dual_mov_b32 v5, vcc_lo :: v_dual_bitop2_b32 v4, s103, v26 bitop3:0x54
	v_cmp_le_i64_e32 vcc_lo, s[56:57], v[4:5]
	s_and_saveexec_b32 vcc_hi, vcc_lo
	s_delay_alu instid0(SALU_CYCLE_1)
	s_xor_b32 vcc_lo, exec_lo, vcc_hi
; %bb.458:                              ;   in Loop: Header=BB80_453 Depth=2
	v_dual_mov_b32 v3, v2 :: v_dual_mov_b32 v4, v2
	v_mov_b32_e32 v5, v2
	ds_store_b128 v177, v[2:5]
                                        ; implicit-def: $vgpr4_vgpr5
; %bb.459:                              ;   in Loop: Header=BB80_453 Depth=2
	s_and_not1_saveexec_b32 s18, vcc_lo
	s_cbranch_execz .LBB80_461
; %bb.460:                              ;   in Loop: Header=BB80_453 Depth=2
	v_mul_u64_e32 v[4:5], s[50:51], v[4:5]
	s_delay_alu instid0(VALU_DEP_1)
	v_lshl_add_u64 v[4:5], v[4:5], 4, s[38:39]
	global_load_b128 v[14:17], v[4:5], off
	s_wait_loadcnt 0x0
	ds_store_2addr_b64 v177, v[14:15], v[16:17] offset1:1
.LBB80_461:                             ;   in Loop: Header=BB80_453 Depth=2
	s_or_b32 exec_lo, exec_lo, s104
	v_add_nc_u32_e32 v14, s103, v22
	s_cmp_lg_u32 s102, s97
	s_wait_dscnt 0x0
	s_cselect_b32 s103, -1, 0
	s_barrier_signal -1
	v_ashrrev_i32_e32 v15, 31, v14
	v_cmp_gt_i32_e32 vcc_lo, s56, v14
	v_cndmask_b32_e64 v3, 0, 1, s103
	s_barrier_wait -1
	s_delay_alu instid0(VALU_DEP_3) | instskip(SKIP_1) | instid1(SALU_CYCLE_1)
	v_lshl_add_u64 v[4:5], v[14:15], 4, v[40:41]
	s_and_b32 s18, vcc_lo, s5
	s_and_saveexec_b32 s102, s18
	s_cbranch_execz .LBB80_467
; %bb.462:                              ;   in Loop: Header=BB80_453 Depth=2
	v_mov_b64_e32 v[16:17], v[6:7]
	s_and_not1_b32 vcc_lo, exec_lo, s103
	s_cbranch_vccnz .LBB80_464
; %bb.463:                              ;   in Loop: Header=BB80_453 Depth=2
	global_load_b64 v[16:17], v[4:5], off
.LBB80_464:                             ;   in Loop: Header=BB80_453 Depth=2
	v_cmp_ne_u32_e32 vcc_lo, 1, v3
	v_mov_b64_e32 v[42:43], v[8:9]
	s_cbranch_vccnz .LBB80_466
; %bb.465:                              ;   in Loop: Header=BB80_453 Depth=2
	global_load_b64 v[42:43], v[4:5], off offset:8
.LBB80_466:                             ;   in Loop: Header=BB80_453 Depth=2
	ds_load_b128 v[204:207], v113
	s_wait_loadcnt_dscnt 0x0
	v_mul_f64_e32 v[208:209], v[42:43], v[206:207]
	s_delay_alu instid0(VALU_DEP_1) | instskip(SKIP_1) | instid1(VALU_DEP_2)
	v_fma_f64 v[208:209], v[16:17], v[204:205], -v[208:209]
	v_mul_f64_e32 v[16:17], v[16:17], v[206:207]
	v_add_f64_e32 v[18:19], v[18:19], v[208:209]
	s_delay_alu instid0(VALU_DEP_2) | instskip(NEXT) | instid1(VALU_DEP_1)
	v_fmac_f64_e32 v[16:17], v[42:43], v[204:205]
	v_add_f64_e32 v[20:21], v[20:21], v[16:17]
.LBB80_467:                             ;   in Loop: Header=BB80_453 Depth=2
	s_or_b32 exec_lo, exec_lo, s102
	v_add_nc_u32_e32 v14, 16, v14
	s_delay_alu instid0(VALU_DEP_1) | instskip(SKIP_1) | instid1(SALU_CYCLE_1)
	v_cmp_gt_i32_e32 vcc_lo, s56, v14
	s_and_b32 s18, vcc_lo, s5
	s_and_saveexec_b32 s102, s18
	s_cbranch_execz .LBB80_452
; %bb.468:                              ;   in Loop: Header=BB80_453 Depth=2
	v_cmp_ne_u32_e32 vcc_lo, 1, v3
	v_mov_b64_e32 v[14:15], v[10:11]
	s_cbranch_vccnz .LBB80_470
; %bb.469:                              ;   in Loop: Header=BB80_453 Depth=2
	global_load_b64 v[14:15], v[4:5], off offset:256
.LBB80_470:                             ;   in Loop: Header=BB80_453 Depth=2
	v_cmp_ne_u32_e32 vcc_lo, 1, v3
	v_mov_b64_e32 v[16:17], v[12:13]
	s_cbranch_vccnz .LBB80_451
; %bb.471:                              ;   in Loop: Header=BB80_453 Depth=2
	global_load_b64 v[16:17], v[4:5], off offset:264
	s_branch .LBB80_451
.LBB80_472:                             ;   in Loop: Header=BB80_3 Depth=1
	ds_store_b128 v178, v[18:21]
	s_wait_dscnt 0x0
	s_barrier_signal -1
	s_barrier_wait -1
	s_and_saveexec_b32 s36, s1
	s_cbranch_execz .LBB80_474
; %bb.473:                              ;   in Loop: Header=BB80_3 Depth=1
	ds_load_b128 v[14:17], v179 offset:512
	s_wait_dscnt 0x0
	v_add_f64_e32 v[4:5], v[18:19], v[14:15]
	v_add_f64_e32 v[18:19], v[20:21], v[16:17]
	ds_load_b128 v[14:17], v179 offset:1024
	s_wait_dscnt 0x0
	v_add_f64_e32 v[4:5], v[4:5], v[14:15]
	v_add_f64_e32 v[18:19], v[18:19], v[16:17]
	;; [unrolled: 4-line block ×15, first 2 shown]
	s_delay_alu instid0(VALU_DEP_2) | instskip(NEXT) | instid1(VALU_DEP_2)
	v_xor_b32_e32 v3, 0x80000000, v5
	v_xor_b32_e32 v5, 0x80000000, v15
	s_delay_alu instid0(VALU_DEP_4) | instskip(NEXT) | instid1(VALU_DEP_4)
	v_cndmask_b32_e64 v18, v4, 0, s93
	v_cndmask_b32_e64 v20, v14, 0, s93
	s_delay_alu instid0(VALU_DEP_4) | instskip(NEXT) | instid1(VALU_DEP_4)
	v_cndmask_b32_e64 v19, v3, 0, s93
	v_cndmask_b32_e64 v21, v5, 0, s93
.LBB80_474:                             ;   in Loop: Header=BB80_3 Depth=1
	s_or_b32 exec_lo, exec_lo, s36
	s_delay_alu instid0(SALU_CYCLE_1)
	s_and_not1_b32 vcc_lo, exec_lo, s64
	s_cbranch_vccnz .LBB80_483
; %bb.475:                              ;   in Loop: Header=BB80_3 Depth=1
	s_and_saveexec_b32 s36, s1
; %bb.476:                              ;   in Loop: Header=BB80_3 Depth=1
	ds_store_b128 v180, v[18:21]
; %bb.477:                              ;   in Loop: Header=BB80_3 Depth=1
	s_or_b32 exec_lo, exec_lo, s36
	v_mov_b64_e32 v[14:15], 0
	v_mov_b64_e32 v[16:17], 0
	s_wait_dscnt 0x0
	s_barrier_signal -1
	s_barrier_wait -1
	s_and_saveexec_b32 s36, s6
	s_cbranch_execz .LBB80_479
; %bb.478:                              ;   in Loop: Header=BB80_3 Depth=1
	ds_load_b128 v[14:17], v113
	ds_load_b128 v[40:43], v198
	s_wait_dscnt 0x0
	v_mul_f64_e32 v[4:5], v[16:17], v[42:43]
	v_mul_f64_e32 v[42:43], v[14:15], v[42:43]
	s_delay_alu instid0(VALU_DEP_2) | instskip(NEXT) | instid1(VALU_DEP_2)
	v_fma_f64 v[4:5], v[14:15], v[40:41], -v[4:5]
	v_fmac_f64_e32 v[42:43], v[16:17], v[40:41]
	s_delay_alu instid0(VALU_DEP_2) | instskip(NEXT) | instid1(VALU_DEP_2)
	v_add_f64_e32 v[14:15], 0, v[4:5]
	v_add_f64_e32 v[16:17], 0, v[42:43]
.LBB80_479:                             ;   in Loop: Header=BB80_3 Depth=1
	s_or_b32 exec_lo, exec_lo, s36
	s_and_saveexec_b32 s36, s7
	s_cbranch_execz .LBB80_481
; %bb.480:                              ;   in Loop: Header=BB80_3 Depth=1
	ds_load_b128 v[40:43], v113 offset:256
	ds_load_b128 v[204:207], v198 offset:8192
	s_wait_dscnt 0x0
	v_mul_f64_e32 v[4:5], v[42:43], v[206:207]
	s_delay_alu instid0(VALU_DEP_1) | instskip(SKIP_1) | instid1(VALU_DEP_2)
	v_fma_f64 v[4:5], v[40:41], v[204:205], -v[4:5]
	v_mul_f64_e32 v[40:41], v[40:41], v[206:207]
	v_add_f64_e32 v[14:15], v[14:15], v[4:5]
	s_delay_alu instid0(VALU_DEP_2) | instskip(NEXT) | instid1(VALU_DEP_1)
	v_fmac_f64_e32 v[40:41], v[42:43], v[204:205]
	v_add_f64_e32 v[16:17], v[16:17], v[40:41]
.LBB80_481:                             ;   in Loop: Header=BB80_3 Depth=1
	s_or_b32 exec_lo, exec_lo, s36
	s_mov_b32 s58, 0
	s_mov_b32 s36, 0
	ds_store_b128 v178, v[14:17]
	s_wait_dscnt 0x0
	s_barrier_signal -1
	s_barrier_wait -1
                                        ; implicit-def: $vgpr4_vgpr5
                                        ; implicit-def: $vgpr40_vgpr41
	s_and_saveexec_b32 s59, s1
	s_cbranch_execz .LBB80_514
; %bb.482:                              ;   in Loop: Header=BB80_3 Depth=1
	ds_load_b128 v[40:43], v179 offset:512
	s_mov_b32 s36, exec_lo
	s_wait_dscnt 0x0
	v_add_f64_e32 v[4:5], v[14:15], v[40:41]
	v_add_f64_e32 v[40:41], v[16:17], v[42:43]
	ds_load_b128 v[14:17], v179 offset:1024
	s_wait_dscnt 0x0
	v_add_f64_e32 v[4:5], v[4:5], v[14:15]
	v_add_f64_e32 v[40:41], v[40:41], v[16:17]
	ds_load_b128 v[14:17], v179 offset:1536
	;; [unrolled: 4-line block ×14, first 2 shown]
	s_wait_dscnt 0x0
	v_add_f64_e32 v[40:41], v[4:5], v[14:15]
	v_add_f64_e32 v[4:5], v[42:43], v[16:17]
	s_or_b32 exec_lo, exec_lo, s59
	s_delay_alu instid0(SALU_CYCLE_1)
	s_and_b32 vcc_lo, exec_lo, s58
	s_cbranch_vccnz .LBB80_484
	s_branch .LBB80_515
.LBB80_483:                             ;   in Loop: Header=BB80_3 Depth=1
	s_mov_b32 s36, 0
                                        ; implicit-def: $vgpr4_vgpr5
                                        ; implicit-def: $vgpr40_vgpr41
	s_cbranch_execz .LBB80_515
.LBB80_484:                             ;   in Loop: Header=BB80_3 Depth=1
	v_dual_mov_b32 v3, v202 :: v_dual_mov_b32 v4, v201
	s_mov_b32 s58, 31
	s_branch .LBB80_486
.LBB80_485:                             ;   in Loop: Header=BB80_486 Depth=2
	s_or_b32 exec_lo, exec_lo, s102
	v_add_nc_u32_e32 v4, 0xfffffc00, v4
	v_add_nc_u32_e32 v3, 2, v3
	s_add_co_i32 s58, s58, -2
	s_cmp_lg_u32 s59, 0
	s_barrier_signal -1
	s_barrier_wait -1
	s_cbranch_scc0 .LBB80_494
.LBB80_486:                             ;   Parent Loop BB80_3 Depth=1
                                        ; =>  This Inner Loop Header: Depth=2
	s_delay_alu instid0(VALU_DEP_1) | instskip(SKIP_1) | instid1(SALU_CYCLE_1)
	v_cmp_eq_u32_e32 vcc_lo, 0, v3
	s_and_b32 s18, s1, vcc_lo
	s_and_saveexec_b32 s59, s18
; %bb.487:                              ;   in Loop: Header=BB80_486 Depth=2
	ds_store_b128 v2, v[18:21] offset:25088
; %bb.488:                              ;   in Loop: Header=BB80_486 Depth=2
	s_or_b32 exec_lo, exec_lo, s59
	v_cmp_gt_u32_e32 vcc_lo, s58, v24
	s_wait_dscnt 0x0
	s_barrier_signal -1
	s_barrier_wait -1
	s_and_b32 s18, s1, vcc_lo
	s_delay_alu instid0(SALU_CYCLE_1)
	s_and_saveexec_b32 s59, s18
	s_cbranch_execz .LBB80_490
; %bb.489:                              ;   in Loop: Header=BB80_486 Depth=2
	ds_load_b128 v[14:17], v2 offset:25088
	ds_load_b128 v[40:43], v4 offset:512
	s_wait_dscnt 0x0
	v_mul_f64_e32 v[204:205], v[16:17], v[42:43]
	s_delay_alu instid0(VALU_DEP_1) | instskip(SKIP_1) | instid1(VALU_DEP_2)
	v_fma_f64 v[204:205], v[14:15], v[40:41], -v[204:205]
	v_mul_f64_e32 v[14:15], v[14:15], v[42:43]
	v_add_f64_e32 v[18:19], v[18:19], v[204:205]
	s_delay_alu instid0(VALU_DEP_2) | instskip(NEXT) | instid1(VALU_DEP_1)
	v_fmac_f64_e32 v[14:15], v[16:17], v[40:41]
	v_add_f64_e32 v[20:21], v[20:21], v[14:15]
.LBB80_490:                             ;   in Loop: Header=BB80_486 Depth=2
	s_or_b32 exec_lo, exec_lo, s59
	s_add_co_i32 s59, s58, -1
	s_delay_alu instid0(SALU_CYCLE_1) | instskip(SKIP_3) | instid1(SALU_CYCLE_1)
	v_cmp_eq_u32_e32 vcc_lo, s59, v24
	s_barrier_signal -1
	s_barrier_wait -1
	s_and_b32 s18, s1, vcc_lo
	s_and_saveexec_b32 s102, s18
; %bb.491:                              ;   in Loop: Header=BB80_486 Depth=2
	ds_store_b128 v2, v[18:21] offset:25088
; %bb.492:                              ;   in Loop: Header=BB80_486 Depth=2
	s_or_b32 exec_lo, exec_lo, s102
	v_cmp_gt_u32_e32 vcc_lo, s59, v24
	s_wait_dscnt 0x0
	s_barrier_signal -1
	s_barrier_wait -1
	s_and_b32 s18, s1, vcc_lo
	s_delay_alu instid0(SALU_CYCLE_1)
	s_and_saveexec_b32 s102, s18
	s_cbranch_execz .LBB80_485
; %bb.493:                              ;   in Loop: Header=BB80_486 Depth=2
	ds_load_b128 v[14:17], v2 offset:25088
	ds_load_b128 v[40:43], v4
	s_wait_dscnt 0x0
	v_mul_f64_e32 v[204:205], v[16:17], v[42:43]
	s_delay_alu instid0(VALU_DEP_1) | instskip(SKIP_1) | instid1(VALU_DEP_2)
	v_fma_f64 v[204:205], v[14:15], v[40:41], -v[204:205]
	v_mul_f64_e32 v[14:15], v[14:15], v[42:43]
	v_add_f64_e32 v[18:19], v[18:19], v[204:205]
	s_delay_alu instid0(VALU_DEP_2) | instskip(NEXT) | instid1(VALU_DEP_1)
	v_fmac_f64_e32 v[14:15], v[16:17], v[40:41]
	v_add_f64_e32 v[20:21], v[20:21], v[14:15]
	s_branch .LBB80_485
.LBB80_494:                             ;   in Loop: Header=BB80_3 Depth=1
	s_and_b32 vcc_lo, exec_lo, s62
	s_mov_b32 s58, -1
	s_cbranch_vccnz .LBB80_516
; %bb.495:                              ;   in Loop: Header=BB80_3 Depth=1
	s_and_not1_b32 vcc_lo, exec_lo, s58
	s_cbranch_vccz .LBB80_517
.LBB80_496:                             ;   in Loop: Header=BB80_3 Depth=1
	s_and_saveexec_b32 s58, s36
	s_cbranch_execz .LBB80_498
.LBB80_497:                             ;   in Loop: Header=BB80_3 Depth=1
	v_lshl_add_u64 v[4:5], v[0:1], 4, s[38:39]
	global_store_b128 v[4:5], v[18:21], off
.LBB80_498:                             ;   in Loop: Header=BB80_3 Depth=1
	s_wait_xcnt 0x0
	s_or_b32 exec_lo, exec_lo, s58
	global_wb scope:SCOPE_DEV
	s_wait_storecnt 0x0
	global_inv scope:SCOPE_DEV
	s_wait_loadcnt 0x0
	s_barrier_signal -1
	s_barrier_wait -1
	s_and_saveexec_b32 s36, s30
	s_cbranch_execz .LBB80_2
; %bb.499:                              ;   in Loop: Header=BB80_3 Depth=1
	s_lshl_b64 s[38:39], s[34:35], 2
	s_delay_alu instid0(SALU_CYCLE_1)
	s_add_nc_u64 s[38:39], s[54:55], s[38:39]
	global_load_b32 v3, v2, s[38:39]
	s_wait_loadcnt 0x0
	v_add_nc_u32_e32 v3, 1, v3
	global_store_b32 v2, v3, s[38:39]
	s_branch .LBB80_2
.LBB80_500:                             ;   in Loop: Header=BB80_3 Depth=1
	s_and_saveexec_b32 s38, s28
; %bb.501:                              ;   in Loop: Header=BB80_3 Depth=1
	v_dual_mov_b32 v3, v2 :: v_dual_mov_b32 v4, v2
	v_mov_b32_e32 v5, v2
	ds_store_b128 v199, v[2:5]
; %bb.502:                              ;   in Loop: Header=BB80_3 Depth=1
	s_or_b32 exec_lo, exec_lo, s38
	s_and_not1_saveexec_b32 s36, s36
	s_cbranch_execz .LBB80_12
.LBB80_503:                             ;   in Loop: Header=BB80_3 Depth=1
	v_lshl_add_u64 v[4:5], v[36:37], 4, v[18:19]
	global_load_b128 v[204:207], v[4:5], off
	s_wait_loadcnt 0x0
	v_xor_b32_e32 v205, 0x80000000, v205
	v_xor_b32_e32 v207, 0x80000000, v207
	ds_store_b128 v199, v[204:207]
	s_or_b32 exec_lo, exec_lo, s36
	s_and_saveexec_b32 s36, s7
	s_delay_alu instid0(SALU_CYCLE_1)
	s_xor_b32 s36, exec_lo, s36
	s_cbranch_execz .LBB80_13
.LBB80_504:                             ;   in Loop: Header=BB80_3 Depth=1
	s_and_saveexec_b32 s38, s29
; %bb.505:                              ;   in Loop: Header=BB80_3 Depth=1
	v_dual_mov_b32 v3, v2 :: v_dual_mov_b32 v4, v2
	v_mov_b32_e32 v5, v2
	ds_store_b128 v200, v[2:5]
; %bb.506:                              ;   in Loop: Header=BB80_3 Depth=1
	s_or_b32 exec_lo, exec_lo, s38
	s_and_not1_saveexec_b32 s36, s36
	s_cbranch_execnz .LBB80_14
	s_branch .LBB80_15
.LBB80_507:                             ;   in Loop: Header=BB80_3 Depth=1
	s_and_saveexec_b32 s38, s28
; %bb.508:                              ;   in Loop: Header=BB80_3 Depth=1
	v_dual_mov_b32 v3, v2 :: v_dual_mov_b32 v4, v2
	v_mov_b32_e32 v5, v2
	ds_store_b128 v196, v[2:5]
; %bb.509:                              ;   in Loop: Header=BB80_3 Depth=1
	s_or_b32 exec_lo, exec_lo, s38
	s_and_not1_saveexec_b32 s36, s36
	s_cbranch_execz .LBB80_19
.LBB80_510:                             ;   in Loop: Header=BB80_3 Depth=1
	v_lshl_add_u64 v[4:5], v[36:37], 4, v[18:19]
	global_load_b128 v[204:207], v[4:5], off
	s_wait_loadcnt 0x0
	v_xor_b32_e32 v205, 0x80000000, v205
	v_xor_b32_e32 v207, 0x80000000, v207
	ds_store_b128 v196, v[204:207]
	s_or_b32 exec_lo, exec_lo, s36
	s_and_saveexec_b32 s36, s101
	s_delay_alu instid0(SALU_CYCLE_1)
	s_xor_b32 s36, exec_lo, s36
	s_cbranch_execz .LBB80_20
.LBB80_511:                             ;   in Loop: Header=BB80_3 Depth=1
	s_and_saveexec_b32 s38, s29
; %bb.512:                              ;   in Loop: Header=BB80_3 Depth=1
	v_dual_mov_b32 v3, v2 :: v_dual_mov_b32 v4, v2
	v_mov_b32_e32 v5, v2
	ds_store_b128 v200, v[2:5]
; %bb.513:                              ;   in Loop: Header=BB80_3 Depth=1
	s_or_b32 exec_lo, exec_lo, s38
                                        ; implicit-def: $vgpr18_vgpr19
	s_and_not1_saveexec_b32 s36, s36
	s_cbranch_execnz .LBB80_21
	s_branch .LBB80_22
.LBB80_514:                             ;   in Loop: Header=BB80_3 Depth=1
	s_or_b32 exec_lo, exec_lo, s59
	s_delay_alu instid0(SALU_CYCLE_1)
	s_and_b32 vcc_lo, exec_lo, s58
	s_cbranch_vccnz .LBB80_484
.LBB80_515:                             ;   in Loop: Header=BB80_3 Depth=1
	s_delay_alu instid0(VALU_DEP_1) | instskip(NEXT) | instid1(VALU_DEP_3)
	v_mov_b64_e32 v[20:21], v[4:5]
	v_mov_b64_e32 v[18:19], v[40:41]
	s_and_saveexec_b32 s58, s36
	s_cbranch_execnz .LBB80_497
	s_branch .LBB80_498
.LBB80_516:                             ;   in Loop: Header=BB80_3 Depth=1
	s_and_not1_b32 s18, s36, exec_lo
	s_and_b32 s36, s1, exec_lo
	s_delay_alu instid0(SALU_CYCLE_1)
	s_or_b32 s36, s18, s36
	s_cbranch_execnz .LBB80_496
.LBB80_517:                             ;   in Loop: Header=BB80_3 Depth=1
	s_and_not1_b32 s18, s36, exec_lo
	v_readlane_b32 s36, v203, 17
	s_and_b32 s36, s36, exec_lo
	s_delay_alu instid0(SALU_CYCLE_1) | instskip(NEXT) | instid1(SALU_CYCLE_1)
	s_or_b32 s36, s18, s36
	s_and_saveexec_b32 s58, s36
	s_cbranch_execnz .LBB80_497
	s_branch .LBB80_498
.LBB80_518:                             ;   in Loop: Header=BB80_3 Depth=1
	ds_load_b128 v[204:207], v45 offset:16
	ds_load_b128 v[208:211], v187 offset:576
	s_wait_dscnt 0x0
	v_mul_f64_e32 v[4:5], v[206:207], v[210:211]
	v_mul_f64_e32 v[42:43], v[204:205], v[210:211]
	s_delay_alu instid0(VALU_DEP_2) | instskip(NEXT) | instid1(VALU_DEP_2)
	v_fma_f64 v[4:5], v[204:205], v[208:209], -v[4:5]
	v_fmac_f64_e32 v[42:43], v[206:207], v[208:209]
	s_delay_alu instid0(VALU_DEP_2) | instskip(NEXT) | instid1(VALU_DEP_2)
	v_add_f64_e32 v[18:19], v[18:19], v[4:5]
	v_add_f64_e32 v[20:21], v[20:21], v[42:43]
	s_or_b32 exec_lo, exec_lo, s38
	s_and_saveexec_b32 s38, s10
	s_cbranch_execz .LBB80_45
.LBB80_519:                             ;   in Loop: Header=BB80_3 Depth=1
	ds_load_b128 v[204:207], v45 offset:32
	ds_load_b128 v[208:211], v186 offset:1088
	s_wait_dscnt 0x0
	v_mul_f64_e32 v[4:5], v[206:207], v[210:211]
	v_mul_f64_e32 v[42:43], v[204:205], v[210:211]
	s_delay_alu instid0(VALU_DEP_2) | instskip(NEXT) | instid1(VALU_DEP_2)
	v_fma_f64 v[4:5], v[204:205], v[208:209], -v[4:5]
	v_fmac_f64_e32 v[42:43], v[206:207], v[208:209]
	s_delay_alu instid0(VALU_DEP_2) | instskip(NEXT) | instid1(VALU_DEP_2)
	v_add_f64_e32 v[18:19], v[18:19], v[4:5]
	v_add_f64_e32 v[20:21], v[20:21], v[42:43]
	s_or_b32 exec_lo, exec_lo, s38
	s_and_saveexec_b32 s38, s0
	s_cbranch_execnz .LBB80_46
	s_branch .LBB80_47
.LBB80_520:                             ;   in Loop: Header=BB80_3 Depth=1
	ds_load_b128 v[204:207], v46 offset:16
	ds_load_b128 v[208:211], v190 offset:640
	s_wait_dscnt 0x0
	v_mul_f64_e32 v[4:5], v[206:207], v[210:211]
	v_mul_f64_e32 v[42:43], v[204:205], v[210:211]
	s_delay_alu instid0(VALU_DEP_2) | instskip(NEXT) | instid1(VALU_DEP_2)
	v_fma_f64 v[4:5], v[204:205], v[208:209], -v[4:5]
	v_fmac_f64_e32 v[42:43], v[206:207], v[208:209]
	s_delay_alu instid0(VALU_DEP_2) | instskip(NEXT) | instid1(VALU_DEP_2)
	v_add_f64_e32 v[18:19], v[18:19], v[4:5]
	v_add_f64_e32 v[20:21], v[20:21], v[42:43]
	s_or_b32 exec_lo, exec_lo, s38
	s_and_saveexec_b32 s38, s12
	s_cbranch_execz .LBB80_87
.LBB80_521:                             ;   in Loop: Header=BB80_3 Depth=1
	ds_load_b128 v[204:207], v46 offset:32
	ds_load_b128 v[208:211], v190 offset:1152
	s_wait_dscnt 0x0
	v_mul_f64_e32 v[4:5], v[206:207], v[210:211]
	v_mul_f64_e32 v[42:43], v[204:205], v[210:211]
	s_delay_alu instid0(VALU_DEP_2) | instskip(NEXT) | instid1(VALU_DEP_2)
	v_fma_f64 v[4:5], v[204:205], v[208:209], -v[4:5]
	v_fmac_f64_e32 v[42:43], v[206:207], v[208:209]
	s_delay_alu instid0(VALU_DEP_2) | instskip(NEXT) | instid1(VALU_DEP_2)
	v_add_f64_e32 v[18:19], v[18:19], v[4:5]
	v_add_f64_e32 v[20:21], v[20:21], v[42:43]
	s_or_b32 exec_lo, exec_lo, s38
	s_and_saveexec_b32 s38, s13
	s_cbranch_execz .LBB80_88
.LBB80_522:                             ;   in Loop: Header=BB80_3 Depth=1
	ds_load_b128 v[204:207], v46 offset:48
	ds_load_b128 v[208:211], v190 offset:1664
	s_wait_dscnt 0x0
	v_mul_f64_e32 v[4:5], v[206:207], v[210:211]
	v_mul_f64_e32 v[42:43], v[204:205], v[210:211]
	s_delay_alu instid0(VALU_DEP_2) | instskip(NEXT) | instid1(VALU_DEP_2)
	v_fma_f64 v[4:5], v[204:205], v[208:209], -v[4:5]
	v_fmac_f64_e32 v[42:43], v[206:207], v[208:209]
	s_delay_alu instid0(VALU_DEP_2) | instskip(NEXT) | instid1(VALU_DEP_2)
	v_add_f64_e32 v[18:19], v[18:19], v[4:5]
	v_add_f64_e32 v[20:21], v[20:21], v[42:43]
	s_or_b32 exec_lo, exec_lo, s38
	s_and_saveexec_b32 s38, s14
	s_cbranch_execz .LBB80_89
.LBB80_523:                             ;   in Loop: Header=BB80_3 Depth=1
	ds_load_b128 v[204:207], v46 offset:64
	ds_load_b128 v[208:211], v189 offset:2176
	s_wait_dscnt 0x0
	v_mul_f64_e32 v[4:5], v[206:207], v[210:211]
	v_mul_f64_e32 v[42:43], v[204:205], v[210:211]
	s_delay_alu instid0(VALU_DEP_2) | instskip(NEXT) | instid1(VALU_DEP_2)
	v_fma_f64 v[4:5], v[204:205], v[208:209], -v[4:5]
	v_fmac_f64_e32 v[42:43], v[206:207], v[208:209]
	s_delay_alu instid0(VALU_DEP_2) | instskip(NEXT) | instid1(VALU_DEP_2)
	v_add_f64_e32 v[18:19], v[18:19], v[4:5]
	v_add_f64_e32 v[20:21], v[20:21], v[42:43]
	s_or_b32 exec_lo, exec_lo, s38
	s_and_saveexec_b32 s38, s15
	s_cbranch_execz .LBB80_90
.LBB80_524:                             ;   in Loop: Header=BB80_3 Depth=1
	ds_load_b128 v[204:207], v46 offset:80
	ds_load_b128 v[208:211], v190 offset:2688
	s_wait_dscnt 0x0
	v_mul_f64_e32 v[4:5], v[206:207], v[210:211]
	v_mul_f64_e32 v[42:43], v[204:205], v[210:211]
	s_delay_alu instid0(VALU_DEP_2) | instskip(NEXT) | instid1(VALU_DEP_2)
	v_fma_f64 v[4:5], v[204:205], v[208:209], -v[4:5]
	v_fmac_f64_e32 v[42:43], v[206:207], v[208:209]
	s_delay_alu instid0(VALU_DEP_2) | instskip(NEXT) | instid1(VALU_DEP_2)
	v_add_f64_e32 v[18:19], v[18:19], v[4:5]
	v_add_f64_e32 v[20:21], v[20:21], v[42:43]
	s_or_b32 exec_lo, exec_lo, s38
	s_and_saveexec_b32 s38, s2
	s_cbranch_execz .LBB80_91
.LBB80_525:                             ;   in Loop: Header=BB80_3 Depth=1
	ds_load_b128 v[204:207], v46 offset:96
	ds_load_b128 v[208:211], v189 offset:3200
	s_wait_dscnt 0x0
	v_mul_f64_e32 v[4:5], v[206:207], v[210:211]
	v_mul_f64_e32 v[42:43], v[204:205], v[210:211]
	s_delay_alu instid0(VALU_DEP_2) | instskip(NEXT) | instid1(VALU_DEP_2)
	v_fma_f64 v[4:5], v[204:205], v[208:209], -v[4:5]
	v_fmac_f64_e32 v[42:43], v[206:207], v[208:209]
	s_delay_alu instid0(VALU_DEP_2) | instskip(NEXT) | instid1(VALU_DEP_2)
	v_add_f64_e32 v[18:19], v[18:19], v[4:5]
	v_add_f64_e32 v[20:21], v[20:21], v[42:43]
	s_or_b32 exec_lo, exec_lo, s38
	s_and_saveexec_b32 s38, s10
	s_cbranch_execnz .LBB80_92
	s_branch .LBB80_93
.LBB80_526:                             ;   in Loop: Header=BB80_3 Depth=1
	ds_load_b128 v[204:207], v45 offset:4240
	ds_load_b128 v[208:211], v187 offset:4800
	s_wait_dscnt 0x0
	v_mul_f64_e32 v[4:5], v[206:207], v[210:211]
	v_mul_f64_e32 v[42:43], v[204:205], v[210:211]
	s_delay_alu instid0(VALU_DEP_2) | instskip(NEXT) | instid1(VALU_DEP_2)
	v_fma_f64 v[4:5], v[204:205], v[208:209], -v[4:5]
	v_fmac_f64_e32 v[42:43], v[206:207], v[208:209]
	s_delay_alu instid0(VALU_DEP_2) | instskip(NEXT) | instid1(VALU_DEP_2)
	v_add_f64_e32 v[18:19], v[18:19], v[4:5]
	v_add_f64_e32 v[20:21], v[20:21], v[42:43]
	s_or_b32 exec_lo, exec_lo, s38
	s_and_saveexec_b32 s38, s10
	s_cbranch_execz .LBB80_149
.LBB80_527:                             ;   in Loop: Header=BB80_3 Depth=1
	ds_load_b128 v[204:207], v45 offset:4256
	ds_load_b128 v[208:211], v186 offset:5312
	s_wait_dscnt 0x0
	v_mul_f64_e32 v[4:5], v[206:207], v[210:211]
	v_mul_f64_e32 v[42:43], v[204:205], v[210:211]
	s_delay_alu instid0(VALU_DEP_2) | instskip(NEXT) | instid1(VALU_DEP_2)
	v_fma_f64 v[4:5], v[204:205], v[208:209], -v[4:5]
	v_fmac_f64_e32 v[42:43], v[206:207], v[208:209]
	s_delay_alu instid0(VALU_DEP_2) | instskip(NEXT) | instid1(VALU_DEP_2)
	v_add_f64_e32 v[18:19], v[18:19], v[4:5]
	v_add_f64_e32 v[20:21], v[20:21], v[42:43]
	s_or_b32 exec_lo, exec_lo, s38
	s_and_saveexec_b32 s38, s0
	s_cbranch_execnz .LBB80_150
	s_branch .LBB80_151
.LBB80_528:                             ;   in Loop: Header=BB80_3 Depth=1
	ds_load_b128 v[204:207], v3 offset:176
	ds_load_b128 v[208:211], v154 offset:5888
	s_wait_dscnt 0x0
	v_mul_f64_e32 v[4:5], v[206:207], v[210:211]
	v_mul_f64_e32 v[42:43], v[204:205], v[210:211]
	s_delay_alu instid0(VALU_DEP_2) | instskip(NEXT) | instid1(VALU_DEP_2)
	v_fma_f64 v[4:5], v[204:205], v[208:209], -v[4:5]
	v_fmac_f64_e32 v[42:43], v[206:207], v[208:209]
	s_delay_alu instid0(VALU_DEP_2) | instskip(NEXT) | instid1(VALU_DEP_2)
	v_add_f64_e32 v[18:19], v[18:19], v[4:5]
	v_add_f64_e32 v[20:21], v[20:21], v[42:43]
	s_or_b32 exec_lo, exec_lo, s38
	s_and_saveexec_b32 s38, s3
	s_cbranch_execz .LBB80_211
.LBB80_529:                             ;   in Loop: Header=BB80_3 Depth=1
	ds_load_b128 v[204:207], v3 offset:192
	ds_load_b128 v[208:211], v154 offset:6400
	s_wait_dscnt 0x0
	v_mul_f64_e32 v[4:5], v[206:207], v[210:211]
	v_mul_f64_e32 v[42:43], v[204:205], v[210:211]
	s_delay_alu instid0(VALU_DEP_2) | instskip(NEXT) | instid1(VALU_DEP_2)
	v_fma_f64 v[4:5], v[204:205], v[208:209], -v[4:5]
	v_fmac_f64_e32 v[42:43], v[206:207], v[208:209]
	s_delay_alu instid0(VALU_DEP_2) | instskip(NEXT) | instid1(VALU_DEP_2)
	v_add_f64_e32 v[18:19], v[18:19], v[4:5]
	v_add_f64_e32 v[20:21], v[20:21], v[42:43]
	s_or_b32 exec_lo, exec_lo, s38
	s_and_saveexec_b32 s38, s12
	s_cbranch_execz .LBB80_212
.LBB80_530:                             ;   in Loop: Header=BB80_3 Depth=1
	ds_load_b128 v[204:207], v3 offset:208
	ds_load_b128 v[208:211], v154 offset:6912
	s_wait_dscnt 0x0
	v_mul_f64_e32 v[4:5], v[206:207], v[210:211]
	v_mul_f64_e32 v[42:43], v[204:205], v[210:211]
	s_delay_alu instid0(VALU_DEP_2) | instskip(NEXT) | instid1(VALU_DEP_2)
	v_fma_f64 v[4:5], v[204:205], v[208:209], -v[4:5]
	v_fmac_f64_e32 v[42:43], v[206:207], v[208:209]
	s_delay_alu instid0(VALU_DEP_2) | instskip(NEXT) | instid1(VALU_DEP_2)
	v_add_f64_e32 v[18:19], v[18:19], v[4:5]
	v_add_f64_e32 v[20:21], v[20:21], v[42:43]
	s_or_b32 exec_lo, exec_lo, s38
	s_and_saveexec_b32 s38, s14
	s_cbranch_execz .LBB80_213
.LBB80_531:                             ;   in Loop: Header=BB80_3 Depth=1
	ds_load_b128 v[204:207], v3 offset:224
	ds_load_b128 v[208:211], v154 offset:7424
	s_wait_dscnt 0x0
	v_mul_f64_e32 v[4:5], v[206:207], v[210:211]
	v_mul_f64_e32 v[42:43], v[204:205], v[210:211]
	s_delay_alu instid0(VALU_DEP_2) | instskip(NEXT) | instid1(VALU_DEP_2)
	v_fma_f64 v[4:5], v[204:205], v[208:209], -v[4:5]
	v_fmac_f64_e32 v[42:43], v[206:207], v[208:209]
	s_delay_alu instid0(VALU_DEP_2) | instskip(NEXT) | instid1(VALU_DEP_2)
	v_add_f64_e32 v[18:19], v[18:19], v[4:5]
	v_add_f64_e32 v[20:21], v[20:21], v[42:43]
	s_or_b32 exec_lo, exec_lo, s38
	s_and_saveexec_b32 s38, s2
	s_cbranch_execnz .LBB80_214
	s_branch .LBB80_215
.LBB80_532:                             ;   in Loop: Header=BB80_3 Depth=1
	ds_load_b128 v[204:207], v45 offset:8464
	ds_load_b128 v[208:211], v187 offset:9024
	s_wait_dscnt 0x0
	v_mul_f64_e32 v[4:5], v[206:207], v[210:211]
	v_mul_f64_e32 v[42:43], v[204:205], v[210:211]
	s_delay_alu instid0(VALU_DEP_2) | instskip(NEXT) | instid1(VALU_DEP_2)
	v_fma_f64 v[4:5], v[204:205], v[208:209], -v[4:5]
	v_fmac_f64_e32 v[42:43], v[206:207], v[208:209]
	s_delay_alu instid0(VALU_DEP_2) | instskip(NEXT) | instid1(VALU_DEP_2)
	v_add_f64_e32 v[18:19], v[18:19], v[4:5]
	v_add_f64_e32 v[20:21], v[20:21], v[42:43]
	s_or_b32 exec_lo, exec_lo, s38
	s_and_saveexec_b32 s38, s10
	s_cbranch_execz .LBB80_303
.LBB80_533:                             ;   in Loop: Header=BB80_3 Depth=1
	ds_load_b128 v[204:207], v45 offset:8480
	ds_load_b128 v[208:211], v186 offset:9536
	s_wait_dscnt 0x0
	v_mul_f64_e32 v[4:5], v[206:207], v[210:211]
	v_mul_f64_e32 v[42:43], v[204:205], v[210:211]
	s_delay_alu instid0(VALU_DEP_2) | instskip(NEXT) | instid1(VALU_DEP_2)
	v_fma_f64 v[4:5], v[204:205], v[208:209], -v[4:5]
	v_fmac_f64_e32 v[42:43], v[206:207], v[208:209]
	s_delay_alu instid0(VALU_DEP_2) | instskip(NEXT) | instid1(VALU_DEP_2)
	v_add_f64_e32 v[18:19], v[18:19], v[4:5]
	v_add_f64_e32 v[20:21], v[20:21], v[42:43]
	s_or_b32 exec_lo, exec_lo, s38
	s_and_saveexec_b32 s38, s0
	s_cbranch_execnz .LBB80_304
	s_branch .LBB80_305
.LBB80_534:                             ;   in Loop: Header=BB80_3 Depth=1
	ds_load_b128 v[204:207], v46 offset:8464
	ds_load_b128 v[208:211], v190 offset:9088
	s_wait_dscnt 0x0
	v_mul_f64_e32 v[4:5], v[206:207], v[210:211]
	v_mul_f64_e32 v[42:43], v[204:205], v[210:211]
	s_delay_alu instid0(VALU_DEP_2) | instskip(NEXT) | instid1(VALU_DEP_2)
	v_fma_f64 v[4:5], v[204:205], v[208:209], -v[4:5]
	v_fmac_f64_e32 v[42:43], v[206:207], v[208:209]
	s_delay_alu instid0(VALU_DEP_2) | instskip(NEXT) | instid1(VALU_DEP_2)
	v_add_f64_e32 v[18:19], v[18:19], v[4:5]
	v_add_f64_e32 v[20:21], v[20:21], v[42:43]
	s_or_b32 exec_lo, exec_lo, s38
	s_and_saveexec_b32 s38, s12
	s_cbranch_execz .LBB80_345
.LBB80_535:                             ;   in Loop: Header=BB80_3 Depth=1
	ds_load_b128 v[204:207], v46 offset:8480
	ds_load_b128 v[208:211], v190 offset:9600
	s_wait_dscnt 0x0
	v_mul_f64_e32 v[4:5], v[206:207], v[210:211]
	v_mul_f64_e32 v[42:43], v[204:205], v[210:211]
	s_delay_alu instid0(VALU_DEP_2) | instskip(NEXT) | instid1(VALU_DEP_2)
	v_fma_f64 v[4:5], v[204:205], v[208:209], -v[4:5]
	v_fmac_f64_e32 v[42:43], v[206:207], v[208:209]
	s_delay_alu instid0(VALU_DEP_2) | instskip(NEXT) | instid1(VALU_DEP_2)
	v_add_f64_e32 v[18:19], v[18:19], v[4:5]
	v_add_f64_e32 v[20:21], v[20:21], v[42:43]
	s_or_b32 exec_lo, exec_lo, s38
	s_and_saveexec_b32 s38, s13
	s_cbranch_execz .LBB80_346
.LBB80_536:                             ;   in Loop: Header=BB80_3 Depth=1
	ds_load_b128 v[204:207], v46 offset:8496
	ds_load_b128 v[208:211], v190 offset:10112
	s_wait_dscnt 0x0
	v_mul_f64_e32 v[4:5], v[206:207], v[210:211]
	v_mul_f64_e32 v[42:43], v[204:205], v[210:211]
	s_delay_alu instid0(VALU_DEP_2) | instskip(NEXT) | instid1(VALU_DEP_2)
	v_fma_f64 v[4:5], v[204:205], v[208:209], -v[4:5]
	v_fmac_f64_e32 v[42:43], v[206:207], v[208:209]
	s_delay_alu instid0(VALU_DEP_2) | instskip(NEXT) | instid1(VALU_DEP_2)
	v_add_f64_e32 v[18:19], v[18:19], v[4:5]
	v_add_f64_e32 v[20:21], v[20:21], v[42:43]
	s_or_b32 exec_lo, exec_lo, s38
	s_and_saveexec_b32 s38, s14
	s_cbranch_execz .LBB80_347
.LBB80_537:                             ;   in Loop: Header=BB80_3 Depth=1
	ds_load_b128 v[204:207], v46 offset:8512
	ds_load_b128 v[208:211], v189 offset:10624
	s_wait_dscnt 0x0
	v_mul_f64_e32 v[4:5], v[206:207], v[210:211]
	v_mul_f64_e32 v[42:43], v[204:205], v[210:211]
	s_delay_alu instid0(VALU_DEP_2) | instskip(NEXT) | instid1(VALU_DEP_2)
	v_fma_f64 v[4:5], v[204:205], v[208:209], -v[4:5]
	v_fmac_f64_e32 v[42:43], v[206:207], v[208:209]
	s_delay_alu instid0(VALU_DEP_2) | instskip(NEXT) | instid1(VALU_DEP_2)
	v_add_f64_e32 v[18:19], v[18:19], v[4:5]
	v_add_f64_e32 v[20:21], v[20:21], v[42:43]
	s_or_b32 exec_lo, exec_lo, s38
	s_and_saveexec_b32 s38, s15
	s_cbranch_execz .LBB80_348
.LBB80_538:                             ;   in Loop: Header=BB80_3 Depth=1
	ds_load_b128 v[204:207], v46 offset:8528
	ds_load_b128 v[208:211], v190 offset:11136
	s_wait_dscnt 0x0
	v_mul_f64_e32 v[4:5], v[206:207], v[210:211]
	v_mul_f64_e32 v[42:43], v[204:205], v[210:211]
	s_delay_alu instid0(VALU_DEP_2) | instskip(NEXT) | instid1(VALU_DEP_2)
	v_fma_f64 v[4:5], v[204:205], v[208:209], -v[4:5]
	v_fmac_f64_e32 v[42:43], v[206:207], v[208:209]
	s_delay_alu instid0(VALU_DEP_2) | instskip(NEXT) | instid1(VALU_DEP_2)
	v_add_f64_e32 v[18:19], v[18:19], v[4:5]
	v_add_f64_e32 v[20:21], v[20:21], v[42:43]
	s_or_b32 exec_lo, exec_lo, s38
	s_and_saveexec_b32 s38, s2
	s_cbranch_execz .LBB80_349
.LBB80_539:                             ;   in Loop: Header=BB80_3 Depth=1
	ds_load_b128 v[204:207], v46 offset:8544
	ds_load_b128 v[208:211], v189 offset:11648
	s_wait_dscnt 0x0
	v_mul_f64_e32 v[4:5], v[206:207], v[210:211]
	v_mul_f64_e32 v[42:43], v[204:205], v[210:211]
	s_delay_alu instid0(VALU_DEP_2) | instskip(NEXT) | instid1(VALU_DEP_2)
	v_fma_f64 v[4:5], v[204:205], v[208:209], -v[4:5]
	v_fmac_f64_e32 v[42:43], v[206:207], v[208:209]
	s_delay_alu instid0(VALU_DEP_2) | instskip(NEXT) | instid1(VALU_DEP_2)
	v_add_f64_e32 v[18:19], v[18:19], v[4:5]
	v_add_f64_e32 v[20:21], v[20:21], v[42:43]
	s_or_b32 exec_lo, exec_lo, s38
	s_and_saveexec_b32 s38, s10
	s_cbranch_execnz .LBB80_350
	s_branch .LBB80_351
.LBB80_540:                             ;   in Loop: Header=BB80_3 Depth=1
	ds_load_b128 v[204:207], v45 offset:12688
	ds_load_b128 v[208:211], v187 offset:13248
	s_wait_dscnt 0x0
	v_mul_f64_e32 v[4:5], v[206:207], v[210:211]
	v_mul_f64_e32 v[42:43], v[204:205], v[210:211]
	s_delay_alu instid0(VALU_DEP_2) | instskip(NEXT) | instid1(VALU_DEP_2)
	v_fma_f64 v[4:5], v[204:205], v[208:209], -v[4:5]
	v_fmac_f64_e32 v[42:43], v[206:207], v[208:209]
	s_delay_alu instid0(VALU_DEP_2) | instskip(NEXT) | instid1(VALU_DEP_2)
	v_add_f64_e32 v[18:19], v[18:19], v[4:5]
	v_add_f64_e32 v[20:21], v[20:21], v[42:43]
	s_or_b32 exec_lo, exec_lo, s38
	s_and_saveexec_b32 s38, s10
	s_cbranch_execz .LBB80_407
.LBB80_541:                             ;   in Loop: Header=BB80_3 Depth=1
	ds_load_b128 v[204:207], v45 offset:12704
	ds_load_b128 v[208:211], v186 offset:13760
	s_wait_dscnt 0x0
	v_mul_f64_e32 v[4:5], v[206:207], v[210:211]
	v_mul_f64_e32 v[42:43], v[204:205], v[210:211]
	s_delay_alu instid0(VALU_DEP_2) | instskip(NEXT) | instid1(VALU_DEP_2)
	v_fma_f64 v[4:5], v[204:205], v[208:209], -v[4:5]
	v_fmac_f64_e32 v[42:43], v[206:207], v[208:209]
	s_delay_alu instid0(VALU_DEP_2) | instskip(NEXT) | instid1(VALU_DEP_2)
	v_add_f64_e32 v[18:19], v[18:19], v[4:5]
	v_add_f64_e32 v[20:21], v[20:21], v[42:43]
	s_or_b32 exec_lo, exec_lo, s38
	s_and_saveexec_b32 s38, s0
	s_cbranch_execnz .LBB80_408
	s_branch .LBB80_409
.LBB80_542:
	s_endpgm
	.section	.rodata,"a",@progbits
	.p2align	6, 0x0
	.amdhsa_kernel _ZL19rocblas_trsv_deviceILi32ELi16ELb1ELb1ELb0ELb1E19rocblas_complex_numIdEPKS1_S3_PS1_EviT7_lllT6_T8_lllPii
		.amdhsa_group_segment_fixed_size 25104
		.amdhsa_private_segment_fixed_size 0
		.amdhsa_kernarg_size 352
		.amdhsa_user_sgpr_count 2
		.amdhsa_user_sgpr_dispatch_ptr 0
		.amdhsa_user_sgpr_queue_ptr 0
		.amdhsa_user_sgpr_kernarg_segment_ptr 1
		.amdhsa_user_sgpr_dispatch_id 0
		.amdhsa_user_sgpr_kernarg_preload_length 0
		.amdhsa_user_sgpr_kernarg_preload_offset 0
		.amdhsa_user_sgpr_private_segment_size 0
		.amdhsa_wavefront_size32 1
		.amdhsa_uses_dynamic_stack 0
		.amdhsa_enable_private_segment 0
		.amdhsa_system_sgpr_workgroup_id_x 1
		.amdhsa_system_sgpr_workgroup_id_y 0
		.amdhsa_system_sgpr_workgroup_id_z 1
		.amdhsa_system_sgpr_workgroup_info 0
		.amdhsa_system_vgpr_workitem_id 1
		.amdhsa_next_free_vgpr 212
		.amdhsa_next_free_sgpr 105
		.amdhsa_named_barrier_count 0
		.amdhsa_reserve_vcc 1
		.amdhsa_float_round_mode_32 0
		.amdhsa_float_round_mode_16_64 0
		.amdhsa_float_denorm_mode_32 3
		.amdhsa_float_denorm_mode_16_64 3
		.amdhsa_fp16_overflow 0
		.amdhsa_memory_ordered 1
		.amdhsa_forward_progress 1
		.amdhsa_inst_pref_size 163
		.amdhsa_round_robin_scheduling 0
		.amdhsa_exception_fp_ieee_invalid_op 0
		.amdhsa_exception_fp_denorm_src 0
		.amdhsa_exception_fp_ieee_div_zero 0
		.amdhsa_exception_fp_ieee_overflow 0
		.amdhsa_exception_fp_ieee_underflow 0
		.amdhsa_exception_fp_ieee_inexact 0
		.amdhsa_exception_int_div_zero 0
	.end_amdhsa_kernel
	.section	.text._ZL19rocblas_trsv_deviceILi32ELi16ELb1ELb1ELb0ELb1E19rocblas_complex_numIdEPKS1_S3_PS1_EviT7_lllT6_T8_lllPii,"axG",@progbits,_ZL19rocblas_trsv_deviceILi32ELi16ELb1ELb1ELb0ELb1E19rocblas_complex_numIdEPKS1_S3_PS1_EviT7_lllT6_T8_lllPii,comdat
.Lfunc_end80:
	.size	_ZL19rocblas_trsv_deviceILi32ELi16ELb1ELb1ELb0ELb1E19rocblas_complex_numIdEPKS1_S3_PS1_EviT7_lllT6_T8_lllPii, .Lfunc_end80-_ZL19rocblas_trsv_deviceILi32ELi16ELb1ELb1ELb0ELb1E19rocblas_complex_numIdEPKS1_S3_PS1_EviT7_lllT6_T8_lllPii
                                        ; -- End function
	.set _ZL19rocblas_trsv_deviceILi32ELi16ELb1ELb1ELb0ELb1E19rocblas_complex_numIdEPKS1_S3_PS1_EviT7_lllT6_T8_lllPii.num_vgpr, 212
	.set _ZL19rocblas_trsv_deviceILi32ELi16ELb1ELb1ELb0ELb1E19rocblas_complex_numIdEPKS1_S3_PS1_EviT7_lllT6_T8_lllPii.num_agpr, 0
	.set _ZL19rocblas_trsv_deviceILi32ELi16ELb1ELb1ELb0ELb1E19rocblas_complex_numIdEPKS1_S3_PS1_EviT7_lllT6_T8_lllPii.numbered_sgpr, 105
	.set _ZL19rocblas_trsv_deviceILi32ELi16ELb1ELb1ELb0ELb1E19rocblas_complex_numIdEPKS1_S3_PS1_EviT7_lllT6_T8_lllPii.num_named_barrier, 0
	.set _ZL19rocblas_trsv_deviceILi32ELi16ELb1ELb1ELb0ELb1E19rocblas_complex_numIdEPKS1_S3_PS1_EviT7_lllT6_T8_lllPii.private_seg_size, 0
	.set _ZL19rocblas_trsv_deviceILi32ELi16ELb1ELb1ELb0ELb1E19rocblas_complex_numIdEPKS1_S3_PS1_EviT7_lllT6_T8_lllPii.uses_vcc, 1
	.set _ZL19rocblas_trsv_deviceILi32ELi16ELb1ELb1ELb0ELb1E19rocblas_complex_numIdEPKS1_S3_PS1_EviT7_lllT6_T8_lllPii.uses_flat_scratch, 0
	.set _ZL19rocblas_trsv_deviceILi32ELi16ELb1ELb1ELb0ELb1E19rocblas_complex_numIdEPKS1_S3_PS1_EviT7_lllT6_T8_lllPii.has_dyn_sized_stack, 0
	.set _ZL19rocblas_trsv_deviceILi32ELi16ELb1ELb1ELb0ELb1E19rocblas_complex_numIdEPKS1_S3_PS1_EviT7_lllT6_T8_lllPii.has_recursion, 0
	.set _ZL19rocblas_trsv_deviceILi32ELi16ELb1ELb1ELb0ELb1E19rocblas_complex_numIdEPKS1_S3_PS1_EviT7_lllT6_T8_lllPii.has_indirect_call, 0
	.section	.AMDGPU.csdata,"",@progbits
; Kernel info:
; codeLenInByte = 20788
; TotalNumSgprs: 107
; NumVgprs: 212
; ScratchSize: 0
; MemoryBound: 1
; FloatMode: 240
; IeeeMode: 1
; LDSByteSize: 25104 bytes/workgroup (compile time only)
; SGPRBlocks: 0
; VGPRBlocks: 13
; NumSGPRsForWavesPerEU: 107
; NumVGPRsForWavesPerEU: 212
; NamedBarCnt: 0
; Occupancy: 4
; WaveLimiterHint : 0
; COMPUTE_PGM_RSRC2:SCRATCH_EN: 0
; COMPUTE_PGM_RSRC2:USER_SGPR: 2
; COMPUTE_PGM_RSRC2:TRAP_HANDLER: 0
; COMPUTE_PGM_RSRC2:TGID_X_EN: 1
; COMPUTE_PGM_RSRC2:TGID_Y_EN: 0
; COMPUTE_PGM_RSRC2:TGID_Z_EN: 1
; COMPUTE_PGM_RSRC2:TIDIG_COMP_CNT: 1
	.section	.text._ZL19rocblas_trsv_deviceILi32ELi16ELb1ELb1ELb1ELb1E19rocblas_complex_numIdEPKS1_S3_PS1_EviT7_lllT6_T8_lllPii,"axG",@progbits,_ZL19rocblas_trsv_deviceILi32ELi16ELb1ELb1ELb1ELb1E19rocblas_complex_numIdEPKS1_S3_PS1_EviT7_lllT6_T8_lllPii,comdat
	.globl	_ZL19rocblas_trsv_deviceILi32ELi16ELb1ELb1ELb1ELb1E19rocblas_complex_numIdEPKS1_S3_PS1_EviT7_lllT6_T8_lllPii ; -- Begin function _ZL19rocblas_trsv_deviceILi32ELi16ELb1ELb1ELb1ELb1E19rocblas_complex_numIdEPKS1_S3_PS1_EviT7_lllT6_T8_lllPii
	.p2align	8
	.type	_ZL19rocblas_trsv_deviceILi32ELi16ELb1ELb1ELb1ELb1E19rocblas_complex_numIdEPKS1_S3_PS1_EviT7_lllT6_T8_lllPii,@function
_ZL19rocblas_trsv_deviceILi32ELi16ELb1ELb1ELb1ELb1E19rocblas_complex_numIdEPKS1_S3_PS1_EviT7_lllT6_T8_lllPii: ; @_ZL19rocblas_trsv_deviceILi32ELi16ELb1ELb1ELb1ELb1E19rocblas_complex_numIdEPKS1_S3_PS1_EviT7_lllT6_T8_lllPii
; %bb.0:
	s_load_b32 s33, s[0:1], 0x58
	s_bfe_u32 s2, ttmp6, 0x40014
	s_lshr_b32 s3, ttmp7, 16
	s_add_co_i32 s2, s2, 1
	s_bfe_u32 s5, ttmp6, 0x40008
	s_mul_i32 s4, s3, s2
	s_getreg_b32 s2, hwreg(HW_REG_IB_STS2, 6, 4)
	s_add_co_i32 s5, s5, s4
	s_cmp_eq_u32 s2, 0
	s_mov_b32 s35, 0
	s_cselect_b32 s34, s3, s5
	s_wait_kmcnt 0x0
	s_cmp_ge_u32 s34, s33
	s_cbranch_scc1 .LBB81_542
; %bb.1:
	s_clause 0x3
	s_load_b512 s[36:51], s[0:1], 0x8
	s_load_b32 s3, s[0:1], 0x6c
	s_load_b32 s61, s[0:1], 0x60
	;; [unrolled: 1-line block ×3, first 2 shown]
	s_bfe_u32 s5, ttmp6, 0x4000c
	s_and_b32 s4, ttmp6, 15
	s_add_co_i32 s5, s5, 1
	s_load_b128 s[52:55], s[0:1], 0x48
	s_wait_xcnt 0x0
	s_mul_i32 s0, ttmp9, s5
	v_bfe_u32 v22, v0, 10, 10
	s_add_co_i32 s4, s4, s0
	v_and_b32_e32 v24, 0x3ff, v0
	v_mov_b32_e32 v2, 0
                                        ; implicit-def: $vgpr203 : SGPR spill to VGPR lane
	s_delay_alu instid0(VALU_DEP_3) | instskip(NEXT) | instid1(VALU_DEP_3)
	v_dual_add_nc_u32 v4, 16, v22 :: v_dual_lshlrev_b32 v40, 4, v22
	v_dual_lshlrev_b32 v38, 9, v24 :: v_dual_lshlrev_b32 v1, 5, v24
	s_delay_alu instid0(VALU_DEP_3)
	v_mov_b32_e32 v27, v2
	v_lshl_add_u32 v3, v22, 5, v24
	s_wait_kmcnt 0x0
	s_lshl_b64 s[10:11], s[38:39], 4
	s_lshl_b64 s[12:13], s[48:49], 4
	s_cmp_eq_u32 s2, 0
	v_dual_add_nc_u32 v5, v22, v1 :: v_dual_add_nc_u32 v1, v4, v1
	s_cselect_b32 s60, ttmp9, s4
	s_add_co_i32 s0, s56, -1
	s_ashr_i32 s57, s56, 31
	s_ashr_i32 s1, s0, 31
	s_and_b32 s2, s3, 0xffff
	s_lshr_b32 s3, s57, 27
	s_lshr_b32 s1, s1, 27
	s_add_co_i32 s3, s56, s3
	s_add_co_i32 s61, s61, -1
	s_add_co_i32 s0, s0, s1
	s_and_not1_b32 s3, s3, 31
	s_sub_co_i32 s97, s61, s60
	s_ashr_i32 s0, s0, 5
	s_sub_co_i32 s9, s56, s3
	s_cmp_eq_u32 s0, s97
	v_lshl_add_u32 v6, v4, 5, v24
	s_cselect_b32 s0, -1, 0
	s_cmp_lg_u32 s9, 0
	v_mad_u32_u24 v26, v22, s2, v24
	s_cselect_b32 s1, -1, 0
	v_dual_lshrrev_b32 v15, 1, v3 :: v_dual_bitop2_b32 v14, 15, v0 bitop3:0x40
	s_and_b32 s27, s1, s0
	s_add_nc_u64 s[0:1], s[40:41], 1
	s_xor_b32 s62, s27, -1
	s_cmp_lg_u32 s60, 0
	v_cmp_lt_u32_e64 s8, 2, v14
	s_cselect_b32 s63, -1, 0
	s_lshl_b32 s16, s97, 5
	s_cmp_lt_i32 s60, 5
	v_dual_add_nc_u32 v10, s16, v22 :: v_dual_add_nc_u32 v8, s16, v24
	s_cselect_b32 vcc_lo, -1, 0
	s_delay_alu instid0(SALU_CYCLE_1) | instskip(SKIP_3) | instid1(VALU_DEP_1)
	v_dual_cndmask_b32 v12, v3, v5, vcc_lo :: v_dual_bitop2_b32 v11, 1, v0 bitop3:0x40
	s_ashr_i32 s17, s16, 31
	s_or_b32 vcc_lo, vcc_lo, s27
	s_mul_u64 s[14:15], s[0:1], s[16:17]
	v_cmp_eq_u32_e64 s2, 1, v11
	v_dual_cndmask_b32 v13, v6, v1, vcc_lo :: v_dual_bitop2_b32 v1, 3, v0 bitop3:0x40
	s_xor_b32 s64, vcc_lo, -1
	v_cmp_gt_u32_e64 s0, 4, v3
	v_cmp_eq_u32_e64 s1, 0, v22
	v_cmp_gt_u32_e32 vcc_lo, 2, v24
	s_xor_b32 s3, s2, -1
	v_cmp_eq_u32_e64 s4, 1, v1
	s_and_b32 s65, s3, s0
	s_and_b32 s66, s2, s0
	v_cmp_gt_u32_e64 s2, 16, v3
	v_cmp_eq_u32_e64 s3, 0, v1
	s_and_b32 s67, s1, vcc_lo
	v_cmp_ne_u32_e32 vcc_lo, 0, v1
	v_dual_add_nc_u32 v28, 32, v10 :: v_dual_bitop2_b32 v5, 7, v0 bitop3:0x40
	s_and_b32 s68, s3, s2
	v_cmp_eq_u32_e64 s3, 2, v1
	s_and_b32 s69, vcc_lo, s2
	s_and_b32 s70, s4, s2
	v_cmp_eq_u32_e32 vcc_lo, 3, v1
	v_cmp_gt_u32_e64 s4, 4, v24
	v_cmp_lt_u32_e64 s5, 1, v1
	s_and_b32 s72, s3, s2
	v_cmp_gt_u32_e64 s3, 64, v3
	s_and_b32 s73, vcc_lo, s2
	s_and_b32 s74, s1, s4
	v_cmp_eq_u32_e32 vcc_lo, 0, v5
	v_cmp_ne_u32_e64 s4, 0, v5
	s_and_b32 s71, s5, s2
	v_cmp_eq_u32_e64 s5, 1, v5
	v_cmp_lt_u32_e64 s6, 1, v5
	s_and_b32 s75, vcc_lo, s3
	s_and_b32 s76, s4, s3
	v_cmp_lt_u32_e32 vcc_lo, 2, v5
	v_cmp_eq_u32_e64 s4, 3, v5
	s_and_b32 s77, s5, s3
	s_and_b32 s78, s6, s3
	v_cmp_lt_u32_e64 s5, 3, v5
	v_cmp_eq_u32_e64 s6, 4, v5
	s_and_b32 s80, vcc_lo, s3
	s_and_b32 s81, s4, s3
	v_cmp_eq_u32_e32 vcc_lo, 5, v5
	v_cmp_lt_u32_e64 s4, 5, v5
	s_and_b32 s82, s5, s3
	s_and_b32 s83, s6, s3
	v_cmp_eq_u32_e64 s5, 6, v5
	v_cmp_eq_u32_e64 s6, 7, v5
	s_and_b32 s85, vcc_lo, s3
	s_and_b32 s86, s4, s3
	v_cmp_gt_u32_e64 s4, 0x100, v3
	v_cmp_eq_u32_e32 vcc_lo, 0, v14
	v_cmp_eq_u32_e64 s7, 2, v5
	s_and_b32 s87, s5, s3
	s_and_b32 s88, s6, s3
	v_cmp_ne_u32_e64 s5, 0, v14
	s_and_b32 s6, vcc_lo, s4
	s_and_b32 s79, s7, s3
	v_writelane_b32 v203, s6, 0
	v_cmp_lt_u32_e64 s7, 4, v5
	v_cmp_eq_u32_e32 vcc_lo, 1, v14
	s_and_b32 s5, s5, s4
	v_cmp_lt_u32_e64 s6, 1, v14
	v_writelane_b32 v203, s5, 1
	s_and_b32 s84, s7, s3
	v_cmp_gt_u32_e64 s7, 8, v24
	s_and_b32 s5, vcc_lo, s4
	v_cmp_eq_u32_e32 vcc_lo, 3, v14
	v_writelane_b32 v203, s5, 2
	s_and_b32 s5, s6, s4
	s_and_b32 s89, s1, s7
	v_cmp_eq_u32_e64 s7, 2, v14
	s_and_b32 s18, vcc_lo, s4
	v_writelane_b32 v203, s5, 3
	v_cmp_eq_u32_e64 s6, 4, v14
	v_cmp_lt_u32_e32 vcc_lo, 5, v14
	s_and_b32 s5, s7, s4
	v_cmp_lt_u32_e64 s7, 4, v14
	v_writelane_b32 v203, s5, 4
	s_and_b32 s5, s8, s4
	v_cmp_eq_u32_e64 s8, 5, v14
	v_add_nc_u64_e32 v[6:7], s[16:17], v[26:27]
	v_dual_lshlrev_b32 v25, 4, v24 :: v_dual_lshrrev_b32 v17, 2, v3
	v_writelane_b32 v203, s5, 5
	v_cmp_lt_u32_e64 s5, 3, v14
	v_dual_lshlrev_b32 v29, 5, v3 :: v_dual_lshlrev_b32 v59, 4, v14
	s_delay_alu instid0(VALU_DEP_4)
	v_mad_u32_u24 v16, 0x1f0, v24, v25
	v_writelane_b32 v203, s18, 6
	s_and_b32 s5, s5, s4
	s_and_b32 s18, vcc_lo, s4
	v_cmp_eq_u32_e32 vcc_lo, 8, v14
	v_mad_i32_i24 v44, 0xfffffe10, v24, v16
	v_writelane_b32 v203, s5, 7
	s_and_b32 s5, s6, s4
	v_cmp_lt_u32_e64 s6, 6, v14
	v_dual_ashrrev_i32 v9, 31, v8 :: v_dual_lshrrev_b32 v19, 3, v3
	v_writelane_b32 v203, s5, 8
	s_and_b32 s5, s7, s4
	v_cmp_eq_u32_e64 s7, 7, v14
	v_mad_u32_u24 v23, 0x1f0, v24, v44
	v_dual_lshrrev_b32 v18, 10, v0 :: v_dual_lshlrev_b32 v20, 4, v17
	v_writelane_b32 v203, s5, 9
	s_and_b32 s5, s8, s4
	v_cmp_lt_u32_e64 s8, 7, v14
	v_mad_i32_i24 v71, 0xfffffe10, v24, v23
	v_mul_u32_u24_e32 v45, 0x210, v17
	v_writelane_b32 v203, s5, 10
	v_cmp_eq_u32_e64 s5, 6, v14
	v_dual_lshlrev_b32 v21, 4, v19 :: v_dual_add_nc_u32 v47, 32, v16
	v_mul_u32_u24_e32 v46, 0x210, v19
	v_writelane_b32 v203, s18, 11
	s_and_b32 s5, s5, s4
	s_and_b32 s18, vcc_lo, s4
	v_cmp_lt_u32_e32 vcc_lo, 10, v14
	v_and_b32_e32 v58, 0xfffffe00, v29
	v_writelane_b32 v203, s5, 12
	s_and_b32 s5, s6, s4
	v_cmp_eq_u32_e64 s6, 9, v14
	s_and_b32 s23, vcc_lo, s4
	v_cmp_eq_u32_e32 vcc_lo, 13, v14
	v_writelane_b32 v203, s5, 13
	s_and_b32 s5, s7, s4
	v_cmp_lt_u32_e64 s7, 9, v14
	s_and_b32 s20, s6, s4
	v_cmp_lt_u32_e64 s6, 11, v14
	v_writelane_b32 v203, s5, 14
	s_and_b32 s5, s8, s4
	v_cmp_eq_u32_e64 s8, 10, v14
	s_and_b32 s21, s7, s4
	v_cmp_eq_u32_e64 s7, 12, v14
	v_writelane_b32 v203, s5, 15
	v_cmp_lt_u32_e64 s5, 8, v14
	s_and_b32 s22, s8, s4
	v_cmp_lt_u32_e64 s8, 12, v14
	s_and_b32 s16, s7, s4
	v_cmp_le_i32_e64 s7, s9, v24
	s_and_b32 s19, s5, s4
	v_cmp_eq_u32_e64 s5, 11, v14
	s_and_b32 s26, vcc_lo, s4
	v_cmp_eq_u32_e32 vcc_lo, 15, v14
	s_and_b32 s25, s6, s4
	v_cmp_eq_u32_e64 s6, 14, v14
	s_and_b32 s24, s5, s4
	v_cmp_lt_u32_e64 s5, 13, v14
	s_and_b32 s17, s8, s4
	v_cmp_gt_u32_e64 s8, 16, v24
	s_and_b32 s93, s7, s27
	s_and_b32 s92, vcc_lo, s4
	s_and_b32 s90, s5, s4
	s_xor_b32 s5, s93, -1
	v_cmp_le_i32_e32 vcc_lo, s9, v22
	s_and_b32 s91, s6, s4
	s_and_b32 s94, s1, s8
	;; [unrolled: 1-line block ×3, first 2 shown]
	s_cmp_gt_i32 s60, 0
	v_writelane_b32 v203, s18, 16
	s_cselect_b32 s96, -1, 0
	s_or_b32 s8, vcc_lo, s7
	v_cmp_le_i32_e32 vcc_lo, s9, v4
	v_cmp_gt_u32_e64 s18, 0xf0, v3
	v_mad_u32_u24 v14, 0x1f0, v24, v71
	v_dual_add_nc_u32 v48, 48, v16 :: v_dual_sub_nc_u32 v35, v46, v21
	s_or_b32 s27, vcc_lo, s7
	v_cmp_gt_i32_e32 vcc_lo, s9, v24
	s_delay_alu instid0(VALU_DEP_3) | instskip(SKIP_3) | instid1(VALU_DEP_3)
	v_mad_i32_i24 v82, 0xfffffe10, v24, v14
	v_dual_sub_nc_u32 v34, v45, v20 :: v_dual_add_nc_u32 v49, 64, v23
	v_add_nc_u32_e32 v50, 0x80, v16
	s_and_b32 s5, s1, vcc_lo
	v_mad_u32_u24 v36, 0x1f0, v24, v82
	v_writelane_b32 v203, s5, 17
	v_add_nc_u32_e32 v52, 0xa0, v16
	v_add_nc_u32_e32 v69, 0x70, v23
	;; [unrolled: 1-line block ×4, first 2 shown]
	v_writelane_b32 v203, s18, 18
	v_cmp_gt_u32_e64 s18, 0xe0, v3
	v_add_nc_u32_e32 v73, 0x10a0, v23
	v_add_nc_u32_e32 v74, 0x10b0, v23
	;; [unrolled: 1-line block ×4, first 2 shown]
	v_writelane_b32 v203, s18, 19
	v_cmp_gt_u32_e64 s18, 0xd0, v3
	v_add_nc_u32_e32 v77, 0x2160, v23
	v_add_nc_u32_e32 v78, 0x2150, v23
	v_add_nc_u32_e32 v79, 0x31a0, v23
	v_mad_i32_i24 v37, 0xfffffe10, v24, v36
	v_writelane_b32 v203, s18, 20
	v_cmp_gt_u32_e64 s18, 0xc0, v3
	v_dual_lshlrev_b32 v181, 4, v1 :: v_dual_bitop2_b32 v154, v58, v59 bitop3:0x54
	v_bitop3_b32 v18, v0, v18, 0x3ff bitop3:0xa8
	v_dual_lshlrev_b32 v0, 4, v11 :: v_dual_lshlrev_b32 v184, 4, v5
	v_dual_mov_b32 v5, v2 :: v_dual_add_nc_u32 v192, 0x31b0, v23
	v_mov_b32_e32 v23, v2
	v_writelane_b32 v203, s18, 21
	v_cmp_gt_u32_e64 s18, 0xb0, v3
	v_add_nc_u32_e32 v92, 0x18e0, v36
	v_add_nc_u32_e32 v93, 0x18f0, v36
	;; [unrolled: 1-line block ×6, first 2 shown]
	v_mul_u64_e32 v[30:31], s[40:41], v[8:9]
	v_mul_u64_e32 v[32:33], s[50:51], v[8:9]
	v_lshl_or_b32 v182, v15, 9, v0
	v_dual_add_nc_u32 v187, v34, v181 :: v_dual_add_nc_u32 v190, v35, v184
	v_add_nc_u32_e32 v194, 0x39f0, v36
	v_add_nc_u32_e32 v195, 0x3fc0, v37
	v_mul_u64_e32 v[0:1], s[50:51], v[6:7]
	v_mul_u64_e32 v[34:35], s[40:41], v[4:5]
	;; [unrolled: 1-line block ×3, first 2 shown]
	v_writelane_b32 v203, s18, 22
	v_cmp_gt_u32_e64 s18, 0xa0, v3
	v_dual_add_nc_u32 v196, v38, v40 :: v_dual_add_nc_u32 v10, 48, v10
	v_cmp_gt_i32_e64 s5, s56, v8
	v_cmp_gt_i32_e32 vcc_lo, s56, v28
	s_delay_alu instid0(VALU_DEP_4)
	v_writelane_b32 v203, s18, 23
	v_cmp_gt_u32_e64 s18, 0x90, v3
	v_mad_i32_i24 v39, 0xfffffe10, v24, v38
	v_add_nc_u32_e32 v113, 0x6000, v40
	v_or_b32_e32 v9, v4, v24
	v_dual_ashrrev_i32 v29, 31, v28 :: v_dual_bitop2_b32 v148, -16, v3 bitop3:0x40
	v_writelane_b32 v203, s18, 24
	v_cmp_gt_u32_e64 s18, 0x80, v3
	v_cmp_le_u32_e64 s6, v24, v22
	v_cmp_le_u32_e64 s7, v24, v4
	s_and_b32 s98, vcc_lo, s5
	v_cmp_gt_i32_e32 vcc_lo, s56, v10
	v_writelane_b32 v203, s18, 25
	v_cmp_gt_u32_e64 s18, 0x70, v3
	v_lshl_add_u32 v27, v15, 4, 0x4000
	v_add_nc_u32_e32 v51, 0x90, v16
	v_add_nc_u32_e32 v53, 0xb0, v16
	v_add_nc_u32_e32 v54, 0xc0, v16
	v_writelane_b32 v203, s18, 26
	v_cmp_gt_u32_e64 s18, 0x60, v3
	v_add_nc_u32_e32 v55, 0xd0, v16
	v_add_nc_u32_e32 v56, 0xe0, v16
	;; [unrolled: 1-line block ×23, first 2 shown]
	v_or_b32_e32 v98, 0x100, v38
	v_or_b32_e32 v99, 0x110, v38
	;; [unrolled: 1-line block ×15, first 2 shown]
	v_add_nc_u32_e32 v114, 0x2000, v39
	v_add_nc_u32_e32 v115, 0x2200, v39
	;; [unrolled: 1-line block ×61, first 2 shown]
	v_lshl_add_u32 v177, v26, 4, 0x6000
	v_lshl_add_u32 v178, v3, 4, 0x4000
	v_add_nc_u32_e32 v179, 0x4000, v25
	v_add_nc_u32_e32 v180, v113, v25
	s_add_nc_u64 s[48:49], s[36:37], s[10:11]
	s_add_nc_u64 s[46:47], s[46:47], s[12:13]
	v_mul_u32_u24_e32 v183, 0x210, v15
	v_add_nc_u32_e32 v185, 0x4000, v20
	v_lshl_or_b32 v186, v17, 9, v181
	v_add_nc_u32_e32 v188, 0x4000, v21
	v_lshl_or_b32 v189, v19, 9, v184
	v_add_nc_u32_e32 v191, 0x21f0, v16
	v_add_nc_u32_e32 v193, 0x31d0, v14
	v_or_b32_e32 v197, 0x1f0, v38
	v_lshl_add_u32 v198, v22, 9, v39
	v_dual_lshlrev_b32 v199, 4, v12 :: v_dual_lshlrev_b32 v200, 4, v13
	v_add_nc_u32_e32 v201, 0x3c00, v25
	s_or_b32 s100, s8, s6
	v_subrev_nc_u32_e32 v202, 31, v24
	s_or_b32 s101, s27, s7
	s_lshl_b64 s[40:41], s[14:15], 4
	v_lshlrev_b32_e32 v38, 4, v24
	v_cmp_gt_u32_e64 s8, 2, v3
	v_cmp_gt_u32_e64 s9, 12, v3
	;; [unrolled: 1-line block ×8, first 2 shown]
	v_writelane_b32 v203, s18, 27
	v_cmp_gt_u32_e64 s18, 0x50, v3
	v_cmp_eq_u32_e64 s27, 0, v18
	v_cmp_gt_u32_e64 s28, 32, v18
	v_cmp_gt_u32_e64 s29, 32, v9
	v_cmp_eq_u32_e64 s30, 0, v26
	v_cmp_gt_u32_e64 s31, 32, v26
	s_add_co_i32 s97, s97, 1
	s_and_b32 s99, vcc_lo, s5
	s_mov_b32 s37, 0x3ff00000
                                        ; implicit-def: $vgpr6_vgpr7
                                        ; implicit-def: $vgpr10_vgpr11
	v_writelane_b32 v203, s18, 28
	s_branch .LBB81_3
.LBB81_2:                               ;   in Loop: Header=BB81_3 Depth=1
	s_wait_xcnt 0x0
	s_or_b32 exec_lo, exec_lo, s36
	s_add_co_i32 s34, s34, 0x10000
	global_wb scope:SCOPE_DEV
	s_wait_storecnt 0x0
	global_inv scope:SCOPE_DEV
	s_cmp_lt_u32 s34, s33
	s_cbranch_scc0 .LBB81_542
.LBB81_3:                               ; =>This Loop Header: Depth=1
                                        ;     Child Loop BB81_453 Depth 2
                                        ;       Child Loop BB81_455 Depth 3
                                        ;     Child Loop BB81_486 Depth 2
	global_load_b128 v[14:17], v2, s[44:45]
	s_mul_u64 s[38:39], s[42:43], s[34:35]
	s_and_not1_b32 vcc_lo, exec_lo, s63
	s_lshl_b64 s[38:39], s[38:39], 4
	s_delay_alu instid0(SALU_CYCLE_1) | instskip(NEXT) | instid1(SALU_CYCLE_1)
	s_add_nc_u64 s[38:39], s[48:49], s[38:39]
	v_lshl_add_u64 v[40:41], v[30:31], 4, s[38:39]
	s_cbranch_vccnz .LBB81_9
; %bb.4:                                ;   in Loop: Header=BB81_3 Depth=1
	v_mov_b64_e32 v[12:13], 0
	v_mov_b64_e32 v[6:7], 0
	;; [unrolled: 1-line block ×3, first 2 shown]
	v_lshl_add_u64 v[4:5], v[28:29], 4, v[40:41]
	s_wait_loadcnt 0x0
	s_barrier_signal -1
	s_barrier_wait -1
	s_wait_xcnt 0x0
	s_and_saveexec_b32 s36, s98
	s_cbranch_execz .LBB81_6
; %bb.5:                                ;   in Loop: Header=BB81_3 Depth=1
	global_load_b128 v[6:9], v[4:5], off
.LBB81_6:                               ;   in Loop: Header=BB81_3 Depth=1
	s_wait_xcnt 0x0
	s_or_b32 exec_lo, exec_lo, s36
	v_mov_b64_e32 v[10:11], 0
	s_wait_loadcnt 0x0
	s_barrier_signal -1
	s_barrier_wait -1
	s_and_saveexec_b32 s36, s99
	s_cbranch_execz .LBB81_8
; %bb.7:                                ;   in Loop: Header=BB81_3 Depth=1
	global_load_b128 v[10:13], v[4:5], off offset:256
.LBB81_8:                               ;   in Loop: Header=BB81_3 Depth=1
	s_wait_xcnt 0x0
	s_or_b32 exec_lo, exec_lo, s36
.LBB81_9:                               ;   in Loop: Header=BB81_3 Depth=1
	v_mov_b32_e32 v39, v2
	s_add_nc_u64 s[38:39], s[38:39], s[40:41]
	s_and_not1_b32 vcc_lo, exec_lo, s62
	s_mov_b32 s36, -1
	s_delay_alu instid0(VALU_DEP_1)
	v_add_nc_u64_e32 v[18:19], s[38:39], v[38:39]
	s_cbranch_vccnz .LBB81_16
; %bb.10:                               ;   in Loop: Header=BB81_3 Depth=1
	s_wait_xcnt 0x0
	s_and_saveexec_b32 s36, s6
	s_delay_alu instid0(SALU_CYCLE_1)
	s_xor_b32 s36, exec_lo, s36
	s_cbranch_execnz .LBB81_500
; %bb.11:                               ;   in Loop: Header=BB81_3 Depth=1
	s_and_not1_saveexec_b32 s36, s36
	s_cbranch_execnz .LBB81_503
.LBB81_12:                              ;   in Loop: Header=BB81_3 Depth=1
	s_or_b32 exec_lo, exec_lo, s36
	s_and_saveexec_b32 s36, s7
	s_delay_alu instid0(SALU_CYCLE_1)
	s_xor_b32 s36, exec_lo, s36
	s_cbranch_execnz .LBB81_504
.LBB81_13:                              ;   in Loop: Header=BB81_3 Depth=1
	s_and_not1_saveexec_b32 s36, s36
	s_cbranch_execz .LBB81_15
.LBB81_14:                              ;   in Loop: Header=BB81_3 Depth=1
	v_lshl_add_u64 v[4:5], v[34:35], 4, v[18:19]
	global_load_b128 v[204:207], v[4:5], off
	s_wait_loadcnt 0x0
	v_xor_b32_e32 v205, 0x80000000, v205
	ds_store_b128 v200, v[204:207]
.LBB81_15:                              ;   in Loop: Header=BB81_3 Depth=1
	s_or_b32 exec_lo, exec_lo, s36
	s_mov_b32 s36, 0
.LBB81_16:                              ;   in Loop: Header=BB81_3 Depth=1
	s_delay_alu instid0(SALU_CYCLE_1)
	s_and_b32 vcc_lo, exec_lo, s36
	s_cbranch_vccz .LBB81_23
; %bb.17:                               ;   in Loop: Header=BB81_3 Depth=1
	s_wait_xcnt 0x0
	s_and_saveexec_b32 s36, s100
	s_delay_alu instid0(SALU_CYCLE_1)
	s_xor_b32 s36, exec_lo, s36
	s_cbranch_execnz .LBB81_507
; %bb.18:                               ;   in Loop: Header=BB81_3 Depth=1
	s_and_not1_saveexec_b32 s36, s36
	s_cbranch_execnz .LBB81_510
.LBB81_19:                              ;   in Loop: Header=BB81_3 Depth=1
	s_or_b32 exec_lo, exec_lo, s36
	s_and_saveexec_b32 s36, s101
	s_delay_alu instid0(SALU_CYCLE_1)
	s_xor_b32 s36, exec_lo, s36
	s_cbranch_execnz .LBB81_511
.LBB81_20:                              ;   in Loop: Header=BB81_3 Depth=1
	s_and_not1_saveexec_b32 s36, s36
	s_cbranch_execz .LBB81_22
.LBB81_21:                              ;   in Loop: Header=BB81_3 Depth=1
	v_lshl_add_u64 v[4:5], v[34:35], 4, v[18:19]
	global_load_b128 v[18:21], v[4:5], off
	s_wait_loadcnt 0x0
	v_xor_b32_e32 v19, 0x80000000, v19
	ds_store_b128 v200, v[18:21]
.LBB81_22:                              ;   in Loop: Header=BB81_3 Depth=1
	s_or_b32 exec_lo, exec_lo, s36
.LBB81_23:                              ;   in Loop: Header=BB81_3 Depth=1
	s_delay_alu instid0(SALU_CYCLE_1)
	s_and_not1_b32 vcc_lo, exec_lo, s64
	s_wait_loadcnt_dscnt 0x0
	s_barrier_signal -1
	s_barrier_wait -1
	s_cbranch_vccnz .LBB81_447
; %bb.24:                               ;   in Loop: Header=BB81_3 Depth=1
	s_and_saveexec_b32 s58, s27
	s_cbranch_execz .LBB81_26
; %bb.25:                               ;   in Loop: Header=BB81_3 Depth=1
	s_mov_b32 s36, s35
	s_mov_b32 s38, s35
	;; [unrolled: 1-line block ×3, first 2 shown]
	v_mov_b64_e32 v[18:19], s[36:37]
	v_mov_b64_e32 v[20:21], s[38:39]
	ds_store_b128 v2, v[18:21]
	ds_store_b128 v2, v[18:21] offset:528
	ds_load_b128 v[18:21], v2 offset:16
	s_wait_dscnt 0x0
	ds_store_b128 v2, v[18:21] offset:512
.LBB81_26:                              ;   in Loop: Header=BB81_3 Depth=1
	s_or_b32 exec_lo, exec_lo, s58
	v_mov_b64_e32 v[20:21], 0
	v_mov_b64_e32 v[18:19], 0
	s_wait_dscnt 0x0
	s_barrier_signal -1
	s_barrier_wait -1
	s_and_saveexec_b32 s36, s0
	s_cbranch_execz .LBB81_30
; %bb.27:                               ;   in Loop: Header=BB81_3 Depth=1
	ds_load_b128 v[18:21], v183
	ds_load_b128 v[204:207], v182 offset:32
	s_wait_dscnt 0x0
	v_mul_f64_e32 v[4:5], v[20:21], v[206:207]
	v_mul_f64_e32 v[42:43], v[18:19], v[206:207]
	s_delay_alu instid0(VALU_DEP_2) | instskip(NEXT) | instid1(VALU_DEP_2)
	v_fma_f64 v[4:5], v[18:19], v[204:205], -v[4:5]
	v_fmac_f64_e32 v[42:43], v[20:21], v[204:205]
	s_delay_alu instid0(VALU_DEP_2) | instskip(NEXT) | instid1(VALU_DEP_2)
	v_add_f64_e32 v[18:19], 0, v[4:5]
	v_add_f64_e32 v[20:21], 0, v[42:43]
	s_and_saveexec_b32 s38, s8
	s_cbranch_execz .LBB81_29
; %bb.28:                               ;   in Loop: Header=BB81_3 Depth=1
	ds_load_b128 v[204:207], v2 offset:16
	ds_load_b128 v[208:211], v25 offset:544
	s_wait_dscnt 0x0
	v_mul_f64_e32 v[4:5], v[206:207], v[210:211]
	v_mul_f64_e32 v[42:43], v[204:205], v[210:211]
	s_delay_alu instid0(VALU_DEP_2) | instskip(NEXT) | instid1(VALU_DEP_2)
	v_fma_f64 v[4:5], v[204:205], v[208:209], -v[4:5]
	v_fmac_f64_e32 v[42:43], v[206:207], v[208:209]
	s_delay_alu instid0(VALU_DEP_2) | instskip(NEXT) | instid1(VALU_DEP_2)
	v_add_f64_e32 v[18:19], v[18:19], v[4:5]
	v_add_f64_e32 v[20:21], v[20:21], v[42:43]
.LBB81_29:                              ;   in Loop: Header=BB81_3 Depth=1
	s_or_b32 exec_lo, exec_lo, s38
	s_delay_alu instid0(VALU_DEP_2) | instskip(NEXT) | instid1(VALU_DEP_2)
	v_xor_b32_e32 v19, 0x80000000, v19
	v_xor_b32_e32 v21, 0x80000000, v21
.LBB81_30:                              ;   in Loop: Header=BB81_3 Depth=1
	s_or_b32 exec_lo, exec_lo, s36
	s_and_saveexec_b32 s36, s65
; %bb.31:                               ;   in Loop: Header=BB81_3 Depth=1
	ds_store_b128 v27, v[18:21]
; %bb.32:                               ;   in Loop: Header=BB81_3 Depth=1
	s_or_b32 exec_lo, exec_lo, s36
	s_wait_dscnt 0x0
	s_barrier_signal -1
	s_barrier_wait -1
	s_and_saveexec_b32 s36, s66
	s_cbranch_execz .LBB81_34
; %bb.33:                               ;   in Loop: Header=BB81_3 Depth=1
	ds_load_b128 v[204:207], v27
	ds_load_b128 v[208:211], v2 offset:1072
	s_wait_dscnt 0x0
	v_mul_f64_e32 v[4:5], v[206:207], v[210:211]
	v_mul_f64_e32 v[42:43], v[204:205], v[210:211]
	s_delay_alu instid0(VALU_DEP_2) | instskip(NEXT) | instid1(VALU_DEP_2)
	v_fma_f64 v[4:5], v[204:205], v[208:209], -v[4:5]
	v_fmac_f64_e32 v[42:43], v[206:207], v[208:209]
	s_delay_alu instid0(VALU_DEP_2) | instskip(NEXT) | instid1(VALU_DEP_2)
	v_add_f64_e32 v[18:19], v[18:19], v[4:5]
	v_add_f64_e32 v[20:21], v[20:21], v[42:43]
.LBB81_34:                              ;   in Loop: Header=BB81_3 Depth=1
	s_or_b32 exec_lo, exec_lo, s36
	s_barrier_signal -1
	s_barrier_wait -1
	s_and_saveexec_b32 s36, s66
; %bb.35:                               ;   in Loop: Header=BB81_3 Depth=1
	ds_store_b128 v27, v[18:21]
; %bb.36:                               ;   in Loop: Header=BB81_3 Depth=1
	s_or_b32 exec_lo, exec_lo, s36
	s_wait_dscnt 0x0
	s_barrier_signal -1
	s_barrier_wait -1
	s_barrier_signal -1
	s_barrier_wait -1
	s_and_saveexec_b32 s36, s0
; %bb.37:                               ;   in Loop: Header=BB81_3 Depth=1
	v_xor_b32_e32 v19, 0x80000000, v19
	v_xor_b32_e32 v21, 0x80000000, v21
	ds_store_b128 v182, v[18:21] offset:32
; %bb.38:                               ;   in Loop: Header=BB81_3 Depth=1
	s_or_b32 exec_lo, exec_lo, s36
	s_wait_dscnt 0x0
	s_barrier_signal -1
	s_barrier_wait -1
	s_barrier_signal -1
	s_barrier_wait -1
	s_and_saveexec_b32 s36, s67
	s_cbranch_execz .LBB81_40
; %bb.39:                               ;   in Loop: Header=BB81_3 Depth=1
	ds_load_b128 v[18:21], v47
	s_wait_dscnt 0x0
	ds_store_b128 v130, v[18:21]
	ds_load_b128 v[18:21], v48
	s_wait_dscnt 0x0
	ds_store_b128 v131, v[18:21]
.LBB81_40:                              ;   in Loop: Header=BB81_3 Depth=1
	s_or_b32 exec_lo, exec_lo, s36
	s_wait_dscnt 0x0
	s_barrier_signal -1
	s_barrier_wait -1
	s_and_saveexec_b32 s58, s27
	s_cbranch_execz .LBB81_42
; %bb.41:                               ;   in Loop: Header=BB81_3 Depth=1
	s_mov_b32 s36, s35
	s_mov_b32 s38, s35
	;; [unrolled: 1-line block ×3, first 2 shown]
	v_mov_b64_e32 v[18:19], s[36:37]
	v_mov_b64_e32 v[20:21], s[38:39]
	ds_store_b128 v2, v[18:21] offset:1056
	ds_store_b128 v2, v[18:21] offset:1584
	ds_load_b128 v[18:21], v2 offset:1072
	s_wait_dscnt 0x0
	ds_store_b128 v2, v[18:21] offset:1568
.LBB81_42:                              ;   in Loop: Header=BB81_3 Depth=1
	s_or_b32 exec_lo, exec_lo, s58
	v_mov_b64_e32 v[20:21], 0
	v_mov_b64_e32 v[18:19], 0
	s_wait_dscnt 0x0
	s_barrier_signal -1
	s_barrier_wait -1
	s_and_saveexec_b32 s36, s2
	s_cbranch_execz .LBB81_48
; %bb.43:                               ;   in Loop: Header=BB81_3 Depth=1
	ds_load_b128 v[18:21], v45
	ds_load_b128 v[204:207], v186 offset:64
	s_wait_dscnt 0x0
	v_mul_f64_e32 v[4:5], v[20:21], v[206:207]
	v_mul_f64_e32 v[42:43], v[18:19], v[206:207]
	s_delay_alu instid0(VALU_DEP_2) | instskip(NEXT) | instid1(VALU_DEP_2)
	v_fma_f64 v[4:5], v[18:19], v[204:205], -v[4:5]
	v_fmac_f64_e32 v[42:43], v[20:21], v[204:205]
	s_delay_alu instid0(VALU_DEP_2) | instskip(NEXT) | instid1(VALU_DEP_2)
	v_add_f64_e32 v[18:19], 0, v[4:5]
	v_add_f64_e32 v[20:21], 0, v[42:43]
	s_and_saveexec_b32 s38, s9
	s_cbranch_execnz .LBB81_518
; %bb.44:                               ;   in Loop: Header=BB81_3 Depth=1
	s_or_b32 exec_lo, exec_lo, s38
	s_and_saveexec_b32 s38, s10
	s_cbranch_execnz .LBB81_519
.LBB81_45:                              ;   in Loop: Header=BB81_3 Depth=1
	s_or_b32 exec_lo, exec_lo, s38
	s_and_saveexec_b32 s38, s0
	s_cbranch_execz .LBB81_47
.LBB81_46:                              ;   in Loop: Header=BB81_3 Depth=1
	ds_load_b128 v[204:207], v2 offset:48
	ds_load_b128 v[208:211], v44 offset:1600
	s_wait_dscnt 0x0
	v_mul_f64_e32 v[4:5], v[206:207], v[210:211]
	v_mul_f64_e32 v[42:43], v[204:205], v[210:211]
	s_delay_alu instid0(VALU_DEP_2) | instskip(NEXT) | instid1(VALU_DEP_2)
	v_fma_f64 v[4:5], v[204:205], v[208:209], -v[4:5]
	v_fmac_f64_e32 v[42:43], v[206:207], v[208:209]
	s_delay_alu instid0(VALU_DEP_2) | instskip(NEXT) | instid1(VALU_DEP_2)
	v_add_f64_e32 v[18:19], v[18:19], v[4:5]
	v_add_f64_e32 v[20:21], v[20:21], v[42:43]
.LBB81_47:                              ;   in Loop: Header=BB81_3 Depth=1
	s_or_b32 exec_lo, exec_lo, s38
	s_delay_alu instid0(VALU_DEP_2) | instskip(NEXT) | instid1(VALU_DEP_2)
	v_xor_b32_e32 v19, 0x80000000, v19
	v_xor_b32_e32 v21, 0x80000000, v21
.LBB81_48:                              ;   in Loop: Header=BB81_3 Depth=1
	s_or_b32 exec_lo, exec_lo, s36
	s_and_saveexec_b32 s36, s68
; %bb.49:                               ;   in Loop: Header=BB81_3 Depth=1
	ds_store_b128 v185, v[18:21]
; %bb.50:                               ;   in Loop: Header=BB81_3 Depth=1
	s_or_b32 exec_lo, exec_lo, s36
	s_wait_dscnt 0x0
	s_barrier_signal -1
	s_barrier_wait -1
	s_and_saveexec_b32 s36, s69
	s_cbranch_execz .LBB81_52
; %bb.51:                               ;   in Loop: Header=BB81_3 Depth=1
	ds_load_b128 v[204:207], v185
	ds_load_b128 v[208:211], v181 offset:2112
	s_wait_dscnt 0x0
	v_mul_f64_e32 v[4:5], v[206:207], v[210:211]
	v_mul_f64_e32 v[42:43], v[204:205], v[210:211]
	s_delay_alu instid0(VALU_DEP_2) | instskip(NEXT) | instid1(VALU_DEP_2)
	v_fma_f64 v[4:5], v[204:205], v[208:209], -v[4:5]
	v_fmac_f64_e32 v[42:43], v[206:207], v[208:209]
	s_delay_alu instid0(VALU_DEP_2) | instskip(NEXT) | instid1(VALU_DEP_2)
	v_add_f64_e32 v[18:19], v[18:19], v[4:5]
	v_add_f64_e32 v[20:21], v[20:21], v[42:43]
.LBB81_52:                              ;   in Loop: Header=BB81_3 Depth=1
	s_or_b32 exec_lo, exec_lo, s36
	s_barrier_signal -1
	s_barrier_wait -1
	s_and_saveexec_b32 s36, s70
; %bb.53:                               ;   in Loop: Header=BB81_3 Depth=1
	ds_store_b128 v185, v[18:21]
; %bb.54:                               ;   in Loop: Header=BB81_3 Depth=1
	s_or_b32 exec_lo, exec_lo, s36
	s_wait_dscnt 0x0
	s_barrier_signal -1
	s_barrier_wait -1
	s_and_saveexec_b32 s36, s71
	s_cbranch_execz .LBB81_56
; %bb.55:                               ;   in Loop: Header=BB81_3 Depth=1
	ds_load_b128 v[204:207], v185
	ds_load_b128 v[208:211], v181 offset:2624
	s_wait_dscnt 0x0
	v_mul_f64_e32 v[4:5], v[206:207], v[210:211]
	v_mul_f64_e32 v[42:43], v[204:205], v[210:211]
	s_delay_alu instid0(VALU_DEP_2) | instskip(NEXT) | instid1(VALU_DEP_2)
	v_fma_f64 v[4:5], v[204:205], v[208:209], -v[4:5]
	v_fmac_f64_e32 v[42:43], v[206:207], v[208:209]
	s_delay_alu instid0(VALU_DEP_2) | instskip(NEXT) | instid1(VALU_DEP_2)
	v_add_f64_e32 v[18:19], v[18:19], v[4:5]
	v_add_f64_e32 v[20:21], v[20:21], v[42:43]
.LBB81_56:                              ;   in Loop: Header=BB81_3 Depth=1
	s_or_b32 exec_lo, exec_lo, s36
	s_barrier_signal -1
	s_barrier_wait -1
	;; [unrolled: 26-line block ×3, first 2 shown]
	s_and_saveexec_b32 s36, s73
; %bb.61:                               ;   in Loop: Header=BB81_3 Depth=1
	ds_store_b128 v185, v[18:21]
; %bb.62:                               ;   in Loop: Header=BB81_3 Depth=1
	s_or_b32 exec_lo, exec_lo, s36
	s_wait_dscnt 0x0
	s_barrier_signal -1
	s_barrier_wait -1
	s_barrier_signal -1
	s_barrier_wait -1
	s_and_saveexec_b32 s36, s2
; %bb.63:                               ;   in Loop: Header=BB81_3 Depth=1
	v_xor_b32_e32 v21, 0x80000000, v21
	v_xor_b32_e32 v19, 0x80000000, v19
	ds_store_b128 v186, v[18:21] offset:64
; %bb.64:                               ;   in Loop: Header=BB81_3 Depth=1
	s_or_b32 exec_lo, exec_lo, s36
	s_wait_dscnt 0x0
	s_barrier_signal -1
	s_barrier_wait -1
	s_barrier_signal -1
	s_barrier_wait -1
	s_and_saveexec_b32 s36, s74
	s_cbranch_execz .LBB81_66
; %bb.65:                               ;   in Loop: Header=BB81_3 Depth=1
	ds_load_b128 v[18:21], v49
	s_wait_dscnt 0x0
	ds_store_b128 v132, v[18:21]
	ds_load_b128 v[18:21], v72
	s_wait_dscnt 0x0
	ds_store_b128 v135, v[18:21]
	ds_load_b128 v[18:21], v70
	s_wait_dscnt 0x0
	ds_store_b128 v134, v[18:21]
	ds_load_b128 v[18:21], v69
	s_wait_dscnt 0x0
	ds_store_b128 v133, v[18:21]
.LBB81_66:                              ;   in Loop: Header=BB81_3 Depth=1
	s_or_b32 exec_lo, exec_lo, s36
	s_wait_dscnt 0x0
	s_barrier_signal -1
	s_barrier_wait -1
	s_and_saveexec_b32 s58, s27
	s_cbranch_execz .LBB81_68
; %bb.67:                               ;   in Loop: Header=BB81_3 Depth=1
	s_mov_b32 s36, s35
	s_mov_b32 s38, s35
	;; [unrolled: 1-line block ×3, first 2 shown]
	v_mov_b64_e32 v[18:19], s[36:37]
	v_mov_b64_e32 v[20:21], s[38:39]
	ds_store_b128 v2, v[18:21] offset:2112
	ds_store_b128 v2, v[18:21] offset:2640
	ds_load_b128 v[18:21], v2 offset:2128
	s_wait_dscnt 0x0
	ds_store_b128 v2, v[18:21] offset:2624
.LBB81_68:                              ;   in Loop: Header=BB81_3 Depth=1
	s_or_b32 exec_lo, exec_lo, s58
	v_mov_b64_e32 v[20:21], 0
	v_mov_b64_e32 v[18:19], 0
	s_wait_dscnt 0x0
	s_barrier_signal -1
	s_barrier_wait -1
	s_and_saveexec_b32 s36, s0
	s_cbranch_execz .LBB81_72
; %bb.69:                               ;   in Loop: Header=BB81_3 Depth=1
	ds_load_b128 v[18:21], v183 offset:2112
	ds_load_b128 v[204:207], v182 offset:2144
	s_wait_dscnt 0x0
	v_mul_f64_e32 v[4:5], v[20:21], v[206:207]
	v_mul_f64_e32 v[42:43], v[18:19], v[206:207]
	s_delay_alu instid0(VALU_DEP_2) | instskip(NEXT) | instid1(VALU_DEP_2)
	v_fma_f64 v[4:5], v[18:19], v[204:205], -v[4:5]
	v_fmac_f64_e32 v[42:43], v[20:21], v[204:205]
	s_delay_alu instid0(VALU_DEP_2) | instskip(NEXT) | instid1(VALU_DEP_2)
	v_add_f64_e32 v[18:19], 0, v[4:5]
	v_add_f64_e32 v[20:21], 0, v[42:43]
	s_and_saveexec_b32 s38, s8
	s_cbranch_execz .LBB81_71
; %bb.70:                               ;   in Loop: Header=BB81_3 Depth=1
	ds_load_b128 v[204:207], v2 offset:2128
	ds_load_b128 v[208:211], v71 offset:2656
	s_wait_dscnt 0x0
	v_mul_f64_e32 v[4:5], v[206:207], v[210:211]
	v_mul_f64_e32 v[42:43], v[204:205], v[210:211]
	s_delay_alu instid0(VALU_DEP_2) | instskip(NEXT) | instid1(VALU_DEP_2)
	v_fma_f64 v[4:5], v[204:205], v[208:209], -v[4:5]
	v_fmac_f64_e32 v[42:43], v[206:207], v[208:209]
	s_delay_alu instid0(VALU_DEP_2) | instskip(NEXT) | instid1(VALU_DEP_2)
	v_add_f64_e32 v[18:19], v[18:19], v[4:5]
	v_add_f64_e32 v[20:21], v[20:21], v[42:43]
.LBB81_71:                              ;   in Loop: Header=BB81_3 Depth=1
	s_or_b32 exec_lo, exec_lo, s38
	s_delay_alu instid0(VALU_DEP_2) | instskip(NEXT) | instid1(VALU_DEP_2)
	v_xor_b32_e32 v19, 0x80000000, v19
	v_xor_b32_e32 v21, 0x80000000, v21
.LBB81_72:                              ;   in Loop: Header=BB81_3 Depth=1
	s_or_b32 exec_lo, exec_lo, s36
	s_and_saveexec_b32 s36, s65
; %bb.73:                               ;   in Loop: Header=BB81_3 Depth=1
	ds_store_b128 v27, v[18:21]
; %bb.74:                               ;   in Loop: Header=BB81_3 Depth=1
	s_or_b32 exec_lo, exec_lo, s36
	s_wait_dscnt 0x0
	s_barrier_signal -1
	s_barrier_wait -1
	s_and_saveexec_b32 s36, s66
	s_cbranch_execz .LBB81_76
; %bb.75:                               ;   in Loop: Header=BB81_3 Depth=1
	ds_load_b128 v[204:207], v27
	ds_load_b128 v[208:211], v2 offset:3184
	s_wait_dscnt 0x0
	v_mul_f64_e32 v[4:5], v[206:207], v[210:211]
	v_mul_f64_e32 v[42:43], v[204:205], v[210:211]
	s_delay_alu instid0(VALU_DEP_2) | instskip(NEXT) | instid1(VALU_DEP_2)
	v_fma_f64 v[4:5], v[204:205], v[208:209], -v[4:5]
	v_fmac_f64_e32 v[42:43], v[206:207], v[208:209]
	s_delay_alu instid0(VALU_DEP_2) | instskip(NEXT) | instid1(VALU_DEP_2)
	v_add_f64_e32 v[18:19], v[18:19], v[4:5]
	v_add_f64_e32 v[20:21], v[20:21], v[42:43]
.LBB81_76:                              ;   in Loop: Header=BB81_3 Depth=1
	s_or_b32 exec_lo, exec_lo, s36
	s_barrier_signal -1
	s_barrier_wait -1
	s_and_saveexec_b32 s36, s66
; %bb.77:                               ;   in Loop: Header=BB81_3 Depth=1
	ds_store_b128 v27, v[18:21]
; %bb.78:                               ;   in Loop: Header=BB81_3 Depth=1
	s_or_b32 exec_lo, exec_lo, s36
	s_wait_dscnt 0x0
	s_barrier_signal -1
	s_barrier_wait -1
	s_barrier_signal -1
	s_barrier_wait -1
	s_and_saveexec_b32 s36, s0
; %bb.79:                               ;   in Loop: Header=BB81_3 Depth=1
	v_xor_b32_e32 v19, 0x80000000, v19
	v_xor_b32_e32 v21, 0x80000000, v21
	ds_store_b128 v182, v[18:21] offset:2144
; %bb.80:                               ;   in Loop: Header=BB81_3 Depth=1
	s_or_b32 exec_lo, exec_lo, s36
	s_wait_dscnt 0x0
	s_barrier_signal -1
	s_barrier_wait -1
	s_barrier_signal -1
	s_barrier_wait -1
	s_and_saveexec_b32 s36, s67
	s_cbranch_execz .LBB81_82
; %bb.81:                               ;   in Loop: Header=BB81_3 Depth=1
	ds_load_b128 v[18:21], v80
	s_wait_dscnt 0x0
	ds_store_b128 v136, v[18:21]
	ds_load_b128 v[18:21], v81
	s_wait_dscnt 0x0
	ds_store_b128 v137, v[18:21]
.LBB81_82:                              ;   in Loop: Header=BB81_3 Depth=1
	s_or_b32 exec_lo, exec_lo, s36
	s_wait_dscnt 0x0
	s_barrier_signal -1
	s_barrier_wait -1
	s_and_saveexec_b32 s58, s27
	s_cbranch_execz .LBB81_84
; %bb.83:                               ;   in Loop: Header=BB81_3 Depth=1
	s_mov_b32 s36, s35
	s_mov_b32 s38, s35
	;; [unrolled: 1-line block ×3, first 2 shown]
	v_mov_b64_e32 v[18:19], s[36:37]
	v_mov_b64_e32 v[20:21], s[38:39]
	ds_store_b128 v2, v[18:21] offset:3168
	ds_store_b128 v2, v[18:21] offset:3696
	ds_load_b128 v[18:21], v2 offset:3184
	s_wait_dscnt 0x0
	ds_store_b128 v2, v[18:21] offset:3680
.LBB81_84:                              ;   in Loop: Header=BB81_3 Depth=1
	s_or_b32 exec_lo, exec_lo, s58
	v_mov_b64_e32 v[20:21], 0
	v_mov_b64_e32 v[18:19], 0
	s_wait_dscnt 0x0
	s_barrier_signal -1
	s_barrier_wait -1
	s_and_saveexec_b32 s36, s3
	s_cbranch_execz .LBB81_94
; %bb.85:                               ;   in Loop: Header=BB81_3 Depth=1
	ds_load_b128 v[18:21], v46
	ds_load_b128 v[204:207], v189 offset:128
	s_wait_dscnt 0x0
	v_mul_f64_e32 v[4:5], v[20:21], v[206:207]
	v_mul_f64_e32 v[42:43], v[18:19], v[206:207]
	s_delay_alu instid0(VALU_DEP_2) | instskip(NEXT) | instid1(VALU_DEP_2)
	v_fma_f64 v[4:5], v[18:19], v[204:205], -v[4:5]
	v_fmac_f64_e32 v[42:43], v[20:21], v[204:205]
	s_delay_alu instid0(VALU_DEP_2) | instskip(NEXT) | instid1(VALU_DEP_2)
	v_add_f64_e32 v[18:19], 0, v[4:5]
	v_add_f64_e32 v[20:21], 0, v[42:43]
	s_and_saveexec_b32 s38, s11
	s_cbranch_execnz .LBB81_520
; %bb.86:                               ;   in Loop: Header=BB81_3 Depth=1
	s_or_b32 exec_lo, exec_lo, s38
	s_and_saveexec_b32 s38, s12
	s_cbranch_execnz .LBB81_521
.LBB81_87:                              ;   in Loop: Header=BB81_3 Depth=1
	s_or_b32 exec_lo, exec_lo, s38
	s_and_saveexec_b32 s38, s13
	s_cbranch_execnz .LBB81_522
.LBB81_88:                              ;   in Loop: Header=BB81_3 Depth=1
	s_or_b32 exec_lo, exec_lo, s38
	s_and_saveexec_b32 s38, s14
	s_cbranch_execnz .LBB81_523
.LBB81_89:                              ;   in Loop: Header=BB81_3 Depth=1
	s_or_b32 exec_lo, exec_lo, s38
	s_and_saveexec_b32 s38, s15
	s_cbranch_execnz .LBB81_524
.LBB81_90:                              ;   in Loop: Header=BB81_3 Depth=1
	s_or_b32 exec_lo, exec_lo, s38
	s_and_saveexec_b32 s38, s2
	s_cbranch_execnz .LBB81_525
.LBB81_91:                              ;   in Loop: Header=BB81_3 Depth=1
	s_or_b32 exec_lo, exec_lo, s38
	s_and_saveexec_b32 s38, s10
	s_cbranch_execz .LBB81_93
.LBB81_92:                              ;   in Loop: Header=BB81_3 Depth=1
	ds_load_b128 v[204:207], v2 offset:112
	ds_load_b128 v[208:211], v25 offset:3712
	s_wait_dscnt 0x0
	v_mul_f64_e32 v[4:5], v[206:207], v[210:211]
	v_mul_f64_e32 v[42:43], v[204:205], v[210:211]
	s_delay_alu instid0(VALU_DEP_2) | instskip(NEXT) | instid1(VALU_DEP_2)
	v_fma_f64 v[4:5], v[204:205], v[208:209], -v[4:5]
	v_fmac_f64_e32 v[42:43], v[206:207], v[208:209]
	s_delay_alu instid0(VALU_DEP_2) | instskip(NEXT) | instid1(VALU_DEP_2)
	v_add_f64_e32 v[18:19], v[18:19], v[4:5]
	v_add_f64_e32 v[20:21], v[20:21], v[42:43]
.LBB81_93:                              ;   in Loop: Header=BB81_3 Depth=1
	s_or_b32 exec_lo, exec_lo, s38
	s_delay_alu instid0(VALU_DEP_2) | instskip(NEXT) | instid1(VALU_DEP_2)
	v_xor_b32_e32 v19, 0x80000000, v19
	v_xor_b32_e32 v21, 0x80000000, v21
.LBB81_94:                              ;   in Loop: Header=BB81_3 Depth=1
	s_or_b32 exec_lo, exec_lo, s36
	s_and_saveexec_b32 s36, s75
; %bb.95:                               ;   in Loop: Header=BB81_3 Depth=1
	ds_store_b128 v188, v[18:21]
; %bb.96:                               ;   in Loop: Header=BB81_3 Depth=1
	s_or_b32 exec_lo, exec_lo, s36
	s_wait_dscnt 0x0
	s_barrier_signal -1
	s_barrier_wait -1
	s_and_saveexec_b32 s36, s76
	s_cbranch_execz .LBB81_98
; %bb.97:                               ;   in Loop: Header=BB81_3 Depth=1
	ds_load_b128 v[204:207], v188
	ds_load_b128 v[208:211], v184 offset:4224
	s_wait_dscnt 0x0
	v_mul_f64_e32 v[4:5], v[206:207], v[210:211]
	v_mul_f64_e32 v[42:43], v[204:205], v[210:211]
	s_delay_alu instid0(VALU_DEP_2) | instskip(NEXT) | instid1(VALU_DEP_2)
	v_fma_f64 v[4:5], v[204:205], v[208:209], -v[4:5]
	v_fmac_f64_e32 v[42:43], v[206:207], v[208:209]
	s_delay_alu instid0(VALU_DEP_2) | instskip(NEXT) | instid1(VALU_DEP_2)
	v_add_f64_e32 v[18:19], v[18:19], v[4:5]
	v_add_f64_e32 v[20:21], v[20:21], v[42:43]
.LBB81_98:                              ;   in Loop: Header=BB81_3 Depth=1
	s_or_b32 exec_lo, exec_lo, s36
	s_barrier_signal -1
	s_barrier_wait -1
	s_and_saveexec_b32 s36, s77
; %bb.99:                               ;   in Loop: Header=BB81_3 Depth=1
	ds_store_b128 v188, v[18:21]
; %bb.100:                              ;   in Loop: Header=BB81_3 Depth=1
	s_or_b32 exec_lo, exec_lo, s36
	s_wait_dscnt 0x0
	s_barrier_signal -1
	s_barrier_wait -1
	s_and_saveexec_b32 s36, s78
	s_cbranch_execz .LBB81_102
; %bb.101:                              ;   in Loop: Header=BB81_3 Depth=1
	ds_load_b128 v[204:207], v188
	ds_load_b128 v[208:211], v184 offset:4736
	s_wait_dscnt 0x0
	v_mul_f64_e32 v[4:5], v[206:207], v[210:211]
	v_mul_f64_e32 v[42:43], v[204:205], v[210:211]
	s_delay_alu instid0(VALU_DEP_2) | instskip(NEXT) | instid1(VALU_DEP_2)
	v_fma_f64 v[4:5], v[204:205], v[208:209], -v[4:5]
	v_fmac_f64_e32 v[42:43], v[206:207], v[208:209]
	s_delay_alu instid0(VALU_DEP_2) | instskip(NEXT) | instid1(VALU_DEP_2)
	v_add_f64_e32 v[18:19], v[18:19], v[4:5]
	v_add_f64_e32 v[20:21], v[20:21], v[42:43]
.LBB81_102:                             ;   in Loop: Header=BB81_3 Depth=1
	s_or_b32 exec_lo, exec_lo, s36
	s_barrier_signal -1
	s_barrier_wait -1
	s_and_saveexec_b32 s36, s79
; %bb.103:                              ;   in Loop: Header=BB81_3 Depth=1
	ds_store_b128 v188, v[18:21]
; %bb.104:                              ;   in Loop: Header=BB81_3 Depth=1
	s_or_b32 exec_lo, exec_lo, s36
	s_wait_dscnt 0x0
	s_barrier_signal -1
	s_barrier_wait -1
	s_and_saveexec_b32 s36, s80
	s_cbranch_execz .LBB81_106
; %bb.105:                              ;   in Loop: Header=BB81_3 Depth=1
	ds_load_b128 v[204:207], v188
	ds_load_b128 v[208:211], v184 offset:5248
	s_wait_dscnt 0x0
	v_mul_f64_e32 v[4:5], v[206:207], v[210:211]
	v_mul_f64_e32 v[42:43], v[204:205], v[210:211]
	s_delay_alu instid0(VALU_DEP_2) | instskip(NEXT) | instid1(VALU_DEP_2)
	v_fma_f64 v[4:5], v[204:205], v[208:209], -v[4:5]
	v_fmac_f64_e32 v[42:43], v[206:207], v[208:209]
	s_delay_alu instid0(VALU_DEP_2) | instskip(NEXT) | instid1(VALU_DEP_2)
	v_add_f64_e32 v[18:19], v[18:19], v[4:5]
	v_add_f64_e32 v[20:21], v[20:21], v[42:43]
.LBB81_106:                             ;   in Loop: Header=BB81_3 Depth=1
	s_or_b32 exec_lo, exec_lo, s36
	s_barrier_signal -1
	s_barrier_wait -1
	s_and_saveexec_b32 s36, s81
; %bb.107:                              ;   in Loop: Header=BB81_3 Depth=1
	;; [unrolled: 26-line block ×6, first 2 shown]
	ds_store_b128 v188, v[18:21]
; %bb.124:                              ;   in Loop: Header=BB81_3 Depth=1
	s_or_b32 exec_lo, exec_lo, s36
	s_wait_dscnt 0x0
	s_barrier_signal -1
	s_barrier_wait -1
	s_barrier_signal -1
	s_barrier_wait -1
	s_and_saveexec_b32 s36, s3
; %bb.125:                              ;   in Loop: Header=BB81_3 Depth=1
	v_xor_b32_e32 v19, 0x80000000, v19
	v_xor_b32_e32 v21, 0x80000000, v21
	ds_store_b128 v189, v[18:21] offset:128
; %bb.126:                              ;   in Loop: Header=BB81_3 Depth=1
	s_or_b32 exec_lo, exec_lo, s36
	s_wait_dscnt 0x0
	s_barrier_signal -1
	s_barrier_wait -1
	s_barrier_signal -1
	s_barrier_wait -1
	s_and_saveexec_b32 s36, s89
	s_cbranch_execz .LBB81_128
; %bb.127:                              ;   in Loop: Header=BB81_3 Depth=1
	ds_load_b128 v[18:21], v50
	s_wait_dscnt 0x0
	ds_store_b128 v138, v[18:21]
	ds_load_b128 v[18:21], v51
	s_wait_dscnt 0x0
	ds_store_b128 v139, v[18:21]
	;; [unrolled: 3-line block ×8, first 2 shown]
.LBB81_128:                             ;   in Loop: Header=BB81_3 Depth=1
	s_or_b32 exec_lo, exec_lo, s36
	s_wait_dscnt 0x0
	s_barrier_signal -1
	s_barrier_wait -1
	s_and_saveexec_b32 s58, s27
	s_cbranch_execz .LBB81_130
; %bb.129:                              ;   in Loop: Header=BB81_3 Depth=1
	s_mov_b32 s36, s35
	s_mov_b32 s38, s35
	s_mov_b32 s39, s35
	v_mov_b64_e32 v[18:19], s[36:37]
	v_mov_b64_e32 v[20:21], s[38:39]
	ds_store_b128 v2, v[18:21] offset:4224
	ds_store_b128 v2, v[18:21] offset:4752
	ds_load_b128 v[18:21], v2 offset:4240
	s_wait_dscnt 0x0
	ds_store_b128 v2, v[18:21] offset:4736
.LBB81_130:                             ;   in Loop: Header=BB81_3 Depth=1
	s_or_b32 exec_lo, exec_lo, s58
	v_mov_b64_e32 v[20:21], 0
	v_mov_b64_e32 v[18:19], 0
	s_wait_dscnt 0x0
	s_barrier_signal -1
	s_barrier_wait -1
	s_and_saveexec_b32 s36, s0
	s_cbranch_execz .LBB81_134
; %bb.131:                              ;   in Loop: Header=BB81_3 Depth=1
	ds_load_b128 v[18:21], v183 offset:4224
	ds_load_b128 v[204:207], v182 offset:4256
	s_wait_dscnt 0x0
	v_mul_f64_e32 v[4:5], v[20:21], v[206:207]
	v_mul_f64_e32 v[42:43], v[18:19], v[206:207]
	s_delay_alu instid0(VALU_DEP_2) | instskip(NEXT) | instid1(VALU_DEP_2)
	v_fma_f64 v[4:5], v[18:19], v[204:205], -v[4:5]
	v_fmac_f64_e32 v[42:43], v[20:21], v[204:205]
	s_delay_alu instid0(VALU_DEP_2) | instskip(NEXT) | instid1(VALU_DEP_2)
	v_add_f64_e32 v[18:19], 0, v[4:5]
	v_add_f64_e32 v[20:21], 0, v[42:43]
	s_and_saveexec_b32 s38, s8
	s_cbranch_execz .LBB81_133
; %bb.132:                              ;   in Loop: Header=BB81_3 Depth=1
	ds_load_b128 v[204:207], v2 offset:4240
	ds_load_b128 v[208:211], v44 offset:4768
	s_wait_dscnt 0x0
	v_mul_f64_e32 v[4:5], v[206:207], v[210:211]
	v_mul_f64_e32 v[42:43], v[204:205], v[210:211]
	s_delay_alu instid0(VALU_DEP_2) | instskip(NEXT) | instid1(VALU_DEP_2)
	v_fma_f64 v[4:5], v[204:205], v[208:209], -v[4:5]
	v_fmac_f64_e32 v[42:43], v[206:207], v[208:209]
	s_delay_alu instid0(VALU_DEP_2) | instskip(NEXT) | instid1(VALU_DEP_2)
	v_add_f64_e32 v[18:19], v[18:19], v[4:5]
	v_add_f64_e32 v[20:21], v[20:21], v[42:43]
.LBB81_133:                             ;   in Loop: Header=BB81_3 Depth=1
	s_or_b32 exec_lo, exec_lo, s38
	s_delay_alu instid0(VALU_DEP_2) | instskip(NEXT) | instid1(VALU_DEP_2)
	v_xor_b32_e32 v19, 0x80000000, v19
	v_xor_b32_e32 v21, 0x80000000, v21
.LBB81_134:                             ;   in Loop: Header=BB81_3 Depth=1
	s_or_b32 exec_lo, exec_lo, s36
	s_and_saveexec_b32 s36, s65
; %bb.135:                              ;   in Loop: Header=BB81_3 Depth=1
	ds_store_b128 v27, v[18:21]
; %bb.136:                              ;   in Loop: Header=BB81_3 Depth=1
	s_or_b32 exec_lo, exec_lo, s36
	s_wait_dscnt 0x0
	s_barrier_signal -1
	s_barrier_wait -1
	s_and_saveexec_b32 s36, s66
	s_cbranch_execz .LBB81_138
; %bb.137:                              ;   in Loop: Header=BB81_3 Depth=1
	ds_load_b128 v[204:207], v27
	ds_load_b128 v[208:211], v2 offset:5296
	s_wait_dscnt 0x0
	v_mul_f64_e32 v[4:5], v[206:207], v[210:211]
	v_mul_f64_e32 v[42:43], v[204:205], v[210:211]
	s_delay_alu instid0(VALU_DEP_2) | instskip(NEXT) | instid1(VALU_DEP_2)
	v_fma_f64 v[4:5], v[204:205], v[208:209], -v[4:5]
	v_fmac_f64_e32 v[42:43], v[206:207], v[208:209]
	s_delay_alu instid0(VALU_DEP_2) | instskip(NEXT) | instid1(VALU_DEP_2)
	v_add_f64_e32 v[18:19], v[18:19], v[4:5]
	v_add_f64_e32 v[20:21], v[20:21], v[42:43]
.LBB81_138:                             ;   in Loop: Header=BB81_3 Depth=1
	s_or_b32 exec_lo, exec_lo, s36
	s_barrier_signal -1
	s_barrier_wait -1
	s_and_saveexec_b32 s36, s66
; %bb.139:                              ;   in Loop: Header=BB81_3 Depth=1
	ds_store_b128 v27, v[18:21]
; %bb.140:                              ;   in Loop: Header=BB81_3 Depth=1
	s_or_b32 exec_lo, exec_lo, s36
	s_wait_dscnt 0x0
	s_barrier_signal -1
	s_barrier_wait -1
	s_barrier_signal -1
	s_barrier_wait -1
	s_and_saveexec_b32 s36, s0
; %bb.141:                              ;   in Loop: Header=BB81_3 Depth=1
	v_xor_b32_e32 v19, 0x80000000, v19
	v_xor_b32_e32 v21, 0x80000000, v21
	ds_store_b128 v182, v[18:21] offset:4256
; %bb.142:                              ;   in Loop: Header=BB81_3 Depth=1
	s_or_b32 exec_lo, exec_lo, s36
	s_wait_dscnt 0x0
	s_barrier_signal -1
	s_barrier_wait -1
	s_barrier_signal -1
	s_barrier_wait -1
	s_and_saveexec_b32 s36, s67
	s_cbranch_execz .LBB81_144
; %bb.143:                              ;   in Loop: Header=BB81_3 Depth=1
	ds_load_b128 v[18:21], v73
	s_wait_dscnt 0x0
	ds_store_b128 v146, v[18:21]
	ds_load_b128 v[18:21], v74
	s_wait_dscnt 0x0
	ds_store_b128 v147, v[18:21]
.LBB81_144:                             ;   in Loop: Header=BB81_3 Depth=1
	s_or_b32 exec_lo, exec_lo, s36
	s_wait_dscnt 0x0
	s_barrier_signal -1
	s_barrier_wait -1
	s_and_saveexec_b32 s58, s27
	s_cbranch_execz .LBB81_146
; %bb.145:                              ;   in Loop: Header=BB81_3 Depth=1
	s_mov_b32 s36, s35
	s_mov_b32 s38, s35
	;; [unrolled: 1-line block ×3, first 2 shown]
	v_mov_b64_e32 v[18:19], s[36:37]
	v_mov_b64_e32 v[20:21], s[38:39]
	ds_store_b128 v2, v[18:21] offset:5280
	ds_store_b128 v2, v[18:21] offset:5808
	ds_load_b128 v[18:21], v2 offset:5296
	s_wait_dscnt 0x0
	ds_store_b128 v2, v[18:21] offset:5792
.LBB81_146:                             ;   in Loop: Header=BB81_3 Depth=1
	s_or_b32 exec_lo, exec_lo, s58
	v_mov_b64_e32 v[20:21], 0
	v_mov_b64_e32 v[18:19], 0
	s_wait_dscnt 0x0
	s_barrier_signal -1
	s_barrier_wait -1
	s_and_saveexec_b32 s36, s2
	s_cbranch_execz .LBB81_152
; %bb.147:                              ;   in Loop: Header=BB81_3 Depth=1
	ds_load_b128 v[18:21], v45 offset:4224
	ds_load_b128 v[204:207], v186 offset:4288
	s_wait_dscnt 0x0
	v_mul_f64_e32 v[4:5], v[20:21], v[206:207]
	v_mul_f64_e32 v[42:43], v[18:19], v[206:207]
	s_delay_alu instid0(VALU_DEP_2) | instskip(NEXT) | instid1(VALU_DEP_2)
	v_fma_f64 v[4:5], v[18:19], v[204:205], -v[4:5]
	v_fmac_f64_e32 v[42:43], v[20:21], v[204:205]
	s_delay_alu instid0(VALU_DEP_2) | instskip(NEXT) | instid1(VALU_DEP_2)
	v_add_f64_e32 v[18:19], 0, v[4:5]
	v_add_f64_e32 v[20:21], 0, v[42:43]
	s_and_saveexec_b32 s38, s9
	s_cbranch_execnz .LBB81_526
; %bb.148:                              ;   in Loop: Header=BB81_3 Depth=1
	s_or_b32 exec_lo, exec_lo, s38
	s_and_saveexec_b32 s38, s10
	s_cbranch_execnz .LBB81_527
.LBB81_149:                             ;   in Loop: Header=BB81_3 Depth=1
	s_or_b32 exec_lo, exec_lo, s38
	s_and_saveexec_b32 s38, s0
	s_cbranch_execz .LBB81_151
.LBB81_150:                             ;   in Loop: Header=BB81_3 Depth=1
	ds_load_b128 v[204:207], v2 offset:4272
	ds_load_b128 v[208:211], v71 offset:5824
	s_wait_dscnt 0x0
	v_mul_f64_e32 v[4:5], v[206:207], v[210:211]
	v_mul_f64_e32 v[42:43], v[204:205], v[210:211]
	s_delay_alu instid0(VALU_DEP_2) | instskip(NEXT) | instid1(VALU_DEP_2)
	v_fma_f64 v[4:5], v[204:205], v[208:209], -v[4:5]
	v_fmac_f64_e32 v[42:43], v[206:207], v[208:209]
	s_delay_alu instid0(VALU_DEP_2) | instskip(NEXT) | instid1(VALU_DEP_2)
	v_add_f64_e32 v[18:19], v[18:19], v[4:5]
	v_add_f64_e32 v[20:21], v[20:21], v[42:43]
.LBB81_151:                             ;   in Loop: Header=BB81_3 Depth=1
	s_or_b32 exec_lo, exec_lo, s38
	s_delay_alu instid0(VALU_DEP_2) | instskip(NEXT) | instid1(VALU_DEP_2)
	v_xor_b32_e32 v19, 0x80000000, v19
	v_xor_b32_e32 v21, 0x80000000, v21
.LBB81_152:                             ;   in Loop: Header=BB81_3 Depth=1
	s_or_b32 exec_lo, exec_lo, s36
	s_and_saveexec_b32 s36, s68
; %bb.153:                              ;   in Loop: Header=BB81_3 Depth=1
	ds_store_b128 v185, v[18:21]
; %bb.154:                              ;   in Loop: Header=BB81_3 Depth=1
	s_or_b32 exec_lo, exec_lo, s36
	s_wait_dscnt 0x0
	s_barrier_signal -1
	s_barrier_wait -1
	s_and_saveexec_b32 s36, s69
	s_cbranch_execz .LBB81_156
; %bb.155:                              ;   in Loop: Header=BB81_3 Depth=1
	ds_load_b128 v[204:207], v185
	ds_load_b128 v[208:211], v181 offset:6336
	s_wait_dscnt 0x0
	v_mul_f64_e32 v[4:5], v[206:207], v[210:211]
	v_mul_f64_e32 v[42:43], v[204:205], v[210:211]
	s_delay_alu instid0(VALU_DEP_2) | instskip(NEXT) | instid1(VALU_DEP_2)
	v_fma_f64 v[4:5], v[204:205], v[208:209], -v[4:5]
	v_fmac_f64_e32 v[42:43], v[206:207], v[208:209]
	s_delay_alu instid0(VALU_DEP_2) | instskip(NEXT) | instid1(VALU_DEP_2)
	v_add_f64_e32 v[18:19], v[18:19], v[4:5]
	v_add_f64_e32 v[20:21], v[20:21], v[42:43]
.LBB81_156:                             ;   in Loop: Header=BB81_3 Depth=1
	s_or_b32 exec_lo, exec_lo, s36
	s_barrier_signal -1
	s_barrier_wait -1
	s_and_saveexec_b32 s36, s70
; %bb.157:                              ;   in Loop: Header=BB81_3 Depth=1
	ds_store_b128 v185, v[18:21]
; %bb.158:                              ;   in Loop: Header=BB81_3 Depth=1
	s_or_b32 exec_lo, exec_lo, s36
	s_wait_dscnt 0x0
	s_barrier_signal -1
	s_barrier_wait -1
	s_and_saveexec_b32 s36, s71
	s_cbranch_execz .LBB81_160
; %bb.159:                              ;   in Loop: Header=BB81_3 Depth=1
	ds_load_b128 v[204:207], v185
	ds_load_b128 v[208:211], v181 offset:6848
	s_wait_dscnt 0x0
	v_mul_f64_e32 v[4:5], v[206:207], v[210:211]
	v_mul_f64_e32 v[42:43], v[204:205], v[210:211]
	s_delay_alu instid0(VALU_DEP_2) | instskip(NEXT) | instid1(VALU_DEP_2)
	v_fma_f64 v[4:5], v[204:205], v[208:209], -v[4:5]
	v_fmac_f64_e32 v[42:43], v[206:207], v[208:209]
	s_delay_alu instid0(VALU_DEP_2) | instskip(NEXT) | instid1(VALU_DEP_2)
	v_add_f64_e32 v[18:19], v[18:19], v[4:5]
	v_add_f64_e32 v[20:21], v[20:21], v[42:43]
.LBB81_160:                             ;   in Loop: Header=BB81_3 Depth=1
	s_or_b32 exec_lo, exec_lo, s36
	s_barrier_signal -1
	s_barrier_wait -1
	;; [unrolled: 26-line block ×3, first 2 shown]
	s_and_saveexec_b32 s36, s73
; %bb.165:                              ;   in Loop: Header=BB81_3 Depth=1
	ds_store_b128 v185, v[18:21]
; %bb.166:                              ;   in Loop: Header=BB81_3 Depth=1
	s_or_b32 exec_lo, exec_lo, s36
	s_wait_dscnt 0x0
	s_barrier_signal -1
	s_barrier_wait -1
	s_barrier_signal -1
	s_barrier_wait -1
	s_and_saveexec_b32 s36, s2
; %bb.167:                              ;   in Loop: Header=BB81_3 Depth=1
	v_xor_b32_e32 v21, 0x80000000, v21
	v_xor_b32_e32 v19, 0x80000000, v19
	ds_store_b128 v186, v[18:21] offset:4288
; %bb.168:                              ;   in Loop: Header=BB81_3 Depth=1
	s_or_b32 exec_lo, exec_lo, s36
	s_wait_dscnt 0x0
	s_barrier_signal -1
	s_barrier_wait -1
	s_barrier_signal -1
	s_barrier_wait -1
	s_and_saveexec_b32 s36, s74
	s_cbranch_execz .LBB81_170
; %bb.169:                              ;   in Loop: Header=BB81_3 Depth=1
	ds_load_b128 v[18:21], v83
	s_wait_dscnt 0x0
	ds_store_b128 v149, v[18:21]
	ds_load_b128 v[18:21], v86
	s_wait_dscnt 0x0
	ds_store_b128 v152, v[18:21]
	;; [unrolled: 3-line block ×4, first 2 shown]
.LBB81_170:                             ;   in Loop: Header=BB81_3 Depth=1
	s_or_b32 exec_lo, exec_lo, s36
	s_wait_dscnt 0x0
	s_barrier_signal -1
	s_barrier_wait -1
	s_and_saveexec_b32 s58, s27
	s_cbranch_execz .LBB81_172
; %bb.171:                              ;   in Loop: Header=BB81_3 Depth=1
	s_mov_b32 s36, s35
	s_mov_b32 s38, s35
	;; [unrolled: 1-line block ×3, first 2 shown]
	v_mov_b64_e32 v[18:19], s[36:37]
	v_mov_b64_e32 v[20:21], s[38:39]
	ds_store_b128 v2, v[18:21] offset:6336
	ds_store_b128 v2, v[18:21] offset:6864
	ds_load_b128 v[18:21], v2 offset:6352
	s_wait_dscnt 0x0
	ds_store_b128 v2, v[18:21] offset:6848
.LBB81_172:                             ;   in Loop: Header=BB81_3 Depth=1
	s_or_b32 exec_lo, exec_lo, s58
	v_mov_b64_e32 v[20:21], 0
	v_mov_b64_e32 v[18:19], 0
	s_wait_dscnt 0x0
	s_barrier_signal -1
	s_barrier_wait -1
	s_and_saveexec_b32 s36, s0
	s_cbranch_execz .LBB81_176
; %bb.173:                              ;   in Loop: Header=BB81_3 Depth=1
	ds_load_b128 v[18:21], v183 offset:6336
	ds_load_b128 v[204:207], v182 offset:6368
	s_wait_dscnt 0x0
	v_mul_f64_e32 v[4:5], v[20:21], v[206:207]
	v_mul_f64_e32 v[42:43], v[18:19], v[206:207]
	s_delay_alu instid0(VALU_DEP_2) | instskip(NEXT) | instid1(VALU_DEP_2)
	v_fma_f64 v[4:5], v[18:19], v[204:205], -v[4:5]
	v_fmac_f64_e32 v[42:43], v[20:21], v[204:205]
	s_delay_alu instid0(VALU_DEP_2) | instskip(NEXT) | instid1(VALU_DEP_2)
	v_add_f64_e32 v[18:19], 0, v[4:5]
	v_add_f64_e32 v[20:21], 0, v[42:43]
	s_and_saveexec_b32 s38, s8
	s_cbranch_execz .LBB81_175
; %bb.174:                              ;   in Loop: Header=BB81_3 Depth=1
	ds_load_b128 v[204:207], v2 offset:6352
	ds_load_b128 v[208:211], v82 offset:6880
	s_wait_dscnt 0x0
	v_mul_f64_e32 v[4:5], v[206:207], v[210:211]
	v_mul_f64_e32 v[42:43], v[204:205], v[210:211]
	s_delay_alu instid0(VALU_DEP_2) | instskip(NEXT) | instid1(VALU_DEP_2)
	v_fma_f64 v[4:5], v[204:205], v[208:209], -v[4:5]
	v_fmac_f64_e32 v[42:43], v[206:207], v[208:209]
	s_delay_alu instid0(VALU_DEP_2) | instskip(NEXT) | instid1(VALU_DEP_2)
	v_add_f64_e32 v[18:19], v[18:19], v[4:5]
	v_add_f64_e32 v[20:21], v[20:21], v[42:43]
.LBB81_175:                             ;   in Loop: Header=BB81_3 Depth=1
	s_or_b32 exec_lo, exec_lo, s38
	s_delay_alu instid0(VALU_DEP_2) | instskip(NEXT) | instid1(VALU_DEP_2)
	v_xor_b32_e32 v19, 0x80000000, v19
	v_xor_b32_e32 v21, 0x80000000, v21
.LBB81_176:                             ;   in Loop: Header=BB81_3 Depth=1
	s_or_b32 exec_lo, exec_lo, s36
	s_and_saveexec_b32 s36, s65
; %bb.177:                              ;   in Loop: Header=BB81_3 Depth=1
	ds_store_b128 v27, v[18:21]
; %bb.178:                              ;   in Loop: Header=BB81_3 Depth=1
	s_or_b32 exec_lo, exec_lo, s36
	s_wait_dscnt 0x0
	s_barrier_signal -1
	s_barrier_wait -1
	s_and_saveexec_b32 s36, s66
	s_cbranch_execz .LBB81_180
; %bb.179:                              ;   in Loop: Header=BB81_3 Depth=1
	ds_load_b128 v[204:207], v27
	ds_load_b128 v[208:211], v2 offset:7408
	s_wait_dscnt 0x0
	v_mul_f64_e32 v[4:5], v[206:207], v[210:211]
	v_mul_f64_e32 v[42:43], v[204:205], v[210:211]
	s_delay_alu instid0(VALU_DEP_2) | instskip(NEXT) | instid1(VALU_DEP_2)
	v_fma_f64 v[4:5], v[204:205], v[208:209], -v[4:5]
	v_fmac_f64_e32 v[42:43], v[206:207], v[208:209]
	s_delay_alu instid0(VALU_DEP_2) | instskip(NEXT) | instid1(VALU_DEP_2)
	v_add_f64_e32 v[18:19], v[18:19], v[4:5]
	v_add_f64_e32 v[20:21], v[20:21], v[42:43]
.LBB81_180:                             ;   in Loop: Header=BB81_3 Depth=1
	s_or_b32 exec_lo, exec_lo, s36
	s_barrier_signal -1
	s_barrier_wait -1
	s_and_saveexec_b32 s36, s66
; %bb.181:                              ;   in Loop: Header=BB81_3 Depth=1
	ds_store_b128 v27, v[18:21]
; %bb.182:                              ;   in Loop: Header=BB81_3 Depth=1
	s_or_b32 exec_lo, exec_lo, s36
	s_wait_dscnt 0x0
	s_barrier_signal -1
	s_barrier_wait -1
	s_barrier_signal -1
	s_barrier_wait -1
	s_and_saveexec_b32 s36, s0
; %bb.183:                              ;   in Loop: Header=BB81_3 Depth=1
	v_xor_b32_e32 v19, 0x80000000, v19
	v_xor_b32_e32 v21, 0x80000000, v21
	ds_store_b128 v182, v[18:21] offset:6368
; %bb.184:                              ;   in Loop: Header=BB81_3 Depth=1
	s_or_b32 exec_lo, exec_lo, s36
	s_wait_dscnt 0x0
	s_barrier_signal -1
	s_barrier_wait -1
	s_barrier_signal -1
	s_barrier_wait -1
	s_and_saveexec_b32 s36, s67
	s_cbranch_execz .LBB81_186
; %bb.185:                              ;   in Loop: Header=BB81_3 Depth=1
	ds_load_b128 v[18:21], v92
	s_wait_dscnt 0x0
	ds_store_b128 v95, v[18:21]
	ds_load_b128 v[18:21], v93
	s_wait_dscnt 0x0
	ds_store_b128 v96, v[18:21]
.LBB81_186:                             ;   in Loop: Header=BB81_3 Depth=1
	s_or_b32 exec_lo, exec_lo, s36
	s_wait_dscnt 0x0
	s_barrier_signal -1
	s_barrier_wait -1
	s_and_saveexec_b32 s58, s27
	s_cbranch_execz .LBB81_188
; %bb.187:                              ;   in Loop: Header=BB81_3 Depth=1
	s_mov_b32 s36, s35
	s_mov_b32 s38, s35
	;; [unrolled: 1-line block ×3, first 2 shown]
	v_mov_b64_e32 v[18:19], s[36:37]
	v_mov_b64_e32 v[20:21], s[38:39]
	ds_store_b128 v2, v[18:21] offset:7392
	ds_store_b128 v2, v[18:21] offset:7920
	ds_load_b128 v[18:21], v2 offset:7408
	s_wait_dscnt 0x0
	ds_store_b128 v2, v[18:21] offset:7904
.LBB81_188:                             ;   in Loop: Header=BB81_3 Depth=1
	s_or_b32 exec_lo, exec_lo, s58
	v_mov_b64_e32 v[20:21], 0
	v_mov_b64_e32 v[18:19], 0
	s_wait_dscnt 0x0
	s_barrier_signal -1
	s_barrier_wait -1
	s_and_saveexec_b32 s36, s4
	s_cbranch_execz .LBB81_216
; %bb.189:                              ;   in Loop: Header=BB81_3 Depth=1
	v_add_nc_u32_e32 v3, v58, v148
	v_readlane_b32 s18, v203, 18
	ds_load_b128 v[18:21], v3
	ds_load_b128 v[204:207], v154 offset:256
	s_wait_dscnt 0x0
	v_mul_f64_e32 v[4:5], v[20:21], v[206:207]
	v_mul_f64_e32 v[42:43], v[18:19], v[206:207]
	s_delay_alu instid0(VALU_DEP_2) | instskip(NEXT) | instid1(VALU_DEP_2)
	v_fma_f64 v[4:5], v[18:19], v[204:205], -v[4:5]
	v_fmac_f64_e32 v[42:43], v[20:21], v[204:205]
	s_delay_alu instid0(VALU_DEP_2) | instskip(NEXT) | instid1(VALU_DEP_2)
	v_add_f64_e32 v[18:19], 0, v[4:5]
	v_add_f64_e32 v[20:21], 0, v[42:43]
	s_and_saveexec_b32 s38, s18
	s_cbranch_execz .LBB81_191
; %bb.190:                              ;   in Loop: Header=BB81_3 Depth=1
	ds_load_b128 v[204:207], v3 offset:16
	ds_load_b128 v[208:211], v154 offset:768
	s_wait_dscnt 0x0
	v_mul_f64_e32 v[4:5], v[206:207], v[210:211]
	v_mul_f64_e32 v[42:43], v[204:205], v[210:211]
	s_delay_alu instid0(VALU_DEP_2) | instskip(NEXT) | instid1(VALU_DEP_2)
	v_fma_f64 v[4:5], v[204:205], v[208:209], -v[4:5]
	v_fmac_f64_e32 v[42:43], v[206:207], v[208:209]
	s_delay_alu instid0(VALU_DEP_2) | instskip(NEXT) | instid1(VALU_DEP_2)
	v_add_f64_e32 v[18:19], v[18:19], v[4:5]
	v_add_f64_e32 v[20:21], v[20:21], v[42:43]
.LBB81_191:                             ;   in Loop: Header=BB81_3 Depth=1
	s_or_b32 exec_lo, exec_lo, s38
	v_readlane_b32 s18, v203, 19
	s_and_saveexec_b32 s38, s18
	s_cbranch_execz .LBB81_193
; %bb.192:                              ;   in Loop: Header=BB81_3 Depth=1
	ds_load_b128 v[204:207], v3 offset:32
	ds_load_b128 v[208:211], v154 offset:1280
	s_wait_dscnt 0x0
	v_mul_f64_e32 v[4:5], v[206:207], v[210:211]
	v_mul_f64_e32 v[42:43], v[204:205], v[210:211]
	s_delay_alu instid0(VALU_DEP_2) | instskip(NEXT) | instid1(VALU_DEP_2)
	v_fma_f64 v[4:5], v[204:205], v[208:209], -v[4:5]
	v_fmac_f64_e32 v[42:43], v[206:207], v[208:209]
	s_delay_alu instid0(VALU_DEP_2) | instskip(NEXT) | instid1(VALU_DEP_2)
	v_add_f64_e32 v[18:19], v[18:19], v[4:5]
	v_add_f64_e32 v[20:21], v[20:21], v[42:43]
.LBB81_193:                             ;   in Loop: Header=BB81_3 Depth=1
	s_or_b32 exec_lo, exec_lo, s38
	v_readlane_b32 s18, v203, 20
	;; [unrolled: 17-line block ×10, first 2 shown]
	s_and_saveexec_b32 s38, s18
	s_cbranch_execnz .LBB81_528
; %bb.210:                              ;   in Loop: Header=BB81_3 Depth=1
	s_or_b32 exec_lo, exec_lo, s38
	s_and_saveexec_b32 s38, s3
	s_cbranch_execnz .LBB81_529
.LBB81_211:                             ;   in Loop: Header=BB81_3 Depth=1
	s_or_b32 exec_lo, exec_lo, s38
	s_and_saveexec_b32 s38, s12
	s_cbranch_execnz .LBB81_530
.LBB81_212:                             ;   in Loop: Header=BB81_3 Depth=1
	s_or_b32 exec_lo, exec_lo, s38
	s_and_saveexec_b32 s38, s14
	s_cbranch_execnz .LBB81_531
.LBB81_213:                             ;   in Loop: Header=BB81_3 Depth=1
	s_or_b32 exec_lo, exec_lo, s38
	s_and_saveexec_b32 s38, s2
	s_cbranch_execz .LBB81_215
.LBB81_214:                             ;   in Loop: Header=BB81_3 Depth=1
	ds_load_b128 v[204:207], v2 offset:240
	ds_load_b128 v[208:211], v25 offset:7936
	s_wait_dscnt 0x0
	v_mul_f64_e32 v[4:5], v[206:207], v[210:211]
	v_mul_f64_e32 v[42:43], v[204:205], v[210:211]
	s_delay_alu instid0(VALU_DEP_2) | instskip(NEXT) | instid1(VALU_DEP_2)
	v_fma_f64 v[4:5], v[204:205], v[208:209], -v[4:5]
	v_fmac_f64_e32 v[42:43], v[206:207], v[208:209]
	s_delay_alu instid0(VALU_DEP_2) | instskip(NEXT) | instid1(VALU_DEP_2)
	v_add_f64_e32 v[18:19], v[18:19], v[4:5]
	v_add_f64_e32 v[20:21], v[20:21], v[42:43]
.LBB81_215:                             ;   in Loop: Header=BB81_3 Depth=1
	s_or_b32 exec_lo, exec_lo, s38
	s_delay_alu instid0(VALU_DEP_2) | instskip(NEXT) | instid1(VALU_DEP_2)
	v_xor_b32_e32 v19, 0x80000000, v19
	v_xor_b32_e32 v21, 0x80000000, v21
.LBB81_216:                             ;   in Loop: Header=BB81_3 Depth=1
	s_or_b32 exec_lo, exec_lo, s36
	v_readlane_b32 s18, v203, 0
	s_and_saveexec_b32 s36, s18
; %bb.217:                              ;   in Loop: Header=BB81_3 Depth=1
	ds_store_b128 v153, v[18:21]
; %bb.218:                              ;   in Loop: Header=BB81_3 Depth=1
	s_or_b32 exec_lo, exec_lo, s36
	v_readlane_b32 s18, v203, 1
	s_wait_dscnt 0x0
	s_barrier_signal -1
	s_barrier_wait -1
	s_and_saveexec_b32 s36, s18
	s_cbranch_execz .LBB81_220
; %bb.219:                              ;   in Loop: Header=BB81_3 Depth=1
	ds_load_b128 v[204:207], v153
	ds_load_b128 v[208:211], v59 offset:8448
	s_wait_dscnt 0x0
	v_mul_f64_e32 v[4:5], v[206:207], v[210:211]
	v_mul_f64_e32 v[42:43], v[204:205], v[210:211]
	s_delay_alu instid0(VALU_DEP_2) | instskip(NEXT) | instid1(VALU_DEP_2)
	v_fma_f64 v[4:5], v[204:205], v[208:209], -v[4:5]
	v_fmac_f64_e32 v[42:43], v[206:207], v[208:209]
	s_delay_alu instid0(VALU_DEP_2) | instskip(NEXT) | instid1(VALU_DEP_2)
	v_add_f64_e32 v[18:19], v[18:19], v[4:5]
	v_add_f64_e32 v[20:21], v[20:21], v[42:43]
.LBB81_220:                             ;   in Loop: Header=BB81_3 Depth=1
	s_or_b32 exec_lo, exec_lo, s36
	v_readlane_b32 s18, v203, 2
	s_barrier_signal -1
	s_barrier_wait -1
	s_and_saveexec_b32 s36, s18
; %bb.221:                              ;   in Loop: Header=BB81_3 Depth=1
	ds_store_b128 v153, v[18:21]
; %bb.222:                              ;   in Loop: Header=BB81_3 Depth=1
	s_or_b32 exec_lo, exec_lo, s36
	v_readlane_b32 s18, v203, 3
	s_wait_dscnt 0x0
	s_barrier_signal -1
	s_barrier_wait -1
	s_and_saveexec_b32 s36, s18
	s_cbranch_execz .LBB81_224
; %bb.223:                              ;   in Loop: Header=BB81_3 Depth=1
	ds_load_b128 v[204:207], v153
	ds_load_b128 v[208:211], v59 offset:8960
	s_wait_dscnt 0x0
	v_mul_f64_e32 v[4:5], v[206:207], v[210:211]
	v_mul_f64_e32 v[42:43], v[204:205], v[210:211]
	s_delay_alu instid0(VALU_DEP_2) | instskip(NEXT) | instid1(VALU_DEP_2)
	v_fma_f64 v[4:5], v[204:205], v[208:209], -v[4:5]
	v_fmac_f64_e32 v[42:43], v[206:207], v[208:209]
	s_delay_alu instid0(VALU_DEP_2) | instskip(NEXT) | instid1(VALU_DEP_2)
	v_add_f64_e32 v[18:19], v[18:19], v[4:5]
	v_add_f64_e32 v[20:21], v[20:21], v[42:43]
.LBB81_224:                             ;   in Loop: Header=BB81_3 Depth=1
	s_or_b32 exec_lo, exec_lo, s36
	v_readlane_b32 s18, v203, 4
	s_barrier_signal -1
	s_barrier_wait -1
	;; [unrolled: 28-line block ×8, first 2 shown]
	s_and_saveexec_b32 s36, s18
; %bb.249:                              ;   in Loop: Header=BB81_3 Depth=1
	ds_store_b128 v153, v[18:21]
; %bb.250:                              ;   in Loop: Header=BB81_3 Depth=1
	s_or_b32 exec_lo, exec_lo, s36
	s_wait_dscnt 0x0
	s_barrier_signal -1
	s_barrier_wait -1
	s_and_saveexec_b32 s36, s19
	s_cbranch_execz .LBB81_252
; %bb.251:                              ;   in Loop: Header=BB81_3 Depth=1
	ds_load_b128 v[204:207], v153
	ds_load_b128 v[208:211], v59 offset:12544
	s_wait_dscnt 0x0
	v_mul_f64_e32 v[4:5], v[206:207], v[210:211]
	v_mul_f64_e32 v[42:43], v[204:205], v[210:211]
	s_delay_alu instid0(VALU_DEP_2) | instskip(NEXT) | instid1(VALU_DEP_2)
	v_fma_f64 v[4:5], v[204:205], v[208:209], -v[4:5]
	v_fmac_f64_e32 v[42:43], v[206:207], v[208:209]
	s_delay_alu instid0(VALU_DEP_2) | instskip(NEXT) | instid1(VALU_DEP_2)
	v_add_f64_e32 v[18:19], v[18:19], v[4:5]
	v_add_f64_e32 v[20:21], v[20:21], v[42:43]
.LBB81_252:                             ;   in Loop: Header=BB81_3 Depth=1
	s_or_b32 exec_lo, exec_lo, s36
	s_barrier_signal -1
	s_barrier_wait -1
	s_and_saveexec_b32 s36, s20
; %bb.253:                              ;   in Loop: Header=BB81_3 Depth=1
	ds_store_b128 v153, v[18:21]
; %bb.254:                              ;   in Loop: Header=BB81_3 Depth=1
	s_or_b32 exec_lo, exec_lo, s36
	s_wait_dscnt 0x0
	s_barrier_signal -1
	s_barrier_wait -1
	s_and_saveexec_b32 s36, s21
	s_cbranch_execz .LBB81_256
; %bb.255:                              ;   in Loop: Header=BB81_3 Depth=1
	ds_load_b128 v[204:207], v153
	ds_load_b128 v[208:211], v59 offset:13056
	s_wait_dscnt 0x0
	v_mul_f64_e32 v[4:5], v[206:207], v[210:211]
	v_mul_f64_e32 v[42:43], v[204:205], v[210:211]
	s_delay_alu instid0(VALU_DEP_2) | instskip(NEXT) | instid1(VALU_DEP_2)
	v_fma_f64 v[4:5], v[204:205], v[208:209], -v[4:5]
	v_fmac_f64_e32 v[42:43], v[206:207], v[208:209]
	s_delay_alu instid0(VALU_DEP_2) | instskip(NEXT) | instid1(VALU_DEP_2)
	v_add_f64_e32 v[18:19], v[18:19], v[4:5]
	v_add_f64_e32 v[20:21], v[20:21], v[42:43]
.LBB81_256:                             ;   in Loop: Header=BB81_3 Depth=1
	s_or_b32 exec_lo, exec_lo, s36
	s_barrier_signal -1
	s_barrier_wait -1
	;; [unrolled: 26-line block ×7, first 2 shown]
	s_and_saveexec_b32 s36, s92
; %bb.277:                              ;   in Loop: Header=BB81_3 Depth=1
	ds_store_b128 v153, v[18:21]
; %bb.278:                              ;   in Loop: Header=BB81_3 Depth=1
	s_or_b32 exec_lo, exec_lo, s36
	s_wait_dscnt 0x0
	s_barrier_signal -1
	s_barrier_wait -1
	s_barrier_signal -1
	s_barrier_wait -1
	s_and_saveexec_b32 s36, s4
; %bb.279:                              ;   in Loop: Header=BB81_3 Depth=1
	v_xor_b32_e32 v21, 0x80000000, v21
	v_xor_b32_e32 v19, 0x80000000, v19
	ds_store_b128 v154, v[18:21] offset:256
; %bb.280:                              ;   in Loop: Header=BB81_3 Depth=1
	s_or_b32 exec_lo, exec_lo, s36
	s_wait_dscnt 0x0
	s_barrier_signal -1
	s_barrier_wait -1
	s_barrier_signal -1
	s_barrier_wait -1
	s_and_saveexec_b32 s36, s94
	s_cbranch_execz .LBB81_282
; %bb.281:                              ;   in Loop: Header=BB81_3 Depth=1
	ds_load_b128 v[18:21], v98
	s_wait_dscnt 0x0
	ds_store_b128 v114, v[18:21]
	ds_load_b128 v[18:21], v99
	s_wait_dscnt 0x0
	ds_store_b128 v115, v[18:21]
	;; [unrolled: 3-line block ×16, first 2 shown]
.LBB81_282:                             ;   in Loop: Header=BB81_3 Depth=1
	s_or_b32 exec_lo, exec_lo, s36
	s_wait_dscnt 0x0
	s_barrier_signal -1
	s_barrier_wait -1
	s_and_saveexec_b32 s58, s27
	s_cbranch_execz .LBB81_284
; %bb.283:                              ;   in Loop: Header=BB81_3 Depth=1
	s_mov_b32 s36, s35
	s_mov_b32 s38, s35
	;; [unrolled: 1-line block ×3, first 2 shown]
	v_mov_b64_e32 v[18:19], s[36:37]
	v_mov_b64_e32 v[20:21], s[38:39]
	ds_store_b128 v2, v[18:21] offset:8448
	ds_store_b128 v2, v[18:21] offset:8976
	ds_load_b128 v[18:21], v2 offset:8464
	s_wait_dscnt 0x0
	ds_store_b128 v2, v[18:21] offset:8960
.LBB81_284:                             ;   in Loop: Header=BB81_3 Depth=1
	s_or_b32 exec_lo, exec_lo, s58
	v_mov_b64_e32 v[20:21], 0
	v_mov_b64_e32 v[18:19], 0
	s_wait_dscnt 0x0
	s_barrier_signal -1
	s_barrier_wait -1
	s_and_saveexec_b32 s36, s0
	s_cbranch_execz .LBB81_288
; %bb.285:                              ;   in Loop: Header=BB81_3 Depth=1
	ds_load_b128 v[18:21], v183 offset:8448
	ds_load_b128 v[204:207], v182 offset:8480
	s_wait_dscnt 0x0
	v_mul_f64_e32 v[4:5], v[20:21], v[206:207]
	v_mul_f64_e32 v[42:43], v[18:19], v[206:207]
	s_delay_alu instid0(VALU_DEP_2) | instskip(NEXT) | instid1(VALU_DEP_2)
	v_fma_f64 v[4:5], v[18:19], v[204:205], -v[4:5]
	v_fmac_f64_e32 v[42:43], v[20:21], v[204:205]
	s_delay_alu instid0(VALU_DEP_2) | instskip(NEXT) | instid1(VALU_DEP_2)
	v_add_f64_e32 v[18:19], 0, v[4:5]
	v_add_f64_e32 v[20:21], 0, v[42:43]
	s_and_saveexec_b32 s38, s8
	s_cbranch_execz .LBB81_287
; %bb.286:                              ;   in Loop: Header=BB81_3 Depth=1
	ds_load_b128 v[204:207], v2 offset:8464
	ds_load_b128 v[208:211], v25 offset:8992
	s_wait_dscnt 0x0
	v_mul_f64_e32 v[4:5], v[206:207], v[210:211]
	v_mul_f64_e32 v[42:43], v[204:205], v[210:211]
	s_delay_alu instid0(VALU_DEP_2) | instskip(NEXT) | instid1(VALU_DEP_2)
	v_fma_f64 v[4:5], v[204:205], v[208:209], -v[4:5]
	v_fmac_f64_e32 v[42:43], v[206:207], v[208:209]
	s_delay_alu instid0(VALU_DEP_2) | instskip(NEXT) | instid1(VALU_DEP_2)
	v_add_f64_e32 v[18:19], v[18:19], v[4:5]
	v_add_f64_e32 v[20:21], v[20:21], v[42:43]
.LBB81_287:                             ;   in Loop: Header=BB81_3 Depth=1
	s_or_b32 exec_lo, exec_lo, s38
	s_delay_alu instid0(VALU_DEP_2) | instskip(NEXT) | instid1(VALU_DEP_2)
	v_xor_b32_e32 v19, 0x80000000, v19
	v_xor_b32_e32 v21, 0x80000000, v21
.LBB81_288:                             ;   in Loop: Header=BB81_3 Depth=1
	s_or_b32 exec_lo, exec_lo, s36
	s_and_saveexec_b32 s36, s65
; %bb.289:                              ;   in Loop: Header=BB81_3 Depth=1
	ds_store_b128 v27, v[18:21]
; %bb.290:                              ;   in Loop: Header=BB81_3 Depth=1
	s_or_b32 exec_lo, exec_lo, s36
	s_wait_dscnt 0x0
	s_barrier_signal -1
	s_barrier_wait -1
	s_and_saveexec_b32 s36, s66
	s_cbranch_execz .LBB81_292
; %bb.291:                              ;   in Loop: Header=BB81_3 Depth=1
	ds_load_b128 v[204:207], v27
	ds_load_b128 v[208:211], v2 offset:9520
	s_wait_dscnt 0x0
	v_mul_f64_e32 v[4:5], v[206:207], v[210:211]
	v_mul_f64_e32 v[42:43], v[204:205], v[210:211]
	s_delay_alu instid0(VALU_DEP_2) | instskip(NEXT) | instid1(VALU_DEP_2)
	v_fma_f64 v[4:5], v[204:205], v[208:209], -v[4:5]
	v_fmac_f64_e32 v[42:43], v[206:207], v[208:209]
	s_delay_alu instid0(VALU_DEP_2) | instskip(NEXT) | instid1(VALU_DEP_2)
	v_add_f64_e32 v[18:19], v[18:19], v[4:5]
	v_add_f64_e32 v[20:21], v[20:21], v[42:43]
.LBB81_292:                             ;   in Loop: Header=BB81_3 Depth=1
	s_or_b32 exec_lo, exec_lo, s36
	s_barrier_signal -1
	s_barrier_wait -1
	s_and_saveexec_b32 s36, s66
; %bb.293:                              ;   in Loop: Header=BB81_3 Depth=1
	ds_store_b128 v27, v[18:21]
; %bb.294:                              ;   in Loop: Header=BB81_3 Depth=1
	s_or_b32 exec_lo, exec_lo, s36
	s_wait_dscnt 0x0
	s_barrier_signal -1
	s_barrier_wait -1
	s_barrier_signal -1
	s_barrier_wait -1
	s_and_saveexec_b32 s36, s0
; %bb.295:                              ;   in Loop: Header=BB81_3 Depth=1
	v_xor_b32_e32 v19, 0x80000000, v19
	v_xor_b32_e32 v21, 0x80000000, v21
	ds_store_b128 v182, v[18:21] offset:8480
; %bb.296:                              ;   in Loop: Header=BB81_3 Depth=1
	s_or_b32 exec_lo, exec_lo, s36
	s_wait_dscnt 0x0
	s_barrier_signal -1
	s_barrier_wait -1
	s_barrier_signal -1
	s_barrier_wait -1
	s_and_saveexec_b32 s36, s67
	s_cbranch_execz .LBB81_298
; %bb.297:                              ;   in Loop: Header=BB81_3 Depth=1
	ds_load_b128 v[18:21], v60
	s_wait_dscnt 0x0
	ds_store_b128 v155, v[18:21]
	ds_load_b128 v[18:21], v61
	s_wait_dscnt 0x0
	ds_store_b128 v156, v[18:21]
.LBB81_298:                             ;   in Loop: Header=BB81_3 Depth=1
	s_or_b32 exec_lo, exec_lo, s36
	s_wait_dscnt 0x0
	s_barrier_signal -1
	s_barrier_wait -1
	s_and_saveexec_b32 s58, s27
	s_cbranch_execz .LBB81_300
; %bb.299:                              ;   in Loop: Header=BB81_3 Depth=1
	s_mov_b32 s36, s35
	s_mov_b32 s38, s35
	;; [unrolled: 1-line block ×3, first 2 shown]
	v_mov_b64_e32 v[18:19], s[36:37]
	v_mov_b64_e32 v[20:21], s[38:39]
	ds_store_b128 v2, v[18:21] offset:9504
	ds_store_b128 v2, v[18:21] offset:10032
	ds_load_b128 v[18:21], v2 offset:9520
	s_wait_dscnt 0x0
	ds_store_b128 v2, v[18:21] offset:10016
.LBB81_300:                             ;   in Loop: Header=BB81_3 Depth=1
	s_or_b32 exec_lo, exec_lo, s58
	v_mov_b64_e32 v[20:21], 0
	v_mov_b64_e32 v[18:19], 0
	s_wait_dscnt 0x0
	s_barrier_signal -1
	s_barrier_wait -1
	s_and_saveexec_b32 s36, s2
	s_cbranch_execz .LBB81_306
; %bb.301:                              ;   in Loop: Header=BB81_3 Depth=1
	ds_load_b128 v[18:21], v45 offset:8448
	ds_load_b128 v[204:207], v186 offset:8512
	s_wait_dscnt 0x0
	v_mul_f64_e32 v[4:5], v[20:21], v[206:207]
	v_mul_f64_e32 v[42:43], v[18:19], v[206:207]
	s_delay_alu instid0(VALU_DEP_2) | instskip(NEXT) | instid1(VALU_DEP_2)
	v_fma_f64 v[4:5], v[18:19], v[204:205], -v[4:5]
	v_fmac_f64_e32 v[42:43], v[20:21], v[204:205]
	s_delay_alu instid0(VALU_DEP_2) | instskip(NEXT) | instid1(VALU_DEP_2)
	v_add_f64_e32 v[18:19], 0, v[4:5]
	v_add_f64_e32 v[20:21], 0, v[42:43]
	s_and_saveexec_b32 s38, s9
	s_cbranch_execnz .LBB81_532
; %bb.302:                              ;   in Loop: Header=BB81_3 Depth=1
	s_or_b32 exec_lo, exec_lo, s38
	s_and_saveexec_b32 s38, s10
	s_cbranch_execnz .LBB81_533
.LBB81_303:                             ;   in Loop: Header=BB81_3 Depth=1
	s_or_b32 exec_lo, exec_lo, s38
	s_and_saveexec_b32 s38, s0
	s_cbranch_execz .LBB81_305
.LBB81_304:                             ;   in Loop: Header=BB81_3 Depth=1
	ds_load_b128 v[204:207], v2 offset:8496
	ds_load_b128 v[208:211], v44 offset:10048
	s_wait_dscnt 0x0
	v_mul_f64_e32 v[4:5], v[206:207], v[210:211]
	v_mul_f64_e32 v[42:43], v[204:205], v[210:211]
	s_delay_alu instid0(VALU_DEP_2) | instskip(NEXT) | instid1(VALU_DEP_2)
	v_fma_f64 v[4:5], v[204:205], v[208:209], -v[4:5]
	v_fmac_f64_e32 v[42:43], v[206:207], v[208:209]
	s_delay_alu instid0(VALU_DEP_2) | instskip(NEXT) | instid1(VALU_DEP_2)
	v_add_f64_e32 v[18:19], v[18:19], v[4:5]
	v_add_f64_e32 v[20:21], v[20:21], v[42:43]
.LBB81_305:                             ;   in Loop: Header=BB81_3 Depth=1
	s_or_b32 exec_lo, exec_lo, s38
	s_delay_alu instid0(VALU_DEP_2) | instskip(NEXT) | instid1(VALU_DEP_2)
	v_xor_b32_e32 v19, 0x80000000, v19
	v_xor_b32_e32 v21, 0x80000000, v21
.LBB81_306:                             ;   in Loop: Header=BB81_3 Depth=1
	s_or_b32 exec_lo, exec_lo, s36
	s_and_saveexec_b32 s36, s68
; %bb.307:                              ;   in Loop: Header=BB81_3 Depth=1
	ds_store_b128 v185, v[18:21]
; %bb.308:                              ;   in Loop: Header=BB81_3 Depth=1
	s_or_b32 exec_lo, exec_lo, s36
	s_wait_dscnt 0x0
	s_barrier_signal -1
	s_barrier_wait -1
	s_and_saveexec_b32 s36, s69
	s_cbranch_execz .LBB81_310
; %bb.309:                              ;   in Loop: Header=BB81_3 Depth=1
	ds_load_b128 v[204:207], v185
	ds_load_b128 v[208:211], v181 offset:10560
	s_wait_dscnt 0x0
	v_mul_f64_e32 v[4:5], v[206:207], v[210:211]
	v_mul_f64_e32 v[42:43], v[204:205], v[210:211]
	s_delay_alu instid0(VALU_DEP_2) | instskip(NEXT) | instid1(VALU_DEP_2)
	v_fma_f64 v[4:5], v[204:205], v[208:209], -v[4:5]
	v_fmac_f64_e32 v[42:43], v[206:207], v[208:209]
	s_delay_alu instid0(VALU_DEP_2) | instskip(NEXT) | instid1(VALU_DEP_2)
	v_add_f64_e32 v[18:19], v[18:19], v[4:5]
	v_add_f64_e32 v[20:21], v[20:21], v[42:43]
.LBB81_310:                             ;   in Loop: Header=BB81_3 Depth=1
	s_or_b32 exec_lo, exec_lo, s36
	s_barrier_signal -1
	s_barrier_wait -1
	s_and_saveexec_b32 s36, s70
; %bb.311:                              ;   in Loop: Header=BB81_3 Depth=1
	ds_store_b128 v185, v[18:21]
; %bb.312:                              ;   in Loop: Header=BB81_3 Depth=1
	s_or_b32 exec_lo, exec_lo, s36
	s_wait_dscnt 0x0
	s_barrier_signal -1
	s_barrier_wait -1
	s_and_saveexec_b32 s36, s71
	s_cbranch_execz .LBB81_314
; %bb.313:                              ;   in Loop: Header=BB81_3 Depth=1
	ds_load_b128 v[204:207], v185
	ds_load_b128 v[208:211], v181 offset:11072
	s_wait_dscnt 0x0
	v_mul_f64_e32 v[4:5], v[206:207], v[210:211]
	v_mul_f64_e32 v[42:43], v[204:205], v[210:211]
	s_delay_alu instid0(VALU_DEP_2) | instskip(NEXT) | instid1(VALU_DEP_2)
	v_fma_f64 v[4:5], v[204:205], v[208:209], -v[4:5]
	v_fmac_f64_e32 v[42:43], v[206:207], v[208:209]
	s_delay_alu instid0(VALU_DEP_2) | instskip(NEXT) | instid1(VALU_DEP_2)
	v_add_f64_e32 v[18:19], v[18:19], v[4:5]
	v_add_f64_e32 v[20:21], v[20:21], v[42:43]
.LBB81_314:                             ;   in Loop: Header=BB81_3 Depth=1
	s_or_b32 exec_lo, exec_lo, s36
	s_barrier_signal -1
	s_barrier_wait -1
	;; [unrolled: 26-line block ×3, first 2 shown]
	s_and_saveexec_b32 s36, s73
; %bb.319:                              ;   in Loop: Header=BB81_3 Depth=1
	ds_store_b128 v185, v[18:21]
; %bb.320:                              ;   in Loop: Header=BB81_3 Depth=1
	s_or_b32 exec_lo, exec_lo, s36
	s_wait_dscnt 0x0
	s_barrier_signal -1
	s_barrier_wait -1
	s_barrier_signal -1
	s_barrier_wait -1
	s_and_saveexec_b32 s36, s2
; %bb.321:                              ;   in Loop: Header=BB81_3 Depth=1
	v_xor_b32_e32 v21, 0x80000000, v21
	v_xor_b32_e32 v19, 0x80000000, v19
	ds_store_b128 v186, v[18:21] offset:8512
; %bb.322:                              ;   in Loop: Header=BB81_3 Depth=1
	s_or_b32 exec_lo, exec_lo, s36
	s_wait_dscnt 0x0
	s_barrier_signal -1
	s_barrier_wait -1
	s_barrier_signal -1
	s_barrier_wait -1
	s_and_saveexec_b32 s36, s74
	s_cbranch_execz .LBB81_324
; %bb.323:                              ;   in Loop: Header=BB81_3 Depth=1
	ds_load_b128 v[18:21], v75
	s_wait_dscnt 0x0
	ds_store_b128 v157, v[18:21]
	ds_load_b128 v[18:21], v78
	s_wait_dscnt 0x0
	ds_store_b128 v160, v[18:21]
	;; [unrolled: 3-line block ×4, first 2 shown]
.LBB81_324:                             ;   in Loop: Header=BB81_3 Depth=1
	s_or_b32 exec_lo, exec_lo, s36
	s_wait_dscnt 0x0
	s_barrier_signal -1
	s_barrier_wait -1
	s_and_saveexec_b32 s58, s27
	s_cbranch_execz .LBB81_326
; %bb.325:                              ;   in Loop: Header=BB81_3 Depth=1
	s_mov_b32 s36, s35
	s_mov_b32 s38, s35
	;; [unrolled: 1-line block ×3, first 2 shown]
	v_mov_b64_e32 v[18:19], s[36:37]
	v_mov_b64_e32 v[20:21], s[38:39]
	ds_store_b128 v2, v[18:21] offset:10560
	ds_store_b128 v2, v[18:21] offset:11088
	ds_load_b128 v[18:21], v2 offset:10576
	s_wait_dscnt 0x0
	ds_store_b128 v2, v[18:21] offset:11072
.LBB81_326:                             ;   in Loop: Header=BB81_3 Depth=1
	s_or_b32 exec_lo, exec_lo, s58
	v_mov_b64_e32 v[20:21], 0
	v_mov_b64_e32 v[18:19], 0
	s_wait_dscnt 0x0
	s_barrier_signal -1
	s_barrier_wait -1
	s_and_saveexec_b32 s36, s0
	s_cbranch_execz .LBB81_330
; %bb.327:                              ;   in Loop: Header=BB81_3 Depth=1
	ds_load_b128 v[18:21], v183 offset:10560
	ds_load_b128 v[204:207], v182 offset:10592
	s_wait_dscnt 0x0
	v_mul_f64_e32 v[4:5], v[20:21], v[206:207]
	v_mul_f64_e32 v[42:43], v[18:19], v[206:207]
	s_delay_alu instid0(VALU_DEP_2) | instskip(NEXT) | instid1(VALU_DEP_2)
	v_fma_f64 v[4:5], v[18:19], v[204:205], -v[4:5]
	v_fmac_f64_e32 v[42:43], v[20:21], v[204:205]
	s_delay_alu instid0(VALU_DEP_2) | instskip(NEXT) | instid1(VALU_DEP_2)
	v_add_f64_e32 v[18:19], 0, v[4:5]
	v_add_f64_e32 v[20:21], 0, v[42:43]
	s_and_saveexec_b32 s38, s8
	s_cbranch_execz .LBB81_329
; %bb.328:                              ;   in Loop: Header=BB81_3 Depth=1
	ds_load_b128 v[204:207], v2 offset:10576
	ds_load_b128 v[208:211], v71 offset:11104
	s_wait_dscnt 0x0
	v_mul_f64_e32 v[4:5], v[206:207], v[210:211]
	v_mul_f64_e32 v[42:43], v[204:205], v[210:211]
	s_delay_alu instid0(VALU_DEP_2) | instskip(NEXT) | instid1(VALU_DEP_2)
	v_fma_f64 v[4:5], v[204:205], v[208:209], -v[4:5]
	v_fmac_f64_e32 v[42:43], v[206:207], v[208:209]
	s_delay_alu instid0(VALU_DEP_2) | instskip(NEXT) | instid1(VALU_DEP_2)
	v_add_f64_e32 v[18:19], v[18:19], v[4:5]
	v_add_f64_e32 v[20:21], v[20:21], v[42:43]
.LBB81_329:                             ;   in Loop: Header=BB81_3 Depth=1
	s_or_b32 exec_lo, exec_lo, s38
	s_delay_alu instid0(VALU_DEP_2) | instskip(NEXT) | instid1(VALU_DEP_2)
	v_xor_b32_e32 v19, 0x80000000, v19
	v_xor_b32_e32 v21, 0x80000000, v21
.LBB81_330:                             ;   in Loop: Header=BB81_3 Depth=1
	s_or_b32 exec_lo, exec_lo, s36
	s_and_saveexec_b32 s36, s65
; %bb.331:                              ;   in Loop: Header=BB81_3 Depth=1
	ds_store_b128 v27, v[18:21]
; %bb.332:                              ;   in Loop: Header=BB81_3 Depth=1
	s_or_b32 exec_lo, exec_lo, s36
	s_wait_dscnt 0x0
	s_barrier_signal -1
	s_barrier_wait -1
	s_and_saveexec_b32 s36, s66
	s_cbranch_execz .LBB81_334
; %bb.333:                              ;   in Loop: Header=BB81_3 Depth=1
	ds_load_b128 v[204:207], v27
	ds_load_b128 v[208:211], v2 offset:11632
	s_wait_dscnt 0x0
	v_mul_f64_e32 v[4:5], v[206:207], v[210:211]
	v_mul_f64_e32 v[42:43], v[204:205], v[210:211]
	s_delay_alu instid0(VALU_DEP_2) | instskip(NEXT) | instid1(VALU_DEP_2)
	v_fma_f64 v[4:5], v[204:205], v[208:209], -v[4:5]
	v_fmac_f64_e32 v[42:43], v[206:207], v[208:209]
	s_delay_alu instid0(VALU_DEP_2) | instskip(NEXT) | instid1(VALU_DEP_2)
	v_add_f64_e32 v[18:19], v[18:19], v[4:5]
	v_add_f64_e32 v[20:21], v[20:21], v[42:43]
.LBB81_334:                             ;   in Loop: Header=BB81_3 Depth=1
	s_or_b32 exec_lo, exec_lo, s36
	s_barrier_signal -1
	s_barrier_wait -1
	s_and_saveexec_b32 s36, s66
; %bb.335:                              ;   in Loop: Header=BB81_3 Depth=1
	ds_store_b128 v27, v[18:21]
; %bb.336:                              ;   in Loop: Header=BB81_3 Depth=1
	s_or_b32 exec_lo, exec_lo, s36
	s_wait_dscnt 0x0
	s_barrier_signal -1
	s_barrier_wait -1
	s_barrier_signal -1
	s_barrier_wait -1
	s_and_saveexec_b32 s36, s0
; %bb.337:                              ;   in Loop: Header=BB81_3 Depth=1
	v_xor_b32_e32 v19, 0x80000000, v19
	v_xor_b32_e32 v21, 0x80000000, v21
	ds_store_b128 v182, v[18:21] offset:10592
; %bb.338:                              ;   in Loop: Header=BB81_3 Depth=1
	s_or_b32 exec_lo, exec_lo, s36
	s_wait_dscnt 0x0
	s_barrier_signal -1
	s_barrier_wait -1
	s_barrier_signal -1
	s_barrier_wait -1
	s_and_saveexec_b32 s36, s67
	s_cbranch_execz .LBB81_340
; %bb.339:                              ;   in Loop: Header=BB81_3 Depth=1
	ds_load_b128 v[18:21], v87
	s_wait_dscnt 0x0
	ds_store_b128 v161, v[18:21]
	ds_load_b128 v[18:21], v88
	s_wait_dscnt 0x0
	ds_store_b128 v162, v[18:21]
.LBB81_340:                             ;   in Loop: Header=BB81_3 Depth=1
	s_or_b32 exec_lo, exec_lo, s36
	s_wait_dscnt 0x0
	s_barrier_signal -1
	s_barrier_wait -1
	s_and_saveexec_b32 s58, s27
	s_cbranch_execz .LBB81_342
; %bb.341:                              ;   in Loop: Header=BB81_3 Depth=1
	s_mov_b32 s36, s35
	s_mov_b32 s38, s35
	s_mov_b32 s39, s35
	v_mov_b64_e32 v[18:19], s[36:37]
	v_mov_b64_e32 v[20:21], s[38:39]
	ds_store_b128 v2, v[18:21] offset:11616
	ds_store_b128 v2, v[18:21] offset:12144
	ds_load_b128 v[18:21], v2 offset:11632
	s_wait_dscnt 0x0
	ds_store_b128 v2, v[18:21] offset:12128
.LBB81_342:                             ;   in Loop: Header=BB81_3 Depth=1
	s_or_b32 exec_lo, exec_lo, s58
	v_mov_b64_e32 v[20:21], 0
	v_mov_b64_e32 v[18:19], 0
	s_wait_dscnt 0x0
	s_barrier_signal -1
	s_barrier_wait -1
	s_and_saveexec_b32 s36, s3
	s_cbranch_execz .LBB81_352
; %bb.343:                              ;   in Loop: Header=BB81_3 Depth=1
	ds_load_b128 v[18:21], v46 offset:8448
	ds_load_b128 v[204:207], v189 offset:8576
	s_wait_dscnt 0x0
	v_mul_f64_e32 v[4:5], v[20:21], v[206:207]
	v_mul_f64_e32 v[42:43], v[18:19], v[206:207]
	s_delay_alu instid0(VALU_DEP_2) | instskip(NEXT) | instid1(VALU_DEP_2)
	v_fma_f64 v[4:5], v[18:19], v[204:205], -v[4:5]
	v_fmac_f64_e32 v[42:43], v[20:21], v[204:205]
	s_delay_alu instid0(VALU_DEP_2) | instskip(NEXT) | instid1(VALU_DEP_2)
	v_add_f64_e32 v[18:19], 0, v[4:5]
	v_add_f64_e32 v[20:21], 0, v[42:43]
	s_and_saveexec_b32 s38, s11
	s_cbranch_execnz .LBB81_534
; %bb.344:                              ;   in Loop: Header=BB81_3 Depth=1
	s_or_b32 exec_lo, exec_lo, s38
	s_and_saveexec_b32 s38, s12
	s_cbranch_execnz .LBB81_535
.LBB81_345:                             ;   in Loop: Header=BB81_3 Depth=1
	s_or_b32 exec_lo, exec_lo, s38
	s_and_saveexec_b32 s38, s13
	s_cbranch_execnz .LBB81_536
.LBB81_346:                             ;   in Loop: Header=BB81_3 Depth=1
	s_or_b32 exec_lo, exec_lo, s38
	s_and_saveexec_b32 s38, s14
	s_cbranch_execnz .LBB81_537
.LBB81_347:                             ;   in Loop: Header=BB81_3 Depth=1
	s_or_b32 exec_lo, exec_lo, s38
	s_and_saveexec_b32 s38, s15
	s_cbranch_execnz .LBB81_538
.LBB81_348:                             ;   in Loop: Header=BB81_3 Depth=1
	s_or_b32 exec_lo, exec_lo, s38
	s_and_saveexec_b32 s38, s2
	s_cbranch_execnz .LBB81_539
.LBB81_349:                             ;   in Loop: Header=BB81_3 Depth=1
	s_or_b32 exec_lo, exec_lo, s38
	s_and_saveexec_b32 s38, s10
	s_cbranch_execz .LBB81_351
.LBB81_350:                             ;   in Loop: Header=BB81_3 Depth=1
	ds_load_b128 v[204:207], v2 offset:8560
	ds_load_b128 v[208:211], v25 offset:12160
	s_wait_dscnt 0x0
	v_mul_f64_e32 v[4:5], v[206:207], v[210:211]
	v_mul_f64_e32 v[42:43], v[204:205], v[210:211]
	s_delay_alu instid0(VALU_DEP_2) | instskip(NEXT) | instid1(VALU_DEP_2)
	v_fma_f64 v[4:5], v[204:205], v[208:209], -v[4:5]
	v_fmac_f64_e32 v[42:43], v[206:207], v[208:209]
	s_delay_alu instid0(VALU_DEP_2) | instskip(NEXT) | instid1(VALU_DEP_2)
	v_add_f64_e32 v[18:19], v[18:19], v[4:5]
	v_add_f64_e32 v[20:21], v[20:21], v[42:43]
.LBB81_351:                             ;   in Loop: Header=BB81_3 Depth=1
	s_or_b32 exec_lo, exec_lo, s38
	s_delay_alu instid0(VALU_DEP_2) | instskip(NEXT) | instid1(VALU_DEP_2)
	v_xor_b32_e32 v19, 0x80000000, v19
	v_xor_b32_e32 v21, 0x80000000, v21
.LBB81_352:                             ;   in Loop: Header=BB81_3 Depth=1
	s_or_b32 exec_lo, exec_lo, s36
	s_and_saveexec_b32 s36, s75
; %bb.353:                              ;   in Loop: Header=BB81_3 Depth=1
	ds_store_b128 v188, v[18:21]
; %bb.354:                              ;   in Loop: Header=BB81_3 Depth=1
	s_or_b32 exec_lo, exec_lo, s36
	s_wait_dscnt 0x0
	s_barrier_signal -1
	s_barrier_wait -1
	s_and_saveexec_b32 s36, s76
	s_cbranch_execz .LBB81_356
; %bb.355:                              ;   in Loop: Header=BB81_3 Depth=1
	ds_load_b128 v[204:207], v188
	ds_load_b128 v[208:211], v184 offset:12672
	s_wait_dscnt 0x0
	v_mul_f64_e32 v[4:5], v[206:207], v[210:211]
	v_mul_f64_e32 v[42:43], v[204:205], v[210:211]
	s_delay_alu instid0(VALU_DEP_2) | instskip(NEXT) | instid1(VALU_DEP_2)
	v_fma_f64 v[4:5], v[204:205], v[208:209], -v[4:5]
	v_fmac_f64_e32 v[42:43], v[206:207], v[208:209]
	s_delay_alu instid0(VALU_DEP_2) | instskip(NEXT) | instid1(VALU_DEP_2)
	v_add_f64_e32 v[18:19], v[18:19], v[4:5]
	v_add_f64_e32 v[20:21], v[20:21], v[42:43]
.LBB81_356:                             ;   in Loop: Header=BB81_3 Depth=1
	s_or_b32 exec_lo, exec_lo, s36
	s_barrier_signal -1
	s_barrier_wait -1
	s_and_saveexec_b32 s36, s77
; %bb.357:                              ;   in Loop: Header=BB81_3 Depth=1
	ds_store_b128 v188, v[18:21]
; %bb.358:                              ;   in Loop: Header=BB81_3 Depth=1
	s_or_b32 exec_lo, exec_lo, s36
	s_wait_dscnt 0x0
	s_barrier_signal -1
	s_barrier_wait -1
	s_and_saveexec_b32 s36, s78
	s_cbranch_execz .LBB81_360
; %bb.359:                              ;   in Loop: Header=BB81_3 Depth=1
	ds_load_b128 v[204:207], v188
	ds_load_b128 v[208:211], v184 offset:13184
	s_wait_dscnt 0x0
	v_mul_f64_e32 v[4:5], v[206:207], v[210:211]
	v_mul_f64_e32 v[42:43], v[204:205], v[210:211]
	s_delay_alu instid0(VALU_DEP_2) | instskip(NEXT) | instid1(VALU_DEP_2)
	v_fma_f64 v[4:5], v[204:205], v[208:209], -v[4:5]
	v_fmac_f64_e32 v[42:43], v[206:207], v[208:209]
	s_delay_alu instid0(VALU_DEP_2) | instskip(NEXT) | instid1(VALU_DEP_2)
	v_add_f64_e32 v[18:19], v[18:19], v[4:5]
	v_add_f64_e32 v[20:21], v[20:21], v[42:43]
.LBB81_360:                             ;   in Loop: Header=BB81_3 Depth=1
	s_or_b32 exec_lo, exec_lo, s36
	s_barrier_signal -1
	s_barrier_wait -1
	;; [unrolled: 26-line block ×7, first 2 shown]
	s_and_saveexec_b32 s36, s88
; %bb.381:                              ;   in Loop: Header=BB81_3 Depth=1
	ds_store_b128 v188, v[18:21]
; %bb.382:                              ;   in Loop: Header=BB81_3 Depth=1
	s_or_b32 exec_lo, exec_lo, s36
	s_wait_dscnt 0x0
	s_barrier_signal -1
	s_barrier_wait -1
	s_barrier_signal -1
	s_barrier_wait -1
	s_and_saveexec_b32 s36, s3
; %bb.383:                              ;   in Loop: Header=BB81_3 Depth=1
	v_xor_b32_e32 v19, 0x80000000, v19
	v_xor_b32_e32 v21, 0x80000000, v21
	ds_store_b128 v189, v[18:21] offset:8576
; %bb.384:                              ;   in Loop: Header=BB81_3 Depth=1
	s_or_b32 exec_lo, exec_lo, s36
	s_wait_dscnt 0x0
	s_barrier_signal -1
	s_barrier_wait -1
	s_barrier_signal -1
	s_barrier_wait -1
	s_and_saveexec_b32 s36, s89
	s_cbranch_execz .LBB81_386
; %bb.385:                              ;   in Loop: Header=BB81_3 Depth=1
	ds_load_b128 v[18:21], v62
	s_wait_dscnt 0x0
	ds_store_b128 v163, v[18:21]
	ds_load_b128 v[18:21], v63
	s_wait_dscnt 0x0
	ds_store_b128 v164, v[18:21]
	;; [unrolled: 3-line block ×8, first 2 shown]
.LBB81_386:                             ;   in Loop: Header=BB81_3 Depth=1
	s_or_b32 exec_lo, exec_lo, s36
	s_wait_dscnt 0x0
	s_barrier_signal -1
	s_barrier_wait -1
	s_and_saveexec_b32 s58, s27
	s_cbranch_execz .LBB81_388
; %bb.387:                              ;   in Loop: Header=BB81_3 Depth=1
	s_mov_b32 s36, s35
	s_mov_b32 s38, s35
	;; [unrolled: 1-line block ×3, first 2 shown]
	v_mov_b64_e32 v[18:19], s[36:37]
	v_mov_b64_e32 v[20:21], s[38:39]
	ds_store_b128 v2, v[18:21] offset:12672
	ds_store_b128 v2, v[18:21] offset:13200
	ds_load_b128 v[18:21], v2 offset:12688
	s_wait_dscnt 0x0
	ds_store_b128 v2, v[18:21] offset:13184
.LBB81_388:                             ;   in Loop: Header=BB81_3 Depth=1
	s_or_b32 exec_lo, exec_lo, s58
	v_mov_b64_e32 v[20:21], 0
	v_mov_b64_e32 v[18:19], 0
	s_wait_dscnt 0x0
	s_barrier_signal -1
	s_barrier_wait -1
	s_and_saveexec_b32 s36, s0
	s_cbranch_execz .LBB81_392
; %bb.389:                              ;   in Loop: Header=BB81_3 Depth=1
	ds_load_b128 v[18:21], v183 offset:12672
	ds_load_b128 v[204:207], v182 offset:12704
	s_wait_dscnt 0x0
	v_mul_f64_e32 v[4:5], v[20:21], v[206:207]
	v_mul_f64_e32 v[42:43], v[18:19], v[206:207]
	s_delay_alu instid0(VALU_DEP_2) | instskip(NEXT) | instid1(VALU_DEP_2)
	v_fma_f64 v[4:5], v[18:19], v[204:205], -v[4:5]
	v_fmac_f64_e32 v[42:43], v[20:21], v[204:205]
	s_delay_alu instid0(VALU_DEP_2) | instskip(NEXT) | instid1(VALU_DEP_2)
	v_add_f64_e32 v[18:19], 0, v[4:5]
	v_add_f64_e32 v[20:21], 0, v[42:43]
	s_and_saveexec_b32 s38, s8
	s_cbranch_execz .LBB81_391
; %bb.390:                              ;   in Loop: Header=BB81_3 Depth=1
	ds_load_b128 v[204:207], v2 offset:12688
	ds_load_b128 v[208:211], v44 offset:13216
	s_wait_dscnt 0x0
	v_mul_f64_e32 v[4:5], v[206:207], v[210:211]
	v_mul_f64_e32 v[42:43], v[204:205], v[210:211]
	s_delay_alu instid0(VALU_DEP_2) | instskip(NEXT) | instid1(VALU_DEP_2)
	v_fma_f64 v[4:5], v[204:205], v[208:209], -v[4:5]
	v_fmac_f64_e32 v[42:43], v[206:207], v[208:209]
	s_delay_alu instid0(VALU_DEP_2) | instskip(NEXT) | instid1(VALU_DEP_2)
	v_add_f64_e32 v[18:19], v[18:19], v[4:5]
	v_add_f64_e32 v[20:21], v[20:21], v[42:43]
.LBB81_391:                             ;   in Loop: Header=BB81_3 Depth=1
	s_or_b32 exec_lo, exec_lo, s38
	s_delay_alu instid0(VALU_DEP_2) | instskip(NEXT) | instid1(VALU_DEP_2)
	v_xor_b32_e32 v19, 0x80000000, v19
	v_xor_b32_e32 v21, 0x80000000, v21
.LBB81_392:                             ;   in Loop: Header=BB81_3 Depth=1
	s_or_b32 exec_lo, exec_lo, s36
	s_and_saveexec_b32 s36, s65
; %bb.393:                              ;   in Loop: Header=BB81_3 Depth=1
	ds_store_b128 v27, v[18:21]
; %bb.394:                              ;   in Loop: Header=BB81_3 Depth=1
	s_or_b32 exec_lo, exec_lo, s36
	s_wait_dscnt 0x0
	s_barrier_signal -1
	s_barrier_wait -1
	s_and_saveexec_b32 s36, s66
	s_cbranch_execz .LBB81_396
; %bb.395:                              ;   in Loop: Header=BB81_3 Depth=1
	ds_load_b128 v[204:207], v27
	ds_load_b128 v[208:211], v2 offset:13744
	s_wait_dscnt 0x0
	v_mul_f64_e32 v[4:5], v[206:207], v[210:211]
	v_mul_f64_e32 v[42:43], v[204:205], v[210:211]
	s_delay_alu instid0(VALU_DEP_2) | instskip(NEXT) | instid1(VALU_DEP_2)
	v_fma_f64 v[4:5], v[204:205], v[208:209], -v[4:5]
	v_fmac_f64_e32 v[42:43], v[206:207], v[208:209]
	s_delay_alu instid0(VALU_DEP_2) | instskip(NEXT) | instid1(VALU_DEP_2)
	v_add_f64_e32 v[18:19], v[18:19], v[4:5]
	v_add_f64_e32 v[20:21], v[20:21], v[42:43]
.LBB81_396:                             ;   in Loop: Header=BB81_3 Depth=1
	s_or_b32 exec_lo, exec_lo, s36
	s_barrier_signal -1
	s_barrier_wait -1
	s_and_saveexec_b32 s36, s66
; %bb.397:                              ;   in Loop: Header=BB81_3 Depth=1
	ds_store_b128 v27, v[18:21]
; %bb.398:                              ;   in Loop: Header=BB81_3 Depth=1
	s_or_b32 exec_lo, exec_lo, s36
	s_wait_dscnt 0x0
	s_barrier_signal -1
	s_barrier_wait -1
	s_barrier_signal -1
	s_barrier_wait -1
	s_and_saveexec_b32 s36, s0
; %bb.399:                              ;   in Loop: Header=BB81_3 Depth=1
	v_xor_b32_e32 v19, 0x80000000, v19
	v_xor_b32_e32 v21, 0x80000000, v21
	ds_store_b128 v182, v[18:21] offset:12704
; %bb.400:                              ;   in Loop: Header=BB81_3 Depth=1
	s_or_b32 exec_lo, exec_lo, s36
	s_wait_dscnt 0x0
	s_barrier_signal -1
	s_barrier_wait -1
	s_barrier_signal -1
	s_barrier_wait -1
	s_and_saveexec_b32 s36, s67
	s_cbranch_execz .LBB81_402
; %bb.401:                              ;   in Loop: Header=BB81_3 Depth=1
	ds_load_b128 v[18:21], v79
	s_wait_dscnt 0x0
	ds_store_b128 v171, v[18:21]
	ds_load_b128 v[18:21], v192
	s_wait_dscnt 0x0
	ds_store_b128 v172, v[18:21]
.LBB81_402:                             ;   in Loop: Header=BB81_3 Depth=1
	s_or_b32 exec_lo, exec_lo, s36
	s_wait_dscnt 0x0
	s_barrier_signal -1
	s_barrier_wait -1
	s_and_saveexec_b32 s58, s27
	s_cbranch_execz .LBB81_404
; %bb.403:                              ;   in Loop: Header=BB81_3 Depth=1
	s_mov_b32 s36, s35
	s_mov_b32 s38, s35
	s_mov_b32 s39, s35
	v_mov_b64_e32 v[18:19], s[36:37]
	v_mov_b64_e32 v[20:21], s[38:39]
	ds_store_b128 v2, v[18:21] offset:13728
	ds_store_b128 v2, v[18:21] offset:14256
	ds_load_b128 v[18:21], v2 offset:13744
	s_wait_dscnt 0x0
	ds_store_b128 v2, v[18:21] offset:14240
.LBB81_404:                             ;   in Loop: Header=BB81_3 Depth=1
	s_or_b32 exec_lo, exec_lo, s58
	v_mov_b64_e32 v[20:21], 0
	v_mov_b64_e32 v[18:19], 0
	s_wait_dscnt 0x0
	s_barrier_signal -1
	s_barrier_wait -1
	s_and_saveexec_b32 s36, s2
	s_cbranch_execz .LBB81_410
; %bb.405:                              ;   in Loop: Header=BB81_3 Depth=1
	ds_load_b128 v[18:21], v45 offset:12672
	ds_load_b128 v[204:207], v186 offset:12736
	s_wait_dscnt 0x0
	v_mul_f64_e32 v[4:5], v[20:21], v[206:207]
	v_mul_f64_e32 v[42:43], v[18:19], v[206:207]
	s_delay_alu instid0(VALU_DEP_2) | instskip(NEXT) | instid1(VALU_DEP_2)
	v_fma_f64 v[4:5], v[18:19], v[204:205], -v[4:5]
	v_fmac_f64_e32 v[42:43], v[20:21], v[204:205]
	s_delay_alu instid0(VALU_DEP_2) | instskip(NEXT) | instid1(VALU_DEP_2)
	v_add_f64_e32 v[18:19], 0, v[4:5]
	v_add_f64_e32 v[20:21], 0, v[42:43]
	s_and_saveexec_b32 s38, s9
	s_cbranch_execnz .LBB81_540
; %bb.406:                              ;   in Loop: Header=BB81_3 Depth=1
	s_or_b32 exec_lo, exec_lo, s38
	s_and_saveexec_b32 s38, s10
	s_cbranch_execnz .LBB81_541
.LBB81_407:                             ;   in Loop: Header=BB81_3 Depth=1
	s_or_b32 exec_lo, exec_lo, s38
	s_and_saveexec_b32 s38, s0
	s_cbranch_execz .LBB81_409
.LBB81_408:                             ;   in Loop: Header=BB81_3 Depth=1
	ds_load_b128 v[204:207], v2 offset:12720
	ds_load_b128 v[208:211], v71 offset:14272
	s_wait_dscnt 0x0
	v_mul_f64_e32 v[4:5], v[206:207], v[210:211]
	v_mul_f64_e32 v[42:43], v[204:205], v[210:211]
	s_delay_alu instid0(VALU_DEP_2) | instskip(NEXT) | instid1(VALU_DEP_2)
	v_fma_f64 v[4:5], v[204:205], v[208:209], -v[4:5]
	v_fmac_f64_e32 v[42:43], v[206:207], v[208:209]
	s_delay_alu instid0(VALU_DEP_2) | instskip(NEXT) | instid1(VALU_DEP_2)
	v_add_f64_e32 v[18:19], v[18:19], v[4:5]
	v_add_f64_e32 v[20:21], v[20:21], v[42:43]
.LBB81_409:                             ;   in Loop: Header=BB81_3 Depth=1
	s_or_b32 exec_lo, exec_lo, s38
	s_delay_alu instid0(VALU_DEP_2) | instskip(NEXT) | instid1(VALU_DEP_2)
	v_xor_b32_e32 v19, 0x80000000, v19
	v_xor_b32_e32 v21, 0x80000000, v21
.LBB81_410:                             ;   in Loop: Header=BB81_3 Depth=1
	s_or_b32 exec_lo, exec_lo, s36
	s_and_saveexec_b32 s36, s68
; %bb.411:                              ;   in Loop: Header=BB81_3 Depth=1
	ds_store_b128 v185, v[18:21]
; %bb.412:                              ;   in Loop: Header=BB81_3 Depth=1
	s_or_b32 exec_lo, exec_lo, s36
	s_wait_dscnt 0x0
	s_barrier_signal -1
	s_barrier_wait -1
	s_and_saveexec_b32 s36, s69
	s_cbranch_execz .LBB81_414
; %bb.413:                              ;   in Loop: Header=BB81_3 Depth=1
	ds_load_b128 v[204:207], v185
	ds_load_b128 v[208:211], v181 offset:14784
	s_wait_dscnt 0x0
	v_mul_f64_e32 v[4:5], v[206:207], v[210:211]
	v_mul_f64_e32 v[42:43], v[204:205], v[210:211]
	s_delay_alu instid0(VALU_DEP_2) | instskip(NEXT) | instid1(VALU_DEP_2)
	v_fma_f64 v[4:5], v[204:205], v[208:209], -v[4:5]
	v_fmac_f64_e32 v[42:43], v[206:207], v[208:209]
	s_delay_alu instid0(VALU_DEP_2) | instskip(NEXT) | instid1(VALU_DEP_2)
	v_add_f64_e32 v[18:19], v[18:19], v[4:5]
	v_add_f64_e32 v[20:21], v[20:21], v[42:43]
.LBB81_414:                             ;   in Loop: Header=BB81_3 Depth=1
	s_or_b32 exec_lo, exec_lo, s36
	s_barrier_signal -1
	s_barrier_wait -1
	s_and_saveexec_b32 s36, s70
; %bb.415:                              ;   in Loop: Header=BB81_3 Depth=1
	ds_store_b128 v185, v[18:21]
; %bb.416:                              ;   in Loop: Header=BB81_3 Depth=1
	s_or_b32 exec_lo, exec_lo, s36
	s_wait_dscnt 0x0
	s_barrier_signal -1
	s_barrier_wait -1
	s_and_saveexec_b32 s36, s71
	s_cbranch_execz .LBB81_418
; %bb.417:                              ;   in Loop: Header=BB81_3 Depth=1
	ds_load_b128 v[204:207], v185
	ds_load_b128 v[208:211], v181 offset:15296
	s_wait_dscnt 0x0
	v_mul_f64_e32 v[4:5], v[206:207], v[210:211]
	v_mul_f64_e32 v[42:43], v[204:205], v[210:211]
	s_delay_alu instid0(VALU_DEP_2) | instskip(NEXT) | instid1(VALU_DEP_2)
	v_fma_f64 v[4:5], v[204:205], v[208:209], -v[4:5]
	v_fmac_f64_e32 v[42:43], v[206:207], v[208:209]
	s_delay_alu instid0(VALU_DEP_2) | instskip(NEXT) | instid1(VALU_DEP_2)
	v_add_f64_e32 v[18:19], v[18:19], v[4:5]
	v_add_f64_e32 v[20:21], v[20:21], v[42:43]
.LBB81_418:                             ;   in Loop: Header=BB81_3 Depth=1
	s_or_b32 exec_lo, exec_lo, s36
	s_barrier_signal -1
	s_barrier_wait -1
	;; [unrolled: 26-line block ×3, first 2 shown]
	s_and_saveexec_b32 s36, s73
; %bb.423:                              ;   in Loop: Header=BB81_3 Depth=1
	ds_store_b128 v185, v[18:21]
; %bb.424:                              ;   in Loop: Header=BB81_3 Depth=1
	s_or_b32 exec_lo, exec_lo, s36
	s_wait_dscnt 0x0
	s_barrier_signal -1
	s_barrier_wait -1
	s_barrier_signal -1
	s_barrier_wait -1
	s_and_saveexec_b32 s36, s2
; %bb.425:                              ;   in Loop: Header=BB81_3 Depth=1
	v_xor_b32_e32 v21, 0x80000000, v21
	v_xor_b32_e32 v19, 0x80000000, v19
	ds_store_b128 v186, v[18:21] offset:12736
; %bb.426:                              ;   in Loop: Header=BB81_3 Depth=1
	s_or_b32 exec_lo, exec_lo, s36
	s_wait_dscnt 0x0
	s_barrier_signal -1
	s_barrier_wait -1
	s_barrier_signal -1
	s_barrier_wait -1
	s_and_saveexec_b32 s36, s74
	s_cbranch_execz .LBB81_428
; %bb.427:                              ;   in Loop: Header=BB81_3 Depth=1
	ds_load_b128 v[18:21], v89
	s_wait_dscnt 0x0
	ds_store_b128 v173, v[18:21]
	ds_load_b128 v[18:21], v193
	s_wait_dscnt 0x0
	ds_store_b128 v176, v[18:21]
	;; [unrolled: 3-line block ×4, first 2 shown]
.LBB81_428:                             ;   in Loop: Header=BB81_3 Depth=1
	s_or_b32 exec_lo, exec_lo, s36
	s_wait_dscnt 0x0
	s_barrier_signal -1
	s_barrier_wait -1
	s_and_saveexec_b32 s58, s27
	s_cbranch_execz .LBB81_430
; %bb.429:                              ;   in Loop: Header=BB81_3 Depth=1
	s_mov_b32 s36, s35
	s_mov_b32 s38, s35
	;; [unrolled: 1-line block ×3, first 2 shown]
	v_mov_b64_e32 v[18:19], s[36:37]
	v_mov_b64_e32 v[20:21], s[38:39]
	ds_store_b128 v2, v[18:21] offset:14784
	ds_store_b128 v2, v[18:21] offset:15312
	ds_load_b128 v[18:21], v2 offset:14800
	s_wait_dscnt 0x0
	ds_store_b128 v2, v[18:21] offset:15296
.LBB81_430:                             ;   in Loop: Header=BB81_3 Depth=1
	s_or_b32 exec_lo, exec_lo, s58
	v_mov_b64_e32 v[20:21], 0
	v_mov_b64_e32 v[18:19], 0
	s_wait_dscnt 0x0
	s_barrier_signal -1
	s_barrier_wait -1
	s_and_saveexec_b32 s36, s0
	s_cbranch_execz .LBB81_434
; %bb.431:                              ;   in Loop: Header=BB81_3 Depth=1
	ds_load_b128 v[18:21], v183 offset:14784
	ds_load_b128 v[204:207], v182 offset:14816
	s_wait_dscnt 0x0
	v_mul_f64_e32 v[4:5], v[20:21], v[206:207]
	v_mul_f64_e32 v[42:43], v[18:19], v[206:207]
	s_delay_alu instid0(VALU_DEP_2) | instskip(NEXT) | instid1(VALU_DEP_2)
	v_fma_f64 v[4:5], v[18:19], v[204:205], -v[4:5]
	v_fmac_f64_e32 v[42:43], v[20:21], v[204:205]
	s_delay_alu instid0(VALU_DEP_2) | instskip(NEXT) | instid1(VALU_DEP_2)
	v_add_f64_e32 v[18:19], 0, v[4:5]
	v_add_f64_e32 v[20:21], 0, v[42:43]
	s_and_saveexec_b32 s38, s8
	s_cbranch_execz .LBB81_433
; %bb.432:                              ;   in Loop: Header=BB81_3 Depth=1
	ds_load_b128 v[204:207], v2 offset:14800
	ds_load_b128 v[208:211], v82 offset:15328
	s_wait_dscnt 0x0
	v_mul_f64_e32 v[4:5], v[206:207], v[210:211]
	v_mul_f64_e32 v[42:43], v[204:205], v[210:211]
	s_delay_alu instid0(VALU_DEP_2) | instskip(NEXT) | instid1(VALU_DEP_2)
	v_fma_f64 v[4:5], v[204:205], v[208:209], -v[4:5]
	v_fmac_f64_e32 v[42:43], v[206:207], v[208:209]
	s_delay_alu instid0(VALU_DEP_2) | instskip(NEXT) | instid1(VALU_DEP_2)
	v_add_f64_e32 v[18:19], v[18:19], v[4:5]
	v_add_f64_e32 v[20:21], v[20:21], v[42:43]
.LBB81_433:                             ;   in Loop: Header=BB81_3 Depth=1
	s_or_b32 exec_lo, exec_lo, s38
	s_delay_alu instid0(VALU_DEP_2) | instskip(NEXT) | instid1(VALU_DEP_2)
	v_xor_b32_e32 v19, 0x80000000, v19
	v_xor_b32_e32 v21, 0x80000000, v21
.LBB81_434:                             ;   in Loop: Header=BB81_3 Depth=1
	s_or_b32 exec_lo, exec_lo, s36
	s_and_saveexec_b32 s36, s65
; %bb.435:                              ;   in Loop: Header=BB81_3 Depth=1
	ds_store_b128 v27, v[18:21]
; %bb.436:                              ;   in Loop: Header=BB81_3 Depth=1
	s_or_b32 exec_lo, exec_lo, s36
	s_wait_dscnt 0x0
	s_barrier_signal -1
	s_barrier_wait -1
	s_and_saveexec_b32 s36, s66
	s_cbranch_execz .LBB81_438
; %bb.437:                              ;   in Loop: Header=BB81_3 Depth=1
	ds_load_b128 v[204:207], v27
	ds_load_b128 v[208:211], v2 offset:15856
	s_wait_dscnt 0x0
	v_mul_f64_e32 v[4:5], v[206:207], v[210:211]
	v_mul_f64_e32 v[42:43], v[204:205], v[210:211]
	s_delay_alu instid0(VALU_DEP_2) | instskip(NEXT) | instid1(VALU_DEP_2)
	v_fma_f64 v[4:5], v[204:205], v[208:209], -v[4:5]
	v_fmac_f64_e32 v[42:43], v[206:207], v[208:209]
	s_delay_alu instid0(VALU_DEP_2) | instskip(NEXT) | instid1(VALU_DEP_2)
	v_add_f64_e32 v[18:19], v[18:19], v[4:5]
	v_add_f64_e32 v[20:21], v[20:21], v[42:43]
.LBB81_438:                             ;   in Loop: Header=BB81_3 Depth=1
	s_or_b32 exec_lo, exec_lo, s36
	s_barrier_signal -1
	s_barrier_wait -1
	s_and_saveexec_b32 s36, s66
; %bb.439:                              ;   in Loop: Header=BB81_3 Depth=1
	ds_store_b128 v27, v[18:21]
; %bb.440:                              ;   in Loop: Header=BB81_3 Depth=1
	s_or_b32 exec_lo, exec_lo, s36
	s_wait_dscnt 0x0
	s_barrier_signal -1
	s_barrier_wait -1
	s_barrier_signal -1
	s_barrier_wait -1
	s_and_saveexec_b32 s36, s0
; %bb.441:                              ;   in Loop: Header=BB81_3 Depth=1
	v_xor_b32_e32 v19, 0x80000000, v19
	v_xor_b32_e32 v21, 0x80000000, v21
	ds_store_b128 v182, v[18:21] offset:14816
; %bb.442:                              ;   in Loop: Header=BB81_3 Depth=1
	s_or_b32 exec_lo, exec_lo, s36
	s_wait_dscnt 0x0
	s_barrier_signal -1
	s_barrier_wait -1
	s_barrier_signal -1
	s_barrier_wait -1
	s_and_saveexec_b32 s36, s67
	s_cbranch_execz .LBB81_444
; %bb.443:                              ;   in Loop: Header=BB81_3 Depth=1
	ds_load_b128 v[18:21], v94
	s_wait_dscnt 0x0
	ds_store_b128 v97, v[18:21]
	ds_load_b128 v[18:21], v194
	s_wait_dscnt 0x0
	ds_store_b128 v195, v[18:21]
.LBB81_444:                             ;   in Loop: Header=BB81_3 Depth=1
	s_or_b32 exec_lo, exec_lo, s36
	s_wait_dscnt 0x0
	s_barrier_signal -1
	s_barrier_wait -1
	s_and_saveexec_b32 s58, s27
	s_cbranch_execz .LBB81_446
; %bb.445:                              ;   in Loop: Header=BB81_3 Depth=1
	s_mov_b32 s36, s35
	s_mov_b32 s38, s35
	;; [unrolled: 1-line block ×3, first 2 shown]
	v_mov_b64_e32 v[18:19], s[36:37]
	v_mov_b64_e32 v[20:21], s[38:39]
	ds_store_b128 v2, v[18:21] offset:15840
	ds_store_b128 v2, v[18:21] offset:16368
	ds_load_b128 v[18:21], v2 offset:15856
	s_wait_dscnt 0x0
	ds_store_b128 v2, v[18:21] offset:16352
.LBB81_446:                             ;   in Loop: Header=BB81_3 Depth=1
	s_or_b32 exec_lo, exec_lo, s58
.LBB81_447:                             ;   in Loop: Header=BB81_3 Depth=1
	v_mov_b64_e32 v[18:19], 0
	s_mul_u64 s[38:39], s[52:53], s[34:35]
	s_wait_dscnt 0x0
	s_lshl_b64 s[38:39], s[38:39], 4
	s_barrier_signal -1
	s_add_nc_u64 s[38:39], s[46:47], s[38:39]
	s_barrier_wait -1
	v_mov_b64_e32 v[20:21], v[18:19]
	s_and_saveexec_b32 s36, s95
	s_cbranch_execz .LBB81_449
; %bb.448:                              ;   in Loop: Header=BB81_3 Depth=1
	v_lshl_add_u64 v[4:5], v[32:33], 4, s[38:39]
	global_load_b128 v[204:207], v[4:5], off
	s_wait_loadcnt 0x0
	v_mul_f64_e32 v[4:5], v[14:15], v[204:205]
	s_delay_alu instid0(VALU_DEP_1) | instskip(SKIP_1) | instid1(VALU_DEP_1)
	v_fma_f64 v[18:19], v[16:17], v[206:207], -v[4:5]
	v_mul_f64_e32 v[4:5], v[14:15], v[206:207]
	v_fma_f64 v[20:21], v[204:205], -v[16:17], -v[4:5]
.LBB81_449:                             ;   in Loop: Header=BB81_3 Depth=1
	s_or_b32 exec_lo, exec_lo, s36
	s_delay_alu instid0(SALU_CYCLE_1)
	s_and_not1_b32 vcc_lo, exec_lo, s96
	s_cbranch_vccnz .LBB81_472
; %bb.450:                              ;   in Loop: Header=BB81_3 Depth=1
	v_mov_b32_e32 v23, -1
	s_lshl_b64 s[58:59], s[34:35], 2
	s_mov_b32 s36, 0
	s_add_nc_u64 s[58:59], s[54:55], s[58:59]
	s_branch .LBB81_453
.LBB81_451:                             ;   in Loop: Header=BB81_453 Depth=2
	ds_load_b128 v[204:207], v113 offset:256
	s_wait_loadcnt_dscnt 0x0
	v_mul_f64_e32 v[4:5], v[16:17], v[206:207]
	v_mul_f64_e32 v[16:17], v[16:17], v[204:205]
	s_delay_alu instid0(VALU_DEP_2) | instskip(NEXT) | instid1(VALU_DEP_2)
	v_fmac_f64_e32 v[4:5], v[14:15], v[204:205]
	v_fma_f64 v[14:15], v[14:15], v[206:207], -v[16:17]
	s_delay_alu instid0(VALU_DEP_2) | instskip(NEXT) | instid1(VALU_DEP_2)
	v_add_f64_e32 v[18:19], v[18:19], v[4:5]
	v_add_f64_e32 v[20:21], v[20:21], v[14:15]
.LBB81_452:                             ;   in Loop: Header=BB81_453 Depth=2
	s_or_b32 exec_lo, exec_lo, s102
	s_add_co_i32 s36, s36, 1
	s_delay_alu instid0(SALU_CYCLE_1)
	s_cmp_eq_u32 s36, s60
	s_cbranch_scc1 .LBB81_472
.LBB81_453:                             ;   Parent Loop BB81_3 Depth=1
                                        ; =>  This Loop Header: Depth=2
                                        ;       Child Loop BB81_455 Depth 3
	v_cmp_gt_i32_e32 vcc_lo, s36, v23
	s_and_b32 s103, s30, vcc_lo
	s_delay_alu instid0(SALU_CYCLE_1)
	s_and_saveexec_b32 s102, s103
	s_cbranch_execz .LBB81_456
; %bb.454:                              ;   in Loop: Header=BB81_453 Depth=2
	global_load_b32 v23, v2, s[58:59]
	s_wait_loadcnt 0x0
	v_cmp_le_i32_e32 vcc_lo, s36, v23
	s_cbranch_vccnz .LBB81_456
.LBB81_455:                             ;   Parent Loop BB81_3 Depth=1
                                        ;     Parent Loop BB81_453 Depth=2
                                        ; =>    This Inner Loop Header: Depth=3
	global_wb scope:SCOPE_DEV
	s_wait_storecnt 0x0
	global_inv scope:SCOPE_DEV
	global_load_b32 v23, v2, s[58:59]
	s_wait_loadcnt 0x0
	v_cmp_gt_i32_e32 vcc_lo, s36, v23
	s_cbranch_vccnz .LBB81_455
.LBB81_456:                             ;   in Loop: Header=BB81_453 Depth=2
	s_or_b32 exec_lo, exec_lo, s102
	s_sub_co_i32 s102, s61, s36
	global_wb scope:SCOPE_DEV
	s_wait_storecnt 0x0
	global_inv scope:SCOPE_DEV
	s_lshl_b32 s103, s102, 5
	s_wait_loadcnt 0x0
	s_barrier_signal -1
	s_barrier_wait -1
	s_and_saveexec_b32 s104, s31
	s_cbranch_execz .LBB81_461
; %bb.457:                              ;   in Loop: Header=BB81_453 Depth=2
	s_ashr_i32 vcc_lo, s103, 31
	s_delay_alu instid0(SALU_CYCLE_1) | instskip(NEXT) | instid1(VALU_DEP_1)
	v_dual_mov_b32 v5, vcc_lo :: v_dual_bitop2_b32 v4, s103, v26 bitop3:0x54
	v_cmp_le_i64_e32 vcc_lo, s[56:57], v[4:5]
	s_and_saveexec_b32 vcc_hi, vcc_lo
	s_delay_alu instid0(SALU_CYCLE_1)
	s_xor_b32 vcc_lo, exec_lo, vcc_hi
; %bb.458:                              ;   in Loop: Header=BB81_453 Depth=2
	v_dual_mov_b32 v3, v2 :: v_dual_mov_b32 v4, v2
	v_mov_b32_e32 v5, v2
	ds_store_b128 v177, v[2:5]
                                        ; implicit-def: $vgpr4_vgpr5
; %bb.459:                              ;   in Loop: Header=BB81_453 Depth=2
	s_and_not1_saveexec_b32 s18, vcc_lo
	s_cbranch_execz .LBB81_461
; %bb.460:                              ;   in Loop: Header=BB81_453 Depth=2
	v_mul_u64_e32 v[4:5], s[50:51], v[4:5]
	s_delay_alu instid0(VALU_DEP_1)
	v_lshl_add_u64 v[4:5], v[4:5], 4, s[38:39]
	global_load_b128 v[14:17], v[4:5], off
	s_wait_loadcnt 0x0
	ds_store_2addr_b64 v177, v[14:15], v[16:17] offset1:1
.LBB81_461:                             ;   in Loop: Header=BB81_453 Depth=2
	s_or_b32 exec_lo, exec_lo, s104
	v_add_nc_u32_e32 v14, s103, v22
	s_cmp_lg_u32 s102, s97
	s_wait_dscnt 0x0
	s_cselect_b32 s103, -1, 0
	s_barrier_signal -1
	v_ashrrev_i32_e32 v15, 31, v14
	v_cmp_gt_i32_e32 vcc_lo, s56, v14
	v_cndmask_b32_e64 v3, 0, 1, s103
	s_barrier_wait -1
	s_delay_alu instid0(VALU_DEP_3) | instskip(SKIP_1) | instid1(SALU_CYCLE_1)
	v_lshl_add_u64 v[4:5], v[14:15], 4, v[40:41]
	s_and_b32 s18, vcc_lo, s5
	s_and_saveexec_b32 s102, s18
	s_cbranch_execz .LBB81_467
; %bb.462:                              ;   in Loop: Header=BB81_453 Depth=2
	v_mov_b64_e32 v[16:17], v[6:7]
	s_and_not1_b32 vcc_lo, exec_lo, s103
	s_cbranch_vccnz .LBB81_464
; %bb.463:                              ;   in Loop: Header=BB81_453 Depth=2
	global_load_b64 v[16:17], v[4:5], off
.LBB81_464:                             ;   in Loop: Header=BB81_453 Depth=2
	v_cmp_ne_u32_e32 vcc_lo, 1, v3
	v_mov_b64_e32 v[42:43], v[8:9]
	s_cbranch_vccnz .LBB81_466
; %bb.465:                              ;   in Loop: Header=BB81_453 Depth=2
	global_load_b64 v[42:43], v[4:5], off offset:8
.LBB81_466:                             ;   in Loop: Header=BB81_453 Depth=2
	ds_load_b128 v[204:207], v113
	s_wait_loadcnt_dscnt 0x0
	v_mul_f64_e32 v[208:209], v[42:43], v[206:207]
	v_mul_f64_e32 v[42:43], v[42:43], v[204:205]
	s_delay_alu instid0(VALU_DEP_2) | instskip(NEXT) | instid1(VALU_DEP_2)
	v_fmac_f64_e32 v[208:209], v[16:17], v[204:205]
	v_fma_f64 v[16:17], v[16:17], v[206:207], -v[42:43]
	s_delay_alu instid0(VALU_DEP_2) | instskip(NEXT) | instid1(VALU_DEP_2)
	v_add_f64_e32 v[18:19], v[18:19], v[208:209]
	v_add_f64_e32 v[20:21], v[20:21], v[16:17]
.LBB81_467:                             ;   in Loop: Header=BB81_453 Depth=2
	s_or_b32 exec_lo, exec_lo, s102
	v_add_nc_u32_e32 v14, 16, v14
	s_delay_alu instid0(VALU_DEP_1) | instskip(SKIP_1) | instid1(SALU_CYCLE_1)
	v_cmp_gt_i32_e32 vcc_lo, s56, v14
	s_and_b32 s18, vcc_lo, s5
	s_and_saveexec_b32 s102, s18
	s_cbranch_execz .LBB81_452
; %bb.468:                              ;   in Loop: Header=BB81_453 Depth=2
	v_cmp_ne_u32_e32 vcc_lo, 1, v3
	v_mov_b64_e32 v[14:15], v[10:11]
	s_cbranch_vccnz .LBB81_470
; %bb.469:                              ;   in Loop: Header=BB81_453 Depth=2
	global_load_b64 v[14:15], v[4:5], off offset:256
.LBB81_470:                             ;   in Loop: Header=BB81_453 Depth=2
	v_cmp_ne_u32_e32 vcc_lo, 1, v3
	v_mov_b64_e32 v[16:17], v[12:13]
	s_cbranch_vccnz .LBB81_451
; %bb.471:                              ;   in Loop: Header=BB81_453 Depth=2
	global_load_b64 v[16:17], v[4:5], off offset:264
	s_branch .LBB81_451
.LBB81_472:                             ;   in Loop: Header=BB81_3 Depth=1
	ds_store_b128 v178, v[18:21]
	s_wait_dscnt 0x0
	s_barrier_signal -1
	s_barrier_wait -1
	s_and_saveexec_b32 s36, s1
	s_cbranch_execz .LBB81_474
; %bb.473:                              ;   in Loop: Header=BB81_3 Depth=1
	ds_load_b128 v[14:17], v179 offset:512
	s_wait_dscnt 0x0
	v_add_f64_e32 v[4:5], v[18:19], v[14:15]
	v_add_f64_e32 v[18:19], v[20:21], v[16:17]
	ds_load_b128 v[14:17], v179 offset:1024
	s_wait_dscnt 0x0
	v_add_f64_e32 v[4:5], v[4:5], v[14:15]
	v_add_f64_e32 v[18:19], v[18:19], v[16:17]
	;; [unrolled: 4-line block ×15, first 2 shown]
	s_delay_alu instid0(VALU_DEP_2) | instskip(NEXT) | instid1(VALU_DEP_2)
	v_xor_b32_e32 v3, 0x80000000, v5
	v_xor_b32_e32 v5, 0x80000000, v15
	s_delay_alu instid0(VALU_DEP_4) | instskip(NEXT) | instid1(VALU_DEP_4)
	v_cndmask_b32_e64 v18, v4, 0, s93
	v_cndmask_b32_e64 v20, v14, 0, s93
	s_delay_alu instid0(VALU_DEP_4) | instskip(NEXT) | instid1(VALU_DEP_4)
	v_cndmask_b32_e64 v19, v3, 0, s93
	v_cndmask_b32_e64 v21, v5, 0, s93
.LBB81_474:                             ;   in Loop: Header=BB81_3 Depth=1
	s_or_b32 exec_lo, exec_lo, s36
	s_delay_alu instid0(SALU_CYCLE_1)
	s_and_not1_b32 vcc_lo, exec_lo, s64
	s_cbranch_vccnz .LBB81_483
; %bb.475:                              ;   in Loop: Header=BB81_3 Depth=1
	s_and_saveexec_b32 s36, s1
; %bb.476:                              ;   in Loop: Header=BB81_3 Depth=1
	ds_store_b128 v180, v[18:21]
; %bb.477:                              ;   in Loop: Header=BB81_3 Depth=1
	s_or_b32 exec_lo, exec_lo, s36
	v_mov_b64_e32 v[14:15], 0
	v_mov_b64_e32 v[16:17], 0
	s_wait_dscnt 0x0
	s_barrier_signal -1
	s_barrier_wait -1
	s_and_saveexec_b32 s36, s6
	s_cbranch_execz .LBB81_479
; %bb.478:                              ;   in Loop: Header=BB81_3 Depth=1
	ds_load_b128 v[14:17], v113
	ds_load_b128 v[40:43], v198
	s_wait_dscnt 0x0
	v_mul_f64_e32 v[4:5], v[16:17], v[42:43]
	v_mul_f64_e32 v[42:43], v[14:15], v[42:43]
	s_delay_alu instid0(VALU_DEP_2) | instskip(NEXT) | instid1(VALU_DEP_2)
	v_fma_f64 v[4:5], v[14:15], v[40:41], -v[4:5]
	v_fmac_f64_e32 v[42:43], v[16:17], v[40:41]
	s_delay_alu instid0(VALU_DEP_2) | instskip(NEXT) | instid1(VALU_DEP_2)
	v_add_f64_e32 v[14:15], 0, v[4:5]
	v_add_f64_e32 v[16:17], 0, v[42:43]
.LBB81_479:                             ;   in Loop: Header=BB81_3 Depth=1
	s_or_b32 exec_lo, exec_lo, s36
	s_and_saveexec_b32 s36, s7
	s_cbranch_execz .LBB81_481
; %bb.480:                              ;   in Loop: Header=BB81_3 Depth=1
	ds_load_b128 v[40:43], v113 offset:256
	ds_load_b128 v[204:207], v198 offset:8192
	s_wait_dscnt 0x0
	v_mul_f64_e32 v[4:5], v[42:43], v[206:207]
	s_delay_alu instid0(VALU_DEP_1) | instskip(SKIP_1) | instid1(VALU_DEP_2)
	v_fma_f64 v[4:5], v[40:41], v[204:205], -v[4:5]
	v_mul_f64_e32 v[40:41], v[40:41], v[206:207]
	v_add_f64_e32 v[14:15], v[14:15], v[4:5]
	s_delay_alu instid0(VALU_DEP_2) | instskip(NEXT) | instid1(VALU_DEP_1)
	v_fmac_f64_e32 v[40:41], v[42:43], v[204:205]
	v_add_f64_e32 v[16:17], v[16:17], v[40:41]
.LBB81_481:                             ;   in Loop: Header=BB81_3 Depth=1
	s_or_b32 exec_lo, exec_lo, s36
	s_mov_b32 s58, 0
	s_mov_b32 s36, 0
	ds_store_b128 v178, v[14:17]
	s_wait_dscnt 0x0
	s_barrier_signal -1
	s_barrier_wait -1
                                        ; implicit-def: $vgpr4_vgpr5
                                        ; implicit-def: $vgpr40_vgpr41
	s_and_saveexec_b32 s59, s1
	s_cbranch_execz .LBB81_514
; %bb.482:                              ;   in Loop: Header=BB81_3 Depth=1
	ds_load_b128 v[40:43], v179 offset:512
	s_mov_b32 s36, exec_lo
	s_wait_dscnt 0x0
	v_add_f64_e32 v[4:5], v[14:15], v[40:41]
	v_add_f64_e32 v[40:41], v[16:17], v[42:43]
	ds_load_b128 v[14:17], v179 offset:1024
	s_wait_dscnt 0x0
	v_add_f64_e32 v[4:5], v[4:5], v[14:15]
	v_add_f64_e32 v[40:41], v[40:41], v[16:17]
	ds_load_b128 v[14:17], v179 offset:1536
	;; [unrolled: 4-line block ×14, first 2 shown]
	s_wait_dscnt 0x0
	v_add_f64_e32 v[40:41], v[4:5], v[14:15]
	v_add_f64_e32 v[4:5], v[42:43], v[16:17]
	s_or_b32 exec_lo, exec_lo, s59
	s_delay_alu instid0(SALU_CYCLE_1)
	s_and_b32 vcc_lo, exec_lo, s58
	s_cbranch_vccnz .LBB81_484
	s_branch .LBB81_515
.LBB81_483:                             ;   in Loop: Header=BB81_3 Depth=1
	s_mov_b32 s36, 0
                                        ; implicit-def: $vgpr4_vgpr5
                                        ; implicit-def: $vgpr40_vgpr41
	s_cbranch_execz .LBB81_515
.LBB81_484:                             ;   in Loop: Header=BB81_3 Depth=1
	v_dual_mov_b32 v3, v202 :: v_dual_mov_b32 v4, v201
	s_mov_b32 s58, 31
	s_branch .LBB81_486
.LBB81_485:                             ;   in Loop: Header=BB81_486 Depth=2
	s_or_b32 exec_lo, exec_lo, s102
	v_add_nc_u32_e32 v4, 0xfffffc00, v4
	v_add_nc_u32_e32 v3, 2, v3
	s_add_co_i32 s58, s58, -2
	s_cmp_lg_u32 s59, 0
	s_barrier_signal -1
	s_barrier_wait -1
	s_cbranch_scc0 .LBB81_494
.LBB81_486:                             ;   Parent Loop BB81_3 Depth=1
                                        ; =>  This Inner Loop Header: Depth=2
	s_delay_alu instid0(VALU_DEP_1) | instskip(SKIP_1) | instid1(SALU_CYCLE_1)
	v_cmp_eq_u32_e32 vcc_lo, 0, v3
	s_and_b32 s18, s1, vcc_lo
	s_and_saveexec_b32 s59, s18
; %bb.487:                              ;   in Loop: Header=BB81_486 Depth=2
	ds_store_b128 v2, v[18:21] offset:25088
; %bb.488:                              ;   in Loop: Header=BB81_486 Depth=2
	s_or_b32 exec_lo, exec_lo, s59
	v_cmp_gt_u32_e32 vcc_lo, s58, v24
	s_wait_dscnt 0x0
	s_barrier_signal -1
	s_barrier_wait -1
	s_and_b32 s18, s1, vcc_lo
	s_delay_alu instid0(SALU_CYCLE_1)
	s_and_saveexec_b32 s59, s18
	s_cbranch_execz .LBB81_490
; %bb.489:                              ;   in Loop: Header=BB81_486 Depth=2
	ds_load_b128 v[14:17], v2 offset:25088
	ds_load_b128 v[40:43], v4 offset:512
	s_wait_dscnt 0x0
	v_mul_f64_e32 v[204:205], v[16:17], v[42:43]
	s_delay_alu instid0(VALU_DEP_1) | instskip(SKIP_1) | instid1(VALU_DEP_2)
	v_fma_f64 v[204:205], v[14:15], v[40:41], -v[204:205]
	v_mul_f64_e32 v[14:15], v[14:15], v[42:43]
	v_add_f64_e32 v[18:19], v[18:19], v[204:205]
	s_delay_alu instid0(VALU_DEP_2) | instskip(NEXT) | instid1(VALU_DEP_1)
	v_fmac_f64_e32 v[14:15], v[16:17], v[40:41]
	v_add_f64_e32 v[20:21], v[20:21], v[14:15]
.LBB81_490:                             ;   in Loop: Header=BB81_486 Depth=2
	s_or_b32 exec_lo, exec_lo, s59
	s_add_co_i32 s59, s58, -1
	s_delay_alu instid0(SALU_CYCLE_1) | instskip(SKIP_3) | instid1(SALU_CYCLE_1)
	v_cmp_eq_u32_e32 vcc_lo, s59, v24
	s_barrier_signal -1
	s_barrier_wait -1
	s_and_b32 s18, s1, vcc_lo
	s_and_saveexec_b32 s102, s18
; %bb.491:                              ;   in Loop: Header=BB81_486 Depth=2
	ds_store_b128 v2, v[18:21] offset:25088
; %bb.492:                              ;   in Loop: Header=BB81_486 Depth=2
	s_or_b32 exec_lo, exec_lo, s102
	v_cmp_gt_u32_e32 vcc_lo, s59, v24
	s_wait_dscnt 0x0
	s_barrier_signal -1
	s_barrier_wait -1
	s_and_b32 s18, s1, vcc_lo
	s_delay_alu instid0(SALU_CYCLE_1)
	s_and_saveexec_b32 s102, s18
	s_cbranch_execz .LBB81_485
; %bb.493:                              ;   in Loop: Header=BB81_486 Depth=2
	ds_load_b128 v[14:17], v2 offset:25088
	ds_load_b128 v[40:43], v4
	s_wait_dscnt 0x0
	v_mul_f64_e32 v[204:205], v[16:17], v[42:43]
	s_delay_alu instid0(VALU_DEP_1) | instskip(SKIP_1) | instid1(VALU_DEP_2)
	v_fma_f64 v[204:205], v[14:15], v[40:41], -v[204:205]
	v_mul_f64_e32 v[14:15], v[14:15], v[42:43]
	v_add_f64_e32 v[18:19], v[18:19], v[204:205]
	s_delay_alu instid0(VALU_DEP_2) | instskip(NEXT) | instid1(VALU_DEP_1)
	v_fmac_f64_e32 v[14:15], v[16:17], v[40:41]
	v_add_f64_e32 v[20:21], v[20:21], v[14:15]
	s_branch .LBB81_485
.LBB81_494:                             ;   in Loop: Header=BB81_3 Depth=1
	s_and_b32 vcc_lo, exec_lo, s62
	s_mov_b32 s58, -1
	s_cbranch_vccnz .LBB81_516
; %bb.495:                              ;   in Loop: Header=BB81_3 Depth=1
	s_and_not1_b32 vcc_lo, exec_lo, s58
	s_cbranch_vccz .LBB81_517
.LBB81_496:                             ;   in Loop: Header=BB81_3 Depth=1
	s_and_saveexec_b32 s58, s36
	s_cbranch_execz .LBB81_498
.LBB81_497:                             ;   in Loop: Header=BB81_3 Depth=1
	v_lshl_add_u64 v[4:5], v[0:1], 4, s[38:39]
	global_store_b128 v[4:5], v[18:21], off
.LBB81_498:                             ;   in Loop: Header=BB81_3 Depth=1
	s_wait_xcnt 0x0
	s_or_b32 exec_lo, exec_lo, s58
	global_wb scope:SCOPE_DEV
	s_wait_storecnt 0x0
	global_inv scope:SCOPE_DEV
	s_wait_loadcnt 0x0
	s_barrier_signal -1
	s_barrier_wait -1
	s_and_saveexec_b32 s36, s30
	s_cbranch_execz .LBB81_2
; %bb.499:                              ;   in Loop: Header=BB81_3 Depth=1
	s_lshl_b64 s[38:39], s[34:35], 2
	s_delay_alu instid0(SALU_CYCLE_1)
	s_add_nc_u64 s[38:39], s[54:55], s[38:39]
	global_load_b32 v3, v2, s[38:39]
	s_wait_loadcnt 0x0
	v_add_nc_u32_e32 v3, 1, v3
	global_store_b32 v2, v3, s[38:39]
	s_branch .LBB81_2
.LBB81_500:                             ;   in Loop: Header=BB81_3 Depth=1
	s_and_saveexec_b32 s38, s28
; %bb.501:                              ;   in Loop: Header=BB81_3 Depth=1
	v_dual_mov_b32 v3, v2 :: v_dual_mov_b32 v4, v2
	v_mov_b32_e32 v5, v2
	ds_store_b128 v199, v[2:5]
; %bb.502:                              ;   in Loop: Header=BB81_3 Depth=1
	s_or_b32 exec_lo, exec_lo, s38
	s_and_not1_saveexec_b32 s36, s36
	s_cbranch_execz .LBB81_12
.LBB81_503:                             ;   in Loop: Header=BB81_3 Depth=1
	v_lshl_add_u64 v[4:5], v[36:37], 4, v[18:19]
	global_load_b128 v[204:207], v[4:5], off
	s_wait_loadcnt 0x0
	v_xor_b32_e32 v205, 0x80000000, v205
	ds_store_b128 v199, v[204:207]
	s_or_b32 exec_lo, exec_lo, s36
	s_and_saveexec_b32 s36, s7
	s_delay_alu instid0(SALU_CYCLE_1)
	s_xor_b32 s36, exec_lo, s36
	s_cbranch_execz .LBB81_13
.LBB81_504:                             ;   in Loop: Header=BB81_3 Depth=1
	s_and_saveexec_b32 s38, s29
; %bb.505:                              ;   in Loop: Header=BB81_3 Depth=1
	v_dual_mov_b32 v3, v2 :: v_dual_mov_b32 v4, v2
	v_mov_b32_e32 v5, v2
	ds_store_b128 v200, v[2:5]
; %bb.506:                              ;   in Loop: Header=BB81_3 Depth=1
	s_or_b32 exec_lo, exec_lo, s38
	s_and_not1_saveexec_b32 s36, s36
	s_cbranch_execnz .LBB81_14
	s_branch .LBB81_15
.LBB81_507:                             ;   in Loop: Header=BB81_3 Depth=1
	s_and_saveexec_b32 s38, s28
; %bb.508:                              ;   in Loop: Header=BB81_3 Depth=1
	v_dual_mov_b32 v3, v2 :: v_dual_mov_b32 v4, v2
	v_mov_b32_e32 v5, v2
	ds_store_b128 v196, v[2:5]
; %bb.509:                              ;   in Loop: Header=BB81_3 Depth=1
	s_or_b32 exec_lo, exec_lo, s38
	s_and_not1_saveexec_b32 s36, s36
	s_cbranch_execz .LBB81_19
.LBB81_510:                             ;   in Loop: Header=BB81_3 Depth=1
	v_lshl_add_u64 v[4:5], v[36:37], 4, v[18:19]
	global_load_b128 v[204:207], v[4:5], off
	s_wait_loadcnt 0x0
	v_xor_b32_e32 v205, 0x80000000, v205
	ds_store_b128 v196, v[204:207]
	s_or_b32 exec_lo, exec_lo, s36
	s_and_saveexec_b32 s36, s101
	s_delay_alu instid0(SALU_CYCLE_1)
	s_xor_b32 s36, exec_lo, s36
	s_cbranch_execz .LBB81_20
.LBB81_511:                             ;   in Loop: Header=BB81_3 Depth=1
	s_and_saveexec_b32 s38, s29
; %bb.512:                              ;   in Loop: Header=BB81_3 Depth=1
	v_dual_mov_b32 v3, v2 :: v_dual_mov_b32 v4, v2
	v_mov_b32_e32 v5, v2
	ds_store_b128 v200, v[2:5]
; %bb.513:                              ;   in Loop: Header=BB81_3 Depth=1
	s_or_b32 exec_lo, exec_lo, s38
                                        ; implicit-def: $vgpr18_vgpr19
	s_and_not1_saveexec_b32 s36, s36
	s_cbranch_execnz .LBB81_21
	s_branch .LBB81_22
.LBB81_514:                             ;   in Loop: Header=BB81_3 Depth=1
	s_or_b32 exec_lo, exec_lo, s59
	s_delay_alu instid0(SALU_CYCLE_1)
	s_and_b32 vcc_lo, exec_lo, s58
	s_cbranch_vccnz .LBB81_484
.LBB81_515:                             ;   in Loop: Header=BB81_3 Depth=1
	s_delay_alu instid0(VALU_DEP_1) | instskip(NEXT) | instid1(VALU_DEP_3)
	v_mov_b64_e32 v[20:21], v[4:5]
	v_mov_b64_e32 v[18:19], v[40:41]
	s_and_saveexec_b32 s58, s36
	s_cbranch_execnz .LBB81_497
	s_branch .LBB81_498
.LBB81_516:                             ;   in Loop: Header=BB81_3 Depth=1
	s_and_not1_b32 s18, s36, exec_lo
	s_and_b32 s36, s1, exec_lo
	s_delay_alu instid0(SALU_CYCLE_1)
	s_or_b32 s36, s18, s36
	s_cbranch_execnz .LBB81_496
.LBB81_517:                             ;   in Loop: Header=BB81_3 Depth=1
	s_and_not1_b32 s18, s36, exec_lo
	v_readlane_b32 s36, v203, 17
	s_and_b32 s36, s36, exec_lo
	s_delay_alu instid0(SALU_CYCLE_1) | instskip(NEXT) | instid1(SALU_CYCLE_1)
	s_or_b32 s36, s18, s36
	s_and_saveexec_b32 s58, s36
	s_cbranch_execnz .LBB81_497
	s_branch .LBB81_498
.LBB81_518:                             ;   in Loop: Header=BB81_3 Depth=1
	ds_load_b128 v[204:207], v45 offset:16
	ds_load_b128 v[208:211], v187 offset:576
	s_wait_dscnt 0x0
	v_mul_f64_e32 v[4:5], v[206:207], v[210:211]
	v_mul_f64_e32 v[42:43], v[204:205], v[210:211]
	s_delay_alu instid0(VALU_DEP_2) | instskip(NEXT) | instid1(VALU_DEP_2)
	v_fma_f64 v[4:5], v[204:205], v[208:209], -v[4:5]
	v_fmac_f64_e32 v[42:43], v[206:207], v[208:209]
	s_delay_alu instid0(VALU_DEP_2) | instskip(NEXT) | instid1(VALU_DEP_2)
	v_add_f64_e32 v[18:19], v[18:19], v[4:5]
	v_add_f64_e32 v[20:21], v[20:21], v[42:43]
	s_or_b32 exec_lo, exec_lo, s38
	s_and_saveexec_b32 s38, s10
	s_cbranch_execz .LBB81_45
.LBB81_519:                             ;   in Loop: Header=BB81_3 Depth=1
	ds_load_b128 v[204:207], v45 offset:32
	ds_load_b128 v[208:211], v186 offset:1088
	s_wait_dscnt 0x0
	v_mul_f64_e32 v[4:5], v[206:207], v[210:211]
	v_mul_f64_e32 v[42:43], v[204:205], v[210:211]
	s_delay_alu instid0(VALU_DEP_2) | instskip(NEXT) | instid1(VALU_DEP_2)
	v_fma_f64 v[4:5], v[204:205], v[208:209], -v[4:5]
	v_fmac_f64_e32 v[42:43], v[206:207], v[208:209]
	s_delay_alu instid0(VALU_DEP_2) | instskip(NEXT) | instid1(VALU_DEP_2)
	v_add_f64_e32 v[18:19], v[18:19], v[4:5]
	v_add_f64_e32 v[20:21], v[20:21], v[42:43]
	s_or_b32 exec_lo, exec_lo, s38
	s_and_saveexec_b32 s38, s0
	s_cbranch_execnz .LBB81_46
	s_branch .LBB81_47
.LBB81_520:                             ;   in Loop: Header=BB81_3 Depth=1
	ds_load_b128 v[204:207], v46 offset:16
	ds_load_b128 v[208:211], v190 offset:640
	s_wait_dscnt 0x0
	v_mul_f64_e32 v[4:5], v[206:207], v[210:211]
	v_mul_f64_e32 v[42:43], v[204:205], v[210:211]
	s_delay_alu instid0(VALU_DEP_2) | instskip(NEXT) | instid1(VALU_DEP_2)
	v_fma_f64 v[4:5], v[204:205], v[208:209], -v[4:5]
	v_fmac_f64_e32 v[42:43], v[206:207], v[208:209]
	s_delay_alu instid0(VALU_DEP_2) | instskip(NEXT) | instid1(VALU_DEP_2)
	v_add_f64_e32 v[18:19], v[18:19], v[4:5]
	v_add_f64_e32 v[20:21], v[20:21], v[42:43]
	s_or_b32 exec_lo, exec_lo, s38
	s_and_saveexec_b32 s38, s12
	s_cbranch_execz .LBB81_87
.LBB81_521:                             ;   in Loop: Header=BB81_3 Depth=1
	ds_load_b128 v[204:207], v46 offset:32
	ds_load_b128 v[208:211], v190 offset:1152
	s_wait_dscnt 0x0
	v_mul_f64_e32 v[4:5], v[206:207], v[210:211]
	v_mul_f64_e32 v[42:43], v[204:205], v[210:211]
	s_delay_alu instid0(VALU_DEP_2) | instskip(NEXT) | instid1(VALU_DEP_2)
	v_fma_f64 v[4:5], v[204:205], v[208:209], -v[4:5]
	v_fmac_f64_e32 v[42:43], v[206:207], v[208:209]
	s_delay_alu instid0(VALU_DEP_2) | instskip(NEXT) | instid1(VALU_DEP_2)
	v_add_f64_e32 v[18:19], v[18:19], v[4:5]
	v_add_f64_e32 v[20:21], v[20:21], v[42:43]
	s_or_b32 exec_lo, exec_lo, s38
	s_and_saveexec_b32 s38, s13
	s_cbranch_execz .LBB81_88
.LBB81_522:                             ;   in Loop: Header=BB81_3 Depth=1
	ds_load_b128 v[204:207], v46 offset:48
	ds_load_b128 v[208:211], v190 offset:1664
	s_wait_dscnt 0x0
	v_mul_f64_e32 v[4:5], v[206:207], v[210:211]
	v_mul_f64_e32 v[42:43], v[204:205], v[210:211]
	s_delay_alu instid0(VALU_DEP_2) | instskip(NEXT) | instid1(VALU_DEP_2)
	v_fma_f64 v[4:5], v[204:205], v[208:209], -v[4:5]
	v_fmac_f64_e32 v[42:43], v[206:207], v[208:209]
	s_delay_alu instid0(VALU_DEP_2) | instskip(NEXT) | instid1(VALU_DEP_2)
	v_add_f64_e32 v[18:19], v[18:19], v[4:5]
	v_add_f64_e32 v[20:21], v[20:21], v[42:43]
	s_or_b32 exec_lo, exec_lo, s38
	s_and_saveexec_b32 s38, s14
	s_cbranch_execz .LBB81_89
.LBB81_523:                             ;   in Loop: Header=BB81_3 Depth=1
	ds_load_b128 v[204:207], v46 offset:64
	ds_load_b128 v[208:211], v189 offset:2176
	s_wait_dscnt 0x0
	v_mul_f64_e32 v[4:5], v[206:207], v[210:211]
	v_mul_f64_e32 v[42:43], v[204:205], v[210:211]
	s_delay_alu instid0(VALU_DEP_2) | instskip(NEXT) | instid1(VALU_DEP_2)
	v_fma_f64 v[4:5], v[204:205], v[208:209], -v[4:5]
	v_fmac_f64_e32 v[42:43], v[206:207], v[208:209]
	s_delay_alu instid0(VALU_DEP_2) | instskip(NEXT) | instid1(VALU_DEP_2)
	v_add_f64_e32 v[18:19], v[18:19], v[4:5]
	v_add_f64_e32 v[20:21], v[20:21], v[42:43]
	s_or_b32 exec_lo, exec_lo, s38
	s_and_saveexec_b32 s38, s15
	s_cbranch_execz .LBB81_90
.LBB81_524:                             ;   in Loop: Header=BB81_3 Depth=1
	ds_load_b128 v[204:207], v46 offset:80
	ds_load_b128 v[208:211], v190 offset:2688
	s_wait_dscnt 0x0
	v_mul_f64_e32 v[4:5], v[206:207], v[210:211]
	v_mul_f64_e32 v[42:43], v[204:205], v[210:211]
	s_delay_alu instid0(VALU_DEP_2) | instskip(NEXT) | instid1(VALU_DEP_2)
	v_fma_f64 v[4:5], v[204:205], v[208:209], -v[4:5]
	v_fmac_f64_e32 v[42:43], v[206:207], v[208:209]
	s_delay_alu instid0(VALU_DEP_2) | instskip(NEXT) | instid1(VALU_DEP_2)
	v_add_f64_e32 v[18:19], v[18:19], v[4:5]
	v_add_f64_e32 v[20:21], v[20:21], v[42:43]
	s_or_b32 exec_lo, exec_lo, s38
	s_and_saveexec_b32 s38, s2
	s_cbranch_execz .LBB81_91
.LBB81_525:                             ;   in Loop: Header=BB81_3 Depth=1
	ds_load_b128 v[204:207], v46 offset:96
	ds_load_b128 v[208:211], v189 offset:3200
	s_wait_dscnt 0x0
	v_mul_f64_e32 v[4:5], v[206:207], v[210:211]
	v_mul_f64_e32 v[42:43], v[204:205], v[210:211]
	s_delay_alu instid0(VALU_DEP_2) | instskip(NEXT) | instid1(VALU_DEP_2)
	v_fma_f64 v[4:5], v[204:205], v[208:209], -v[4:5]
	v_fmac_f64_e32 v[42:43], v[206:207], v[208:209]
	s_delay_alu instid0(VALU_DEP_2) | instskip(NEXT) | instid1(VALU_DEP_2)
	v_add_f64_e32 v[18:19], v[18:19], v[4:5]
	v_add_f64_e32 v[20:21], v[20:21], v[42:43]
	s_or_b32 exec_lo, exec_lo, s38
	s_and_saveexec_b32 s38, s10
	s_cbranch_execnz .LBB81_92
	s_branch .LBB81_93
.LBB81_526:                             ;   in Loop: Header=BB81_3 Depth=1
	ds_load_b128 v[204:207], v45 offset:4240
	ds_load_b128 v[208:211], v187 offset:4800
	s_wait_dscnt 0x0
	v_mul_f64_e32 v[4:5], v[206:207], v[210:211]
	v_mul_f64_e32 v[42:43], v[204:205], v[210:211]
	s_delay_alu instid0(VALU_DEP_2) | instskip(NEXT) | instid1(VALU_DEP_2)
	v_fma_f64 v[4:5], v[204:205], v[208:209], -v[4:5]
	v_fmac_f64_e32 v[42:43], v[206:207], v[208:209]
	s_delay_alu instid0(VALU_DEP_2) | instskip(NEXT) | instid1(VALU_DEP_2)
	v_add_f64_e32 v[18:19], v[18:19], v[4:5]
	v_add_f64_e32 v[20:21], v[20:21], v[42:43]
	s_or_b32 exec_lo, exec_lo, s38
	s_and_saveexec_b32 s38, s10
	s_cbranch_execz .LBB81_149
.LBB81_527:                             ;   in Loop: Header=BB81_3 Depth=1
	ds_load_b128 v[204:207], v45 offset:4256
	ds_load_b128 v[208:211], v186 offset:5312
	s_wait_dscnt 0x0
	v_mul_f64_e32 v[4:5], v[206:207], v[210:211]
	v_mul_f64_e32 v[42:43], v[204:205], v[210:211]
	s_delay_alu instid0(VALU_DEP_2) | instskip(NEXT) | instid1(VALU_DEP_2)
	v_fma_f64 v[4:5], v[204:205], v[208:209], -v[4:5]
	v_fmac_f64_e32 v[42:43], v[206:207], v[208:209]
	s_delay_alu instid0(VALU_DEP_2) | instskip(NEXT) | instid1(VALU_DEP_2)
	v_add_f64_e32 v[18:19], v[18:19], v[4:5]
	v_add_f64_e32 v[20:21], v[20:21], v[42:43]
	s_or_b32 exec_lo, exec_lo, s38
	s_and_saveexec_b32 s38, s0
	s_cbranch_execnz .LBB81_150
	s_branch .LBB81_151
.LBB81_528:                             ;   in Loop: Header=BB81_3 Depth=1
	ds_load_b128 v[204:207], v3 offset:176
	ds_load_b128 v[208:211], v154 offset:5888
	s_wait_dscnt 0x0
	v_mul_f64_e32 v[4:5], v[206:207], v[210:211]
	v_mul_f64_e32 v[42:43], v[204:205], v[210:211]
	s_delay_alu instid0(VALU_DEP_2) | instskip(NEXT) | instid1(VALU_DEP_2)
	v_fma_f64 v[4:5], v[204:205], v[208:209], -v[4:5]
	v_fmac_f64_e32 v[42:43], v[206:207], v[208:209]
	s_delay_alu instid0(VALU_DEP_2) | instskip(NEXT) | instid1(VALU_DEP_2)
	v_add_f64_e32 v[18:19], v[18:19], v[4:5]
	v_add_f64_e32 v[20:21], v[20:21], v[42:43]
	s_or_b32 exec_lo, exec_lo, s38
	s_and_saveexec_b32 s38, s3
	s_cbranch_execz .LBB81_211
.LBB81_529:                             ;   in Loop: Header=BB81_3 Depth=1
	ds_load_b128 v[204:207], v3 offset:192
	ds_load_b128 v[208:211], v154 offset:6400
	s_wait_dscnt 0x0
	v_mul_f64_e32 v[4:5], v[206:207], v[210:211]
	v_mul_f64_e32 v[42:43], v[204:205], v[210:211]
	s_delay_alu instid0(VALU_DEP_2) | instskip(NEXT) | instid1(VALU_DEP_2)
	v_fma_f64 v[4:5], v[204:205], v[208:209], -v[4:5]
	v_fmac_f64_e32 v[42:43], v[206:207], v[208:209]
	s_delay_alu instid0(VALU_DEP_2) | instskip(NEXT) | instid1(VALU_DEP_2)
	v_add_f64_e32 v[18:19], v[18:19], v[4:5]
	v_add_f64_e32 v[20:21], v[20:21], v[42:43]
	s_or_b32 exec_lo, exec_lo, s38
	s_and_saveexec_b32 s38, s12
	s_cbranch_execz .LBB81_212
.LBB81_530:                             ;   in Loop: Header=BB81_3 Depth=1
	ds_load_b128 v[204:207], v3 offset:208
	ds_load_b128 v[208:211], v154 offset:6912
	s_wait_dscnt 0x0
	v_mul_f64_e32 v[4:5], v[206:207], v[210:211]
	v_mul_f64_e32 v[42:43], v[204:205], v[210:211]
	s_delay_alu instid0(VALU_DEP_2) | instskip(NEXT) | instid1(VALU_DEP_2)
	v_fma_f64 v[4:5], v[204:205], v[208:209], -v[4:5]
	v_fmac_f64_e32 v[42:43], v[206:207], v[208:209]
	s_delay_alu instid0(VALU_DEP_2) | instskip(NEXT) | instid1(VALU_DEP_2)
	v_add_f64_e32 v[18:19], v[18:19], v[4:5]
	v_add_f64_e32 v[20:21], v[20:21], v[42:43]
	s_or_b32 exec_lo, exec_lo, s38
	s_and_saveexec_b32 s38, s14
	s_cbranch_execz .LBB81_213
.LBB81_531:                             ;   in Loop: Header=BB81_3 Depth=1
	ds_load_b128 v[204:207], v3 offset:224
	ds_load_b128 v[208:211], v154 offset:7424
	s_wait_dscnt 0x0
	v_mul_f64_e32 v[4:5], v[206:207], v[210:211]
	v_mul_f64_e32 v[42:43], v[204:205], v[210:211]
	s_delay_alu instid0(VALU_DEP_2) | instskip(NEXT) | instid1(VALU_DEP_2)
	v_fma_f64 v[4:5], v[204:205], v[208:209], -v[4:5]
	v_fmac_f64_e32 v[42:43], v[206:207], v[208:209]
	s_delay_alu instid0(VALU_DEP_2) | instskip(NEXT) | instid1(VALU_DEP_2)
	v_add_f64_e32 v[18:19], v[18:19], v[4:5]
	v_add_f64_e32 v[20:21], v[20:21], v[42:43]
	s_or_b32 exec_lo, exec_lo, s38
	s_and_saveexec_b32 s38, s2
	s_cbranch_execnz .LBB81_214
	s_branch .LBB81_215
.LBB81_532:                             ;   in Loop: Header=BB81_3 Depth=1
	ds_load_b128 v[204:207], v45 offset:8464
	ds_load_b128 v[208:211], v187 offset:9024
	s_wait_dscnt 0x0
	v_mul_f64_e32 v[4:5], v[206:207], v[210:211]
	v_mul_f64_e32 v[42:43], v[204:205], v[210:211]
	s_delay_alu instid0(VALU_DEP_2) | instskip(NEXT) | instid1(VALU_DEP_2)
	v_fma_f64 v[4:5], v[204:205], v[208:209], -v[4:5]
	v_fmac_f64_e32 v[42:43], v[206:207], v[208:209]
	s_delay_alu instid0(VALU_DEP_2) | instskip(NEXT) | instid1(VALU_DEP_2)
	v_add_f64_e32 v[18:19], v[18:19], v[4:5]
	v_add_f64_e32 v[20:21], v[20:21], v[42:43]
	s_or_b32 exec_lo, exec_lo, s38
	s_and_saveexec_b32 s38, s10
	s_cbranch_execz .LBB81_303
.LBB81_533:                             ;   in Loop: Header=BB81_3 Depth=1
	ds_load_b128 v[204:207], v45 offset:8480
	ds_load_b128 v[208:211], v186 offset:9536
	s_wait_dscnt 0x0
	v_mul_f64_e32 v[4:5], v[206:207], v[210:211]
	v_mul_f64_e32 v[42:43], v[204:205], v[210:211]
	s_delay_alu instid0(VALU_DEP_2) | instskip(NEXT) | instid1(VALU_DEP_2)
	v_fma_f64 v[4:5], v[204:205], v[208:209], -v[4:5]
	v_fmac_f64_e32 v[42:43], v[206:207], v[208:209]
	s_delay_alu instid0(VALU_DEP_2) | instskip(NEXT) | instid1(VALU_DEP_2)
	v_add_f64_e32 v[18:19], v[18:19], v[4:5]
	v_add_f64_e32 v[20:21], v[20:21], v[42:43]
	s_or_b32 exec_lo, exec_lo, s38
	s_and_saveexec_b32 s38, s0
	s_cbranch_execnz .LBB81_304
	s_branch .LBB81_305
.LBB81_534:                             ;   in Loop: Header=BB81_3 Depth=1
	ds_load_b128 v[204:207], v46 offset:8464
	ds_load_b128 v[208:211], v190 offset:9088
	s_wait_dscnt 0x0
	v_mul_f64_e32 v[4:5], v[206:207], v[210:211]
	v_mul_f64_e32 v[42:43], v[204:205], v[210:211]
	s_delay_alu instid0(VALU_DEP_2) | instskip(NEXT) | instid1(VALU_DEP_2)
	v_fma_f64 v[4:5], v[204:205], v[208:209], -v[4:5]
	v_fmac_f64_e32 v[42:43], v[206:207], v[208:209]
	s_delay_alu instid0(VALU_DEP_2) | instskip(NEXT) | instid1(VALU_DEP_2)
	v_add_f64_e32 v[18:19], v[18:19], v[4:5]
	v_add_f64_e32 v[20:21], v[20:21], v[42:43]
	s_or_b32 exec_lo, exec_lo, s38
	s_and_saveexec_b32 s38, s12
	s_cbranch_execz .LBB81_345
.LBB81_535:                             ;   in Loop: Header=BB81_3 Depth=1
	ds_load_b128 v[204:207], v46 offset:8480
	ds_load_b128 v[208:211], v190 offset:9600
	s_wait_dscnt 0x0
	v_mul_f64_e32 v[4:5], v[206:207], v[210:211]
	v_mul_f64_e32 v[42:43], v[204:205], v[210:211]
	s_delay_alu instid0(VALU_DEP_2) | instskip(NEXT) | instid1(VALU_DEP_2)
	v_fma_f64 v[4:5], v[204:205], v[208:209], -v[4:5]
	v_fmac_f64_e32 v[42:43], v[206:207], v[208:209]
	s_delay_alu instid0(VALU_DEP_2) | instskip(NEXT) | instid1(VALU_DEP_2)
	v_add_f64_e32 v[18:19], v[18:19], v[4:5]
	v_add_f64_e32 v[20:21], v[20:21], v[42:43]
	s_or_b32 exec_lo, exec_lo, s38
	s_and_saveexec_b32 s38, s13
	s_cbranch_execz .LBB81_346
.LBB81_536:                             ;   in Loop: Header=BB81_3 Depth=1
	ds_load_b128 v[204:207], v46 offset:8496
	ds_load_b128 v[208:211], v190 offset:10112
	s_wait_dscnt 0x0
	v_mul_f64_e32 v[4:5], v[206:207], v[210:211]
	v_mul_f64_e32 v[42:43], v[204:205], v[210:211]
	s_delay_alu instid0(VALU_DEP_2) | instskip(NEXT) | instid1(VALU_DEP_2)
	v_fma_f64 v[4:5], v[204:205], v[208:209], -v[4:5]
	v_fmac_f64_e32 v[42:43], v[206:207], v[208:209]
	s_delay_alu instid0(VALU_DEP_2) | instskip(NEXT) | instid1(VALU_DEP_2)
	v_add_f64_e32 v[18:19], v[18:19], v[4:5]
	v_add_f64_e32 v[20:21], v[20:21], v[42:43]
	s_or_b32 exec_lo, exec_lo, s38
	s_and_saveexec_b32 s38, s14
	s_cbranch_execz .LBB81_347
.LBB81_537:                             ;   in Loop: Header=BB81_3 Depth=1
	ds_load_b128 v[204:207], v46 offset:8512
	ds_load_b128 v[208:211], v189 offset:10624
	s_wait_dscnt 0x0
	v_mul_f64_e32 v[4:5], v[206:207], v[210:211]
	v_mul_f64_e32 v[42:43], v[204:205], v[210:211]
	s_delay_alu instid0(VALU_DEP_2) | instskip(NEXT) | instid1(VALU_DEP_2)
	v_fma_f64 v[4:5], v[204:205], v[208:209], -v[4:5]
	v_fmac_f64_e32 v[42:43], v[206:207], v[208:209]
	s_delay_alu instid0(VALU_DEP_2) | instskip(NEXT) | instid1(VALU_DEP_2)
	v_add_f64_e32 v[18:19], v[18:19], v[4:5]
	v_add_f64_e32 v[20:21], v[20:21], v[42:43]
	s_or_b32 exec_lo, exec_lo, s38
	s_and_saveexec_b32 s38, s15
	s_cbranch_execz .LBB81_348
.LBB81_538:                             ;   in Loop: Header=BB81_3 Depth=1
	ds_load_b128 v[204:207], v46 offset:8528
	ds_load_b128 v[208:211], v190 offset:11136
	s_wait_dscnt 0x0
	v_mul_f64_e32 v[4:5], v[206:207], v[210:211]
	v_mul_f64_e32 v[42:43], v[204:205], v[210:211]
	s_delay_alu instid0(VALU_DEP_2) | instskip(NEXT) | instid1(VALU_DEP_2)
	v_fma_f64 v[4:5], v[204:205], v[208:209], -v[4:5]
	v_fmac_f64_e32 v[42:43], v[206:207], v[208:209]
	s_delay_alu instid0(VALU_DEP_2) | instskip(NEXT) | instid1(VALU_DEP_2)
	v_add_f64_e32 v[18:19], v[18:19], v[4:5]
	v_add_f64_e32 v[20:21], v[20:21], v[42:43]
	s_or_b32 exec_lo, exec_lo, s38
	s_and_saveexec_b32 s38, s2
	s_cbranch_execz .LBB81_349
.LBB81_539:                             ;   in Loop: Header=BB81_3 Depth=1
	ds_load_b128 v[204:207], v46 offset:8544
	ds_load_b128 v[208:211], v189 offset:11648
	s_wait_dscnt 0x0
	v_mul_f64_e32 v[4:5], v[206:207], v[210:211]
	v_mul_f64_e32 v[42:43], v[204:205], v[210:211]
	s_delay_alu instid0(VALU_DEP_2) | instskip(NEXT) | instid1(VALU_DEP_2)
	v_fma_f64 v[4:5], v[204:205], v[208:209], -v[4:5]
	v_fmac_f64_e32 v[42:43], v[206:207], v[208:209]
	s_delay_alu instid0(VALU_DEP_2) | instskip(NEXT) | instid1(VALU_DEP_2)
	v_add_f64_e32 v[18:19], v[18:19], v[4:5]
	v_add_f64_e32 v[20:21], v[20:21], v[42:43]
	s_or_b32 exec_lo, exec_lo, s38
	s_and_saveexec_b32 s38, s10
	s_cbranch_execnz .LBB81_350
	s_branch .LBB81_351
.LBB81_540:                             ;   in Loop: Header=BB81_3 Depth=1
	ds_load_b128 v[204:207], v45 offset:12688
	ds_load_b128 v[208:211], v187 offset:13248
	s_wait_dscnt 0x0
	v_mul_f64_e32 v[4:5], v[206:207], v[210:211]
	v_mul_f64_e32 v[42:43], v[204:205], v[210:211]
	s_delay_alu instid0(VALU_DEP_2) | instskip(NEXT) | instid1(VALU_DEP_2)
	v_fma_f64 v[4:5], v[204:205], v[208:209], -v[4:5]
	v_fmac_f64_e32 v[42:43], v[206:207], v[208:209]
	s_delay_alu instid0(VALU_DEP_2) | instskip(NEXT) | instid1(VALU_DEP_2)
	v_add_f64_e32 v[18:19], v[18:19], v[4:5]
	v_add_f64_e32 v[20:21], v[20:21], v[42:43]
	s_or_b32 exec_lo, exec_lo, s38
	s_and_saveexec_b32 s38, s10
	s_cbranch_execz .LBB81_407
.LBB81_541:                             ;   in Loop: Header=BB81_3 Depth=1
	ds_load_b128 v[204:207], v45 offset:12704
	ds_load_b128 v[208:211], v186 offset:13760
	s_wait_dscnt 0x0
	v_mul_f64_e32 v[4:5], v[206:207], v[210:211]
	v_mul_f64_e32 v[42:43], v[204:205], v[210:211]
	s_delay_alu instid0(VALU_DEP_2) | instskip(NEXT) | instid1(VALU_DEP_2)
	v_fma_f64 v[4:5], v[204:205], v[208:209], -v[4:5]
	v_fmac_f64_e32 v[42:43], v[206:207], v[208:209]
	s_delay_alu instid0(VALU_DEP_2) | instskip(NEXT) | instid1(VALU_DEP_2)
	v_add_f64_e32 v[18:19], v[18:19], v[4:5]
	v_add_f64_e32 v[20:21], v[20:21], v[42:43]
	s_or_b32 exec_lo, exec_lo, s38
	s_and_saveexec_b32 s38, s0
	s_cbranch_execnz .LBB81_408
	s_branch .LBB81_409
.LBB81_542:
	s_endpgm
	.section	.rodata,"a",@progbits
	.p2align	6, 0x0
	.amdhsa_kernel _ZL19rocblas_trsv_deviceILi32ELi16ELb1ELb1ELb1ELb1E19rocblas_complex_numIdEPKS1_S3_PS1_EviT7_lllT6_T8_lllPii
		.amdhsa_group_segment_fixed_size 25104
		.amdhsa_private_segment_fixed_size 0
		.amdhsa_kernarg_size 352
		.amdhsa_user_sgpr_count 2
		.amdhsa_user_sgpr_dispatch_ptr 0
		.amdhsa_user_sgpr_queue_ptr 0
		.amdhsa_user_sgpr_kernarg_segment_ptr 1
		.amdhsa_user_sgpr_dispatch_id 0
		.amdhsa_user_sgpr_kernarg_preload_length 0
		.amdhsa_user_sgpr_kernarg_preload_offset 0
		.amdhsa_user_sgpr_private_segment_size 0
		.amdhsa_wavefront_size32 1
		.amdhsa_uses_dynamic_stack 0
		.amdhsa_enable_private_segment 0
		.amdhsa_system_sgpr_workgroup_id_x 1
		.amdhsa_system_sgpr_workgroup_id_y 0
		.amdhsa_system_sgpr_workgroup_id_z 1
		.amdhsa_system_sgpr_workgroup_info 0
		.amdhsa_system_vgpr_workitem_id 1
		.amdhsa_next_free_vgpr 212
		.amdhsa_next_free_sgpr 105
		.amdhsa_named_barrier_count 0
		.amdhsa_reserve_vcc 1
		.amdhsa_float_round_mode_32 0
		.amdhsa_float_round_mode_16_64 0
		.amdhsa_float_denorm_mode_32 3
		.amdhsa_float_denorm_mode_16_64 3
		.amdhsa_fp16_overflow 0
		.amdhsa_memory_ordered 1
		.amdhsa_forward_progress 1
		.amdhsa_inst_pref_size 163
		.amdhsa_round_robin_scheduling 0
		.amdhsa_exception_fp_ieee_invalid_op 0
		.amdhsa_exception_fp_denorm_src 0
		.amdhsa_exception_fp_ieee_div_zero 0
		.amdhsa_exception_fp_ieee_overflow 0
		.amdhsa_exception_fp_ieee_underflow 0
		.amdhsa_exception_fp_ieee_inexact 0
		.amdhsa_exception_int_div_zero 0
	.end_amdhsa_kernel
	.section	.text._ZL19rocblas_trsv_deviceILi32ELi16ELb1ELb1ELb1ELb1E19rocblas_complex_numIdEPKS1_S3_PS1_EviT7_lllT6_T8_lllPii,"axG",@progbits,_ZL19rocblas_trsv_deviceILi32ELi16ELb1ELb1ELb1ELb1E19rocblas_complex_numIdEPKS1_S3_PS1_EviT7_lllT6_T8_lllPii,comdat
.Lfunc_end81:
	.size	_ZL19rocblas_trsv_deviceILi32ELi16ELb1ELb1ELb1ELb1E19rocblas_complex_numIdEPKS1_S3_PS1_EviT7_lllT6_T8_lllPii, .Lfunc_end81-_ZL19rocblas_trsv_deviceILi32ELi16ELb1ELb1ELb1ELb1E19rocblas_complex_numIdEPKS1_S3_PS1_EviT7_lllT6_T8_lllPii
                                        ; -- End function
	.set _ZL19rocblas_trsv_deviceILi32ELi16ELb1ELb1ELb1ELb1E19rocblas_complex_numIdEPKS1_S3_PS1_EviT7_lllT6_T8_lllPii.num_vgpr, 212
	.set _ZL19rocblas_trsv_deviceILi32ELi16ELb1ELb1ELb1ELb1E19rocblas_complex_numIdEPKS1_S3_PS1_EviT7_lllT6_T8_lllPii.num_agpr, 0
	.set _ZL19rocblas_trsv_deviceILi32ELi16ELb1ELb1ELb1ELb1E19rocblas_complex_numIdEPKS1_S3_PS1_EviT7_lllT6_T8_lllPii.numbered_sgpr, 105
	.set _ZL19rocblas_trsv_deviceILi32ELi16ELb1ELb1ELb1ELb1E19rocblas_complex_numIdEPKS1_S3_PS1_EviT7_lllT6_T8_lllPii.num_named_barrier, 0
	.set _ZL19rocblas_trsv_deviceILi32ELi16ELb1ELb1ELb1ELb1E19rocblas_complex_numIdEPKS1_S3_PS1_EviT7_lllT6_T8_lllPii.private_seg_size, 0
	.set _ZL19rocblas_trsv_deviceILi32ELi16ELb1ELb1ELb1ELb1E19rocblas_complex_numIdEPKS1_S3_PS1_EviT7_lllT6_T8_lllPii.uses_vcc, 1
	.set _ZL19rocblas_trsv_deviceILi32ELi16ELb1ELb1ELb1ELb1E19rocblas_complex_numIdEPKS1_S3_PS1_EviT7_lllT6_T8_lllPii.uses_flat_scratch, 0
	.set _ZL19rocblas_trsv_deviceILi32ELi16ELb1ELb1ELb1ELb1E19rocblas_complex_numIdEPKS1_S3_PS1_EviT7_lllT6_T8_lllPii.has_dyn_sized_stack, 0
	.set _ZL19rocblas_trsv_deviceILi32ELi16ELb1ELb1ELb1ELb1E19rocblas_complex_numIdEPKS1_S3_PS1_EviT7_lllT6_T8_lllPii.has_recursion, 0
	.set _ZL19rocblas_trsv_deviceILi32ELi16ELb1ELb1ELb1ELb1E19rocblas_complex_numIdEPKS1_S3_PS1_EviT7_lllT6_T8_lllPii.has_indirect_call, 0
	.section	.AMDGPU.csdata,"",@progbits
; Kernel info:
; codeLenInByte = 20756
; TotalNumSgprs: 107
; NumVgprs: 212
; ScratchSize: 0
; MemoryBound: 1
; FloatMode: 240
; IeeeMode: 1
; LDSByteSize: 25104 bytes/workgroup (compile time only)
; SGPRBlocks: 0
; VGPRBlocks: 13
; NumSGPRsForWavesPerEU: 107
; NumVGPRsForWavesPerEU: 212
; NamedBarCnt: 0
; Occupancy: 4
; WaveLimiterHint : 0
; COMPUTE_PGM_RSRC2:SCRATCH_EN: 0
; COMPUTE_PGM_RSRC2:USER_SGPR: 2
; COMPUTE_PGM_RSRC2:TRAP_HANDLER: 0
; COMPUTE_PGM_RSRC2:TGID_X_EN: 1
; COMPUTE_PGM_RSRC2:TGID_Y_EN: 0
; COMPUTE_PGM_RSRC2:TGID_Z_EN: 1
; COMPUTE_PGM_RSRC2:TIDIG_COMP_CNT: 1
	.section	.text._ZL19rocblas_trsv_deviceILi32ELi16ELb1ELb0ELb0ELb0E19rocblas_complex_numIdEPKS1_S3_PS1_EviT7_lllT6_T8_lllPii,"axG",@progbits,_ZL19rocblas_trsv_deviceILi32ELi16ELb1ELb0ELb0ELb0E19rocblas_complex_numIdEPKS1_S3_PS1_EviT7_lllT6_T8_lllPii,comdat
	.globl	_ZL19rocblas_trsv_deviceILi32ELi16ELb1ELb0ELb0ELb0E19rocblas_complex_numIdEPKS1_S3_PS1_EviT7_lllT6_T8_lllPii ; -- Begin function _ZL19rocblas_trsv_deviceILi32ELi16ELb1ELb0ELb0ELb0E19rocblas_complex_numIdEPKS1_S3_PS1_EviT7_lllT6_T8_lllPii
	.p2align	8
	.type	_ZL19rocblas_trsv_deviceILi32ELi16ELb1ELb0ELb0ELb0E19rocblas_complex_numIdEPKS1_S3_PS1_EviT7_lllT6_T8_lllPii,@function
_ZL19rocblas_trsv_deviceILi32ELi16ELb1ELb0ELb0ELb0E19rocblas_complex_numIdEPKS1_S3_PS1_EviT7_lllT6_T8_lllPii: ; @_ZL19rocblas_trsv_deviceILi32ELi16ELb1ELb0ELb0ELb0E19rocblas_complex_numIdEPKS1_S3_PS1_EviT7_lllT6_T8_lllPii
; %bb.0:
	s_load_b32 s62, s[0:1], 0x58
	s_bfe_u32 s2, ttmp6, 0x40014
	s_lshr_b32 s3, ttmp7, 16
	s_add_co_i32 s2, s2, 1
	s_bfe_u32 s5, ttmp6, 0x40008
	s_mul_i32 s4, s3, s2
	s_getreg_b32 s2, hwreg(HW_REG_IB_STS2, 6, 4)
	s_add_co_i32 s5, s5, s4
	s_cmp_eq_u32 s2, 0
	s_mov_b32 s57, 0
	s_cselect_b32 s56, s3, s5
	s_wait_kmcnt 0x0
	s_cmp_ge_u32 s56, s62
	s_cbranch_scc1 .LBB82_544
; %bb.1:
	s_clause 0x2
	s_load_b512 s[36:51], s[0:1], 0x8
	s_load_b32 s3, s[0:1], 0x6c
	s_load_b32 s63, s[0:1], 0x0
	s_bfe_u32 s5, ttmp6, 0x4000c
	s_and_b32 s4, ttmp6, 15
	s_add_co_i32 s5, s5, 1
	s_load_b128 s[52:55], s[0:1], 0x48
	s_wait_xcnt 0x0
	s_mul_i32 s0, ttmp9, s5
	v_bfe_u32 v42, v0, 10, 10
	s_add_co_i32 s6, s4, s0
	v_and_b32_e32 v24, 0x3ff, v0
	v_dual_mov_b32 v1, 0 :: v_dual_bitop2_b32 v9, 1, v0 bitop3:0x40
	s_delay_alu instid0(VALU_DEP_3) | instskip(SKIP_1) | instid1(VALU_DEP_3)
	v_lshlrev_b32_e32 v6, 5, v42
	v_lshl_add_u32 v62, v42, 4, 0x6000
	v_dual_mov_b32 v27, v1 :: v_dual_lshlrev_b32 v46, 4, v24
	v_mov_b32_e32 v25, v1
	s_delay_alu instid0(VALU_DEP_4)
	v_add_nc_u16 v7, v6, v24
	v_add_nc_u32_e32 v11, v6, v24
	s_wait_kmcnt 0x0
	s_lshl_b64 s[0:1], s[38:39], 4
	s_lshl_b64 s[4:5], s[48:49], 4
	s_cmp_eq_u32 s2, 0
	s_add_nc_u64 s[38:39], s[36:37], s[0:1]
	s_cselect_b32 s64, ttmp9, s6
	s_add_co_i32 s2, s63, -1
	s_and_b32 s6, s3, 0xffff
	s_ashr_i32 s3, s63, 31
	s_ashr_i32 s7, s2, 31
	s_lshr_b32 s3, s3, 27
	s_lshr_b32 s7, s7, 27
	s_add_co_i32 s3, s63, s3
	s_add_co_i32 s2, s2, s7
	s_and_not1_b32 s3, s3, 31
	s_ashr_i32 s2, s2, 5
	s_sub_co_i32 s11, s63, s3
	s_cmp_eq_u32 s2, s64
	v_lshrrev_b16 v7, 1, v7
	s_cselect_b32 s7, -1, 0
	s_cmp_lg_u32 s11, 0
	s_add_nc_u64 s[2:3], s[40:41], 1
	s_cselect_b32 s0, -1, 0
	s_lshl_b32 s12, s64, 5
	v_sub_co_u32 v43, s1, s64, 1
	v_dual_add_nc_u32 v8, s12, v42 :: v_dual_add_nc_u32 v28, s12, v24
	v_mad_nc_u64_u32 v[2:3], s2, s12, v[24:25]
	s_and_b32 s9, s0, s7
	v_lshlrev_b32_e32 v6, 4, v9
	s_delay_alu instid0(VALU_DEP_3)
	v_subrev_nc_u32_e32 v4, 32, v8
	v_ashrrev_i32_e32 v29, 31, v28
	s_ashr_i32 s13, s12, 31
	s_xor_b32 s65, s1, -1
	s_xor_b32 s66, s9, -1
	v_ashrrev_i32_e32 v5, 31, v4
	s_mul_i32 s1, s3, s12
	s_mul_i32 s2, s2, s13
	s_cmp_gt_i32 s64, 4
	v_add3_u32 v3, s2, s1, v3
	v_mul_u64_e32 v[30:31], s[40:41], v[4:5]
	v_lshrrev_b32_e32 v5, 10, v0
	s_cselect_b32 s1, -1, 0
	s_add_nc_u64 s[46:47], s[46:47], s[4:5]
	s_and_b32 s67, s1, s66
	v_cmp_gt_u32_e64 s1, 4, v11
	v_bitop3_b32 v10, v0, v5, 0x3ff bitop3:0xa8
	v_and_b32_e32 v5, 0xffff, v7
	v_mad_u32_u24 v26, v42, s6, v24
                                        ; implicit-def: $vgpr76 : SGPR spill to VGPR lane
	v_cmp_le_i32_e64 s10, s11, v24
	v_cmp_gt_i32_e32 vcc_lo, s11, v24
	v_mul_u32_u24_e32 v68, 0x210, v24
	v_lshl_add_u32 v25, v5, 4, 0x4000
	v_lshl_or_b32 v44, v5, 9, v6
	v_mul_u32_u24_e32 v45, 0x210, v5
	v_dual_lshrrev_b32 v5, 2, v11 :: v_dual_bitop2_b32 v6, 3, v0 bitop3:0x40
	s_and_b32 s36, s10, s9
	v_cmp_gt_i32_e64 s0, s63, v28
	v_cmp_gt_u32_e64 s30, 0xf0, v11
	s_delay_alu instid0(VALU_DEP_3)
	v_lshlrev_b32_e32 v7, 4, v5
	v_cmp_eq_u32_e64 s2, 1, v9
	v_mul_u32_u24_e32 v47, 0x210, v5
	v_lshlrev_b32_e32 v48, 4, v6
	v_cmp_ne_u32_e64 s4, 0, v6
	v_add_nc_u32_e32 v49, 0x4000, v7
	s_xor_b32 s3, s2, -1
	s_and_b32 s69, s2, s1
	s_and_b32 s68, s3, s1
	v_cmp_gt_u32_e64 s2, 16, v11
	v_sub_nc_u32_e32 v7, v47, v7
	v_cmp_eq_u32_e64 s3, 0, v6
	v_lshl_or_b32 v50, v5, 9, v48
	v_cmp_eq_u32_e64 s5, 1, v6
	v_cmp_lt_u32_e64 s6, 1, v6
	v_dual_add_nc_u32 v51, v7, v48 :: v_dual_lshrrev_b32 v5, 3, v11
	s_and_b32 s70, s3, s2
	s_and_b32 s71, s4, s2
	v_cmp_eq_u32_e64 s3, 2, v6
	v_cmp_eq_u32_e64 s4, 3, v6
	v_dual_lshlrev_b32 v7, 4, v5 :: v_dual_bitop2_b32 v6, 7, v0 bitop3:0x40
	s_and_b32 s72, s5, s2
	s_and_b32 s74, s3, s2
	;; [unrolled: 1-line block ×3, first 2 shown]
	v_cmp_gt_u32_e64 s3, 64, v11
	v_cmp_eq_u32_e64 s4, 0, v6
	v_cmp_ne_u32_e64 s5, 0, v6
	s_and_b32 s73, s6, s2
	v_cmp_lt_u32_e64 s6, 1, v6
	v_dual_add_nc_u32 v67, v62, v46 :: v_dual_bitop2_b32 v0, 15, v0 bitop3:0x40
	s_and_b32 s76, s4, s3
	v_cmp_eq_u32_e64 s4, 1, v6
	s_and_b32 s77, s5, s3
	v_cmp_eq_u32_e64 s5, 2, v6
	;; [unrolled: 2-line block ×4, first 2 shown]
	s_and_b32 s80, s5, s3
	v_cmp_lt_u32_e64 s5, 3, v6
	v_cmp_lt_u32_e64 s7, 2, v6
	s_and_b32 s84, s6, s3
	s_and_b32 s82, s4, s3
	v_cmp_lt_u32_e64 s4, 4, v6
	s_and_b32 s83, s5, s3
	v_cmp_lt_u32_e64 s5, 5, v6
	v_cmp_eq_u32_e64 s6, 7, v6
	s_and_b32 s81, s7, s3
	s_and_b32 s85, s4, s3
	v_cmp_eq_u32_e64 s4, 6, v6
	s_and_b32 s87, s5, s3
	v_cmp_eq_u32_e64 s5, 0, v0
	v_cmp_eq_u32_e64 s7, 5, v6
	s_and_b32 s89, s6, s3
	s_and_b32 s88, s4, s3
	v_cmp_gt_u32_e64 s4, 0x100, v11
	v_cmp_ne_u32_e64 s6, 0, v0
	s_and_b32 s86, s7, s3
	v_cmp_eq_u32_e64 s7, 1, v0
	v_cmp_eq_u32_e64 s8, 3, v0
	s_and_b32 s5, s5, s4
	v_mul_u32_u24_e32 v52, 0x210, v5
	v_writelane_b32 v76, s5, 0
	s_and_b32 s5, s6, s4
	s_and_b32 s7, s7, s4
	v_cmp_eq_u32_e64 s6, 2, v0
	v_dual_lshlrev_b32 v53, 4, v6 :: v_dual_sub_nc_u32 v9, v52, v7
	v_writelane_b32 v76, s5, 1
	v_cmp_lt_u32_e64 s5, 1, v0
	v_dual_lshlrev_b32 v59, 4, v0 :: v_dual_add_nc_u32 v12, 16, v42
	s_delay_alu instid0(VALU_DEP_4)
	v_lshl_or_b32 v55, v5, 9, v53
	v_writelane_b32 v76, s7, 2
	s_and_b32 s5, s5, s4
	v_cmp_lt_u32_e64 s7, 2, v0
	v_dual_add_nc_u32 v56, v9, v53 :: v_dual_lshlrev_b32 v5, 5, v11
	v_writelane_b32 v76, s5, 3
	s_and_b32 s5, s6, s4
	s_and_b32 s6, s7, s4
	v_cmp_lt_u32_e64 s7, 4, v0
	v_and_b32_e32 v58, 0xfffffe00, v5
	v_writelane_b32 v76, s5, 4
	v_cmp_lt_u32_e64 s5, 3, v0
	v_lshlrev_b32_e32 v5, 9, v24
	v_add_nc_u32_e32 v54, 0x4000, v7
	v_or_b32_e32 v61, v58, v59
	v_writelane_b32 v76, s6, 5
	s_and_b32 s6, s8, s4
	s_and_b32 s5, s5, s4
	v_cmp_lt_u32_e64 s8, 5, v0
	v_add_nc_u64_e32 v[6:7], s[12:13], v[26:27]
	v_writelane_b32 v76, s6, 6
	v_cmp_eq_u32_e64 s6, 4, v0
	v_cmp_ne_u32_e64 s13, v24, v42
	s_and_b32 s101, s8, s4
	v_cmp_eq_u32_e64 s8, 8, v0
	v_writelane_b32 v76, s5, 7
	s_and_b32 s6, s6, s4
	v_cmp_eq_u32_e64 s5, 5, v0
	v_cmp_ne_u32_e64 s14, v24, v12
	s_and_b32 s19, s8, s4
	v_writelane_b32 v76, s6, 8
	s_and_b32 s6, s7, s4
	s_and_b32 s100, s5, s4
	v_cmp_lt_u32_e64 s5, 6, v0
	v_cmp_eq_u32_e64 s7, 7, v0
	v_writelane_b32 v76, s6, 9
	v_cmp_eq_u32_e64 s6, 6, v0
	v_cmp_lt_u32_e64 s8, 10, v0
	s_and_b32 s103, s5, s4
	v_cmp_lt_u32_e64 s5, 8, v0
	s_and_b32 s104, s7, s4
	s_and_b32 s102, s6, s4
	v_cmp_lt_u32_e64 s6, 7, v0
	v_cmp_lt_u32_e64 s7, 9, v0
	s_and_b32 s20, s5, s4
	v_cmp_eq_u32_e64 s5, 10, v0
	s_and_b32 s24, s8, s4
	s_and_b32 vcc_hi, s6, s4
	v_cmp_eq_u32_e64 s6, 9, v0
	s_and_b32 s22, s7, s4
	s_and_b32 s23, s5, s4
	v_cmp_lt_u32_e64 s5, 11, v0
	v_cmp_eq_u32_e64 s7, 12, v0
	s_and_b32 s21, s6, s4
	v_cmp_eq_u32_e64 s6, 11, v0
	v_cmp_eq_u32_e64 s8, 13, v0
	s_and_b32 s26, s5, s4
	v_cmp_lt_u32_e64 s5, 13, v0
	s_and_b32 s27, s7, s4
	s_and_b32 s25, s6, s4
	v_cmp_lt_u32_e64 s6, 12, v0
	v_cmp_eq_u32_e64 s7, 15, v0
	s_and_b32 s35, s5, s4
	v_cmp_eq_u32_e64 s5, 0, v42
	s_and_b32 s29, s8, s4
	s_and_b32 s28, s6, s4
	v_cmp_eq_u32_e64 s6, 14, v0
	v_add_nc_u32_e32 v0, s12, v26
	s_and_b32 s9, s7, s4
	v_mul_u64_e32 v[32:33], s[50:51], v[28:29]
	v_mul_u64_e32 v[40:41], s[50:51], v[6:7]
	s_and_b32 s8, s6, s4
	s_xor_b32 s6, s36, -1
	v_mul_u64_e32 v[36:37], s[50:51], v[0:1]
	v_or_b32_e32 v0, v12, v24
	v_dual_add_nc_u32 v8, -16, v8 :: v_dual_sub_nc_u32 v27, v68, v5
	s_and_b32 s90, s5, s6
	s_cmp_gt_i32 s64, 0
	v_mad_nc_u64_u32 v[34:35], s40, v42, v[2:3]
	s_cselect_b32 s91, -1, 0
	v_cmp_gt_i32_e64 s7, s63, v8
	s_and_b32 s12, s5, vcc_lo
	v_cmp_le_i32_e32 vcc_lo, s11, v42
	v_writelane_b32 v76, s12, 10
	v_cmp_le_i32_e64 s11, s11, v12
	s_and_b32 s93, s0, s7
	v_cmp_le_u32_e64 s7, v24, v12
	s_or_b32 s12, vcc_lo, s10
	v_writelane_b32 v76, s13, 11
	s_or_b32 s11, s11, s10
	v_mad_nc_u64_u32 v[38:39], s40, v12, v[2:3]
	s_or_b32 s95, s11, s7
	s_or_b32 s11, s10, s13
	;; [unrolled: 1-line block ×3, first 2 shown]
	v_writelane_b32 v76, s11, 12
	v_cmp_gt_i32_e64 s6, s63, v4
	v_mad_u32 v35, s41, v42, v35
	v_and_b32_e32 v57, 0x7ff0, v11
	v_cmp_gt_u32_e64 s37, 32, v10
	v_writelane_b32 v76, s14, 13
	s_and_b32 s92, s0, s6
	v_mad_u32 v39, s41, v12, v39
	v_cmp_le_u32_e64 s6, v24, v42
	v_add_nc_u32_e32 v60, 0x4000, v57
	v_writelane_b32 v76, s10, 14
	v_lshl_add_u32 v63, v26, 4, 0x6000
	v_lshl_add_u32 v64, v11, 4, 0x4000
	v_add_nc_u32_e32 v65, 0x4000, v46
	v_lshl_add_u32 v66, v42, 9, v46
	v_writelane_b32 v76, s30, 15
	v_cmp_gt_u32_e64 s30, 0xe0, v11
	v_lshl_add_u32 v69, v12, 9, v27
	s_or_b32 s94, s12, s6
	v_cmp_eq_u32_e64 s10, 0, v10
	v_cmp_gt_u32_e64 s11, 2, v11
	v_writelane_b32 v76, s30, 16
	v_cmp_gt_u32_e64 s30, 0xd0, v11
	v_cmp_gt_u32_e64 s12, 12, v11
	;; [unrolled: 1-line block ×5, first 2 shown]
	v_writelane_b32 v76, s30, 17
	v_cmp_gt_u32_e64 s30, 0xc0, v11
	v_cmp_gt_u32_e64 s16, 40, v11
	;; [unrolled: 1-line block ×5, first 2 shown]
	v_writelane_b32 v76, s30, 18
	v_cmp_gt_u32_e64 s30, 0xb0, v11
	v_cmp_ge_u32_e64 s33, v24, v42
	v_cmp_ge_u32_e64 s34, v24, v12
	s_lshl_b64 s[48:49], s[40:41], 8
                                        ; implicit-def: $vgpr4_vgpr5
                                        ; implicit-def: $vgpr8_vgpr9
	v_writelane_b32 v76, s30, 19
	v_cmp_gt_u32_e64 s30, 0xa0, v11
	s_delay_alu instid0(VALU_DEP_1) | instskip(SKIP_1) | instid1(VALU_DEP_1)
	v_writelane_b32 v76, s30, 20
	v_cmp_gt_u32_e64 s30, 0x90, v11
	v_writelane_b32 v76, s30, 21
	v_cmp_gt_u32_e64 s30, 0x80, v11
	s_delay_alu instid0(VALU_DEP_1) | instskip(SKIP_1) | instid1(VALU_DEP_1)
	v_writelane_b32 v76, s30, 22
	v_cmp_gt_u32_e64 s30, 0x70, v11
	;; [unrolled: 5-line block ×3, first 2 shown]
	v_writelane_b32 v76, s30, 25
	v_cmp_eq_u32_e64 s30, 0, v26
	v_writelane_b32 v76, s37, 26
	v_cmp_gt_u32_e64 s37, 32, v0
	s_delay_alu instid0(VALU_DEP_1)
	v_writelane_b32 v76, s37, 27
	s_branch .LBB82_3
.LBB82_2:                               ;   in Loop: Header=BB82_3 Depth=1
	s_wait_xcnt 0x0
	s_or_b32 exec_lo, exec_lo, s37
	s_add_co_i32 s56, s56, 0x10000
	global_wb scope:SCOPE_DEV
	s_wait_storecnt 0x0
	global_inv scope:SCOPE_DEV
	s_cmp_lt_u32 s56, s62
	s_cbranch_scc0 .LBB82_544
.LBB82_3:                               ; =>This Loop Header: Depth=1
                                        ;     Child Loop BB82_425 Depth 2
                                        ;       Child Loop BB82_427 Depth 3
                                        ;     Child Loop BB82_458 Depth 2
	global_load_b128 v[12:15], v1, s[44:45]
	s_mul_u64 s[58:59], s[42:43], s[56:57]
	s_and_not1_b32 vcc_lo, exec_lo, s65
	s_lshl_b64 s[58:59], s[58:59], 4
	s_delay_alu instid0(SALU_CYCLE_1)
	s_add_nc_u64 s[58:59], s[38:39], s[58:59]
	s_cbranch_vccz .LBB82_6
; %bb.4:                                ;   in Loop: Header=BB82_3 Depth=1
	s_and_not1_b32 vcc_lo, exec_lo, s66
	s_mov_b32 s37, -1
	s_cbranch_vccz .LBB82_11
.LBB82_5:                               ;   in Loop: Header=BB82_3 Depth=1
	s_and_b32 vcc_lo, exec_lo, s37
	s_cbranch_vccnz .LBB82_18
	s_branch .LBB82_25
.LBB82_6:                               ;   in Loop: Header=BB82_3 Depth=1
	v_lshl_add_u64 v[2:3], v[30:31], 4, s[58:59]
	v_mov_b64_e32 v[10:11], 0
	v_mov_b64_e32 v[4:5], 0
	;; [unrolled: 1-line block ×3, first 2 shown]
	s_wait_loadcnt 0x0
	v_lshl_add_u64 v[2:3], v[28:29], 4, v[2:3]
	s_barrier_signal -1
	s_barrier_wait -1
	s_wait_xcnt 0x0
	s_and_saveexec_b32 s37, s92
	s_cbranch_execz .LBB82_8
; %bb.7:                                ;   in Loop: Header=BB82_3 Depth=1
	global_load_b128 v[4:7], v[2:3], off
.LBB82_8:                               ;   in Loop: Header=BB82_3 Depth=1
	s_wait_xcnt 0x0
	s_or_b32 exec_lo, exec_lo, s37
	v_mov_b64_e32 v[8:9], 0
	s_wait_loadcnt 0x0
	s_barrier_signal -1
	s_barrier_wait -1
	s_and_saveexec_b32 s37, s93
	s_cbranch_execz .LBB82_10
; %bb.9:                                ;   in Loop: Header=BB82_3 Depth=1
	v_add_nc_u64_e32 v[2:3], s[48:49], v[2:3]
	global_load_b128 v[8:11], v[2:3], off
.LBB82_10:                              ;   in Loop: Header=BB82_3 Depth=1
	s_wait_xcnt 0x0
	s_or_b32 exec_lo, exec_lo, s37
	s_delay_alu instid0(SALU_CYCLE_1)
	s_and_not1_b32 vcc_lo, exec_lo, s66
	s_mov_b32 s37, -1
	s_cbranch_vccnz .LBB82_5
.LBB82_11:                              ;   in Loop: Header=BB82_3 Depth=1
	s_mov_b32 s60, 0
                                        ; implicit-def: $vgpr18_vgpr19
	s_wait_xcnt 0x0
	s_and_saveexec_b32 s37, s6
	s_delay_alu instid0(SALU_CYCLE_1)
	s_xor_b32 s37, exec_lo, s37
	s_cbranch_execnz .LBB82_471
; %bb.12:                               ;   in Loop: Header=BB82_3 Depth=1
	s_and_not1_saveexec_b32 s37, s37
	s_cbranch_execnz .LBB82_480
.LBB82_13:                              ;   in Loop: Header=BB82_3 Depth=1
	s_or_b32 exec_lo, exec_lo, s37
	s_and_saveexec_b32 s37, s60
	s_cbranch_execnz .LBB82_481
.LBB82_14:                              ;   in Loop: Header=BB82_3 Depth=1
	s_or_b32 exec_lo, exec_lo, s37
	s_and_saveexec_b32 s37, s7
	s_delay_alu instid0(SALU_CYCLE_1)
	s_xor_b32 s37, exec_lo, s37
	s_cbranch_execnz .LBB82_482
.LBB82_15:                              ;   in Loop: Header=BB82_3 Depth=1
	s_and_not1_saveexec_b32 s37, s37
	s_cbranch_execz .LBB82_17
.LBB82_16:                              ;   in Loop: Header=BB82_3 Depth=1
	v_lshl_add_u64 v[2:3], v[38:39], 4, s[58:59]
	global_load_b128 v[16:19], v[2:3], off
	s_wait_loadcnt 0x0
	v_xor_b32_e32 v17, 0x80000000, v17
	v_xor_b32_e32 v19, 0x80000000, v19
	ds_store_b128 v69, v[16:19]
.LBB82_17:                              ;   in Loop: Header=BB82_3 Depth=1
	s_or_b32 exec_lo, exec_lo, s37
	s_branch .LBB82_25
.LBB82_18:                              ;   in Loop: Header=BB82_3 Depth=1
	s_mov_b32 s60, 0
                                        ; implicit-def: $vgpr18_vgpr19
	s_wait_xcnt 0x0
	s_and_saveexec_b32 s37, s94
	s_delay_alu instid0(SALU_CYCLE_1)
	s_xor_b32 s37, exec_lo, s37
	s_cbranch_execnz .LBB82_493
; %bb.19:                               ;   in Loop: Header=BB82_3 Depth=1
	s_and_not1_saveexec_b32 s37, s37
	s_cbranch_execnz .LBB82_502
.LBB82_20:                              ;   in Loop: Header=BB82_3 Depth=1
	s_or_b32 exec_lo, exec_lo, s37
	s_and_saveexec_b32 s37, s60
	s_cbranch_execnz .LBB82_503
.LBB82_21:                              ;   in Loop: Header=BB82_3 Depth=1
	s_or_b32 exec_lo, exec_lo, s37
	s_and_saveexec_b32 s37, s95
	s_delay_alu instid0(SALU_CYCLE_1)
	s_xor_b32 s37, exec_lo, s37
	s_cbranch_execnz .LBB82_504
.LBB82_22:                              ;   in Loop: Header=BB82_3 Depth=1
	s_and_not1_saveexec_b32 s37, s37
	s_cbranch_execz .LBB82_24
.LBB82_23:                              ;   in Loop: Header=BB82_3 Depth=1
	v_lshl_add_u64 v[2:3], v[38:39], 4, s[58:59]
	global_load_b128 v[16:19], v[2:3], off
	s_wait_loadcnt 0x0
	v_xor_b32_e32 v17, 0x80000000, v17
	v_xor_b32_e32 v19, 0x80000000, v19
	ds_store_b128 v69, v[16:19]
.LBB82_24:                              ;   in Loop: Header=BB82_3 Depth=1
	s_or_b32 exec_lo, exec_lo, s37
.LBB82_25:                              ;   in Loop: Header=BB82_3 Depth=1
	s_delay_alu instid0(SALU_CYCLE_1)
	s_and_not1_b32 vcc_lo, exec_lo, s67
	s_wait_loadcnt_dscnt 0x0
	s_barrier_signal -1
	s_barrier_wait -1
	s_cbranch_vccnz .LBB82_419
; %bb.26:                               ;   in Loop: Header=BB82_3 Depth=1
	s_and_saveexec_b32 s37, s10
	s_cbranch_execz .LBB82_28
; %bb.27:                               ;   in Loop: Header=BB82_3 Depth=1
	ds_load_b128 v[16:19], v1 offset:528
	ds_load_b128 v[20:23], v1
	ds_load_b128 v[70:73], v1 offset:16
	s_wait_dscnt 0x1
	v_mul_f64_e32 v[2:3], v[16:17], v[22:23]
	v_mul_f64_e32 v[22:23], v[18:19], v[22:23]
	s_delay_alu instid0(VALU_DEP_2) | instskip(NEXT) | instid1(VALU_DEP_2)
	v_fmac_f64_e32 v[2:3], v[18:19], v[20:21]
	v_fma_f64 v[16:17], v[16:17], v[20:21], -v[22:23]
	s_wait_dscnt 0x0
	s_delay_alu instid0(VALU_DEP_2) | instskip(NEXT) | instid1(VALU_DEP_2)
	v_mul_f64_e32 v[20:21], v[2:3], v[72:73]
	v_mul_f64_e32 v[18:19], v[16:17], v[72:73]
	s_delay_alu instid0(VALU_DEP_2) | instskip(NEXT) | instid1(VALU_DEP_2)
	v_fma_f64 v[16:17], v[70:71], v[16:17], -v[20:21]
	v_fmac_f64_e32 v[18:19], v[70:71], v[2:3]
	ds_store_b128 v1, v[16:19] offset:16
.LBB82_28:                              ;   in Loop: Header=BB82_3 Depth=1
	s_or_b32 exec_lo, exec_lo, s37
	v_mov_b64_e32 v[18:19], 0
	v_mov_b64_e32 v[16:17], 0
	s_wait_dscnt 0x0
	s_barrier_signal -1
	s_barrier_wait -1
	s_and_saveexec_b32 s37, s1
	s_cbranch_execz .LBB82_32
; %bb.29:                               ;   in Loop: Header=BB82_3 Depth=1
	ds_load_b128 v[16:19], v45
	ds_load_b128 v[20:23], v44 offset:32
	s_wait_dscnt 0x0
	v_mul_f64_e32 v[2:3], v[18:19], v[22:23]
	v_mul_f64_e32 v[22:23], v[16:17], v[22:23]
	s_delay_alu instid0(VALU_DEP_2) | instskip(NEXT) | instid1(VALU_DEP_2)
	v_fma_f64 v[2:3], v[16:17], v[20:21], -v[2:3]
	v_fmac_f64_e32 v[22:23], v[18:19], v[20:21]
	s_delay_alu instid0(VALU_DEP_2) | instskip(NEXT) | instid1(VALU_DEP_2)
	v_add_f64_e32 v[16:17], 0, v[2:3]
	v_add_f64_e32 v[18:19], 0, v[22:23]
	s_and_saveexec_b32 s60, s11
	s_cbranch_execz .LBB82_31
; %bb.30:                               ;   in Loop: Header=BB82_3 Depth=1
	ds_load_b128 v[20:23], v1 offset:16
	ds_load_b128 v[70:73], v46 offset:544
	s_wait_dscnt 0x0
	v_mul_f64_e32 v[2:3], v[22:23], v[72:73]
	v_mul_f64_e32 v[72:73], v[20:21], v[72:73]
	s_delay_alu instid0(VALU_DEP_2) | instskip(NEXT) | instid1(VALU_DEP_2)
	v_fma_f64 v[2:3], v[20:21], v[70:71], -v[2:3]
	v_fmac_f64_e32 v[72:73], v[22:23], v[70:71]
	s_delay_alu instid0(VALU_DEP_2) | instskip(NEXT) | instid1(VALU_DEP_2)
	v_add_f64_e32 v[16:17], v[16:17], v[2:3]
	v_add_f64_e32 v[18:19], v[18:19], v[72:73]
.LBB82_31:                              ;   in Loop: Header=BB82_3 Depth=1
	s_or_b32 exec_lo, exec_lo, s60
	s_delay_alu instid0(VALU_DEP_2) | instskip(NEXT) | instid1(VALU_DEP_2)
	v_xor_b32_e32 v17, 0x80000000, v17
	v_xor_b32_e32 v19, 0x80000000, v19
.LBB82_32:                              ;   in Loop: Header=BB82_3 Depth=1
	s_or_b32 exec_lo, exec_lo, s37
	s_and_saveexec_b32 s37, s68
	s_cbranch_execz .LBB82_34
; %bb.33:                               ;   in Loop: Header=BB82_3 Depth=1
	ds_load_b128 v[20:23], v1 offset:1056
	s_wait_dscnt 0x0
	v_mul_f64_e32 v[2:3], v[18:19], v[22:23]
	v_mul_f64_e32 v[72:73], v[16:17], v[22:23]
	s_delay_alu instid0(VALU_DEP_2) | instskip(NEXT) | instid1(VALU_DEP_2)
	v_fma_f64 v[70:71], v[16:17], v[20:21], -v[2:3]
	v_fmac_f64_e32 v[72:73], v[18:19], v[20:21]
	s_delay_alu instid0(VALU_DEP_2) | instskip(NEXT) | instid1(VALU_DEP_2)
	v_mov_b64_e32 v[16:17], v[70:71]
	v_mov_b64_e32 v[18:19], v[72:73]
	ds_store_b128 v25, v[70:73]
.LBB82_34:                              ;   in Loop: Header=BB82_3 Depth=1
	s_or_b32 exec_lo, exec_lo, s37
	s_wait_dscnt 0x0
	s_barrier_signal -1
	s_barrier_wait -1
	s_and_saveexec_b32 s37, s69
	s_cbranch_execz .LBB82_36
; %bb.35:                               ;   in Loop: Header=BB82_3 Depth=1
	ds_load_b128 v[20:23], v25
	ds_load_b128 v[70:73], v1 offset:1072
	s_wait_dscnt 0x0
	v_mul_f64_e32 v[2:3], v[22:23], v[72:73]
	v_mul_f64_e32 v[72:73], v[20:21], v[72:73]
	s_delay_alu instid0(VALU_DEP_2) | instskip(NEXT) | instid1(VALU_DEP_2)
	v_fma_f64 v[2:3], v[20:21], v[70:71], -v[2:3]
	v_fmac_f64_e32 v[72:73], v[22:23], v[70:71]
	s_delay_alu instid0(VALU_DEP_2) | instskip(NEXT) | instid1(VALU_DEP_2)
	v_add_f64_e32 v[16:17], v[16:17], v[2:3]
	v_add_f64_e32 v[18:19], v[18:19], v[72:73]
.LBB82_36:                              ;   in Loop: Header=BB82_3 Depth=1
	s_or_b32 exec_lo, exec_lo, s37
	s_barrier_signal -1
	s_barrier_wait -1
	s_and_saveexec_b32 s37, s69
	s_cbranch_execz .LBB82_38
; %bb.37:                               ;   in Loop: Header=BB82_3 Depth=1
	ds_load_b128 v[20:23], v1 offset:1584
	s_wait_dscnt 0x0
	v_mul_f64_e32 v[2:3], v[18:19], v[22:23]
	v_mul_f64_e32 v[72:73], v[16:17], v[22:23]
	s_delay_alu instid0(VALU_DEP_2) | instskip(NEXT) | instid1(VALU_DEP_2)
	v_fma_f64 v[70:71], v[16:17], v[20:21], -v[2:3]
	v_fmac_f64_e32 v[72:73], v[18:19], v[20:21]
	s_delay_alu instid0(VALU_DEP_2) | instskip(NEXT) | instid1(VALU_DEP_2)
	v_mov_b64_e32 v[16:17], v[70:71]
	v_mov_b64_e32 v[18:19], v[72:73]
	ds_store_b128 v25, v[70:73]
.LBB82_38:                              ;   in Loop: Header=BB82_3 Depth=1
	s_or_b32 exec_lo, exec_lo, s37
	s_wait_dscnt 0x0
	s_barrier_signal -1
	s_barrier_wait -1
	s_barrier_signal -1
	s_barrier_wait -1
	s_and_saveexec_b32 s37, s1
; %bb.39:                               ;   in Loop: Header=BB82_3 Depth=1
	s_delay_alu instid0(VALU_DEP_2) | instskip(NEXT) | instid1(VALU_DEP_2)
	v_xor_b32_e32 v17, 0x80000000, v17
	v_xor_b32_e32 v19, 0x80000000, v19
	ds_store_b128 v44, v[16:19] offset:32
; %bb.40:                               ;   in Loop: Header=BB82_3 Depth=1
	s_or_b32 exec_lo, exec_lo, s37
	s_wait_dscnt 0x0
	s_barrier_signal -1
	s_barrier_wait -1
	s_barrier_signal -1
	s_barrier_wait -1
	s_and_saveexec_b32 s37, s10
	s_cbranch_execz .LBB82_42
; %bb.41:                               ;   in Loop: Header=BB82_3 Depth=1
	ds_load_b128 v[16:19], v1 offset:1584
	ds_load_b128 v[20:23], v1 offset:1056
	;; [unrolled: 1-line block ×3, first 2 shown]
	s_wait_dscnt 0x1
	v_mul_f64_e32 v[2:3], v[16:17], v[22:23]
	v_mul_f64_e32 v[22:23], v[18:19], v[22:23]
	s_delay_alu instid0(VALU_DEP_2) | instskip(NEXT) | instid1(VALU_DEP_2)
	v_fmac_f64_e32 v[2:3], v[18:19], v[20:21]
	v_fma_f64 v[16:17], v[16:17], v[20:21], -v[22:23]
	s_wait_dscnt 0x0
	s_delay_alu instid0(VALU_DEP_2) | instskip(NEXT) | instid1(VALU_DEP_2)
	v_mul_f64_e32 v[20:21], v[2:3], v[72:73]
	v_mul_f64_e32 v[18:19], v[16:17], v[72:73]
	s_delay_alu instid0(VALU_DEP_2) | instskip(NEXT) | instid1(VALU_DEP_2)
	v_fma_f64 v[16:17], v[70:71], v[16:17], -v[20:21]
	v_fmac_f64_e32 v[18:19], v[70:71], v[2:3]
	ds_store_b128 v1, v[16:19] offset:1072
.LBB82_42:                              ;   in Loop: Header=BB82_3 Depth=1
	s_or_b32 exec_lo, exec_lo, s37
	v_mov_b64_e32 v[18:19], 0
	v_mov_b64_e32 v[16:17], 0
	s_wait_dscnt 0x0
	s_barrier_signal -1
	s_barrier_wait -1
	s_and_saveexec_b32 s37, s2
	s_cbranch_execz .LBB82_48
; %bb.43:                               ;   in Loop: Header=BB82_3 Depth=1
	ds_load_b128 v[16:19], v47
	ds_load_b128 v[20:23], v50 offset:64
	s_wait_dscnt 0x0
	v_mul_f64_e32 v[2:3], v[18:19], v[22:23]
	v_mul_f64_e32 v[22:23], v[16:17], v[22:23]
	s_delay_alu instid0(VALU_DEP_2) | instskip(NEXT) | instid1(VALU_DEP_2)
	v_fma_f64 v[2:3], v[16:17], v[20:21], -v[2:3]
	v_fmac_f64_e32 v[22:23], v[18:19], v[20:21]
	s_delay_alu instid0(VALU_DEP_2) | instskip(NEXT) | instid1(VALU_DEP_2)
	v_add_f64_e32 v[16:17], 0, v[2:3]
	v_add_f64_e32 v[18:19], 0, v[22:23]
	s_and_saveexec_b32 s60, s12
	s_cbranch_execnz .LBB82_520
; %bb.44:                               ;   in Loop: Header=BB82_3 Depth=1
	s_or_b32 exec_lo, exec_lo, s60
	s_and_saveexec_b32 s60, s13
	s_cbranch_execnz .LBB82_521
.LBB82_45:                              ;   in Loop: Header=BB82_3 Depth=1
	s_or_b32 exec_lo, exec_lo, s60
	s_and_saveexec_b32 s60, s1
	s_cbranch_execz .LBB82_47
.LBB82_46:                              ;   in Loop: Header=BB82_3 Depth=1
	ds_load_b128 v[20:23], v1 offset:48
	ds_load_b128 v[70:73], v46 offset:1600
	s_wait_dscnt 0x0
	v_mul_f64_e32 v[2:3], v[22:23], v[72:73]
	v_mul_f64_e32 v[72:73], v[20:21], v[72:73]
	s_delay_alu instid0(VALU_DEP_2) | instskip(NEXT) | instid1(VALU_DEP_2)
	v_fma_f64 v[2:3], v[20:21], v[70:71], -v[2:3]
	v_fmac_f64_e32 v[72:73], v[22:23], v[70:71]
	s_delay_alu instid0(VALU_DEP_2) | instskip(NEXT) | instid1(VALU_DEP_2)
	v_add_f64_e32 v[16:17], v[16:17], v[2:3]
	v_add_f64_e32 v[18:19], v[18:19], v[72:73]
.LBB82_47:                              ;   in Loop: Header=BB82_3 Depth=1
	s_or_b32 exec_lo, exec_lo, s60
	s_delay_alu instid0(VALU_DEP_2) | instskip(NEXT) | instid1(VALU_DEP_2)
	v_xor_b32_e32 v17, 0x80000000, v17
	v_xor_b32_e32 v19, 0x80000000, v19
.LBB82_48:                              ;   in Loop: Header=BB82_3 Depth=1
	s_or_b32 exec_lo, exec_lo, s37
	s_and_saveexec_b32 s37, s70
	s_cbranch_execz .LBB82_50
; %bb.49:                               ;   in Loop: Header=BB82_3 Depth=1
	ds_load_b128 v[20:23], v1 offset:2112
	s_wait_dscnt 0x0
	v_mul_f64_e32 v[2:3], v[18:19], v[22:23]
	v_mul_f64_e32 v[72:73], v[16:17], v[22:23]
	s_delay_alu instid0(VALU_DEP_2) | instskip(NEXT) | instid1(VALU_DEP_2)
	v_fma_f64 v[70:71], v[16:17], v[20:21], -v[2:3]
	v_fmac_f64_e32 v[72:73], v[18:19], v[20:21]
	s_delay_alu instid0(VALU_DEP_2) | instskip(NEXT) | instid1(VALU_DEP_2)
	v_mov_b64_e32 v[16:17], v[70:71]
	v_mov_b64_e32 v[18:19], v[72:73]
	ds_store_b128 v49, v[70:73]
.LBB82_50:                              ;   in Loop: Header=BB82_3 Depth=1
	s_or_b32 exec_lo, exec_lo, s37
	s_wait_dscnt 0x0
	s_barrier_signal -1
	s_barrier_wait -1
	s_and_saveexec_b32 s37, s71
	s_cbranch_execz .LBB82_52
; %bb.51:                               ;   in Loop: Header=BB82_3 Depth=1
	ds_load_b128 v[20:23], v49
	ds_load_b128 v[70:73], v48 offset:2112
	s_wait_dscnt 0x0
	v_mul_f64_e32 v[2:3], v[22:23], v[72:73]
	v_mul_f64_e32 v[72:73], v[20:21], v[72:73]
	s_delay_alu instid0(VALU_DEP_2) | instskip(NEXT) | instid1(VALU_DEP_2)
	v_fma_f64 v[2:3], v[20:21], v[70:71], -v[2:3]
	v_fmac_f64_e32 v[72:73], v[22:23], v[70:71]
	s_delay_alu instid0(VALU_DEP_2) | instskip(NEXT) | instid1(VALU_DEP_2)
	v_add_f64_e32 v[16:17], v[16:17], v[2:3]
	v_add_f64_e32 v[18:19], v[18:19], v[72:73]
.LBB82_52:                              ;   in Loop: Header=BB82_3 Depth=1
	s_or_b32 exec_lo, exec_lo, s37
	s_barrier_signal -1
	s_barrier_wait -1
	s_and_saveexec_b32 s37, s72
	s_cbranch_execz .LBB82_54
; %bb.53:                               ;   in Loop: Header=BB82_3 Depth=1
	ds_load_b128 v[20:23], v1 offset:2640
	s_wait_dscnt 0x0
	v_mul_f64_e32 v[2:3], v[18:19], v[22:23]
	v_mul_f64_e32 v[72:73], v[16:17], v[22:23]
	s_delay_alu instid0(VALU_DEP_2) | instskip(NEXT) | instid1(VALU_DEP_2)
	v_fma_f64 v[70:71], v[16:17], v[20:21], -v[2:3]
	v_fmac_f64_e32 v[72:73], v[18:19], v[20:21]
	s_delay_alu instid0(VALU_DEP_2) | instskip(NEXT) | instid1(VALU_DEP_2)
	v_mov_b64_e32 v[16:17], v[70:71]
	v_mov_b64_e32 v[18:19], v[72:73]
	ds_store_b128 v49, v[70:73]
.LBB82_54:                              ;   in Loop: Header=BB82_3 Depth=1
	s_or_b32 exec_lo, exec_lo, s37
	s_wait_dscnt 0x0
	s_barrier_signal -1
	s_barrier_wait -1
	s_and_saveexec_b32 s37, s73
	s_cbranch_execz .LBB82_56
; %bb.55:                               ;   in Loop: Header=BB82_3 Depth=1
	ds_load_b128 v[20:23], v49
	ds_load_b128 v[70:73], v48 offset:2624
	s_wait_dscnt 0x0
	v_mul_f64_e32 v[2:3], v[22:23], v[72:73]
	v_mul_f64_e32 v[72:73], v[20:21], v[72:73]
	s_delay_alu instid0(VALU_DEP_2) | instskip(NEXT) | instid1(VALU_DEP_2)
	v_fma_f64 v[2:3], v[20:21], v[70:71], -v[2:3]
	v_fmac_f64_e32 v[72:73], v[22:23], v[70:71]
	s_delay_alu instid0(VALU_DEP_2) | instskip(NEXT) | instid1(VALU_DEP_2)
	v_add_f64_e32 v[16:17], v[16:17], v[2:3]
	v_add_f64_e32 v[18:19], v[18:19], v[72:73]
.LBB82_56:                              ;   in Loop: Header=BB82_3 Depth=1
	s_or_b32 exec_lo, exec_lo, s37
	s_barrier_signal -1
	s_barrier_wait -1
	;; [unrolled: 37-line block ×3, first 2 shown]
	s_and_saveexec_b32 s37, s75
	s_cbranch_execz .LBB82_62
; %bb.61:                               ;   in Loop: Header=BB82_3 Depth=1
	ds_load_b128 v[20:23], v1 offset:3696
	s_wait_dscnt 0x0
	v_mul_f64_e32 v[2:3], v[18:19], v[22:23]
	v_mul_f64_e32 v[72:73], v[16:17], v[22:23]
	s_delay_alu instid0(VALU_DEP_2) | instskip(NEXT) | instid1(VALU_DEP_2)
	v_fma_f64 v[70:71], v[16:17], v[20:21], -v[2:3]
	v_fmac_f64_e32 v[72:73], v[18:19], v[20:21]
	s_delay_alu instid0(VALU_DEP_2) | instskip(NEXT) | instid1(VALU_DEP_2)
	v_mov_b64_e32 v[16:17], v[70:71]
	v_mov_b64_e32 v[18:19], v[72:73]
	ds_store_b128 v49, v[70:73]
.LBB82_62:                              ;   in Loop: Header=BB82_3 Depth=1
	s_or_b32 exec_lo, exec_lo, s37
	s_wait_dscnt 0x0
	s_barrier_signal -1
	s_barrier_wait -1
	s_barrier_signal -1
	s_barrier_wait -1
	s_and_saveexec_b32 s37, s2
; %bb.63:                               ;   in Loop: Header=BB82_3 Depth=1
	s_delay_alu instid0(VALU_DEP_1) | instskip(NEXT) | instid1(VALU_DEP_3)
	v_xor_b32_e32 v19, 0x80000000, v19
	v_xor_b32_e32 v17, 0x80000000, v17
	ds_store_b128 v50, v[16:19] offset:64
; %bb.64:                               ;   in Loop: Header=BB82_3 Depth=1
	s_or_b32 exec_lo, exec_lo, s37
	s_wait_dscnt 0x0
	s_barrier_signal -1
	s_barrier_wait -1
	s_barrier_signal -1
	s_barrier_wait -1
	s_and_saveexec_b32 s37, s10
	s_cbranch_execz .LBB82_66
; %bb.65:                               ;   in Loop: Header=BB82_3 Depth=1
	ds_load_b128 v[16:19], v1 offset:2640
	ds_load_b128 v[20:23], v1 offset:2112
	ds_load_b128 v[70:73], v1 offset:2128
	s_wait_dscnt 0x1
	v_mul_f64_e32 v[2:3], v[16:17], v[22:23]
	v_mul_f64_e32 v[22:23], v[18:19], v[22:23]
	s_delay_alu instid0(VALU_DEP_2) | instskip(NEXT) | instid1(VALU_DEP_2)
	v_fmac_f64_e32 v[2:3], v[18:19], v[20:21]
	v_fma_f64 v[16:17], v[16:17], v[20:21], -v[22:23]
	s_wait_dscnt 0x0
	s_delay_alu instid0(VALU_DEP_2) | instskip(NEXT) | instid1(VALU_DEP_2)
	v_mul_f64_e32 v[20:21], v[2:3], v[72:73]
	v_mul_f64_e32 v[18:19], v[16:17], v[72:73]
	s_delay_alu instid0(VALU_DEP_2) | instskip(NEXT) | instid1(VALU_DEP_2)
	v_fma_f64 v[16:17], v[70:71], v[16:17], -v[20:21]
	v_fmac_f64_e32 v[18:19], v[70:71], v[2:3]
	ds_store_b128 v1, v[16:19] offset:2128
.LBB82_66:                              ;   in Loop: Header=BB82_3 Depth=1
	s_or_b32 exec_lo, exec_lo, s37
	v_mov_b64_e32 v[18:19], 0
	v_mov_b64_e32 v[16:17], 0
	s_wait_dscnt 0x0
	s_barrier_signal -1
	s_barrier_wait -1
	s_and_saveexec_b32 s37, s1
	s_cbranch_execz .LBB82_70
; %bb.67:                               ;   in Loop: Header=BB82_3 Depth=1
	ds_load_b128 v[16:19], v45 offset:2112
	ds_load_b128 v[20:23], v44 offset:2144
	s_wait_dscnt 0x0
	v_mul_f64_e32 v[2:3], v[18:19], v[22:23]
	v_mul_f64_e32 v[22:23], v[16:17], v[22:23]
	s_delay_alu instid0(VALU_DEP_2) | instskip(NEXT) | instid1(VALU_DEP_2)
	v_fma_f64 v[2:3], v[16:17], v[20:21], -v[2:3]
	v_fmac_f64_e32 v[22:23], v[18:19], v[20:21]
	s_delay_alu instid0(VALU_DEP_2) | instskip(NEXT) | instid1(VALU_DEP_2)
	v_add_f64_e32 v[16:17], 0, v[2:3]
	v_add_f64_e32 v[18:19], 0, v[22:23]
	s_and_saveexec_b32 s60, s11
	s_cbranch_execz .LBB82_69
; %bb.68:                               ;   in Loop: Header=BB82_3 Depth=1
	ds_load_b128 v[20:23], v1 offset:2128
	ds_load_b128 v[70:73], v46 offset:2656
	s_wait_dscnt 0x0
	v_mul_f64_e32 v[2:3], v[22:23], v[72:73]
	v_mul_f64_e32 v[72:73], v[20:21], v[72:73]
	s_delay_alu instid0(VALU_DEP_2) | instskip(NEXT) | instid1(VALU_DEP_2)
	v_fma_f64 v[2:3], v[20:21], v[70:71], -v[2:3]
	v_fmac_f64_e32 v[72:73], v[22:23], v[70:71]
	s_delay_alu instid0(VALU_DEP_2) | instskip(NEXT) | instid1(VALU_DEP_2)
	v_add_f64_e32 v[16:17], v[16:17], v[2:3]
	v_add_f64_e32 v[18:19], v[18:19], v[72:73]
.LBB82_69:                              ;   in Loop: Header=BB82_3 Depth=1
	s_or_b32 exec_lo, exec_lo, s60
	s_delay_alu instid0(VALU_DEP_2) | instskip(NEXT) | instid1(VALU_DEP_2)
	v_xor_b32_e32 v17, 0x80000000, v17
	v_xor_b32_e32 v19, 0x80000000, v19
.LBB82_70:                              ;   in Loop: Header=BB82_3 Depth=1
	s_or_b32 exec_lo, exec_lo, s37
	s_and_saveexec_b32 s37, s68
	s_cbranch_execz .LBB82_72
; %bb.71:                               ;   in Loop: Header=BB82_3 Depth=1
	ds_load_b128 v[20:23], v1 offset:3168
	s_wait_dscnt 0x0
	v_mul_f64_e32 v[2:3], v[18:19], v[22:23]
	v_mul_f64_e32 v[72:73], v[16:17], v[22:23]
	s_delay_alu instid0(VALU_DEP_2) | instskip(NEXT) | instid1(VALU_DEP_2)
	v_fma_f64 v[70:71], v[16:17], v[20:21], -v[2:3]
	v_fmac_f64_e32 v[72:73], v[18:19], v[20:21]
	s_delay_alu instid0(VALU_DEP_2) | instskip(NEXT) | instid1(VALU_DEP_2)
	v_mov_b64_e32 v[16:17], v[70:71]
	v_mov_b64_e32 v[18:19], v[72:73]
	ds_store_b128 v25, v[70:73]
.LBB82_72:                              ;   in Loop: Header=BB82_3 Depth=1
	s_or_b32 exec_lo, exec_lo, s37
	s_wait_dscnt 0x0
	s_barrier_signal -1
	s_barrier_wait -1
	s_and_saveexec_b32 s37, s69
	s_cbranch_execz .LBB82_74
; %bb.73:                               ;   in Loop: Header=BB82_3 Depth=1
	ds_load_b128 v[20:23], v25
	ds_load_b128 v[70:73], v1 offset:3184
	s_wait_dscnt 0x0
	v_mul_f64_e32 v[2:3], v[22:23], v[72:73]
	v_mul_f64_e32 v[72:73], v[20:21], v[72:73]
	s_delay_alu instid0(VALU_DEP_2) | instskip(NEXT) | instid1(VALU_DEP_2)
	v_fma_f64 v[2:3], v[20:21], v[70:71], -v[2:3]
	v_fmac_f64_e32 v[72:73], v[22:23], v[70:71]
	s_delay_alu instid0(VALU_DEP_2) | instskip(NEXT) | instid1(VALU_DEP_2)
	v_add_f64_e32 v[16:17], v[16:17], v[2:3]
	v_add_f64_e32 v[18:19], v[18:19], v[72:73]
.LBB82_74:                              ;   in Loop: Header=BB82_3 Depth=1
	s_or_b32 exec_lo, exec_lo, s37
	s_barrier_signal -1
	s_barrier_wait -1
	s_and_saveexec_b32 s37, s69
	s_cbranch_execz .LBB82_76
; %bb.75:                               ;   in Loop: Header=BB82_3 Depth=1
	ds_load_b128 v[20:23], v1 offset:3696
	s_wait_dscnt 0x0
	v_mul_f64_e32 v[2:3], v[18:19], v[22:23]
	v_mul_f64_e32 v[72:73], v[16:17], v[22:23]
	s_delay_alu instid0(VALU_DEP_2) | instskip(NEXT) | instid1(VALU_DEP_2)
	v_fma_f64 v[70:71], v[16:17], v[20:21], -v[2:3]
	v_fmac_f64_e32 v[72:73], v[18:19], v[20:21]
	s_delay_alu instid0(VALU_DEP_2) | instskip(NEXT) | instid1(VALU_DEP_2)
	v_mov_b64_e32 v[16:17], v[70:71]
	v_mov_b64_e32 v[18:19], v[72:73]
	ds_store_b128 v25, v[70:73]
.LBB82_76:                              ;   in Loop: Header=BB82_3 Depth=1
	s_or_b32 exec_lo, exec_lo, s37
	s_wait_dscnt 0x0
	s_barrier_signal -1
	s_barrier_wait -1
	s_barrier_signal -1
	s_barrier_wait -1
	s_and_saveexec_b32 s37, s1
; %bb.77:                               ;   in Loop: Header=BB82_3 Depth=1
	s_delay_alu instid0(VALU_DEP_2) | instskip(NEXT) | instid1(VALU_DEP_2)
	v_xor_b32_e32 v17, 0x80000000, v17
	v_xor_b32_e32 v19, 0x80000000, v19
	ds_store_b128 v44, v[16:19] offset:2144
; %bb.78:                               ;   in Loop: Header=BB82_3 Depth=1
	s_or_b32 exec_lo, exec_lo, s37
	s_wait_dscnt 0x0
	s_barrier_signal -1
	s_barrier_wait -1
	s_barrier_signal -1
	s_barrier_wait -1
	s_and_saveexec_b32 s37, s10
	s_cbranch_execz .LBB82_80
; %bb.79:                               ;   in Loop: Header=BB82_3 Depth=1
	ds_load_b128 v[16:19], v1 offset:3696
	ds_load_b128 v[20:23], v1 offset:3168
	;; [unrolled: 1-line block ×3, first 2 shown]
	s_wait_dscnt 0x1
	v_mul_f64_e32 v[2:3], v[16:17], v[22:23]
	v_mul_f64_e32 v[22:23], v[18:19], v[22:23]
	s_delay_alu instid0(VALU_DEP_2) | instskip(NEXT) | instid1(VALU_DEP_2)
	v_fmac_f64_e32 v[2:3], v[18:19], v[20:21]
	v_fma_f64 v[16:17], v[16:17], v[20:21], -v[22:23]
	s_wait_dscnt 0x0
	s_delay_alu instid0(VALU_DEP_2) | instskip(NEXT) | instid1(VALU_DEP_2)
	v_mul_f64_e32 v[20:21], v[2:3], v[72:73]
	v_mul_f64_e32 v[18:19], v[16:17], v[72:73]
	s_delay_alu instid0(VALU_DEP_2) | instskip(NEXT) | instid1(VALU_DEP_2)
	v_fma_f64 v[16:17], v[70:71], v[16:17], -v[20:21]
	v_fmac_f64_e32 v[18:19], v[70:71], v[2:3]
	ds_store_b128 v1, v[16:19] offset:3184
.LBB82_80:                              ;   in Loop: Header=BB82_3 Depth=1
	s_or_b32 exec_lo, exec_lo, s37
	v_mov_b64_e32 v[18:19], 0
	v_mov_b64_e32 v[16:17], 0
	s_wait_dscnt 0x0
	s_barrier_signal -1
	s_barrier_wait -1
	s_and_saveexec_b32 s37, s3
	s_cbranch_execz .LBB82_90
; %bb.81:                               ;   in Loop: Header=BB82_3 Depth=1
	ds_load_b128 v[16:19], v52
	ds_load_b128 v[20:23], v55 offset:128
	s_wait_dscnt 0x0
	v_mul_f64_e32 v[2:3], v[18:19], v[22:23]
	v_mul_f64_e32 v[22:23], v[16:17], v[22:23]
	s_delay_alu instid0(VALU_DEP_2) | instskip(NEXT) | instid1(VALU_DEP_2)
	v_fma_f64 v[2:3], v[16:17], v[20:21], -v[2:3]
	v_fmac_f64_e32 v[22:23], v[18:19], v[20:21]
	s_delay_alu instid0(VALU_DEP_2) | instskip(NEXT) | instid1(VALU_DEP_2)
	v_add_f64_e32 v[16:17], 0, v[2:3]
	v_add_f64_e32 v[18:19], 0, v[22:23]
	s_and_saveexec_b32 s60, s14
	s_cbranch_execnz .LBB82_522
; %bb.82:                               ;   in Loop: Header=BB82_3 Depth=1
	s_or_b32 exec_lo, exec_lo, s60
	s_and_saveexec_b32 s60, s15
	s_cbranch_execnz .LBB82_523
.LBB82_83:                              ;   in Loop: Header=BB82_3 Depth=1
	s_or_b32 exec_lo, exec_lo, s60
	s_and_saveexec_b32 s60, s16
	s_cbranch_execnz .LBB82_524
.LBB82_84:                              ;   in Loop: Header=BB82_3 Depth=1
	s_or_b32 exec_lo, exec_lo, s60
	s_and_saveexec_b32 s60, s17
	s_cbranch_execnz .LBB82_525
.LBB82_85:                              ;   in Loop: Header=BB82_3 Depth=1
	s_or_b32 exec_lo, exec_lo, s60
	s_and_saveexec_b32 s60, s18
	s_cbranch_execnz .LBB82_526
.LBB82_86:                              ;   in Loop: Header=BB82_3 Depth=1
	s_or_b32 exec_lo, exec_lo, s60
	s_and_saveexec_b32 s60, s2
	s_cbranch_execnz .LBB82_527
.LBB82_87:                              ;   in Loop: Header=BB82_3 Depth=1
	s_or_b32 exec_lo, exec_lo, s60
	s_and_saveexec_b32 s60, s13
	s_cbranch_execz .LBB82_89
.LBB82_88:                              ;   in Loop: Header=BB82_3 Depth=1
	ds_load_b128 v[20:23], v1 offset:112
	ds_load_b128 v[70:73], v46 offset:3712
	s_wait_dscnt 0x0
	v_mul_f64_e32 v[2:3], v[22:23], v[72:73]
	v_mul_f64_e32 v[72:73], v[20:21], v[72:73]
	s_delay_alu instid0(VALU_DEP_2) | instskip(NEXT) | instid1(VALU_DEP_2)
	v_fma_f64 v[2:3], v[20:21], v[70:71], -v[2:3]
	v_fmac_f64_e32 v[72:73], v[22:23], v[70:71]
	s_delay_alu instid0(VALU_DEP_2) | instskip(NEXT) | instid1(VALU_DEP_2)
	v_add_f64_e32 v[16:17], v[16:17], v[2:3]
	v_add_f64_e32 v[18:19], v[18:19], v[72:73]
.LBB82_89:                              ;   in Loop: Header=BB82_3 Depth=1
	s_or_b32 exec_lo, exec_lo, s60
	s_delay_alu instid0(VALU_DEP_2) | instskip(NEXT) | instid1(VALU_DEP_2)
	v_xor_b32_e32 v17, 0x80000000, v17
	v_xor_b32_e32 v19, 0x80000000, v19
.LBB82_90:                              ;   in Loop: Header=BB82_3 Depth=1
	s_or_b32 exec_lo, exec_lo, s37
	s_and_saveexec_b32 s37, s76
	s_cbranch_execz .LBB82_92
; %bb.91:                               ;   in Loop: Header=BB82_3 Depth=1
	ds_load_b128 v[20:23], v1 offset:4224
	s_wait_dscnt 0x0
	v_mul_f64_e32 v[2:3], v[18:19], v[22:23]
	v_mul_f64_e32 v[72:73], v[16:17], v[22:23]
	s_delay_alu instid0(VALU_DEP_2) | instskip(NEXT) | instid1(VALU_DEP_2)
	v_fma_f64 v[70:71], v[16:17], v[20:21], -v[2:3]
	v_fmac_f64_e32 v[72:73], v[18:19], v[20:21]
	s_delay_alu instid0(VALU_DEP_2) | instskip(NEXT) | instid1(VALU_DEP_2)
	v_mov_b64_e32 v[16:17], v[70:71]
	v_mov_b64_e32 v[18:19], v[72:73]
	ds_store_b128 v54, v[70:73]
.LBB82_92:                              ;   in Loop: Header=BB82_3 Depth=1
	s_or_b32 exec_lo, exec_lo, s37
	s_wait_dscnt 0x0
	s_barrier_signal -1
	s_barrier_wait -1
	s_and_saveexec_b32 s37, s77
	s_cbranch_execz .LBB82_94
; %bb.93:                               ;   in Loop: Header=BB82_3 Depth=1
	ds_load_b128 v[20:23], v54
	ds_load_b128 v[70:73], v53 offset:4224
	s_wait_dscnt 0x0
	v_mul_f64_e32 v[2:3], v[22:23], v[72:73]
	v_mul_f64_e32 v[72:73], v[20:21], v[72:73]
	s_delay_alu instid0(VALU_DEP_2) | instskip(NEXT) | instid1(VALU_DEP_2)
	v_fma_f64 v[2:3], v[20:21], v[70:71], -v[2:3]
	v_fmac_f64_e32 v[72:73], v[22:23], v[70:71]
	s_delay_alu instid0(VALU_DEP_2) | instskip(NEXT) | instid1(VALU_DEP_2)
	v_add_f64_e32 v[16:17], v[16:17], v[2:3]
	v_add_f64_e32 v[18:19], v[18:19], v[72:73]
.LBB82_94:                              ;   in Loop: Header=BB82_3 Depth=1
	s_or_b32 exec_lo, exec_lo, s37
	s_barrier_signal -1
	s_barrier_wait -1
	s_and_saveexec_b32 s37, s78
	s_cbranch_execz .LBB82_96
; %bb.95:                               ;   in Loop: Header=BB82_3 Depth=1
	ds_load_b128 v[20:23], v1 offset:4752
	s_wait_dscnt 0x0
	v_mul_f64_e32 v[2:3], v[18:19], v[22:23]
	v_mul_f64_e32 v[72:73], v[16:17], v[22:23]
	s_delay_alu instid0(VALU_DEP_2) | instskip(NEXT) | instid1(VALU_DEP_2)
	v_fma_f64 v[70:71], v[16:17], v[20:21], -v[2:3]
	v_fmac_f64_e32 v[72:73], v[18:19], v[20:21]
	s_delay_alu instid0(VALU_DEP_2) | instskip(NEXT) | instid1(VALU_DEP_2)
	v_mov_b64_e32 v[16:17], v[70:71]
	v_mov_b64_e32 v[18:19], v[72:73]
	ds_store_b128 v54, v[70:73]
.LBB82_96:                              ;   in Loop: Header=BB82_3 Depth=1
	s_or_b32 exec_lo, exec_lo, s37
	s_wait_dscnt 0x0
	s_barrier_signal -1
	s_barrier_wait -1
	s_and_saveexec_b32 s37, s79
	s_cbranch_execz .LBB82_98
; %bb.97:                               ;   in Loop: Header=BB82_3 Depth=1
	ds_load_b128 v[20:23], v54
	ds_load_b128 v[70:73], v53 offset:4736
	s_wait_dscnt 0x0
	v_mul_f64_e32 v[2:3], v[22:23], v[72:73]
	v_mul_f64_e32 v[72:73], v[20:21], v[72:73]
	s_delay_alu instid0(VALU_DEP_2) | instskip(NEXT) | instid1(VALU_DEP_2)
	v_fma_f64 v[2:3], v[20:21], v[70:71], -v[2:3]
	v_fmac_f64_e32 v[72:73], v[22:23], v[70:71]
	s_delay_alu instid0(VALU_DEP_2) | instskip(NEXT) | instid1(VALU_DEP_2)
	v_add_f64_e32 v[16:17], v[16:17], v[2:3]
	v_add_f64_e32 v[18:19], v[18:19], v[72:73]
.LBB82_98:                              ;   in Loop: Header=BB82_3 Depth=1
	s_or_b32 exec_lo, exec_lo, s37
	s_barrier_signal -1
	s_barrier_wait -1
	s_and_saveexec_b32 s37, s80
	s_cbranch_execz .LBB82_100
; %bb.99:                               ;   in Loop: Header=BB82_3 Depth=1
	ds_load_b128 v[20:23], v1 offset:5280
	s_wait_dscnt 0x0
	v_mul_f64_e32 v[2:3], v[18:19], v[22:23]
	v_mul_f64_e32 v[72:73], v[16:17], v[22:23]
	s_delay_alu instid0(VALU_DEP_2) | instskip(NEXT) | instid1(VALU_DEP_2)
	v_fma_f64 v[70:71], v[16:17], v[20:21], -v[2:3]
	v_fmac_f64_e32 v[72:73], v[18:19], v[20:21]
	s_delay_alu instid0(VALU_DEP_2) | instskip(NEXT) | instid1(VALU_DEP_2)
	v_mov_b64_e32 v[16:17], v[70:71]
	v_mov_b64_e32 v[18:19], v[72:73]
	ds_store_b128 v54, v[70:73]
.LBB82_100:                             ;   in Loop: Header=BB82_3 Depth=1
	s_or_b32 exec_lo, exec_lo, s37
	s_wait_dscnt 0x0
	s_barrier_signal -1
	s_barrier_wait -1
	s_and_saveexec_b32 s37, s81
	s_cbranch_execz .LBB82_102
; %bb.101:                              ;   in Loop: Header=BB82_3 Depth=1
	ds_load_b128 v[20:23], v54
	ds_load_b128 v[70:73], v53 offset:5248
	s_wait_dscnt 0x0
	v_mul_f64_e32 v[2:3], v[22:23], v[72:73]
	v_mul_f64_e32 v[72:73], v[20:21], v[72:73]
	s_delay_alu instid0(VALU_DEP_2) | instskip(NEXT) | instid1(VALU_DEP_2)
	v_fma_f64 v[2:3], v[20:21], v[70:71], -v[2:3]
	v_fmac_f64_e32 v[72:73], v[22:23], v[70:71]
	s_delay_alu instid0(VALU_DEP_2) | instskip(NEXT) | instid1(VALU_DEP_2)
	v_add_f64_e32 v[16:17], v[16:17], v[2:3]
	v_add_f64_e32 v[18:19], v[18:19], v[72:73]
.LBB82_102:                             ;   in Loop: Header=BB82_3 Depth=1
	s_or_b32 exec_lo, exec_lo, s37
	s_barrier_signal -1
	s_barrier_wait -1
	s_and_saveexec_b32 s37, s82
	s_cbranch_execz .LBB82_104
; %bb.103:                              ;   in Loop: Header=BB82_3 Depth=1
	ds_load_b128 v[20:23], v1 offset:5808
	s_wait_dscnt 0x0
	v_mul_f64_e32 v[2:3], v[18:19], v[22:23]
	v_mul_f64_e32 v[72:73], v[16:17], v[22:23]
	s_delay_alu instid0(VALU_DEP_2) | instskip(NEXT) | instid1(VALU_DEP_2)
	v_fma_f64 v[70:71], v[16:17], v[20:21], -v[2:3]
	v_fmac_f64_e32 v[72:73], v[18:19], v[20:21]
	s_delay_alu instid0(VALU_DEP_2) | instskip(NEXT) | instid1(VALU_DEP_2)
	v_mov_b64_e32 v[16:17], v[70:71]
	v_mov_b64_e32 v[18:19], v[72:73]
	ds_store_b128 v54, v[70:73]
.LBB82_104:                             ;   in Loop: Header=BB82_3 Depth=1
	s_or_b32 exec_lo, exec_lo, s37
	s_wait_dscnt 0x0
	s_barrier_signal -1
	s_barrier_wait -1
	s_and_saveexec_b32 s37, s83
	s_cbranch_execz .LBB82_106
; %bb.105:                              ;   in Loop: Header=BB82_3 Depth=1
	ds_load_b128 v[20:23], v54
	ds_load_b128 v[70:73], v53 offset:5760
	s_wait_dscnt 0x0
	v_mul_f64_e32 v[2:3], v[22:23], v[72:73]
	v_mul_f64_e32 v[72:73], v[20:21], v[72:73]
	s_delay_alu instid0(VALU_DEP_2) | instskip(NEXT) | instid1(VALU_DEP_2)
	v_fma_f64 v[2:3], v[20:21], v[70:71], -v[2:3]
	v_fmac_f64_e32 v[72:73], v[22:23], v[70:71]
	s_delay_alu instid0(VALU_DEP_2) | instskip(NEXT) | instid1(VALU_DEP_2)
	v_add_f64_e32 v[16:17], v[16:17], v[2:3]
	v_add_f64_e32 v[18:19], v[18:19], v[72:73]
.LBB82_106:                             ;   in Loop: Header=BB82_3 Depth=1
	s_or_b32 exec_lo, exec_lo, s37
	s_barrier_signal -1
	s_barrier_wait -1
	s_and_saveexec_b32 s37, s84
	s_cbranch_execz .LBB82_108
; %bb.107:                              ;   in Loop: Header=BB82_3 Depth=1
	ds_load_b128 v[20:23], v1 offset:6336
	s_wait_dscnt 0x0
	v_mul_f64_e32 v[2:3], v[18:19], v[22:23]
	v_mul_f64_e32 v[72:73], v[16:17], v[22:23]
	s_delay_alu instid0(VALU_DEP_2) | instskip(NEXT) | instid1(VALU_DEP_2)
	v_fma_f64 v[70:71], v[16:17], v[20:21], -v[2:3]
	v_fmac_f64_e32 v[72:73], v[18:19], v[20:21]
	s_delay_alu instid0(VALU_DEP_2) | instskip(NEXT) | instid1(VALU_DEP_2)
	v_mov_b64_e32 v[16:17], v[70:71]
	v_mov_b64_e32 v[18:19], v[72:73]
	ds_store_b128 v54, v[70:73]
.LBB82_108:                             ;   in Loop: Header=BB82_3 Depth=1
	;; [unrolled: 37-line block ×5, first 2 shown]
	s_or_b32 exec_lo, exec_lo, s37
	s_wait_dscnt 0x0
	s_barrier_signal -1
	s_barrier_wait -1
	s_barrier_signal -1
	s_barrier_wait -1
	s_and_saveexec_b32 s37, s3
; %bb.121:                              ;   in Loop: Header=BB82_3 Depth=1
	s_delay_alu instid0(VALU_DEP_2) | instskip(NEXT) | instid1(VALU_DEP_2)
	v_xor_b32_e32 v17, 0x80000000, v17
	v_xor_b32_e32 v19, 0x80000000, v19
	ds_store_b128 v55, v[16:19] offset:128
; %bb.122:                              ;   in Loop: Header=BB82_3 Depth=1
	s_or_b32 exec_lo, exec_lo, s37
	s_wait_dscnt 0x0
	s_barrier_signal -1
	s_barrier_wait -1
	s_barrier_signal -1
	s_barrier_wait -1
	s_and_saveexec_b32 s37, s10
	s_cbranch_execz .LBB82_124
; %bb.123:                              ;   in Loop: Header=BB82_3 Depth=1
	ds_load_b128 v[16:19], v1 offset:4752
	ds_load_b128 v[20:23], v1 offset:4224
	;; [unrolled: 1-line block ×3, first 2 shown]
	s_wait_dscnt 0x1
	v_mul_f64_e32 v[2:3], v[16:17], v[22:23]
	v_mul_f64_e32 v[22:23], v[18:19], v[22:23]
	s_delay_alu instid0(VALU_DEP_2) | instskip(NEXT) | instid1(VALU_DEP_2)
	v_fmac_f64_e32 v[2:3], v[18:19], v[20:21]
	v_fma_f64 v[16:17], v[16:17], v[20:21], -v[22:23]
	s_wait_dscnt 0x0
	s_delay_alu instid0(VALU_DEP_2) | instskip(NEXT) | instid1(VALU_DEP_2)
	v_mul_f64_e32 v[20:21], v[2:3], v[72:73]
	v_mul_f64_e32 v[18:19], v[16:17], v[72:73]
	s_delay_alu instid0(VALU_DEP_2) | instskip(NEXT) | instid1(VALU_DEP_2)
	v_fma_f64 v[16:17], v[70:71], v[16:17], -v[20:21]
	v_fmac_f64_e32 v[18:19], v[70:71], v[2:3]
	ds_store_b128 v1, v[16:19] offset:4240
.LBB82_124:                             ;   in Loop: Header=BB82_3 Depth=1
	s_or_b32 exec_lo, exec_lo, s37
	v_mov_b64_e32 v[18:19], 0
	v_mov_b64_e32 v[16:17], 0
	s_wait_dscnt 0x0
	s_barrier_signal -1
	s_barrier_wait -1
	s_and_saveexec_b32 s37, s1
	s_cbranch_execz .LBB82_128
; %bb.125:                              ;   in Loop: Header=BB82_3 Depth=1
	ds_load_b128 v[16:19], v45 offset:4224
	ds_load_b128 v[20:23], v44 offset:4256
	s_wait_dscnt 0x0
	v_mul_f64_e32 v[2:3], v[18:19], v[22:23]
	v_mul_f64_e32 v[22:23], v[16:17], v[22:23]
	s_delay_alu instid0(VALU_DEP_2) | instskip(NEXT) | instid1(VALU_DEP_2)
	v_fma_f64 v[2:3], v[16:17], v[20:21], -v[2:3]
	v_fmac_f64_e32 v[22:23], v[18:19], v[20:21]
	s_delay_alu instid0(VALU_DEP_2) | instskip(NEXT) | instid1(VALU_DEP_2)
	v_add_f64_e32 v[16:17], 0, v[2:3]
	v_add_f64_e32 v[18:19], 0, v[22:23]
	s_and_saveexec_b32 s60, s11
	s_cbranch_execz .LBB82_127
; %bb.126:                              ;   in Loop: Header=BB82_3 Depth=1
	ds_load_b128 v[20:23], v1 offset:4240
	ds_load_b128 v[70:73], v46 offset:4768
	s_wait_dscnt 0x0
	v_mul_f64_e32 v[2:3], v[22:23], v[72:73]
	v_mul_f64_e32 v[72:73], v[20:21], v[72:73]
	s_delay_alu instid0(VALU_DEP_2) | instskip(NEXT) | instid1(VALU_DEP_2)
	v_fma_f64 v[2:3], v[20:21], v[70:71], -v[2:3]
	v_fmac_f64_e32 v[72:73], v[22:23], v[70:71]
	s_delay_alu instid0(VALU_DEP_2) | instskip(NEXT) | instid1(VALU_DEP_2)
	v_add_f64_e32 v[16:17], v[16:17], v[2:3]
	v_add_f64_e32 v[18:19], v[18:19], v[72:73]
.LBB82_127:                             ;   in Loop: Header=BB82_3 Depth=1
	s_or_b32 exec_lo, exec_lo, s60
	s_delay_alu instid0(VALU_DEP_2) | instskip(NEXT) | instid1(VALU_DEP_2)
	v_xor_b32_e32 v17, 0x80000000, v17
	v_xor_b32_e32 v19, 0x80000000, v19
.LBB82_128:                             ;   in Loop: Header=BB82_3 Depth=1
	s_or_b32 exec_lo, exec_lo, s37
	s_and_saveexec_b32 s37, s68
	s_cbranch_execz .LBB82_130
; %bb.129:                              ;   in Loop: Header=BB82_3 Depth=1
	ds_load_b128 v[20:23], v1 offset:5280
	s_wait_dscnt 0x0
	v_mul_f64_e32 v[2:3], v[18:19], v[22:23]
	v_mul_f64_e32 v[72:73], v[16:17], v[22:23]
	s_delay_alu instid0(VALU_DEP_2) | instskip(NEXT) | instid1(VALU_DEP_2)
	v_fma_f64 v[70:71], v[16:17], v[20:21], -v[2:3]
	v_fmac_f64_e32 v[72:73], v[18:19], v[20:21]
	s_delay_alu instid0(VALU_DEP_2) | instskip(NEXT) | instid1(VALU_DEP_2)
	v_mov_b64_e32 v[16:17], v[70:71]
	v_mov_b64_e32 v[18:19], v[72:73]
	ds_store_b128 v25, v[70:73]
.LBB82_130:                             ;   in Loop: Header=BB82_3 Depth=1
	s_or_b32 exec_lo, exec_lo, s37
	s_wait_dscnt 0x0
	s_barrier_signal -1
	s_barrier_wait -1
	s_and_saveexec_b32 s37, s69
	s_cbranch_execz .LBB82_132
; %bb.131:                              ;   in Loop: Header=BB82_3 Depth=1
	ds_load_b128 v[20:23], v25
	ds_load_b128 v[70:73], v1 offset:5296
	s_wait_dscnt 0x0
	v_mul_f64_e32 v[2:3], v[22:23], v[72:73]
	v_mul_f64_e32 v[72:73], v[20:21], v[72:73]
	s_delay_alu instid0(VALU_DEP_2) | instskip(NEXT) | instid1(VALU_DEP_2)
	v_fma_f64 v[2:3], v[20:21], v[70:71], -v[2:3]
	v_fmac_f64_e32 v[72:73], v[22:23], v[70:71]
	s_delay_alu instid0(VALU_DEP_2) | instskip(NEXT) | instid1(VALU_DEP_2)
	v_add_f64_e32 v[16:17], v[16:17], v[2:3]
	v_add_f64_e32 v[18:19], v[18:19], v[72:73]
.LBB82_132:                             ;   in Loop: Header=BB82_3 Depth=1
	s_or_b32 exec_lo, exec_lo, s37
	s_barrier_signal -1
	s_barrier_wait -1
	s_and_saveexec_b32 s37, s69
	s_cbranch_execz .LBB82_134
; %bb.133:                              ;   in Loop: Header=BB82_3 Depth=1
	ds_load_b128 v[20:23], v1 offset:5808
	s_wait_dscnt 0x0
	v_mul_f64_e32 v[2:3], v[18:19], v[22:23]
	v_mul_f64_e32 v[72:73], v[16:17], v[22:23]
	s_delay_alu instid0(VALU_DEP_2) | instskip(NEXT) | instid1(VALU_DEP_2)
	v_fma_f64 v[70:71], v[16:17], v[20:21], -v[2:3]
	v_fmac_f64_e32 v[72:73], v[18:19], v[20:21]
	s_delay_alu instid0(VALU_DEP_2) | instskip(NEXT) | instid1(VALU_DEP_2)
	v_mov_b64_e32 v[16:17], v[70:71]
	v_mov_b64_e32 v[18:19], v[72:73]
	ds_store_b128 v25, v[70:73]
.LBB82_134:                             ;   in Loop: Header=BB82_3 Depth=1
	s_or_b32 exec_lo, exec_lo, s37
	s_wait_dscnt 0x0
	s_barrier_signal -1
	s_barrier_wait -1
	s_barrier_signal -1
	s_barrier_wait -1
	s_and_saveexec_b32 s37, s1
; %bb.135:                              ;   in Loop: Header=BB82_3 Depth=1
	s_delay_alu instid0(VALU_DEP_2) | instskip(NEXT) | instid1(VALU_DEP_2)
	v_xor_b32_e32 v17, 0x80000000, v17
	v_xor_b32_e32 v19, 0x80000000, v19
	ds_store_b128 v44, v[16:19] offset:4256
; %bb.136:                              ;   in Loop: Header=BB82_3 Depth=1
	s_or_b32 exec_lo, exec_lo, s37
	s_wait_dscnt 0x0
	s_barrier_signal -1
	s_barrier_wait -1
	s_barrier_signal -1
	s_barrier_wait -1
	s_and_saveexec_b32 s37, s10
	s_cbranch_execz .LBB82_138
; %bb.137:                              ;   in Loop: Header=BB82_3 Depth=1
	ds_load_b128 v[16:19], v1 offset:5808
	ds_load_b128 v[20:23], v1 offset:5280
	;; [unrolled: 1-line block ×3, first 2 shown]
	s_wait_dscnt 0x1
	v_mul_f64_e32 v[2:3], v[16:17], v[22:23]
	v_mul_f64_e32 v[22:23], v[18:19], v[22:23]
	s_delay_alu instid0(VALU_DEP_2) | instskip(NEXT) | instid1(VALU_DEP_2)
	v_fmac_f64_e32 v[2:3], v[18:19], v[20:21]
	v_fma_f64 v[16:17], v[16:17], v[20:21], -v[22:23]
	s_wait_dscnt 0x0
	s_delay_alu instid0(VALU_DEP_2) | instskip(NEXT) | instid1(VALU_DEP_2)
	v_mul_f64_e32 v[20:21], v[2:3], v[72:73]
	v_mul_f64_e32 v[18:19], v[16:17], v[72:73]
	s_delay_alu instid0(VALU_DEP_2) | instskip(NEXT) | instid1(VALU_DEP_2)
	v_fma_f64 v[16:17], v[70:71], v[16:17], -v[20:21]
	v_fmac_f64_e32 v[18:19], v[70:71], v[2:3]
	ds_store_b128 v1, v[16:19] offset:5296
.LBB82_138:                             ;   in Loop: Header=BB82_3 Depth=1
	s_or_b32 exec_lo, exec_lo, s37
	v_mov_b64_e32 v[18:19], 0
	v_mov_b64_e32 v[16:17], 0
	s_wait_dscnt 0x0
	s_barrier_signal -1
	s_barrier_wait -1
	s_and_saveexec_b32 s37, s2
	s_cbranch_execz .LBB82_144
; %bb.139:                              ;   in Loop: Header=BB82_3 Depth=1
	ds_load_b128 v[16:19], v47 offset:4224
	ds_load_b128 v[20:23], v50 offset:4288
	s_wait_dscnt 0x0
	v_mul_f64_e32 v[2:3], v[18:19], v[22:23]
	v_mul_f64_e32 v[22:23], v[16:17], v[22:23]
	s_delay_alu instid0(VALU_DEP_2) | instskip(NEXT) | instid1(VALU_DEP_2)
	v_fma_f64 v[2:3], v[16:17], v[20:21], -v[2:3]
	v_fmac_f64_e32 v[22:23], v[18:19], v[20:21]
	s_delay_alu instid0(VALU_DEP_2) | instskip(NEXT) | instid1(VALU_DEP_2)
	v_add_f64_e32 v[16:17], 0, v[2:3]
	v_add_f64_e32 v[18:19], 0, v[22:23]
	s_and_saveexec_b32 s60, s12
	s_cbranch_execnz .LBB82_528
; %bb.140:                              ;   in Loop: Header=BB82_3 Depth=1
	s_or_b32 exec_lo, exec_lo, s60
	s_and_saveexec_b32 s60, s13
	s_cbranch_execnz .LBB82_529
.LBB82_141:                             ;   in Loop: Header=BB82_3 Depth=1
	s_or_b32 exec_lo, exec_lo, s60
	s_and_saveexec_b32 s60, s1
	s_cbranch_execz .LBB82_143
.LBB82_142:                             ;   in Loop: Header=BB82_3 Depth=1
	ds_load_b128 v[20:23], v1 offset:4272
	ds_load_b128 v[70:73], v46 offset:5824
	s_wait_dscnt 0x0
	v_mul_f64_e32 v[2:3], v[22:23], v[72:73]
	v_mul_f64_e32 v[72:73], v[20:21], v[72:73]
	s_delay_alu instid0(VALU_DEP_2) | instskip(NEXT) | instid1(VALU_DEP_2)
	v_fma_f64 v[2:3], v[20:21], v[70:71], -v[2:3]
	v_fmac_f64_e32 v[72:73], v[22:23], v[70:71]
	s_delay_alu instid0(VALU_DEP_2) | instskip(NEXT) | instid1(VALU_DEP_2)
	v_add_f64_e32 v[16:17], v[16:17], v[2:3]
	v_add_f64_e32 v[18:19], v[18:19], v[72:73]
.LBB82_143:                             ;   in Loop: Header=BB82_3 Depth=1
	s_or_b32 exec_lo, exec_lo, s60
	s_delay_alu instid0(VALU_DEP_2) | instskip(NEXT) | instid1(VALU_DEP_2)
	v_xor_b32_e32 v17, 0x80000000, v17
	v_xor_b32_e32 v19, 0x80000000, v19
.LBB82_144:                             ;   in Loop: Header=BB82_3 Depth=1
	s_or_b32 exec_lo, exec_lo, s37
	s_and_saveexec_b32 s37, s70
	s_cbranch_execz .LBB82_146
; %bb.145:                              ;   in Loop: Header=BB82_3 Depth=1
	ds_load_b128 v[20:23], v1 offset:6336
	s_wait_dscnt 0x0
	v_mul_f64_e32 v[2:3], v[18:19], v[22:23]
	v_mul_f64_e32 v[72:73], v[16:17], v[22:23]
	s_delay_alu instid0(VALU_DEP_2) | instskip(NEXT) | instid1(VALU_DEP_2)
	v_fma_f64 v[70:71], v[16:17], v[20:21], -v[2:3]
	v_fmac_f64_e32 v[72:73], v[18:19], v[20:21]
	s_delay_alu instid0(VALU_DEP_2) | instskip(NEXT) | instid1(VALU_DEP_2)
	v_mov_b64_e32 v[16:17], v[70:71]
	v_mov_b64_e32 v[18:19], v[72:73]
	ds_store_b128 v49, v[70:73]
.LBB82_146:                             ;   in Loop: Header=BB82_3 Depth=1
	s_or_b32 exec_lo, exec_lo, s37
	s_wait_dscnt 0x0
	s_barrier_signal -1
	s_barrier_wait -1
	s_and_saveexec_b32 s37, s71
	s_cbranch_execz .LBB82_148
; %bb.147:                              ;   in Loop: Header=BB82_3 Depth=1
	ds_load_b128 v[20:23], v49
	ds_load_b128 v[70:73], v48 offset:6336
	s_wait_dscnt 0x0
	v_mul_f64_e32 v[2:3], v[22:23], v[72:73]
	v_mul_f64_e32 v[72:73], v[20:21], v[72:73]
	s_delay_alu instid0(VALU_DEP_2) | instskip(NEXT) | instid1(VALU_DEP_2)
	v_fma_f64 v[2:3], v[20:21], v[70:71], -v[2:3]
	v_fmac_f64_e32 v[72:73], v[22:23], v[70:71]
	s_delay_alu instid0(VALU_DEP_2) | instskip(NEXT) | instid1(VALU_DEP_2)
	v_add_f64_e32 v[16:17], v[16:17], v[2:3]
	v_add_f64_e32 v[18:19], v[18:19], v[72:73]
.LBB82_148:                             ;   in Loop: Header=BB82_3 Depth=1
	s_or_b32 exec_lo, exec_lo, s37
	s_barrier_signal -1
	s_barrier_wait -1
	s_and_saveexec_b32 s37, s72
	s_cbranch_execz .LBB82_150
; %bb.149:                              ;   in Loop: Header=BB82_3 Depth=1
	ds_load_b128 v[20:23], v1 offset:6864
	s_wait_dscnt 0x0
	v_mul_f64_e32 v[2:3], v[18:19], v[22:23]
	v_mul_f64_e32 v[72:73], v[16:17], v[22:23]
	s_delay_alu instid0(VALU_DEP_2) | instskip(NEXT) | instid1(VALU_DEP_2)
	v_fma_f64 v[70:71], v[16:17], v[20:21], -v[2:3]
	v_fmac_f64_e32 v[72:73], v[18:19], v[20:21]
	s_delay_alu instid0(VALU_DEP_2) | instskip(NEXT) | instid1(VALU_DEP_2)
	v_mov_b64_e32 v[16:17], v[70:71]
	v_mov_b64_e32 v[18:19], v[72:73]
	ds_store_b128 v49, v[70:73]
.LBB82_150:                             ;   in Loop: Header=BB82_3 Depth=1
	s_or_b32 exec_lo, exec_lo, s37
	s_wait_dscnt 0x0
	s_barrier_signal -1
	s_barrier_wait -1
	s_and_saveexec_b32 s37, s73
	s_cbranch_execz .LBB82_152
; %bb.151:                              ;   in Loop: Header=BB82_3 Depth=1
	ds_load_b128 v[20:23], v49
	ds_load_b128 v[70:73], v48 offset:6848
	s_wait_dscnt 0x0
	v_mul_f64_e32 v[2:3], v[22:23], v[72:73]
	v_mul_f64_e32 v[72:73], v[20:21], v[72:73]
	s_delay_alu instid0(VALU_DEP_2) | instskip(NEXT) | instid1(VALU_DEP_2)
	v_fma_f64 v[2:3], v[20:21], v[70:71], -v[2:3]
	v_fmac_f64_e32 v[72:73], v[22:23], v[70:71]
	s_delay_alu instid0(VALU_DEP_2) | instskip(NEXT) | instid1(VALU_DEP_2)
	v_add_f64_e32 v[16:17], v[16:17], v[2:3]
	v_add_f64_e32 v[18:19], v[18:19], v[72:73]
.LBB82_152:                             ;   in Loop: Header=BB82_3 Depth=1
	s_or_b32 exec_lo, exec_lo, s37
	s_barrier_signal -1
	s_barrier_wait -1
	;; [unrolled: 37-line block ×3, first 2 shown]
	s_and_saveexec_b32 s37, s75
	s_cbranch_execz .LBB82_158
; %bb.157:                              ;   in Loop: Header=BB82_3 Depth=1
	ds_load_b128 v[20:23], v1 offset:7920
	s_wait_dscnt 0x0
	v_mul_f64_e32 v[2:3], v[18:19], v[22:23]
	v_mul_f64_e32 v[72:73], v[16:17], v[22:23]
	s_delay_alu instid0(VALU_DEP_2) | instskip(NEXT) | instid1(VALU_DEP_2)
	v_fma_f64 v[70:71], v[16:17], v[20:21], -v[2:3]
	v_fmac_f64_e32 v[72:73], v[18:19], v[20:21]
	s_delay_alu instid0(VALU_DEP_2) | instskip(NEXT) | instid1(VALU_DEP_2)
	v_mov_b64_e32 v[16:17], v[70:71]
	v_mov_b64_e32 v[18:19], v[72:73]
	ds_store_b128 v49, v[70:73]
.LBB82_158:                             ;   in Loop: Header=BB82_3 Depth=1
	s_or_b32 exec_lo, exec_lo, s37
	s_wait_dscnt 0x0
	s_barrier_signal -1
	s_barrier_wait -1
	s_barrier_signal -1
	s_barrier_wait -1
	s_and_saveexec_b32 s37, s2
; %bb.159:                              ;   in Loop: Header=BB82_3 Depth=1
	s_delay_alu instid0(VALU_DEP_1) | instskip(NEXT) | instid1(VALU_DEP_3)
	v_xor_b32_e32 v19, 0x80000000, v19
	v_xor_b32_e32 v17, 0x80000000, v17
	ds_store_b128 v50, v[16:19] offset:4288
; %bb.160:                              ;   in Loop: Header=BB82_3 Depth=1
	s_or_b32 exec_lo, exec_lo, s37
	s_wait_dscnt 0x0
	s_barrier_signal -1
	s_barrier_wait -1
	s_barrier_signal -1
	s_barrier_wait -1
	s_and_saveexec_b32 s37, s10
	s_cbranch_execz .LBB82_162
; %bb.161:                              ;   in Loop: Header=BB82_3 Depth=1
	ds_load_b128 v[16:19], v1 offset:6864
	ds_load_b128 v[20:23], v1 offset:6336
	;; [unrolled: 1-line block ×3, first 2 shown]
	s_wait_dscnt 0x1
	v_mul_f64_e32 v[2:3], v[16:17], v[22:23]
	v_mul_f64_e32 v[22:23], v[18:19], v[22:23]
	s_delay_alu instid0(VALU_DEP_2) | instskip(NEXT) | instid1(VALU_DEP_2)
	v_fmac_f64_e32 v[2:3], v[18:19], v[20:21]
	v_fma_f64 v[16:17], v[16:17], v[20:21], -v[22:23]
	s_wait_dscnt 0x0
	s_delay_alu instid0(VALU_DEP_2) | instskip(NEXT) | instid1(VALU_DEP_2)
	v_mul_f64_e32 v[20:21], v[2:3], v[72:73]
	v_mul_f64_e32 v[18:19], v[16:17], v[72:73]
	s_delay_alu instid0(VALU_DEP_2) | instskip(NEXT) | instid1(VALU_DEP_2)
	v_fma_f64 v[16:17], v[70:71], v[16:17], -v[20:21]
	v_fmac_f64_e32 v[18:19], v[70:71], v[2:3]
	ds_store_b128 v1, v[16:19] offset:6352
.LBB82_162:                             ;   in Loop: Header=BB82_3 Depth=1
	s_or_b32 exec_lo, exec_lo, s37
	v_mov_b64_e32 v[18:19], 0
	v_mov_b64_e32 v[16:17], 0
	s_wait_dscnt 0x0
	s_barrier_signal -1
	s_barrier_wait -1
	s_and_saveexec_b32 s37, s1
	s_cbranch_execz .LBB82_166
; %bb.163:                              ;   in Loop: Header=BB82_3 Depth=1
	ds_load_b128 v[16:19], v45 offset:6336
	ds_load_b128 v[20:23], v44 offset:6368
	s_wait_dscnt 0x0
	v_mul_f64_e32 v[2:3], v[18:19], v[22:23]
	v_mul_f64_e32 v[22:23], v[16:17], v[22:23]
	s_delay_alu instid0(VALU_DEP_2) | instskip(NEXT) | instid1(VALU_DEP_2)
	v_fma_f64 v[2:3], v[16:17], v[20:21], -v[2:3]
	v_fmac_f64_e32 v[22:23], v[18:19], v[20:21]
	s_delay_alu instid0(VALU_DEP_2) | instskip(NEXT) | instid1(VALU_DEP_2)
	v_add_f64_e32 v[16:17], 0, v[2:3]
	v_add_f64_e32 v[18:19], 0, v[22:23]
	s_and_saveexec_b32 s60, s11
	s_cbranch_execz .LBB82_165
; %bb.164:                              ;   in Loop: Header=BB82_3 Depth=1
	ds_load_b128 v[20:23], v1 offset:6352
	ds_load_b128 v[70:73], v46 offset:6880
	s_wait_dscnt 0x0
	v_mul_f64_e32 v[2:3], v[22:23], v[72:73]
	v_mul_f64_e32 v[72:73], v[20:21], v[72:73]
	s_delay_alu instid0(VALU_DEP_2) | instskip(NEXT) | instid1(VALU_DEP_2)
	v_fma_f64 v[2:3], v[20:21], v[70:71], -v[2:3]
	v_fmac_f64_e32 v[72:73], v[22:23], v[70:71]
	s_delay_alu instid0(VALU_DEP_2) | instskip(NEXT) | instid1(VALU_DEP_2)
	v_add_f64_e32 v[16:17], v[16:17], v[2:3]
	v_add_f64_e32 v[18:19], v[18:19], v[72:73]
.LBB82_165:                             ;   in Loop: Header=BB82_3 Depth=1
	s_or_b32 exec_lo, exec_lo, s60
	s_delay_alu instid0(VALU_DEP_2) | instskip(NEXT) | instid1(VALU_DEP_2)
	v_xor_b32_e32 v17, 0x80000000, v17
	v_xor_b32_e32 v19, 0x80000000, v19
.LBB82_166:                             ;   in Loop: Header=BB82_3 Depth=1
	s_or_b32 exec_lo, exec_lo, s37
	s_and_saveexec_b32 s37, s68
	s_cbranch_execz .LBB82_168
; %bb.167:                              ;   in Loop: Header=BB82_3 Depth=1
	ds_load_b128 v[20:23], v1 offset:7392
	s_wait_dscnt 0x0
	v_mul_f64_e32 v[2:3], v[18:19], v[22:23]
	v_mul_f64_e32 v[72:73], v[16:17], v[22:23]
	s_delay_alu instid0(VALU_DEP_2) | instskip(NEXT) | instid1(VALU_DEP_2)
	v_fma_f64 v[70:71], v[16:17], v[20:21], -v[2:3]
	v_fmac_f64_e32 v[72:73], v[18:19], v[20:21]
	s_delay_alu instid0(VALU_DEP_2) | instskip(NEXT) | instid1(VALU_DEP_2)
	v_mov_b64_e32 v[16:17], v[70:71]
	v_mov_b64_e32 v[18:19], v[72:73]
	ds_store_b128 v25, v[70:73]
.LBB82_168:                             ;   in Loop: Header=BB82_3 Depth=1
	s_or_b32 exec_lo, exec_lo, s37
	s_wait_dscnt 0x0
	s_barrier_signal -1
	s_barrier_wait -1
	s_and_saveexec_b32 s37, s69
	s_cbranch_execz .LBB82_170
; %bb.169:                              ;   in Loop: Header=BB82_3 Depth=1
	ds_load_b128 v[20:23], v25
	ds_load_b128 v[70:73], v1 offset:7408
	s_wait_dscnt 0x0
	v_mul_f64_e32 v[2:3], v[22:23], v[72:73]
	v_mul_f64_e32 v[72:73], v[20:21], v[72:73]
	s_delay_alu instid0(VALU_DEP_2) | instskip(NEXT) | instid1(VALU_DEP_2)
	v_fma_f64 v[2:3], v[20:21], v[70:71], -v[2:3]
	v_fmac_f64_e32 v[72:73], v[22:23], v[70:71]
	s_delay_alu instid0(VALU_DEP_2) | instskip(NEXT) | instid1(VALU_DEP_2)
	v_add_f64_e32 v[16:17], v[16:17], v[2:3]
	v_add_f64_e32 v[18:19], v[18:19], v[72:73]
.LBB82_170:                             ;   in Loop: Header=BB82_3 Depth=1
	s_or_b32 exec_lo, exec_lo, s37
	s_barrier_signal -1
	s_barrier_wait -1
	s_and_saveexec_b32 s37, s69
	s_cbranch_execz .LBB82_172
; %bb.171:                              ;   in Loop: Header=BB82_3 Depth=1
	ds_load_b128 v[20:23], v1 offset:7920
	s_wait_dscnt 0x0
	v_mul_f64_e32 v[2:3], v[18:19], v[22:23]
	v_mul_f64_e32 v[72:73], v[16:17], v[22:23]
	s_delay_alu instid0(VALU_DEP_2) | instskip(NEXT) | instid1(VALU_DEP_2)
	v_fma_f64 v[70:71], v[16:17], v[20:21], -v[2:3]
	v_fmac_f64_e32 v[72:73], v[18:19], v[20:21]
	s_delay_alu instid0(VALU_DEP_2) | instskip(NEXT) | instid1(VALU_DEP_2)
	v_mov_b64_e32 v[16:17], v[70:71]
	v_mov_b64_e32 v[18:19], v[72:73]
	ds_store_b128 v25, v[70:73]
.LBB82_172:                             ;   in Loop: Header=BB82_3 Depth=1
	s_or_b32 exec_lo, exec_lo, s37
	s_wait_dscnt 0x0
	s_barrier_signal -1
	s_barrier_wait -1
	s_barrier_signal -1
	s_barrier_wait -1
	s_and_saveexec_b32 s37, s1
; %bb.173:                              ;   in Loop: Header=BB82_3 Depth=1
	s_delay_alu instid0(VALU_DEP_2) | instskip(NEXT) | instid1(VALU_DEP_2)
	v_xor_b32_e32 v17, 0x80000000, v17
	v_xor_b32_e32 v19, 0x80000000, v19
	ds_store_b128 v44, v[16:19] offset:6368
; %bb.174:                              ;   in Loop: Header=BB82_3 Depth=1
	s_or_b32 exec_lo, exec_lo, s37
	s_wait_dscnt 0x0
	s_barrier_signal -1
	s_barrier_wait -1
	s_barrier_signal -1
	s_barrier_wait -1
	s_and_saveexec_b32 s37, s10
	s_cbranch_execz .LBB82_176
; %bb.175:                              ;   in Loop: Header=BB82_3 Depth=1
	ds_load_b128 v[16:19], v1 offset:7920
	ds_load_b128 v[20:23], v1 offset:7392
	;; [unrolled: 1-line block ×3, first 2 shown]
	s_wait_dscnt 0x1
	v_mul_f64_e32 v[2:3], v[16:17], v[22:23]
	v_mul_f64_e32 v[22:23], v[18:19], v[22:23]
	s_delay_alu instid0(VALU_DEP_2) | instskip(NEXT) | instid1(VALU_DEP_2)
	v_fmac_f64_e32 v[2:3], v[18:19], v[20:21]
	v_fma_f64 v[16:17], v[16:17], v[20:21], -v[22:23]
	s_wait_dscnt 0x0
	s_delay_alu instid0(VALU_DEP_2) | instskip(NEXT) | instid1(VALU_DEP_2)
	v_mul_f64_e32 v[20:21], v[2:3], v[72:73]
	v_mul_f64_e32 v[18:19], v[16:17], v[72:73]
	s_delay_alu instid0(VALU_DEP_2) | instskip(NEXT) | instid1(VALU_DEP_2)
	v_fma_f64 v[16:17], v[70:71], v[16:17], -v[20:21]
	v_fmac_f64_e32 v[18:19], v[70:71], v[2:3]
	ds_store_b128 v1, v[16:19] offset:7408
.LBB82_176:                             ;   in Loop: Header=BB82_3 Depth=1
	s_or_b32 exec_lo, exec_lo, s37
	v_mov_b64_e32 v[18:19], 0
	v_mov_b64_e32 v[16:17], 0
	s_wait_dscnt 0x0
	s_barrier_signal -1
	s_barrier_wait -1
	s_and_saveexec_b32 s37, s4
	s_cbranch_execz .LBB82_204
; %bb.177:                              ;   in Loop: Header=BB82_3 Depth=1
	v_add_nc_u32_e32 v0, v58, v57
	ds_load_b128 v[16:19], v61 offset:256
	ds_load_b128 v[20:23], v0
	s_wait_dscnt 0x0
	v_mul_f64_e32 v[2:3], v[22:23], v[18:19]
	v_mul_f64_e32 v[18:19], v[20:21], v[18:19]
	s_delay_alu instid0(VALU_DEP_2) | instskip(NEXT) | instid1(VALU_DEP_2)
	v_fma_f64 v[2:3], v[20:21], v[16:17], -v[2:3]
	v_fmac_f64_e32 v[18:19], v[22:23], v[16:17]
	s_delay_alu instid0(VALU_DEP_2) | instskip(NEXT) | instid1(VALU_DEP_2)
	v_add_f64_e32 v[16:17], 0, v[2:3]
	v_add_f64_e32 v[18:19], 0, v[18:19]
	s_mov_b32 s60, exec_lo
	v_readlane_b32 s61, v76, 15
	s_and_b32 s61, s60, s61
	s_delay_alu instid0(SALU_CYCLE_1)
	s_mov_b32 exec_lo, s61
	s_cbranch_execz .LBB82_179
; %bb.178:                              ;   in Loop: Header=BB82_3 Depth=1
	ds_load_b128 v[20:23], v0 offset:16
	ds_load_b128 v[70:73], v61 offset:768
	s_wait_dscnt 0x0
	v_mul_f64_e32 v[2:3], v[22:23], v[72:73]
	v_mul_f64_e32 v[72:73], v[20:21], v[72:73]
	s_delay_alu instid0(VALU_DEP_2) | instskip(NEXT) | instid1(VALU_DEP_2)
	v_fma_f64 v[2:3], v[20:21], v[70:71], -v[2:3]
	v_fmac_f64_e32 v[72:73], v[22:23], v[70:71]
	s_delay_alu instid0(VALU_DEP_2) | instskip(NEXT) | instid1(VALU_DEP_2)
	v_add_f64_e32 v[16:17], v[16:17], v[2:3]
	v_add_f64_e32 v[18:19], v[18:19], v[72:73]
.LBB82_179:                             ;   in Loop: Header=BB82_3 Depth=1
	s_or_b32 exec_lo, exec_lo, s60
	s_delay_alu instid0(SALU_CYCLE_1) | instskip(SKIP_2) | instid1(SALU_CYCLE_1)
	s_mov_b32 s60, exec_lo
	v_readlane_b32 s61, v76, 16
	s_and_b32 s61, s60, s61
	s_mov_b32 exec_lo, s61
	s_cbranch_execz .LBB82_181
; %bb.180:                              ;   in Loop: Header=BB82_3 Depth=1
	ds_load_b128 v[20:23], v0 offset:32
	ds_load_b128 v[70:73], v61 offset:1280
	s_wait_dscnt 0x0
	v_mul_f64_e32 v[2:3], v[22:23], v[72:73]
	v_mul_f64_e32 v[72:73], v[20:21], v[72:73]
	s_delay_alu instid0(VALU_DEP_2) | instskip(NEXT) | instid1(VALU_DEP_2)
	v_fma_f64 v[2:3], v[20:21], v[70:71], -v[2:3]
	v_fmac_f64_e32 v[72:73], v[22:23], v[70:71]
	s_delay_alu instid0(VALU_DEP_2) | instskip(NEXT) | instid1(VALU_DEP_2)
	v_add_f64_e32 v[16:17], v[16:17], v[2:3]
	v_add_f64_e32 v[18:19], v[18:19], v[72:73]
.LBB82_181:                             ;   in Loop: Header=BB82_3 Depth=1
	s_or_b32 exec_lo, exec_lo, s60
	s_delay_alu instid0(SALU_CYCLE_1) | instskip(SKIP_2) | instid1(SALU_CYCLE_1)
	s_mov_b32 s60, exec_lo
	v_readlane_b32 s61, v76, 17
	s_and_b32 s61, s60, s61
	;; [unrolled: 20-line block ×10, first 2 shown]
	s_mov_b32 exec_lo, s61
	s_cbranch_execnz .LBB82_530
; %bb.198:                              ;   in Loop: Header=BB82_3 Depth=1
	s_or_b32 exec_lo, exec_lo, s60
	s_and_saveexec_b32 s60, s3
	s_cbranch_execnz .LBB82_531
.LBB82_199:                             ;   in Loop: Header=BB82_3 Depth=1
	s_or_b32 exec_lo, exec_lo, s60
	s_and_saveexec_b32 s60, s15
	s_cbranch_execnz .LBB82_532
.LBB82_200:                             ;   in Loop: Header=BB82_3 Depth=1
	s_or_b32 exec_lo, exec_lo, s60
	s_and_saveexec_b32 s60, s17
	s_cbranch_execnz .LBB82_533
.LBB82_201:                             ;   in Loop: Header=BB82_3 Depth=1
	s_or_b32 exec_lo, exec_lo, s60
	s_and_saveexec_b32 s60, s2
	s_cbranch_execz .LBB82_203
.LBB82_202:                             ;   in Loop: Header=BB82_3 Depth=1
	ds_load_b128 v[20:23], v1 offset:240
	ds_load_b128 v[70:73], v46 offset:7936
	s_wait_dscnt 0x0
	v_mul_f64_e32 v[2:3], v[22:23], v[72:73]
	v_mul_f64_e32 v[72:73], v[20:21], v[72:73]
	s_delay_alu instid0(VALU_DEP_2) | instskip(NEXT) | instid1(VALU_DEP_2)
	v_fma_f64 v[2:3], v[20:21], v[70:71], -v[2:3]
	v_fmac_f64_e32 v[72:73], v[22:23], v[70:71]
	s_delay_alu instid0(VALU_DEP_2) | instskip(NEXT) | instid1(VALU_DEP_2)
	v_add_f64_e32 v[16:17], v[16:17], v[2:3]
	v_add_f64_e32 v[18:19], v[18:19], v[72:73]
.LBB82_203:                             ;   in Loop: Header=BB82_3 Depth=1
	s_or_b32 exec_lo, exec_lo, s60
	s_delay_alu instid0(VALU_DEP_2) | instskip(NEXT) | instid1(VALU_DEP_2)
	v_xor_b32_e32 v17, 0x80000000, v17
	v_xor_b32_e32 v19, 0x80000000, v19
.LBB82_204:                             ;   in Loop: Header=BB82_3 Depth=1
	s_or_b32 exec_lo, exec_lo, s37
	s_delay_alu instid0(SALU_CYCLE_1) | instskip(SKIP_2) | instid1(SALU_CYCLE_1)
	s_mov_b32 s37, exec_lo
	v_readlane_b32 s60, v76, 0
	s_and_b32 s60, s37, s60
	s_mov_b32 exec_lo, s60
	s_cbranch_execz .LBB82_206
; %bb.205:                              ;   in Loop: Header=BB82_3 Depth=1
	ds_load_b128 v[20:23], v1 offset:8448
	s_wait_dscnt 0x0
	v_mul_f64_e32 v[2:3], v[18:19], v[22:23]
	v_mul_f64_e32 v[72:73], v[16:17], v[22:23]
	s_delay_alu instid0(VALU_DEP_2) | instskip(NEXT) | instid1(VALU_DEP_2)
	v_fma_f64 v[70:71], v[16:17], v[20:21], -v[2:3]
	v_fmac_f64_e32 v[72:73], v[18:19], v[20:21]
	s_delay_alu instid0(VALU_DEP_2) | instskip(NEXT) | instid1(VALU_DEP_2)
	v_mov_b64_e32 v[16:17], v[70:71]
	v_mov_b64_e32 v[18:19], v[72:73]
	ds_store_b128 v60, v[70:73]
.LBB82_206:                             ;   in Loop: Header=BB82_3 Depth=1
	s_or_b32 exec_lo, exec_lo, s37
	s_wait_dscnt 0x0
	s_barrier_signal -1
	s_barrier_wait -1
	s_mov_b32 s37, exec_lo
	v_readlane_b32 s60, v76, 1
	s_and_b32 s60, s37, s60
	s_delay_alu instid0(SALU_CYCLE_1)
	s_mov_b32 exec_lo, s60
	s_cbranch_execz .LBB82_208
; %bb.207:                              ;   in Loop: Header=BB82_3 Depth=1
	ds_load_b128 v[20:23], v60
	ds_load_b128 v[70:73], v59 offset:8448
	s_wait_dscnt 0x0
	v_mul_f64_e32 v[2:3], v[22:23], v[72:73]
	v_mul_f64_e32 v[72:73], v[20:21], v[72:73]
	s_delay_alu instid0(VALU_DEP_2) | instskip(NEXT) | instid1(VALU_DEP_2)
	v_fma_f64 v[2:3], v[20:21], v[70:71], -v[2:3]
	v_fmac_f64_e32 v[72:73], v[22:23], v[70:71]
	s_delay_alu instid0(VALU_DEP_2) | instskip(NEXT) | instid1(VALU_DEP_2)
	v_add_f64_e32 v[16:17], v[16:17], v[2:3]
	v_add_f64_e32 v[18:19], v[18:19], v[72:73]
.LBB82_208:                             ;   in Loop: Header=BB82_3 Depth=1
	s_or_b32 exec_lo, exec_lo, s37
	s_barrier_signal -1
	s_barrier_wait -1
	s_mov_b32 s37, exec_lo
	v_readlane_b32 s60, v76, 2
	s_and_b32 s60, s37, s60
	s_delay_alu instid0(SALU_CYCLE_1)
	s_mov_b32 exec_lo, s60
	s_cbranch_execz .LBB82_210
; %bb.209:                              ;   in Loop: Header=BB82_3 Depth=1
	ds_load_b128 v[20:23], v1 offset:8976
	s_wait_dscnt 0x0
	v_mul_f64_e32 v[2:3], v[18:19], v[22:23]
	v_mul_f64_e32 v[72:73], v[16:17], v[22:23]
	s_delay_alu instid0(VALU_DEP_2) | instskip(NEXT) | instid1(VALU_DEP_2)
	v_fma_f64 v[70:71], v[16:17], v[20:21], -v[2:3]
	v_fmac_f64_e32 v[72:73], v[18:19], v[20:21]
	s_delay_alu instid0(VALU_DEP_2) | instskip(NEXT) | instid1(VALU_DEP_2)
	v_mov_b64_e32 v[16:17], v[70:71]
	v_mov_b64_e32 v[18:19], v[72:73]
	ds_store_b128 v60, v[70:73]
.LBB82_210:                             ;   in Loop: Header=BB82_3 Depth=1
	s_or_b32 exec_lo, exec_lo, s37
	s_wait_dscnt 0x0
	s_barrier_signal -1
	s_barrier_wait -1
	s_mov_b32 s37, exec_lo
	v_readlane_b32 s60, v76, 3
	s_and_b32 s60, s37, s60
	s_delay_alu instid0(SALU_CYCLE_1)
	s_mov_b32 exec_lo, s60
	s_cbranch_execz .LBB82_212
; %bb.211:                              ;   in Loop: Header=BB82_3 Depth=1
	ds_load_b128 v[20:23], v60
	ds_load_b128 v[70:73], v59 offset:8960
	s_wait_dscnt 0x0
	v_mul_f64_e32 v[2:3], v[22:23], v[72:73]
	v_mul_f64_e32 v[72:73], v[20:21], v[72:73]
	s_delay_alu instid0(VALU_DEP_2) | instskip(NEXT) | instid1(VALU_DEP_2)
	v_fma_f64 v[2:3], v[20:21], v[70:71], -v[2:3]
	v_fmac_f64_e32 v[72:73], v[22:23], v[70:71]
	s_delay_alu instid0(VALU_DEP_2) | instskip(NEXT) | instid1(VALU_DEP_2)
	v_add_f64_e32 v[16:17], v[16:17], v[2:3]
	v_add_f64_e32 v[18:19], v[18:19], v[72:73]
.LBB82_212:                             ;   in Loop: Header=BB82_3 Depth=1
	s_or_b32 exec_lo, exec_lo, s37
	s_barrier_signal -1
	s_barrier_wait -1
	s_mov_b32 s37, exec_lo
	v_readlane_b32 s60, v76, 4
	s_and_b32 s60, s37, s60
	s_delay_alu instid0(SALU_CYCLE_1)
	;; [unrolled: 45-line block ×4, first 2 shown]
	s_mov_b32 exec_lo, s60
	s_cbranch_execz .LBB82_222
; %bb.221:                              ;   in Loop: Header=BB82_3 Depth=1
	ds_load_b128 v[20:23], v1 offset:10560
	s_wait_dscnt 0x0
	v_mul_f64_e32 v[2:3], v[18:19], v[22:23]
	v_mul_f64_e32 v[72:73], v[16:17], v[22:23]
	s_delay_alu instid0(VALU_DEP_2) | instskip(NEXT) | instid1(VALU_DEP_2)
	v_fma_f64 v[70:71], v[16:17], v[20:21], -v[2:3]
	v_fmac_f64_e32 v[72:73], v[18:19], v[20:21]
	s_delay_alu instid0(VALU_DEP_2) | instskip(NEXT) | instid1(VALU_DEP_2)
	v_mov_b64_e32 v[16:17], v[70:71]
	v_mov_b64_e32 v[18:19], v[72:73]
	ds_store_b128 v60, v[70:73]
.LBB82_222:                             ;   in Loop: Header=BB82_3 Depth=1
	s_or_b32 exec_lo, exec_lo, s37
	s_wait_dscnt 0x0
	s_barrier_signal -1
	s_barrier_wait -1
	s_mov_b32 s37, exec_lo
	v_readlane_b32 s60, v76, 9
	s_and_b32 s60, s37, s60
	s_delay_alu instid0(SALU_CYCLE_1)
	s_mov_b32 exec_lo, s60
	s_cbranch_execz .LBB82_224
; %bb.223:                              ;   in Loop: Header=BB82_3 Depth=1
	ds_load_b128 v[20:23], v60
	ds_load_b128 v[70:73], v59 offset:10496
	s_wait_dscnt 0x0
	v_mul_f64_e32 v[2:3], v[22:23], v[72:73]
	v_mul_f64_e32 v[72:73], v[20:21], v[72:73]
	s_delay_alu instid0(VALU_DEP_2) | instskip(NEXT) | instid1(VALU_DEP_2)
	v_fma_f64 v[2:3], v[20:21], v[70:71], -v[2:3]
	v_fmac_f64_e32 v[72:73], v[22:23], v[70:71]
	s_delay_alu instid0(VALU_DEP_2) | instskip(NEXT) | instid1(VALU_DEP_2)
	v_add_f64_e32 v[16:17], v[16:17], v[2:3]
	v_add_f64_e32 v[18:19], v[18:19], v[72:73]
.LBB82_224:                             ;   in Loop: Header=BB82_3 Depth=1
	s_or_b32 exec_lo, exec_lo, s37
	s_barrier_signal -1
	s_barrier_wait -1
	s_and_saveexec_b32 s37, s100
	s_cbranch_execz .LBB82_226
; %bb.225:                              ;   in Loop: Header=BB82_3 Depth=1
	ds_load_b128 v[20:23], v1 offset:11088
	s_wait_dscnt 0x0
	v_mul_f64_e32 v[2:3], v[18:19], v[22:23]
	v_mul_f64_e32 v[72:73], v[16:17], v[22:23]
	s_delay_alu instid0(VALU_DEP_2) | instskip(NEXT) | instid1(VALU_DEP_2)
	v_fma_f64 v[70:71], v[16:17], v[20:21], -v[2:3]
	v_fmac_f64_e32 v[72:73], v[18:19], v[20:21]
	s_delay_alu instid0(VALU_DEP_2) | instskip(NEXT) | instid1(VALU_DEP_2)
	v_mov_b64_e32 v[16:17], v[70:71]
	v_mov_b64_e32 v[18:19], v[72:73]
	ds_store_b128 v60, v[70:73]
.LBB82_226:                             ;   in Loop: Header=BB82_3 Depth=1
	s_or_b32 exec_lo, exec_lo, s37
	s_wait_dscnt 0x0
	s_barrier_signal -1
	s_barrier_wait -1
	s_and_saveexec_b32 s37, s101
	s_cbranch_execz .LBB82_228
; %bb.227:                              ;   in Loop: Header=BB82_3 Depth=1
	ds_load_b128 v[20:23], v60
	ds_load_b128 v[70:73], v59 offset:11008
	s_wait_dscnt 0x0
	v_mul_f64_e32 v[2:3], v[22:23], v[72:73]
	v_mul_f64_e32 v[72:73], v[20:21], v[72:73]
	s_delay_alu instid0(VALU_DEP_2) | instskip(NEXT) | instid1(VALU_DEP_2)
	v_fma_f64 v[2:3], v[20:21], v[70:71], -v[2:3]
	v_fmac_f64_e32 v[72:73], v[22:23], v[70:71]
	s_delay_alu instid0(VALU_DEP_2) | instskip(NEXT) | instid1(VALU_DEP_2)
	v_add_f64_e32 v[16:17], v[16:17], v[2:3]
	v_add_f64_e32 v[18:19], v[18:19], v[72:73]
.LBB82_228:                             ;   in Loop: Header=BB82_3 Depth=1
	s_or_b32 exec_lo, exec_lo, s37
	s_barrier_signal -1
	s_barrier_wait -1
	s_and_saveexec_b32 s37, s102
	s_cbranch_execz .LBB82_230
; %bb.229:                              ;   in Loop: Header=BB82_3 Depth=1
	ds_load_b128 v[20:23], v1 offset:11616
	s_wait_dscnt 0x0
	v_mul_f64_e32 v[2:3], v[18:19], v[22:23]
	v_mul_f64_e32 v[72:73], v[16:17], v[22:23]
	s_delay_alu instid0(VALU_DEP_2) | instskip(NEXT) | instid1(VALU_DEP_2)
	v_fma_f64 v[70:71], v[16:17], v[20:21], -v[2:3]
	v_fmac_f64_e32 v[72:73], v[18:19], v[20:21]
	s_delay_alu instid0(VALU_DEP_2) | instskip(NEXT) | instid1(VALU_DEP_2)
	v_mov_b64_e32 v[16:17], v[70:71]
	v_mov_b64_e32 v[18:19], v[72:73]
	ds_store_b128 v60, v[70:73]
.LBB82_230:                             ;   in Loop: Header=BB82_3 Depth=1
	s_or_b32 exec_lo, exec_lo, s37
	s_wait_dscnt 0x0
	s_barrier_signal -1
	s_barrier_wait -1
	s_and_saveexec_b32 s37, s103
	s_cbranch_execz .LBB82_232
; %bb.231:                              ;   in Loop: Header=BB82_3 Depth=1
	ds_load_b128 v[20:23], v60
	ds_load_b128 v[70:73], v59 offset:11520
	s_wait_dscnt 0x0
	v_mul_f64_e32 v[2:3], v[22:23], v[72:73]
	v_mul_f64_e32 v[72:73], v[20:21], v[72:73]
	s_delay_alu instid0(VALU_DEP_2) | instskip(NEXT) | instid1(VALU_DEP_2)
	v_fma_f64 v[2:3], v[20:21], v[70:71], -v[2:3]
	v_fmac_f64_e32 v[72:73], v[22:23], v[70:71]
	s_delay_alu instid0(VALU_DEP_2) | instskip(NEXT) | instid1(VALU_DEP_2)
	v_add_f64_e32 v[16:17], v[16:17], v[2:3]
	v_add_f64_e32 v[18:19], v[18:19], v[72:73]
.LBB82_232:                             ;   in Loop: Header=BB82_3 Depth=1
	s_or_b32 exec_lo, exec_lo, s37
	s_barrier_signal -1
	s_barrier_wait -1
	s_and_saveexec_b32 s37, s104
	s_cbranch_execz .LBB82_234
; %bb.233:                              ;   in Loop: Header=BB82_3 Depth=1
	ds_load_b128 v[20:23], v1 offset:12144
	s_wait_dscnt 0x0
	v_mul_f64_e32 v[2:3], v[18:19], v[22:23]
	v_mul_f64_e32 v[72:73], v[16:17], v[22:23]
	s_delay_alu instid0(VALU_DEP_2) | instskip(NEXT) | instid1(VALU_DEP_2)
	v_fma_f64 v[70:71], v[16:17], v[20:21], -v[2:3]
	v_fmac_f64_e32 v[72:73], v[18:19], v[20:21]
	s_delay_alu instid0(VALU_DEP_2) | instskip(NEXT) | instid1(VALU_DEP_2)
	v_mov_b64_e32 v[16:17], v[70:71]
	v_mov_b64_e32 v[18:19], v[72:73]
	ds_store_b128 v60, v[70:73]
.LBB82_234:                             ;   in Loop: Header=BB82_3 Depth=1
	s_or_b32 exec_lo, exec_lo, s37
	s_wait_dscnt 0x0
	s_barrier_signal -1
	s_barrier_wait -1
	s_and_saveexec_b32 s37, vcc_hi
	s_cbranch_execz .LBB82_236
; %bb.235:                              ;   in Loop: Header=BB82_3 Depth=1
	ds_load_b128 v[20:23], v60
	ds_load_b128 v[70:73], v59 offset:12032
	s_wait_dscnt 0x0
	v_mul_f64_e32 v[2:3], v[22:23], v[72:73]
	v_mul_f64_e32 v[72:73], v[20:21], v[72:73]
	s_delay_alu instid0(VALU_DEP_2) | instskip(NEXT) | instid1(VALU_DEP_2)
	v_fma_f64 v[2:3], v[20:21], v[70:71], -v[2:3]
	v_fmac_f64_e32 v[72:73], v[22:23], v[70:71]
	s_delay_alu instid0(VALU_DEP_2) | instskip(NEXT) | instid1(VALU_DEP_2)
	v_add_f64_e32 v[16:17], v[16:17], v[2:3]
	v_add_f64_e32 v[18:19], v[18:19], v[72:73]
.LBB82_236:                             ;   in Loop: Header=BB82_3 Depth=1
	s_or_b32 exec_lo, exec_lo, s37
	s_barrier_signal -1
	s_barrier_wait -1
	s_and_saveexec_b32 s37, s19
	s_cbranch_execz .LBB82_238
; %bb.237:                              ;   in Loop: Header=BB82_3 Depth=1
	ds_load_b128 v[20:23], v1 offset:12672
	s_wait_dscnt 0x0
	v_mul_f64_e32 v[2:3], v[18:19], v[22:23]
	v_mul_f64_e32 v[72:73], v[16:17], v[22:23]
	s_delay_alu instid0(VALU_DEP_2) | instskip(NEXT) | instid1(VALU_DEP_2)
	v_fma_f64 v[70:71], v[16:17], v[20:21], -v[2:3]
	v_fmac_f64_e32 v[72:73], v[18:19], v[20:21]
	s_delay_alu instid0(VALU_DEP_2) | instskip(NEXT) | instid1(VALU_DEP_2)
	v_mov_b64_e32 v[16:17], v[70:71]
	v_mov_b64_e32 v[18:19], v[72:73]
	ds_store_b128 v60, v[70:73]
.LBB82_238:                             ;   in Loop: Header=BB82_3 Depth=1
	s_or_b32 exec_lo, exec_lo, s37
	s_wait_dscnt 0x0
	s_barrier_signal -1
	s_barrier_wait -1
	s_and_saveexec_b32 s37, s20
	s_cbranch_execz .LBB82_240
; %bb.239:                              ;   in Loop: Header=BB82_3 Depth=1
	ds_load_b128 v[20:23], v60
	ds_load_b128 v[70:73], v59 offset:12544
	s_wait_dscnt 0x0
	v_mul_f64_e32 v[2:3], v[22:23], v[72:73]
	v_mul_f64_e32 v[72:73], v[20:21], v[72:73]
	s_delay_alu instid0(VALU_DEP_2) | instskip(NEXT) | instid1(VALU_DEP_2)
	v_fma_f64 v[2:3], v[20:21], v[70:71], -v[2:3]
	v_fmac_f64_e32 v[72:73], v[22:23], v[70:71]
	s_delay_alu instid0(VALU_DEP_2) | instskip(NEXT) | instid1(VALU_DEP_2)
	v_add_f64_e32 v[16:17], v[16:17], v[2:3]
	v_add_f64_e32 v[18:19], v[18:19], v[72:73]
.LBB82_240:                             ;   in Loop: Header=BB82_3 Depth=1
	s_or_b32 exec_lo, exec_lo, s37
	s_barrier_signal -1
	s_barrier_wait -1
	s_and_saveexec_b32 s37, s21
	s_cbranch_execz .LBB82_242
; %bb.241:                              ;   in Loop: Header=BB82_3 Depth=1
	ds_load_b128 v[20:23], v1 offset:13200
	s_wait_dscnt 0x0
	v_mul_f64_e32 v[2:3], v[18:19], v[22:23]
	v_mul_f64_e32 v[72:73], v[16:17], v[22:23]
	s_delay_alu instid0(VALU_DEP_2) | instskip(NEXT) | instid1(VALU_DEP_2)
	v_fma_f64 v[70:71], v[16:17], v[20:21], -v[2:3]
	v_fmac_f64_e32 v[72:73], v[18:19], v[20:21]
	s_delay_alu instid0(VALU_DEP_2) | instskip(NEXT) | instid1(VALU_DEP_2)
	v_mov_b64_e32 v[16:17], v[70:71]
	v_mov_b64_e32 v[18:19], v[72:73]
	ds_store_b128 v60, v[70:73]
.LBB82_242:                             ;   in Loop: Header=BB82_3 Depth=1
	s_or_b32 exec_lo, exec_lo, s37
	s_wait_dscnt 0x0
	s_barrier_signal -1
	s_barrier_wait -1
	s_and_saveexec_b32 s37, s22
	;; [unrolled: 37-line block ×7, first 2 shown]
	s_cbranch_execz .LBB82_264
; %bb.263:                              ;   in Loop: Header=BB82_3 Depth=1
	ds_load_b128 v[20:23], v60
	ds_load_b128 v[70:73], v1 offset:15856
	s_wait_dscnt 0x0
	v_mul_f64_e32 v[2:3], v[22:23], v[72:73]
	v_mul_f64_e32 v[72:73], v[20:21], v[72:73]
	s_delay_alu instid0(VALU_DEP_2) | instskip(NEXT) | instid1(VALU_DEP_2)
	v_fma_f64 v[2:3], v[20:21], v[70:71], -v[2:3]
	v_fmac_f64_e32 v[72:73], v[22:23], v[70:71]
	s_delay_alu instid0(VALU_DEP_2) | instskip(NEXT) | instid1(VALU_DEP_2)
	v_add_f64_e32 v[16:17], v[16:17], v[2:3]
	v_add_f64_e32 v[18:19], v[18:19], v[72:73]
.LBB82_264:                             ;   in Loop: Header=BB82_3 Depth=1
	s_or_b32 exec_lo, exec_lo, s37
	s_barrier_signal -1
	s_barrier_wait -1
	s_and_saveexec_b32 s37, s9
	s_cbranch_execz .LBB82_266
; %bb.265:                              ;   in Loop: Header=BB82_3 Depth=1
	ds_load_b128 v[20:23], v1 offset:16368
	s_wait_dscnt 0x0
	v_mul_f64_e32 v[2:3], v[18:19], v[22:23]
	v_mul_f64_e32 v[72:73], v[16:17], v[22:23]
	s_delay_alu instid0(VALU_DEP_2) | instskip(NEXT) | instid1(VALU_DEP_2)
	v_fma_f64 v[70:71], v[16:17], v[20:21], -v[2:3]
	v_fmac_f64_e32 v[72:73], v[18:19], v[20:21]
	s_delay_alu instid0(VALU_DEP_2) | instskip(NEXT) | instid1(VALU_DEP_2)
	v_mov_b64_e32 v[16:17], v[70:71]
	v_mov_b64_e32 v[18:19], v[72:73]
	ds_store_b128 v60, v[70:73]
.LBB82_266:                             ;   in Loop: Header=BB82_3 Depth=1
	s_or_b32 exec_lo, exec_lo, s37
	s_wait_dscnt 0x0
	s_barrier_signal -1
	s_barrier_wait -1
	s_barrier_signal -1
	s_barrier_wait -1
	s_and_saveexec_b32 s37, s4
; %bb.267:                              ;   in Loop: Header=BB82_3 Depth=1
	s_delay_alu instid0(VALU_DEP_1) | instskip(NEXT) | instid1(VALU_DEP_3)
	v_xor_b32_e32 v19, 0x80000000, v19
	v_xor_b32_e32 v17, 0x80000000, v17
	ds_store_b128 v61, v[16:19] offset:256
; %bb.268:                              ;   in Loop: Header=BB82_3 Depth=1
	s_or_b32 exec_lo, exec_lo, s37
	s_wait_dscnt 0x0
	s_barrier_signal -1
	s_barrier_wait -1
	s_barrier_signal -1
	s_barrier_wait -1
	s_and_saveexec_b32 s37, s10
	s_cbranch_execz .LBB82_270
; %bb.269:                              ;   in Loop: Header=BB82_3 Depth=1
	ds_load_b128 v[16:19], v1 offset:8976
	ds_load_b128 v[20:23], v1 offset:8448
	;; [unrolled: 1-line block ×3, first 2 shown]
	s_wait_dscnt 0x1
	v_mul_f64_e32 v[2:3], v[16:17], v[22:23]
	v_mul_f64_e32 v[22:23], v[18:19], v[22:23]
	s_delay_alu instid0(VALU_DEP_2) | instskip(NEXT) | instid1(VALU_DEP_2)
	v_fmac_f64_e32 v[2:3], v[18:19], v[20:21]
	v_fma_f64 v[16:17], v[16:17], v[20:21], -v[22:23]
	s_wait_dscnt 0x0
	s_delay_alu instid0(VALU_DEP_2) | instskip(NEXT) | instid1(VALU_DEP_2)
	v_mul_f64_e32 v[20:21], v[2:3], v[72:73]
	v_mul_f64_e32 v[18:19], v[16:17], v[72:73]
	s_delay_alu instid0(VALU_DEP_2) | instskip(NEXT) | instid1(VALU_DEP_2)
	v_fma_f64 v[16:17], v[70:71], v[16:17], -v[20:21]
	v_fmac_f64_e32 v[18:19], v[70:71], v[2:3]
	ds_store_b128 v1, v[16:19] offset:8464
.LBB82_270:                             ;   in Loop: Header=BB82_3 Depth=1
	s_or_b32 exec_lo, exec_lo, s37
	v_mov_b64_e32 v[18:19], 0
	v_mov_b64_e32 v[16:17], 0
	s_wait_dscnt 0x0
	s_barrier_signal -1
	s_barrier_wait -1
	s_and_saveexec_b32 s37, s1
	s_cbranch_execz .LBB82_274
; %bb.271:                              ;   in Loop: Header=BB82_3 Depth=1
	ds_load_b128 v[16:19], v45 offset:8448
	ds_load_b128 v[20:23], v44 offset:8480
	s_wait_dscnt 0x0
	v_mul_f64_e32 v[2:3], v[18:19], v[22:23]
	v_mul_f64_e32 v[22:23], v[16:17], v[22:23]
	s_delay_alu instid0(VALU_DEP_2) | instskip(NEXT) | instid1(VALU_DEP_2)
	v_fma_f64 v[2:3], v[16:17], v[20:21], -v[2:3]
	v_fmac_f64_e32 v[22:23], v[18:19], v[20:21]
	s_delay_alu instid0(VALU_DEP_2) | instskip(NEXT) | instid1(VALU_DEP_2)
	v_add_f64_e32 v[16:17], 0, v[2:3]
	v_add_f64_e32 v[18:19], 0, v[22:23]
	s_and_saveexec_b32 s60, s11
	s_cbranch_execz .LBB82_273
; %bb.272:                              ;   in Loop: Header=BB82_3 Depth=1
	ds_load_b128 v[20:23], v1 offset:8464
	ds_load_b128 v[70:73], v46 offset:8992
	s_wait_dscnt 0x0
	v_mul_f64_e32 v[2:3], v[22:23], v[72:73]
	v_mul_f64_e32 v[72:73], v[20:21], v[72:73]
	s_delay_alu instid0(VALU_DEP_2) | instskip(NEXT) | instid1(VALU_DEP_2)
	v_fma_f64 v[2:3], v[20:21], v[70:71], -v[2:3]
	v_fmac_f64_e32 v[72:73], v[22:23], v[70:71]
	s_delay_alu instid0(VALU_DEP_2) | instskip(NEXT) | instid1(VALU_DEP_2)
	v_add_f64_e32 v[16:17], v[16:17], v[2:3]
	v_add_f64_e32 v[18:19], v[18:19], v[72:73]
.LBB82_273:                             ;   in Loop: Header=BB82_3 Depth=1
	s_or_b32 exec_lo, exec_lo, s60
	s_delay_alu instid0(VALU_DEP_2) | instskip(NEXT) | instid1(VALU_DEP_2)
	v_xor_b32_e32 v17, 0x80000000, v17
	v_xor_b32_e32 v19, 0x80000000, v19
.LBB82_274:                             ;   in Loop: Header=BB82_3 Depth=1
	s_or_b32 exec_lo, exec_lo, s37
	s_and_saveexec_b32 s37, s68
	s_cbranch_execz .LBB82_276
; %bb.275:                              ;   in Loop: Header=BB82_3 Depth=1
	ds_load_b128 v[20:23], v1 offset:9504
	s_wait_dscnt 0x0
	v_mul_f64_e32 v[2:3], v[18:19], v[22:23]
	v_mul_f64_e32 v[72:73], v[16:17], v[22:23]
	s_delay_alu instid0(VALU_DEP_2) | instskip(NEXT) | instid1(VALU_DEP_2)
	v_fma_f64 v[70:71], v[16:17], v[20:21], -v[2:3]
	v_fmac_f64_e32 v[72:73], v[18:19], v[20:21]
	s_delay_alu instid0(VALU_DEP_2) | instskip(NEXT) | instid1(VALU_DEP_2)
	v_mov_b64_e32 v[16:17], v[70:71]
	v_mov_b64_e32 v[18:19], v[72:73]
	ds_store_b128 v25, v[70:73]
.LBB82_276:                             ;   in Loop: Header=BB82_3 Depth=1
	s_or_b32 exec_lo, exec_lo, s37
	s_wait_dscnt 0x0
	s_barrier_signal -1
	s_barrier_wait -1
	s_and_saveexec_b32 s37, s69
	s_cbranch_execz .LBB82_278
; %bb.277:                              ;   in Loop: Header=BB82_3 Depth=1
	ds_load_b128 v[20:23], v25
	ds_load_b128 v[70:73], v1 offset:9520
	s_wait_dscnt 0x0
	v_mul_f64_e32 v[2:3], v[22:23], v[72:73]
	v_mul_f64_e32 v[72:73], v[20:21], v[72:73]
	s_delay_alu instid0(VALU_DEP_2) | instskip(NEXT) | instid1(VALU_DEP_2)
	v_fma_f64 v[2:3], v[20:21], v[70:71], -v[2:3]
	v_fmac_f64_e32 v[72:73], v[22:23], v[70:71]
	s_delay_alu instid0(VALU_DEP_2) | instskip(NEXT) | instid1(VALU_DEP_2)
	v_add_f64_e32 v[16:17], v[16:17], v[2:3]
	v_add_f64_e32 v[18:19], v[18:19], v[72:73]
.LBB82_278:                             ;   in Loop: Header=BB82_3 Depth=1
	s_or_b32 exec_lo, exec_lo, s37
	s_barrier_signal -1
	s_barrier_wait -1
	s_and_saveexec_b32 s37, s69
	s_cbranch_execz .LBB82_280
; %bb.279:                              ;   in Loop: Header=BB82_3 Depth=1
	ds_load_b128 v[20:23], v1 offset:10032
	s_wait_dscnt 0x0
	v_mul_f64_e32 v[2:3], v[18:19], v[22:23]
	v_mul_f64_e32 v[72:73], v[16:17], v[22:23]
	s_delay_alu instid0(VALU_DEP_2) | instskip(NEXT) | instid1(VALU_DEP_2)
	v_fma_f64 v[70:71], v[16:17], v[20:21], -v[2:3]
	v_fmac_f64_e32 v[72:73], v[18:19], v[20:21]
	s_delay_alu instid0(VALU_DEP_2) | instskip(NEXT) | instid1(VALU_DEP_2)
	v_mov_b64_e32 v[16:17], v[70:71]
	v_mov_b64_e32 v[18:19], v[72:73]
	ds_store_b128 v25, v[70:73]
.LBB82_280:                             ;   in Loop: Header=BB82_3 Depth=1
	s_or_b32 exec_lo, exec_lo, s37
	s_wait_dscnt 0x0
	s_barrier_signal -1
	s_barrier_wait -1
	s_barrier_signal -1
	s_barrier_wait -1
	s_and_saveexec_b32 s37, s1
; %bb.281:                              ;   in Loop: Header=BB82_3 Depth=1
	s_delay_alu instid0(VALU_DEP_2) | instskip(NEXT) | instid1(VALU_DEP_2)
	v_xor_b32_e32 v17, 0x80000000, v17
	v_xor_b32_e32 v19, 0x80000000, v19
	ds_store_b128 v44, v[16:19] offset:8480
; %bb.282:                              ;   in Loop: Header=BB82_3 Depth=1
	s_or_b32 exec_lo, exec_lo, s37
	s_wait_dscnt 0x0
	s_barrier_signal -1
	s_barrier_wait -1
	s_barrier_signal -1
	s_barrier_wait -1
	s_and_saveexec_b32 s37, s10
	s_cbranch_execz .LBB82_284
; %bb.283:                              ;   in Loop: Header=BB82_3 Depth=1
	ds_load_b128 v[16:19], v1 offset:10032
	ds_load_b128 v[20:23], v1 offset:9504
	;; [unrolled: 1-line block ×3, first 2 shown]
	s_wait_dscnt 0x1
	v_mul_f64_e32 v[2:3], v[16:17], v[22:23]
	v_mul_f64_e32 v[22:23], v[18:19], v[22:23]
	s_delay_alu instid0(VALU_DEP_2) | instskip(NEXT) | instid1(VALU_DEP_2)
	v_fmac_f64_e32 v[2:3], v[18:19], v[20:21]
	v_fma_f64 v[16:17], v[16:17], v[20:21], -v[22:23]
	s_wait_dscnt 0x0
	s_delay_alu instid0(VALU_DEP_2) | instskip(NEXT) | instid1(VALU_DEP_2)
	v_mul_f64_e32 v[20:21], v[2:3], v[72:73]
	v_mul_f64_e32 v[18:19], v[16:17], v[72:73]
	s_delay_alu instid0(VALU_DEP_2) | instskip(NEXT) | instid1(VALU_DEP_2)
	v_fma_f64 v[16:17], v[70:71], v[16:17], -v[20:21]
	v_fmac_f64_e32 v[18:19], v[70:71], v[2:3]
	ds_store_b128 v1, v[16:19] offset:9520
.LBB82_284:                             ;   in Loop: Header=BB82_3 Depth=1
	s_or_b32 exec_lo, exec_lo, s37
	v_mov_b64_e32 v[18:19], 0
	v_mov_b64_e32 v[16:17], 0
	s_wait_dscnt 0x0
	s_barrier_signal -1
	s_barrier_wait -1
	s_and_saveexec_b32 s37, s2
	s_cbranch_execz .LBB82_290
; %bb.285:                              ;   in Loop: Header=BB82_3 Depth=1
	ds_load_b128 v[16:19], v47 offset:8448
	ds_load_b128 v[20:23], v50 offset:8512
	s_wait_dscnt 0x0
	v_mul_f64_e32 v[2:3], v[18:19], v[22:23]
	v_mul_f64_e32 v[22:23], v[16:17], v[22:23]
	s_delay_alu instid0(VALU_DEP_2) | instskip(NEXT) | instid1(VALU_DEP_2)
	v_fma_f64 v[2:3], v[16:17], v[20:21], -v[2:3]
	v_fmac_f64_e32 v[22:23], v[18:19], v[20:21]
	s_delay_alu instid0(VALU_DEP_2) | instskip(NEXT) | instid1(VALU_DEP_2)
	v_add_f64_e32 v[16:17], 0, v[2:3]
	v_add_f64_e32 v[18:19], 0, v[22:23]
	s_and_saveexec_b32 s60, s12
	s_cbranch_execnz .LBB82_534
; %bb.286:                              ;   in Loop: Header=BB82_3 Depth=1
	s_or_b32 exec_lo, exec_lo, s60
	s_and_saveexec_b32 s60, s13
	s_cbranch_execnz .LBB82_535
.LBB82_287:                             ;   in Loop: Header=BB82_3 Depth=1
	s_or_b32 exec_lo, exec_lo, s60
	s_and_saveexec_b32 s60, s1
	s_cbranch_execz .LBB82_289
.LBB82_288:                             ;   in Loop: Header=BB82_3 Depth=1
	ds_load_b128 v[20:23], v1 offset:8496
	ds_load_b128 v[70:73], v46 offset:10048
	s_wait_dscnt 0x0
	v_mul_f64_e32 v[2:3], v[22:23], v[72:73]
	v_mul_f64_e32 v[72:73], v[20:21], v[72:73]
	s_delay_alu instid0(VALU_DEP_2) | instskip(NEXT) | instid1(VALU_DEP_2)
	v_fma_f64 v[2:3], v[20:21], v[70:71], -v[2:3]
	v_fmac_f64_e32 v[72:73], v[22:23], v[70:71]
	s_delay_alu instid0(VALU_DEP_2) | instskip(NEXT) | instid1(VALU_DEP_2)
	v_add_f64_e32 v[16:17], v[16:17], v[2:3]
	v_add_f64_e32 v[18:19], v[18:19], v[72:73]
.LBB82_289:                             ;   in Loop: Header=BB82_3 Depth=1
	s_or_b32 exec_lo, exec_lo, s60
	s_delay_alu instid0(VALU_DEP_2) | instskip(NEXT) | instid1(VALU_DEP_2)
	v_xor_b32_e32 v17, 0x80000000, v17
	v_xor_b32_e32 v19, 0x80000000, v19
.LBB82_290:                             ;   in Loop: Header=BB82_3 Depth=1
	s_or_b32 exec_lo, exec_lo, s37
	s_and_saveexec_b32 s37, s70
	s_cbranch_execz .LBB82_292
; %bb.291:                              ;   in Loop: Header=BB82_3 Depth=1
	ds_load_b128 v[20:23], v1 offset:10560
	s_wait_dscnt 0x0
	v_mul_f64_e32 v[2:3], v[18:19], v[22:23]
	v_mul_f64_e32 v[72:73], v[16:17], v[22:23]
	s_delay_alu instid0(VALU_DEP_2) | instskip(NEXT) | instid1(VALU_DEP_2)
	v_fma_f64 v[70:71], v[16:17], v[20:21], -v[2:3]
	v_fmac_f64_e32 v[72:73], v[18:19], v[20:21]
	s_delay_alu instid0(VALU_DEP_2) | instskip(NEXT) | instid1(VALU_DEP_2)
	v_mov_b64_e32 v[16:17], v[70:71]
	v_mov_b64_e32 v[18:19], v[72:73]
	ds_store_b128 v49, v[70:73]
.LBB82_292:                             ;   in Loop: Header=BB82_3 Depth=1
	s_or_b32 exec_lo, exec_lo, s37
	s_wait_dscnt 0x0
	s_barrier_signal -1
	s_barrier_wait -1
	s_and_saveexec_b32 s37, s71
	s_cbranch_execz .LBB82_294
; %bb.293:                              ;   in Loop: Header=BB82_3 Depth=1
	ds_load_b128 v[20:23], v49
	ds_load_b128 v[70:73], v48 offset:10560
	s_wait_dscnt 0x0
	v_mul_f64_e32 v[2:3], v[22:23], v[72:73]
	v_mul_f64_e32 v[72:73], v[20:21], v[72:73]
	s_delay_alu instid0(VALU_DEP_2) | instskip(NEXT) | instid1(VALU_DEP_2)
	v_fma_f64 v[2:3], v[20:21], v[70:71], -v[2:3]
	v_fmac_f64_e32 v[72:73], v[22:23], v[70:71]
	s_delay_alu instid0(VALU_DEP_2) | instskip(NEXT) | instid1(VALU_DEP_2)
	v_add_f64_e32 v[16:17], v[16:17], v[2:3]
	v_add_f64_e32 v[18:19], v[18:19], v[72:73]
.LBB82_294:                             ;   in Loop: Header=BB82_3 Depth=1
	s_or_b32 exec_lo, exec_lo, s37
	s_barrier_signal -1
	s_barrier_wait -1
	s_and_saveexec_b32 s37, s72
	s_cbranch_execz .LBB82_296
; %bb.295:                              ;   in Loop: Header=BB82_3 Depth=1
	ds_load_b128 v[20:23], v1 offset:11088
	s_wait_dscnt 0x0
	v_mul_f64_e32 v[2:3], v[18:19], v[22:23]
	v_mul_f64_e32 v[72:73], v[16:17], v[22:23]
	s_delay_alu instid0(VALU_DEP_2) | instskip(NEXT) | instid1(VALU_DEP_2)
	v_fma_f64 v[70:71], v[16:17], v[20:21], -v[2:3]
	v_fmac_f64_e32 v[72:73], v[18:19], v[20:21]
	s_delay_alu instid0(VALU_DEP_2) | instskip(NEXT) | instid1(VALU_DEP_2)
	v_mov_b64_e32 v[16:17], v[70:71]
	v_mov_b64_e32 v[18:19], v[72:73]
	ds_store_b128 v49, v[70:73]
.LBB82_296:                             ;   in Loop: Header=BB82_3 Depth=1
	s_or_b32 exec_lo, exec_lo, s37
	s_wait_dscnt 0x0
	s_barrier_signal -1
	s_barrier_wait -1
	s_and_saveexec_b32 s37, s73
	s_cbranch_execz .LBB82_298
; %bb.297:                              ;   in Loop: Header=BB82_3 Depth=1
	ds_load_b128 v[20:23], v49
	ds_load_b128 v[70:73], v48 offset:11072
	s_wait_dscnt 0x0
	v_mul_f64_e32 v[2:3], v[22:23], v[72:73]
	v_mul_f64_e32 v[72:73], v[20:21], v[72:73]
	s_delay_alu instid0(VALU_DEP_2) | instskip(NEXT) | instid1(VALU_DEP_2)
	v_fma_f64 v[2:3], v[20:21], v[70:71], -v[2:3]
	v_fmac_f64_e32 v[72:73], v[22:23], v[70:71]
	s_delay_alu instid0(VALU_DEP_2) | instskip(NEXT) | instid1(VALU_DEP_2)
	v_add_f64_e32 v[16:17], v[16:17], v[2:3]
	v_add_f64_e32 v[18:19], v[18:19], v[72:73]
.LBB82_298:                             ;   in Loop: Header=BB82_3 Depth=1
	s_or_b32 exec_lo, exec_lo, s37
	s_barrier_signal -1
	s_barrier_wait -1
	;; [unrolled: 37-line block ×3, first 2 shown]
	s_and_saveexec_b32 s37, s75
	s_cbranch_execz .LBB82_304
; %bb.303:                              ;   in Loop: Header=BB82_3 Depth=1
	ds_load_b128 v[20:23], v1 offset:12144
	s_wait_dscnt 0x0
	v_mul_f64_e32 v[2:3], v[18:19], v[22:23]
	v_mul_f64_e32 v[72:73], v[16:17], v[22:23]
	s_delay_alu instid0(VALU_DEP_2) | instskip(NEXT) | instid1(VALU_DEP_2)
	v_fma_f64 v[70:71], v[16:17], v[20:21], -v[2:3]
	v_fmac_f64_e32 v[72:73], v[18:19], v[20:21]
	s_delay_alu instid0(VALU_DEP_2) | instskip(NEXT) | instid1(VALU_DEP_2)
	v_mov_b64_e32 v[16:17], v[70:71]
	v_mov_b64_e32 v[18:19], v[72:73]
	ds_store_b128 v49, v[70:73]
.LBB82_304:                             ;   in Loop: Header=BB82_3 Depth=1
	s_or_b32 exec_lo, exec_lo, s37
	s_wait_dscnt 0x0
	s_barrier_signal -1
	s_barrier_wait -1
	s_barrier_signal -1
	s_barrier_wait -1
	s_and_saveexec_b32 s37, s2
; %bb.305:                              ;   in Loop: Header=BB82_3 Depth=1
	s_delay_alu instid0(VALU_DEP_1) | instskip(NEXT) | instid1(VALU_DEP_3)
	v_xor_b32_e32 v19, 0x80000000, v19
	v_xor_b32_e32 v17, 0x80000000, v17
	ds_store_b128 v50, v[16:19] offset:8512
; %bb.306:                              ;   in Loop: Header=BB82_3 Depth=1
	s_or_b32 exec_lo, exec_lo, s37
	s_wait_dscnt 0x0
	s_barrier_signal -1
	s_barrier_wait -1
	s_barrier_signal -1
	s_barrier_wait -1
	s_and_saveexec_b32 s37, s10
	s_cbranch_execz .LBB82_308
; %bb.307:                              ;   in Loop: Header=BB82_3 Depth=1
	ds_load_b128 v[16:19], v1 offset:11088
	ds_load_b128 v[20:23], v1 offset:10560
	;; [unrolled: 1-line block ×3, first 2 shown]
	s_wait_dscnt 0x1
	v_mul_f64_e32 v[2:3], v[16:17], v[22:23]
	v_mul_f64_e32 v[22:23], v[18:19], v[22:23]
	s_delay_alu instid0(VALU_DEP_2) | instskip(NEXT) | instid1(VALU_DEP_2)
	v_fmac_f64_e32 v[2:3], v[18:19], v[20:21]
	v_fma_f64 v[16:17], v[16:17], v[20:21], -v[22:23]
	s_wait_dscnt 0x0
	s_delay_alu instid0(VALU_DEP_2) | instskip(NEXT) | instid1(VALU_DEP_2)
	v_mul_f64_e32 v[20:21], v[2:3], v[72:73]
	v_mul_f64_e32 v[18:19], v[16:17], v[72:73]
	s_delay_alu instid0(VALU_DEP_2) | instskip(NEXT) | instid1(VALU_DEP_2)
	v_fma_f64 v[16:17], v[70:71], v[16:17], -v[20:21]
	v_fmac_f64_e32 v[18:19], v[70:71], v[2:3]
	ds_store_b128 v1, v[16:19] offset:10576
.LBB82_308:                             ;   in Loop: Header=BB82_3 Depth=1
	s_or_b32 exec_lo, exec_lo, s37
	v_mov_b64_e32 v[18:19], 0
	v_mov_b64_e32 v[16:17], 0
	s_wait_dscnt 0x0
	s_barrier_signal -1
	s_barrier_wait -1
	s_and_saveexec_b32 s37, s1
	s_cbranch_execz .LBB82_312
; %bb.309:                              ;   in Loop: Header=BB82_3 Depth=1
	ds_load_b128 v[16:19], v45 offset:10560
	ds_load_b128 v[20:23], v44 offset:10592
	s_wait_dscnt 0x0
	v_mul_f64_e32 v[2:3], v[18:19], v[22:23]
	v_mul_f64_e32 v[22:23], v[16:17], v[22:23]
	s_delay_alu instid0(VALU_DEP_2) | instskip(NEXT) | instid1(VALU_DEP_2)
	v_fma_f64 v[2:3], v[16:17], v[20:21], -v[2:3]
	v_fmac_f64_e32 v[22:23], v[18:19], v[20:21]
	s_delay_alu instid0(VALU_DEP_2) | instskip(NEXT) | instid1(VALU_DEP_2)
	v_add_f64_e32 v[16:17], 0, v[2:3]
	v_add_f64_e32 v[18:19], 0, v[22:23]
	s_and_saveexec_b32 s60, s11
	s_cbranch_execz .LBB82_311
; %bb.310:                              ;   in Loop: Header=BB82_3 Depth=1
	ds_load_b128 v[20:23], v1 offset:10576
	ds_load_b128 v[70:73], v46 offset:11104
	s_wait_dscnt 0x0
	v_mul_f64_e32 v[2:3], v[22:23], v[72:73]
	v_mul_f64_e32 v[72:73], v[20:21], v[72:73]
	s_delay_alu instid0(VALU_DEP_2) | instskip(NEXT) | instid1(VALU_DEP_2)
	v_fma_f64 v[2:3], v[20:21], v[70:71], -v[2:3]
	v_fmac_f64_e32 v[72:73], v[22:23], v[70:71]
	s_delay_alu instid0(VALU_DEP_2) | instskip(NEXT) | instid1(VALU_DEP_2)
	v_add_f64_e32 v[16:17], v[16:17], v[2:3]
	v_add_f64_e32 v[18:19], v[18:19], v[72:73]
.LBB82_311:                             ;   in Loop: Header=BB82_3 Depth=1
	s_or_b32 exec_lo, exec_lo, s60
	s_delay_alu instid0(VALU_DEP_2) | instskip(NEXT) | instid1(VALU_DEP_2)
	v_xor_b32_e32 v17, 0x80000000, v17
	v_xor_b32_e32 v19, 0x80000000, v19
.LBB82_312:                             ;   in Loop: Header=BB82_3 Depth=1
	s_or_b32 exec_lo, exec_lo, s37
	s_and_saveexec_b32 s37, s68
	s_cbranch_execz .LBB82_314
; %bb.313:                              ;   in Loop: Header=BB82_3 Depth=1
	ds_load_b128 v[20:23], v1 offset:11616
	s_wait_dscnt 0x0
	v_mul_f64_e32 v[2:3], v[18:19], v[22:23]
	v_mul_f64_e32 v[72:73], v[16:17], v[22:23]
	s_delay_alu instid0(VALU_DEP_2) | instskip(NEXT) | instid1(VALU_DEP_2)
	v_fma_f64 v[70:71], v[16:17], v[20:21], -v[2:3]
	v_fmac_f64_e32 v[72:73], v[18:19], v[20:21]
	s_delay_alu instid0(VALU_DEP_2) | instskip(NEXT) | instid1(VALU_DEP_2)
	v_mov_b64_e32 v[16:17], v[70:71]
	v_mov_b64_e32 v[18:19], v[72:73]
	ds_store_b128 v25, v[70:73]
.LBB82_314:                             ;   in Loop: Header=BB82_3 Depth=1
	s_or_b32 exec_lo, exec_lo, s37
	s_wait_dscnt 0x0
	s_barrier_signal -1
	s_barrier_wait -1
	s_and_saveexec_b32 s37, s69
	s_cbranch_execz .LBB82_316
; %bb.315:                              ;   in Loop: Header=BB82_3 Depth=1
	ds_load_b128 v[20:23], v25
	ds_load_b128 v[70:73], v1 offset:11632
	s_wait_dscnt 0x0
	v_mul_f64_e32 v[2:3], v[22:23], v[72:73]
	v_mul_f64_e32 v[72:73], v[20:21], v[72:73]
	s_delay_alu instid0(VALU_DEP_2) | instskip(NEXT) | instid1(VALU_DEP_2)
	v_fma_f64 v[2:3], v[20:21], v[70:71], -v[2:3]
	v_fmac_f64_e32 v[72:73], v[22:23], v[70:71]
	s_delay_alu instid0(VALU_DEP_2) | instskip(NEXT) | instid1(VALU_DEP_2)
	v_add_f64_e32 v[16:17], v[16:17], v[2:3]
	v_add_f64_e32 v[18:19], v[18:19], v[72:73]
.LBB82_316:                             ;   in Loop: Header=BB82_3 Depth=1
	s_or_b32 exec_lo, exec_lo, s37
	s_barrier_signal -1
	s_barrier_wait -1
	s_and_saveexec_b32 s37, s69
	s_cbranch_execz .LBB82_318
; %bb.317:                              ;   in Loop: Header=BB82_3 Depth=1
	ds_load_b128 v[20:23], v1 offset:12144
	s_wait_dscnt 0x0
	v_mul_f64_e32 v[2:3], v[18:19], v[22:23]
	v_mul_f64_e32 v[72:73], v[16:17], v[22:23]
	s_delay_alu instid0(VALU_DEP_2) | instskip(NEXT) | instid1(VALU_DEP_2)
	v_fma_f64 v[70:71], v[16:17], v[20:21], -v[2:3]
	v_fmac_f64_e32 v[72:73], v[18:19], v[20:21]
	s_delay_alu instid0(VALU_DEP_2) | instskip(NEXT) | instid1(VALU_DEP_2)
	v_mov_b64_e32 v[16:17], v[70:71]
	v_mov_b64_e32 v[18:19], v[72:73]
	ds_store_b128 v25, v[70:73]
.LBB82_318:                             ;   in Loop: Header=BB82_3 Depth=1
	s_or_b32 exec_lo, exec_lo, s37
	s_wait_dscnt 0x0
	s_barrier_signal -1
	s_barrier_wait -1
	s_barrier_signal -1
	s_barrier_wait -1
	s_and_saveexec_b32 s37, s1
; %bb.319:                              ;   in Loop: Header=BB82_3 Depth=1
	s_delay_alu instid0(VALU_DEP_2) | instskip(NEXT) | instid1(VALU_DEP_2)
	v_xor_b32_e32 v17, 0x80000000, v17
	v_xor_b32_e32 v19, 0x80000000, v19
	ds_store_b128 v44, v[16:19] offset:10592
; %bb.320:                              ;   in Loop: Header=BB82_3 Depth=1
	s_or_b32 exec_lo, exec_lo, s37
	s_wait_dscnt 0x0
	s_barrier_signal -1
	s_barrier_wait -1
	s_barrier_signal -1
	s_barrier_wait -1
	s_and_saveexec_b32 s37, s10
	s_cbranch_execz .LBB82_322
; %bb.321:                              ;   in Loop: Header=BB82_3 Depth=1
	ds_load_b128 v[16:19], v1 offset:12144
	ds_load_b128 v[20:23], v1 offset:11616
	ds_load_b128 v[70:73], v1 offset:11632
	s_wait_dscnt 0x1
	v_mul_f64_e32 v[2:3], v[16:17], v[22:23]
	v_mul_f64_e32 v[22:23], v[18:19], v[22:23]
	s_delay_alu instid0(VALU_DEP_2) | instskip(NEXT) | instid1(VALU_DEP_2)
	v_fmac_f64_e32 v[2:3], v[18:19], v[20:21]
	v_fma_f64 v[16:17], v[16:17], v[20:21], -v[22:23]
	s_wait_dscnt 0x0
	s_delay_alu instid0(VALU_DEP_2) | instskip(NEXT) | instid1(VALU_DEP_2)
	v_mul_f64_e32 v[20:21], v[2:3], v[72:73]
	v_mul_f64_e32 v[18:19], v[16:17], v[72:73]
	s_delay_alu instid0(VALU_DEP_2) | instskip(NEXT) | instid1(VALU_DEP_2)
	v_fma_f64 v[16:17], v[70:71], v[16:17], -v[20:21]
	v_fmac_f64_e32 v[18:19], v[70:71], v[2:3]
	ds_store_b128 v1, v[16:19] offset:11632
.LBB82_322:                             ;   in Loop: Header=BB82_3 Depth=1
	s_or_b32 exec_lo, exec_lo, s37
	v_mov_b64_e32 v[18:19], 0
	v_mov_b64_e32 v[16:17], 0
	s_wait_dscnt 0x0
	s_barrier_signal -1
	s_barrier_wait -1
	s_and_saveexec_b32 s37, s3
	s_cbranch_execz .LBB82_332
; %bb.323:                              ;   in Loop: Header=BB82_3 Depth=1
	ds_load_b128 v[16:19], v52 offset:8448
	ds_load_b128 v[20:23], v55 offset:8576
	s_wait_dscnt 0x0
	v_mul_f64_e32 v[2:3], v[18:19], v[22:23]
	v_mul_f64_e32 v[22:23], v[16:17], v[22:23]
	s_delay_alu instid0(VALU_DEP_2) | instskip(NEXT) | instid1(VALU_DEP_2)
	v_fma_f64 v[2:3], v[16:17], v[20:21], -v[2:3]
	v_fmac_f64_e32 v[22:23], v[18:19], v[20:21]
	s_delay_alu instid0(VALU_DEP_2) | instskip(NEXT) | instid1(VALU_DEP_2)
	v_add_f64_e32 v[16:17], 0, v[2:3]
	v_add_f64_e32 v[18:19], 0, v[22:23]
	s_and_saveexec_b32 s60, s14
	s_cbranch_execnz .LBB82_536
; %bb.324:                              ;   in Loop: Header=BB82_3 Depth=1
	s_or_b32 exec_lo, exec_lo, s60
	s_and_saveexec_b32 s60, s15
	s_cbranch_execnz .LBB82_537
.LBB82_325:                             ;   in Loop: Header=BB82_3 Depth=1
	s_or_b32 exec_lo, exec_lo, s60
	s_and_saveexec_b32 s60, s16
	s_cbranch_execnz .LBB82_538
.LBB82_326:                             ;   in Loop: Header=BB82_3 Depth=1
	s_or_b32 exec_lo, exec_lo, s60
	s_and_saveexec_b32 s60, s17
	s_cbranch_execnz .LBB82_539
.LBB82_327:                             ;   in Loop: Header=BB82_3 Depth=1
	s_or_b32 exec_lo, exec_lo, s60
	s_and_saveexec_b32 s60, s18
	s_cbranch_execnz .LBB82_540
.LBB82_328:                             ;   in Loop: Header=BB82_3 Depth=1
	s_or_b32 exec_lo, exec_lo, s60
	s_and_saveexec_b32 s60, s2
	s_cbranch_execnz .LBB82_541
.LBB82_329:                             ;   in Loop: Header=BB82_3 Depth=1
	s_or_b32 exec_lo, exec_lo, s60
	s_and_saveexec_b32 s60, s13
	s_cbranch_execz .LBB82_331
.LBB82_330:                             ;   in Loop: Header=BB82_3 Depth=1
	ds_load_b128 v[20:23], v1 offset:8560
	ds_load_b128 v[70:73], v46 offset:12160
	s_wait_dscnt 0x0
	v_mul_f64_e32 v[2:3], v[22:23], v[72:73]
	v_mul_f64_e32 v[72:73], v[20:21], v[72:73]
	s_delay_alu instid0(VALU_DEP_2) | instskip(NEXT) | instid1(VALU_DEP_2)
	v_fma_f64 v[2:3], v[20:21], v[70:71], -v[2:3]
	v_fmac_f64_e32 v[72:73], v[22:23], v[70:71]
	s_delay_alu instid0(VALU_DEP_2) | instskip(NEXT) | instid1(VALU_DEP_2)
	v_add_f64_e32 v[16:17], v[16:17], v[2:3]
	v_add_f64_e32 v[18:19], v[18:19], v[72:73]
.LBB82_331:                             ;   in Loop: Header=BB82_3 Depth=1
	s_or_b32 exec_lo, exec_lo, s60
	s_delay_alu instid0(VALU_DEP_2) | instskip(NEXT) | instid1(VALU_DEP_2)
	v_xor_b32_e32 v17, 0x80000000, v17
	v_xor_b32_e32 v19, 0x80000000, v19
.LBB82_332:                             ;   in Loop: Header=BB82_3 Depth=1
	s_or_b32 exec_lo, exec_lo, s37
	s_and_saveexec_b32 s37, s76
	s_cbranch_execz .LBB82_334
; %bb.333:                              ;   in Loop: Header=BB82_3 Depth=1
	ds_load_b128 v[20:23], v1 offset:12672
	s_wait_dscnt 0x0
	v_mul_f64_e32 v[2:3], v[18:19], v[22:23]
	v_mul_f64_e32 v[72:73], v[16:17], v[22:23]
	s_delay_alu instid0(VALU_DEP_2) | instskip(NEXT) | instid1(VALU_DEP_2)
	v_fma_f64 v[70:71], v[16:17], v[20:21], -v[2:3]
	v_fmac_f64_e32 v[72:73], v[18:19], v[20:21]
	s_delay_alu instid0(VALU_DEP_2) | instskip(NEXT) | instid1(VALU_DEP_2)
	v_mov_b64_e32 v[16:17], v[70:71]
	v_mov_b64_e32 v[18:19], v[72:73]
	ds_store_b128 v54, v[70:73]
.LBB82_334:                             ;   in Loop: Header=BB82_3 Depth=1
	s_or_b32 exec_lo, exec_lo, s37
	s_wait_dscnt 0x0
	s_barrier_signal -1
	s_barrier_wait -1
	s_and_saveexec_b32 s37, s77
	s_cbranch_execz .LBB82_336
; %bb.335:                              ;   in Loop: Header=BB82_3 Depth=1
	ds_load_b128 v[20:23], v54
	ds_load_b128 v[70:73], v53 offset:12672
	s_wait_dscnt 0x0
	v_mul_f64_e32 v[2:3], v[22:23], v[72:73]
	v_mul_f64_e32 v[72:73], v[20:21], v[72:73]
	s_delay_alu instid0(VALU_DEP_2) | instskip(NEXT) | instid1(VALU_DEP_2)
	v_fma_f64 v[2:3], v[20:21], v[70:71], -v[2:3]
	v_fmac_f64_e32 v[72:73], v[22:23], v[70:71]
	s_delay_alu instid0(VALU_DEP_2) | instskip(NEXT) | instid1(VALU_DEP_2)
	v_add_f64_e32 v[16:17], v[16:17], v[2:3]
	v_add_f64_e32 v[18:19], v[18:19], v[72:73]
.LBB82_336:                             ;   in Loop: Header=BB82_3 Depth=1
	s_or_b32 exec_lo, exec_lo, s37
	s_barrier_signal -1
	s_barrier_wait -1
	s_and_saveexec_b32 s37, s78
	s_cbranch_execz .LBB82_338
; %bb.337:                              ;   in Loop: Header=BB82_3 Depth=1
	ds_load_b128 v[20:23], v1 offset:13200
	s_wait_dscnt 0x0
	v_mul_f64_e32 v[2:3], v[18:19], v[22:23]
	v_mul_f64_e32 v[72:73], v[16:17], v[22:23]
	s_delay_alu instid0(VALU_DEP_2) | instskip(NEXT) | instid1(VALU_DEP_2)
	v_fma_f64 v[70:71], v[16:17], v[20:21], -v[2:3]
	v_fmac_f64_e32 v[72:73], v[18:19], v[20:21]
	s_delay_alu instid0(VALU_DEP_2) | instskip(NEXT) | instid1(VALU_DEP_2)
	v_mov_b64_e32 v[16:17], v[70:71]
	v_mov_b64_e32 v[18:19], v[72:73]
	ds_store_b128 v54, v[70:73]
.LBB82_338:                             ;   in Loop: Header=BB82_3 Depth=1
	s_or_b32 exec_lo, exec_lo, s37
	s_wait_dscnt 0x0
	s_barrier_signal -1
	s_barrier_wait -1
	s_and_saveexec_b32 s37, s79
	s_cbranch_execz .LBB82_340
; %bb.339:                              ;   in Loop: Header=BB82_3 Depth=1
	ds_load_b128 v[20:23], v54
	ds_load_b128 v[70:73], v53 offset:13184
	s_wait_dscnt 0x0
	v_mul_f64_e32 v[2:3], v[22:23], v[72:73]
	v_mul_f64_e32 v[72:73], v[20:21], v[72:73]
	s_delay_alu instid0(VALU_DEP_2) | instskip(NEXT) | instid1(VALU_DEP_2)
	v_fma_f64 v[2:3], v[20:21], v[70:71], -v[2:3]
	v_fmac_f64_e32 v[72:73], v[22:23], v[70:71]
	s_delay_alu instid0(VALU_DEP_2) | instskip(NEXT) | instid1(VALU_DEP_2)
	v_add_f64_e32 v[16:17], v[16:17], v[2:3]
	v_add_f64_e32 v[18:19], v[18:19], v[72:73]
.LBB82_340:                             ;   in Loop: Header=BB82_3 Depth=1
	s_or_b32 exec_lo, exec_lo, s37
	s_barrier_signal -1
	s_barrier_wait -1
	;; [unrolled: 37-line block ×7, first 2 shown]
	s_and_saveexec_b32 s37, s89
	s_cbranch_execz .LBB82_362
; %bb.361:                              ;   in Loop: Header=BB82_3 Depth=1
	ds_load_b128 v[20:23], v1 offset:16368
	s_wait_dscnt 0x0
	v_mul_f64_e32 v[2:3], v[18:19], v[22:23]
	v_mul_f64_e32 v[72:73], v[16:17], v[22:23]
	s_delay_alu instid0(VALU_DEP_2) | instskip(NEXT) | instid1(VALU_DEP_2)
	v_fma_f64 v[70:71], v[16:17], v[20:21], -v[2:3]
	v_fmac_f64_e32 v[72:73], v[18:19], v[20:21]
	s_delay_alu instid0(VALU_DEP_2) | instskip(NEXT) | instid1(VALU_DEP_2)
	v_mov_b64_e32 v[16:17], v[70:71]
	v_mov_b64_e32 v[18:19], v[72:73]
	ds_store_b128 v54, v[70:73]
.LBB82_362:                             ;   in Loop: Header=BB82_3 Depth=1
	s_or_b32 exec_lo, exec_lo, s37
	s_wait_dscnt 0x0
	s_barrier_signal -1
	s_barrier_wait -1
	s_barrier_signal -1
	s_barrier_wait -1
	s_and_saveexec_b32 s37, s3
; %bb.363:                              ;   in Loop: Header=BB82_3 Depth=1
	s_delay_alu instid0(VALU_DEP_2) | instskip(NEXT) | instid1(VALU_DEP_2)
	v_xor_b32_e32 v17, 0x80000000, v17
	v_xor_b32_e32 v19, 0x80000000, v19
	ds_store_b128 v55, v[16:19] offset:8576
; %bb.364:                              ;   in Loop: Header=BB82_3 Depth=1
	s_or_b32 exec_lo, exec_lo, s37
	s_wait_dscnt 0x0
	s_barrier_signal -1
	s_barrier_wait -1
	s_barrier_signal -1
	s_barrier_wait -1
	s_and_saveexec_b32 s37, s10
	s_cbranch_execz .LBB82_366
; %bb.365:                              ;   in Loop: Header=BB82_3 Depth=1
	ds_load_b128 v[16:19], v1 offset:13200
	ds_load_b128 v[20:23], v1 offset:12672
	;; [unrolled: 1-line block ×3, first 2 shown]
	s_wait_dscnt 0x1
	v_mul_f64_e32 v[2:3], v[16:17], v[22:23]
	v_mul_f64_e32 v[22:23], v[18:19], v[22:23]
	s_delay_alu instid0(VALU_DEP_2) | instskip(NEXT) | instid1(VALU_DEP_2)
	v_fmac_f64_e32 v[2:3], v[18:19], v[20:21]
	v_fma_f64 v[16:17], v[16:17], v[20:21], -v[22:23]
	s_wait_dscnt 0x0
	s_delay_alu instid0(VALU_DEP_2) | instskip(NEXT) | instid1(VALU_DEP_2)
	v_mul_f64_e32 v[20:21], v[2:3], v[72:73]
	v_mul_f64_e32 v[18:19], v[16:17], v[72:73]
	s_delay_alu instid0(VALU_DEP_2) | instskip(NEXT) | instid1(VALU_DEP_2)
	v_fma_f64 v[16:17], v[70:71], v[16:17], -v[20:21]
	v_fmac_f64_e32 v[18:19], v[70:71], v[2:3]
	ds_store_b128 v1, v[16:19] offset:12688
.LBB82_366:                             ;   in Loop: Header=BB82_3 Depth=1
	s_or_b32 exec_lo, exec_lo, s37
	v_mov_b64_e32 v[18:19], 0
	v_mov_b64_e32 v[16:17], 0
	s_wait_dscnt 0x0
	s_barrier_signal -1
	s_barrier_wait -1
	s_and_saveexec_b32 s37, s1
	s_cbranch_execz .LBB82_370
; %bb.367:                              ;   in Loop: Header=BB82_3 Depth=1
	ds_load_b128 v[16:19], v45 offset:12672
	ds_load_b128 v[20:23], v44 offset:12704
	s_wait_dscnt 0x0
	v_mul_f64_e32 v[2:3], v[18:19], v[22:23]
	v_mul_f64_e32 v[22:23], v[16:17], v[22:23]
	s_delay_alu instid0(VALU_DEP_2) | instskip(NEXT) | instid1(VALU_DEP_2)
	v_fma_f64 v[2:3], v[16:17], v[20:21], -v[2:3]
	v_fmac_f64_e32 v[22:23], v[18:19], v[20:21]
	s_delay_alu instid0(VALU_DEP_2) | instskip(NEXT) | instid1(VALU_DEP_2)
	v_add_f64_e32 v[16:17], 0, v[2:3]
	v_add_f64_e32 v[18:19], 0, v[22:23]
	s_and_saveexec_b32 s60, s11
	s_cbranch_execz .LBB82_369
; %bb.368:                              ;   in Loop: Header=BB82_3 Depth=1
	ds_load_b128 v[20:23], v1 offset:12688
	ds_load_b128 v[70:73], v46 offset:13216
	s_wait_dscnt 0x0
	v_mul_f64_e32 v[2:3], v[22:23], v[72:73]
	v_mul_f64_e32 v[72:73], v[20:21], v[72:73]
	s_delay_alu instid0(VALU_DEP_2) | instskip(NEXT) | instid1(VALU_DEP_2)
	v_fma_f64 v[2:3], v[20:21], v[70:71], -v[2:3]
	v_fmac_f64_e32 v[72:73], v[22:23], v[70:71]
	s_delay_alu instid0(VALU_DEP_2) | instskip(NEXT) | instid1(VALU_DEP_2)
	v_add_f64_e32 v[16:17], v[16:17], v[2:3]
	v_add_f64_e32 v[18:19], v[18:19], v[72:73]
.LBB82_369:                             ;   in Loop: Header=BB82_3 Depth=1
	s_or_b32 exec_lo, exec_lo, s60
	s_delay_alu instid0(VALU_DEP_2) | instskip(NEXT) | instid1(VALU_DEP_2)
	v_xor_b32_e32 v17, 0x80000000, v17
	v_xor_b32_e32 v19, 0x80000000, v19
.LBB82_370:                             ;   in Loop: Header=BB82_3 Depth=1
	s_or_b32 exec_lo, exec_lo, s37
	s_and_saveexec_b32 s37, s68
	s_cbranch_execz .LBB82_372
; %bb.371:                              ;   in Loop: Header=BB82_3 Depth=1
	ds_load_b128 v[20:23], v1 offset:13728
	s_wait_dscnt 0x0
	v_mul_f64_e32 v[2:3], v[18:19], v[22:23]
	v_mul_f64_e32 v[72:73], v[16:17], v[22:23]
	s_delay_alu instid0(VALU_DEP_2) | instskip(NEXT) | instid1(VALU_DEP_2)
	v_fma_f64 v[70:71], v[16:17], v[20:21], -v[2:3]
	v_fmac_f64_e32 v[72:73], v[18:19], v[20:21]
	s_delay_alu instid0(VALU_DEP_2) | instskip(NEXT) | instid1(VALU_DEP_2)
	v_mov_b64_e32 v[16:17], v[70:71]
	v_mov_b64_e32 v[18:19], v[72:73]
	ds_store_b128 v25, v[70:73]
.LBB82_372:                             ;   in Loop: Header=BB82_3 Depth=1
	s_or_b32 exec_lo, exec_lo, s37
	s_wait_dscnt 0x0
	s_barrier_signal -1
	s_barrier_wait -1
	s_and_saveexec_b32 s37, s69
	s_cbranch_execz .LBB82_374
; %bb.373:                              ;   in Loop: Header=BB82_3 Depth=1
	ds_load_b128 v[20:23], v25
	ds_load_b128 v[70:73], v1 offset:13744
	s_wait_dscnt 0x0
	v_mul_f64_e32 v[2:3], v[22:23], v[72:73]
	v_mul_f64_e32 v[72:73], v[20:21], v[72:73]
	s_delay_alu instid0(VALU_DEP_2) | instskip(NEXT) | instid1(VALU_DEP_2)
	v_fma_f64 v[2:3], v[20:21], v[70:71], -v[2:3]
	v_fmac_f64_e32 v[72:73], v[22:23], v[70:71]
	s_delay_alu instid0(VALU_DEP_2) | instskip(NEXT) | instid1(VALU_DEP_2)
	v_add_f64_e32 v[16:17], v[16:17], v[2:3]
	v_add_f64_e32 v[18:19], v[18:19], v[72:73]
.LBB82_374:                             ;   in Loop: Header=BB82_3 Depth=1
	s_or_b32 exec_lo, exec_lo, s37
	s_barrier_signal -1
	s_barrier_wait -1
	s_and_saveexec_b32 s37, s69
	s_cbranch_execz .LBB82_376
; %bb.375:                              ;   in Loop: Header=BB82_3 Depth=1
	ds_load_b128 v[20:23], v1 offset:14256
	s_wait_dscnt 0x0
	v_mul_f64_e32 v[2:3], v[18:19], v[22:23]
	v_mul_f64_e32 v[72:73], v[16:17], v[22:23]
	s_delay_alu instid0(VALU_DEP_2) | instskip(NEXT) | instid1(VALU_DEP_2)
	v_fma_f64 v[70:71], v[16:17], v[20:21], -v[2:3]
	v_fmac_f64_e32 v[72:73], v[18:19], v[20:21]
	s_delay_alu instid0(VALU_DEP_2) | instskip(NEXT) | instid1(VALU_DEP_2)
	v_mov_b64_e32 v[16:17], v[70:71]
	v_mov_b64_e32 v[18:19], v[72:73]
	ds_store_b128 v25, v[70:73]
.LBB82_376:                             ;   in Loop: Header=BB82_3 Depth=1
	s_or_b32 exec_lo, exec_lo, s37
	s_wait_dscnt 0x0
	s_barrier_signal -1
	s_barrier_wait -1
	s_barrier_signal -1
	s_barrier_wait -1
	s_and_saveexec_b32 s37, s1
; %bb.377:                              ;   in Loop: Header=BB82_3 Depth=1
	s_delay_alu instid0(VALU_DEP_2) | instskip(NEXT) | instid1(VALU_DEP_2)
	v_xor_b32_e32 v17, 0x80000000, v17
	v_xor_b32_e32 v19, 0x80000000, v19
	ds_store_b128 v44, v[16:19] offset:12704
; %bb.378:                              ;   in Loop: Header=BB82_3 Depth=1
	s_or_b32 exec_lo, exec_lo, s37
	s_wait_dscnt 0x0
	s_barrier_signal -1
	s_barrier_wait -1
	s_barrier_signal -1
	s_barrier_wait -1
	s_and_saveexec_b32 s37, s10
	s_cbranch_execz .LBB82_380
; %bb.379:                              ;   in Loop: Header=BB82_3 Depth=1
	ds_load_b128 v[16:19], v1 offset:14256
	ds_load_b128 v[20:23], v1 offset:13728
	;; [unrolled: 1-line block ×3, first 2 shown]
	s_wait_dscnt 0x1
	v_mul_f64_e32 v[2:3], v[16:17], v[22:23]
	v_mul_f64_e32 v[22:23], v[18:19], v[22:23]
	s_delay_alu instid0(VALU_DEP_2) | instskip(NEXT) | instid1(VALU_DEP_2)
	v_fmac_f64_e32 v[2:3], v[18:19], v[20:21]
	v_fma_f64 v[16:17], v[16:17], v[20:21], -v[22:23]
	s_wait_dscnt 0x0
	s_delay_alu instid0(VALU_DEP_2) | instskip(NEXT) | instid1(VALU_DEP_2)
	v_mul_f64_e32 v[20:21], v[2:3], v[72:73]
	v_mul_f64_e32 v[18:19], v[16:17], v[72:73]
	s_delay_alu instid0(VALU_DEP_2) | instskip(NEXT) | instid1(VALU_DEP_2)
	v_fma_f64 v[16:17], v[70:71], v[16:17], -v[20:21]
	v_fmac_f64_e32 v[18:19], v[70:71], v[2:3]
	ds_store_b128 v1, v[16:19] offset:13744
.LBB82_380:                             ;   in Loop: Header=BB82_3 Depth=1
	s_or_b32 exec_lo, exec_lo, s37
	v_mov_b64_e32 v[18:19], 0
	v_mov_b64_e32 v[16:17], 0
	s_wait_dscnt 0x0
	s_barrier_signal -1
	s_barrier_wait -1
	s_and_saveexec_b32 s37, s2
	s_cbranch_execz .LBB82_386
; %bb.381:                              ;   in Loop: Header=BB82_3 Depth=1
	ds_load_b128 v[16:19], v47 offset:12672
	ds_load_b128 v[20:23], v50 offset:12736
	s_wait_dscnt 0x0
	v_mul_f64_e32 v[2:3], v[18:19], v[22:23]
	v_mul_f64_e32 v[22:23], v[16:17], v[22:23]
	s_delay_alu instid0(VALU_DEP_2) | instskip(NEXT) | instid1(VALU_DEP_2)
	v_fma_f64 v[2:3], v[16:17], v[20:21], -v[2:3]
	v_fmac_f64_e32 v[22:23], v[18:19], v[20:21]
	s_delay_alu instid0(VALU_DEP_2) | instskip(NEXT) | instid1(VALU_DEP_2)
	v_add_f64_e32 v[16:17], 0, v[2:3]
	v_add_f64_e32 v[18:19], 0, v[22:23]
	s_and_saveexec_b32 s60, s12
	s_cbranch_execnz .LBB82_542
; %bb.382:                              ;   in Loop: Header=BB82_3 Depth=1
	s_or_b32 exec_lo, exec_lo, s60
	s_and_saveexec_b32 s60, s13
	s_cbranch_execnz .LBB82_543
.LBB82_383:                             ;   in Loop: Header=BB82_3 Depth=1
	s_or_b32 exec_lo, exec_lo, s60
	s_and_saveexec_b32 s60, s1
	s_cbranch_execz .LBB82_385
.LBB82_384:                             ;   in Loop: Header=BB82_3 Depth=1
	ds_load_b128 v[20:23], v1 offset:12720
	ds_load_b128 v[70:73], v46 offset:14272
	s_wait_dscnt 0x0
	v_mul_f64_e32 v[2:3], v[22:23], v[72:73]
	v_mul_f64_e32 v[72:73], v[20:21], v[72:73]
	s_delay_alu instid0(VALU_DEP_2) | instskip(NEXT) | instid1(VALU_DEP_2)
	v_fma_f64 v[2:3], v[20:21], v[70:71], -v[2:3]
	v_fmac_f64_e32 v[72:73], v[22:23], v[70:71]
	s_delay_alu instid0(VALU_DEP_2) | instskip(NEXT) | instid1(VALU_DEP_2)
	v_add_f64_e32 v[16:17], v[16:17], v[2:3]
	v_add_f64_e32 v[18:19], v[18:19], v[72:73]
.LBB82_385:                             ;   in Loop: Header=BB82_3 Depth=1
	s_or_b32 exec_lo, exec_lo, s60
	s_delay_alu instid0(VALU_DEP_2) | instskip(NEXT) | instid1(VALU_DEP_2)
	v_xor_b32_e32 v17, 0x80000000, v17
	v_xor_b32_e32 v19, 0x80000000, v19
.LBB82_386:                             ;   in Loop: Header=BB82_3 Depth=1
	s_or_b32 exec_lo, exec_lo, s37
	s_and_saveexec_b32 s37, s70
	s_cbranch_execz .LBB82_388
; %bb.387:                              ;   in Loop: Header=BB82_3 Depth=1
	ds_load_b128 v[20:23], v1 offset:14784
	s_wait_dscnt 0x0
	v_mul_f64_e32 v[2:3], v[18:19], v[22:23]
	v_mul_f64_e32 v[72:73], v[16:17], v[22:23]
	s_delay_alu instid0(VALU_DEP_2) | instskip(NEXT) | instid1(VALU_DEP_2)
	v_fma_f64 v[70:71], v[16:17], v[20:21], -v[2:3]
	v_fmac_f64_e32 v[72:73], v[18:19], v[20:21]
	s_delay_alu instid0(VALU_DEP_2) | instskip(NEXT) | instid1(VALU_DEP_2)
	v_mov_b64_e32 v[16:17], v[70:71]
	v_mov_b64_e32 v[18:19], v[72:73]
	ds_store_b128 v49, v[70:73]
.LBB82_388:                             ;   in Loop: Header=BB82_3 Depth=1
	s_or_b32 exec_lo, exec_lo, s37
	s_wait_dscnt 0x0
	s_barrier_signal -1
	s_barrier_wait -1
	s_and_saveexec_b32 s37, s71
	s_cbranch_execz .LBB82_390
; %bb.389:                              ;   in Loop: Header=BB82_3 Depth=1
	ds_load_b128 v[20:23], v49
	ds_load_b128 v[70:73], v48 offset:14784
	s_wait_dscnt 0x0
	v_mul_f64_e32 v[2:3], v[22:23], v[72:73]
	v_mul_f64_e32 v[72:73], v[20:21], v[72:73]
	s_delay_alu instid0(VALU_DEP_2) | instskip(NEXT) | instid1(VALU_DEP_2)
	v_fma_f64 v[2:3], v[20:21], v[70:71], -v[2:3]
	v_fmac_f64_e32 v[72:73], v[22:23], v[70:71]
	s_delay_alu instid0(VALU_DEP_2) | instskip(NEXT) | instid1(VALU_DEP_2)
	v_add_f64_e32 v[16:17], v[16:17], v[2:3]
	v_add_f64_e32 v[18:19], v[18:19], v[72:73]
.LBB82_390:                             ;   in Loop: Header=BB82_3 Depth=1
	s_or_b32 exec_lo, exec_lo, s37
	s_barrier_signal -1
	s_barrier_wait -1
	s_and_saveexec_b32 s37, s72
	s_cbranch_execz .LBB82_392
; %bb.391:                              ;   in Loop: Header=BB82_3 Depth=1
	ds_load_b128 v[20:23], v1 offset:15312
	s_wait_dscnt 0x0
	v_mul_f64_e32 v[2:3], v[18:19], v[22:23]
	v_mul_f64_e32 v[72:73], v[16:17], v[22:23]
	s_delay_alu instid0(VALU_DEP_2) | instskip(NEXT) | instid1(VALU_DEP_2)
	v_fma_f64 v[70:71], v[16:17], v[20:21], -v[2:3]
	v_fmac_f64_e32 v[72:73], v[18:19], v[20:21]
	s_delay_alu instid0(VALU_DEP_2) | instskip(NEXT) | instid1(VALU_DEP_2)
	v_mov_b64_e32 v[16:17], v[70:71]
	v_mov_b64_e32 v[18:19], v[72:73]
	ds_store_b128 v49, v[70:73]
.LBB82_392:                             ;   in Loop: Header=BB82_3 Depth=1
	s_or_b32 exec_lo, exec_lo, s37
	s_wait_dscnt 0x0
	s_barrier_signal -1
	s_barrier_wait -1
	s_and_saveexec_b32 s37, s73
	s_cbranch_execz .LBB82_394
; %bb.393:                              ;   in Loop: Header=BB82_3 Depth=1
	ds_load_b128 v[20:23], v49
	ds_load_b128 v[70:73], v48 offset:15296
	s_wait_dscnt 0x0
	v_mul_f64_e32 v[2:3], v[22:23], v[72:73]
	v_mul_f64_e32 v[72:73], v[20:21], v[72:73]
	s_delay_alu instid0(VALU_DEP_2) | instskip(NEXT) | instid1(VALU_DEP_2)
	v_fma_f64 v[2:3], v[20:21], v[70:71], -v[2:3]
	v_fmac_f64_e32 v[72:73], v[22:23], v[70:71]
	s_delay_alu instid0(VALU_DEP_2) | instskip(NEXT) | instid1(VALU_DEP_2)
	v_add_f64_e32 v[16:17], v[16:17], v[2:3]
	v_add_f64_e32 v[18:19], v[18:19], v[72:73]
.LBB82_394:                             ;   in Loop: Header=BB82_3 Depth=1
	s_or_b32 exec_lo, exec_lo, s37
	s_barrier_signal -1
	s_barrier_wait -1
	;; [unrolled: 37-line block ×3, first 2 shown]
	s_and_saveexec_b32 s37, s75
	s_cbranch_execz .LBB82_400
; %bb.399:                              ;   in Loop: Header=BB82_3 Depth=1
	ds_load_b128 v[20:23], v1 offset:16368
	s_wait_dscnt 0x0
	v_mul_f64_e32 v[2:3], v[18:19], v[22:23]
	v_mul_f64_e32 v[72:73], v[16:17], v[22:23]
	s_delay_alu instid0(VALU_DEP_2) | instskip(NEXT) | instid1(VALU_DEP_2)
	v_fma_f64 v[70:71], v[16:17], v[20:21], -v[2:3]
	v_fmac_f64_e32 v[72:73], v[18:19], v[20:21]
	s_delay_alu instid0(VALU_DEP_2) | instskip(NEXT) | instid1(VALU_DEP_2)
	v_mov_b64_e32 v[16:17], v[70:71]
	v_mov_b64_e32 v[18:19], v[72:73]
	ds_store_b128 v49, v[70:73]
.LBB82_400:                             ;   in Loop: Header=BB82_3 Depth=1
	s_or_b32 exec_lo, exec_lo, s37
	s_wait_dscnt 0x0
	s_barrier_signal -1
	s_barrier_wait -1
	s_barrier_signal -1
	s_barrier_wait -1
	s_and_saveexec_b32 s37, s2
; %bb.401:                              ;   in Loop: Header=BB82_3 Depth=1
	s_delay_alu instid0(VALU_DEP_1) | instskip(NEXT) | instid1(VALU_DEP_3)
	v_xor_b32_e32 v19, 0x80000000, v19
	v_xor_b32_e32 v17, 0x80000000, v17
	ds_store_b128 v50, v[16:19] offset:12736
; %bb.402:                              ;   in Loop: Header=BB82_3 Depth=1
	s_or_b32 exec_lo, exec_lo, s37
	s_wait_dscnt 0x0
	s_barrier_signal -1
	s_barrier_wait -1
	s_barrier_signal -1
	s_barrier_wait -1
	s_and_saveexec_b32 s37, s10
	s_cbranch_execz .LBB82_404
; %bb.403:                              ;   in Loop: Header=BB82_3 Depth=1
	ds_load_b128 v[16:19], v1 offset:15312
	ds_load_b128 v[20:23], v1 offset:14784
	;; [unrolled: 1-line block ×3, first 2 shown]
	s_wait_dscnt 0x1
	v_mul_f64_e32 v[2:3], v[16:17], v[22:23]
	v_mul_f64_e32 v[22:23], v[18:19], v[22:23]
	s_delay_alu instid0(VALU_DEP_2) | instskip(NEXT) | instid1(VALU_DEP_2)
	v_fmac_f64_e32 v[2:3], v[18:19], v[20:21]
	v_fma_f64 v[16:17], v[16:17], v[20:21], -v[22:23]
	s_wait_dscnt 0x0
	s_delay_alu instid0(VALU_DEP_2) | instskip(NEXT) | instid1(VALU_DEP_2)
	v_mul_f64_e32 v[20:21], v[2:3], v[72:73]
	v_mul_f64_e32 v[18:19], v[16:17], v[72:73]
	s_delay_alu instid0(VALU_DEP_2) | instskip(NEXT) | instid1(VALU_DEP_2)
	v_fma_f64 v[16:17], v[70:71], v[16:17], -v[20:21]
	v_fmac_f64_e32 v[18:19], v[70:71], v[2:3]
	ds_store_b128 v1, v[16:19] offset:14800
.LBB82_404:                             ;   in Loop: Header=BB82_3 Depth=1
	s_or_b32 exec_lo, exec_lo, s37
	v_mov_b64_e32 v[18:19], 0
	v_mov_b64_e32 v[16:17], 0
	s_wait_dscnt 0x0
	s_barrier_signal -1
	s_barrier_wait -1
	s_and_saveexec_b32 s37, s1
	s_cbranch_execz .LBB82_408
; %bb.405:                              ;   in Loop: Header=BB82_3 Depth=1
	ds_load_b128 v[16:19], v45 offset:14784
	ds_load_b128 v[20:23], v44 offset:14816
	s_wait_dscnt 0x0
	v_mul_f64_e32 v[2:3], v[18:19], v[22:23]
	v_mul_f64_e32 v[22:23], v[16:17], v[22:23]
	s_delay_alu instid0(VALU_DEP_2) | instskip(NEXT) | instid1(VALU_DEP_2)
	v_fma_f64 v[2:3], v[16:17], v[20:21], -v[2:3]
	v_fmac_f64_e32 v[22:23], v[18:19], v[20:21]
	s_delay_alu instid0(VALU_DEP_2) | instskip(NEXT) | instid1(VALU_DEP_2)
	v_add_f64_e32 v[16:17], 0, v[2:3]
	v_add_f64_e32 v[18:19], 0, v[22:23]
	s_and_saveexec_b32 s60, s11
	s_cbranch_execz .LBB82_407
; %bb.406:                              ;   in Loop: Header=BB82_3 Depth=1
	ds_load_b128 v[20:23], v1 offset:14800
	ds_load_b128 v[70:73], v46 offset:15328
	s_wait_dscnt 0x0
	v_mul_f64_e32 v[2:3], v[22:23], v[72:73]
	v_mul_f64_e32 v[72:73], v[20:21], v[72:73]
	s_delay_alu instid0(VALU_DEP_2) | instskip(NEXT) | instid1(VALU_DEP_2)
	v_fma_f64 v[2:3], v[20:21], v[70:71], -v[2:3]
	v_fmac_f64_e32 v[72:73], v[22:23], v[70:71]
	s_delay_alu instid0(VALU_DEP_2) | instskip(NEXT) | instid1(VALU_DEP_2)
	v_add_f64_e32 v[16:17], v[16:17], v[2:3]
	v_add_f64_e32 v[18:19], v[18:19], v[72:73]
.LBB82_407:                             ;   in Loop: Header=BB82_3 Depth=1
	s_or_b32 exec_lo, exec_lo, s60
	s_delay_alu instid0(VALU_DEP_2) | instskip(NEXT) | instid1(VALU_DEP_2)
	v_xor_b32_e32 v17, 0x80000000, v17
	v_xor_b32_e32 v19, 0x80000000, v19
.LBB82_408:                             ;   in Loop: Header=BB82_3 Depth=1
	s_or_b32 exec_lo, exec_lo, s37
	s_and_saveexec_b32 s37, s68
	s_cbranch_execz .LBB82_410
; %bb.409:                              ;   in Loop: Header=BB82_3 Depth=1
	ds_load_b128 v[20:23], v1 offset:15840
	s_wait_dscnt 0x0
	v_mul_f64_e32 v[2:3], v[18:19], v[22:23]
	v_mul_f64_e32 v[72:73], v[16:17], v[22:23]
	s_delay_alu instid0(VALU_DEP_2) | instskip(NEXT) | instid1(VALU_DEP_2)
	v_fma_f64 v[70:71], v[16:17], v[20:21], -v[2:3]
	v_fmac_f64_e32 v[72:73], v[18:19], v[20:21]
	s_delay_alu instid0(VALU_DEP_2) | instskip(NEXT) | instid1(VALU_DEP_2)
	v_mov_b64_e32 v[16:17], v[70:71]
	v_mov_b64_e32 v[18:19], v[72:73]
	ds_store_b128 v25, v[70:73]
.LBB82_410:                             ;   in Loop: Header=BB82_3 Depth=1
	s_or_b32 exec_lo, exec_lo, s37
	s_wait_dscnt 0x0
	s_barrier_signal -1
	s_barrier_wait -1
	s_and_saveexec_b32 s37, s69
	s_cbranch_execz .LBB82_412
; %bb.411:                              ;   in Loop: Header=BB82_3 Depth=1
	ds_load_b128 v[20:23], v25
	ds_load_b128 v[70:73], v1 offset:15856
	s_wait_dscnt 0x0
	v_mul_f64_e32 v[2:3], v[22:23], v[72:73]
	v_mul_f64_e32 v[72:73], v[20:21], v[72:73]
	s_delay_alu instid0(VALU_DEP_2) | instskip(NEXT) | instid1(VALU_DEP_2)
	v_fma_f64 v[2:3], v[20:21], v[70:71], -v[2:3]
	v_fmac_f64_e32 v[72:73], v[22:23], v[70:71]
	s_delay_alu instid0(VALU_DEP_2) | instskip(NEXT) | instid1(VALU_DEP_2)
	v_add_f64_e32 v[16:17], v[16:17], v[2:3]
	v_add_f64_e32 v[18:19], v[18:19], v[72:73]
.LBB82_412:                             ;   in Loop: Header=BB82_3 Depth=1
	s_or_b32 exec_lo, exec_lo, s37
	s_barrier_signal -1
	s_barrier_wait -1
	s_and_saveexec_b32 s37, s69
	s_cbranch_execz .LBB82_414
; %bb.413:                              ;   in Loop: Header=BB82_3 Depth=1
	ds_load_b128 v[20:23], v1 offset:16368
	s_wait_dscnt 0x0
	v_mul_f64_e32 v[2:3], v[18:19], v[22:23]
	v_mul_f64_e32 v[72:73], v[16:17], v[22:23]
	s_delay_alu instid0(VALU_DEP_2) | instskip(NEXT) | instid1(VALU_DEP_2)
	v_fma_f64 v[70:71], v[16:17], v[20:21], -v[2:3]
	v_fmac_f64_e32 v[72:73], v[18:19], v[20:21]
	s_delay_alu instid0(VALU_DEP_2) | instskip(NEXT) | instid1(VALU_DEP_2)
	v_mov_b64_e32 v[16:17], v[70:71]
	v_mov_b64_e32 v[18:19], v[72:73]
	ds_store_b128 v25, v[70:73]
.LBB82_414:                             ;   in Loop: Header=BB82_3 Depth=1
	s_or_b32 exec_lo, exec_lo, s37
	s_wait_dscnt 0x0
	s_barrier_signal -1
	s_barrier_wait -1
	s_barrier_signal -1
	s_barrier_wait -1
	s_and_saveexec_b32 s37, s1
; %bb.415:                              ;   in Loop: Header=BB82_3 Depth=1
	s_delay_alu instid0(VALU_DEP_2) | instskip(NEXT) | instid1(VALU_DEP_2)
	v_xor_b32_e32 v17, 0x80000000, v17
	v_xor_b32_e32 v19, 0x80000000, v19
	ds_store_b128 v44, v[16:19] offset:14816
; %bb.416:                              ;   in Loop: Header=BB82_3 Depth=1
	s_or_b32 exec_lo, exec_lo, s37
	s_wait_dscnt 0x0
	s_barrier_signal -1
	s_barrier_wait -1
	s_barrier_signal -1
	s_barrier_wait -1
	s_and_saveexec_b32 s37, s10
	s_cbranch_execz .LBB82_418
; %bb.417:                              ;   in Loop: Header=BB82_3 Depth=1
	ds_load_b128 v[16:19], v1 offset:16368
	ds_load_b128 v[20:23], v1 offset:15840
	;; [unrolled: 1-line block ×3, first 2 shown]
	s_wait_dscnt 0x1
	v_mul_f64_e32 v[2:3], v[16:17], v[22:23]
	v_mul_f64_e32 v[22:23], v[18:19], v[22:23]
	s_delay_alu instid0(VALU_DEP_2) | instskip(NEXT) | instid1(VALU_DEP_2)
	v_fmac_f64_e32 v[2:3], v[18:19], v[20:21]
	v_fma_f64 v[16:17], v[16:17], v[20:21], -v[22:23]
	s_wait_dscnt 0x0
	s_delay_alu instid0(VALU_DEP_2) | instskip(NEXT) | instid1(VALU_DEP_2)
	v_mul_f64_e32 v[20:21], v[2:3], v[72:73]
	v_mul_f64_e32 v[18:19], v[16:17], v[72:73]
	s_delay_alu instid0(VALU_DEP_2) | instskip(NEXT) | instid1(VALU_DEP_2)
	v_fma_f64 v[16:17], v[70:71], v[16:17], -v[20:21]
	v_fmac_f64_e32 v[18:19], v[70:71], v[2:3]
	ds_store_b128 v1, v[16:19] offset:15856
.LBB82_418:                             ;   in Loop: Header=BB82_3 Depth=1
	s_or_b32 exec_lo, exec_lo, s37
.LBB82_419:                             ;   in Loop: Header=BB82_3 Depth=1
	v_mov_b64_e32 v[16:17], 0
	v_mov_b64_e32 v[18:19], 0
	s_mul_u64 s[60:61], s[52:53], s[56:57]
	s_wait_dscnt 0x0
	s_lshl_b64 s[60:61], s[60:61], 4
	s_barrier_signal -1
	s_add_nc_u64 s[60:61], s[46:47], s[60:61]
	s_barrier_wait -1
	s_and_saveexec_b32 s37, s90
	s_cbranch_execz .LBB82_421
; %bb.420:                              ;   in Loop: Header=BB82_3 Depth=1
	v_lshl_add_u64 v[2:3], v[32:33], 4, s[60:61]
	global_load_b128 v[18:21], v[2:3], off
	s_wait_loadcnt 0x0
	v_mul_f64_e32 v[2:3], v[12:13], v[18:19]
	v_mul_f64_e32 v[12:13], v[12:13], v[20:21]
	s_delay_alu instid0(VALU_DEP_2) | instskip(NEXT) | instid1(VALU_DEP_2)
	v_fma_f64 v[16:17], v[14:15], v[20:21], -v[2:3]
	v_fma_f64 v[18:19], v[18:19], -v[14:15], -v[12:13]
.LBB82_421:                             ;   in Loop: Header=BB82_3 Depth=1
	s_or_b32 exec_lo, exec_lo, s37
	s_delay_alu instid0(SALU_CYCLE_1)
	s_and_not1_b32 vcc_lo, exec_lo, s91
	s_cbranch_vccnz .LBB82_444
; %bb.422:                              ;   in Loop: Header=BB82_3 Depth=1
	v_lshl_add_u64 v[12:13], v[28:29], 4, s[58:59]
	v_mov_b32_e32 v22, -1
	s_lshl_b64 s[96:97], s[56:57], 2
	s_delay_alu instid0(SALU_CYCLE_1)
	s_add_nc_u64 s[58:59], s[54:55], s[96:97]
	s_mov_b32 s96, 0
	s_branch .LBB82_425
.LBB82_423:                             ;   in Loop: Header=BB82_425 Depth=2
	ds_load_b128 v[70:73], v62 offset:256
	s_wait_loadcnt_dscnt 0x0
	v_mul_f64_e32 v[14:15], v[20:21], v[72:73]
	v_mul_f64_e32 v[72:73], v[2:3], v[72:73]
	s_delay_alu instid0(VALU_DEP_2) | instskip(NEXT) | instid1(VALU_DEP_2)
	v_fma_f64 v[2:3], v[2:3], v[70:71], -v[14:15]
	v_fmac_f64_e32 v[72:73], v[20:21], v[70:71]
	s_delay_alu instid0(VALU_DEP_2) | instskip(NEXT) | instid1(VALU_DEP_2)
	v_add_f64_e32 v[16:17], v[16:17], v[2:3]
	v_add_f64_e32 v[18:19], v[18:19], v[72:73]
.LBB82_424:                             ;   in Loop: Header=BB82_425 Depth=2
	s_or_b32 exec_lo, exec_lo, s37
	s_add_co_i32 s96, s96, 1
	s_delay_alu instid0(SALU_CYCLE_1)
	s_cmp_eq_u32 s96, s64
	s_cbranch_scc1 .LBB82_444
.LBB82_425:                             ;   Parent Loop BB82_3 Depth=1
                                        ; =>  This Loop Header: Depth=2
                                        ;       Child Loop BB82_427 Depth 3
	v_cmp_gt_i32_e32 vcc_lo, s96, v22
	s_and_b32 s97, s30, vcc_lo
	s_delay_alu instid0(SALU_CYCLE_1)
	s_and_saveexec_b32 s37, s97
	s_cbranch_execz .LBB82_428
; %bb.426:                              ;   in Loop: Header=BB82_425 Depth=2
	global_load_b32 v22, v1, s[58:59]
	s_wait_loadcnt 0x0
	v_cmp_le_i32_e32 vcc_lo, s96, v22
	s_cbranch_vccnz .LBB82_428
.LBB82_427:                             ;   Parent Loop BB82_3 Depth=1
                                        ;     Parent Loop BB82_425 Depth=2
                                        ; =>    This Inner Loop Header: Depth=3
	global_wb scope:SCOPE_DEV
	s_wait_storecnt 0x0
	global_inv scope:SCOPE_DEV
	global_load_b32 v22, v1, s[58:59]
	s_wait_loadcnt 0x0
	v_cmp_gt_i32_e32 vcc_lo, s96, v22
	s_cbranch_vccnz .LBB82_427
.LBB82_428:                             ;   in Loop: Header=BB82_425 Depth=2
	s_or_b32 exec_lo, exec_lo, s37
	s_lshl_b32 s37, s96, 5
	global_wb scope:SCOPE_DEV
	s_wait_storecnt 0x0
	global_inv scope:SCOPE_DEV
	s_wait_loadcnt 0x0
	s_barrier_signal -1
	s_barrier_wait -1
	s_and_saveexec_b32 s97, s31
	s_cbranch_execz .LBB82_433
; %bb.429:                              ;   in Loop: Header=BB82_425 Depth=2
	v_or_b32_e32 v0, s37, v26
	s_delay_alu instid0(VALU_DEP_1) | instskip(SKIP_1) | instid1(SALU_CYCLE_1)
	v_cmp_le_i32_e32 vcc_lo, s63, v0
	s_and_saveexec_b32 s98, vcc_lo
	s_xor_b32 vcc_lo, exec_lo, s98
; %bb.430:                              ;   in Loop: Header=BB82_425 Depth=2
	v_dual_mov_b32 v0, v1 :: v_dual_mov_b32 v2, v1
	v_mov_b32_e32 v3, v1
	ds_store_b128 v63, v[0:3]
; %bb.431:                              ;   in Loop: Header=BB82_425 Depth=2
	s_and_not1_saveexec_b32 s98, vcc_lo
	s_cbranch_execz .LBB82_433
; %bb.432:                              ;   in Loop: Header=BB82_425 Depth=2
	v_mul_u64_e32 v[2:3], s[50:51], v[0:1]
	s_delay_alu instid0(VALU_DEP_1)
	v_lshl_add_u64 v[2:3], v[2:3], 4, s[60:61]
	global_load_b128 v[70:73], v[2:3], off
	s_wait_loadcnt 0x0
	ds_store_2addr_b64 v63, v[70:71], v[72:73] offset1:1
.LBB82_433:                             ;   in Loop: Header=BB82_425 Depth=2
	s_or_b32 exec_lo, exec_lo, s97
	v_add_nc_u32_e32 v0, s37, v42
	v_cmp_ne_u32_e32 vcc_lo, s96, v43
	s_wait_dscnt 0x0
	s_barrier_signal -1
	s_barrier_wait -1
	v_mul_u64_e32 v[2:3], s[40:41], v[0:1]
	v_cmp_gt_i32_e64 s37, s63, v0
	v_cndmask_b32_e64 v23, 0, 1, vcc_lo
	s_and_b32 s97, s0, s37
	v_lshl_add_u64 v[2:3], v[2:3], 4, v[12:13]
	s_and_saveexec_b32 s37, s97
	s_cbranch_execz .LBB82_439
; %bb.434:                              ;   in Loop: Header=BB82_425 Depth=2
	v_mov_b64_e32 v[14:15], v[4:5]
	s_and_not1_b32 vcc_lo, exec_lo, vcc_lo
	s_cbranch_vccnz .LBB82_436
; %bb.435:                              ;   in Loop: Header=BB82_425 Depth=2
	global_load_b64 v[14:15], v[2:3], off
.LBB82_436:                             ;   in Loop: Header=BB82_425 Depth=2
	v_cmp_ne_u32_e32 vcc_lo, 1, v23
	v_mov_b64_e32 v[20:21], v[6:7]
	s_cbranch_vccnz .LBB82_438
; %bb.437:                              ;   in Loop: Header=BB82_425 Depth=2
	global_load_b64 v[20:21], v[2:3], off offset:8
.LBB82_438:                             ;   in Loop: Header=BB82_425 Depth=2
	ds_load_b128 v[70:73], v62
	s_wait_loadcnt_dscnt 0x0
	v_mul_f64_e32 v[74:75], v[20:21], v[72:73]
	v_mul_f64_e32 v[72:73], v[14:15], v[72:73]
	s_delay_alu instid0(VALU_DEP_2) | instskip(NEXT) | instid1(VALU_DEP_2)
	v_fma_f64 v[14:15], v[14:15], v[70:71], -v[74:75]
	v_fmac_f64_e32 v[72:73], v[20:21], v[70:71]
	s_delay_alu instid0(VALU_DEP_2) | instskip(NEXT) | instid1(VALU_DEP_2)
	v_add_f64_e32 v[16:17], v[16:17], v[14:15]
	v_add_f64_e32 v[18:19], v[18:19], v[72:73]
.LBB82_439:                             ;   in Loop: Header=BB82_425 Depth=2
	s_or_b32 exec_lo, exec_lo, s37
	v_add_nc_u32_e32 v0, 16, v0
	s_delay_alu instid0(VALU_DEP_1) | instskip(SKIP_1) | instid1(SALU_CYCLE_1)
	v_cmp_gt_i32_e32 vcc_lo, s63, v0
	s_and_b32 s97, s0, vcc_lo
	s_and_saveexec_b32 s37, s97
	s_cbranch_execz .LBB82_424
; %bb.440:                              ;   in Loop: Header=BB82_425 Depth=2
	v_cmp_ne_u32_e32 vcc_lo, 1, v23
	v_add_nc_u64_e32 v[14:15], s[48:49], v[2:3]
	v_mov_b64_e32 v[2:3], v[8:9]
	s_cbranch_vccnz .LBB82_442
; %bb.441:                              ;   in Loop: Header=BB82_425 Depth=2
	global_load_b64 v[2:3], v[14:15], off
.LBB82_442:                             ;   in Loop: Header=BB82_425 Depth=2
	v_cmp_ne_u32_e32 vcc_lo, 1, v23
	v_mov_b64_e32 v[20:21], v[10:11]
	s_cbranch_vccnz .LBB82_423
; %bb.443:                              ;   in Loop: Header=BB82_425 Depth=2
	global_load_b64 v[20:21], v[14:15], off offset:8
	s_branch .LBB82_423
.LBB82_444:                             ;   in Loop: Header=BB82_3 Depth=1
	ds_store_b128 v64, v[16:19]
	s_wait_dscnt 0x0
	s_barrier_signal -1
	s_barrier_wait -1
	s_and_saveexec_b32 s37, s5
	s_cbranch_execz .LBB82_446
; %bb.445:                              ;   in Loop: Header=BB82_3 Depth=1
	ds_load_b128 v[12:15], v65 offset:512
	ds_load_b128 v[20:23], v65 offset:1024
	s_wait_dscnt 0x1
	v_add_f64_e32 v[2:3], v[16:17], v[12:13]
	v_add_f64_e32 v[12:13], v[18:19], v[14:15]
	s_wait_dscnt 0x0
	s_delay_alu instid0(VALU_DEP_2) | instskip(NEXT) | instid1(VALU_DEP_2)
	v_add_f64_e32 v[2:3], v[2:3], v[20:21]
	v_add_f64_e32 v[20:21], v[12:13], v[22:23]
	ds_load_b128 v[12:15], v65 offset:1536
	ds_load_b128 v[16:19], v65 offset:2048
	s_wait_dscnt 0x1
	v_add_f64_e32 v[2:3], v[2:3], v[12:13]
	v_add_f64_e32 v[12:13], v[20:21], v[14:15]
	s_wait_dscnt 0x0
	s_delay_alu instid0(VALU_DEP_2) | instskip(NEXT) | instid1(VALU_DEP_2)
	v_add_f64_e32 v[2:3], v[2:3], v[16:17]
	v_add_f64_e32 v[20:21], v[12:13], v[18:19]
	;; [unrolled: 9-line block ×7, first 2 shown]
	ds_load_b128 v[12:15], v65 offset:7680
	s_wait_dscnt 0x0
	v_add_f64_e32 v[2:3], v[2:3], v[12:13]
	v_add_f64_e32 v[12:13], v[16:17], v[14:15]
	s_delay_alu instid0(VALU_DEP_2) | instskip(NEXT) | instid1(VALU_DEP_2)
	v_xor_b32_e32 v0, 0x80000000, v3
	v_xor_b32_e32 v3, 0x80000000, v13
	s_delay_alu instid0(VALU_DEP_4) | instskip(NEXT) | instid1(VALU_DEP_4)
	v_cndmask_b32_e64 v16, v2, 0, s36
	v_cndmask_b32_e64 v18, v12, 0, s36
	s_delay_alu instid0(VALU_DEP_4) | instskip(NEXT) | instid1(VALU_DEP_4)
	v_cndmask_b32_e64 v17, v0, 0, s36
	v_cndmask_b32_e64 v19, v3, 0, s36
.LBB82_446:                             ;   in Loop: Header=BB82_3 Depth=1
	s_or_b32 exec_lo, exec_lo, s37
	s_delay_alu instid0(SALU_CYCLE_1)
	s_and_not1_b32 vcc_lo, exec_lo, s67
	s_cbranch_vccnz .LBB82_455
; %bb.447:                              ;   in Loop: Header=BB82_3 Depth=1
	s_and_saveexec_b32 s37, s5
; %bb.448:                              ;   in Loop: Header=BB82_3 Depth=1
	ds_store_b128 v67, v[16:19]
; %bb.449:                              ;   in Loop: Header=BB82_3 Depth=1
	s_or_b32 exec_lo, exec_lo, s37
	v_mov_b64_e32 v[12:13], 0
	v_mov_b64_e32 v[14:15], 0
	s_wait_dscnt 0x0
	s_barrier_signal -1
	s_barrier_wait -1
	s_and_saveexec_b32 s37, s33
	s_cbranch_execz .LBB82_451
; %bb.450:                              ;   in Loop: Header=BB82_3 Depth=1
	ds_load_b128 v[12:15], v62
	ds_load_b128 v[20:23], v66
	s_wait_dscnt 0x0
	v_mul_f64_e32 v[2:3], v[14:15], v[22:23]
	v_mul_f64_e32 v[22:23], v[12:13], v[22:23]
	s_delay_alu instid0(VALU_DEP_2) | instskip(NEXT) | instid1(VALU_DEP_2)
	v_fma_f64 v[2:3], v[12:13], v[20:21], -v[2:3]
	v_fmac_f64_e32 v[22:23], v[14:15], v[20:21]
	s_delay_alu instid0(VALU_DEP_2) | instskip(NEXT) | instid1(VALU_DEP_2)
	v_add_f64_e32 v[12:13], 0, v[2:3]
	v_add_f64_e32 v[14:15], 0, v[22:23]
.LBB82_451:                             ;   in Loop: Header=BB82_3 Depth=1
	s_or_b32 exec_lo, exec_lo, s37
	s_and_saveexec_b32 s37, s34
	s_cbranch_execz .LBB82_453
; %bb.452:                              ;   in Loop: Header=BB82_3 Depth=1
	ds_load_b128 v[20:23], v62 offset:256
	ds_load_b128 v[70:73], v66 offset:8192
	s_wait_dscnt 0x0
	v_mul_f64_e32 v[2:3], v[22:23], v[72:73]
	v_mul_f64_e32 v[72:73], v[20:21], v[72:73]
	s_delay_alu instid0(VALU_DEP_2) | instskip(NEXT) | instid1(VALU_DEP_2)
	v_fma_f64 v[2:3], v[20:21], v[70:71], -v[2:3]
	v_fmac_f64_e32 v[72:73], v[22:23], v[70:71]
	s_delay_alu instid0(VALU_DEP_2) | instskip(NEXT) | instid1(VALU_DEP_2)
	v_add_f64_e32 v[12:13], v[12:13], v[2:3]
	v_add_f64_e32 v[14:15], v[14:15], v[72:73]
.LBB82_453:                             ;   in Loop: Header=BB82_3 Depth=1
	s_or_b32 exec_lo, exec_lo, s37
	s_mov_b32 s58, 0
	s_mov_b32 s37, 0
	ds_store_b128 v64, v[12:15]
	s_wait_dscnt 0x0
	s_barrier_signal -1
	s_barrier_wait -1
                                        ; implicit-def: $vgpr2_vgpr3
                                        ; implicit-def: $vgpr20_vgpr21
	s_and_saveexec_b32 s59, s5
	s_cbranch_execz .LBB82_515
; %bb.454:                              ;   in Loop: Header=BB82_3 Depth=1
	ds_load_b128 v[20:23], v65 offset:512
	ds_load_b128 v[70:73], v65 offset:1024
	s_mov_b32 s37, exec_lo
	s_wait_dscnt 0x1
	v_add_f64_e32 v[2:3], v[12:13], v[20:21]
	v_add_f64_e32 v[12:13], v[14:15], v[22:23]
	s_wait_dscnt 0x0
	s_delay_alu instid0(VALU_DEP_2) | instskip(NEXT) | instid1(VALU_DEP_2)
	v_add_f64_e32 v[2:3], v[2:3], v[70:71]
	v_add_f64_e32 v[70:71], v[12:13], v[72:73]
	ds_load_b128 v[12:15], v65 offset:1536
	ds_load_b128 v[20:23], v65 offset:2048
	s_wait_dscnt 0x1
	v_add_f64_e32 v[2:3], v[2:3], v[12:13]
	v_add_f64_e32 v[12:13], v[70:71], v[14:15]
	s_wait_dscnt 0x0
	s_delay_alu instid0(VALU_DEP_2) | instskip(NEXT) | instid1(VALU_DEP_2)
	v_add_f64_e32 v[2:3], v[2:3], v[20:21]
	v_add_f64_e32 v[70:71], v[12:13], v[22:23]
	ds_load_b128 v[12:15], v65 offset:2560
	ds_load_b128 v[20:23], v65 offset:3072
	;; [unrolled: 9-line block ×6, first 2 shown]
	s_wait_dscnt 0x1
	v_add_f64_e32 v[2:3], v[2:3], v[12:13]
	v_add_f64_e32 v[12:13], v[70:71], v[14:15]
	s_wait_dscnt 0x0
	s_delay_alu instid0(VALU_DEP_2) | instskip(NEXT) | instid1(VALU_DEP_2)
	v_add_f64_e32 v[2:3], v[2:3], v[20:21]
	v_add_f64_e32 v[22:23], v[12:13], v[22:23]
	ds_load_b128 v[12:15], v65 offset:7680
	s_wait_dscnt 0x0
	v_add_f64_e32 v[20:21], v[2:3], v[12:13]
	v_add_f64_e32 v[2:3], v[22:23], v[14:15]
	s_or_b32 exec_lo, exec_lo, s59
	s_delay_alu instid0(SALU_CYCLE_1)
	s_and_b32 vcc_lo, exec_lo, s58
	s_cbranch_vccnz .LBB82_456
	s_branch .LBB82_516
.LBB82_455:                             ;   in Loop: Header=BB82_3 Depth=1
	s_mov_b32 s37, 0
                                        ; implicit-def: $vgpr2_vgpr3
                                        ; implicit-def: $vgpr20_vgpr21
	s_cbranch_execz .LBB82_516
.LBB82_456:                             ;   in Loop: Header=BB82_3 Depth=1
	v_dual_mov_b32 v0, v24 :: v_dual_mov_b32 v2, v27
	s_mov_b32 s58, 0
	s_branch .LBB82_458
.LBB82_457:                             ;   in Loop: Header=BB82_458 Depth=2
	s_or_b32 exec_lo, exec_lo, s59
	v_add_nc_u32_e32 v2, 0x400, v2
	v_add_nc_u32_e32 v0, -2, v0
	s_add_co_i32 s58, s58, 2
	s_delay_alu instid0(SALU_CYCLE_1)
	s_cmp_lg_u32 s58, 32
	s_barrier_signal -1
	s_barrier_wait -1
	s_cbranch_scc0 .LBB82_466
.LBB82_458:                             ;   Parent Loop BB82_3 Depth=1
                                        ; =>  This Inner Loop Header: Depth=2
	s_delay_alu instid0(VALU_DEP_1) | instskip(SKIP_1) | instid1(SALU_CYCLE_1)
	v_cmp_eq_u32_e32 vcc_lo, 0, v0
	s_and_b32 s96, s5, vcc_lo
	s_and_saveexec_b32 s59, s96
	s_cbranch_execz .LBB82_460
; %bb.459:                              ;   in Loop: Header=BB82_458 Depth=2
	ds_load_b128 v[12:15], v68
	s_wait_dscnt 0x0
	v_mul_f64_e32 v[20:21], v[18:19], v[14:15]
	v_mul_f64_e32 v[22:23], v[16:17], v[14:15]
	s_delay_alu instid0(VALU_DEP_2) | instskip(NEXT) | instid1(VALU_DEP_2)
	v_fma_f64 v[20:21], v[16:17], v[12:13], -v[20:21]
	v_fmac_f64_e32 v[22:23], v[18:19], v[12:13]
	s_delay_alu instid0(VALU_DEP_2) | instskip(NEXT) | instid1(VALU_DEP_2)
	v_mov_b64_e32 v[16:17], v[20:21]
	v_mov_b64_e32 v[18:19], v[22:23]
	ds_store_b128 v1, v[20:23] offset:25088
.LBB82_460:                             ;   in Loop: Header=BB82_458 Depth=2
	s_or_b32 exec_lo, exec_lo, s59
	v_cmp_lt_u32_e32 vcc_lo, s58, v24
	s_wait_dscnt 0x0
	s_barrier_signal -1
	s_barrier_wait -1
	s_and_b32 s96, s5, vcc_lo
	s_delay_alu instid0(SALU_CYCLE_1)
	s_and_saveexec_b32 s59, s96
	s_cbranch_execz .LBB82_462
; %bb.461:                              ;   in Loop: Header=BB82_458 Depth=2
	ds_load_b128 v[12:15], v1 offset:25088
	ds_load_b128 v[20:23], v2
	s_wait_dscnt 0x0
	v_mul_f64_e32 v[70:71], v[14:15], v[22:23]
	v_mul_f64_e32 v[22:23], v[12:13], v[22:23]
	s_delay_alu instid0(VALU_DEP_2) | instskip(NEXT) | instid1(VALU_DEP_2)
	v_fma_f64 v[12:13], v[12:13], v[20:21], -v[70:71]
	v_fmac_f64_e32 v[22:23], v[14:15], v[20:21]
	s_delay_alu instid0(VALU_DEP_2) | instskip(NEXT) | instid1(VALU_DEP_2)
	v_add_f64_e32 v[16:17], v[16:17], v[12:13]
	v_add_f64_e32 v[18:19], v[18:19], v[22:23]
.LBB82_462:                             ;   in Loop: Header=BB82_458 Depth=2
	s_or_b32 exec_lo, exec_lo, s59
	s_or_b32 s59, s58, 1
	s_delay_alu instid0(SALU_CYCLE_1) | instskip(SKIP_3) | instid1(SALU_CYCLE_1)
	v_cmp_eq_u32_e32 vcc_lo, s59, v24
	s_barrier_signal -1
	s_barrier_wait -1
	s_and_b32 s97, s5, vcc_lo
	s_and_saveexec_b32 s96, s97
	s_cbranch_execz .LBB82_464
; %bb.463:                              ;   in Loop: Header=BB82_458 Depth=2
	ds_load_b128 v[12:15], v68
	s_wait_dscnt 0x0
	v_mul_f64_e32 v[20:21], v[18:19], v[14:15]
	v_mul_f64_e32 v[22:23], v[16:17], v[14:15]
	s_delay_alu instid0(VALU_DEP_2) | instskip(NEXT) | instid1(VALU_DEP_2)
	v_fma_f64 v[20:21], v[16:17], v[12:13], -v[20:21]
	v_fmac_f64_e32 v[22:23], v[18:19], v[12:13]
	s_delay_alu instid0(VALU_DEP_2) | instskip(NEXT) | instid1(VALU_DEP_2)
	v_mov_b64_e32 v[16:17], v[20:21]
	v_mov_b64_e32 v[18:19], v[22:23]
	ds_store_b128 v1, v[20:23] offset:25088
.LBB82_464:                             ;   in Loop: Header=BB82_458 Depth=2
	s_or_b32 exec_lo, exec_lo, s96
	v_cmp_lt_u32_e32 vcc_lo, s59, v24
	s_wait_dscnt 0x0
	s_barrier_signal -1
	s_barrier_wait -1
	s_and_b32 s96, s5, vcc_lo
	s_delay_alu instid0(SALU_CYCLE_1)
	s_and_saveexec_b32 s59, s96
	s_cbranch_execz .LBB82_457
; %bb.465:                              ;   in Loop: Header=BB82_458 Depth=2
	ds_load_b128 v[12:15], v1 offset:25088
	ds_load_b128 v[20:23], v2 offset:512
	s_wait_dscnt 0x0
	v_mul_f64_e32 v[70:71], v[14:15], v[22:23]
	v_mul_f64_e32 v[22:23], v[12:13], v[22:23]
	s_delay_alu instid0(VALU_DEP_2) | instskip(NEXT) | instid1(VALU_DEP_2)
	v_fma_f64 v[12:13], v[12:13], v[20:21], -v[70:71]
	v_fmac_f64_e32 v[22:23], v[14:15], v[20:21]
	s_delay_alu instid0(VALU_DEP_2) | instskip(NEXT) | instid1(VALU_DEP_2)
	v_add_f64_e32 v[16:17], v[16:17], v[12:13]
	v_add_f64_e32 v[18:19], v[18:19], v[22:23]
	s_branch .LBB82_457
.LBB82_466:                             ;   in Loop: Header=BB82_3 Depth=1
	s_and_b32 vcc_lo, exec_lo, s66
	s_mov_b32 s58, -1
	s_cbranch_vccz .LBB82_468
; %bb.467:                              ;   in Loop: Header=BB82_3 Depth=1
	s_and_not1_b32 s37, s37, exec_lo
	s_and_b32 s59, s5, exec_lo
	s_mov_b32 s58, 0
	s_or_b32 s37, s37, s59
.LBB82_468:                             ;   in Loop: Header=BB82_3 Depth=1
	s_and_not1_b32 vcc_lo, exec_lo, s58
	s_cbranch_vccnz .LBB82_470
; %bb.469:                              ;   in Loop: Header=BB82_3 Depth=1
	v_readlane_b32 s58, v76, 10
	s_and_not1_b32 s37, s37, exec_lo
	s_and_b32 s58, s58, exec_lo
	s_delay_alu instid0(SALU_CYCLE_1)
	s_or_b32 s37, s37, s58
.LBB82_470:                             ;   in Loop: Header=BB82_3 Depth=1
	v_mov_b64_e32 v[2:3], v[40:41]
	s_and_saveexec_b32 s58, s37
	s_cbranch_execnz .LBB82_517
	s_branch .LBB82_518
.LBB82_471:                             ;   in Loop: Header=BB82_3 Depth=1
	s_mov_b32 s61, exec_lo
	v_readlane_b32 s96, v76, 11
	s_and_b32 s96, s61, s96
	s_delay_alu instid0(SALU_CYCLE_1)
	s_xor_b32 s61, s96, s61
	s_mov_b32 exec_lo, s96
	s_cbranch_execz .LBB82_473
; %bb.472:                              ;   in Loop: Header=BB82_3 Depth=1
	v_readlane_b32 s60, v76, 26
	s_and_b32 s60, s60, exec_lo
.LBB82_473:                             ;   in Loop: Header=BB82_3 Depth=1
	s_or_saveexec_b32 s61, s61
	v_mov_b64_e32 v[18:19], 0
	v_mov_b64_e32 v[16:17], 0
	s_xor_b32 exec_lo, exec_lo, s61
	s_cbranch_execz .LBB82_479
; %bb.474:                              ;   in Loop: Header=BB82_3 Depth=1
	v_lshl_add_u64 v[2:3], v[34:35], 4, s[58:59]
                                        ; implicit-def: $vgpr18_vgpr19
	global_load_b128 v[20:23], v[2:3], off
	s_wait_loadcnt 0x0
	v_cmp_ngt_f64_e64 s96, |v[20:21]|, |v[22:23]|
	s_and_saveexec_b32 s97, s96
	s_delay_alu instid0(SALU_CYCLE_1)
	s_xor_b32 s96, exec_lo, s97
	s_cbranch_execz .LBB82_476
; %bb.475:                              ;   in Loop: Header=BB82_3 Depth=1
	v_div_scale_f64 v[2:3], null, v[22:23], v[22:23], v[20:21]
	v_div_scale_f64 v[70:71], vcc_lo, v[20:21], v[22:23], v[20:21]
	s_delay_alu instid0(VALU_DEP_2) | instskip(SKIP_1) | instid1(TRANS32_DEP_1)
	v_rcp_f64_e32 v[16:17], v[2:3]
	v_nop
	v_fma_f64 v[18:19], -v[2:3], v[16:17], 1.0
	s_delay_alu instid0(VALU_DEP_1) | instskip(NEXT) | instid1(VALU_DEP_1)
	v_fmac_f64_e32 v[16:17], v[16:17], v[18:19]
	v_fma_f64 v[18:19], -v[2:3], v[16:17], 1.0
	s_delay_alu instid0(VALU_DEP_1) | instskip(NEXT) | instid1(VALU_DEP_1)
	v_fmac_f64_e32 v[16:17], v[16:17], v[18:19]
	v_mul_f64_e32 v[18:19], v[70:71], v[16:17]
	s_delay_alu instid0(VALU_DEP_1) | instskip(NEXT) | instid1(VALU_DEP_1)
	v_fma_f64 v[2:3], -v[2:3], v[18:19], v[70:71]
	v_div_fmas_f64 v[2:3], v[2:3], v[16:17], v[18:19]
	s_delay_alu instid0(VALU_DEP_1) | instskip(NEXT) | instid1(VALU_DEP_1)
	v_div_fixup_f64 v[2:3], v[2:3], v[22:23], v[20:21]
	v_fmac_f64_e32 v[22:23], v[20:21], v[2:3]
	s_delay_alu instid0(VALU_DEP_1) | instskip(NEXT) | instid1(VALU_DEP_1)
	v_div_scale_f64 v[16:17], null, v[22:23], v[22:23], 1.0
	v_rcp_f64_e32 v[18:19], v[16:17]
	v_nop
	s_delay_alu instid0(TRANS32_DEP_1) | instskip(NEXT) | instid1(VALU_DEP_1)
	v_fma_f64 v[20:21], -v[16:17], v[18:19], 1.0
	v_fmac_f64_e32 v[18:19], v[18:19], v[20:21]
	s_delay_alu instid0(VALU_DEP_1) | instskip(NEXT) | instid1(VALU_DEP_1)
	v_fma_f64 v[20:21], -v[16:17], v[18:19], 1.0
	v_fmac_f64_e32 v[18:19], v[18:19], v[20:21]
	v_div_scale_f64 v[20:21], vcc_lo, 1.0, v[22:23], 1.0
	s_delay_alu instid0(VALU_DEP_1) | instskip(NEXT) | instid1(VALU_DEP_1)
	v_mul_f64_e32 v[70:71], v[20:21], v[18:19]
	v_fma_f64 v[16:17], -v[16:17], v[70:71], v[20:21]
	s_delay_alu instid0(VALU_DEP_1) | instskip(NEXT) | instid1(VALU_DEP_1)
	v_div_fmas_f64 v[16:17], v[16:17], v[18:19], v[70:71]
	v_div_fixup_f64 v[18:19], v[16:17], v[22:23], 1.0
                                        ; implicit-def: $vgpr20_vgpr21
	s_delay_alu instid0(VALU_DEP_1)
	v_mul_f64_e32 v[16:17], v[2:3], v[18:19]
	v_xor_b32_e32 v19, 0x80000000, v19
.LBB82_476:                             ;   in Loop: Header=BB82_3 Depth=1
	s_and_not1_saveexec_b32 s96, s96
	s_cbranch_execz .LBB82_478
; %bb.477:                              ;   in Loop: Header=BB82_3 Depth=1
	v_div_scale_f64 v[2:3], null, v[20:21], v[20:21], v[22:23]
	v_div_scale_f64 v[70:71], vcc_lo, v[22:23], v[20:21], v[22:23]
	s_delay_alu instid0(VALU_DEP_2) | instskip(SKIP_1) | instid1(TRANS32_DEP_1)
	v_rcp_f64_e32 v[16:17], v[2:3]
	v_nop
	v_fma_f64 v[18:19], -v[2:3], v[16:17], 1.0
	s_delay_alu instid0(VALU_DEP_1) | instskip(NEXT) | instid1(VALU_DEP_1)
	v_fmac_f64_e32 v[16:17], v[16:17], v[18:19]
	v_fma_f64 v[18:19], -v[2:3], v[16:17], 1.0
	s_delay_alu instid0(VALU_DEP_1) | instskip(NEXT) | instid1(VALU_DEP_1)
	v_fmac_f64_e32 v[16:17], v[16:17], v[18:19]
	v_mul_f64_e32 v[18:19], v[70:71], v[16:17]
	s_delay_alu instid0(VALU_DEP_1) | instskip(NEXT) | instid1(VALU_DEP_1)
	v_fma_f64 v[2:3], -v[2:3], v[18:19], v[70:71]
	v_div_fmas_f64 v[2:3], v[2:3], v[16:17], v[18:19]
	s_delay_alu instid0(VALU_DEP_1) | instskip(NEXT) | instid1(VALU_DEP_1)
	v_div_fixup_f64 v[2:3], v[2:3], v[20:21], v[22:23]
	v_fmac_f64_e32 v[20:21], v[22:23], v[2:3]
	s_delay_alu instid0(VALU_DEP_1) | instskip(NEXT) | instid1(VALU_DEP_1)
	v_div_scale_f64 v[16:17], null, v[20:21], v[20:21], 1.0
	v_rcp_f64_e32 v[18:19], v[16:17]
	v_nop
	s_delay_alu instid0(TRANS32_DEP_1) | instskip(NEXT) | instid1(VALU_DEP_1)
	v_fma_f64 v[22:23], -v[16:17], v[18:19], 1.0
	v_fmac_f64_e32 v[18:19], v[18:19], v[22:23]
	s_delay_alu instid0(VALU_DEP_1) | instskip(NEXT) | instid1(VALU_DEP_1)
	v_fma_f64 v[22:23], -v[16:17], v[18:19], 1.0
	v_fmac_f64_e32 v[18:19], v[18:19], v[22:23]
	v_div_scale_f64 v[22:23], vcc_lo, 1.0, v[20:21], 1.0
	s_delay_alu instid0(VALU_DEP_1) | instskip(NEXT) | instid1(VALU_DEP_1)
	v_mul_f64_e32 v[70:71], v[22:23], v[18:19]
	v_fma_f64 v[16:17], -v[16:17], v[70:71], v[22:23]
	s_delay_alu instid0(VALU_DEP_1) | instskip(NEXT) | instid1(VALU_DEP_1)
	v_div_fmas_f64 v[16:17], v[16:17], v[18:19], v[70:71]
	v_div_fixup_f64 v[16:17], v[16:17], v[20:21], 1.0
	s_delay_alu instid0(VALU_DEP_1)
	v_mul_f64_e64 v[18:19], v[2:3], -v[16:17]
.LBB82_478:                             ;   in Loop: Header=BB82_3 Depth=1
	s_or_b32 exec_lo, exec_lo, s96
	s_delay_alu instid0(SALU_CYCLE_1)
	s_or_b32 s60, s60, exec_lo
.LBB82_479:                             ;   in Loop: Header=BB82_3 Depth=1
	s_or_b32 exec_lo, exec_lo, s61
	s_delay_alu instid0(SALU_CYCLE_1)
	s_and_b32 s60, s60, exec_lo
	s_and_not1_saveexec_b32 s37, s37
	s_cbranch_execz .LBB82_13
.LBB82_480:                             ;   in Loop: Header=BB82_3 Depth=1
	v_lshl_add_u64 v[2:3], v[34:35], 4, s[58:59]
	s_or_b32 s60, s60, exec_lo
	global_load_b128 v[16:19], v[2:3], off
	s_wait_loadcnt 0x0
	v_xor_b32_e32 v17, 0x80000000, v17
	v_xor_b32_e32 v19, 0x80000000, v19
	s_or_b32 exec_lo, exec_lo, s37
	s_and_saveexec_b32 s37, s60
	s_cbranch_execz .LBB82_14
.LBB82_481:                             ;   in Loop: Header=BB82_3 Depth=1
	ds_store_b128 v66, v[16:19]
	s_or_b32 exec_lo, exec_lo, s37
	s_and_saveexec_b32 s37, s7
	s_delay_alu instid0(SALU_CYCLE_1)
	s_xor_b32 s37, exec_lo, s37
	s_cbranch_execz .LBB82_15
.LBB82_482:                             ;   in Loop: Header=BB82_3 Depth=1
	s_mov_b32 s60, exec_lo
	v_readlane_b32 s61, v76, 13
	s_and_b32 s61, s60, s61
	s_delay_alu instid0(SALU_CYCLE_1)
	s_xor_b32 s60, s61, s60
	s_mov_b32 exec_lo, s61
	s_cbranch_execz .LBB82_486
; %bb.483:                              ;   in Loop: Header=BB82_3 Depth=1
	s_mov_b32 s61, exec_lo
	v_readlane_b32 s96, v76, 27
	s_and_b32 s96, s61, s96
	s_delay_alu instid0(SALU_CYCLE_1)
	s_mov_b32 exec_lo, s96
; %bb.484:                              ;   in Loop: Header=BB82_3 Depth=1
	v_dual_mov_b32 v0, v1 :: v_dual_mov_b32 v2, v1
	v_mov_b32_e32 v3, v1
	ds_store_b128 v69, v[0:3]
; %bb.485:                              ;   in Loop: Header=BB82_3 Depth=1
	s_or_b32 exec_lo, exec_lo, s61
.LBB82_486:                             ;   in Loop: Header=BB82_3 Depth=1
	s_and_not1_saveexec_b32 s60, s60
	s_cbranch_execz .LBB82_492
; %bb.487:                              ;   in Loop: Header=BB82_3 Depth=1
	v_lshl_add_u64 v[2:3], v[38:39], 4, s[58:59]
                                        ; implicit-def: $vgpr20_vgpr21
	global_load_b128 v[16:19], v[2:3], off
	s_wait_loadcnt 0x0
	v_cmp_ngt_f64_e64 s61, |v[16:17]|, |v[18:19]|
	s_and_saveexec_b32 s96, s61
	s_delay_alu instid0(SALU_CYCLE_1)
	s_xor_b32 s61, exec_lo, s96
	s_cbranch_execz .LBB82_489
; %bb.488:                              ;   in Loop: Header=BB82_3 Depth=1
	v_div_scale_f64 v[2:3], null, v[18:19], v[18:19], v[16:17]
	v_div_scale_f64 v[70:71], vcc_lo, v[16:17], v[18:19], v[16:17]
	s_delay_alu instid0(VALU_DEP_2) | instskip(SKIP_1) | instid1(TRANS32_DEP_1)
	v_rcp_f64_e32 v[20:21], v[2:3]
	v_nop
	v_fma_f64 v[22:23], -v[2:3], v[20:21], 1.0
	s_delay_alu instid0(VALU_DEP_1) | instskip(NEXT) | instid1(VALU_DEP_1)
	v_fmac_f64_e32 v[20:21], v[20:21], v[22:23]
	v_fma_f64 v[22:23], -v[2:3], v[20:21], 1.0
	s_delay_alu instid0(VALU_DEP_1) | instskip(NEXT) | instid1(VALU_DEP_1)
	v_fmac_f64_e32 v[20:21], v[20:21], v[22:23]
	v_mul_f64_e32 v[22:23], v[70:71], v[20:21]
	s_delay_alu instid0(VALU_DEP_1) | instskip(NEXT) | instid1(VALU_DEP_1)
	v_fma_f64 v[2:3], -v[2:3], v[22:23], v[70:71]
	v_div_fmas_f64 v[2:3], v[2:3], v[20:21], v[22:23]
	s_delay_alu instid0(VALU_DEP_1) | instskip(NEXT) | instid1(VALU_DEP_1)
	v_div_fixup_f64 v[2:3], v[2:3], v[18:19], v[16:17]
	v_fmac_f64_e32 v[18:19], v[16:17], v[2:3]
	s_delay_alu instid0(VALU_DEP_1) | instskip(NEXT) | instid1(VALU_DEP_1)
	v_div_scale_f64 v[16:17], null, v[18:19], v[18:19], 1.0
	v_rcp_f64_e32 v[20:21], v[16:17]
	v_nop
	s_delay_alu instid0(TRANS32_DEP_1) | instskip(NEXT) | instid1(VALU_DEP_1)
	v_fma_f64 v[22:23], -v[16:17], v[20:21], 1.0
	v_fmac_f64_e32 v[20:21], v[20:21], v[22:23]
	s_delay_alu instid0(VALU_DEP_1) | instskip(NEXT) | instid1(VALU_DEP_1)
	v_fma_f64 v[22:23], -v[16:17], v[20:21], 1.0
	v_fmac_f64_e32 v[20:21], v[20:21], v[22:23]
	v_div_scale_f64 v[22:23], vcc_lo, 1.0, v[18:19], 1.0
	s_delay_alu instid0(VALU_DEP_1) | instskip(NEXT) | instid1(VALU_DEP_1)
	v_mul_f64_e32 v[70:71], v[22:23], v[20:21]
	v_fma_f64 v[16:17], -v[16:17], v[70:71], v[22:23]
	s_delay_alu instid0(VALU_DEP_1) | instskip(NEXT) | instid1(VALU_DEP_1)
	v_div_fmas_f64 v[16:17], v[16:17], v[20:21], v[70:71]
	v_div_fixup_f64 v[22:23], v[16:17], v[18:19], 1.0
                                        ; implicit-def: $vgpr16_vgpr17
	s_delay_alu instid0(VALU_DEP_1)
	v_mul_f64_e32 v[20:21], v[2:3], v[22:23]
	v_xor_b32_e32 v23, 0x80000000, v23
.LBB82_489:                             ;   in Loop: Header=BB82_3 Depth=1
	s_and_not1_saveexec_b32 s61, s61
	s_cbranch_execz .LBB82_491
; %bb.490:                              ;   in Loop: Header=BB82_3 Depth=1
	v_div_scale_f64 v[2:3], null, v[16:17], v[16:17], v[18:19]
	v_div_scale_f64 v[70:71], vcc_lo, v[18:19], v[16:17], v[18:19]
	s_delay_alu instid0(VALU_DEP_2) | instskip(SKIP_1) | instid1(TRANS32_DEP_1)
	v_rcp_f64_e32 v[20:21], v[2:3]
	v_nop
	v_fma_f64 v[22:23], -v[2:3], v[20:21], 1.0
	s_delay_alu instid0(VALU_DEP_1) | instskip(NEXT) | instid1(VALU_DEP_1)
	v_fmac_f64_e32 v[20:21], v[20:21], v[22:23]
	v_fma_f64 v[22:23], -v[2:3], v[20:21], 1.0
	s_delay_alu instid0(VALU_DEP_1) | instskip(NEXT) | instid1(VALU_DEP_1)
	v_fmac_f64_e32 v[20:21], v[20:21], v[22:23]
	v_mul_f64_e32 v[22:23], v[70:71], v[20:21]
	s_delay_alu instid0(VALU_DEP_1) | instskip(NEXT) | instid1(VALU_DEP_1)
	v_fma_f64 v[2:3], -v[2:3], v[22:23], v[70:71]
	v_div_fmas_f64 v[2:3], v[2:3], v[20:21], v[22:23]
	s_delay_alu instid0(VALU_DEP_1) | instskip(NEXT) | instid1(VALU_DEP_1)
	v_div_fixup_f64 v[2:3], v[2:3], v[16:17], v[18:19]
	v_fmac_f64_e32 v[16:17], v[18:19], v[2:3]
	s_delay_alu instid0(VALU_DEP_1) | instskip(NEXT) | instid1(VALU_DEP_1)
	v_div_scale_f64 v[18:19], null, v[16:17], v[16:17], 1.0
	v_rcp_f64_e32 v[20:21], v[18:19]
	v_nop
	s_delay_alu instid0(TRANS32_DEP_1) | instskip(NEXT) | instid1(VALU_DEP_1)
	v_fma_f64 v[22:23], -v[18:19], v[20:21], 1.0
	v_fmac_f64_e32 v[20:21], v[20:21], v[22:23]
	s_delay_alu instid0(VALU_DEP_1) | instskip(NEXT) | instid1(VALU_DEP_1)
	v_fma_f64 v[22:23], -v[18:19], v[20:21], 1.0
	v_fmac_f64_e32 v[20:21], v[20:21], v[22:23]
	v_div_scale_f64 v[22:23], vcc_lo, 1.0, v[16:17], 1.0
	s_delay_alu instid0(VALU_DEP_1) | instskip(NEXT) | instid1(VALU_DEP_1)
	v_mul_f64_e32 v[70:71], v[22:23], v[20:21]
	v_fma_f64 v[18:19], -v[18:19], v[70:71], v[22:23]
	s_delay_alu instid0(VALU_DEP_1) | instskip(NEXT) | instid1(VALU_DEP_1)
	v_div_fmas_f64 v[18:19], v[18:19], v[20:21], v[70:71]
	v_div_fixup_f64 v[20:21], v[18:19], v[16:17], 1.0
	s_delay_alu instid0(VALU_DEP_1)
	v_mul_f64_e64 v[22:23], v[2:3], -v[20:21]
.LBB82_491:                             ;   in Loop: Header=BB82_3 Depth=1
	s_or_b32 exec_lo, exec_lo, s61
	ds_store_b128 v69, v[20:23]
.LBB82_492:                             ;   in Loop: Header=BB82_3 Depth=1
	s_or_b32 exec_lo, exec_lo, s60
	s_and_not1_saveexec_b32 s37, s37
	s_cbranch_execnz .LBB82_16
	s_branch .LBB82_17
.LBB82_493:                             ;   in Loop: Header=BB82_3 Depth=1
	s_mov_b32 s61, exec_lo
	v_readlane_b32 s96, v76, 12
	s_and_b32 s96, s61, s96
	s_delay_alu instid0(SALU_CYCLE_1)
	s_xor_b32 s61, s96, s61
	s_mov_b32 exec_lo, s96
	s_cbranch_execz .LBB82_495
; %bb.494:                              ;   in Loop: Header=BB82_3 Depth=1
	v_readlane_b32 s60, v76, 26
	s_and_b32 s60, s60, exec_lo
.LBB82_495:                             ;   in Loop: Header=BB82_3 Depth=1
	s_or_saveexec_b32 s61, s61
	v_mov_b64_e32 v[18:19], 0
	v_mov_b64_e32 v[16:17], 0
	s_xor_b32 exec_lo, exec_lo, s61
	s_cbranch_execz .LBB82_501
; %bb.496:                              ;   in Loop: Header=BB82_3 Depth=1
	v_lshl_add_u64 v[2:3], v[34:35], 4, s[58:59]
                                        ; implicit-def: $vgpr18_vgpr19
	global_load_b128 v[20:23], v[2:3], off
	s_wait_loadcnt 0x0
	v_cmp_ngt_f64_e64 s96, |v[20:21]|, |v[22:23]|
	s_and_saveexec_b32 s97, s96
	s_delay_alu instid0(SALU_CYCLE_1)
	s_xor_b32 s96, exec_lo, s97
	s_cbranch_execz .LBB82_498
; %bb.497:                              ;   in Loop: Header=BB82_3 Depth=1
	v_div_scale_f64 v[2:3], null, v[22:23], v[22:23], v[20:21]
	v_div_scale_f64 v[70:71], vcc_lo, v[20:21], v[22:23], v[20:21]
	s_delay_alu instid0(VALU_DEP_2) | instskip(SKIP_1) | instid1(TRANS32_DEP_1)
	v_rcp_f64_e32 v[16:17], v[2:3]
	v_nop
	v_fma_f64 v[18:19], -v[2:3], v[16:17], 1.0
	s_delay_alu instid0(VALU_DEP_1) | instskip(NEXT) | instid1(VALU_DEP_1)
	v_fmac_f64_e32 v[16:17], v[16:17], v[18:19]
	v_fma_f64 v[18:19], -v[2:3], v[16:17], 1.0
	s_delay_alu instid0(VALU_DEP_1) | instskip(NEXT) | instid1(VALU_DEP_1)
	v_fmac_f64_e32 v[16:17], v[16:17], v[18:19]
	v_mul_f64_e32 v[18:19], v[70:71], v[16:17]
	s_delay_alu instid0(VALU_DEP_1) | instskip(NEXT) | instid1(VALU_DEP_1)
	v_fma_f64 v[2:3], -v[2:3], v[18:19], v[70:71]
	v_div_fmas_f64 v[2:3], v[2:3], v[16:17], v[18:19]
	s_delay_alu instid0(VALU_DEP_1) | instskip(NEXT) | instid1(VALU_DEP_1)
	v_div_fixup_f64 v[2:3], v[2:3], v[22:23], v[20:21]
	v_fmac_f64_e32 v[22:23], v[20:21], v[2:3]
	s_delay_alu instid0(VALU_DEP_1) | instskip(NEXT) | instid1(VALU_DEP_1)
	v_div_scale_f64 v[16:17], null, v[22:23], v[22:23], 1.0
	v_rcp_f64_e32 v[18:19], v[16:17]
	v_nop
	s_delay_alu instid0(TRANS32_DEP_1) | instskip(NEXT) | instid1(VALU_DEP_1)
	v_fma_f64 v[20:21], -v[16:17], v[18:19], 1.0
	v_fmac_f64_e32 v[18:19], v[18:19], v[20:21]
	s_delay_alu instid0(VALU_DEP_1) | instskip(NEXT) | instid1(VALU_DEP_1)
	v_fma_f64 v[20:21], -v[16:17], v[18:19], 1.0
	v_fmac_f64_e32 v[18:19], v[18:19], v[20:21]
	v_div_scale_f64 v[20:21], vcc_lo, 1.0, v[22:23], 1.0
	s_delay_alu instid0(VALU_DEP_1) | instskip(NEXT) | instid1(VALU_DEP_1)
	v_mul_f64_e32 v[70:71], v[20:21], v[18:19]
	v_fma_f64 v[16:17], -v[16:17], v[70:71], v[20:21]
	s_delay_alu instid0(VALU_DEP_1) | instskip(NEXT) | instid1(VALU_DEP_1)
	v_div_fmas_f64 v[16:17], v[16:17], v[18:19], v[70:71]
	v_div_fixup_f64 v[18:19], v[16:17], v[22:23], 1.0
                                        ; implicit-def: $vgpr20_vgpr21
	s_delay_alu instid0(VALU_DEP_1)
	v_mul_f64_e32 v[16:17], v[2:3], v[18:19]
	v_xor_b32_e32 v19, 0x80000000, v19
.LBB82_498:                             ;   in Loop: Header=BB82_3 Depth=1
	s_and_not1_saveexec_b32 s96, s96
	s_cbranch_execz .LBB82_500
; %bb.499:                              ;   in Loop: Header=BB82_3 Depth=1
	v_div_scale_f64 v[2:3], null, v[20:21], v[20:21], v[22:23]
	v_div_scale_f64 v[70:71], vcc_lo, v[22:23], v[20:21], v[22:23]
	s_delay_alu instid0(VALU_DEP_2) | instskip(SKIP_1) | instid1(TRANS32_DEP_1)
	v_rcp_f64_e32 v[16:17], v[2:3]
	v_nop
	v_fma_f64 v[18:19], -v[2:3], v[16:17], 1.0
	s_delay_alu instid0(VALU_DEP_1) | instskip(NEXT) | instid1(VALU_DEP_1)
	v_fmac_f64_e32 v[16:17], v[16:17], v[18:19]
	v_fma_f64 v[18:19], -v[2:3], v[16:17], 1.0
	s_delay_alu instid0(VALU_DEP_1) | instskip(NEXT) | instid1(VALU_DEP_1)
	v_fmac_f64_e32 v[16:17], v[16:17], v[18:19]
	v_mul_f64_e32 v[18:19], v[70:71], v[16:17]
	s_delay_alu instid0(VALU_DEP_1) | instskip(NEXT) | instid1(VALU_DEP_1)
	v_fma_f64 v[2:3], -v[2:3], v[18:19], v[70:71]
	v_div_fmas_f64 v[2:3], v[2:3], v[16:17], v[18:19]
	s_delay_alu instid0(VALU_DEP_1) | instskip(NEXT) | instid1(VALU_DEP_1)
	v_div_fixup_f64 v[2:3], v[2:3], v[20:21], v[22:23]
	v_fmac_f64_e32 v[20:21], v[22:23], v[2:3]
	s_delay_alu instid0(VALU_DEP_1) | instskip(NEXT) | instid1(VALU_DEP_1)
	v_div_scale_f64 v[16:17], null, v[20:21], v[20:21], 1.0
	v_rcp_f64_e32 v[18:19], v[16:17]
	v_nop
	s_delay_alu instid0(TRANS32_DEP_1) | instskip(NEXT) | instid1(VALU_DEP_1)
	v_fma_f64 v[22:23], -v[16:17], v[18:19], 1.0
	v_fmac_f64_e32 v[18:19], v[18:19], v[22:23]
	s_delay_alu instid0(VALU_DEP_1) | instskip(NEXT) | instid1(VALU_DEP_1)
	v_fma_f64 v[22:23], -v[16:17], v[18:19], 1.0
	v_fmac_f64_e32 v[18:19], v[18:19], v[22:23]
	v_div_scale_f64 v[22:23], vcc_lo, 1.0, v[20:21], 1.0
	s_delay_alu instid0(VALU_DEP_1) | instskip(NEXT) | instid1(VALU_DEP_1)
	v_mul_f64_e32 v[70:71], v[22:23], v[18:19]
	v_fma_f64 v[16:17], -v[16:17], v[70:71], v[22:23]
	s_delay_alu instid0(VALU_DEP_1) | instskip(NEXT) | instid1(VALU_DEP_1)
	v_div_fmas_f64 v[16:17], v[16:17], v[18:19], v[70:71]
	v_div_fixup_f64 v[16:17], v[16:17], v[20:21], 1.0
	s_delay_alu instid0(VALU_DEP_1)
	v_mul_f64_e64 v[18:19], v[2:3], -v[16:17]
.LBB82_500:                             ;   in Loop: Header=BB82_3 Depth=1
	s_or_b32 exec_lo, exec_lo, s96
	s_delay_alu instid0(SALU_CYCLE_1)
	s_or_b32 s60, s60, exec_lo
.LBB82_501:                             ;   in Loop: Header=BB82_3 Depth=1
	s_or_b32 exec_lo, exec_lo, s61
	s_delay_alu instid0(SALU_CYCLE_1)
	s_and_b32 s60, s60, exec_lo
	s_and_not1_saveexec_b32 s37, s37
	s_cbranch_execz .LBB82_20
.LBB82_502:                             ;   in Loop: Header=BB82_3 Depth=1
	v_lshl_add_u64 v[2:3], v[34:35], 4, s[58:59]
	s_or_b32 s60, s60, exec_lo
	global_load_b128 v[16:19], v[2:3], off
	s_wait_loadcnt 0x0
	v_xor_b32_e32 v17, 0x80000000, v17
	v_xor_b32_e32 v19, 0x80000000, v19
	s_or_b32 exec_lo, exec_lo, s37
	s_and_saveexec_b32 s37, s60
	s_cbranch_execz .LBB82_21
.LBB82_503:                             ;   in Loop: Header=BB82_3 Depth=1
	ds_store_b128 v66, v[16:19]
	s_or_b32 exec_lo, exec_lo, s37
	s_and_saveexec_b32 s37, s95
	s_delay_alu instid0(SALU_CYCLE_1)
	s_xor_b32 s37, exec_lo, s37
	s_cbranch_execz .LBB82_22
.LBB82_504:                             ;   in Loop: Header=BB82_3 Depth=1
	s_mov_b32 s60, exec_lo
	v_readlane_b32 s61, v76, 14
	s_and_b32 s61, s60, s61
	s_delay_alu instid0(SALU_CYCLE_1)
	s_xor_b32 s60, s61, s60
	s_mov_b32 exec_lo, s61
	s_cbranch_execz .LBB82_508
; %bb.505:                              ;   in Loop: Header=BB82_3 Depth=1
	s_mov_b32 s61, exec_lo
	v_readlane_b32 s96, v76, 27
	s_and_b32 s96, s61, s96
	s_delay_alu instid0(SALU_CYCLE_1)
	s_mov_b32 exec_lo, s96
; %bb.506:                              ;   in Loop: Header=BB82_3 Depth=1
	v_dual_mov_b32 v0, v1 :: v_dual_mov_b32 v2, v1
	v_mov_b32_e32 v3, v1
	ds_store_b128 v69, v[0:3]
; %bb.507:                              ;   in Loop: Header=BB82_3 Depth=1
	s_or_b32 exec_lo, exec_lo, s61
.LBB82_508:                             ;   in Loop: Header=BB82_3 Depth=1
	s_and_not1_saveexec_b32 s60, s60
	s_cbranch_execz .LBB82_514
; %bb.509:                              ;   in Loop: Header=BB82_3 Depth=1
	v_lshl_add_u64 v[2:3], v[38:39], 4, s[58:59]
                                        ; implicit-def: $vgpr20_vgpr21
	global_load_b128 v[16:19], v[2:3], off
	s_wait_loadcnt 0x0
	v_cmp_ngt_f64_e64 s61, |v[16:17]|, |v[18:19]|
	s_and_saveexec_b32 s96, s61
	s_delay_alu instid0(SALU_CYCLE_1)
	s_xor_b32 s61, exec_lo, s96
	s_cbranch_execz .LBB82_511
; %bb.510:                              ;   in Loop: Header=BB82_3 Depth=1
	v_div_scale_f64 v[2:3], null, v[18:19], v[18:19], v[16:17]
	v_div_scale_f64 v[70:71], vcc_lo, v[16:17], v[18:19], v[16:17]
	s_delay_alu instid0(VALU_DEP_2) | instskip(SKIP_1) | instid1(TRANS32_DEP_1)
	v_rcp_f64_e32 v[20:21], v[2:3]
	v_nop
	v_fma_f64 v[22:23], -v[2:3], v[20:21], 1.0
	s_delay_alu instid0(VALU_DEP_1) | instskip(NEXT) | instid1(VALU_DEP_1)
	v_fmac_f64_e32 v[20:21], v[20:21], v[22:23]
	v_fma_f64 v[22:23], -v[2:3], v[20:21], 1.0
	s_delay_alu instid0(VALU_DEP_1) | instskip(NEXT) | instid1(VALU_DEP_1)
	v_fmac_f64_e32 v[20:21], v[20:21], v[22:23]
	v_mul_f64_e32 v[22:23], v[70:71], v[20:21]
	s_delay_alu instid0(VALU_DEP_1) | instskip(NEXT) | instid1(VALU_DEP_1)
	v_fma_f64 v[2:3], -v[2:3], v[22:23], v[70:71]
	v_div_fmas_f64 v[2:3], v[2:3], v[20:21], v[22:23]
	s_delay_alu instid0(VALU_DEP_1) | instskip(NEXT) | instid1(VALU_DEP_1)
	v_div_fixup_f64 v[2:3], v[2:3], v[18:19], v[16:17]
	v_fmac_f64_e32 v[18:19], v[16:17], v[2:3]
	s_delay_alu instid0(VALU_DEP_1) | instskip(NEXT) | instid1(VALU_DEP_1)
	v_div_scale_f64 v[16:17], null, v[18:19], v[18:19], 1.0
	v_rcp_f64_e32 v[20:21], v[16:17]
	v_nop
	s_delay_alu instid0(TRANS32_DEP_1) | instskip(NEXT) | instid1(VALU_DEP_1)
	v_fma_f64 v[22:23], -v[16:17], v[20:21], 1.0
	v_fmac_f64_e32 v[20:21], v[20:21], v[22:23]
	s_delay_alu instid0(VALU_DEP_1) | instskip(NEXT) | instid1(VALU_DEP_1)
	v_fma_f64 v[22:23], -v[16:17], v[20:21], 1.0
	v_fmac_f64_e32 v[20:21], v[20:21], v[22:23]
	v_div_scale_f64 v[22:23], vcc_lo, 1.0, v[18:19], 1.0
	s_delay_alu instid0(VALU_DEP_1) | instskip(NEXT) | instid1(VALU_DEP_1)
	v_mul_f64_e32 v[70:71], v[22:23], v[20:21]
	v_fma_f64 v[16:17], -v[16:17], v[70:71], v[22:23]
	s_delay_alu instid0(VALU_DEP_1) | instskip(NEXT) | instid1(VALU_DEP_1)
	v_div_fmas_f64 v[16:17], v[16:17], v[20:21], v[70:71]
	v_div_fixup_f64 v[22:23], v[16:17], v[18:19], 1.0
                                        ; implicit-def: $vgpr16_vgpr17
	s_delay_alu instid0(VALU_DEP_1)
	v_mul_f64_e32 v[20:21], v[2:3], v[22:23]
	v_xor_b32_e32 v23, 0x80000000, v23
.LBB82_511:                             ;   in Loop: Header=BB82_3 Depth=1
	s_and_not1_saveexec_b32 s61, s61
	s_cbranch_execz .LBB82_513
; %bb.512:                              ;   in Loop: Header=BB82_3 Depth=1
	v_div_scale_f64 v[2:3], null, v[16:17], v[16:17], v[18:19]
	v_div_scale_f64 v[70:71], vcc_lo, v[18:19], v[16:17], v[18:19]
	s_delay_alu instid0(VALU_DEP_2) | instskip(SKIP_1) | instid1(TRANS32_DEP_1)
	v_rcp_f64_e32 v[20:21], v[2:3]
	v_nop
	v_fma_f64 v[22:23], -v[2:3], v[20:21], 1.0
	s_delay_alu instid0(VALU_DEP_1) | instskip(NEXT) | instid1(VALU_DEP_1)
	v_fmac_f64_e32 v[20:21], v[20:21], v[22:23]
	v_fma_f64 v[22:23], -v[2:3], v[20:21], 1.0
	s_delay_alu instid0(VALU_DEP_1) | instskip(NEXT) | instid1(VALU_DEP_1)
	v_fmac_f64_e32 v[20:21], v[20:21], v[22:23]
	v_mul_f64_e32 v[22:23], v[70:71], v[20:21]
	s_delay_alu instid0(VALU_DEP_1) | instskip(NEXT) | instid1(VALU_DEP_1)
	v_fma_f64 v[2:3], -v[2:3], v[22:23], v[70:71]
	v_div_fmas_f64 v[2:3], v[2:3], v[20:21], v[22:23]
	s_delay_alu instid0(VALU_DEP_1) | instskip(NEXT) | instid1(VALU_DEP_1)
	v_div_fixup_f64 v[2:3], v[2:3], v[16:17], v[18:19]
	v_fmac_f64_e32 v[16:17], v[18:19], v[2:3]
	s_delay_alu instid0(VALU_DEP_1) | instskip(NEXT) | instid1(VALU_DEP_1)
	v_div_scale_f64 v[18:19], null, v[16:17], v[16:17], 1.0
	v_rcp_f64_e32 v[20:21], v[18:19]
	v_nop
	s_delay_alu instid0(TRANS32_DEP_1) | instskip(NEXT) | instid1(VALU_DEP_1)
	v_fma_f64 v[22:23], -v[18:19], v[20:21], 1.0
	v_fmac_f64_e32 v[20:21], v[20:21], v[22:23]
	s_delay_alu instid0(VALU_DEP_1) | instskip(NEXT) | instid1(VALU_DEP_1)
	v_fma_f64 v[22:23], -v[18:19], v[20:21], 1.0
	v_fmac_f64_e32 v[20:21], v[20:21], v[22:23]
	v_div_scale_f64 v[22:23], vcc_lo, 1.0, v[16:17], 1.0
	s_delay_alu instid0(VALU_DEP_1) | instskip(NEXT) | instid1(VALU_DEP_1)
	v_mul_f64_e32 v[70:71], v[22:23], v[20:21]
	v_fma_f64 v[18:19], -v[18:19], v[70:71], v[22:23]
	s_delay_alu instid0(VALU_DEP_1) | instskip(NEXT) | instid1(VALU_DEP_1)
	v_div_fmas_f64 v[18:19], v[18:19], v[20:21], v[70:71]
	v_div_fixup_f64 v[20:21], v[18:19], v[16:17], 1.0
	s_delay_alu instid0(VALU_DEP_1)
	v_mul_f64_e64 v[22:23], v[2:3], -v[20:21]
.LBB82_513:                             ;   in Loop: Header=BB82_3 Depth=1
	s_or_b32 exec_lo, exec_lo, s61
	ds_store_b128 v69, v[20:23]
.LBB82_514:                             ;   in Loop: Header=BB82_3 Depth=1
	s_or_b32 exec_lo, exec_lo, s60
	s_and_not1_saveexec_b32 s37, s37
	s_cbranch_execnz .LBB82_23
	s_branch .LBB82_24
.LBB82_515:                             ;   in Loop: Header=BB82_3 Depth=1
	s_or_b32 exec_lo, exec_lo, s59
	s_delay_alu instid0(SALU_CYCLE_1)
	s_and_b32 vcc_lo, exec_lo, s58
	s_cbranch_vccnz .LBB82_456
.LBB82_516:                             ;   in Loop: Header=BB82_3 Depth=1
	s_delay_alu instid0(VALU_DEP_1) | instskip(NEXT) | instid1(VALU_DEP_3)
	v_mov_b64_e32 v[18:19], v[2:3]
	v_mov_b64_e32 v[16:17], v[20:21]
	;; [unrolled: 1-line block ×3, first 2 shown]
	s_and_saveexec_b32 s58, s37
	s_cbranch_execz .LBB82_518
.LBB82_517:                             ;   in Loop: Header=BB82_3 Depth=1
	s_delay_alu instid0(VALU_DEP_1)
	v_lshl_add_u64 v[2:3], v[2:3], 4, s[60:61]
	global_store_b128 v[2:3], v[16:19], off
.LBB82_518:                             ;   in Loop: Header=BB82_3 Depth=1
	s_wait_xcnt 0x0
	s_or_b32 exec_lo, exec_lo, s58
	global_wb scope:SCOPE_DEV
	s_wait_storecnt 0x0
	global_inv scope:SCOPE_DEV
	s_wait_loadcnt 0x0
	s_barrier_signal -1
	s_barrier_wait -1
	s_and_saveexec_b32 s37, s30
	s_cbranch_execz .LBB82_2
; %bb.519:                              ;   in Loop: Header=BB82_3 Depth=1
	s_lshl_b64 s[58:59], s[56:57], 2
	s_delay_alu instid0(SALU_CYCLE_1)
	s_add_nc_u64 s[58:59], s[54:55], s[58:59]
	global_load_b32 v0, v1, s[58:59]
	s_wait_loadcnt 0x0
	v_add_nc_u32_e32 v0, 1, v0
	global_store_b32 v1, v0, s[58:59]
	s_branch .LBB82_2
.LBB82_520:                             ;   in Loop: Header=BB82_3 Depth=1
	ds_load_b128 v[20:23], v47 offset:16
	ds_load_b128 v[70:73], v51 offset:576
	s_wait_dscnt 0x0
	v_mul_f64_e32 v[2:3], v[22:23], v[72:73]
	v_mul_f64_e32 v[72:73], v[20:21], v[72:73]
	s_delay_alu instid0(VALU_DEP_2) | instskip(NEXT) | instid1(VALU_DEP_2)
	v_fma_f64 v[2:3], v[20:21], v[70:71], -v[2:3]
	v_fmac_f64_e32 v[72:73], v[22:23], v[70:71]
	s_delay_alu instid0(VALU_DEP_2) | instskip(NEXT) | instid1(VALU_DEP_2)
	v_add_f64_e32 v[16:17], v[16:17], v[2:3]
	v_add_f64_e32 v[18:19], v[18:19], v[72:73]
	s_or_b32 exec_lo, exec_lo, s60
	s_and_saveexec_b32 s60, s13
	s_cbranch_execz .LBB82_45
.LBB82_521:                             ;   in Loop: Header=BB82_3 Depth=1
	ds_load_b128 v[20:23], v47 offset:32
	ds_load_b128 v[70:73], v50 offset:1088
	s_wait_dscnt 0x0
	v_mul_f64_e32 v[2:3], v[22:23], v[72:73]
	v_mul_f64_e32 v[72:73], v[20:21], v[72:73]
	s_delay_alu instid0(VALU_DEP_2) | instskip(NEXT) | instid1(VALU_DEP_2)
	v_fma_f64 v[2:3], v[20:21], v[70:71], -v[2:3]
	v_fmac_f64_e32 v[72:73], v[22:23], v[70:71]
	s_delay_alu instid0(VALU_DEP_2) | instskip(NEXT) | instid1(VALU_DEP_2)
	v_add_f64_e32 v[16:17], v[16:17], v[2:3]
	v_add_f64_e32 v[18:19], v[18:19], v[72:73]
	s_or_b32 exec_lo, exec_lo, s60
	s_and_saveexec_b32 s60, s1
	s_cbranch_execnz .LBB82_46
	s_branch .LBB82_47
.LBB82_522:                             ;   in Loop: Header=BB82_3 Depth=1
	ds_load_b128 v[20:23], v52 offset:16
	ds_load_b128 v[70:73], v56 offset:640
	s_wait_dscnt 0x0
	v_mul_f64_e32 v[2:3], v[22:23], v[72:73]
	v_mul_f64_e32 v[72:73], v[20:21], v[72:73]
	s_delay_alu instid0(VALU_DEP_2) | instskip(NEXT) | instid1(VALU_DEP_2)
	v_fma_f64 v[2:3], v[20:21], v[70:71], -v[2:3]
	v_fmac_f64_e32 v[72:73], v[22:23], v[70:71]
	s_delay_alu instid0(VALU_DEP_2) | instskip(NEXT) | instid1(VALU_DEP_2)
	v_add_f64_e32 v[16:17], v[16:17], v[2:3]
	v_add_f64_e32 v[18:19], v[18:19], v[72:73]
	s_or_b32 exec_lo, exec_lo, s60
	s_and_saveexec_b32 s60, s15
	s_cbranch_execz .LBB82_83
.LBB82_523:                             ;   in Loop: Header=BB82_3 Depth=1
	ds_load_b128 v[20:23], v52 offset:32
	ds_load_b128 v[70:73], v56 offset:1152
	s_wait_dscnt 0x0
	v_mul_f64_e32 v[2:3], v[22:23], v[72:73]
	v_mul_f64_e32 v[72:73], v[20:21], v[72:73]
	s_delay_alu instid0(VALU_DEP_2) | instskip(NEXT) | instid1(VALU_DEP_2)
	v_fma_f64 v[2:3], v[20:21], v[70:71], -v[2:3]
	v_fmac_f64_e32 v[72:73], v[22:23], v[70:71]
	s_delay_alu instid0(VALU_DEP_2) | instskip(NEXT) | instid1(VALU_DEP_2)
	v_add_f64_e32 v[16:17], v[16:17], v[2:3]
	v_add_f64_e32 v[18:19], v[18:19], v[72:73]
	s_or_b32 exec_lo, exec_lo, s60
	s_and_saveexec_b32 s60, s16
	s_cbranch_execz .LBB82_84
.LBB82_524:                             ;   in Loop: Header=BB82_3 Depth=1
	ds_load_b128 v[20:23], v52 offset:48
	ds_load_b128 v[70:73], v56 offset:1664
	s_wait_dscnt 0x0
	v_mul_f64_e32 v[2:3], v[22:23], v[72:73]
	v_mul_f64_e32 v[72:73], v[20:21], v[72:73]
	s_delay_alu instid0(VALU_DEP_2) | instskip(NEXT) | instid1(VALU_DEP_2)
	v_fma_f64 v[2:3], v[20:21], v[70:71], -v[2:3]
	v_fmac_f64_e32 v[72:73], v[22:23], v[70:71]
	s_delay_alu instid0(VALU_DEP_2) | instskip(NEXT) | instid1(VALU_DEP_2)
	v_add_f64_e32 v[16:17], v[16:17], v[2:3]
	v_add_f64_e32 v[18:19], v[18:19], v[72:73]
	s_or_b32 exec_lo, exec_lo, s60
	s_and_saveexec_b32 s60, s17
	s_cbranch_execz .LBB82_85
.LBB82_525:                             ;   in Loop: Header=BB82_3 Depth=1
	ds_load_b128 v[20:23], v52 offset:64
	ds_load_b128 v[70:73], v55 offset:2176
	s_wait_dscnt 0x0
	v_mul_f64_e32 v[2:3], v[22:23], v[72:73]
	v_mul_f64_e32 v[72:73], v[20:21], v[72:73]
	s_delay_alu instid0(VALU_DEP_2) | instskip(NEXT) | instid1(VALU_DEP_2)
	v_fma_f64 v[2:3], v[20:21], v[70:71], -v[2:3]
	v_fmac_f64_e32 v[72:73], v[22:23], v[70:71]
	s_delay_alu instid0(VALU_DEP_2) | instskip(NEXT) | instid1(VALU_DEP_2)
	v_add_f64_e32 v[16:17], v[16:17], v[2:3]
	v_add_f64_e32 v[18:19], v[18:19], v[72:73]
	s_or_b32 exec_lo, exec_lo, s60
	s_and_saveexec_b32 s60, s18
	s_cbranch_execz .LBB82_86
.LBB82_526:                             ;   in Loop: Header=BB82_3 Depth=1
	ds_load_b128 v[20:23], v52 offset:80
	ds_load_b128 v[70:73], v56 offset:2688
	s_wait_dscnt 0x0
	v_mul_f64_e32 v[2:3], v[22:23], v[72:73]
	v_mul_f64_e32 v[72:73], v[20:21], v[72:73]
	s_delay_alu instid0(VALU_DEP_2) | instskip(NEXT) | instid1(VALU_DEP_2)
	v_fma_f64 v[2:3], v[20:21], v[70:71], -v[2:3]
	v_fmac_f64_e32 v[72:73], v[22:23], v[70:71]
	s_delay_alu instid0(VALU_DEP_2) | instskip(NEXT) | instid1(VALU_DEP_2)
	v_add_f64_e32 v[16:17], v[16:17], v[2:3]
	v_add_f64_e32 v[18:19], v[18:19], v[72:73]
	s_or_b32 exec_lo, exec_lo, s60
	s_and_saveexec_b32 s60, s2
	s_cbranch_execz .LBB82_87
.LBB82_527:                             ;   in Loop: Header=BB82_3 Depth=1
	ds_load_b128 v[20:23], v52 offset:96
	ds_load_b128 v[70:73], v55 offset:3200
	s_wait_dscnt 0x0
	v_mul_f64_e32 v[2:3], v[22:23], v[72:73]
	v_mul_f64_e32 v[72:73], v[20:21], v[72:73]
	s_delay_alu instid0(VALU_DEP_2) | instskip(NEXT) | instid1(VALU_DEP_2)
	v_fma_f64 v[2:3], v[20:21], v[70:71], -v[2:3]
	v_fmac_f64_e32 v[72:73], v[22:23], v[70:71]
	s_delay_alu instid0(VALU_DEP_2) | instskip(NEXT) | instid1(VALU_DEP_2)
	v_add_f64_e32 v[16:17], v[16:17], v[2:3]
	v_add_f64_e32 v[18:19], v[18:19], v[72:73]
	s_or_b32 exec_lo, exec_lo, s60
	s_and_saveexec_b32 s60, s13
	s_cbranch_execnz .LBB82_88
	s_branch .LBB82_89
.LBB82_528:                             ;   in Loop: Header=BB82_3 Depth=1
	ds_load_b128 v[20:23], v47 offset:4240
	ds_load_b128 v[70:73], v51 offset:4800
	s_wait_dscnt 0x0
	v_mul_f64_e32 v[2:3], v[22:23], v[72:73]
	v_mul_f64_e32 v[72:73], v[20:21], v[72:73]
	s_delay_alu instid0(VALU_DEP_2) | instskip(NEXT) | instid1(VALU_DEP_2)
	v_fma_f64 v[2:3], v[20:21], v[70:71], -v[2:3]
	v_fmac_f64_e32 v[72:73], v[22:23], v[70:71]
	s_delay_alu instid0(VALU_DEP_2) | instskip(NEXT) | instid1(VALU_DEP_2)
	v_add_f64_e32 v[16:17], v[16:17], v[2:3]
	v_add_f64_e32 v[18:19], v[18:19], v[72:73]
	s_or_b32 exec_lo, exec_lo, s60
	s_and_saveexec_b32 s60, s13
	s_cbranch_execz .LBB82_141
.LBB82_529:                             ;   in Loop: Header=BB82_3 Depth=1
	ds_load_b128 v[20:23], v47 offset:4256
	ds_load_b128 v[70:73], v50 offset:5312
	s_wait_dscnt 0x0
	v_mul_f64_e32 v[2:3], v[22:23], v[72:73]
	v_mul_f64_e32 v[72:73], v[20:21], v[72:73]
	s_delay_alu instid0(VALU_DEP_2) | instskip(NEXT) | instid1(VALU_DEP_2)
	v_fma_f64 v[2:3], v[20:21], v[70:71], -v[2:3]
	v_fmac_f64_e32 v[72:73], v[22:23], v[70:71]
	s_delay_alu instid0(VALU_DEP_2) | instskip(NEXT) | instid1(VALU_DEP_2)
	v_add_f64_e32 v[16:17], v[16:17], v[2:3]
	v_add_f64_e32 v[18:19], v[18:19], v[72:73]
	s_or_b32 exec_lo, exec_lo, s60
	s_and_saveexec_b32 s60, s1
	s_cbranch_execnz .LBB82_142
	s_branch .LBB82_143
.LBB82_530:                             ;   in Loop: Header=BB82_3 Depth=1
	ds_load_b128 v[20:23], v0 offset:176
	ds_load_b128 v[70:73], v61 offset:5888
	s_wait_dscnt 0x0
	v_mul_f64_e32 v[2:3], v[22:23], v[72:73]
	v_mul_f64_e32 v[72:73], v[20:21], v[72:73]
	s_delay_alu instid0(VALU_DEP_2) | instskip(NEXT) | instid1(VALU_DEP_2)
	v_fma_f64 v[2:3], v[20:21], v[70:71], -v[2:3]
	v_fmac_f64_e32 v[72:73], v[22:23], v[70:71]
	s_delay_alu instid0(VALU_DEP_2) | instskip(NEXT) | instid1(VALU_DEP_2)
	v_add_f64_e32 v[16:17], v[16:17], v[2:3]
	v_add_f64_e32 v[18:19], v[18:19], v[72:73]
	s_or_b32 exec_lo, exec_lo, s60
	s_and_saveexec_b32 s60, s3
	s_cbranch_execz .LBB82_199
.LBB82_531:                             ;   in Loop: Header=BB82_3 Depth=1
	ds_load_b128 v[20:23], v0 offset:192
	ds_load_b128 v[70:73], v61 offset:6400
	s_wait_dscnt 0x0
	v_mul_f64_e32 v[2:3], v[22:23], v[72:73]
	v_mul_f64_e32 v[72:73], v[20:21], v[72:73]
	s_delay_alu instid0(VALU_DEP_2) | instskip(NEXT) | instid1(VALU_DEP_2)
	v_fma_f64 v[2:3], v[20:21], v[70:71], -v[2:3]
	v_fmac_f64_e32 v[72:73], v[22:23], v[70:71]
	s_delay_alu instid0(VALU_DEP_2) | instskip(NEXT) | instid1(VALU_DEP_2)
	v_add_f64_e32 v[16:17], v[16:17], v[2:3]
	v_add_f64_e32 v[18:19], v[18:19], v[72:73]
	s_or_b32 exec_lo, exec_lo, s60
	s_and_saveexec_b32 s60, s15
	s_cbranch_execz .LBB82_200
.LBB82_532:                             ;   in Loop: Header=BB82_3 Depth=1
	ds_load_b128 v[20:23], v0 offset:208
	ds_load_b128 v[70:73], v61 offset:6912
	s_wait_dscnt 0x0
	v_mul_f64_e32 v[2:3], v[22:23], v[72:73]
	v_mul_f64_e32 v[72:73], v[20:21], v[72:73]
	s_delay_alu instid0(VALU_DEP_2) | instskip(NEXT) | instid1(VALU_DEP_2)
	v_fma_f64 v[2:3], v[20:21], v[70:71], -v[2:3]
	v_fmac_f64_e32 v[72:73], v[22:23], v[70:71]
	s_delay_alu instid0(VALU_DEP_2) | instskip(NEXT) | instid1(VALU_DEP_2)
	v_add_f64_e32 v[16:17], v[16:17], v[2:3]
	v_add_f64_e32 v[18:19], v[18:19], v[72:73]
	s_or_b32 exec_lo, exec_lo, s60
	s_and_saveexec_b32 s60, s17
	s_cbranch_execz .LBB82_201
.LBB82_533:                             ;   in Loop: Header=BB82_3 Depth=1
	ds_load_b128 v[20:23], v0 offset:224
	ds_load_b128 v[70:73], v61 offset:7424
	s_wait_dscnt 0x0
	v_mul_f64_e32 v[2:3], v[22:23], v[72:73]
	v_mul_f64_e32 v[72:73], v[20:21], v[72:73]
	s_delay_alu instid0(VALU_DEP_2) | instskip(NEXT) | instid1(VALU_DEP_2)
	v_fma_f64 v[2:3], v[20:21], v[70:71], -v[2:3]
	v_fmac_f64_e32 v[72:73], v[22:23], v[70:71]
	s_delay_alu instid0(VALU_DEP_2) | instskip(NEXT) | instid1(VALU_DEP_2)
	v_add_f64_e32 v[16:17], v[16:17], v[2:3]
	v_add_f64_e32 v[18:19], v[18:19], v[72:73]
	s_or_b32 exec_lo, exec_lo, s60
	s_and_saveexec_b32 s60, s2
	s_cbranch_execnz .LBB82_202
	s_branch .LBB82_203
.LBB82_534:                             ;   in Loop: Header=BB82_3 Depth=1
	ds_load_b128 v[20:23], v47 offset:8464
	ds_load_b128 v[70:73], v51 offset:9024
	s_wait_dscnt 0x0
	v_mul_f64_e32 v[2:3], v[22:23], v[72:73]
	v_mul_f64_e32 v[72:73], v[20:21], v[72:73]
	s_delay_alu instid0(VALU_DEP_2) | instskip(NEXT) | instid1(VALU_DEP_2)
	v_fma_f64 v[2:3], v[20:21], v[70:71], -v[2:3]
	v_fmac_f64_e32 v[72:73], v[22:23], v[70:71]
	s_delay_alu instid0(VALU_DEP_2) | instskip(NEXT) | instid1(VALU_DEP_2)
	v_add_f64_e32 v[16:17], v[16:17], v[2:3]
	v_add_f64_e32 v[18:19], v[18:19], v[72:73]
	s_or_b32 exec_lo, exec_lo, s60
	s_and_saveexec_b32 s60, s13
	s_cbranch_execz .LBB82_287
.LBB82_535:                             ;   in Loop: Header=BB82_3 Depth=1
	ds_load_b128 v[20:23], v47 offset:8480
	ds_load_b128 v[70:73], v50 offset:9536
	s_wait_dscnt 0x0
	v_mul_f64_e32 v[2:3], v[22:23], v[72:73]
	v_mul_f64_e32 v[72:73], v[20:21], v[72:73]
	s_delay_alu instid0(VALU_DEP_2) | instskip(NEXT) | instid1(VALU_DEP_2)
	v_fma_f64 v[2:3], v[20:21], v[70:71], -v[2:3]
	v_fmac_f64_e32 v[72:73], v[22:23], v[70:71]
	s_delay_alu instid0(VALU_DEP_2) | instskip(NEXT) | instid1(VALU_DEP_2)
	v_add_f64_e32 v[16:17], v[16:17], v[2:3]
	v_add_f64_e32 v[18:19], v[18:19], v[72:73]
	s_or_b32 exec_lo, exec_lo, s60
	s_and_saveexec_b32 s60, s1
	s_cbranch_execnz .LBB82_288
	s_branch .LBB82_289
.LBB82_536:                             ;   in Loop: Header=BB82_3 Depth=1
	ds_load_b128 v[20:23], v52 offset:8464
	ds_load_b128 v[70:73], v56 offset:9088
	s_wait_dscnt 0x0
	v_mul_f64_e32 v[2:3], v[22:23], v[72:73]
	v_mul_f64_e32 v[72:73], v[20:21], v[72:73]
	s_delay_alu instid0(VALU_DEP_2) | instskip(NEXT) | instid1(VALU_DEP_2)
	v_fma_f64 v[2:3], v[20:21], v[70:71], -v[2:3]
	v_fmac_f64_e32 v[72:73], v[22:23], v[70:71]
	s_delay_alu instid0(VALU_DEP_2) | instskip(NEXT) | instid1(VALU_DEP_2)
	v_add_f64_e32 v[16:17], v[16:17], v[2:3]
	v_add_f64_e32 v[18:19], v[18:19], v[72:73]
	s_or_b32 exec_lo, exec_lo, s60
	s_and_saveexec_b32 s60, s15
	s_cbranch_execz .LBB82_325
.LBB82_537:                             ;   in Loop: Header=BB82_3 Depth=1
	ds_load_b128 v[20:23], v52 offset:8480
	ds_load_b128 v[70:73], v56 offset:9600
	s_wait_dscnt 0x0
	v_mul_f64_e32 v[2:3], v[22:23], v[72:73]
	v_mul_f64_e32 v[72:73], v[20:21], v[72:73]
	s_delay_alu instid0(VALU_DEP_2) | instskip(NEXT) | instid1(VALU_DEP_2)
	v_fma_f64 v[2:3], v[20:21], v[70:71], -v[2:3]
	v_fmac_f64_e32 v[72:73], v[22:23], v[70:71]
	s_delay_alu instid0(VALU_DEP_2) | instskip(NEXT) | instid1(VALU_DEP_2)
	v_add_f64_e32 v[16:17], v[16:17], v[2:3]
	v_add_f64_e32 v[18:19], v[18:19], v[72:73]
	s_or_b32 exec_lo, exec_lo, s60
	s_and_saveexec_b32 s60, s16
	s_cbranch_execz .LBB82_326
.LBB82_538:                             ;   in Loop: Header=BB82_3 Depth=1
	ds_load_b128 v[20:23], v52 offset:8496
	ds_load_b128 v[70:73], v56 offset:10112
	s_wait_dscnt 0x0
	v_mul_f64_e32 v[2:3], v[22:23], v[72:73]
	v_mul_f64_e32 v[72:73], v[20:21], v[72:73]
	s_delay_alu instid0(VALU_DEP_2) | instskip(NEXT) | instid1(VALU_DEP_2)
	v_fma_f64 v[2:3], v[20:21], v[70:71], -v[2:3]
	v_fmac_f64_e32 v[72:73], v[22:23], v[70:71]
	s_delay_alu instid0(VALU_DEP_2) | instskip(NEXT) | instid1(VALU_DEP_2)
	v_add_f64_e32 v[16:17], v[16:17], v[2:3]
	v_add_f64_e32 v[18:19], v[18:19], v[72:73]
	s_or_b32 exec_lo, exec_lo, s60
	s_and_saveexec_b32 s60, s17
	s_cbranch_execz .LBB82_327
.LBB82_539:                             ;   in Loop: Header=BB82_3 Depth=1
	ds_load_b128 v[20:23], v52 offset:8512
	ds_load_b128 v[70:73], v55 offset:10624
	s_wait_dscnt 0x0
	v_mul_f64_e32 v[2:3], v[22:23], v[72:73]
	v_mul_f64_e32 v[72:73], v[20:21], v[72:73]
	s_delay_alu instid0(VALU_DEP_2) | instskip(NEXT) | instid1(VALU_DEP_2)
	v_fma_f64 v[2:3], v[20:21], v[70:71], -v[2:3]
	v_fmac_f64_e32 v[72:73], v[22:23], v[70:71]
	s_delay_alu instid0(VALU_DEP_2) | instskip(NEXT) | instid1(VALU_DEP_2)
	v_add_f64_e32 v[16:17], v[16:17], v[2:3]
	v_add_f64_e32 v[18:19], v[18:19], v[72:73]
	s_or_b32 exec_lo, exec_lo, s60
	s_and_saveexec_b32 s60, s18
	s_cbranch_execz .LBB82_328
.LBB82_540:                             ;   in Loop: Header=BB82_3 Depth=1
	ds_load_b128 v[20:23], v52 offset:8528
	ds_load_b128 v[70:73], v56 offset:11136
	s_wait_dscnt 0x0
	v_mul_f64_e32 v[2:3], v[22:23], v[72:73]
	v_mul_f64_e32 v[72:73], v[20:21], v[72:73]
	s_delay_alu instid0(VALU_DEP_2) | instskip(NEXT) | instid1(VALU_DEP_2)
	v_fma_f64 v[2:3], v[20:21], v[70:71], -v[2:3]
	v_fmac_f64_e32 v[72:73], v[22:23], v[70:71]
	s_delay_alu instid0(VALU_DEP_2) | instskip(NEXT) | instid1(VALU_DEP_2)
	v_add_f64_e32 v[16:17], v[16:17], v[2:3]
	v_add_f64_e32 v[18:19], v[18:19], v[72:73]
	s_or_b32 exec_lo, exec_lo, s60
	s_and_saveexec_b32 s60, s2
	s_cbranch_execz .LBB82_329
.LBB82_541:                             ;   in Loop: Header=BB82_3 Depth=1
	ds_load_b128 v[20:23], v52 offset:8544
	ds_load_b128 v[70:73], v55 offset:11648
	s_wait_dscnt 0x0
	v_mul_f64_e32 v[2:3], v[22:23], v[72:73]
	v_mul_f64_e32 v[72:73], v[20:21], v[72:73]
	s_delay_alu instid0(VALU_DEP_2) | instskip(NEXT) | instid1(VALU_DEP_2)
	v_fma_f64 v[2:3], v[20:21], v[70:71], -v[2:3]
	v_fmac_f64_e32 v[72:73], v[22:23], v[70:71]
	s_delay_alu instid0(VALU_DEP_2) | instskip(NEXT) | instid1(VALU_DEP_2)
	v_add_f64_e32 v[16:17], v[16:17], v[2:3]
	v_add_f64_e32 v[18:19], v[18:19], v[72:73]
	s_or_b32 exec_lo, exec_lo, s60
	s_and_saveexec_b32 s60, s13
	s_cbranch_execnz .LBB82_330
	s_branch .LBB82_331
.LBB82_542:                             ;   in Loop: Header=BB82_3 Depth=1
	ds_load_b128 v[20:23], v47 offset:12688
	ds_load_b128 v[70:73], v51 offset:13248
	s_wait_dscnt 0x0
	v_mul_f64_e32 v[2:3], v[22:23], v[72:73]
	v_mul_f64_e32 v[72:73], v[20:21], v[72:73]
	s_delay_alu instid0(VALU_DEP_2) | instskip(NEXT) | instid1(VALU_DEP_2)
	v_fma_f64 v[2:3], v[20:21], v[70:71], -v[2:3]
	v_fmac_f64_e32 v[72:73], v[22:23], v[70:71]
	s_delay_alu instid0(VALU_DEP_2) | instskip(NEXT) | instid1(VALU_DEP_2)
	v_add_f64_e32 v[16:17], v[16:17], v[2:3]
	v_add_f64_e32 v[18:19], v[18:19], v[72:73]
	s_or_b32 exec_lo, exec_lo, s60
	s_and_saveexec_b32 s60, s13
	s_cbranch_execz .LBB82_383
.LBB82_543:                             ;   in Loop: Header=BB82_3 Depth=1
	ds_load_b128 v[20:23], v47 offset:12704
	ds_load_b128 v[70:73], v50 offset:13760
	s_wait_dscnt 0x0
	v_mul_f64_e32 v[2:3], v[22:23], v[72:73]
	v_mul_f64_e32 v[72:73], v[20:21], v[72:73]
	s_delay_alu instid0(VALU_DEP_2) | instskip(NEXT) | instid1(VALU_DEP_2)
	v_fma_f64 v[2:3], v[20:21], v[70:71], -v[2:3]
	v_fmac_f64_e32 v[72:73], v[22:23], v[70:71]
	s_delay_alu instid0(VALU_DEP_2) | instskip(NEXT) | instid1(VALU_DEP_2)
	v_add_f64_e32 v[16:17], v[16:17], v[2:3]
	v_add_f64_e32 v[18:19], v[18:19], v[72:73]
	s_or_b32 exec_lo, exec_lo, s60
	s_and_saveexec_b32 s60, s1
	s_cbranch_execnz .LBB82_384
	s_branch .LBB82_385
.LBB82_544:
	s_endpgm
	.section	.rodata,"a",@progbits
	.p2align	6, 0x0
	.amdhsa_kernel _ZL19rocblas_trsv_deviceILi32ELi16ELb1ELb0ELb0ELb0E19rocblas_complex_numIdEPKS1_S3_PS1_EviT7_lllT6_T8_lllPii
		.amdhsa_group_segment_fixed_size 25104
		.amdhsa_private_segment_fixed_size 0
		.amdhsa_kernarg_size 352
		.amdhsa_user_sgpr_count 2
		.amdhsa_user_sgpr_dispatch_ptr 0
		.amdhsa_user_sgpr_queue_ptr 0
		.amdhsa_user_sgpr_kernarg_segment_ptr 1
		.amdhsa_user_sgpr_dispatch_id 0
		.amdhsa_user_sgpr_kernarg_preload_length 0
		.amdhsa_user_sgpr_kernarg_preload_offset 0
		.amdhsa_user_sgpr_private_segment_size 0
		.amdhsa_wavefront_size32 1
		.amdhsa_uses_dynamic_stack 0
		.amdhsa_enable_private_segment 0
		.amdhsa_system_sgpr_workgroup_id_x 1
		.amdhsa_system_sgpr_workgroup_id_y 0
		.amdhsa_system_sgpr_workgroup_id_z 1
		.amdhsa_system_sgpr_workgroup_info 0
		.amdhsa_system_vgpr_workitem_id 1
		.amdhsa_next_free_vgpr 77
		.amdhsa_next_free_sgpr 105
		.amdhsa_named_barrier_count 0
		.amdhsa_reserve_vcc 1
		.amdhsa_float_round_mode_32 0
		.amdhsa_float_round_mode_16_64 0
		.amdhsa_float_denorm_mode_32 3
		.amdhsa_float_denorm_mode_16_64 3
		.amdhsa_fp16_overflow 0
		.amdhsa_memory_ordered 1
		.amdhsa_forward_progress 1
		.amdhsa_inst_pref_size 193
		.amdhsa_round_robin_scheduling 0
		.amdhsa_exception_fp_ieee_invalid_op 0
		.amdhsa_exception_fp_denorm_src 0
		.amdhsa_exception_fp_ieee_div_zero 0
		.amdhsa_exception_fp_ieee_overflow 0
		.amdhsa_exception_fp_ieee_underflow 0
		.amdhsa_exception_fp_ieee_inexact 0
		.amdhsa_exception_int_div_zero 0
	.end_amdhsa_kernel
	.section	.text._ZL19rocblas_trsv_deviceILi32ELi16ELb1ELb0ELb0ELb0E19rocblas_complex_numIdEPKS1_S3_PS1_EviT7_lllT6_T8_lllPii,"axG",@progbits,_ZL19rocblas_trsv_deviceILi32ELi16ELb1ELb0ELb0ELb0E19rocblas_complex_numIdEPKS1_S3_PS1_EviT7_lllT6_T8_lllPii,comdat
.Lfunc_end82:
	.size	_ZL19rocblas_trsv_deviceILi32ELi16ELb1ELb0ELb0ELb0E19rocblas_complex_numIdEPKS1_S3_PS1_EviT7_lllT6_T8_lllPii, .Lfunc_end82-_ZL19rocblas_trsv_deviceILi32ELi16ELb1ELb0ELb0ELb0E19rocblas_complex_numIdEPKS1_S3_PS1_EviT7_lllT6_T8_lllPii
                                        ; -- End function
	.set _ZL19rocblas_trsv_deviceILi32ELi16ELb1ELb0ELb0ELb0E19rocblas_complex_numIdEPKS1_S3_PS1_EviT7_lllT6_T8_lllPii.num_vgpr, 77
	.set _ZL19rocblas_trsv_deviceILi32ELi16ELb1ELb0ELb0ELb0E19rocblas_complex_numIdEPKS1_S3_PS1_EviT7_lllT6_T8_lllPii.num_agpr, 0
	.set _ZL19rocblas_trsv_deviceILi32ELi16ELb1ELb0ELb0ELb0E19rocblas_complex_numIdEPKS1_S3_PS1_EviT7_lllT6_T8_lllPii.numbered_sgpr, 105
	.set _ZL19rocblas_trsv_deviceILi32ELi16ELb1ELb0ELb0ELb0E19rocblas_complex_numIdEPKS1_S3_PS1_EviT7_lllT6_T8_lllPii.num_named_barrier, 0
	.set _ZL19rocblas_trsv_deviceILi32ELi16ELb1ELb0ELb0ELb0E19rocblas_complex_numIdEPKS1_S3_PS1_EviT7_lllT6_T8_lllPii.private_seg_size, 0
	.set _ZL19rocblas_trsv_deviceILi32ELi16ELb1ELb0ELb0ELb0E19rocblas_complex_numIdEPKS1_S3_PS1_EviT7_lllT6_T8_lllPii.uses_vcc, 1
	.set _ZL19rocblas_trsv_deviceILi32ELi16ELb1ELb0ELb0ELb0E19rocblas_complex_numIdEPKS1_S3_PS1_EviT7_lllT6_T8_lllPii.uses_flat_scratch, 0
	.set _ZL19rocblas_trsv_deviceILi32ELi16ELb1ELb0ELb0ELb0E19rocblas_complex_numIdEPKS1_S3_PS1_EviT7_lllT6_T8_lllPii.has_dyn_sized_stack, 0
	.set _ZL19rocblas_trsv_deviceILi32ELi16ELb1ELb0ELb0ELb0E19rocblas_complex_numIdEPKS1_S3_PS1_EviT7_lllT6_T8_lllPii.has_recursion, 0
	.set _ZL19rocblas_trsv_deviceILi32ELi16ELb1ELb0ELb0ELb0E19rocblas_complex_numIdEPKS1_S3_PS1_EviT7_lllT6_T8_lllPii.has_indirect_call, 0
	.section	.AMDGPU.csdata,"",@progbits
; Kernel info:
; codeLenInByte = 24628
; TotalNumSgprs: 107
; NumVgprs: 77
; ScratchSize: 0
; MemoryBound: 1
; FloatMode: 240
; IeeeMode: 1
; LDSByteSize: 25104 bytes/workgroup (compile time only)
; SGPRBlocks: 0
; VGPRBlocks: 4
; NumSGPRsForWavesPerEU: 107
; NumVGPRsForWavesPerEU: 77
; NamedBarCnt: 0
; Occupancy: 12
; WaveLimiterHint : 0
; COMPUTE_PGM_RSRC2:SCRATCH_EN: 0
; COMPUTE_PGM_RSRC2:USER_SGPR: 2
; COMPUTE_PGM_RSRC2:TRAP_HANDLER: 0
; COMPUTE_PGM_RSRC2:TGID_X_EN: 1
; COMPUTE_PGM_RSRC2:TGID_Y_EN: 0
; COMPUTE_PGM_RSRC2:TGID_Z_EN: 1
; COMPUTE_PGM_RSRC2:TIDIG_COMP_CNT: 1
	.section	.text._ZL19rocblas_trsv_deviceILi32ELi16ELb1ELb1ELb0ELb0E19rocblas_complex_numIdEPKS1_S3_PS1_EviT7_lllT6_T8_lllPii,"axG",@progbits,_ZL19rocblas_trsv_deviceILi32ELi16ELb1ELb1ELb0ELb0E19rocblas_complex_numIdEPKS1_S3_PS1_EviT7_lllT6_T8_lllPii,comdat
	.globl	_ZL19rocblas_trsv_deviceILi32ELi16ELb1ELb1ELb0ELb0E19rocblas_complex_numIdEPKS1_S3_PS1_EviT7_lllT6_T8_lllPii ; -- Begin function _ZL19rocblas_trsv_deviceILi32ELi16ELb1ELb1ELb0ELb0E19rocblas_complex_numIdEPKS1_S3_PS1_EviT7_lllT6_T8_lllPii
	.p2align	8
	.type	_ZL19rocblas_trsv_deviceILi32ELi16ELb1ELb1ELb0ELb0E19rocblas_complex_numIdEPKS1_S3_PS1_EviT7_lllT6_T8_lllPii,@function
_ZL19rocblas_trsv_deviceILi32ELi16ELb1ELb1ELb0ELb0E19rocblas_complex_numIdEPKS1_S3_PS1_EviT7_lllT6_T8_lllPii: ; @_ZL19rocblas_trsv_deviceILi32ELi16ELb1ELb1ELb0ELb0E19rocblas_complex_numIdEPKS1_S3_PS1_EviT7_lllT6_T8_lllPii
; %bb.0:
	s_load_b32 s35, s[0:1], 0x58
	s_bfe_u32 s2, ttmp6, 0x40014
	s_lshr_b32 s3, ttmp7, 16
	s_add_co_i32 s2, s2, 1
	s_bfe_u32 s5, ttmp6, 0x40008
	s_mul_i32 s4, s3, s2
	s_getreg_b32 s2, hwreg(HW_REG_IB_STS2, 6, 4)
	s_add_co_i32 s5, s5, s4
	s_cmp_eq_u32 s2, 0
	s_mov_b32 s57, 0
	s_cselect_b32 s56, s3, s5
	s_wait_kmcnt 0x0
	s_cmp_ge_u32 s56, s35
	s_cbranch_scc1 .LBB83_574
; %bb.1:
	s_clause 0x3
	s_load_b512 s[36:51], s[0:1], 0x8
	s_load_b32 s4, s[0:1], 0x6c
	s_load_b32 s3, s[0:1], 0x60
	;; [unrolled: 1-line block ×3, first 2 shown]
	s_bfe_u32 s6, ttmp6, 0x4000c
	s_and_b32 s5, ttmp6, 15
	s_add_co_i32 s6, s6, 1
	s_load_b128 s[52:55], s[0:1], 0x48
	s_wait_xcnt 0x0
	s_mul_i32 s0, ttmp9, s6
	v_bfe_u32 v42, v0, 10, 10
	s_add_co_i32 s5, s5, s0
	v_and_b32_e32 v26, 0x3ff, v0
	v_mov_b32_e32 v2, 0
                                        ; implicit-def: $vgpr203 : SGPR spill to VGPR lane
	v_dual_lshrrev_b32 v11, 10, v0 :: v_dual_bitop2_b32 v13, 1, v0 bitop3:0x40
	s_delay_alu instid0(VALU_DEP_3) | instskip(NEXT) | instid1(VALU_DEP_3)
	v_lshlrev_b32_e32 v1, 5, v26
	v_dual_mov_b32 v29, v2 :: v_dual_add_nc_u32 v12, 16, v42
	v_mov_b32_e32 v27, v2
	s_wait_kmcnt 0x0
	s_lshl_b64 s[0:1], s[38:39], 4
	s_lshl_b64 s[6:7], s[48:49], 4
	s_cmp_eq_u32 s2, 0
	v_add_nc_u32_e32 v8, v42, v1
	s_cselect_b32 s48, ttmp9, s5
	s_add_co_i32 s2, s58, -1
	s_ashr_i32 s59, s58, 31
	s_add_co_i32 s49, s3, -1
	s_ashr_i32 s3, s2, 31
	s_lshr_b32 s5, s59, 27
	s_lshr_b32 s3, s3, 27
	s_add_co_i32 s5, s58, s5
	s_add_co_i32 s2, s2, s3
	s_and_not1_b32 s5, s5, 31
	s_sub_co_i32 s89, s49, s48
	s_ashr_i32 s2, s2, 5
	s_and_b32 s4, s4, 0xffff
	s_sub_co_i32 s12, s58, s5
	s_cmp_eq_u32 s2, s89
	v_add_nc_u32_e32 v1, v12, v1
	s_cselect_b32 s2, -1, 0
	s_cmp_lg_u32 s12, 0
	v_lshl_add_u32 v3, v42, 5, v26
	s_cselect_b32 s3, -1, 0
	v_lshl_add_u32 v9, v12, 5, v26
	s_and_b32 s9, s3, s2
	s_add_nc_u64 s[2:3], s[40:41], 1
	s_xor_b32 s60, s9, -1
	s_cmp_lg_u32 s48, 0
	s_add_nc_u64 s[36:37], s[36:37], s[0:1]
	s_cselect_b32 s61, -1, 0
	s_lshl_b32 s10, s89, 5
	s_cmp_lt_i32 s48, 5
	v_add_nc_u32_e32 v4, s10, v26
	v_add_nc_u32_e32 v10, s10, v42
	v_mad_nc_u64_u32 v[6:7], s2, s10, v[26:27]
	s_cselect_b32 vcc_lo, -1, 0
	s_ashr_i32 s11, s10, 31
	s_delay_alu instid0(VALU_DEP_2) | instskip(SKIP_3) | instid1(VALU_DEP_3)
	v_dual_ashrrev_i32 v5, 31, v4 :: v_dual_add_nc_u32 v30, 32, v10
	v_cndmask_b32_e32 v14, v3, v8, vcc_lo
	s_or_b32 vcc_lo, vcc_lo, s9
	v_lshlrev_b32_e32 v8, 4, v13
	v_dual_cndmask_b32 v15, v9, v1, vcc_lo :: v_dual_ashrrev_i32 v31, 31, v30
	v_lshrrev_b32_e32 v1, 1, v3
	s_mul_i32 s0, s2, s11
	s_mul_i32 s1, s3, s10
	s_xor_b32 s62, vcc_lo, -1
	v_cmp_eq_u32_e32 vcc_lo, 1, v13
	v_add3_u32 v7, s0, s1, v7
	v_cmp_gt_u32_e64 s0, 4, v3
	v_lshl_add_u32 v27, v1, 4, 0x4000
	v_lshl_or_b32 v43, v1, 9, v8
	v_mul_u32_u24_e32 v44, 0x210, v1
	v_dual_lshlrev_b32 v45, 4, v26 :: v_dual_lshrrev_b32 v1, 2, v3
	s_xor_b32 s1, vcc_lo, -1
	s_and_b32 s64, vcc_lo, s0
	s_and_b32 s63, s1, s0
	v_cmp_eq_u32_e64 s1, 0, v42
	v_cmp_gt_u32_e32 vcc_lo, 2, v26
	v_dual_lshlrev_b32 v9, 4, v1 :: v_dual_bitop2_b32 v8, 3, v0 bitop3:0x40
	v_mul_u32_u24_e32 v46, 0x210, v1
	v_cmp_gt_u32_e64 s2, 16, v3
	s_and_b32 s65, s1, vcc_lo
	v_lshlrev_b32_e32 v49, 4, v8
	v_cmp_eq_u32_e32 vcc_lo, 0, v8
	v_sub_nc_u32_e32 v13, v46, v9
	v_cmp_ne_u32_e64 s3, 0, v8
	s_add_nc_u64 s[38:39], s[46:47], s[6:7]
	v_mad_u32_u24 v28, v42, s4, v26
	v_lshl_or_b32 v52, v1, 9, v49
	v_dual_add_nc_u32 v53, v13, v49 :: v_dual_lshrrev_b32 v1, 3, v3
	v_cmp_eq_u32_e64 s4, 1, v8
	v_cmp_lt_u32_e64 s5, 1, v8
	v_cmp_eq_u32_e64 s6, 2, v8
	s_and_b32 s66, vcc_lo, s2
	s_and_b32 s67, s3, s2
	v_cmp_eq_u32_e32 vcc_lo, 3, v8
	v_cmp_gt_u32_e64 s3, 4, v26
	v_and_b32_e32 v8, 7, v0
	v_add_nc_u32_e32 v51, 0x4000, v9
	s_and_b32 s68, s4, s2
	v_lshlrev_b32_e32 v9, 4, v1
	s_and_b32 s71, vcc_lo, s2
	s_and_b32 s72, s1, s3
	v_cmp_gt_u32_e64 s3, 64, v3
	v_cmp_eq_u32_e32 vcc_lo, 0, v8
	v_cmp_ne_u32_e64 s4, 0, v8
	s_and_b32 s69, s5, s2
	s_and_b32 s70, s6, s2
	v_mul_u32_u24_e32 v54, 0x210, v1
	v_cmp_eq_u32_e64 s5, 1, v8
	v_cmp_lt_u32_e64 s6, 1, v8
	s_and_b32 s73, vcc_lo, s3
	s_and_b32 s74, s4, s3
	v_cmp_lt_u32_e32 vcc_lo, 2, v8
	v_cmp_eq_u32_e64 s4, 3, v8
	v_bitop3_b32 v16, v0, v11, 0x3ff bitop3:0xa8
	v_dual_sub_nc_u32 v17, v54, v9 :: v_dual_bitop2_b32 v0, 15, v0 bitop3:0x40
	s_and_b32 s75, s5, s3
	s_and_b32 s76, s6, s3
	v_cmp_lt_u32_e64 s5, 3, v8
	v_cmp_eq_u32_e64 s6, 4, v8
	s_and_b32 s78, vcc_lo, s3
	s_and_b32 s79, s4, s3
	v_cmp_eq_u32_e32 vcc_lo, 5, v8
	v_cmp_lt_u32_e64 s4, 5, v8
	s_and_b32 s80, s5, s3
	s_and_b32 s81, s6, s3
	v_cmp_eq_u32_e64 s5, 6, v8
	v_cmp_eq_u32_e64 s6, 7, v8
	s_and_b32 s83, vcc_lo, s3
	s_and_b32 s84, s4, s3
	v_cmp_gt_u32_e64 s4, 0x100, v3
	v_cmp_eq_u32_e32 vcc_lo, 0, v0
	v_cmp_eq_u32_e64 s7, 2, v8
	s_and_b32 s85, s5, s3
	s_and_b32 s86, s6, s3
	v_cmp_ne_u32_e64 s5, 0, v0
	s_and_b32 s6, vcc_lo, s4
	s_and_b32 s77, s7, s3
	v_writelane_b32 v203, s6, 0
	v_cmp_lt_u32_e64 s7, 4, v8
	v_cmp_eq_u32_e32 vcc_lo, 1, v0
	s_and_b32 s5, s5, s4
	v_cmp_lt_u32_e64 s6, 1, v0
	v_writelane_b32 v203, s5, 1
	s_and_b32 s82, s7, s3
	v_cmp_gt_u32_e64 s7, 8, v26
	s_and_b32 s5, vcc_lo, s4
	v_cmp_lt_u32_e64 s8, 2, v0
	v_writelane_b32 v203, s5, 2
	s_and_b32 s5, s6, s4
	s_and_b32 s87, s1, s7
	v_cmp_eq_u32_e64 s7, 2, v0
	v_cmp_eq_u32_e32 vcc_lo, 3, v0
	v_writelane_b32 v203, s5, 3
	v_cmp_eq_u32_e64 s6, 4, v0
	v_mad_u32_u24 v11, 0x1f0, v26, v45
	s_and_b32 s5, s7, s4
	s_and_b32 s13, vcc_lo, s4
	v_writelane_b32 v203, s5, 4
	s_and_b32 s5, s8, s4
	v_cmp_lt_u32_e64 s7, 4, v0
	v_cmp_eq_u32_e64 s8, 5, v0
	v_cmp_lt_u32_e32 vcc_lo, 5, v0
	v_writelane_b32 v203, s5, 5
	v_cmp_lt_u32_e64 s5, 3, v0
	v_mad_i32_i24 v50, 0xfffffe10, v26, v11
	v_lshlrev_b32_e32 v56, 4, v8
	v_add_nc_u32_e32 v58, 0x4000, v9
	v_writelane_b32 v203, s13, 6
	s_and_b32 s5, s5, s4
	s_and_b32 s13, vcc_lo, s4
	v_cmp_eq_u32_e32 vcc_lo, 8, v0
	v_mad_u32_u24 v13, 0x1f0, v26, v50
	v_writelane_b32 v203, s5, 7
	s_and_b32 s5, s6, s4
	v_cmp_lt_u32_e64 s6, 6, v0
	s_and_b32 s104, vcc_lo, s4
	v_cmp_lt_u32_e32 vcc_lo, 10, v0
	v_writelane_b32 v203, s5, 8
	s_and_b32 s5, s7, s4
	v_cmp_eq_u32_e64 s7, 7, v0
	s_and_b32 s101, s6, s4
	v_cmp_eq_u32_e64 s6, 9, v0
	v_writelane_b32 v203, s5, 9
	s_and_b32 s5, s8, s4
	v_cmp_lt_u32_e64 s8, 7, v0
	s_and_b32 s102, s7, s4
	v_cmp_lt_u32_e64 s7, 9, v0
	v_writelane_b32 v203, s5, 10
	v_cmp_eq_u32_e64 s5, 6, v0
	s_and_b32 s103, s8, s4
	v_cmp_eq_u32_e64 s8, 10, v0
	s_and_b32 s21, vcc_lo, s4
	v_cmp_eq_u32_e32 vcc_lo, 13, v0
	s_and_b32 s100, s5, s4
	v_cmp_lt_u32_e64 s5, 8, v0
	s_and_b32 s20, s8, s4
	v_cmp_lt_u32_e64 s8, 12, v0
	;; [unrolled: 2-line block ×3, first 2 shown]
	s_and_b32 vcc_hi, s5, s4
	v_cmp_eq_u32_e64 s5, 11, v0
	s_and_b32 s25, s8, s4
	s_movk_i32 s8, 0x3c00
	s_and_b32 s19, s7, s4
	v_cmp_eq_u32_e64 s7, 12, v0
	v_add_nc_u32_e32 v55, 64, v13
	v_add_nc_u64_e32 v[8:9], s[10:11], v[28:29]
	v_mad_u32_u24 v29, 0x210, v26, s8
	v_cmp_gt_u32_e64 s8, 16, v26
	s_and_b32 s26, vcc_lo, s4
	v_cmp_le_i32_e32 vcc_lo, s12, v26
	s_and_b32 s22, s5, s4
	s_and_b32 s23, s6, s4
	v_cmp_lt_u32_e64 s5, 13, v0
	v_cmp_eq_u32_e64 s6, 14, v0
	s_and_b32 s24, s7, s4
	v_cmp_eq_u32_e64 s7, 15, v0
	s_and_b32 s31, s1, s8
	s_and_b32 s8, vcc_lo, s9
	s_and_b32 s27, s5, s4
	s_and_b32 s28, s6, s4
	s_xor_b32 s5, s8, -1
	v_cmp_gt_i32_e64 s6, s12, v26
	v_dual_lshlrev_b32 v70, 4, v0 :: v_dual_add_nc_u32 v10, 48, v10
	v_writelane_b32 v203, s13, 11
	s_and_b32 s30, s7, s4
	s_and_b32 s9, s1, s5
	s_cmp_gt_i32 s48, 0
	v_cmp_gt_i32_e64 s5, s58, v4
	s_cselect_b32 s88, -1, 0
	s_and_b32 s6, s1, s6
	v_cmp_gt_i32_e64 s7, s58, v30
	v_writelane_b32 v203, s6, 12
	v_cmp_gt_i32_e64 s6, s58, v10
	v_cmp_ne_u32_e64 s11, v26, v12
	v_cmp_gt_u32_e64 s29, 0xf0, v3
	s_and_b32 s90, s7, s5
	v_cmp_le_i32_e64 s7, s12, v12
	s_and_b32 s91, s6, s5
	v_cmp_le_i32_e64 s6, s12, v42
	v_mad_i32_i24 v83, 0xfffffe10, v26, v13
	v_lshl_or_b32 v59, v1, 9, v56
	v_dual_add_nc_u32 v60, v17, v56 :: v_dual_lshlrev_b32 v1, 5, v3
	s_or_b32 s10, s6, vcc_lo
	v_cmp_le_u32_e64 s6, v26, v42
	v_mad_u32_u24 v0, 0x1f0, v26, v83
	v_mul_u64_e32 v[32:33], s[50:51], v[4:5]
	v_and_b32_e32 v69, 0xfffffe00, v1
	v_mul_u64_e32 v[36:37], s[50:51], v[8:9]
	s_or_b32 s92, s10, s6
	s_or_b32 s10, s7, vcc_lo
	v_cmp_le_u32_e64 s7, v26, v12
	v_mad_i32_i24 v94, 0xfffffe10, v26, v0
	v_add_nc_u32_e32 v92, 0x860, v0
	v_add_nc_u32_e32 v93, 0x870, v0
	;; [unrolled: 1-line block ×3, first 2 shown]
	s_or_b32 s93, s10, s7
	v_cmp_ne_u32_e64 s10, v26, v42
	v_mad_u32_u24 v1, 0x1f0, v26, v94
	v_add_nc_u32_e32 v96, 0x10f0, v0
	v_add_nc_u32_e32 v97, 0x10e0, v0
	v_add_nc_u32_e32 v98, 0x10d0, v0
	v_writelane_b32 v203, s10, 13
	s_or_b32 s10, vcc_lo, s10
	v_add_nc_u32_e32 v99, 0x2960, v0
	v_add_nc_u32_e32 v100, 0x2970, v0
	;; [unrolled: 1-line block ×3, first 2 shown]
	v_writelane_b32 v203, s10, 14
	s_or_b32 s10, vcc_lo, s11
	v_add_nc_u32_e32 v102, 0x31f0, v0
	v_add_nc_u32_e32 v103, 0x31e0, v0
	;; [unrolled: 1-line block ×3, first 2 shown]
	v_writelane_b32 v203, s11, 15
	v_mad_i32_i24 v0, 0xfffffe10, v26, v1
	v_add_nc_u32_e32 v105, 0x18e0, v1
	v_add_nc_u32_e32 v106, 0x18f0, v1
	;; [unrolled: 1-line block ×3, first 2 shown]
	v_writelane_b32 v203, s10, 16
	v_add_nc_u32_e32 v108, 0x39f0, v1
	v_add_nc_u32_e32 v109, 0x1cc0, v0
	;; [unrolled: 1-line block ×4, first 2 shown]
	v_writelane_b32 v203, s29, 17
	v_cmp_gt_u32_e64 s29, 0xe0, v3
	v_add_nc_u32_e32 v112, 0x3fc0, v0
	v_mul_u64_e32 v[0:1], s[40:41], v[4:5]
	v_mad_nc_u64_u32 v[34:35], s40, v42, v[6:7]
	v_mad_nc_u64_u32 v[38:39], s40, v12, v[6:7]
	v_writelane_b32 v203, s29, 18
	v_cmp_gt_u32_e64 s29, 0xd0, v3
	v_dual_add_nc_u32 v47, 32, v11 :: v_dual_add_nc_u32 v48, 48, v11
	v_add_nc_u32_e32 v61, 0x80, v11
	v_add_nc_u32_e32 v62, 0x90, v11
	s_delay_alu instid0(VALU_DEP_4)
	v_writelane_b32 v203, s29, 19
	v_cmp_gt_u32_e64 s29, 0xc0, v3
	v_add_nc_u32_e32 v63, 0xa0, v11
	v_add_nc_u32_e32 v64, 0xb0, v11
	v_add_nc_u32_e32 v65, 0xc0, v11
	v_add_nc_u32_e32 v66, 0xd0, v11
	v_writelane_b32 v203, s29, 20
	v_cmp_gt_u32_e64 s29, 0xb0, v3
	v_add_nc_u32_e32 v67, 0xe0, v11
	v_add_nc_u32_e32 v68, 0xf0, v11
	v_add_nc_u32_e32 v71, 0x2120, v11
	v_add_nc_u32_e32 v72, 0x2130, v11
	;; [unrolled: 6-line block ×4, first 2 shown]
	v_writelane_b32 v203, s29, 23
	v_cmp_gt_u32_e64 s29, 0x80, v3
	v_dual_lshlrev_b32 v11, 9, v26 :: v_dual_bitop2_b32 v17, v12, v26 bitop3:0x54
	v_dual_lshlrev_b32 v5, 4, v42 :: v_dual_bitop2_b32 v164, -16, v3 bitop3:0x40
	s_delay_alu instid0(VALU_DEP_3)
	v_writelane_b32 v203, s29, 24
	v_cmp_gt_u32_e64 s29, 0x70, v3
	v_cmp_gt_u32_e64 s33, 32, v16
	v_mad_u32 v35, s41, v42, v35
	v_mad_u32 v39, s41, v12, v39
	v_add_nc_u32_e32 v57, 0x70, v13
	v_writelane_b32 v203, s29, 25
	v_cmp_gt_u32_e64 s29, 0x60, v3
	v_add_nc_u32_e32 v81, 0x60, v13
	v_add_nc_u32_e32 v82, 0x50, v13
	v_add_nc_u32_e32 v84, 0x10a0, v13
	v_add_nc_u32_e32 v85, 0x10b0, v13
	v_writelane_b32 v203, s29, 26
	v_cmp_gt_u32_e64 s29, 0x50, v3
	v_add_nc_u32_e32 v86, 0x2140, v13
	v_add_nc_u32_e32 v87, 0x2170, v13
	;; [unrolled: 1-line block ×4, first 2 shown]
	v_writelane_b32 v203, s29, 27
	v_add_nc_u32_e32 v90, 0x31a0, v13
	v_add_nc_u32_e32 v91, 0x31b0, v13
	v_mad_i32_i24 v13, 0xfffffe10, v26, v11
	v_add_nc_u32_e32 v129, 0x6000, v5
	v_writelane_b32 v203, s33, 28
	v_cmp_gt_u32_e64 s33, 32, v17
	v_or_b32_e32 v130, 0x100, v11
	v_add_nc_u32_e32 v113, 0x2000, v13
	v_add_nc_u32_e32 v114, 0x2200, v13
	;; [unrolled: 1-line block ×16, first 2 shown]
	v_or_b32_e32 v131, 0x110, v11
	v_or_b32_e32 v132, 0x120, v11
	;; [unrolled: 1-line block ×15, first 2 shown]
	v_add_nc_u32_e32 v146, 0x400, v50
	v_add_nc_u32_e32 v147, 0x600, v50
	;; [unrolled: 1-line block ×23, first 2 shown]
	v_dual_add_nc_u32 v191, v11, v5 :: v_dual_bitop2_b32 v170, v69, v70 bitop3:0x54
	v_add_nc_u32_e32 v171, 0x2500, v50
	v_add_nc_u32_e32 v172, 0x2700, v50
	;; [unrolled: 1-line block ×19, first 2 shown]
	v_lshl_add_u32 v190, v42, 9, v13
	v_dual_sub_nc_u32 v192, 0, v11 :: v_dual_lshlrev_b32 v196, 4, v14
	v_add_nc_u32_e32 v193, 0x3f80, v83
	v_add_nc_u32_e32 v194, 0x3d80, v83
	;; [unrolled: 1-line block ×3, first 2 shown]
	v_dual_lshlrev_b32 v197, 4, v15 :: v_dual_add_nc_u32 v201, v129, v45
	v_lshl_add_u32 v198, v28, 4, 0x6000
	v_lshl_add_u32 v199, v3, 4, 0x4000
	v_add_nc_u32_e32 v200, 0x4000, v45
	v_mul_u32_u24_e32 v202, 0x210, v26
	v_cmp_gt_u32_e64 s10, 2, v3
	v_cmp_gt_u32_e64 s11, 12, v3
	;; [unrolled: 1-line block ×8, first 2 shown]
	v_cmp_eq_u32_e64 s29, 0, v16
	v_writelane_b32 v203, s33, 29
	v_cmp_eq_u32_e64 s33, 0, v28
	v_cmp_gt_u32_e64 s34, 32, v28
	s_add_co_i32 s89, s89, 1
                                        ; implicit-def: $vgpr6_vgpr7
                                        ; implicit-def: $vgpr10_vgpr11
	s_branch .LBB83_3
.LBB83_2:                               ;   in Loop: Header=BB83_3 Depth=1
	s_wait_xcnt 0x0
	s_or_b32 exec_lo, exec_lo, s40
	s_add_co_i32 s56, s56, 0x10000
	global_wb scope:SCOPE_DEV
	s_wait_storecnt 0x0
	global_inv scope:SCOPE_DEV
	s_cmp_lt_u32 s56, s35
	s_cbranch_scc0 .LBB83_574
.LBB83_3:                               ; =>This Loop Header: Depth=1
                                        ;     Child Loop BB83_453 Depth 2
                                        ;       Child Loop BB83_455 Depth 3
                                        ;     Child Loop BB83_486 Depth 2
	global_load_b128 v[14:17], v2, s[44:45]
	s_mul_u64 s[40:41], s[42:43], s[56:57]
	s_and_not1_b32 vcc_lo, exec_lo, s61
	s_lshl_b64 s[40:41], s[40:41], 4
	s_delay_alu instid0(SALU_CYCLE_1) | instskip(NEXT) | instid1(SALU_CYCLE_1)
	s_add_nc_u64 s[40:41], s[36:37], s[40:41]
	v_lshl_add_u64 v[40:41], v[0:1], 4, s[40:41]
	s_cbranch_vccnz .LBB83_9
; %bb.4:                                ;   in Loop: Header=BB83_3 Depth=1
	v_mov_b64_e32 v[12:13], 0
	v_mov_b64_e32 v[6:7], 0
	;; [unrolled: 1-line block ×3, first 2 shown]
	v_lshl_add_u64 v[4:5], v[30:31], 4, v[40:41]
	s_wait_loadcnt 0x0
	s_barrier_signal -1
	s_barrier_wait -1
	s_wait_xcnt 0x0
	s_and_saveexec_b32 s46, s90
	s_cbranch_execz .LBB83_6
; %bb.5:                                ;   in Loop: Header=BB83_3 Depth=1
	global_load_b128 v[6:9], v[4:5], off
.LBB83_6:                               ;   in Loop: Header=BB83_3 Depth=1
	s_wait_xcnt 0x0
	s_or_b32 exec_lo, exec_lo, s46
	v_mov_b64_e32 v[10:11], 0
	s_wait_loadcnt 0x0
	s_barrier_signal -1
	s_barrier_wait -1
	s_and_saveexec_b32 s46, s91
	s_cbranch_execz .LBB83_8
; %bb.7:                                ;   in Loop: Header=BB83_3 Depth=1
	global_load_b128 v[10:13], v[4:5], off offset:256
.LBB83_8:                               ;   in Loop: Header=BB83_3 Depth=1
	s_wait_xcnt 0x0
	s_or_b32 exec_lo, exec_lo, s46
.LBB83_9:                               ;   in Loop: Header=BB83_3 Depth=1
	s_delay_alu instid0(SALU_CYCLE_1)
	s_and_not1_b32 vcc_lo, exec_lo, s60
	s_mov_b32 s46, -1
	s_cbranch_vccnz .LBB83_16
; %bb.10:                               ;   in Loop: Header=BB83_3 Depth=1
	s_wait_xcnt 0x0
	s_and_saveexec_b32 s46, s6
	s_delay_alu instid0(SALU_CYCLE_1)
	s_xor_b32 s46, exec_lo, s46
	s_cbranch_execnz .LBB83_500
; %bb.11:                               ;   in Loop: Header=BB83_3 Depth=1
	s_and_not1_saveexec_b32 s46, s46
	s_cbranch_execnz .LBB83_511
.LBB83_12:                              ;   in Loop: Header=BB83_3 Depth=1
	s_or_b32 exec_lo, exec_lo, s46
	s_and_saveexec_b32 s46, s7
	s_delay_alu instid0(SALU_CYCLE_1)
	s_xor_b32 s46, exec_lo, s46
	s_cbranch_execnz .LBB83_512
.LBB83_13:                              ;   in Loop: Header=BB83_3 Depth=1
	s_and_not1_saveexec_b32 s46, s46
	s_cbranch_execz .LBB83_15
.LBB83_14:                              ;   in Loop: Header=BB83_3 Depth=1
	v_lshl_add_u64 v[4:5], v[38:39], 4, s[40:41]
	global_load_b128 v[18:21], v[4:5], off
	s_wait_loadcnt 0x0
	v_xor_b32_e32 v19, 0x80000000, v19
	v_xor_b32_e32 v21, 0x80000000, v21
	ds_store_b128 v197, v[18:21]
.LBB83_15:                              ;   in Loop: Header=BB83_3 Depth=1
	s_or_b32 exec_lo, exec_lo, s46
	s_mov_b32 s46, 0
.LBB83_16:                              ;   in Loop: Header=BB83_3 Depth=1
	s_delay_alu instid0(SALU_CYCLE_1)
	s_and_b32 vcc_lo, exec_lo, s46
	s_cbranch_vccz .LBB83_23
; %bb.17:                               ;   in Loop: Header=BB83_3 Depth=1
	s_wait_xcnt 0x0
	s_and_saveexec_b32 s46, s92
	s_delay_alu instid0(SALU_CYCLE_1)
	s_xor_b32 s46, exec_lo, s46
	s_cbranch_execnz .LBB83_523
; %bb.18:                               ;   in Loop: Header=BB83_3 Depth=1
	s_and_not1_saveexec_b32 s46, s46
	s_cbranch_execnz .LBB83_534
.LBB83_19:                              ;   in Loop: Header=BB83_3 Depth=1
	s_or_b32 exec_lo, exec_lo, s46
	s_and_saveexec_b32 s46, s93
	s_delay_alu instid0(SALU_CYCLE_1)
	s_xor_b32 s46, exec_lo, s46
	s_cbranch_execnz .LBB83_535
.LBB83_20:                              ;   in Loop: Header=BB83_3 Depth=1
	s_and_not1_saveexec_b32 s46, s46
	s_cbranch_execz .LBB83_22
.LBB83_21:                              ;   in Loop: Header=BB83_3 Depth=1
	v_lshl_add_u64 v[4:5], v[38:39], 4, s[40:41]
	global_load_b128 v[18:21], v[4:5], off
	s_wait_loadcnt 0x0
	v_xor_b32_e32 v19, 0x80000000, v19
	v_xor_b32_e32 v21, 0x80000000, v21
	ds_store_b128 v197, v[18:21]
.LBB83_22:                              ;   in Loop: Header=BB83_3 Depth=1
	s_or_b32 exec_lo, exec_lo, s46
.LBB83_23:                              ;   in Loop: Header=BB83_3 Depth=1
	s_delay_alu instid0(SALU_CYCLE_1)
	s_and_not1_b32 vcc_lo, exec_lo, s62
	s_wait_loadcnt_dscnt 0x0
	s_barrier_signal -1
	s_barrier_wait -1
	s_cbranch_vccnz .LBB83_447
; %bb.24:                               ;   in Loop: Header=BB83_3 Depth=1
	s_and_saveexec_b32 s40, s29
	s_cbranch_execz .LBB83_26
; %bb.25:                               ;   in Loop: Header=BB83_3 Depth=1
	ds_load_b128 v[18:21], v2 offset:528
	ds_load_b128 v[22:25], v2
	s_wait_dscnt 0x0
	v_mul_f64_e32 v[4:5], v[18:19], v[24:25]
	v_mul_f64_e32 v[24:25], v[20:21], v[24:25]
	s_delay_alu instid0(VALU_DEP_2) | instskip(NEXT) | instid1(VALU_DEP_2)
	v_fmac_f64_e32 v[4:5], v[20:21], v[22:23]
	v_fma_f64 v[24:25], v[18:19], v[22:23], -v[24:25]
	ds_load_b128 v[18:21], v2 offset:16
	s_wait_dscnt 0x0
	v_mul_f64_e32 v[204:205], v[4:5], v[20:21]
	v_mul_f64_e32 v[22:23], v[24:25], v[20:21]
	s_delay_alu instid0(VALU_DEP_2) | instskip(NEXT) | instid1(VALU_DEP_2)
	v_fma_f64 v[20:21], v[18:19], v[24:25], -v[204:205]
	v_fmac_f64_e32 v[22:23], v[18:19], v[4:5]
	ds_store_b128 v2, v[20:23] offset:16
	ds_store_b128 v2, v[20:23] offset:512
.LBB83_26:                              ;   in Loop: Header=BB83_3 Depth=1
	s_or_b32 exec_lo, exec_lo, s40
	v_mov_b64_e32 v[20:21], 0
	v_mov_b64_e32 v[18:19], 0
	s_wait_dscnt 0x0
	s_barrier_signal -1
	s_barrier_wait -1
	s_and_saveexec_b32 s40, s0
	s_cbranch_execz .LBB83_30
; %bb.27:                               ;   in Loop: Header=BB83_3 Depth=1
	ds_load_b128 v[18:21], v44
	ds_load_b128 v[22:25], v43 offset:32
	s_wait_dscnt 0x0
	v_mul_f64_e32 v[4:5], v[20:21], v[24:25]
	v_mul_f64_e32 v[24:25], v[18:19], v[24:25]
	s_delay_alu instid0(VALU_DEP_2) | instskip(NEXT) | instid1(VALU_DEP_2)
	v_fma_f64 v[4:5], v[18:19], v[22:23], -v[4:5]
	v_fmac_f64_e32 v[24:25], v[20:21], v[22:23]
	s_delay_alu instid0(VALU_DEP_2) | instskip(NEXT) | instid1(VALU_DEP_2)
	v_add_f64_e32 v[18:19], 0, v[4:5]
	v_add_f64_e32 v[20:21], 0, v[24:25]
	s_and_saveexec_b32 s41, s10
	s_cbranch_execz .LBB83_29
; %bb.28:                               ;   in Loop: Header=BB83_3 Depth=1
	ds_load_b128 v[22:25], v2 offset:16
	ds_load_b128 v[204:207], v45 offset:544
	s_wait_dscnt 0x0
	v_mul_f64_e32 v[4:5], v[24:25], v[206:207]
	s_delay_alu instid0(VALU_DEP_1) | instskip(SKIP_1) | instid1(VALU_DEP_2)
	v_fma_f64 v[4:5], v[22:23], v[204:205], -v[4:5]
	v_mul_f64_e32 v[22:23], v[22:23], v[206:207]
	v_add_f64_e32 v[18:19], v[18:19], v[4:5]
	s_delay_alu instid0(VALU_DEP_2) | instskip(NEXT) | instid1(VALU_DEP_1)
	v_fmac_f64_e32 v[22:23], v[24:25], v[204:205]
	v_add_f64_e32 v[20:21], v[20:21], v[22:23]
.LBB83_29:                              ;   in Loop: Header=BB83_3 Depth=1
	s_or_b32 exec_lo, exec_lo, s41
	s_delay_alu instid0(VALU_DEP_2) | instskip(NEXT) | instid1(VALU_DEP_2)
	v_xor_b32_e32 v19, 0x80000000, v19
	v_xor_b32_e32 v21, 0x80000000, v21
.LBB83_30:                              ;   in Loop: Header=BB83_3 Depth=1
	s_or_b32 exec_lo, exec_lo, s40
	s_and_saveexec_b32 s40, s63
	s_cbranch_execz .LBB83_32
; %bb.31:                               ;   in Loop: Header=BB83_3 Depth=1
	ds_load_b128 v[22:25], v2 offset:1056
	s_wait_dscnt 0x0
	v_mul_f64_e32 v[4:5], v[20:21], v[24:25]
	v_mul_f64_e32 v[206:207], v[18:19], v[24:25]
	s_delay_alu instid0(VALU_DEP_2) | instskip(NEXT) | instid1(VALU_DEP_2)
	v_fma_f64 v[204:205], v[18:19], v[22:23], -v[4:5]
	v_fmac_f64_e32 v[206:207], v[20:21], v[22:23]
	s_delay_alu instid0(VALU_DEP_2) | instskip(NEXT) | instid1(VALU_DEP_2)
	v_mov_b64_e32 v[18:19], v[204:205]
	v_mov_b64_e32 v[20:21], v[206:207]
	ds_store_b128 v27, v[204:207]
.LBB83_32:                              ;   in Loop: Header=BB83_3 Depth=1
	s_or_b32 exec_lo, exec_lo, s40
	s_wait_dscnt 0x0
	s_barrier_signal -1
	s_barrier_wait -1
	s_and_saveexec_b32 s40, s64
	s_cbranch_execz .LBB83_34
; %bb.33:                               ;   in Loop: Header=BB83_3 Depth=1
	ds_load_b128 v[22:25], v27
	ds_load_b128 v[204:207], v2 offset:1072
	s_wait_dscnt 0x0
	v_mul_f64_e32 v[4:5], v[24:25], v[206:207]
	s_delay_alu instid0(VALU_DEP_1) | instskip(SKIP_1) | instid1(VALU_DEP_2)
	v_fma_f64 v[4:5], v[22:23], v[204:205], -v[4:5]
	v_mul_f64_e32 v[22:23], v[22:23], v[206:207]
	v_add_f64_e32 v[18:19], v[18:19], v[4:5]
	s_delay_alu instid0(VALU_DEP_2) | instskip(NEXT) | instid1(VALU_DEP_1)
	v_fmac_f64_e32 v[22:23], v[24:25], v[204:205]
	v_add_f64_e32 v[20:21], v[20:21], v[22:23]
.LBB83_34:                              ;   in Loop: Header=BB83_3 Depth=1
	s_or_b32 exec_lo, exec_lo, s40
	s_barrier_signal -1
	s_barrier_wait -1
	s_and_saveexec_b32 s40, s64
	s_cbranch_execz .LBB83_36
; %bb.35:                               ;   in Loop: Header=BB83_3 Depth=1
	ds_load_b128 v[22:25], v2 offset:1584
	s_wait_dscnt 0x0
	v_mul_f64_e32 v[4:5], v[20:21], v[24:25]
	v_mul_f64_e32 v[206:207], v[18:19], v[24:25]
	s_delay_alu instid0(VALU_DEP_2) | instskip(NEXT) | instid1(VALU_DEP_2)
	v_fma_f64 v[204:205], v[18:19], v[22:23], -v[4:5]
	v_fmac_f64_e32 v[206:207], v[20:21], v[22:23]
	s_delay_alu instid0(VALU_DEP_2) | instskip(NEXT) | instid1(VALU_DEP_2)
	v_mov_b64_e32 v[18:19], v[204:205]
	v_mov_b64_e32 v[20:21], v[206:207]
	ds_store_b128 v27, v[204:207]
.LBB83_36:                              ;   in Loop: Header=BB83_3 Depth=1
	s_or_b32 exec_lo, exec_lo, s40
	s_wait_dscnt 0x0
	s_barrier_signal -1
	s_barrier_wait -1
	s_barrier_signal -1
	s_barrier_wait -1
	s_and_saveexec_b32 s40, s0
; %bb.37:                               ;   in Loop: Header=BB83_3 Depth=1
	s_delay_alu instid0(VALU_DEP_3) | instskip(NEXT) | instid1(VALU_DEP_2)
	v_xor_b32_e32 v19, 0x80000000, v19
	v_xor_b32_e32 v21, 0x80000000, v21
	ds_store_b128 v43, v[18:21] offset:32
; %bb.38:                               ;   in Loop: Header=BB83_3 Depth=1
	s_or_b32 exec_lo, exec_lo, s40
	s_wait_dscnt 0x0
	s_barrier_signal -1
	s_barrier_wait -1
	s_barrier_signal -1
	s_barrier_wait -1
	s_and_saveexec_b32 s40, s65
	s_cbranch_execz .LBB83_40
; %bb.39:                               ;   in Loop: Header=BB83_3 Depth=1
	ds_load_b128 v[18:21], v47
	s_wait_dscnt 0x0
	ds_store_b128 v146, v[18:21]
	ds_load_b128 v[18:21], v48
	s_wait_dscnt 0x0
	ds_store_b128 v147, v[18:21]
.LBB83_40:                              ;   in Loop: Header=BB83_3 Depth=1
	s_or_b32 exec_lo, exec_lo, s40
	s_wait_dscnt 0x0
	s_barrier_signal -1
	s_barrier_wait -1
	s_and_saveexec_b32 s40, s29
	s_cbranch_execz .LBB83_42
; %bb.41:                               ;   in Loop: Header=BB83_3 Depth=1
	ds_load_b128 v[18:21], v2 offset:1584
	ds_load_b128 v[22:25], v2 offset:1056
	s_wait_dscnt 0x0
	v_mul_f64_e32 v[4:5], v[18:19], v[24:25]
	v_mul_f64_e32 v[24:25], v[20:21], v[24:25]
	s_delay_alu instid0(VALU_DEP_2) | instskip(NEXT) | instid1(VALU_DEP_2)
	v_fmac_f64_e32 v[4:5], v[20:21], v[22:23]
	v_fma_f64 v[24:25], v[18:19], v[22:23], -v[24:25]
	ds_load_b128 v[18:21], v2 offset:1072
	s_wait_dscnt 0x0
	v_mul_f64_e32 v[204:205], v[4:5], v[20:21]
	v_mul_f64_e32 v[22:23], v[24:25], v[20:21]
	s_delay_alu instid0(VALU_DEP_2) | instskip(NEXT) | instid1(VALU_DEP_2)
	v_fma_f64 v[20:21], v[18:19], v[24:25], -v[204:205]
	v_fmac_f64_e32 v[22:23], v[18:19], v[4:5]
	ds_store_b128 v2, v[20:23] offset:1072
	ds_store_b128 v2, v[20:23] offset:1568
.LBB83_42:                              ;   in Loop: Header=BB83_3 Depth=1
	s_or_b32 exec_lo, exec_lo, s40
	v_mov_b64_e32 v[20:21], 0
	v_mov_b64_e32 v[18:19], 0
	s_wait_dscnt 0x0
	s_barrier_signal -1
	s_barrier_wait -1
	s_and_saveexec_b32 s40, s2
	s_cbranch_execz .LBB83_48
; %bb.43:                               ;   in Loop: Header=BB83_3 Depth=1
	ds_load_b128 v[18:21], v46
	ds_load_b128 v[22:25], v52 offset:64
	s_wait_dscnt 0x0
	v_mul_f64_e32 v[4:5], v[20:21], v[24:25]
	v_mul_f64_e32 v[24:25], v[18:19], v[24:25]
	s_delay_alu instid0(VALU_DEP_2) | instskip(NEXT) | instid1(VALU_DEP_2)
	v_fma_f64 v[4:5], v[18:19], v[22:23], -v[4:5]
	v_fmac_f64_e32 v[24:25], v[20:21], v[22:23]
	s_delay_alu instid0(VALU_DEP_2) | instskip(NEXT) | instid1(VALU_DEP_2)
	v_add_f64_e32 v[18:19], 0, v[4:5]
	v_add_f64_e32 v[20:21], 0, v[24:25]
	s_and_saveexec_b32 s41, s11
	s_cbranch_execnz .LBB83_550
; %bb.44:                               ;   in Loop: Header=BB83_3 Depth=1
	s_or_b32 exec_lo, exec_lo, s41
	s_and_saveexec_b32 s41, s12
	s_cbranch_execnz .LBB83_551
.LBB83_45:                              ;   in Loop: Header=BB83_3 Depth=1
	s_or_b32 exec_lo, exec_lo, s41
	s_and_saveexec_b32 s41, s0
	s_cbranch_execz .LBB83_47
.LBB83_46:                              ;   in Loop: Header=BB83_3 Depth=1
	ds_load_b128 v[22:25], v2 offset:48
	ds_load_b128 v[204:207], v50 offset:1600
	s_wait_dscnt 0x0
	v_mul_f64_e32 v[4:5], v[24:25], v[206:207]
	s_delay_alu instid0(VALU_DEP_1) | instskip(SKIP_1) | instid1(VALU_DEP_2)
	v_fma_f64 v[4:5], v[22:23], v[204:205], -v[4:5]
	v_mul_f64_e32 v[22:23], v[22:23], v[206:207]
	v_add_f64_e32 v[18:19], v[18:19], v[4:5]
	s_delay_alu instid0(VALU_DEP_2) | instskip(NEXT) | instid1(VALU_DEP_1)
	v_fmac_f64_e32 v[22:23], v[24:25], v[204:205]
	v_add_f64_e32 v[20:21], v[20:21], v[22:23]
.LBB83_47:                              ;   in Loop: Header=BB83_3 Depth=1
	s_or_b32 exec_lo, exec_lo, s41
	s_delay_alu instid0(VALU_DEP_2) | instskip(NEXT) | instid1(VALU_DEP_2)
	v_xor_b32_e32 v19, 0x80000000, v19
	v_xor_b32_e32 v21, 0x80000000, v21
.LBB83_48:                              ;   in Loop: Header=BB83_3 Depth=1
	s_or_b32 exec_lo, exec_lo, s40
	s_and_saveexec_b32 s40, s66
	s_cbranch_execz .LBB83_50
; %bb.49:                               ;   in Loop: Header=BB83_3 Depth=1
	ds_load_b128 v[22:25], v2 offset:2112
	s_wait_dscnt 0x0
	v_mul_f64_e32 v[4:5], v[20:21], v[24:25]
	v_mul_f64_e32 v[206:207], v[18:19], v[24:25]
	s_delay_alu instid0(VALU_DEP_2) | instskip(NEXT) | instid1(VALU_DEP_2)
	v_fma_f64 v[204:205], v[18:19], v[22:23], -v[4:5]
	v_fmac_f64_e32 v[206:207], v[20:21], v[22:23]
	s_delay_alu instid0(VALU_DEP_2) | instskip(NEXT) | instid1(VALU_DEP_2)
	v_mov_b64_e32 v[18:19], v[204:205]
	v_mov_b64_e32 v[20:21], v[206:207]
	ds_store_b128 v51, v[204:207]
.LBB83_50:                              ;   in Loop: Header=BB83_3 Depth=1
	s_or_b32 exec_lo, exec_lo, s40
	s_wait_dscnt 0x0
	s_barrier_signal -1
	s_barrier_wait -1
	s_and_saveexec_b32 s40, s67
	s_cbranch_execz .LBB83_52
; %bb.51:                               ;   in Loop: Header=BB83_3 Depth=1
	ds_load_b128 v[22:25], v51
	ds_load_b128 v[204:207], v49 offset:2112
	s_wait_dscnt 0x0
	v_mul_f64_e32 v[4:5], v[24:25], v[206:207]
	s_delay_alu instid0(VALU_DEP_1) | instskip(SKIP_1) | instid1(VALU_DEP_2)
	v_fma_f64 v[4:5], v[22:23], v[204:205], -v[4:5]
	v_mul_f64_e32 v[22:23], v[22:23], v[206:207]
	v_add_f64_e32 v[18:19], v[18:19], v[4:5]
	s_delay_alu instid0(VALU_DEP_2) | instskip(NEXT) | instid1(VALU_DEP_1)
	v_fmac_f64_e32 v[22:23], v[24:25], v[204:205]
	v_add_f64_e32 v[20:21], v[20:21], v[22:23]
.LBB83_52:                              ;   in Loop: Header=BB83_3 Depth=1
	s_or_b32 exec_lo, exec_lo, s40
	s_barrier_signal -1
	s_barrier_wait -1
	s_and_saveexec_b32 s40, s68
	s_cbranch_execz .LBB83_54
; %bb.53:                               ;   in Loop: Header=BB83_3 Depth=1
	ds_load_b128 v[22:25], v2 offset:2640
	s_wait_dscnt 0x0
	v_mul_f64_e32 v[4:5], v[20:21], v[24:25]
	v_mul_f64_e32 v[206:207], v[18:19], v[24:25]
	s_delay_alu instid0(VALU_DEP_2) | instskip(NEXT) | instid1(VALU_DEP_2)
	v_fma_f64 v[204:205], v[18:19], v[22:23], -v[4:5]
	v_fmac_f64_e32 v[206:207], v[20:21], v[22:23]
	s_delay_alu instid0(VALU_DEP_2) | instskip(NEXT) | instid1(VALU_DEP_2)
	v_mov_b64_e32 v[18:19], v[204:205]
	v_mov_b64_e32 v[20:21], v[206:207]
	ds_store_b128 v51, v[204:207]
.LBB83_54:                              ;   in Loop: Header=BB83_3 Depth=1
	s_or_b32 exec_lo, exec_lo, s40
	s_wait_dscnt 0x0
	s_barrier_signal -1
	s_barrier_wait -1
	s_and_saveexec_b32 s40, s69
	s_cbranch_execz .LBB83_56
; %bb.55:                               ;   in Loop: Header=BB83_3 Depth=1
	ds_load_b128 v[22:25], v51
	ds_load_b128 v[204:207], v49 offset:2624
	s_wait_dscnt 0x0
	v_mul_f64_e32 v[4:5], v[24:25], v[206:207]
	s_delay_alu instid0(VALU_DEP_1) | instskip(SKIP_1) | instid1(VALU_DEP_2)
	v_fma_f64 v[4:5], v[22:23], v[204:205], -v[4:5]
	v_mul_f64_e32 v[22:23], v[22:23], v[206:207]
	v_add_f64_e32 v[18:19], v[18:19], v[4:5]
	s_delay_alu instid0(VALU_DEP_2) | instskip(NEXT) | instid1(VALU_DEP_1)
	v_fmac_f64_e32 v[22:23], v[24:25], v[204:205]
	v_add_f64_e32 v[20:21], v[20:21], v[22:23]
.LBB83_56:                              ;   in Loop: Header=BB83_3 Depth=1
	s_or_b32 exec_lo, exec_lo, s40
	s_barrier_signal -1
	s_barrier_wait -1
	;; [unrolled: 37-line block ×3, first 2 shown]
	s_and_saveexec_b32 s40, s71
	s_cbranch_execz .LBB83_62
; %bb.61:                               ;   in Loop: Header=BB83_3 Depth=1
	ds_load_b128 v[22:25], v2 offset:3696
	s_wait_dscnt 0x0
	v_mul_f64_e32 v[4:5], v[20:21], v[24:25]
	v_mul_f64_e32 v[206:207], v[18:19], v[24:25]
	s_delay_alu instid0(VALU_DEP_2) | instskip(NEXT) | instid1(VALU_DEP_2)
	v_fma_f64 v[204:205], v[18:19], v[22:23], -v[4:5]
	v_fmac_f64_e32 v[206:207], v[20:21], v[22:23]
	s_delay_alu instid0(VALU_DEP_2) | instskip(NEXT) | instid1(VALU_DEP_2)
	v_mov_b64_e32 v[18:19], v[204:205]
	v_mov_b64_e32 v[20:21], v[206:207]
	ds_store_b128 v51, v[204:207]
.LBB83_62:                              ;   in Loop: Header=BB83_3 Depth=1
	s_or_b32 exec_lo, exec_lo, s40
	s_wait_dscnt 0x0
	s_barrier_signal -1
	s_barrier_wait -1
	s_barrier_signal -1
	s_barrier_wait -1
	s_and_saveexec_b32 s40, s2
; %bb.63:                               ;   in Loop: Header=BB83_3 Depth=1
	s_delay_alu instid0(VALU_DEP_1) | instskip(NEXT) | instid1(VALU_DEP_4)
	v_xor_b32_e32 v21, 0x80000000, v21
	v_xor_b32_e32 v19, 0x80000000, v19
	ds_store_b128 v52, v[18:21] offset:64
; %bb.64:                               ;   in Loop: Header=BB83_3 Depth=1
	s_or_b32 exec_lo, exec_lo, s40
	s_wait_dscnt 0x0
	s_barrier_signal -1
	s_barrier_wait -1
	s_barrier_signal -1
	s_barrier_wait -1
	s_and_saveexec_b32 s40, s72
	s_cbranch_execz .LBB83_66
; %bb.65:                               ;   in Loop: Header=BB83_3 Depth=1
	ds_load_b128 v[18:21], v55
	s_wait_dscnt 0x0
	ds_store_b128 v148, v[18:21]
	ds_load_b128 v[18:21], v82
	s_wait_dscnt 0x0
	ds_store_b128 v151, v[18:21]
	;; [unrolled: 3-line block ×4, first 2 shown]
.LBB83_66:                              ;   in Loop: Header=BB83_3 Depth=1
	s_or_b32 exec_lo, exec_lo, s40
	s_wait_dscnt 0x0
	s_barrier_signal -1
	s_barrier_wait -1
	s_and_saveexec_b32 s40, s29
	s_cbranch_execz .LBB83_68
; %bb.67:                               ;   in Loop: Header=BB83_3 Depth=1
	ds_load_b128 v[18:21], v2 offset:2640
	ds_load_b128 v[22:25], v2 offset:2112
	s_wait_dscnt 0x0
	v_mul_f64_e32 v[4:5], v[18:19], v[24:25]
	v_mul_f64_e32 v[24:25], v[20:21], v[24:25]
	s_delay_alu instid0(VALU_DEP_2) | instskip(NEXT) | instid1(VALU_DEP_2)
	v_fmac_f64_e32 v[4:5], v[20:21], v[22:23]
	v_fma_f64 v[24:25], v[18:19], v[22:23], -v[24:25]
	ds_load_b128 v[18:21], v2 offset:2128
	s_wait_dscnt 0x0
	v_mul_f64_e32 v[204:205], v[4:5], v[20:21]
	v_mul_f64_e32 v[22:23], v[24:25], v[20:21]
	s_delay_alu instid0(VALU_DEP_2) | instskip(NEXT) | instid1(VALU_DEP_2)
	v_fma_f64 v[20:21], v[18:19], v[24:25], -v[204:205]
	v_fmac_f64_e32 v[22:23], v[18:19], v[4:5]
	ds_store_b128 v2, v[20:23] offset:2128
	ds_store_b128 v2, v[20:23] offset:2624
.LBB83_68:                              ;   in Loop: Header=BB83_3 Depth=1
	s_or_b32 exec_lo, exec_lo, s40
	v_mov_b64_e32 v[20:21], 0
	v_mov_b64_e32 v[18:19], 0
	s_wait_dscnt 0x0
	s_barrier_signal -1
	s_barrier_wait -1
	s_and_saveexec_b32 s40, s0
	s_cbranch_execz .LBB83_72
; %bb.69:                               ;   in Loop: Header=BB83_3 Depth=1
	ds_load_b128 v[18:21], v44 offset:2112
	ds_load_b128 v[22:25], v43 offset:2144
	s_wait_dscnt 0x0
	v_mul_f64_e32 v[4:5], v[20:21], v[24:25]
	v_mul_f64_e32 v[24:25], v[18:19], v[24:25]
	s_delay_alu instid0(VALU_DEP_2) | instskip(NEXT) | instid1(VALU_DEP_2)
	v_fma_f64 v[4:5], v[18:19], v[22:23], -v[4:5]
	v_fmac_f64_e32 v[24:25], v[20:21], v[22:23]
	s_delay_alu instid0(VALU_DEP_2) | instskip(NEXT) | instid1(VALU_DEP_2)
	v_add_f64_e32 v[18:19], 0, v[4:5]
	v_add_f64_e32 v[20:21], 0, v[24:25]
	s_and_saveexec_b32 s41, s10
	s_cbranch_execz .LBB83_71
; %bb.70:                               ;   in Loop: Header=BB83_3 Depth=1
	ds_load_b128 v[22:25], v2 offset:2128
	ds_load_b128 v[204:207], v83 offset:2656
	s_wait_dscnt 0x0
	v_mul_f64_e32 v[4:5], v[24:25], v[206:207]
	s_delay_alu instid0(VALU_DEP_1) | instskip(SKIP_1) | instid1(VALU_DEP_2)
	v_fma_f64 v[4:5], v[22:23], v[204:205], -v[4:5]
	v_mul_f64_e32 v[22:23], v[22:23], v[206:207]
	v_add_f64_e32 v[18:19], v[18:19], v[4:5]
	s_delay_alu instid0(VALU_DEP_2) | instskip(NEXT) | instid1(VALU_DEP_1)
	v_fmac_f64_e32 v[22:23], v[24:25], v[204:205]
	v_add_f64_e32 v[20:21], v[20:21], v[22:23]
.LBB83_71:                              ;   in Loop: Header=BB83_3 Depth=1
	s_or_b32 exec_lo, exec_lo, s41
	s_delay_alu instid0(VALU_DEP_2) | instskip(NEXT) | instid1(VALU_DEP_2)
	v_xor_b32_e32 v19, 0x80000000, v19
	v_xor_b32_e32 v21, 0x80000000, v21
.LBB83_72:                              ;   in Loop: Header=BB83_3 Depth=1
	s_or_b32 exec_lo, exec_lo, s40
	s_and_saveexec_b32 s40, s63
	s_cbranch_execz .LBB83_74
; %bb.73:                               ;   in Loop: Header=BB83_3 Depth=1
	ds_load_b128 v[22:25], v2 offset:3168
	s_wait_dscnt 0x0
	v_mul_f64_e32 v[4:5], v[20:21], v[24:25]
	v_mul_f64_e32 v[206:207], v[18:19], v[24:25]
	s_delay_alu instid0(VALU_DEP_2) | instskip(NEXT) | instid1(VALU_DEP_2)
	v_fma_f64 v[204:205], v[18:19], v[22:23], -v[4:5]
	v_fmac_f64_e32 v[206:207], v[20:21], v[22:23]
	s_delay_alu instid0(VALU_DEP_2) | instskip(NEXT) | instid1(VALU_DEP_2)
	v_mov_b64_e32 v[18:19], v[204:205]
	v_mov_b64_e32 v[20:21], v[206:207]
	ds_store_b128 v27, v[204:207]
.LBB83_74:                              ;   in Loop: Header=BB83_3 Depth=1
	s_or_b32 exec_lo, exec_lo, s40
	s_wait_dscnt 0x0
	s_barrier_signal -1
	s_barrier_wait -1
	s_and_saveexec_b32 s40, s64
	s_cbranch_execz .LBB83_76
; %bb.75:                               ;   in Loop: Header=BB83_3 Depth=1
	ds_load_b128 v[22:25], v27
	ds_load_b128 v[204:207], v2 offset:3184
	s_wait_dscnt 0x0
	v_mul_f64_e32 v[4:5], v[24:25], v[206:207]
	s_delay_alu instid0(VALU_DEP_1) | instskip(SKIP_1) | instid1(VALU_DEP_2)
	v_fma_f64 v[4:5], v[22:23], v[204:205], -v[4:5]
	v_mul_f64_e32 v[22:23], v[22:23], v[206:207]
	v_add_f64_e32 v[18:19], v[18:19], v[4:5]
	s_delay_alu instid0(VALU_DEP_2) | instskip(NEXT) | instid1(VALU_DEP_1)
	v_fmac_f64_e32 v[22:23], v[24:25], v[204:205]
	v_add_f64_e32 v[20:21], v[20:21], v[22:23]
.LBB83_76:                              ;   in Loop: Header=BB83_3 Depth=1
	s_or_b32 exec_lo, exec_lo, s40
	s_barrier_signal -1
	s_barrier_wait -1
	s_and_saveexec_b32 s40, s64
	s_cbranch_execz .LBB83_78
; %bb.77:                               ;   in Loop: Header=BB83_3 Depth=1
	ds_load_b128 v[22:25], v2 offset:3696
	s_wait_dscnt 0x0
	v_mul_f64_e32 v[4:5], v[20:21], v[24:25]
	v_mul_f64_e32 v[206:207], v[18:19], v[24:25]
	s_delay_alu instid0(VALU_DEP_2) | instskip(NEXT) | instid1(VALU_DEP_2)
	v_fma_f64 v[204:205], v[18:19], v[22:23], -v[4:5]
	v_fmac_f64_e32 v[206:207], v[20:21], v[22:23]
	s_delay_alu instid0(VALU_DEP_2) | instskip(NEXT) | instid1(VALU_DEP_2)
	v_mov_b64_e32 v[18:19], v[204:205]
	v_mov_b64_e32 v[20:21], v[206:207]
	ds_store_b128 v27, v[204:207]
.LBB83_78:                              ;   in Loop: Header=BB83_3 Depth=1
	s_or_b32 exec_lo, exec_lo, s40
	s_wait_dscnt 0x0
	s_barrier_signal -1
	s_barrier_wait -1
	s_barrier_signal -1
	s_barrier_wait -1
	s_and_saveexec_b32 s40, s0
; %bb.79:                               ;   in Loop: Header=BB83_3 Depth=1
	s_delay_alu instid0(VALU_DEP_3) | instskip(NEXT) | instid1(VALU_DEP_2)
	v_xor_b32_e32 v19, 0x80000000, v19
	v_xor_b32_e32 v21, 0x80000000, v21
	ds_store_b128 v43, v[18:21] offset:2144
; %bb.80:                               ;   in Loop: Header=BB83_3 Depth=1
	s_or_b32 exec_lo, exec_lo, s40
	s_wait_dscnt 0x0
	s_barrier_signal -1
	s_barrier_wait -1
	s_barrier_signal -1
	s_barrier_wait -1
	s_and_saveexec_b32 s40, s65
	s_cbranch_execz .LBB83_82
; %bb.81:                               ;   in Loop: Header=BB83_3 Depth=1
	ds_load_b128 v[18:21], v92
	s_wait_dscnt 0x0
	ds_store_b128 v152, v[18:21]
	ds_load_b128 v[18:21], v93
	s_wait_dscnt 0x0
	ds_store_b128 v153, v[18:21]
.LBB83_82:                              ;   in Loop: Header=BB83_3 Depth=1
	s_or_b32 exec_lo, exec_lo, s40
	s_wait_dscnt 0x0
	s_barrier_signal -1
	s_barrier_wait -1
	s_and_saveexec_b32 s40, s29
	s_cbranch_execz .LBB83_84
; %bb.83:                               ;   in Loop: Header=BB83_3 Depth=1
	ds_load_b128 v[18:21], v2 offset:3696
	ds_load_b128 v[22:25], v2 offset:3168
	s_wait_dscnt 0x0
	v_mul_f64_e32 v[4:5], v[18:19], v[24:25]
	v_mul_f64_e32 v[24:25], v[20:21], v[24:25]
	s_delay_alu instid0(VALU_DEP_2) | instskip(NEXT) | instid1(VALU_DEP_2)
	v_fmac_f64_e32 v[4:5], v[20:21], v[22:23]
	v_fma_f64 v[24:25], v[18:19], v[22:23], -v[24:25]
	ds_load_b128 v[18:21], v2 offset:3184
	s_wait_dscnt 0x0
	v_mul_f64_e32 v[204:205], v[4:5], v[20:21]
	v_mul_f64_e32 v[22:23], v[24:25], v[20:21]
	s_delay_alu instid0(VALU_DEP_2) | instskip(NEXT) | instid1(VALU_DEP_2)
	v_fma_f64 v[20:21], v[18:19], v[24:25], -v[204:205]
	v_fmac_f64_e32 v[22:23], v[18:19], v[4:5]
	ds_store_b128 v2, v[20:23] offset:3184
	ds_store_b128 v2, v[20:23] offset:3680
.LBB83_84:                              ;   in Loop: Header=BB83_3 Depth=1
	s_or_b32 exec_lo, exec_lo, s40
	v_mov_b64_e32 v[20:21], 0
	v_mov_b64_e32 v[18:19], 0
	s_wait_dscnt 0x0
	s_barrier_signal -1
	s_barrier_wait -1
	s_and_saveexec_b32 s40, s3
	s_cbranch_execz .LBB83_94
; %bb.85:                               ;   in Loop: Header=BB83_3 Depth=1
	ds_load_b128 v[18:21], v54
	ds_load_b128 v[22:25], v59 offset:128
	s_wait_dscnt 0x0
	v_mul_f64_e32 v[4:5], v[20:21], v[24:25]
	v_mul_f64_e32 v[24:25], v[18:19], v[24:25]
	s_delay_alu instid0(VALU_DEP_2) | instskip(NEXT) | instid1(VALU_DEP_2)
	v_fma_f64 v[4:5], v[18:19], v[22:23], -v[4:5]
	v_fmac_f64_e32 v[24:25], v[20:21], v[22:23]
	s_delay_alu instid0(VALU_DEP_2) | instskip(NEXT) | instid1(VALU_DEP_2)
	v_add_f64_e32 v[18:19], 0, v[4:5]
	v_add_f64_e32 v[20:21], 0, v[24:25]
	s_and_saveexec_b32 s41, s13
	s_cbranch_execnz .LBB83_552
; %bb.86:                               ;   in Loop: Header=BB83_3 Depth=1
	s_or_b32 exec_lo, exec_lo, s41
	s_and_saveexec_b32 s41, s14
	s_cbranch_execnz .LBB83_553
.LBB83_87:                              ;   in Loop: Header=BB83_3 Depth=1
	s_or_b32 exec_lo, exec_lo, s41
	s_and_saveexec_b32 s41, s15
	s_cbranch_execnz .LBB83_554
.LBB83_88:                              ;   in Loop: Header=BB83_3 Depth=1
	s_or_b32 exec_lo, exec_lo, s41
	s_and_saveexec_b32 s41, s16
	s_cbranch_execnz .LBB83_555
.LBB83_89:                              ;   in Loop: Header=BB83_3 Depth=1
	s_or_b32 exec_lo, exec_lo, s41
	s_and_saveexec_b32 s41, s17
	s_cbranch_execnz .LBB83_556
.LBB83_90:                              ;   in Loop: Header=BB83_3 Depth=1
	s_or_b32 exec_lo, exec_lo, s41
	s_and_saveexec_b32 s41, s2
	s_cbranch_execnz .LBB83_557
.LBB83_91:                              ;   in Loop: Header=BB83_3 Depth=1
	s_or_b32 exec_lo, exec_lo, s41
	s_and_saveexec_b32 s41, s12
	s_cbranch_execz .LBB83_93
.LBB83_92:                              ;   in Loop: Header=BB83_3 Depth=1
	ds_load_b128 v[22:25], v2 offset:112
	ds_load_b128 v[204:207], v45 offset:3712
	s_wait_dscnt 0x0
	v_mul_f64_e32 v[4:5], v[24:25], v[206:207]
	s_delay_alu instid0(VALU_DEP_1) | instskip(SKIP_1) | instid1(VALU_DEP_2)
	v_fma_f64 v[4:5], v[22:23], v[204:205], -v[4:5]
	v_mul_f64_e32 v[22:23], v[22:23], v[206:207]
	v_add_f64_e32 v[18:19], v[18:19], v[4:5]
	s_delay_alu instid0(VALU_DEP_2) | instskip(NEXT) | instid1(VALU_DEP_1)
	v_fmac_f64_e32 v[22:23], v[24:25], v[204:205]
	v_add_f64_e32 v[20:21], v[20:21], v[22:23]
.LBB83_93:                              ;   in Loop: Header=BB83_3 Depth=1
	s_or_b32 exec_lo, exec_lo, s41
	s_delay_alu instid0(VALU_DEP_2) | instskip(NEXT) | instid1(VALU_DEP_2)
	v_xor_b32_e32 v19, 0x80000000, v19
	v_xor_b32_e32 v21, 0x80000000, v21
.LBB83_94:                              ;   in Loop: Header=BB83_3 Depth=1
	s_or_b32 exec_lo, exec_lo, s40
	s_and_saveexec_b32 s40, s73
	s_cbranch_execz .LBB83_96
; %bb.95:                               ;   in Loop: Header=BB83_3 Depth=1
	ds_load_b128 v[22:25], v2 offset:4224
	s_wait_dscnt 0x0
	v_mul_f64_e32 v[4:5], v[20:21], v[24:25]
	v_mul_f64_e32 v[206:207], v[18:19], v[24:25]
	s_delay_alu instid0(VALU_DEP_2) | instskip(NEXT) | instid1(VALU_DEP_2)
	v_fma_f64 v[204:205], v[18:19], v[22:23], -v[4:5]
	v_fmac_f64_e32 v[206:207], v[20:21], v[22:23]
	s_delay_alu instid0(VALU_DEP_2) | instskip(NEXT) | instid1(VALU_DEP_2)
	v_mov_b64_e32 v[18:19], v[204:205]
	v_mov_b64_e32 v[20:21], v[206:207]
	ds_store_b128 v58, v[204:207]
.LBB83_96:                              ;   in Loop: Header=BB83_3 Depth=1
	s_or_b32 exec_lo, exec_lo, s40
	s_wait_dscnt 0x0
	s_barrier_signal -1
	s_barrier_wait -1
	s_and_saveexec_b32 s40, s74
	s_cbranch_execz .LBB83_98
; %bb.97:                               ;   in Loop: Header=BB83_3 Depth=1
	ds_load_b128 v[22:25], v58
	ds_load_b128 v[204:207], v56 offset:4224
	s_wait_dscnt 0x0
	v_mul_f64_e32 v[4:5], v[24:25], v[206:207]
	s_delay_alu instid0(VALU_DEP_1) | instskip(SKIP_1) | instid1(VALU_DEP_2)
	v_fma_f64 v[4:5], v[22:23], v[204:205], -v[4:5]
	v_mul_f64_e32 v[22:23], v[22:23], v[206:207]
	v_add_f64_e32 v[18:19], v[18:19], v[4:5]
	s_delay_alu instid0(VALU_DEP_2) | instskip(NEXT) | instid1(VALU_DEP_1)
	v_fmac_f64_e32 v[22:23], v[24:25], v[204:205]
	v_add_f64_e32 v[20:21], v[20:21], v[22:23]
.LBB83_98:                              ;   in Loop: Header=BB83_3 Depth=1
	s_or_b32 exec_lo, exec_lo, s40
	s_barrier_signal -1
	s_barrier_wait -1
	s_and_saveexec_b32 s40, s75
	s_cbranch_execz .LBB83_100
; %bb.99:                               ;   in Loop: Header=BB83_3 Depth=1
	ds_load_b128 v[22:25], v2 offset:4752
	s_wait_dscnt 0x0
	v_mul_f64_e32 v[4:5], v[20:21], v[24:25]
	v_mul_f64_e32 v[206:207], v[18:19], v[24:25]
	s_delay_alu instid0(VALU_DEP_2) | instskip(NEXT) | instid1(VALU_DEP_2)
	v_fma_f64 v[204:205], v[18:19], v[22:23], -v[4:5]
	v_fmac_f64_e32 v[206:207], v[20:21], v[22:23]
	s_delay_alu instid0(VALU_DEP_2) | instskip(NEXT) | instid1(VALU_DEP_2)
	v_mov_b64_e32 v[18:19], v[204:205]
	v_mov_b64_e32 v[20:21], v[206:207]
	ds_store_b128 v58, v[204:207]
.LBB83_100:                             ;   in Loop: Header=BB83_3 Depth=1
	s_or_b32 exec_lo, exec_lo, s40
	s_wait_dscnt 0x0
	s_barrier_signal -1
	s_barrier_wait -1
	s_and_saveexec_b32 s40, s76
	s_cbranch_execz .LBB83_102
; %bb.101:                              ;   in Loop: Header=BB83_3 Depth=1
	ds_load_b128 v[22:25], v58
	ds_load_b128 v[204:207], v56 offset:4736
	s_wait_dscnt 0x0
	v_mul_f64_e32 v[4:5], v[24:25], v[206:207]
	s_delay_alu instid0(VALU_DEP_1) | instskip(SKIP_1) | instid1(VALU_DEP_2)
	v_fma_f64 v[4:5], v[22:23], v[204:205], -v[4:5]
	v_mul_f64_e32 v[22:23], v[22:23], v[206:207]
	v_add_f64_e32 v[18:19], v[18:19], v[4:5]
	s_delay_alu instid0(VALU_DEP_2) | instskip(NEXT) | instid1(VALU_DEP_1)
	v_fmac_f64_e32 v[22:23], v[24:25], v[204:205]
	v_add_f64_e32 v[20:21], v[20:21], v[22:23]
.LBB83_102:                             ;   in Loop: Header=BB83_3 Depth=1
	s_or_b32 exec_lo, exec_lo, s40
	s_barrier_signal -1
	s_barrier_wait -1
	s_and_saveexec_b32 s40, s77
	s_cbranch_execz .LBB83_104
; %bb.103:                              ;   in Loop: Header=BB83_3 Depth=1
	ds_load_b128 v[22:25], v2 offset:5280
	s_wait_dscnt 0x0
	v_mul_f64_e32 v[4:5], v[20:21], v[24:25]
	v_mul_f64_e32 v[206:207], v[18:19], v[24:25]
	s_delay_alu instid0(VALU_DEP_2) | instskip(NEXT) | instid1(VALU_DEP_2)
	v_fma_f64 v[204:205], v[18:19], v[22:23], -v[4:5]
	v_fmac_f64_e32 v[206:207], v[20:21], v[22:23]
	s_delay_alu instid0(VALU_DEP_2) | instskip(NEXT) | instid1(VALU_DEP_2)
	v_mov_b64_e32 v[18:19], v[204:205]
	v_mov_b64_e32 v[20:21], v[206:207]
	ds_store_b128 v58, v[204:207]
.LBB83_104:                             ;   in Loop: Header=BB83_3 Depth=1
	s_or_b32 exec_lo, exec_lo, s40
	s_wait_dscnt 0x0
	s_barrier_signal -1
	s_barrier_wait -1
	s_and_saveexec_b32 s40, s78
	s_cbranch_execz .LBB83_106
; %bb.105:                              ;   in Loop: Header=BB83_3 Depth=1
	ds_load_b128 v[22:25], v58
	ds_load_b128 v[204:207], v56 offset:5248
	s_wait_dscnt 0x0
	v_mul_f64_e32 v[4:5], v[24:25], v[206:207]
	s_delay_alu instid0(VALU_DEP_1) | instskip(SKIP_1) | instid1(VALU_DEP_2)
	v_fma_f64 v[4:5], v[22:23], v[204:205], -v[4:5]
	v_mul_f64_e32 v[22:23], v[22:23], v[206:207]
	v_add_f64_e32 v[18:19], v[18:19], v[4:5]
	s_delay_alu instid0(VALU_DEP_2) | instskip(NEXT) | instid1(VALU_DEP_1)
	v_fmac_f64_e32 v[22:23], v[24:25], v[204:205]
	v_add_f64_e32 v[20:21], v[20:21], v[22:23]
.LBB83_106:                             ;   in Loop: Header=BB83_3 Depth=1
	s_or_b32 exec_lo, exec_lo, s40
	s_barrier_signal -1
	s_barrier_wait -1
	s_and_saveexec_b32 s40, s79
	s_cbranch_execz .LBB83_108
; %bb.107:                              ;   in Loop: Header=BB83_3 Depth=1
	ds_load_b128 v[22:25], v2 offset:5808
	s_wait_dscnt 0x0
	v_mul_f64_e32 v[4:5], v[20:21], v[24:25]
	v_mul_f64_e32 v[206:207], v[18:19], v[24:25]
	s_delay_alu instid0(VALU_DEP_2) | instskip(NEXT) | instid1(VALU_DEP_2)
	v_fma_f64 v[204:205], v[18:19], v[22:23], -v[4:5]
	v_fmac_f64_e32 v[206:207], v[20:21], v[22:23]
	s_delay_alu instid0(VALU_DEP_2) | instskip(NEXT) | instid1(VALU_DEP_2)
	v_mov_b64_e32 v[18:19], v[204:205]
	v_mov_b64_e32 v[20:21], v[206:207]
	ds_store_b128 v58, v[204:207]
.LBB83_108:                             ;   in Loop: Header=BB83_3 Depth=1
	;; [unrolled: 37-line block ×6, first 2 shown]
	s_or_b32 exec_lo, exec_lo, s40
	s_wait_dscnt 0x0
	s_barrier_signal -1
	s_barrier_wait -1
	s_barrier_signal -1
	s_barrier_wait -1
	s_and_saveexec_b32 s40, s3
; %bb.125:                              ;   in Loop: Header=BB83_3 Depth=1
	s_delay_alu instid0(VALU_DEP_3) | instskip(NEXT) | instid1(VALU_DEP_2)
	v_xor_b32_e32 v19, 0x80000000, v19
	v_xor_b32_e32 v21, 0x80000000, v21
	ds_store_b128 v59, v[18:21] offset:128
; %bb.126:                              ;   in Loop: Header=BB83_3 Depth=1
	s_or_b32 exec_lo, exec_lo, s40
	s_wait_dscnt 0x0
	s_barrier_signal -1
	s_barrier_wait -1
	s_barrier_signal -1
	s_barrier_wait -1
	s_and_saveexec_b32 s40, s87
	s_cbranch_execz .LBB83_128
; %bb.127:                              ;   in Loop: Header=BB83_3 Depth=1
	ds_load_b128 v[18:21], v61
	s_wait_dscnt 0x0
	ds_store_b128 v154, v[18:21]
	ds_load_b128 v[18:21], v62
	s_wait_dscnt 0x0
	ds_store_b128 v155, v[18:21]
	;; [unrolled: 3-line block ×8, first 2 shown]
.LBB83_128:                             ;   in Loop: Header=BB83_3 Depth=1
	s_or_b32 exec_lo, exec_lo, s40
	s_wait_dscnt 0x0
	s_barrier_signal -1
	s_barrier_wait -1
	s_and_saveexec_b32 s40, s29
	s_cbranch_execz .LBB83_130
; %bb.129:                              ;   in Loop: Header=BB83_3 Depth=1
	ds_load_b128 v[18:21], v2 offset:4752
	ds_load_b128 v[22:25], v2 offset:4224
	s_wait_dscnt 0x0
	v_mul_f64_e32 v[4:5], v[18:19], v[24:25]
	v_mul_f64_e32 v[24:25], v[20:21], v[24:25]
	s_delay_alu instid0(VALU_DEP_2) | instskip(NEXT) | instid1(VALU_DEP_2)
	v_fmac_f64_e32 v[4:5], v[20:21], v[22:23]
	v_fma_f64 v[24:25], v[18:19], v[22:23], -v[24:25]
	ds_load_b128 v[18:21], v2 offset:4240
	s_wait_dscnt 0x0
	v_mul_f64_e32 v[204:205], v[4:5], v[20:21]
	v_mul_f64_e32 v[22:23], v[24:25], v[20:21]
	s_delay_alu instid0(VALU_DEP_2) | instskip(NEXT) | instid1(VALU_DEP_2)
	v_fma_f64 v[20:21], v[18:19], v[24:25], -v[204:205]
	v_fmac_f64_e32 v[22:23], v[18:19], v[4:5]
	ds_store_b128 v2, v[20:23] offset:4240
	ds_store_b128 v2, v[20:23] offset:4736
.LBB83_130:                             ;   in Loop: Header=BB83_3 Depth=1
	s_or_b32 exec_lo, exec_lo, s40
	v_mov_b64_e32 v[20:21], 0
	v_mov_b64_e32 v[18:19], 0
	s_wait_dscnt 0x0
	s_barrier_signal -1
	s_barrier_wait -1
	s_and_saveexec_b32 s40, s0
	s_cbranch_execz .LBB83_134
; %bb.131:                              ;   in Loop: Header=BB83_3 Depth=1
	ds_load_b128 v[18:21], v44 offset:4224
	ds_load_b128 v[22:25], v43 offset:4256
	s_wait_dscnt 0x0
	v_mul_f64_e32 v[4:5], v[20:21], v[24:25]
	v_mul_f64_e32 v[24:25], v[18:19], v[24:25]
	s_delay_alu instid0(VALU_DEP_2) | instskip(NEXT) | instid1(VALU_DEP_2)
	v_fma_f64 v[4:5], v[18:19], v[22:23], -v[4:5]
	v_fmac_f64_e32 v[24:25], v[20:21], v[22:23]
	s_delay_alu instid0(VALU_DEP_2) | instskip(NEXT) | instid1(VALU_DEP_2)
	v_add_f64_e32 v[18:19], 0, v[4:5]
	v_add_f64_e32 v[20:21], 0, v[24:25]
	s_and_saveexec_b32 s41, s10
	s_cbranch_execz .LBB83_133
; %bb.132:                              ;   in Loop: Header=BB83_3 Depth=1
	ds_load_b128 v[22:25], v2 offset:4240
	ds_load_b128 v[204:207], v50 offset:4768
	s_wait_dscnt 0x0
	v_mul_f64_e32 v[4:5], v[24:25], v[206:207]
	s_delay_alu instid0(VALU_DEP_1) | instskip(SKIP_1) | instid1(VALU_DEP_2)
	v_fma_f64 v[4:5], v[22:23], v[204:205], -v[4:5]
	v_mul_f64_e32 v[22:23], v[22:23], v[206:207]
	v_add_f64_e32 v[18:19], v[18:19], v[4:5]
	s_delay_alu instid0(VALU_DEP_2) | instskip(NEXT) | instid1(VALU_DEP_1)
	v_fmac_f64_e32 v[22:23], v[24:25], v[204:205]
	v_add_f64_e32 v[20:21], v[20:21], v[22:23]
.LBB83_133:                             ;   in Loop: Header=BB83_3 Depth=1
	s_or_b32 exec_lo, exec_lo, s41
	s_delay_alu instid0(VALU_DEP_2) | instskip(NEXT) | instid1(VALU_DEP_2)
	v_xor_b32_e32 v19, 0x80000000, v19
	v_xor_b32_e32 v21, 0x80000000, v21
.LBB83_134:                             ;   in Loop: Header=BB83_3 Depth=1
	s_or_b32 exec_lo, exec_lo, s40
	s_and_saveexec_b32 s40, s63
	s_cbranch_execz .LBB83_136
; %bb.135:                              ;   in Loop: Header=BB83_3 Depth=1
	ds_load_b128 v[22:25], v2 offset:5280
	s_wait_dscnt 0x0
	v_mul_f64_e32 v[4:5], v[20:21], v[24:25]
	v_mul_f64_e32 v[206:207], v[18:19], v[24:25]
	s_delay_alu instid0(VALU_DEP_2) | instskip(NEXT) | instid1(VALU_DEP_2)
	v_fma_f64 v[204:205], v[18:19], v[22:23], -v[4:5]
	v_fmac_f64_e32 v[206:207], v[20:21], v[22:23]
	s_delay_alu instid0(VALU_DEP_2) | instskip(NEXT) | instid1(VALU_DEP_2)
	v_mov_b64_e32 v[18:19], v[204:205]
	v_mov_b64_e32 v[20:21], v[206:207]
	ds_store_b128 v27, v[204:207]
.LBB83_136:                             ;   in Loop: Header=BB83_3 Depth=1
	s_or_b32 exec_lo, exec_lo, s40
	s_wait_dscnt 0x0
	s_barrier_signal -1
	s_barrier_wait -1
	s_and_saveexec_b32 s40, s64
	s_cbranch_execz .LBB83_138
; %bb.137:                              ;   in Loop: Header=BB83_3 Depth=1
	ds_load_b128 v[22:25], v27
	ds_load_b128 v[204:207], v2 offset:5296
	s_wait_dscnt 0x0
	v_mul_f64_e32 v[4:5], v[24:25], v[206:207]
	s_delay_alu instid0(VALU_DEP_1) | instskip(SKIP_1) | instid1(VALU_DEP_2)
	v_fma_f64 v[4:5], v[22:23], v[204:205], -v[4:5]
	v_mul_f64_e32 v[22:23], v[22:23], v[206:207]
	v_add_f64_e32 v[18:19], v[18:19], v[4:5]
	s_delay_alu instid0(VALU_DEP_2) | instskip(NEXT) | instid1(VALU_DEP_1)
	v_fmac_f64_e32 v[22:23], v[24:25], v[204:205]
	v_add_f64_e32 v[20:21], v[20:21], v[22:23]
.LBB83_138:                             ;   in Loop: Header=BB83_3 Depth=1
	s_or_b32 exec_lo, exec_lo, s40
	s_barrier_signal -1
	s_barrier_wait -1
	s_and_saveexec_b32 s40, s64
	s_cbranch_execz .LBB83_140
; %bb.139:                              ;   in Loop: Header=BB83_3 Depth=1
	ds_load_b128 v[22:25], v2 offset:5808
	s_wait_dscnt 0x0
	v_mul_f64_e32 v[4:5], v[20:21], v[24:25]
	v_mul_f64_e32 v[206:207], v[18:19], v[24:25]
	s_delay_alu instid0(VALU_DEP_2) | instskip(NEXT) | instid1(VALU_DEP_2)
	v_fma_f64 v[204:205], v[18:19], v[22:23], -v[4:5]
	v_fmac_f64_e32 v[206:207], v[20:21], v[22:23]
	s_delay_alu instid0(VALU_DEP_2) | instskip(NEXT) | instid1(VALU_DEP_2)
	v_mov_b64_e32 v[18:19], v[204:205]
	v_mov_b64_e32 v[20:21], v[206:207]
	ds_store_b128 v27, v[204:207]
.LBB83_140:                             ;   in Loop: Header=BB83_3 Depth=1
	s_or_b32 exec_lo, exec_lo, s40
	s_wait_dscnt 0x0
	s_barrier_signal -1
	s_barrier_wait -1
	s_barrier_signal -1
	s_barrier_wait -1
	s_and_saveexec_b32 s40, s0
; %bb.141:                              ;   in Loop: Header=BB83_3 Depth=1
	s_delay_alu instid0(VALU_DEP_3) | instskip(NEXT) | instid1(VALU_DEP_2)
	v_xor_b32_e32 v19, 0x80000000, v19
	v_xor_b32_e32 v21, 0x80000000, v21
	ds_store_b128 v43, v[18:21] offset:4256
; %bb.142:                              ;   in Loop: Header=BB83_3 Depth=1
	s_or_b32 exec_lo, exec_lo, s40
	s_wait_dscnt 0x0
	s_barrier_signal -1
	s_barrier_wait -1
	s_barrier_signal -1
	s_barrier_wait -1
	s_and_saveexec_b32 s40, s65
	s_cbranch_execz .LBB83_144
; %bb.143:                              ;   in Loop: Header=BB83_3 Depth=1
	ds_load_b128 v[18:21], v84
	s_wait_dscnt 0x0
	ds_store_b128 v162, v[18:21]
	ds_load_b128 v[18:21], v85
	s_wait_dscnt 0x0
	ds_store_b128 v163, v[18:21]
.LBB83_144:                             ;   in Loop: Header=BB83_3 Depth=1
	s_or_b32 exec_lo, exec_lo, s40
	s_wait_dscnt 0x0
	s_barrier_signal -1
	s_barrier_wait -1
	s_and_saveexec_b32 s40, s29
	s_cbranch_execz .LBB83_146
; %bb.145:                              ;   in Loop: Header=BB83_3 Depth=1
	ds_load_b128 v[18:21], v2 offset:5808
	ds_load_b128 v[22:25], v2 offset:5280
	s_wait_dscnt 0x0
	v_mul_f64_e32 v[4:5], v[18:19], v[24:25]
	v_mul_f64_e32 v[24:25], v[20:21], v[24:25]
	s_delay_alu instid0(VALU_DEP_2) | instskip(NEXT) | instid1(VALU_DEP_2)
	v_fmac_f64_e32 v[4:5], v[20:21], v[22:23]
	v_fma_f64 v[24:25], v[18:19], v[22:23], -v[24:25]
	ds_load_b128 v[18:21], v2 offset:5296
	s_wait_dscnt 0x0
	v_mul_f64_e32 v[204:205], v[4:5], v[20:21]
	v_mul_f64_e32 v[22:23], v[24:25], v[20:21]
	s_delay_alu instid0(VALU_DEP_2) | instskip(NEXT) | instid1(VALU_DEP_2)
	v_fma_f64 v[20:21], v[18:19], v[24:25], -v[204:205]
	v_fmac_f64_e32 v[22:23], v[18:19], v[4:5]
	ds_store_b128 v2, v[20:23] offset:5296
	ds_store_b128 v2, v[20:23] offset:5792
.LBB83_146:                             ;   in Loop: Header=BB83_3 Depth=1
	s_or_b32 exec_lo, exec_lo, s40
	v_mov_b64_e32 v[20:21], 0
	v_mov_b64_e32 v[18:19], 0
	s_wait_dscnt 0x0
	s_barrier_signal -1
	s_barrier_wait -1
	s_and_saveexec_b32 s40, s2
	s_cbranch_execz .LBB83_152
; %bb.147:                              ;   in Loop: Header=BB83_3 Depth=1
	ds_load_b128 v[18:21], v46 offset:4224
	ds_load_b128 v[22:25], v52 offset:4288
	s_wait_dscnt 0x0
	v_mul_f64_e32 v[4:5], v[20:21], v[24:25]
	v_mul_f64_e32 v[24:25], v[18:19], v[24:25]
	s_delay_alu instid0(VALU_DEP_2) | instskip(NEXT) | instid1(VALU_DEP_2)
	v_fma_f64 v[4:5], v[18:19], v[22:23], -v[4:5]
	v_fmac_f64_e32 v[24:25], v[20:21], v[22:23]
	s_delay_alu instid0(VALU_DEP_2) | instskip(NEXT) | instid1(VALU_DEP_2)
	v_add_f64_e32 v[18:19], 0, v[4:5]
	v_add_f64_e32 v[20:21], 0, v[24:25]
	s_and_saveexec_b32 s41, s11
	s_cbranch_execnz .LBB83_558
; %bb.148:                              ;   in Loop: Header=BB83_3 Depth=1
	s_or_b32 exec_lo, exec_lo, s41
	s_and_saveexec_b32 s41, s12
	s_cbranch_execnz .LBB83_559
.LBB83_149:                             ;   in Loop: Header=BB83_3 Depth=1
	s_or_b32 exec_lo, exec_lo, s41
	s_and_saveexec_b32 s41, s0
	s_cbranch_execz .LBB83_151
.LBB83_150:                             ;   in Loop: Header=BB83_3 Depth=1
	ds_load_b128 v[22:25], v2 offset:4272
	ds_load_b128 v[204:207], v83 offset:5824
	s_wait_dscnt 0x0
	v_mul_f64_e32 v[4:5], v[24:25], v[206:207]
	s_delay_alu instid0(VALU_DEP_1) | instskip(SKIP_1) | instid1(VALU_DEP_2)
	v_fma_f64 v[4:5], v[22:23], v[204:205], -v[4:5]
	v_mul_f64_e32 v[22:23], v[22:23], v[206:207]
	v_add_f64_e32 v[18:19], v[18:19], v[4:5]
	s_delay_alu instid0(VALU_DEP_2) | instskip(NEXT) | instid1(VALU_DEP_1)
	v_fmac_f64_e32 v[22:23], v[24:25], v[204:205]
	v_add_f64_e32 v[20:21], v[20:21], v[22:23]
.LBB83_151:                             ;   in Loop: Header=BB83_3 Depth=1
	s_or_b32 exec_lo, exec_lo, s41
	s_delay_alu instid0(VALU_DEP_2) | instskip(NEXT) | instid1(VALU_DEP_2)
	v_xor_b32_e32 v19, 0x80000000, v19
	v_xor_b32_e32 v21, 0x80000000, v21
.LBB83_152:                             ;   in Loop: Header=BB83_3 Depth=1
	s_or_b32 exec_lo, exec_lo, s40
	s_and_saveexec_b32 s40, s66
	s_cbranch_execz .LBB83_154
; %bb.153:                              ;   in Loop: Header=BB83_3 Depth=1
	ds_load_b128 v[22:25], v2 offset:6336
	s_wait_dscnt 0x0
	v_mul_f64_e32 v[4:5], v[20:21], v[24:25]
	v_mul_f64_e32 v[206:207], v[18:19], v[24:25]
	s_delay_alu instid0(VALU_DEP_2) | instskip(NEXT) | instid1(VALU_DEP_2)
	v_fma_f64 v[204:205], v[18:19], v[22:23], -v[4:5]
	v_fmac_f64_e32 v[206:207], v[20:21], v[22:23]
	s_delay_alu instid0(VALU_DEP_2) | instskip(NEXT) | instid1(VALU_DEP_2)
	v_mov_b64_e32 v[18:19], v[204:205]
	v_mov_b64_e32 v[20:21], v[206:207]
	ds_store_b128 v51, v[204:207]
.LBB83_154:                             ;   in Loop: Header=BB83_3 Depth=1
	s_or_b32 exec_lo, exec_lo, s40
	s_wait_dscnt 0x0
	s_barrier_signal -1
	s_barrier_wait -1
	s_and_saveexec_b32 s40, s67
	s_cbranch_execz .LBB83_156
; %bb.155:                              ;   in Loop: Header=BB83_3 Depth=1
	ds_load_b128 v[22:25], v51
	ds_load_b128 v[204:207], v49 offset:6336
	s_wait_dscnt 0x0
	v_mul_f64_e32 v[4:5], v[24:25], v[206:207]
	s_delay_alu instid0(VALU_DEP_1) | instskip(SKIP_1) | instid1(VALU_DEP_2)
	v_fma_f64 v[4:5], v[22:23], v[204:205], -v[4:5]
	v_mul_f64_e32 v[22:23], v[22:23], v[206:207]
	v_add_f64_e32 v[18:19], v[18:19], v[4:5]
	s_delay_alu instid0(VALU_DEP_2) | instskip(NEXT) | instid1(VALU_DEP_1)
	v_fmac_f64_e32 v[22:23], v[24:25], v[204:205]
	v_add_f64_e32 v[20:21], v[20:21], v[22:23]
.LBB83_156:                             ;   in Loop: Header=BB83_3 Depth=1
	s_or_b32 exec_lo, exec_lo, s40
	s_barrier_signal -1
	s_barrier_wait -1
	s_and_saveexec_b32 s40, s68
	s_cbranch_execz .LBB83_158
; %bb.157:                              ;   in Loop: Header=BB83_3 Depth=1
	ds_load_b128 v[22:25], v2 offset:6864
	s_wait_dscnt 0x0
	v_mul_f64_e32 v[4:5], v[20:21], v[24:25]
	v_mul_f64_e32 v[206:207], v[18:19], v[24:25]
	s_delay_alu instid0(VALU_DEP_2) | instskip(NEXT) | instid1(VALU_DEP_2)
	v_fma_f64 v[204:205], v[18:19], v[22:23], -v[4:5]
	v_fmac_f64_e32 v[206:207], v[20:21], v[22:23]
	s_delay_alu instid0(VALU_DEP_2) | instskip(NEXT) | instid1(VALU_DEP_2)
	v_mov_b64_e32 v[18:19], v[204:205]
	v_mov_b64_e32 v[20:21], v[206:207]
	ds_store_b128 v51, v[204:207]
.LBB83_158:                             ;   in Loop: Header=BB83_3 Depth=1
	s_or_b32 exec_lo, exec_lo, s40
	s_wait_dscnt 0x0
	s_barrier_signal -1
	s_barrier_wait -1
	s_and_saveexec_b32 s40, s69
	s_cbranch_execz .LBB83_160
; %bb.159:                              ;   in Loop: Header=BB83_3 Depth=1
	ds_load_b128 v[22:25], v51
	ds_load_b128 v[204:207], v49 offset:6848
	s_wait_dscnt 0x0
	v_mul_f64_e32 v[4:5], v[24:25], v[206:207]
	s_delay_alu instid0(VALU_DEP_1) | instskip(SKIP_1) | instid1(VALU_DEP_2)
	v_fma_f64 v[4:5], v[22:23], v[204:205], -v[4:5]
	v_mul_f64_e32 v[22:23], v[22:23], v[206:207]
	v_add_f64_e32 v[18:19], v[18:19], v[4:5]
	s_delay_alu instid0(VALU_DEP_2) | instskip(NEXT) | instid1(VALU_DEP_1)
	v_fmac_f64_e32 v[22:23], v[24:25], v[204:205]
	v_add_f64_e32 v[20:21], v[20:21], v[22:23]
.LBB83_160:                             ;   in Loop: Header=BB83_3 Depth=1
	s_or_b32 exec_lo, exec_lo, s40
	s_barrier_signal -1
	s_barrier_wait -1
	;; [unrolled: 37-line block ×3, first 2 shown]
	s_and_saveexec_b32 s40, s71
	s_cbranch_execz .LBB83_166
; %bb.165:                              ;   in Loop: Header=BB83_3 Depth=1
	ds_load_b128 v[22:25], v2 offset:7920
	s_wait_dscnt 0x0
	v_mul_f64_e32 v[4:5], v[20:21], v[24:25]
	v_mul_f64_e32 v[206:207], v[18:19], v[24:25]
	s_delay_alu instid0(VALU_DEP_2) | instskip(NEXT) | instid1(VALU_DEP_2)
	v_fma_f64 v[204:205], v[18:19], v[22:23], -v[4:5]
	v_fmac_f64_e32 v[206:207], v[20:21], v[22:23]
	s_delay_alu instid0(VALU_DEP_2) | instskip(NEXT) | instid1(VALU_DEP_2)
	v_mov_b64_e32 v[18:19], v[204:205]
	v_mov_b64_e32 v[20:21], v[206:207]
	ds_store_b128 v51, v[204:207]
.LBB83_166:                             ;   in Loop: Header=BB83_3 Depth=1
	s_or_b32 exec_lo, exec_lo, s40
	s_wait_dscnt 0x0
	s_barrier_signal -1
	s_barrier_wait -1
	s_barrier_signal -1
	s_barrier_wait -1
	s_and_saveexec_b32 s40, s2
; %bb.167:                              ;   in Loop: Header=BB83_3 Depth=1
	s_delay_alu instid0(VALU_DEP_1) | instskip(NEXT) | instid1(VALU_DEP_4)
	v_xor_b32_e32 v21, 0x80000000, v21
	v_xor_b32_e32 v19, 0x80000000, v19
	ds_store_b128 v52, v[18:21] offset:4288
; %bb.168:                              ;   in Loop: Header=BB83_3 Depth=1
	s_or_b32 exec_lo, exec_lo, s40
	s_wait_dscnt 0x0
	s_barrier_signal -1
	s_barrier_wait -1
	s_barrier_signal -1
	s_barrier_wait -1
	s_and_saveexec_b32 s40, s72
	s_cbranch_execz .LBB83_170
; %bb.169:                              ;   in Loop: Header=BB83_3 Depth=1
	ds_load_b128 v[18:21], v95
	s_wait_dscnt 0x0
	ds_store_b128 v165, v[18:21]
	ds_load_b128 v[18:21], v98
	s_wait_dscnt 0x0
	ds_store_b128 v168, v[18:21]
	;; [unrolled: 3-line block ×4, first 2 shown]
.LBB83_170:                             ;   in Loop: Header=BB83_3 Depth=1
	s_or_b32 exec_lo, exec_lo, s40
	s_wait_dscnt 0x0
	s_barrier_signal -1
	s_barrier_wait -1
	s_and_saveexec_b32 s40, s29
	s_cbranch_execz .LBB83_172
; %bb.171:                              ;   in Loop: Header=BB83_3 Depth=1
	ds_load_b128 v[18:21], v2 offset:6864
	ds_load_b128 v[22:25], v2 offset:6336
	s_wait_dscnt 0x0
	v_mul_f64_e32 v[4:5], v[18:19], v[24:25]
	v_mul_f64_e32 v[24:25], v[20:21], v[24:25]
	s_delay_alu instid0(VALU_DEP_2) | instskip(NEXT) | instid1(VALU_DEP_2)
	v_fmac_f64_e32 v[4:5], v[20:21], v[22:23]
	v_fma_f64 v[24:25], v[18:19], v[22:23], -v[24:25]
	ds_load_b128 v[18:21], v2 offset:6352
	s_wait_dscnt 0x0
	v_mul_f64_e32 v[204:205], v[4:5], v[20:21]
	v_mul_f64_e32 v[22:23], v[24:25], v[20:21]
	s_delay_alu instid0(VALU_DEP_2) | instskip(NEXT) | instid1(VALU_DEP_2)
	v_fma_f64 v[20:21], v[18:19], v[24:25], -v[204:205]
	v_fmac_f64_e32 v[22:23], v[18:19], v[4:5]
	ds_store_b128 v2, v[20:23] offset:6352
	ds_store_b128 v2, v[20:23] offset:6848
.LBB83_172:                             ;   in Loop: Header=BB83_3 Depth=1
	s_or_b32 exec_lo, exec_lo, s40
	v_mov_b64_e32 v[20:21], 0
	v_mov_b64_e32 v[18:19], 0
	s_wait_dscnt 0x0
	s_barrier_signal -1
	s_barrier_wait -1
	s_and_saveexec_b32 s40, s0
	s_cbranch_execz .LBB83_176
; %bb.173:                              ;   in Loop: Header=BB83_3 Depth=1
	ds_load_b128 v[18:21], v44 offset:6336
	ds_load_b128 v[22:25], v43 offset:6368
	s_wait_dscnt 0x0
	v_mul_f64_e32 v[4:5], v[20:21], v[24:25]
	v_mul_f64_e32 v[24:25], v[18:19], v[24:25]
	s_delay_alu instid0(VALU_DEP_2) | instskip(NEXT) | instid1(VALU_DEP_2)
	v_fma_f64 v[4:5], v[18:19], v[22:23], -v[4:5]
	v_fmac_f64_e32 v[24:25], v[20:21], v[22:23]
	s_delay_alu instid0(VALU_DEP_2) | instskip(NEXT) | instid1(VALU_DEP_2)
	v_add_f64_e32 v[18:19], 0, v[4:5]
	v_add_f64_e32 v[20:21], 0, v[24:25]
	s_and_saveexec_b32 s41, s10
	s_cbranch_execz .LBB83_175
; %bb.174:                              ;   in Loop: Header=BB83_3 Depth=1
	ds_load_b128 v[22:25], v2 offset:6352
	ds_load_b128 v[204:207], v94 offset:6880
	s_wait_dscnt 0x0
	v_mul_f64_e32 v[4:5], v[24:25], v[206:207]
	s_delay_alu instid0(VALU_DEP_1) | instskip(SKIP_1) | instid1(VALU_DEP_2)
	v_fma_f64 v[4:5], v[22:23], v[204:205], -v[4:5]
	v_mul_f64_e32 v[22:23], v[22:23], v[206:207]
	v_add_f64_e32 v[18:19], v[18:19], v[4:5]
	s_delay_alu instid0(VALU_DEP_2) | instskip(NEXT) | instid1(VALU_DEP_1)
	v_fmac_f64_e32 v[22:23], v[24:25], v[204:205]
	v_add_f64_e32 v[20:21], v[20:21], v[22:23]
.LBB83_175:                             ;   in Loop: Header=BB83_3 Depth=1
	s_or_b32 exec_lo, exec_lo, s41
	s_delay_alu instid0(VALU_DEP_2) | instskip(NEXT) | instid1(VALU_DEP_2)
	v_xor_b32_e32 v19, 0x80000000, v19
	v_xor_b32_e32 v21, 0x80000000, v21
.LBB83_176:                             ;   in Loop: Header=BB83_3 Depth=1
	s_or_b32 exec_lo, exec_lo, s40
	s_and_saveexec_b32 s40, s63
	s_cbranch_execz .LBB83_178
; %bb.177:                              ;   in Loop: Header=BB83_3 Depth=1
	ds_load_b128 v[22:25], v2 offset:7392
	s_wait_dscnt 0x0
	v_mul_f64_e32 v[4:5], v[20:21], v[24:25]
	v_mul_f64_e32 v[206:207], v[18:19], v[24:25]
	s_delay_alu instid0(VALU_DEP_2) | instskip(NEXT) | instid1(VALU_DEP_2)
	v_fma_f64 v[204:205], v[18:19], v[22:23], -v[4:5]
	v_fmac_f64_e32 v[206:207], v[20:21], v[22:23]
	s_delay_alu instid0(VALU_DEP_2) | instskip(NEXT) | instid1(VALU_DEP_2)
	v_mov_b64_e32 v[18:19], v[204:205]
	v_mov_b64_e32 v[20:21], v[206:207]
	ds_store_b128 v27, v[204:207]
.LBB83_178:                             ;   in Loop: Header=BB83_3 Depth=1
	s_or_b32 exec_lo, exec_lo, s40
	s_wait_dscnt 0x0
	s_barrier_signal -1
	s_barrier_wait -1
	s_and_saveexec_b32 s40, s64
	s_cbranch_execz .LBB83_180
; %bb.179:                              ;   in Loop: Header=BB83_3 Depth=1
	ds_load_b128 v[22:25], v27
	ds_load_b128 v[204:207], v2 offset:7408
	s_wait_dscnt 0x0
	v_mul_f64_e32 v[4:5], v[24:25], v[206:207]
	s_delay_alu instid0(VALU_DEP_1) | instskip(SKIP_1) | instid1(VALU_DEP_2)
	v_fma_f64 v[4:5], v[22:23], v[204:205], -v[4:5]
	v_mul_f64_e32 v[22:23], v[22:23], v[206:207]
	v_add_f64_e32 v[18:19], v[18:19], v[4:5]
	s_delay_alu instid0(VALU_DEP_2) | instskip(NEXT) | instid1(VALU_DEP_1)
	v_fmac_f64_e32 v[22:23], v[24:25], v[204:205]
	v_add_f64_e32 v[20:21], v[20:21], v[22:23]
.LBB83_180:                             ;   in Loop: Header=BB83_3 Depth=1
	s_or_b32 exec_lo, exec_lo, s40
	s_barrier_signal -1
	s_barrier_wait -1
	s_and_saveexec_b32 s40, s64
	s_cbranch_execz .LBB83_182
; %bb.181:                              ;   in Loop: Header=BB83_3 Depth=1
	ds_load_b128 v[22:25], v2 offset:7920
	s_wait_dscnt 0x0
	v_mul_f64_e32 v[4:5], v[20:21], v[24:25]
	v_mul_f64_e32 v[206:207], v[18:19], v[24:25]
	s_delay_alu instid0(VALU_DEP_2) | instskip(NEXT) | instid1(VALU_DEP_2)
	v_fma_f64 v[204:205], v[18:19], v[22:23], -v[4:5]
	v_fmac_f64_e32 v[206:207], v[20:21], v[22:23]
	s_delay_alu instid0(VALU_DEP_2) | instskip(NEXT) | instid1(VALU_DEP_2)
	v_mov_b64_e32 v[18:19], v[204:205]
	v_mov_b64_e32 v[20:21], v[206:207]
	ds_store_b128 v27, v[204:207]
.LBB83_182:                             ;   in Loop: Header=BB83_3 Depth=1
	s_or_b32 exec_lo, exec_lo, s40
	s_wait_dscnt 0x0
	s_barrier_signal -1
	s_barrier_wait -1
	s_barrier_signal -1
	s_barrier_wait -1
	s_and_saveexec_b32 s40, s0
; %bb.183:                              ;   in Loop: Header=BB83_3 Depth=1
	s_delay_alu instid0(VALU_DEP_3) | instskip(NEXT) | instid1(VALU_DEP_2)
	v_xor_b32_e32 v19, 0x80000000, v19
	v_xor_b32_e32 v21, 0x80000000, v21
	ds_store_b128 v43, v[18:21] offset:6368
; %bb.184:                              ;   in Loop: Header=BB83_3 Depth=1
	s_or_b32 exec_lo, exec_lo, s40
	s_wait_dscnt 0x0
	s_barrier_signal -1
	s_barrier_wait -1
	s_barrier_signal -1
	s_barrier_wait -1
	s_and_saveexec_b32 s40, s65
	s_cbranch_execz .LBB83_186
; %bb.185:                              ;   in Loop: Header=BB83_3 Depth=1
	ds_load_b128 v[18:21], v105
	s_wait_dscnt 0x0
	ds_store_b128 v109, v[18:21]
	ds_load_b128 v[18:21], v106
	s_wait_dscnt 0x0
	ds_store_b128 v110, v[18:21]
.LBB83_186:                             ;   in Loop: Header=BB83_3 Depth=1
	s_or_b32 exec_lo, exec_lo, s40
	s_wait_dscnt 0x0
	s_barrier_signal -1
	s_barrier_wait -1
	s_and_saveexec_b32 s40, s29
	s_cbranch_execz .LBB83_188
; %bb.187:                              ;   in Loop: Header=BB83_3 Depth=1
	ds_load_b128 v[18:21], v2 offset:7920
	ds_load_b128 v[22:25], v2 offset:7392
	s_wait_dscnt 0x0
	v_mul_f64_e32 v[4:5], v[18:19], v[24:25]
	v_mul_f64_e32 v[24:25], v[20:21], v[24:25]
	s_delay_alu instid0(VALU_DEP_2) | instskip(NEXT) | instid1(VALU_DEP_2)
	v_fmac_f64_e32 v[4:5], v[20:21], v[22:23]
	v_fma_f64 v[24:25], v[18:19], v[22:23], -v[24:25]
	ds_load_b128 v[18:21], v2 offset:7408
	s_wait_dscnt 0x0
	v_mul_f64_e32 v[204:205], v[4:5], v[20:21]
	v_mul_f64_e32 v[22:23], v[24:25], v[20:21]
	s_delay_alu instid0(VALU_DEP_2) | instskip(NEXT) | instid1(VALU_DEP_2)
	v_fma_f64 v[20:21], v[18:19], v[24:25], -v[204:205]
	v_fmac_f64_e32 v[22:23], v[18:19], v[4:5]
	ds_store_b128 v2, v[20:23] offset:7408
	ds_store_b128 v2, v[20:23] offset:7904
.LBB83_188:                             ;   in Loop: Header=BB83_3 Depth=1
	s_or_b32 exec_lo, exec_lo, s40
	v_mov_b64_e32 v[20:21], 0
	v_mov_b64_e32 v[18:19], 0
	s_wait_dscnt 0x0
	s_barrier_signal -1
	s_barrier_wait -1
	s_and_saveexec_b32 s40, s4
	s_cbranch_execz .LBB83_216
; %bb.189:                              ;   in Loop: Header=BB83_3 Depth=1
	v_add_nc_u32_e32 v3, v69, v164
	ds_load_b128 v[18:21], v3
	ds_load_b128 v[22:25], v170 offset:256
	s_wait_dscnt 0x0
	v_mul_f64_e32 v[4:5], v[20:21], v[24:25]
	v_mul_f64_e32 v[24:25], v[18:19], v[24:25]
	s_delay_alu instid0(VALU_DEP_2) | instskip(NEXT) | instid1(VALU_DEP_2)
	v_fma_f64 v[4:5], v[18:19], v[22:23], -v[4:5]
	v_fmac_f64_e32 v[24:25], v[20:21], v[22:23]
	s_delay_alu instid0(VALU_DEP_2) | instskip(NEXT) | instid1(VALU_DEP_2)
	v_add_f64_e32 v[18:19], 0, v[4:5]
	v_add_f64_e32 v[20:21], 0, v[24:25]
	s_mov_b32 s41, exec_lo
	v_readlane_b32 s46, v203, 17
	s_and_b32 s46, s41, s46
	s_delay_alu instid0(SALU_CYCLE_1)
	s_mov_b32 exec_lo, s46
	s_cbranch_execz .LBB83_191
; %bb.190:                              ;   in Loop: Header=BB83_3 Depth=1
	ds_load_b128 v[22:25], v3 offset:16
	ds_load_b128 v[204:207], v170 offset:768
	s_wait_dscnt 0x0
	v_mul_f64_e32 v[4:5], v[24:25], v[206:207]
	s_delay_alu instid0(VALU_DEP_1) | instskip(SKIP_1) | instid1(VALU_DEP_2)
	v_fma_f64 v[4:5], v[22:23], v[204:205], -v[4:5]
	v_mul_f64_e32 v[22:23], v[22:23], v[206:207]
	v_add_f64_e32 v[18:19], v[18:19], v[4:5]
	s_delay_alu instid0(VALU_DEP_2) | instskip(NEXT) | instid1(VALU_DEP_1)
	v_fmac_f64_e32 v[22:23], v[24:25], v[204:205]
	v_add_f64_e32 v[20:21], v[20:21], v[22:23]
.LBB83_191:                             ;   in Loop: Header=BB83_3 Depth=1
	s_or_b32 exec_lo, exec_lo, s41
	s_delay_alu instid0(SALU_CYCLE_1) | instskip(SKIP_2) | instid1(SALU_CYCLE_1)
	s_mov_b32 s41, exec_lo
	v_readlane_b32 s46, v203, 18
	s_and_b32 s46, s41, s46
	s_mov_b32 exec_lo, s46
	s_cbranch_execz .LBB83_193
; %bb.192:                              ;   in Loop: Header=BB83_3 Depth=1
	ds_load_b128 v[22:25], v3 offset:32
	ds_load_b128 v[204:207], v170 offset:1280
	s_wait_dscnt 0x0
	v_mul_f64_e32 v[4:5], v[24:25], v[206:207]
	s_delay_alu instid0(VALU_DEP_1) | instskip(SKIP_1) | instid1(VALU_DEP_2)
	v_fma_f64 v[4:5], v[22:23], v[204:205], -v[4:5]
	v_mul_f64_e32 v[22:23], v[22:23], v[206:207]
	v_add_f64_e32 v[18:19], v[18:19], v[4:5]
	s_delay_alu instid0(VALU_DEP_2) | instskip(NEXT) | instid1(VALU_DEP_1)
	v_fmac_f64_e32 v[22:23], v[24:25], v[204:205]
	v_add_f64_e32 v[20:21], v[20:21], v[22:23]
.LBB83_193:                             ;   in Loop: Header=BB83_3 Depth=1
	s_or_b32 exec_lo, exec_lo, s41
	s_delay_alu instid0(SALU_CYCLE_1) | instskip(SKIP_2) | instid1(SALU_CYCLE_1)
	s_mov_b32 s41, exec_lo
	v_readlane_b32 s46, v203, 19
	s_and_b32 s46, s41, s46
	s_mov_b32 exec_lo, s46
	s_cbranch_execz .LBB83_195
; %bb.194:                              ;   in Loop: Header=BB83_3 Depth=1
	ds_load_b128 v[22:25], v3 offset:48
	ds_load_b128 v[204:207], v170 offset:1792
	s_wait_dscnt 0x0
	v_mul_f64_e32 v[4:5], v[24:25], v[206:207]
	s_delay_alu instid0(VALU_DEP_1) | instskip(SKIP_1) | instid1(VALU_DEP_2)
	v_fma_f64 v[4:5], v[22:23], v[204:205], -v[4:5]
	v_mul_f64_e32 v[22:23], v[22:23], v[206:207]
	v_add_f64_e32 v[18:19], v[18:19], v[4:5]
	s_delay_alu instid0(VALU_DEP_2) | instskip(NEXT) | instid1(VALU_DEP_1)
	v_fmac_f64_e32 v[22:23], v[24:25], v[204:205]
	v_add_f64_e32 v[20:21], v[20:21], v[22:23]
.LBB83_195:                             ;   in Loop: Header=BB83_3 Depth=1
	s_or_b32 exec_lo, exec_lo, s41
	s_delay_alu instid0(SALU_CYCLE_1) | instskip(SKIP_2) | instid1(SALU_CYCLE_1)
	s_mov_b32 s41, exec_lo
	v_readlane_b32 s46, v203, 20
	s_and_b32 s46, s41, s46
	s_mov_b32 exec_lo, s46
	s_cbranch_execz .LBB83_197
; %bb.196:                              ;   in Loop: Header=BB83_3 Depth=1
	ds_load_b128 v[22:25], v3 offset:64
	ds_load_b128 v[204:207], v170 offset:2304
	s_wait_dscnt 0x0
	v_mul_f64_e32 v[4:5], v[24:25], v[206:207]
	s_delay_alu instid0(VALU_DEP_1) | instskip(SKIP_1) | instid1(VALU_DEP_2)
	v_fma_f64 v[4:5], v[22:23], v[204:205], -v[4:5]
	v_mul_f64_e32 v[22:23], v[22:23], v[206:207]
	v_add_f64_e32 v[18:19], v[18:19], v[4:5]
	s_delay_alu instid0(VALU_DEP_2) | instskip(NEXT) | instid1(VALU_DEP_1)
	v_fmac_f64_e32 v[22:23], v[24:25], v[204:205]
	v_add_f64_e32 v[20:21], v[20:21], v[22:23]
.LBB83_197:                             ;   in Loop: Header=BB83_3 Depth=1
	s_or_b32 exec_lo, exec_lo, s41
	s_delay_alu instid0(SALU_CYCLE_1) | instskip(SKIP_2) | instid1(SALU_CYCLE_1)
	s_mov_b32 s41, exec_lo
	v_readlane_b32 s46, v203, 21
	s_and_b32 s46, s41, s46
	s_mov_b32 exec_lo, s46
	s_cbranch_execz .LBB83_199
; %bb.198:                              ;   in Loop: Header=BB83_3 Depth=1
	ds_load_b128 v[22:25], v3 offset:80
	ds_load_b128 v[204:207], v170 offset:2816
	s_wait_dscnt 0x0
	v_mul_f64_e32 v[4:5], v[24:25], v[206:207]
	s_delay_alu instid0(VALU_DEP_1) | instskip(SKIP_1) | instid1(VALU_DEP_2)
	v_fma_f64 v[4:5], v[22:23], v[204:205], -v[4:5]
	v_mul_f64_e32 v[22:23], v[22:23], v[206:207]
	v_add_f64_e32 v[18:19], v[18:19], v[4:5]
	s_delay_alu instid0(VALU_DEP_2) | instskip(NEXT) | instid1(VALU_DEP_1)
	v_fmac_f64_e32 v[22:23], v[24:25], v[204:205]
	v_add_f64_e32 v[20:21], v[20:21], v[22:23]
.LBB83_199:                             ;   in Loop: Header=BB83_3 Depth=1
	s_or_b32 exec_lo, exec_lo, s41
	s_delay_alu instid0(SALU_CYCLE_1) | instskip(SKIP_2) | instid1(SALU_CYCLE_1)
	s_mov_b32 s41, exec_lo
	v_readlane_b32 s46, v203, 22
	s_and_b32 s46, s41, s46
	s_mov_b32 exec_lo, s46
	s_cbranch_execz .LBB83_201
; %bb.200:                              ;   in Loop: Header=BB83_3 Depth=1
	ds_load_b128 v[22:25], v3 offset:96
	ds_load_b128 v[204:207], v170 offset:3328
	s_wait_dscnt 0x0
	v_mul_f64_e32 v[4:5], v[24:25], v[206:207]
	s_delay_alu instid0(VALU_DEP_1) | instskip(SKIP_1) | instid1(VALU_DEP_2)
	v_fma_f64 v[4:5], v[22:23], v[204:205], -v[4:5]
	v_mul_f64_e32 v[22:23], v[22:23], v[206:207]
	v_add_f64_e32 v[18:19], v[18:19], v[4:5]
	s_delay_alu instid0(VALU_DEP_2) | instskip(NEXT) | instid1(VALU_DEP_1)
	v_fmac_f64_e32 v[22:23], v[24:25], v[204:205]
	v_add_f64_e32 v[20:21], v[20:21], v[22:23]
.LBB83_201:                             ;   in Loop: Header=BB83_3 Depth=1
	s_or_b32 exec_lo, exec_lo, s41
	s_delay_alu instid0(SALU_CYCLE_1) | instskip(SKIP_2) | instid1(SALU_CYCLE_1)
	s_mov_b32 s41, exec_lo
	v_readlane_b32 s46, v203, 23
	s_and_b32 s46, s41, s46
	s_mov_b32 exec_lo, s46
	s_cbranch_execz .LBB83_203
; %bb.202:                              ;   in Loop: Header=BB83_3 Depth=1
	ds_load_b128 v[22:25], v3 offset:112
	ds_load_b128 v[204:207], v170 offset:3840
	s_wait_dscnt 0x0
	v_mul_f64_e32 v[4:5], v[24:25], v[206:207]
	s_delay_alu instid0(VALU_DEP_1) | instskip(SKIP_1) | instid1(VALU_DEP_2)
	v_fma_f64 v[4:5], v[22:23], v[204:205], -v[4:5]
	v_mul_f64_e32 v[22:23], v[22:23], v[206:207]
	v_add_f64_e32 v[18:19], v[18:19], v[4:5]
	s_delay_alu instid0(VALU_DEP_2) | instskip(NEXT) | instid1(VALU_DEP_1)
	v_fmac_f64_e32 v[22:23], v[24:25], v[204:205]
	v_add_f64_e32 v[20:21], v[20:21], v[22:23]
.LBB83_203:                             ;   in Loop: Header=BB83_3 Depth=1
	s_or_b32 exec_lo, exec_lo, s41
	s_delay_alu instid0(SALU_CYCLE_1) | instskip(SKIP_2) | instid1(SALU_CYCLE_1)
	s_mov_b32 s41, exec_lo
	v_readlane_b32 s46, v203, 24
	s_and_b32 s46, s41, s46
	s_mov_b32 exec_lo, s46
	s_cbranch_execz .LBB83_205
; %bb.204:                              ;   in Loop: Header=BB83_3 Depth=1
	ds_load_b128 v[22:25], v3 offset:128
	ds_load_b128 v[204:207], v170 offset:4352
	s_wait_dscnt 0x0
	v_mul_f64_e32 v[4:5], v[24:25], v[206:207]
	s_delay_alu instid0(VALU_DEP_1) | instskip(SKIP_1) | instid1(VALU_DEP_2)
	v_fma_f64 v[4:5], v[22:23], v[204:205], -v[4:5]
	v_mul_f64_e32 v[22:23], v[22:23], v[206:207]
	v_add_f64_e32 v[18:19], v[18:19], v[4:5]
	s_delay_alu instid0(VALU_DEP_2) | instskip(NEXT) | instid1(VALU_DEP_1)
	v_fmac_f64_e32 v[22:23], v[24:25], v[204:205]
	v_add_f64_e32 v[20:21], v[20:21], v[22:23]
.LBB83_205:                             ;   in Loop: Header=BB83_3 Depth=1
	s_or_b32 exec_lo, exec_lo, s41
	s_delay_alu instid0(SALU_CYCLE_1) | instskip(SKIP_2) | instid1(SALU_CYCLE_1)
	s_mov_b32 s41, exec_lo
	v_readlane_b32 s46, v203, 25
	s_and_b32 s46, s41, s46
	s_mov_b32 exec_lo, s46
	s_cbranch_execz .LBB83_207
; %bb.206:                              ;   in Loop: Header=BB83_3 Depth=1
	ds_load_b128 v[22:25], v3 offset:144
	ds_load_b128 v[204:207], v170 offset:4864
	s_wait_dscnt 0x0
	v_mul_f64_e32 v[4:5], v[24:25], v[206:207]
	s_delay_alu instid0(VALU_DEP_1) | instskip(SKIP_1) | instid1(VALU_DEP_2)
	v_fma_f64 v[4:5], v[22:23], v[204:205], -v[4:5]
	v_mul_f64_e32 v[22:23], v[22:23], v[206:207]
	v_add_f64_e32 v[18:19], v[18:19], v[4:5]
	s_delay_alu instid0(VALU_DEP_2) | instskip(NEXT) | instid1(VALU_DEP_1)
	v_fmac_f64_e32 v[22:23], v[24:25], v[204:205]
	v_add_f64_e32 v[20:21], v[20:21], v[22:23]
.LBB83_207:                             ;   in Loop: Header=BB83_3 Depth=1
	s_or_b32 exec_lo, exec_lo, s41
	s_delay_alu instid0(SALU_CYCLE_1) | instskip(SKIP_2) | instid1(SALU_CYCLE_1)
	s_mov_b32 s41, exec_lo
	v_readlane_b32 s46, v203, 26
	s_and_b32 s46, s41, s46
	s_mov_b32 exec_lo, s46
	s_cbranch_execz .LBB83_209
; %bb.208:                              ;   in Loop: Header=BB83_3 Depth=1
	ds_load_b128 v[22:25], v3 offset:160
	ds_load_b128 v[204:207], v170 offset:5376
	s_wait_dscnt 0x0
	v_mul_f64_e32 v[4:5], v[24:25], v[206:207]
	s_delay_alu instid0(VALU_DEP_1) | instskip(SKIP_1) | instid1(VALU_DEP_2)
	v_fma_f64 v[4:5], v[22:23], v[204:205], -v[4:5]
	v_mul_f64_e32 v[22:23], v[22:23], v[206:207]
	v_add_f64_e32 v[18:19], v[18:19], v[4:5]
	s_delay_alu instid0(VALU_DEP_2) | instskip(NEXT) | instid1(VALU_DEP_1)
	v_fmac_f64_e32 v[22:23], v[24:25], v[204:205]
	v_add_f64_e32 v[20:21], v[20:21], v[22:23]
.LBB83_209:                             ;   in Loop: Header=BB83_3 Depth=1
	s_or_b32 exec_lo, exec_lo, s41
	s_delay_alu instid0(SALU_CYCLE_1) | instskip(SKIP_2) | instid1(SALU_CYCLE_1)
	s_mov_b32 s41, exec_lo
	v_readlane_b32 s46, v203, 27
	s_and_b32 s46, s41, s46
	s_mov_b32 exec_lo, s46
	s_cbranch_execnz .LBB83_560
; %bb.210:                              ;   in Loop: Header=BB83_3 Depth=1
	s_or_b32 exec_lo, exec_lo, s41
	s_and_saveexec_b32 s41, s3
	s_cbranch_execnz .LBB83_561
.LBB83_211:                             ;   in Loop: Header=BB83_3 Depth=1
	s_or_b32 exec_lo, exec_lo, s41
	s_and_saveexec_b32 s41, s14
	s_cbranch_execnz .LBB83_562
.LBB83_212:                             ;   in Loop: Header=BB83_3 Depth=1
	s_or_b32 exec_lo, exec_lo, s41
	s_and_saveexec_b32 s41, s16
	s_cbranch_execnz .LBB83_563
.LBB83_213:                             ;   in Loop: Header=BB83_3 Depth=1
	s_or_b32 exec_lo, exec_lo, s41
	s_and_saveexec_b32 s41, s2
	s_cbranch_execz .LBB83_215
.LBB83_214:                             ;   in Loop: Header=BB83_3 Depth=1
	ds_load_b128 v[22:25], v2 offset:240
	ds_load_b128 v[204:207], v45 offset:7936
	s_wait_dscnt 0x0
	v_mul_f64_e32 v[4:5], v[24:25], v[206:207]
	s_delay_alu instid0(VALU_DEP_1) | instskip(SKIP_1) | instid1(VALU_DEP_2)
	v_fma_f64 v[4:5], v[22:23], v[204:205], -v[4:5]
	v_mul_f64_e32 v[22:23], v[22:23], v[206:207]
	v_add_f64_e32 v[18:19], v[18:19], v[4:5]
	s_delay_alu instid0(VALU_DEP_2) | instskip(NEXT) | instid1(VALU_DEP_1)
	v_fmac_f64_e32 v[22:23], v[24:25], v[204:205]
	v_add_f64_e32 v[20:21], v[20:21], v[22:23]
.LBB83_215:                             ;   in Loop: Header=BB83_3 Depth=1
	s_or_b32 exec_lo, exec_lo, s41
	s_delay_alu instid0(VALU_DEP_3) | instskip(NEXT) | instid1(VALU_DEP_2)
	v_xor_b32_e32 v19, 0x80000000, v19
	v_xor_b32_e32 v21, 0x80000000, v21
.LBB83_216:                             ;   in Loop: Header=BB83_3 Depth=1
	s_or_b32 exec_lo, exec_lo, s40
	s_delay_alu instid0(SALU_CYCLE_1) | instskip(SKIP_2) | instid1(SALU_CYCLE_1)
	s_mov_b32 s40, exec_lo
	v_readlane_b32 s41, v203, 0
	s_and_b32 s41, s40, s41
	s_mov_b32 exec_lo, s41
	s_cbranch_execz .LBB83_218
; %bb.217:                              ;   in Loop: Header=BB83_3 Depth=1
	ds_load_b128 v[22:25], v2 offset:8448
	s_wait_dscnt 0x0
	v_mul_f64_e32 v[4:5], v[20:21], v[24:25]
	v_mul_f64_e32 v[206:207], v[18:19], v[24:25]
	s_delay_alu instid0(VALU_DEP_2) | instskip(NEXT) | instid1(VALU_DEP_2)
	v_fma_f64 v[204:205], v[18:19], v[22:23], -v[4:5]
	v_fmac_f64_e32 v[206:207], v[20:21], v[22:23]
	s_delay_alu instid0(VALU_DEP_2) | instskip(NEXT) | instid1(VALU_DEP_2)
	v_mov_b64_e32 v[18:19], v[204:205]
	v_mov_b64_e32 v[20:21], v[206:207]
	ds_store_b128 v169, v[204:207]
.LBB83_218:                             ;   in Loop: Header=BB83_3 Depth=1
	s_or_b32 exec_lo, exec_lo, s40
	s_wait_dscnt 0x0
	s_barrier_signal -1
	s_barrier_wait -1
	s_mov_b32 s40, exec_lo
	v_readlane_b32 s41, v203, 1
	s_and_b32 s41, s40, s41
	s_delay_alu instid0(SALU_CYCLE_1)
	s_mov_b32 exec_lo, s41
	s_cbranch_execz .LBB83_220
; %bb.219:                              ;   in Loop: Header=BB83_3 Depth=1
	ds_load_b128 v[22:25], v169
	ds_load_b128 v[204:207], v70 offset:8448
	s_wait_dscnt 0x0
	v_mul_f64_e32 v[4:5], v[24:25], v[206:207]
	s_delay_alu instid0(VALU_DEP_1) | instskip(SKIP_1) | instid1(VALU_DEP_2)
	v_fma_f64 v[4:5], v[22:23], v[204:205], -v[4:5]
	v_mul_f64_e32 v[22:23], v[22:23], v[206:207]
	v_add_f64_e32 v[18:19], v[18:19], v[4:5]
	s_delay_alu instid0(VALU_DEP_2) | instskip(NEXT) | instid1(VALU_DEP_1)
	v_fmac_f64_e32 v[22:23], v[24:25], v[204:205]
	v_add_f64_e32 v[20:21], v[20:21], v[22:23]
.LBB83_220:                             ;   in Loop: Header=BB83_3 Depth=1
	s_or_b32 exec_lo, exec_lo, s40
	s_barrier_signal -1
	s_barrier_wait -1
	s_mov_b32 s40, exec_lo
	v_readlane_b32 s41, v203, 2
	s_and_b32 s41, s40, s41
	s_delay_alu instid0(SALU_CYCLE_1)
	s_mov_b32 exec_lo, s41
	s_cbranch_execz .LBB83_222
; %bb.221:                              ;   in Loop: Header=BB83_3 Depth=1
	ds_load_b128 v[22:25], v2 offset:8976
	s_wait_dscnt 0x0
	v_mul_f64_e32 v[4:5], v[20:21], v[24:25]
	v_mul_f64_e32 v[206:207], v[18:19], v[24:25]
	s_delay_alu instid0(VALU_DEP_2) | instskip(NEXT) | instid1(VALU_DEP_2)
	v_fma_f64 v[204:205], v[18:19], v[22:23], -v[4:5]
	v_fmac_f64_e32 v[206:207], v[20:21], v[22:23]
	s_delay_alu instid0(VALU_DEP_2) | instskip(NEXT) | instid1(VALU_DEP_2)
	v_mov_b64_e32 v[18:19], v[204:205]
	v_mov_b64_e32 v[20:21], v[206:207]
	ds_store_b128 v169, v[204:207]
.LBB83_222:                             ;   in Loop: Header=BB83_3 Depth=1
	s_or_b32 exec_lo, exec_lo, s40
	s_wait_dscnt 0x0
	s_barrier_signal -1
	s_barrier_wait -1
	s_mov_b32 s40, exec_lo
	v_readlane_b32 s41, v203, 3
	s_and_b32 s41, s40, s41
	s_delay_alu instid0(SALU_CYCLE_1)
	s_mov_b32 exec_lo, s41
	s_cbranch_execz .LBB83_224
; %bb.223:                              ;   in Loop: Header=BB83_3 Depth=1
	ds_load_b128 v[22:25], v169
	ds_load_b128 v[204:207], v70 offset:8960
	s_wait_dscnt 0x0
	v_mul_f64_e32 v[4:5], v[24:25], v[206:207]
	s_delay_alu instid0(VALU_DEP_1) | instskip(SKIP_1) | instid1(VALU_DEP_2)
	v_fma_f64 v[4:5], v[22:23], v[204:205], -v[4:5]
	v_mul_f64_e32 v[22:23], v[22:23], v[206:207]
	v_add_f64_e32 v[18:19], v[18:19], v[4:5]
	s_delay_alu instid0(VALU_DEP_2) | instskip(NEXT) | instid1(VALU_DEP_1)
	v_fmac_f64_e32 v[22:23], v[24:25], v[204:205]
	v_add_f64_e32 v[20:21], v[20:21], v[22:23]
.LBB83_224:                             ;   in Loop: Header=BB83_3 Depth=1
	s_or_b32 exec_lo, exec_lo, s40
	s_barrier_signal -1
	s_barrier_wait -1
	s_mov_b32 s40, exec_lo
	v_readlane_b32 s41, v203, 4
	s_and_b32 s41, s40, s41
	s_delay_alu instid0(SALU_CYCLE_1)
	;; [unrolled: 45-line block ×5, first 2 shown]
	s_mov_b32 exec_lo, s41
	s_cbranch_execz .LBB83_238
; %bb.237:                              ;   in Loop: Header=BB83_3 Depth=1
	ds_load_b128 v[22:25], v2 offset:11088
	s_wait_dscnt 0x0
	v_mul_f64_e32 v[4:5], v[20:21], v[24:25]
	v_mul_f64_e32 v[206:207], v[18:19], v[24:25]
	s_delay_alu instid0(VALU_DEP_2) | instskip(NEXT) | instid1(VALU_DEP_2)
	v_fma_f64 v[204:205], v[18:19], v[22:23], -v[4:5]
	v_fmac_f64_e32 v[206:207], v[20:21], v[22:23]
	s_delay_alu instid0(VALU_DEP_2) | instskip(NEXT) | instid1(VALU_DEP_2)
	v_mov_b64_e32 v[18:19], v[204:205]
	v_mov_b64_e32 v[20:21], v[206:207]
	ds_store_b128 v169, v[204:207]
.LBB83_238:                             ;   in Loop: Header=BB83_3 Depth=1
	s_or_b32 exec_lo, exec_lo, s40
	s_wait_dscnt 0x0
	s_barrier_signal -1
	s_barrier_wait -1
	s_mov_b32 s40, exec_lo
	v_readlane_b32 s41, v203, 11
	s_and_b32 s41, s40, s41
	s_delay_alu instid0(SALU_CYCLE_1)
	s_mov_b32 exec_lo, s41
	s_cbranch_execz .LBB83_240
; %bb.239:                              ;   in Loop: Header=BB83_3 Depth=1
	ds_load_b128 v[22:25], v169
	ds_load_b128 v[204:207], v70 offset:11008
	s_wait_dscnt 0x0
	v_mul_f64_e32 v[4:5], v[24:25], v[206:207]
	s_delay_alu instid0(VALU_DEP_1) | instskip(SKIP_1) | instid1(VALU_DEP_2)
	v_fma_f64 v[4:5], v[22:23], v[204:205], -v[4:5]
	v_mul_f64_e32 v[22:23], v[22:23], v[206:207]
	v_add_f64_e32 v[18:19], v[18:19], v[4:5]
	s_delay_alu instid0(VALU_DEP_2) | instskip(NEXT) | instid1(VALU_DEP_1)
	v_fmac_f64_e32 v[22:23], v[24:25], v[204:205]
	v_add_f64_e32 v[20:21], v[20:21], v[22:23]
.LBB83_240:                             ;   in Loop: Header=BB83_3 Depth=1
	s_or_b32 exec_lo, exec_lo, s40
	s_barrier_signal -1
	s_barrier_wait -1
	s_and_saveexec_b32 s40, s100
	s_cbranch_execz .LBB83_242
; %bb.241:                              ;   in Loop: Header=BB83_3 Depth=1
	ds_load_b128 v[22:25], v2 offset:11616
	s_wait_dscnt 0x0
	v_mul_f64_e32 v[4:5], v[20:21], v[24:25]
	v_mul_f64_e32 v[206:207], v[18:19], v[24:25]
	s_delay_alu instid0(VALU_DEP_2) | instskip(NEXT) | instid1(VALU_DEP_2)
	v_fma_f64 v[204:205], v[18:19], v[22:23], -v[4:5]
	v_fmac_f64_e32 v[206:207], v[20:21], v[22:23]
	s_delay_alu instid0(VALU_DEP_2) | instskip(NEXT) | instid1(VALU_DEP_2)
	v_mov_b64_e32 v[18:19], v[204:205]
	v_mov_b64_e32 v[20:21], v[206:207]
	ds_store_b128 v169, v[204:207]
.LBB83_242:                             ;   in Loop: Header=BB83_3 Depth=1
	s_or_b32 exec_lo, exec_lo, s40
	s_wait_dscnt 0x0
	s_barrier_signal -1
	s_barrier_wait -1
	s_and_saveexec_b32 s40, s101
	s_cbranch_execz .LBB83_244
; %bb.243:                              ;   in Loop: Header=BB83_3 Depth=1
	ds_load_b128 v[22:25], v169
	ds_load_b128 v[204:207], v70 offset:11520
	s_wait_dscnt 0x0
	v_mul_f64_e32 v[4:5], v[24:25], v[206:207]
	s_delay_alu instid0(VALU_DEP_1) | instskip(SKIP_1) | instid1(VALU_DEP_2)
	v_fma_f64 v[4:5], v[22:23], v[204:205], -v[4:5]
	v_mul_f64_e32 v[22:23], v[22:23], v[206:207]
	v_add_f64_e32 v[18:19], v[18:19], v[4:5]
	s_delay_alu instid0(VALU_DEP_2) | instskip(NEXT) | instid1(VALU_DEP_1)
	v_fmac_f64_e32 v[22:23], v[24:25], v[204:205]
	v_add_f64_e32 v[20:21], v[20:21], v[22:23]
.LBB83_244:                             ;   in Loop: Header=BB83_3 Depth=1
	s_or_b32 exec_lo, exec_lo, s40
	s_barrier_signal -1
	s_barrier_wait -1
	s_and_saveexec_b32 s40, s102
	s_cbranch_execz .LBB83_246
; %bb.245:                              ;   in Loop: Header=BB83_3 Depth=1
	ds_load_b128 v[22:25], v2 offset:12144
	s_wait_dscnt 0x0
	v_mul_f64_e32 v[4:5], v[20:21], v[24:25]
	v_mul_f64_e32 v[206:207], v[18:19], v[24:25]
	s_delay_alu instid0(VALU_DEP_2) | instskip(NEXT) | instid1(VALU_DEP_2)
	v_fma_f64 v[204:205], v[18:19], v[22:23], -v[4:5]
	v_fmac_f64_e32 v[206:207], v[20:21], v[22:23]
	s_delay_alu instid0(VALU_DEP_2) | instskip(NEXT) | instid1(VALU_DEP_2)
	v_mov_b64_e32 v[18:19], v[204:205]
	v_mov_b64_e32 v[20:21], v[206:207]
	ds_store_b128 v169, v[204:207]
.LBB83_246:                             ;   in Loop: Header=BB83_3 Depth=1
	s_or_b32 exec_lo, exec_lo, s40
	s_wait_dscnt 0x0
	s_barrier_signal -1
	s_barrier_wait -1
	s_and_saveexec_b32 s40, s103
	s_cbranch_execz .LBB83_248
; %bb.247:                              ;   in Loop: Header=BB83_3 Depth=1
	ds_load_b128 v[22:25], v169
	ds_load_b128 v[204:207], v70 offset:12032
	s_wait_dscnt 0x0
	v_mul_f64_e32 v[4:5], v[24:25], v[206:207]
	s_delay_alu instid0(VALU_DEP_1) | instskip(SKIP_1) | instid1(VALU_DEP_2)
	v_fma_f64 v[4:5], v[22:23], v[204:205], -v[4:5]
	v_mul_f64_e32 v[22:23], v[22:23], v[206:207]
	v_add_f64_e32 v[18:19], v[18:19], v[4:5]
	s_delay_alu instid0(VALU_DEP_2) | instskip(NEXT) | instid1(VALU_DEP_1)
	v_fmac_f64_e32 v[22:23], v[24:25], v[204:205]
	v_add_f64_e32 v[20:21], v[20:21], v[22:23]
.LBB83_248:                             ;   in Loop: Header=BB83_3 Depth=1
	s_or_b32 exec_lo, exec_lo, s40
	s_barrier_signal -1
	s_barrier_wait -1
	s_and_saveexec_b32 s40, s104
	s_cbranch_execz .LBB83_250
; %bb.249:                              ;   in Loop: Header=BB83_3 Depth=1
	ds_load_b128 v[22:25], v2 offset:12672
	s_wait_dscnt 0x0
	v_mul_f64_e32 v[4:5], v[20:21], v[24:25]
	v_mul_f64_e32 v[206:207], v[18:19], v[24:25]
	s_delay_alu instid0(VALU_DEP_2) | instskip(NEXT) | instid1(VALU_DEP_2)
	v_fma_f64 v[204:205], v[18:19], v[22:23], -v[4:5]
	v_fmac_f64_e32 v[206:207], v[20:21], v[22:23]
	s_delay_alu instid0(VALU_DEP_2) | instskip(NEXT) | instid1(VALU_DEP_2)
	v_mov_b64_e32 v[18:19], v[204:205]
	v_mov_b64_e32 v[20:21], v[206:207]
	ds_store_b128 v169, v[204:207]
.LBB83_250:                             ;   in Loop: Header=BB83_3 Depth=1
	s_or_b32 exec_lo, exec_lo, s40
	s_wait_dscnt 0x0
	s_barrier_signal -1
	s_barrier_wait -1
	s_and_saveexec_b32 s40, vcc_hi
	s_cbranch_execz .LBB83_252
; %bb.251:                              ;   in Loop: Header=BB83_3 Depth=1
	ds_load_b128 v[22:25], v169
	ds_load_b128 v[204:207], v70 offset:12544
	s_wait_dscnt 0x0
	v_mul_f64_e32 v[4:5], v[24:25], v[206:207]
	s_delay_alu instid0(VALU_DEP_1) | instskip(SKIP_1) | instid1(VALU_DEP_2)
	v_fma_f64 v[4:5], v[22:23], v[204:205], -v[4:5]
	v_mul_f64_e32 v[22:23], v[22:23], v[206:207]
	v_add_f64_e32 v[18:19], v[18:19], v[4:5]
	s_delay_alu instid0(VALU_DEP_2) | instskip(NEXT) | instid1(VALU_DEP_1)
	v_fmac_f64_e32 v[22:23], v[24:25], v[204:205]
	v_add_f64_e32 v[20:21], v[20:21], v[22:23]
.LBB83_252:                             ;   in Loop: Header=BB83_3 Depth=1
	s_or_b32 exec_lo, exec_lo, s40
	s_barrier_signal -1
	s_barrier_wait -1
	s_and_saveexec_b32 s40, s18
	s_cbranch_execz .LBB83_254
; %bb.253:                              ;   in Loop: Header=BB83_3 Depth=1
	ds_load_b128 v[22:25], v2 offset:13200
	s_wait_dscnt 0x0
	v_mul_f64_e32 v[4:5], v[20:21], v[24:25]
	v_mul_f64_e32 v[206:207], v[18:19], v[24:25]
	s_delay_alu instid0(VALU_DEP_2) | instskip(NEXT) | instid1(VALU_DEP_2)
	v_fma_f64 v[204:205], v[18:19], v[22:23], -v[4:5]
	v_fmac_f64_e32 v[206:207], v[20:21], v[22:23]
	s_delay_alu instid0(VALU_DEP_2) | instskip(NEXT) | instid1(VALU_DEP_2)
	v_mov_b64_e32 v[18:19], v[204:205]
	v_mov_b64_e32 v[20:21], v[206:207]
	ds_store_b128 v169, v[204:207]
.LBB83_254:                             ;   in Loop: Header=BB83_3 Depth=1
	s_or_b32 exec_lo, exec_lo, s40
	s_wait_dscnt 0x0
	s_barrier_signal -1
	s_barrier_wait -1
	s_and_saveexec_b32 s40, s19
	s_cbranch_execz .LBB83_256
; %bb.255:                              ;   in Loop: Header=BB83_3 Depth=1
	ds_load_b128 v[22:25], v169
	ds_load_b128 v[204:207], v70 offset:13056
	s_wait_dscnt 0x0
	v_mul_f64_e32 v[4:5], v[24:25], v[206:207]
	s_delay_alu instid0(VALU_DEP_1) | instskip(SKIP_1) | instid1(VALU_DEP_2)
	v_fma_f64 v[4:5], v[22:23], v[204:205], -v[4:5]
	v_mul_f64_e32 v[22:23], v[22:23], v[206:207]
	v_add_f64_e32 v[18:19], v[18:19], v[4:5]
	s_delay_alu instid0(VALU_DEP_2) | instskip(NEXT) | instid1(VALU_DEP_1)
	v_fmac_f64_e32 v[22:23], v[24:25], v[204:205]
	v_add_f64_e32 v[20:21], v[20:21], v[22:23]
.LBB83_256:                             ;   in Loop: Header=BB83_3 Depth=1
	s_or_b32 exec_lo, exec_lo, s40
	s_barrier_signal -1
	s_barrier_wait -1
	s_and_saveexec_b32 s40, s20
	s_cbranch_execz .LBB83_258
; %bb.257:                              ;   in Loop: Header=BB83_3 Depth=1
	ds_load_b128 v[22:25], v2 offset:13728
	s_wait_dscnt 0x0
	v_mul_f64_e32 v[4:5], v[20:21], v[24:25]
	v_mul_f64_e32 v[206:207], v[18:19], v[24:25]
	s_delay_alu instid0(VALU_DEP_2) | instskip(NEXT) | instid1(VALU_DEP_2)
	v_fma_f64 v[204:205], v[18:19], v[22:23], -v[4:5]
	v_fmac_f64_e32 v[206:207], v[20:21], v[22:23]
	s_delay_alu instid0(VALU_DEP_2) | instskip(NEXT) | instid1(VALU_DEP_2)
	v_mov_b64_e32 v[18:19], v[204:205]
	v_mov_b64_e32 v[20:21], v[206:207]
	ds_store_b128 v169, v[204:207]
.LBB83_258:                             ;   in Loop: Header=BB83_3 Depth=1
	s_or_b32 exec_lo, exec_lo, s40
	s_wait_dscnt 0x0
	s_barrier_signal -1
	s_barrier_wait -1
	s_and_saveexec_b32 s40, s21
	;; [unrolled: 37-line block ×6, first 2 shown]
	s_cbranch_execz .LBB83_276
; %bb.275:                              ;   in Loop: Header=BB83_3 Depth=1
	ds_load_b128 v[22:25], v169
	ds_load_b128 v[204:207], v2 offset:15856
	s_wait_dscnt 0x0
	v_mul_f64_e32 v[4:5], v[24:25], v[206:207]
	s_delay_alu instid0(VALU_DEP_1) | instskip(SKIP_1) | instid1(VALU_DEP_2)
	v_fma_f64 v[4:5], v[22:23], v[204:205], -v[4:5]
	v_mul_f64_e32 v[22:23], v[22:23], v[206:207]
	v_add_f64_e32 v[18:19], v[18:19], v[4:5]
	s_delay_alu instid0(VALU_DEP_2) | instskip(NEXT) | instid1(VALU_DEP_1)
	v_fmac_f64_e32 v[22:23], v[24:25], v[204:205]
	v_add_f64_e32 v[20:21], v[20:21], v[22:23]
.LBB83_276:                             ;   in Loop: Header=BB83_3 Depth=1
	s_or_b32 exec_lo, exec_lo, s40
	s_barrier_signal -1
	s_barrier_wait -1
	s_and_saveexec_b32 s40, s30
	s_cbranch_execz .LBB83_278
; %bb.277:                              ;   in Loop: Header=BB83_3 Depth=1
	ds_load_b128 v[22:25], v2 offset:16368
	s_wait_dscnt 0x0
	v_mul_f64_e32 v[4:5], v[20:21], v[24:25]
	v_mul_f64_e32 v[206:207], v[18:19], v[24:25]
	s_delay_alu instid0(VALU_DEP_2) | instskip(NEXT) | instid1(VALU_DEP_2)
	v_fma_f64 v[204:205], v[18:19], v[22:23], -v[4:5]
	v_fmac_f64_e32 v[206:207], v[20:21], v[22:23]
	s_delay_alu instid0(VALU_DEP_2) | instskip(NEXT) | instid1(VALU_DEP_2)
	v_mov_b64_e32 v[18:19], v[204:205]
	v_mov_b64_e32 v[20:21], v[206:207]
	ds_store_b128 v169, v[204:207]
.LBB83_278:                             ;   in Loop: Header=BB83_3 Depth=1
	s_or_b32 exec_lo, exec_lo, s40
	s_wait_dscnt 0x0
	s_barrier_signal -1
	s_barrier_wait -1
	s_barrier_signal -1
	s_barrier_wait -1
	s_and_saveexec_b32 s40, s4
; %bb.279:                              ;   in Loop: Header=BB83_3 Depth=1
	s_delay_alu instid0(VALU_DEP_1) | instskip(NEXT) | instid1(VALU_DEP_4)
	v_xor_b32_e32 v21, 0x80000000, v21
	v_xor_b32_e32 v19, 0x80000000, v19
	ds_store_b128 v170, v[18:21] offset:256
; %bb.280:                              ;   in Loop: Header=BB83_3 Depth=1
	s_or_b32 exec_lo, exec_lo, s40
	s_wait_dscnt 0x0
	s_barrier_signal -1
	s_barrier_wait -1
	s_barrier_signal -1
	s_barrier_wait -1
	s_and_saveexec_b32 s40, s31
	s_cbranch_execz .LBB83_282
; %bb.281:                              ;   in Loop: Header=BB83_3 Depth=1
	ds_load_b128 v[18:21], v130
	s_wait_dscnt 0x0
	ds_store_b128 v113, v[18:21]
	ds_load_b128 v[18:21], v131
	s_wait_dscnt 0x0
	ds_store_b128 v114, v[18:21]
	;; [unrolled: 3-line block ×16, first 2 shown]
.LBB83_282:                             ;   in Loop: Header=BB83_3 Depth=1
	s_or_b32 exec_lo, exec_lo, s40
	s_wait_dscnt 0x0
	s_barrier_signal -1
	s_barrier_wait -1
	s_and_saveexec_b32 s40, s29
	s_cbranch_execz .LBB83_284
; %bb.283:                              ;   in Loop: Header=BB83_3 Depth=1
	ds_load_b128 v[18:21], v2 offset:8976
	ds_load_b128 v[22:25], v2 offset:8448
	s_wait_dscnt 0x0
	v_mul_f64_e32 v[4:5], v[18:19], v[24:25]
	v_mul_f64_e32 v[24:25], v[20:21], v[24:25]
	s_delay_alu instid0(VALU_DEP_2) | instskip(NEXT) | instid1(VALU_DEP_2)
	v_fmac_f64_e32 v[4:5], v[20:21], v[22:23]
	v_fma_f64 v[24:25], v[18:19], v[22:23], -v[24:25]
	ds_load_b128 v[18:21], v2 offset:8464
	s_wait_dscnt 0x0
	v_mul_f64_e32 v[204:205], v[4:5], v[20:21]
	v_mul_f64_e32 v[22:23], v[24:25], v[20:21]
	s_delay_alu instid0(VALU_DEP_2) | instskip(NEXT) | instid1(VALU_DEP_2)
	v_fma_f64 v[20:21], v[18:19], v[24:25], -v[204:205]
	v_fmac_f64_e32 v[22:23], v[18:19], v[4:5]
	ds_store_b128 v2, v[20:23] offset:8464
	ds_store_b128 v2, v[20:23] offset:8960
.LBB83_284:                             ;   in Loop: Header=BB83_3 Depth=1
	s_or_b32 exec_lo, exec_lo, s40
	v_mov_b64_e32 v[20:21], 0
	v_mov_b64_e32 v[18:19], 0
	s_wait_dscnt 0x0
	s_barrier_signal -1
	s_barrier_wait -1
	s_and_saveexec_b32 s40, s0
	s_cbranch_execz .LBB83_288
; %bb.285:                              ;   in Loop: Header=BB83_3 Depth=1
	ds_load_b128 v[18:21], v44 offset:8448
	ds_load_b128 v[22:25], v43 offset:8480
	s_wait_dscnt 0x0
	v_mul_f64_e32 v[4:5], v[20:21], v[24:25]
	v_mul_f64_e32 v[24:25], v[18:19], v[24:25]
	s_delay_alu instid0(VALU_DEP_2) | instskip(NEXT) | instid1(VALU_DEP_2)
	v_fma_f64 v[4:5], v[18:19], v[22:23], -v[4:5]
	v_fmac_f64_e32 v[24:25], v[20:21], v[22:23]
	s_delay_alu instid0(VALU_DEP_2) | instskip(NEXT) | instid1(VALU_DEP_2)
	v_add_f64_e32 v[18:19], 0, v[4:5]
	v_add_f64_e32 v[20:21], 0, v[24:25]
	s_and_saveexec_b32 s41, s10
	s_cbranch_execz .LBB83_287
; %bb.286:                              ;   in Loop: Header=BB83_3 Depth=1
	ds_load_b128 v[22:25], v2 offset:8464
	ds_load_b128 v[204:207], v45 offset:8992
	s_wait_dscnt 0x0
	v_mul_f64_e32 v[4:5], v[24:25], v[206:207]
	s_delay_alu instid0(VALU_DEP_1) | instskip(SKIP_1) | instid1(VALU_DEP_2)
	v_fma_f64 v[4:5], v[22:23], v[204:205], -v[4:5]
	v_mul_f64_e32 v[22:23], v[22:23], v[206:207]
	v_add_f64_e32 v[18:19], v[18:19], v[4:5]
	s_delay_alu instid0(VALU_DEP_2) | instskip(NEXT) | instid1(VALU_DEP_1)
	v_fmac_f64_e32 v[22:23], v[24:25], v[204:205]
	v_add_f64_e32 v[20:21], v[20:21], v[22:23]
.LBB83_287:                             ;   in Loop: Header=BB83_3 Depth=1
	s_or_b32 exec_lo, exec_lo, s41
	s_delay_alu instid0(VALU_DEP_2) | instskip(NEXT) | instid1(VALU_DEP_2)
	v_xor_b32_e32 v19, 0x80000000, v19
	v_xor_b32_e32 v21, 0x80000000, v21
.LBB83_288:                             ;   in Loop: Header=BB83_3 Depth=1
	s_or_b32 exec_lo, exec_lo, s40
	s_and_saveexec_b32 s40, s63
	s_cbranch_execz .LBB83_290
; %bb.289:                              ;   in Loop: Header=BB83_3 Depth=1
	ds_load_b128 v[22:25], v2 offset:9504
	s_wait_dscnt 0x0
	v_mul_f64_e32 v[4:5], v[20:21], v[24:25]
	v_mul_f64_e32 v[206:207], v[18:19], v[24:25]
	s_delay_alu instid0(VALU_DEP_2) | instskip(NEXT) | instid1(VALU_DEP_2)
	v_fma_f64 v[204:205], v[18:19], v[22:23], -v[4:5]
	v_fmac_f64_e32 v[206:207], v[20:21], v[22:23]
	s_delay_alu instid0(VALU_DEP_2) | instskip(NEXT) | instid1(VALU_DEP_2)
	v_mov_b64_e32 v[18:19], v[204:205]
	v_mov_b64_e32 v[20:21], v[206:207]
	ds_store_b128 v27, v[204:207]
.LBB83_290:                             ;   in Loop: Header=BB83_3 Depth=1
	s_or_b32 exec_lo, exec_lo, s40
	s_wait_dscnt 0x0
	s_barrier_signal -1
	s_barrier_wait -1
	s_and_saveexec_b32 s40, s64
	s_cbranch_execz .LBB83_292
; %bb.291:                              ;   in Loop: Header=BB83_3 Depth=1
	ds_load_b128 v[22:25], v27
	ds_load_b128 v[204:207], v2 offset:9520
	s_wait_dscnt 0x0
	v_mul_f64_e32 v[4:5], v[24:25], v[206:207]
	s_delay_alu instid0(VALU_DEP_1) | instskip(SKIP_1) | instid1(VALU_DEP_2)
	v_fma_f64 v[4:5], v[22:23], v[204:205], -v[4:5]
	v_mul_f64_e32 v[22:23], v[22:23], v[206:207]
	v_add_f64_e32 v[18:19], v[18:19], v[4:5]
	s_delay_alu instid0(VALU_DEP_2) | instskip(NEXT) | instid1(VALU_DEP_1)
	v_fmac_f64_e32 v[22:23], v[24:25], v[204:205]
	v_add_f64_e32 v[20:21], v[20:21], v[22:23]
.LBB83_292:                             ;   in Loop: Header=BB83_3 Depth=1
	s_or_b32 exec_lo, exec_lo, s40
	s_barrier_signal -1
	s_barrier_wait -1
	s_and_saveexec_b32 s40, s64
	s_cbranch_execz .LBB83_294
; %bb.293:                              ;   in Loop: Header=BB83_3 Depth=1
	ds_load_b128 v[22:25], v2 offset:10032
	s_wait_dscnt 0x0
	v_mul_f64_e32 v[4:5], v[20:21], v[24:25]
	v_mul_f64_e32 v[206:207], v[18:19], v[24:25]
	s_delay_alu instid0(VALU_DEP_2) | instskip(NEXT) | instid1(VALU_DEP_2)
	v_fma_f64 v[204:205], v[18:19], v[22:23], -v[4:5]
	v_fmac_f64_e32 v[206:207], v[20:21], v[22:23]
	s_delay_alu instid0(VALU_DEP_2) | instskip(NEXT) | instid1(VALU_DEP_2)
	v_mov_b64_e32 v[18:19], v[204:205]
	v_mov_b64_e32 v[20:21], v[206:207]
	ds_store_b128 v27, v[204:207]
.LBB83_294:                             ;   in Loop: Header=BB83_3 Depth=1
	s_or_b32 exec_lo, exec_lo, s40
	s_wait_dscnt 0x0
	s_barrier_signal -1
	s_barrier_wait -1
	s_barrier_signal -1
	s_barrier_wait -1
	s_and_saveexec_b32 s40, s0
; %bb.295:                              ;   in Loop: Header=BB83_3 Depth=1
	s_delay_alu instid0(VALU_DEP_3) | instskip(NEXT) | instid1(VALU_DEP_2)
	v_xor_b32_e32 v19, 0x80000000, v19
	v_xor_b32_e32 v21, 0x80000000, v21
	ds_store_b128 v43, v[18:21] offset:8480
; %bb.296:                              ;   in Loop: Header=BB83_3 Depth=1
	s_or_b32 exec_lo, exec_lo, s40
	s_wait_dscnt 0x0
	s_barrier_signal -1
	s_barrier_wait -1
	s_barrier_signal -1
	s_barrier_wait -1
	s_and_saveexec_b32 s40, s65
	s_cbranch_execz .LBB83_298
; %bb.297:                              ;   in Loop: Header=BB83_3 Depth=1
	ds_load_b128 v[18:21], v71
	s_wait_dscnt 0x0
	ds_store_b128 v171, v[18:21]
	ds_load_b128 v[18:21], v72
	s_wait_dscnt 0x0
	ds_store_b128 v172, v[18:21]
.LBB83_298:                             ;   in Loop: Header=BB83_3 Depth=1
	s_or_b32 exec_lo, exec_lo, s40
	s_wait_dscnt 0x0
	s_barrier_signal -1
	s_barrier_wait -1
	s_and_saveexec_b32 s40, s29
	s_cbranch_execz .LBB83_300
; %bb.299:                              ;   in Loop: Header=BB83_3 Depth=1
	ds_load_b128 v[18:21], v2 offset:10032
	ds_load_b128 v[22:25], v2 offset:9504
	s_wait_dscnt 0x0
	v_mul_f64_e32 v[4:5], v[18:19], v[24:25]
	v_mul_f64_e32 v[24:25], v[20:21], v[24:25]
	s_delay_alu instid0(VALU_DEP_2) | instskip(NEXT) | instid1(VALU_DEP_2)
	v_fmac_f64_e32 v[4:5], v[20:21], v[22:23]
	v_fma_f64 v[24:25], v[18:19], v[22:23], -v[24:25]
	ds_load_b128 v[18:21], v2 offset:9520
	s_wait_dscnt 0x0
	v_mul_f64_e32 v[204:205], v[4:5], v[20:21]
	v_mul_f64_e32 v[22:23], v[24:25], v[20:21]
	s_delay_alu instid0(VALU_DEP_2) | instskip(NEXT) | instid1(VALU_DEP_2)
	v_fma_f64 v[20:21], v[18:19], v[24:25], -v[204:205]
	v_fmac_f64_e32 v[22:23], v[18:19], v[4:5]
	ds_store_b128 v2, v[20:23] offset:9520
	ds_store_b128 v2, v[20:23] offset:10016
.LBB83_300:                             ;   in Loop: Header=BB83_3 Depth=1
	s_or_b32 exec_lo, exec_lo, s40
	v_mov_b64_e32 v[20:21], 0
	v_mov_b64_e32 v[18:19], 0
	s_wait_dscnt 0x0
	s_barrier_signal -1
	s_barrier_wait -1
	s_and_saveexec_b32 s40, s2
	s_cbranch_execz .LBB83_306
; %bb.301:                              ;   in Loop: Header=BB83_3 Depth=1
	ds_load_b128 v[18:21], v46 offset:8448
	ds_load_b128 v[22:25], v52 offset:8512
	s_wait_dscnt 0x0
	v_mul_f64_e32 v[4:5], v[20:21], v[24:25]
	v_mul_f64_e32 v[24:25], v[18:19], v[24:25]
	s_delay_alu instid0(VALU_DEP_2) | instskip(NEXT) | instid1(VALU_DEP_2)
	v_fma_f64 v[4:5], v[18:19], v[22:23], -v[4:5]
	v_fmac_f64_e32 v[24:25], v[20:21], v[22:23]
	s_delay_alu instid0(VALU_DEP_2) | instskip(NEXT) | instid1(VALU_DEP_2)
	v_add_f64_e32 v[18:19], 0, v[4:5]
	v_add_f64_e32 v[20:21], 0, v[24:25]
	s_and_saveexec_b32 s41, s11
	s_cbranch_execnz .LBB83_564
; %bb.302:                              ;   in Loop: Header=BB83_3 Depth=1
	s_or_b32 exec_lo, exec_lo, s41
	s_and_saveexec_b32 s41, s12
	s_cbranch_execnz .LBB83_565
.LBB83_303:                             ;   in Loop: Header=BB83_3 Depth=1
	s_or_b32 exec_lo, exec_lo, s41
	s_and_saveexec_b32 s41, s0
	s_cbranch_execz .LBB83_305
.LBB83_304:                             ;   in Loop: Header=BB83_3 Depth=1
	ds_load_b128 v[22:25], v2 offset:8496
	ds_load_b128 v[204:207], v50 offset:10048
	s_wait_dscnt 0x0
	v_mul_f64_e32 v[4:5], v[24:25], v[206:207]
	s_delay_alu instid0(VALU_DEP_1) | instskip(SKIP_1) | instid1(VALU_DEP_2)
	v_fma_f64 v[4:5], v[22:23], v[204:205], -v[4:5]
	v_mul_f64_e32 v[22:23], v[22:23], v[206:207]
	v_add_f64_e32 v[18:19], v[18:19], v[4:5]
	s_delay_alu instid0(VALU_DEP_2) | instskip(NEXT) | instid1(VALU_DEP_1)
	v_fmac_f64_e32 v[22:23], v[24:25], v[204:205]
	v_add_f64_e32 v[20:21], v[20:21], v[22:23]
.LBB83_305:                             ;   in Loop: Header=BB83_3 Depth=1
	s_or_b32 exec_lo, exec_lo, s41
	s_delay_alu instid0(VALU_DEP_2) | instskip(NEXT) | instid1(VALU_DEP_2)
	v_xor_b32_e32 v19, 0x80000000, v19
	v_xor_b32_e32 v21, 0x80000000, v21
.LBB83_306:                             ;   in Loop: Header=BB83_3 Depth=1
	s_or_b32 exec_lo, exec_lo, s40
	s_and_saveexec_b32 s40, s66
	s_cbranch_execz .LBB83_308
; %bb.307:                              ;   in Loop: Header=BB83_3 Depth=1
	ds_load_b128 v[22:25], v2 offset:10560
	s_wait_dscnt 0x0
	v_mul_f64_e32 v[4:5], v[20:21], v[24:25]
	v_mul_f64_e32 v[206:207], v[18:19], v[24:25]
	s_delay_alu instid0(VALU_DEP_2) | instskip(NEXT) | instid1(VALU_DEP_2)
	v_fma_f64 v[204:205], v[18:19], v[22:23], -v[4:5]
	v_fmac_f64_e32 v[206:207], v[20:21], v[22:23]
	s_delay_alu instid0(VALU_DEP_2) | instskip(NEXT) | instid1(VALU_DEP_2)
	v_mov_b64_e32 v[18:19], v[204:205]
	v_mov_b64_e32 v[20:21], v[206:207]
	ds_store_b128 v51, v[204:207]
.LBB83_308:                             ;   in Loop: Header=BB83_3 Depth=1
	s_or_b32 exec_lo, exec_lo, s40
	s_wait_dscnt 0x0
	s_barrier_signal -1
	s_barrier_wait -1
	s_and_saveexec_b32 s40, s67
	s_cbranch_execz .LBB83_310
; %bb.309:                              ;   in Loop: Header=BB83_3 Depth=1
	ds_load_b128 v[22:25], v51
	ds_load_b128 v[204:207], v49 offset:10560
	s_wait_dscnt 0x0
	v_mul_f64_e32 v[4:5], v[24:25], v[206:207]
	s_delay_alu instid0(VALU_DEP_1) | instskip(SKIP_1) | instid1(VALU_DEP_2)
	v_fma_f64 v[4:5], v[22:23], v[204:205], -v[4:5]
	v_mul_f64_e32 v[22:23], v[22:23], v[206:207]
	v_add_f64_e32 v[18:19], v[18:19], v[4:5]
	s_delay_alu instid0(VALU_DEP_2) | instskip(NEXT) | instid1(VALU_DEP_1)
	v_fmac_f64_e32 v[22:23], v[24:25], v[204:205]
	v_add_f64_e32 v[20:21], v[20:21], v[22:23]
.LBB83_310:                             ;   in Loop: Header=BB83_3 Depth=1
	s_or_b32 exec_lo, exec_lo, s40
	s_barrier_signal -1
	s_barrier_wait -1
	s_and_saveexec_b32 s40, s68
	s_cbranch_execz .LBB83_312
; %bb.311:                              ;   in Loop: Header=BB83_3 Depth=1
	ds_load_b128 v[22:25], v2 offset:11088
	s_wait_dscnt 0x0
	v_mul_f64_e32 v[4:5], v[20:21], v[24:25]
	v_mul_f64_e32 v[206:207], v[18:19], v[24:25]
	s_delay_alu instid0(VALU_DEP_2) | instskip(NEXT) | instid1(VALU_DEP_2)
	v_fma_f64 v[204:205], v[18:19], v[22:23], -v[4:5]
	v_fmac_f64_e32 v[206:207], v[20:21], v[22:23]
	s_delay_alu instid0(VALU_DEP_2) | instskip(NEXT) | instid1(VALU_DEP_2)
	v_mov_b64_e32 v[18:19], v[204:205]
	v_mov_b64_e32 v[20:21], v[206:207]
	ds_store_b128 v51, v[204:207]
.LBB83_312:                             ;   in Loop: Header=BB83_3 Depth=1
	s_or_b32 exec_lo, exec_lo, s40
	s_wait_dscnt 0x0
	s_barrier_signal -1
	s_barrier_wait -1
	s_and_saveexec_b32 s40, s69
	s_cbranch_execz .LBB83_314
; %bb.313:                              ;   in Loop: Header=BB83_3 Depth=1
	ds_load_b128 v[22:25], v51
	ds_load_b128 v[204:207], v49 offset:11072
	s_wait_dscnt 0x0
	v_mul_f64_e32 v[4:5], v[24:25], v[206:207]
	s_delay_alu instid0(VALU_DEP_1) | instskip(SKIP_1) | instid1(VALU_DEP_2)
	v_fma_f64 v[4:5], v[22:23], v[204:205], -v[4:5]
	v_mul_f64_e32 v[22:23], v[22:23], v[206:207]
	v_add_f64_e32 v[18:19], v[18:19], v[4:5]
	s_delay_alu instid0(VALU_DEP_2) | instskip(NEXT) | instid1(VALU_DEP_1)
	v_fmac_f64_e32 v[22:23], v[24:25], v[204:205]
	v_add_f64_e32 v[20:21], v[20:21], v[22:23]
.LBB83_314:                             ;   in Loop: Header=BB83_3 Depth=1
	s_or_b32 exec_lo, exec_lo, s40
	s_barrier_signal -1
	s_barrier_wait -1
	;; [unrolled: 37-line block ×3, first 2 shown]
	s_and_saveexec_b32 s40, s71
	s_cbranch_execz .LBB83_320
; %bb.319:                              ;   in Loop: Header=BB83_3 Depth=1
	ds_load_b128 v[22:25], v2 offset:12144
	s_wait_dscnt 0x0
	v_mul_f64_e32 v[4:5], v[20:21], v[24:25]
	v_mul_f64_e32 v[206:207], v[18:19], v[24:25]
	s_delay_alu instid0(VALU_DEP_2) | instskip(NEXT) | instid1(VALU_DEP_2)
	v_fma_f64 v[204:205], v[18:19], v[22:23], -v[4:5]
	v_fmac_f64_e32 v[206:207], v[20:21], v[22:23]
	s_delay_alu instid0(VALU_DEP_2) | instskip(NEXT) | instid1(VALU_DEP_2)
	v_mov_b64_e32 v[18:19], v[204:205]
	v_mov_b64_e32 v[20:21], v[206:207]
	ds_store_b128 v51, v[204:207]
.LBB83_320:                             ;   in Loop: Header=BB83_3 Depth=1
	s_or_b32 exec_lo, exec_lo, s40
	s_wait_dscnt 0x0
	s_barrier_signal -1
	s_barrier_wait -1
	s_barrier_signal -1
	s_barrier_wait -1
	s_and_saveexec_b32 s40, s2
; %bb.321:                              ;   in Loop: Header=BB83_3 Depth=1
	s_delay_alu instid0(VALU_DEP_1) | instskip(NEXT) | instid1(VALU_DEP_4)
	v_xor_b32_e32 v21, 0x80000000, v21
	v_xor_b32_e32 v19, 0x80000000, v19
	ds_store_b128 v52, v[18:21] offset:8512
; %bb.322:                              ;   in Loop: Header=BB83_3 Depth=1
	s_or_b32 exec_lo, exec_lo, s40
	s_wait_dscnt 0x0
	s_barrier_signal -1
	s_barrier_wait -1
	s_barrier_signal -1
	s_barrier_wait -1
	s_and_saveexec_b32 s40, s72
	s_cbranch_execz .LBB83_324
; %bb.323:                              ;   in Loop: Header=BB83_3 Depth=1
	ds_load_b128 v[18:21], v86
	s_wait_dscnt 0x0
	ds_store_b128 v173, v[18:21]
	ds_load_b128 v[18:21], v89
	s_wait_dscnt 0x0
	ds_store_b128 v176, v[18:21]
	;; [unrolled: 3-line block ×4, first 2 shown]
.LBB83_324:                             ;   in Loop: Header=BB83_3 Depth=1
	s_or_b32 exec_lo, exec_lo, s40
	s_wait_dscnt 0x0
	s_barrier_signal -1
	s_barrier_wait -1
	s_and_saveexec_b32 s40, s29
	s_cbranch_execz .LBB83_326
; %bb.325:                              ;   in Loop: Header=BB83_3 Depth=1
	ds_load_b128 v[18:21], v2 offset:11088
	ds_load_b128 v[22:25], v2 offset:10560
	s_wait_dscnt 0x0
	v_mul_f64_e32 v[4:5], v[18:19], v[24:25]
	v_mul_f64_e32 v[24:25], v[20:21], v[24:25]
	s_delay_alu instid0(VALU_DEP_2) | instskip(NEXT) | instid1(VALU_DEP_2)
	v_fmac_f64_e32 v[4:5], v[20:21], v[22:23]
	v_fma_f64 v[24:25], v[18:19], v[22:23], -v[24:25]
	ds_load_b128 v[18:21], v2 offset:10576
	s_wait_dscnt 0x0
	v_mul_f64_e32 v[204:205], v[4:5], v[20:21]
	v_mul_f64_e32 v[22:23], v[24:25], v[20:21]
	s_delay_alu instid0(VALU_DEP_2) | instskip(NEXT) | instid1(VALU_DEP_2)
	v_fma_f64 v[20:21], v[18:19], v[24:25], -v[204:205]
	v_fmac_f64_e32 v[22:23], v[18:19], v[4:5]
	ds_store_b128 v2, v[20:23] offset:10576
	ds_store_b128 v2, v[20:23] offset:11072
.LBB83_326:                             ;   in Loop: Header=BB83_3 Depth=1
	s_or_b32 exec_lo, exec_lo, s40
	v_mov_b64_e32 v[20:21], 0
	v_mov_b64_e32 v[18:19], 0
	s_wait_dscnt 0x0
	s_barrier_signal -1
	s_barrier_wait -1
	s_and_saveexec_b32 s40, s0
	s_cbranch_execz .LBB83_330
; %bb.327:                              ;   in Loop: Header=BB83_3 Depth=1
	ds_load_b128 v[18:21], v44 offset:10560
	ds_load_b128 v[22:25], v43 offset:10592
	s_wait_dscnt 0x0
	v_mul_f64_e32 v[4:5], v[20:21], v[24:25]
	v_mul_f64_e32 v[24:25], v[18:19], v[24:25]
	s_delay_alu instid0(VALU_DEP_2) | instskip(NEXT) | instid1(VALU_DEP_2)
	v_fma_f64 v[4:5], v[18:19], v[22:23], -v[4:5]
	v_fmac_f64_e32 v[24:25], v[20:21], v[22:23]
	s_delay_alu instid0(VALU_DEP_2) | instskip(NEXT) | instid1(VALU_DEP_2)
	v_add_f64_e32 v[18:19], 0, v[4:5]
	v_add_f64_e32 v[20:21], 0, v[24:25]
	s_and_saveexec_b32 s41, s10
	s_cbranch_execz .LBB83_329
; %bb.328:                              ;   in Loop: Header=BB83_3 Depth=1
	ds_load_b128 v[22:25], v2 offset:10576
	ds_load_b128 v[204:207], v83 offset:11104
	s_wait_dscnt 0x0
	v_mul_f64_e32 v[4:5], v[24:25], v[206:207]
	s_delay_alu instid0(VALU_DEP_1) | instskip(SKIP_1) | instid1(VALU_DEP_2)
	v_fma_f64 v[4:5], v[22:23], v[204:205], -v[4:5]
	v_mul_f64_e32 v[22:23], v[22:23], v[206:207]
	v_add_f64_e32 v[18:19], v[18:19], v[4:5]
	s_delay_alu instid0(VALU_DEP_2) | instskip(NEXT) | instid1(VALU_DEP_1)
	v_fmac_f64_e32 v[22:23], v[24:25], v[204:205]
	v_add_f64_e32 v[20:21], v[20:21], v[22:23]
.LBB83_329:                             ;   in Loop: Header=BB83_3 Depth=1
	s_or_b32 exec_lo, exec_lo, s41
	s_delay_alu instid0(VALU_DEP_2) | instskip(NEXT) | instid1(VALU_DEP_2)
	v_xor_b32_e32 v19, 0x80000000, v19
	v_xor_b32_e32 v21, 0x80000000, v21
.LBB83_330:                             ;   in Loop: Header=BB83_3 Depth=1
	s_or_b32 exec_lo, exec_lo, s40
	s_and_saveexec_b32 s40, s63
	s_cbranch_execz .LBB83_332
; %bb.331:                              ;   in Loop: Header=BB83_3 Depth=1
	ds_load_b128 v[22:25], v2 offset:11616
	s_wait_dscnt 0x0
	v_mul_f64_e32 v[4:5], v[20:21], v[24:25]
	v_mul_f64_e32 v[206:207], v[18:19], v[24:25]
	s_delay_alu instid0(VALU_DEP_2) | instskip(NEXT) | instid1(VALU_DEP_2)
	v_fma_f64 v[204:205], v[18:19], v[22:23], -v[4:5]
	v_fmac_f64_e32 v[206:207], v[20:21], v[22:23]
	s_delay_alu instid0(VALU_DEP_2) | instskip(NEXT) | instid1(VALU_DEP_2)
	v_mov_b64_e32 v[18:19], v[204:205]
	v_mov_b64_e32 v[20:21], v[206:207]
	ds_store_b128 v27, v[204:207]
.LBB83_332:                             ;   in Loop: Header=BB83_3 Depth=1
	s_or_b32 exec_lo, exec_lo, s40
	s_wait_dscnt 0x0
	s_barrier_signal -1
	s_barrier_wait -1
	s_and_saveexec_b32 s40, s64
	s_cbranch_execz .LBB83_334
; %bb.333:                              ;   in Loop: Header=BB83_3 Depth=1
	ds_load_b128 v[22:25], v27
	ds_load_b128 v[204:207], v2 offset:11632
	s_wait_dscnt 0x0
	v_mul_f64_e32 v[4:5], v[24:25], v[206:207]
	s_delay_alu instid0(VALU_DEP_1) | instskip(SKIP_1) | instid1(VALU_DEP_2)
	v_fma_f64 v[4:5], v[22:23], v[204:205], -v[4:5]
	v_mul_f64_e32 v[22:23], v[22:23], v[206:207]
	v_add_f64_e32 v[18:19], v[18:19], v[4:5]
	s_delay_alu instid0(VALU_DEP_2) | instskip(NEXT) | instid1(VALU_DEP_1)
	v_fmac_f64_e32 v[22:23], v[24:25], v[204:205]
	v_add_f64_e32 v[20:21], v[20:21], v[22:23]
.LBB83_334:                             ;   in Loop: Header=BB83_3 Depth=1
	s_or_b32 exec_lo, exec_lo, s40
	s_barrier_signal -1
	s_barrier_wait -1
	s_and_saveexec_b32 s40, s64
	s_cbranch_execz .LBB83_336
; %bb.335:                              ;   in Loop: Header=BB83_3 Depth=1
	ds_load_b128 v[22:25], v2 offset:12144
	s_wait_dscnt 0x0
	v_mul_f64_e32 v[4:5], v[20:21], v[24:25]
	v_mul_f64_e32 v[206:207], v[18:19], v[24:25]
	s_delay_alu instid0(VALU_DEP_2) | instskip(NEXT) | instid1(VALU_DEP_2)
	v_fma_f64 v[204:205], v[18:19], v[22:23], -v[4:5]
	v_fmac_f64_e32 v[206:207], v[20:21], v[22:23]
	s_delay_alu instid0(VALU_DEP_2) | instskip(NEXT) | instid1(VALU_DEP_2)
	v_mov_b64_e32 v[18:19], v[204:205]
	v_mov_b64_e32 v[20:21], v[206:207]
	ds_store_b128 v27, v[204:207]
.LBB83_336:                             ;   in Loop: Header=BB83_3 Depth=1
	s_or_b32 exec_lo, exec_lo, s40
	s_wait_dscnt 0x0
	s_barrier_signal -1
	s_barrier_wait -1
	s_barrier_signal -1
	s_barrier_wait -1
	s_and_saveexec_b32 s40, s0
; %bb.337:                              ;   in Loop: Header=BB83_3 Depth=1
	s_delay_alu instid0(VALU_DEP_3) | instskip(NEXT) | instid1(VALU_DEP_2)
	v_xor_b32_e32 v19, 0x80000000, v19
	v_xor_b32_e32 v21, 0x80000000, v21
	ds_store_b128 v43, v[18:21] offset:10592
; %bb.338:                              ;   in Loop: Header=BB83_3 Depth=1
	s_or_b32 exec_lo, exec_lo, s40
	s_wait_dscnt 0x0
	s_barrier_signal -1
	s_barrier_wait -1
	s_barrier_signal -1
	s_barrier_wait -1
	s_and_saveexec_b32 s40, s65
	s_cbranch_execz .LBB83_340
; %bb.339:                              ;   in Loop: Header=BB83_3 Depth=1
	ds_load_b128 v[18:21], v99
	s_wait_dscnt 0x0
	ds_store_b128 v177, v[18:21]
	ds_load_b128 v[18:21], v100
	s_wait_dscnt 0x0
	ds_store_b128 v178, v[18:21]
.LBB83_340:                             ;   in Loop: Header=BB83_3 Depth=1
	s_or_b32 exec_lo, exec_lo, s40
	s_wait_dscnt 0x0
	s_barrier_signal -1
	s_barrier_wait -1
	s_and_saveexec_b32 s40, s29
	s_cbranch_execz .LBB83_342
; %bb.341:                              ;   in Loop: Header=BB83_3 Depth=1
	ds_load_b128 v[18:21], v2 offset:12144
	ds_load_b128 v[22:25], v2 offset:11616
	s_wait_dscnt 0x0
	v_mul_f64_e32 v[4:5], v[18:19], v[24:25]
	v_mul_f64_e32 v[24:25], v[20:21], v[24:25]
	s_delay_alu instid0(VALU_DEP_2) | instskip(NEXT) | instid1(VALU_DEP_2)
	v_fmac_f64_e32 v[4:5], v[20:21], v[22:23]
	v_fma_f64 v[24:25], v[18:19], v[22:23], -v[24:25]
	ds_load_b128 v[18:21], v2 offset:11632
	s_wait_dscnt 0x0
	v_mul_f64_e32 v[204:205], v[4:5], v[20:21]
	v_mul_f64_e32 v[22:23], v[24:25], v[20:21]
	s_delay_alu instid0(VALU_DEP_2) | instskip(NEXT) | instid1(VALU_DEP_2)
	v_fma_f64 v[20:21], v[18:19], v[24:25], -v[204:205]
	v_fmac_f64_e32 v[22:23], v[18:19], v[4:5]
	ds_store_b128 v2, v[20:23] offset:11632
	ds_store_b128 v2, v[20:23] offset:12128
.LBB83_342:                             ;   in Loop: Header=BB83_3 Depth=1
	s_or_b32 exec_lo, exec_lo, s40
	v_mov_b64_e32 v[20:21], 0
	v_mov_b64_e32 v[18:19], 0
	s_wait_dscnt 0x0
	s_barrier_signal -1
	s_barrier_wait -1
	s_and_saveexec_b32 s40, s3
	s_cbranch_execz .LBB83_352
; %bb.343:                              ;   in Loop: Header=BB83_3 Depth=1
	ds_load_b128 v[18:21], v54 offset:8448
	ds_load_b128 v[22:25], v59 offset:8576
	s_wait_dscnt 0x0
	v_mul_f64_e32 v[4:5], v[20:21], v[24:25]
	v_mul_f64_e32 v[24:25], v[18:19], v[24:25]
	s_delay_alu instid0(VALU_DEP_2) | instskip(NEXT) | instid1(VALU_DEP_2)
	v_fma_f64 v[4:5], v[18:19], v[22:23], -v[4:5]
	v_fmac_f64_e32 v[24:25], v[20:21], v[22:23]
	s_delay_alu instid0(VALU_DEP_2) | instskip(NEXT) | instid1(VALU_DEP_2)
	v_add_f64_e32 v[18:19], 0, v[4:5]
	v_add_f64_e32 v[20:21], 0, v[24:25]
	s_and_saveexec_b32 s41, s13
	s_cbranch_execnz .LBB83_566
; %bb.344:                              ;   in Loop: Header=BB83_3 Depth=1
	s_or_b32 exec_lo, exec_lo, s41
	s_and_saveexec_b32 s41, s14
	s_cbranch_execnz .LBB83_567
.LBB83_345:                             ;   in Loop: Header=BB83_3 Depth=1
	s_or_b32 exec_lo, exec_lo, s41
	s_and_saveexec_b32 s41, s15
	s_cbranch_execnz .LBB83_568
.LBB83_346:                             ;   in Loop: Header=BB83_3 Depth=1
	s_or_b32 exec_lo, exec_lo, s41
	s_and_saveexec_b32 s41, s16
	s_cbranch_execnz .LBB83_569
.LBB83_347:                             ;   in Loop: Header=BB83_3 Depth=1
	s_or_b32 exec_lo, exec_lo, s41
	s_and_saveexec_b32 s41, s17
	s_cbranch_execnz .LBB83_570
.LBB83_348:                             ;   in Loop: Header=BB83_3 Depth=1
	s_or_b32 exec_lo, exec_lo, s41
	s_and_saveexec_b32 s41, s2
	s_cbranch_execnz .LBB83_571
.LBB83_349:                             ;   in Loop: Header=BB83_3 Depth=1
	s_or_b32 exec_lo, exec_lo, s41
	s_and_saveexec_b32 s41, s12
	s_cbranch_execz .LBB83_351
.LBB83_350:                             ;   in Loop: Header=BB83_3 Depth=1
	ds_load_b128 v[22:25], v2 offset:8560
	ds_load_b128 v[204:207], v45 offset:12160
	s_wait_dscnt 0x0
	v_mul_f64_e32 v[4:5], v[24:25], v[206:207]
	s_delay_alu instid0(VALU_DEP_1) | instskip(SKIP_1) | instid1(VALU_DEP_2)
	v_fma_f64 v[4:5], v[22:23], v[204:205], -v[4:5]
	v_mul_f64_e32 v[22:23], v[22:23], v[206:207]
	v_add_f64_e32 v[18:19], v[18:19], v[4:5]
	s_delay_alu instid0(VALU_DEP_2) | instskip(NEXT) | instid1(VALU_DEP_1)
	v_fmac_f64_e32 v[22:23], v[24:25], v[204:205]
	v_add_f64_e32 v[20:21], v[20:21], v[22:23]
.LBB83_351:                             ;   in Loop: Header=BB83_3 Depth=1
	s_or_b32 exec_lo, exec_lo, s41
	s_delay_alu instid0(VALU_DEP_2) | instskip(NEXT) | instid1(VALU_DEP_2)
	v_xor_b32_e32 v19, 0x80000000, v19
	v_xor_b32_e32 v21, 0x80000000, v21
.LBB83_352:                             ;   in Loop: Header=BB83_3 Depth=1
	s_or_b32 exec_lo, exec_lo, s40
	s_and_saveexec_b32 s40, s73
	s_cbranch_execz .LBB83_354
; %bb.353:                              ;   in Loop: Header=BB83_3 Depth=1
	ds_load_b128 v[22:25], v2 offset:12672
	s_wait_dscnt 0x0
	v_mul_f64_e32 v[4:5], v[20:21], v[24:25]
	v_mul_f64_e32 v[206:207], v[18:19], v[24:25]
	s_delay_alu instid0(VALU_DEP_2) | instskip(NEXT) | instid1(VALU_DEP_2)
	v_fma_f64 v[204:205], v[18:19], v[22:23], -v[4:5]
	v_fmac_f64_e32 v[206:207], v[20:21], v[22:23]
	s_delay_alu instid0(VALU_DEP_2) | instskip(NEXT) | instid1(VALU_DEP_2)
	v_mov_b64_e32 v[18:19], v[204:205]
	v_mov_b64_e32 v[20:21], v[206:207]
	ds_store_b128 v58, v[204:207]
.LBB83_354:                             ;   in Loop: Header=BB83_3 Depth=1
	s_or_b32 exec_lo, exec_lo, s40
	s_wait_dscnt 0x0
	s_barrier_signal -1
	s_barrier_wait -1
	s_and_saveexec_b32 s40, s74
	s_cbranch_execz .LBB83_356
; %bb.355:                              ;   in Loop: Header=BB83_3 Depth=1
	ds_load_b128 v[22:25], v58
	ds_load_b128 v[204:207], v56 offset:12672
	s_wait_dscnt 0x0
	v_mul_f64_e32 v[4:5], v[24:25], v[206:207]
	s_delay_alu instid0(VALU_DEP_1) | instskip(SKIP_1) | instid1(VALU_DEP_2)
	v_fma_f64 v[4:5], v[22:23], v[204:205], -v[4:5]
	v_mul_f64_e32 v[22:23], v[22:23], v[206:207]
	v_add_f64_e32 v[18:19], v[18:19], v[4:5]
	s_delay_alu instid0(VALU_DEP_2) | instskip(NEXT) | instid1(VALU_DEP_1)
	v_fmac_f64_e32 v[22:23], v[24:25], v[204:205]
	v_add_f64_e32 v[20:21], v[20:21], v[22:23]
.LBB83_356:                             ;   in Loop: Header=BB83_3 Depth=1
	s_or_b32 exec_lo, exec_lo, s40
	s_barrier_signal -1
	s_barrier_wait -1
	s_and_saveexec_b32 s40, s75
	s_cbranch_execz .LBB83_358
; %bb.357:                              ;   in Loop: Header=BB83_3 Depth=1
	ds_load_b128 v[22:25], v2 offset:13200
	s_wait_dscnt 0x0
	v_mul_f64_e32 v[4:5], v[20:21], v[24:25]
	v_mul_f64_e32 v[206:207], v[18:19], v[24:25]
	s_delay_alu instid0(VALU_DEP_2) | instskip(NEXT) | instid1(VALU_DEP_2)
	v_fma_f64 v[204:205], v[18:19], v[22:23], -v[4:5]
	v_fmac_f64_e32 v[206:207], v[20:21], v[22:23]
	s_delay_alu instid0(VALU_DEP_2) | instskip(NEXT) | instid1(VALU_DEP_2)
	v_mov_b64_e32 v[18:19], v[204:205]
	v_mov_b64_e32 v[20:21], v[206:207]
	ds_store_b128 v58, v[204:207]
.LBB83_358:                             ;   in Loop: Header=BB83_3 Depth=1
	s_or_b32 exec_lo, exec_lo, s40
	s_wait_dscnt 0x0
	s_barrier_signal -1
	s_barrier_wait -1
	s_and_saveexec_b32 s40, s76
	s_cbranch_execz .LBB83_360
; %bb.359:                              ;   in Loop: Header=BB83_3 Depth=1
	ds_load_b128 v[22:25], v58
	ds_load_b128 v[204:207], v56 offset:13184
	s_wait_dscnt 0x0
	v_mul_f64_e32 v[4:5], v[24:25], v[206:207]
	s_delay_alu instid0(VALU_DEP_1) | instskip(SKIP_1) | instid1(VALU_DEP_2)
	v_fma_f64 v[4:5], v[22:23], v[204:205], -v[4:5]
	v_mul_f64_e32 v[22:23], v[22:23], v[206:207]
	v_add_f64_e32 v[18:19], v[18:19], v[4:5]
	s_delay_alu instid0(VALU_DEP_2) | instskip(NEXT) | instid1(VALU_DEP_1)
	v_fmac_f64_e32 v[22:23], v[24:25], v[204:205]
	v_add_f64_e32 v[20:21], v[20:21], v[22:23]
.LBB83_360:                             ;   in Loop: Header=BB83_3 Depth=1
	s_or_b32 exec_lo, exec_lo, s40
	s_barrier_signal -1
	s_barrier_wait -1
	;; [unrolled: 37-line block ×7, first 2 shown]
	s_and_saveexec_b32 s40, s86
	s_cbranch_execz .LBB83_382
; %bb.381:                              ;   in Loop: Header=BB83_3 Depth=1
	ds_load_b128 v[22:25], v2 offset:16368
	s_wait_dscnt 0x0
	v_mul_f64_e32 v[4:5], v[20:21], v[24:25]
	v_mul_f64_e32 v[206:207], v[18:19], v[24:25]
	s_delay_alu instid0(VALU_DEP_2) | instskip(NEXT) | instid1(VALU_DEP_2)
	v_fma_f64 v[204:205], v[18:19], v[22:23], -v[4:5]
	v_fmac_f64_e32 v[206:207], v[20:21], v[22:23]
	s_delay_alu instid0(VALU_DEP_2) | instskip(NEXT) | instid1(VALU_DEP_2)
	v_mov_b64_e32 v[18:19], v[204:205]
	v_mov_b64_e32 v[20:21], v[206:207]
	ds_store_b128 v58, v[204:207]
.LBB83_382:                             ;   in Loop: Header=BB83_3 Depth=1
	s_or_b32 exec_lo, exec_lo, s40
	s_wait_dscnt 0x0
	s_barrier_signal -1
	s_barrier_wait -1
	s_barrier_signal -1
	s_barrier_wait -1
	s_and_saveexec_b32 s40, s3
; %bb.383:                              ;   in Loop: Header=BB83_3 Depth=1
	s_delay_alu instid0(VALU_DEP_3) | instskip(NEXT) | instid1(VALU_DEP_2)
	v_xor_b32_e32 v19, 0x80000000, v19
	v_xor_b32_e32 v21, 0x80000000, v21
	ds_store_b128 v59, v[18:21] offset:8576
; %bb.384:                              ;   in Loop: Header=BB83_3 Depth=1
	s_or_b32 exec_lo, exec_lo, s40
	s_wait_dscnt 0x0
	s_barrier_signal -1
	s_barrier_wait -1
	s_barrier_signal -1
	s_barrier_wait -1
	s_and_saveexec_b32 s40, s87
	s_cbranch_execz .LBB83_386
; %bb.385:                              ;   in Loop: Header=BB83_3 Depth=1
	ds_load_b128 v[18:21], v73
	s_wait_dscnt 0x0
	ds_store_b128 v179, v[18:21]
	ds_load_b128 v[18:21], v74
	s_wait_dscnt 0x0
	ds_store_b128 v180, v[18:21]
	;; [unrolled: 3-line block ×8, first 2 shown]
.LBB83_386:                             ;   in Loop: Header=BB83_3 Depth=1
	s_or_b32 exec_lo, exec_lo, s40
	s_wait_dscnt 0x0
	s_barrier_signal -1
	s_barrier_wait -1
	s_and_saveexec_b32 s40, s29
	s_cbranch_execz .LBB83_388
; %bb.387:                              ;   in Loop: Header=BB83_3 Depth=1
	ds_load_b128 v[18:21], v2 offset:13200
	ds_load_b128 v[22:25], v2 offset:12672
	s_wait_dscnt 0x0
	v_mul_f64_e32 v[4:5], v[18:19], v[24:25]
	v_mul_f64_e32 v[24:25], v[20:21], v[24:25]
	s_delay_alu instid0(VALU_DEP_2) | instskip(NEXT) | instid1(VALU_DEP_2)
	v_fmac_f64_e32 v[4:5], v[20:21], v[22:23]
	v_fma_f64 v[24:25], v[18:19], v[22:23], -v[24:25]
	ds_load_b128 v[18:21], v2 offset:12688
	s_wait_dscnt 0x0
	v_mul_f64_e32 v[204:205], v[4:5], v[20:21]
	v_mul_f64_e32 v[22:23], v[24:25], v[20:21]
	s_delay_alu instid0(VALU_DEP_2) | instskip(NEXT) | instid1(VALU_DEP_2)
	v_fma_f64 v[20:21], v[18:19], v[24:25], -v[204:205]
	v_fmac_f64_e32 v[22:23], v[18:19], v[4:5]
	ds_store_b128 v2, v[20:23] offset:12688
	ds_store_b128 v2, v[20:23] offset:13184
.LBB83_388:                             ;   in Loop: Header=BB83_3 Depth=1
	s_or_b32 exec_lo, exec_lo, s40
	v_mov_b64_e32 v[20:21], 0
	v_mov_b64_e32 v[18:19], 0
	s_wait_dscnt 0x0
	s_barrier_signal -1
	s_barrier_wait -1
	s_and_saveexec_b32 s40, s0
	s_cbranch_execz .LBB83_392
; %bb.389:                              ;   in Loop: Header=BB83_3 Depth=1
	ds_load_b128 v[18:21], v44 offset:12672
	ds_load_b128 v[22:25], v43 offset:12704
	s_wait_dscnt 0x0
	v_mul_f64_e32 v[4:5], v[20:21], v[24:25]
	v_mul_f64_e32 v[24:25], v[18:19], v[24:25]
	s_delay_alu instid0(VALU_DEP_2) | instskip(NEXT) | instid1(VALU_DEP_2)
	v_fma_f64 v[4:5], v[18:19], v[22:23], -v[4:5]
	v_fmac_f64_e32 v[24:25], v[20:21], v[22:23]
	s_delay_alu instid0(VALU_DEP_2) | instskip(NEXT) | instid1(VALU_DEP_2)
	v_add_f64_e32 v[18:19], 0, v[4:5]
	v_add_f64_e32 v[20:21], 0, v[24:25]
	s_and_saveexec_b32 s41, s10
	s_cbranch_execz .LBB83_391
; %bb.390:                              ;   in Loop: Header=BB83_3 Depth=1
	ds_load_b128 v[22:25], v2 offset:12688
	ds_load_b128 v[204:207], v50 offset:13216
	s_wait_dscnt 0x0
	v_mul_f64_e32 v[4:5], v[24:25], v[206:207]
	s_delay_alu instid0(VALU_DEP_1) | instskip(SKIP_1) | instid1(VALU_DEP_2)
	v_fma_f64 v[4:5], v[22:23], v[204:205], -v[4:5]
	v_mul_f64_e32 v[22:23], v[22:23], v[206:207]
	v_add_f64_e32 v[18:19], v[18:19], v[4:5]
	s_delay_alu instid0(VALU_DEP_2) | instskip(NEXT) | instid1(VALU_DEP_1)
	v_fmac_f64_e32 v[22:23], v[24:25], v[204:205]
	v_add_f64_e32 v[20:21], v[20:21], v[22:23]
.LBB83_391:                             ;   in Loop: Header=BB83_3 Depth=1
	s_or_b32 exec_lo, exec_lo, s41
	s_delay_alu instid0(VALU_DEP_2) | instskip(NEXT) | instid1(VALU_DEP_2)
	v_xor_b32_e32 v19, 0x80000000, v19
	v_xor_b32_e32 v21, 0x80000000, v21
.LBB83_392:                             ;   in Loop: Header=BB83_3 Depth=1
	s_or_b32 exec_lo, exec_lo, s40
	s_and_saveexec_b32 s40, s63
	s_cbranch_execz .LBB83_394
; %bb.393:                              ;   in Loop: Header=BB83_3 Depth=1
	ds_load_b128 v[22:25], v2 offset:13728
	s_wait_dscnt 0x0
	v_mul_f64_e32 v[4:5], v[20:21], v[24:25]
	v_mul_f64_e32 v[206:207], v[18:19], v[24:25]
	s_delay_alu instid0(VALU_DEP_2) | instskip(NEXT) | instid1(VALU_DEP_2)
	v_fma_f64 v[204:205], v[18:19], v[22:23], -v[4:5]
	v_fmac_f64_e32 v[206:207], v[20:21], v[22:23]
	s_delay_alu instid0(VALU_DEP_2) | instskip(NEXT) | instid1(VALU_DEP_2)
	v_mov_b64_e32 v[18:19], v[204:205]
	v_mov_b64_e32 v[20:21], v[206:207]
	ds_store_b128 v27, v[204:207]
.LBB83_394:                             ;   in Loop: Header=BB83_3 Depth=1
	s_or_b32 exec_lo, exec_lo, s40
	s_wait_dscnt 0x0
	s_barrier_signal -1
	s_barrier_wait -1
	s_and_saveexec_b32 s40, s64
	s_cbranch_execz .LBB83_396
; %bb.395:                              ;   in Loop: Header=BB83_3 Depth=1
	ds_load_b128 v[22:25], v27
	ds_load_b128 v[204:207], v2 offset:13744
	s_wait_dscnt 0x0
	v_mul_f64_e32 v[4:5], v[24:25], v[206:207]
	s_delay_alu instid0(VALU_DEP_1) | instskip(SKIP_1) | instid1(VALU_DEP_2)
	v_fma_f64 v[4:5], v[22:23], v[204:205], -v[4:5]
	v_mul_f64_e32 v[22:23], v[22:23], v[206:207]
	v_add_f64_e32 v[18:19], v[18:19], v[4:5]
	s_delay_alu instid0(VALU_DEP_2) | instskip(NEXT) | instid1(VALU_DEP_1)
	v_fmac_f64_e32 v[22:23], v[24:25], v[204:205]
	v_add_f64_e32 v[20:21], v[20:21], v[22:23]
.LBB83_396:                             ;   in Loop: Header=BB83_3 Depth=1
	s_or_b32 exec_lo, exec_lo, s40
	s_barrier_signal -1
	s_barrier_wait -1
	s_and_saveexec_b32 s40, s64
	s_cbranch_execz .LBB83_398
; %bb.397:                              ;   in Loop: Header=BB83_3 Depth=1
	ds_load_b128 v[22:25], v2 offset:14256
	s_wait_dscnt 0x0
	v_mul_f64_e32 v[4:5], v[20:21], v[24:25]
	v_mul_f64_e32 v[206:207], v[18:19], v[24:25]
	s_delay_alu instid0(VALU_DEP_2) | instskip(NEXT) | instid1(VALU_DEP_2)
	v_fma_f64 v[204:205], v[18:19], v[22:23], -v[4:5]
	v_fmac_f64_e32 v[206:207], v[20:21], v[22:23]
	s_delay_alu instid0(VALU_DEP_2) | instskip(NEXT) | instid1(VALU_DEP_2)
	v_mov_b64_e32 v[18:19], v[204:205]
	v_mov_b64_e32 v[20:21], v[206:207]
	ds_store_b128 v27, v[204:207]
.LBB83_398:                             ;   in Loop: Header=BB83_3 Depth=1
	s_or_b32 exec_lo, exec_lo, s40
	s_wait_dscnt 0x0
	s_barrier_signal -1
	s_barrier_wait -1
	s_barrier_signal -1
	s_barrier_wait -1
	s_and_saveexec_b32 s40, s0
; %bb.399:                              ;   in Loop: Header=BB83_3 Depth=1
	s_delay_alu instid0(VALU_DEP_3) | instskip(NEXT) | instid1(VALU_DEP_2)
	v_xor_b32_e32 v19, 0x80000000, v19
	v_xor_b32_e32 v21, 0x80000000, v21
	ds_store_b128 v43, v[18:21] offset:12704
; %bb.400:                              ;   in Loop: Header=BB83_3 Depth=1
	s_or_b32 exec_lo, exec_lo, s40
	s_wait_dscnt 0x0
	s_barrier_signal -1
	s_barrier_wait -1
	s_barrier_signal -1
	s_barrier_wait -1
	s_and_saveexec_b32 s40, s65
	s_cbranch_execz .LBB83_402
; %bb.401:                              ;   in Loop: Header=BB83_3 Depth=1
	ds_load_b128 v[18:21], v90
	s_wait_dscnt 0x0
	ds_store_b128 v187, v[18:21]
	ds_load_b128 v[18:21], v91
	s_wait_dscnt 0x0
	ds_store_b128 v188, v[18:21]
.LBB83_402:                             ;   in Loop: Header=BB83_3 Depth=1
	s_or_b32 exec_lo, exec_lo, s40
	s_wait_dscnt 0x0
	s_barrier_signal -1
	s_barrier_wait -1
	s_and_saveexec_b32 s40, s29
	s_cbranch_execz .LBB83_404
; %bb.403:                              ;   in Loop: Header=BB83_3 Depth=1
	ds_load_b128 v[18:21], v2 offset:14256
	ds_load_b128 v[22:25], v2 offset:13728
	s_wait_dscnt 0x0
	v_mul_f64_e32 v[4:5], v[18:19], v[24:25]
	v_mul_f64_e32 v[24:25], v[20:21], v[24:25]
	s_delay_alu instid0(VALU_DEP_2) | instskip(NEXT) | instid1(VALU_DEP_2)
	v_fmac_f64_e32 v[4:5], v[20:21], v[22:23]
	v_fma_f64 v[24:25], v[18:19], v[22:23], -v[24:25]
	ds_load_b128 v[18:21], v2 offset:13744
	s_wait_dscnt 0x0
	v_mul_f64_e32 v[204:205], v[4:5], v[20:21]
	v_mul_f64_e32 v[22:23], v[24:25], v[20:21]
	s_delay_alu instid0(VALU_DEP_2) | instskip(NEXT) | instid1(VALU_DEP_2)
	v_fma_f64 v[20:21], v[18:19], v[24:25], -v[204:205]
	v_fmac_f64_e32 v[22:23], v[18:19], v[4:5]
	ds_store_b128 v2, v[20:23] offset:13744
	ds_store_b128 v2, v[20:23] offset:14240
.LBB83_404:                             ;   in Loop: Header=BB83_3 Depth=1
	s_or_b32 exec_lo, exec_lo, s40
	v_mov_b64_e32 v[20:21], 0
	v_mov_b64_e32 v[18:19], 0
	s_wait_dscnt 0x0
	s_barrier_signal -1
	s_barrier_wait -1
	s_and_saveexec_b32 s40, s2
	s_cbranch_execz .LBB83_410
; %bb.405:                              ;   in Loop: Header=BB83_3 Depth=1
	ds_load_b128 v[18:21], v46 offset:12672
	ds_load_b128 v[22:25], v52 offset:12736
	s_wait_dscnt 0x0
	v_mul_f64_e32 v[4:5], v[20:21], v[24:25]
	v_mul_f64_e32 v[24:25], v[18:19], v[24:25]
	s_delay_alu instid0(VALU_DEP_2) | instskip(NEXT) | instid1(VALU_DEP_2)
	v_fma_f64 v[4:5], v[18:19], v[22:23], -v[4:5]
	v_fmac_f64_e32 v[24:25], v[20:21], v[22:23]
	s_delay_alu instid0(VALU_DEP_2) | instskip(NEXT) | instid1(VALU_DEP_2)
	v_add_f64_e32 v[18:19], 0, v[4:5]
	v_add_f64_e32 v[20:21], 0, v[24:25]
	s_and_saveexec_b32 s41, s11
	s_cbranch_execnz .LBB83_572
; %bb.406:                              ;   in Loop: Header=BB83_3 Depth=1
	s_or_b32 exec_lo, exec_lo, s41
	s_and_saveexec_b32 s41, s12
	s_cbranch_execnz .LBB83_573
.LBB83_407:                             ;   in Loop: Header=BB83_3 Depth=1
	s_or_b32 exec_lo, exec_lo, s41
	s_and_saveexec_b32 s41, s0
	s_cbranch_execz .LBB83_409
.LBB83_408:                             ;   in Loop: Header=BB83_3 Depth=1
	ds_load_b128 v[22:25], v2 offset:12720
	ds_load_b128 v[204:207], v83 offset:14272
	s_wait_dscnt 0x0
	v_mul_f64_e32 v[4:5], v[24:25], v[206:207]
	s_delay_alu instid0(VALU_DEP_1) | instskip(SKIP_1) | instid1(VALU_DEP_2)
	v_fma_f64 v[4:5], v[22:23], v[204:205], -v[4:5]
	v_mul_f64_e32 v[22:23], v[22:23], v[206:207]
	v_add_f64_e32 v[18:19], v[18:19], v[4:5]
	s_delay_alu instid0(VALU_DEP_2) | instskip(NEXT) | instid1(VALU_DEP_1)
	v_fmac_f64_e32 v[22:23], v[24:25], v[204:205]
	v_add_f64_e32 v[20:21], v[20:21], v[22:23]
.LBB83_409:                             ;   in Loop: Header=BB83_3 Depth=1
	s_or_b32 exec_lo, exec_lo, s41
	s_delay_alu instid0(VALU_DEP_2) | instskip(NEXT) | instid1(VALU_DEP_2)
	v_xor_b32_e32 v19, 0x80000000, v19
	v_xor_b32_e32 v21, 0x80000000, v21
.LBB83_410:                             ;   in Loop: Header=BB83_3 Depth=1
	s_or_b32 exec_lo, exec_lo, s40
	s_and_saveexec_b32 s40, s66
	s_cbranch_execz .LBB83_412
; %bb.411:                              ;   in Loop: Header=BB83_3 Depth=1
	ds_load_b128 v[22:25], v2 offset:14784
	s_wait_dscnt 0x0
	v_mul_f64_e32 v[4:5], v[20:21], v[24:25]
	v_mul_f64_e32 v[206:207], v[18:19], v[24:25]
	s_delay_alu instid0(VALU_DEP_2) | instskip(NEXT) | instid1(VALU_DEP_2)
	v_fma_f64 v[204:205], v[18:19], v[22:23], -v[4:5]
	v_fmac_f64_e32 v[206:207], v[20:21], v[22:23]
	s_delay_alu instid0(VALU_DEP_2) | instskip(NEXT) | instid1(VALU_DEP_2)
	v_mov_b64_e32 v[18:19], v[204:205]
	v_mov_b64_e32 v[20:21], v[206:207]
	ds_store_b128 v51, v[204:207]
.LBB83_412:                             ;   in Loop: Header=BB83_3 Depth=1
	s_or_b32 exec_lo, exec_lo, s40
	s_wait_dscnt 0x0
	s_barrier_signal -1
	s_barrier_wait -1
	s_and_saveexec_b32 s40, s67
	s_cbranch_execz .LBB83_414
; %bb.413:                              ;   in Loop: Header=BB83_3 Depth=1
	ds_load_b128 v[22:25], v51
	ds_load_b128 v[204:207], v49 offset:14784
	s_wait_dscnt 0x0
	v_mul_f64_e32 v[4:5], v[24:25], v[206:207]
	s_delay_alu instid0(VALU_DEP_1) | instskip(SKIP_1) | instid1(VALU_DEP_2)
	v_fma_f64 v[4:5], v[22:23], v[204:205], -v[4:5]
	v_mul_f64_e32 v[22:23], v[22:23], v[206:207]
	v_add_f64_e32 v[18:19], v[18:19], v[4:5]
	s_delay_alu instid0(VALU_DEP_2) | instskip(NEXT) | instid1(VALU_DEP_1)
	v_fmac_f64_e32 v[22:23], v[24:25], v[204:205]
	v_add_f64_e32 v[20:21], v[20:21], v[22:23]
.LBB83_414:                             ;   in Loop: Header=BB83_3 Depth=1
	s_or_b32 exec_lo, exec_lo, s40
	s_barrier_signal -1
	s_barrier_wait -1
	s_and_saveexec_b32 s40, s68
	s_cbranch_execz .LBB83_416
; %bb.415:                              ;   in Loop: Header=BB83_3 Depth=1
	ds_load_b128 v[22:25], v2 offset:15312
	s_wait_dscnt 0x0
	v_mul_f64_e32 v[4:5], v[20:21], v[24:25]
	v_mul_f64_e32 v[206:207], v[18:19], v[24:25]
	s_delay_alu instid0(VALU_DEP_2) | instskip(NEXT) | instid1(VALU_DEP_2)
	v_fma_f64 v[204:205], v[18:19], v[22:23], -v[4:5]
	v_fmac_f64_e32 v[206:207], v[20:21], v[22:23]
	s_delay_alu instid0(VALU_DEP_2) | instskip(NEXT) | instid1(VALU_DEP_2)
	v_mov_b64_e32 v[18:19], v[204:205]
	v_mov_b64_e32 v[20:21], v[206:207]
	ds_store_b128 v51, v[204:207]
.LBB83_416:                             ;   in Loop: Header=BB83_3 Depth=1
	s_or_b32 exec_lo, exec_lo, s40
	s_wait_dscnt 0x0
	s_barrier_signal -1
	s_barrier_wait -1
	s_and_saveexec_b32 s40, s69
	s_cbranch_execz .LBB83_418
; %bb.417:                              ;   in Loop: Header=BB83_3 Depth=1
	ds_load_b128 v[22:25], v51
	ds_load_b128 v[204:207], v49 offset:15296
	s_wait_dscnt 0x0
	v_mul_f64_e32 v[4:5], v[24:25], v[206:207]
	s_delay_alu instid0(VALU_DEP_1) | instskip(SKIP_1) | instid1(VALU_DEP_2)
	v_fma_f64 v[4:5], v[22:23], v[204:205], -v[4:5]
	v_mul_f64_e32 v[22:23], v[22:23], v[206:207]
	v_add_f64_e32 v[18:19], v[18:19], v[4:5]
	s_delay_alu instid0(VALU_DEP_2) | instskip(NEXT) | instid1(VALU_DEP_1)
	v_fmac_f64_e32 v[22:23], v[24:25], v[204:205]
	v_add_f64_e32 v[20:21], v[20:21], v[22:23]
.LBB83_418:                             ;   in Loop: Header=BB83_3 Depth=1
	s_or_b32 exec_lo, exec_lo, s40
	s_barrier_signal -1
	s_barrier_wait -1
	;; [unrolled: 37-line block ×3, first 2 shown]
	s_and_saveexec_b32 s40, s71
	s_cbranch_execz .LBB83_424
; %bb.423:                              ;   in Loop: Header=BB83_3 Depth=1
	ds_load_b128 v[22:25], v2 offset:16368
	s_wait_dscnt 0x0
	v_mul_f64_e32 v[4:5], v[20:21], v[24:25]
	v_mul_f64_e32 v[206:207], v[18:19], v[24:25]
	s_delay_alu instid0(VALU_DEP_2) | instskip(NEXT) | instid1(VALU_DEP_2)
	v_fma_f64 v[204:205], v[18:19], v[22:23], -v[4:5]
	v_fmac_f64_e32 v[206:207], v[20:21], v[22:23]
	s_delay_alu instid0(VALU_DEP_2) | instskip(NEXT) | instid1(VALU_DEP_2)
	v_mov_b64_e32 v[18:19], v[204:205]
	v_mov_b64_e32 v[20:21], v[206:207]
	ds_store_b128 v51, v[204:207]
.LBB83_424:                             ;   in Loop: Header=BB83_3 Depth=1
	s_or_b32 exec_lo, exec_lo, s40
	s_wait_dscnt 0x0
	s_barrier_signal -1
	s_barrier_wait -1
	s_barrier_signal -1
	s_barrier_wait -1
	s_and_saveexec_b32 s40, s2
; %bb.425:                              ;   in Loop: Header=BB83_3 Depth=1
	s_delay_alu instid0(VALU_DEP_1) | instskip(NEXT) | instid1(VALU_DEP_4)
	v_xor_b32_e32 v21, 0x80000000, v21
	v_xor_b32_e32 v19, 0x80000000, v19
	ds_store_b128 v52, v[18:21] offset:12736
; %bb.426:                              ;   in Loop: Header=BB83_3 Depth=1
	s_or_b32 exec_lo, exec_lo, s40
	s_wait_dscnt 0x0
	s_barrier_signal -1
	s_barrier_wait -1
	s_barrier_signal -1
	s_barrier_wait -1
	s_and_saveexec_b32 s40, s72
	s_cbranch_execz .LBB83_428
; %bb.427:                              ;   in Loop: Header=BB83_3 Depth=1
	ds_load_b128 v[18:21], v101
	s_wait_dscnt 0x0
	ds_store_b128 v189, v[18:21]
	ds_load_b128 v[18:21], v104
	s_wait_dscnt 0x0
	ds_store_b128 v195, v[18:21]
	;; [unrolled: 3-line block ×4, first 2 shown]
.LBB83_428:                             ;   in Loop: Header=BB83_3 Depth=1
	s_or_b32 exec_lo, exec_lo, s40
	s_wait_dscnt 0x0
	s_barrier_signal -1
	s_barrier_wait -1
	s_and_saveexec_b32 s40, s29
	s_cbranch_execz .LBB83_430
; %bb.429:                              ;   in Loop: Header=BB83_3 Depth=1
	ds_load_b128 v[18:21], v2 offset:15312
	ds_load_b128 v[22:25], v2 offset:14784
	s_wait_dscnt 0x0
	v_mul_f64_e32 v[4:5], v[18:19], v[24:25]
	v_mul_f64_e32 v[24:25], v[20:21], v[24:25]
	s_delay_alu instid0(VALU_DEP_2) | instskip(NEXT) | instid1(VALU_DEP_2)
	v_fmac_f64_e32 v[4:5], v[20:21], v[22:23]
	v_fma_f64 v[24:25], v[18:19], v[22:23], -v[24:25]
	ds_load_b128 v[18:21], v2 offset:14800
	s_wait_dscnt 0x0
	v_mul_f64_e32 v[204:205], v[4:5], v[20:21]
	v_mul_f64_e32 v[22:23], v[24:25], v[20:21]
	s_delay_alu instid0(VALU_DEP_2) | instskip(NEXT) | instid1(VALU_DEP_2)
	v_fma_f64 v[20:21], v[18:19], v[24:25], -v[204:205]
	v_fmac_f64_e32 v[22:23], v[18:19], v[4:5]
	ds_store_b128 v2, v[20:23] offset:14800
	ds_store_b128 v2, v[20:23] offset:15296
.LBB83_430:                             ;   in Loop: Header=BB83_3 Depth=1
	s_or_b32 exec_lo, exec_lo, s40
	v_mov_b64_e32 v[20:21], 0
	v_mov_b64_e32 v[18:19], 0
	s_wait_dscnt 0x0
	s_barrier_signal -1
	s_barrier_wait -1
	s_and_saveexec_b32 s40, s0
	s_cbranch_execz .LBB83_434
; %bb.431:                              ;   in Loop: Header=BB83_3 Depth=1
	ds_load_b128 v[18:21], v44 offset:14784
	ds_load_b128 v[22:25], v43 offset:14816
	s_wait_dscnt 0x0
	v_mul_f64_e32 v[4:5], v[20:21], v[24:25]
	v_mul_f64_e32 v[24:25], v[18:19], v[24:25]
	s_delay_alu instid0(VALU_DEP_2) | instskip(NEXT) | instid1(VALU_DEP_2)
	v_fma_f64 v[4:5], v[18:19], v[22:23], -v[4:5]
	v_fmac_f64_e32 v[24:25], v[20:21], v[22:23]
	s_delay_alu instid0(VALU_DEP_2) | instskip(NEXT) | instid1(VALU_DEP_2)
	v_add_f64_e32 v[18:19], 0, v[4:5]
	v_add_f64_e32 v[20:21], 0, v[24:25]
	s_and_saveexec_b32 s41, s10
	s_cbranch_execz .LBB83_433
; %bb.432:                              ;   in Loop: Header=BB83_3 Depth=1
	ds_load_b128 v[22:25], v2 offset:14800
	ds_load_b128 v[204:207], v94 offset:15328
	s_wait_dscnt 0x0
	v_mul_f64_e32 v[4:5], v[24:25], v[206:207]
	s_delay_alu instid0(VALU_DEP_1) | instskip(SKIP_1) | instid1(VALU_DEP_2)
	v_fma_f64 v[4:5], v[22:23], v[204:205], -v[4:5]
	v_mul_f64_e32 v[22:23], v[22:23], v[206:207]
	v_add_f64_e32 v[18:19], v[18:19], v[4:5]
	s_delay_alu instid0(VALU_DEP_2) | instskip(NEXT) | instid1(VALU_DEP_1)
	v_fmac_f64_e32 v[22:23], v[24:25], v[204:205]
	v_add_f64_e32 v[20:21], v[20:21], v[22:23]
.LBB83_433:                             ;   in Loop: Header=BB83_3 Depth=1
	s_or_b32 exec_lo, exec_lo, s41
	s_delay_alu instid0(VALU_DEP_2) | instskip(NEXT) | instid1(VALU_DEP_2)
	v_xor_b32_e32 v19, 0x80000000, v19
	v_xor_b32_e32 v21, 0x80000000, v21
.LBB83_434:                             ;   in Loop: Header=BB83_3 Depth=1
	s_or_b32 exec_lo, exec_lo, s40
	s_and_saveexec_b32 s40, s63
	s_cbranch_execz .LBB83_436
; %bb.435:                              ;   in Loop: Header=BB83_3 Depth=1
	ds_load_b128 v[22:25], v2 offset:15840
	s_wait_dscnt 0x0
	v_mul_f64_e32 v[4:5], v[20:21], v[24:25]
	v_mul_f64_e32 v[206:207], v[18:19], v[24:25]
	s_delay_alu instid0(VALU_DEP_2) | instskip(NEXT) | instid1(VALU_DEP_2)
	v_fma_f64 v[204:205], v[18:19], v[22:23], -v[4:5]
	v_fmac_f64_e32 v[206:207], v[20:21], v[22:23]
	s_delay_alu instid0(VALU_DEP_2) | instskip(NEXT) | instid1(VALU_DEP_2)
	v_mov_b64_e32 v[18:19], v[204:205]
	v_mov_b64_e32 v[20:21], v[206:207]
	ds_store_b128 v27, v[204:207]
.LBB83_436:                             ;   in Loop: Header=BB83_3 Depth=1
	s_or_b32 exec_lo, exec_lo, s40
	s_wait_dscnt 0x0
	s_barrier_signal -1
	s_barrier_wait -1
	s_and_saveexec_b32 s40, s64
	s_cbranch_execz .LBB83_438
; %bb.437:                              ;   in Loop: Header=BB83_3 Depth=1
	ds_load_b128 v[22:25], v27
	ds_load_b128 v[204:207], v2 offset:15856
	s_wait_dscnt 0x0
	v_mul_f64_e32 v[4:5], v[24:25], v[206:207]
	s_delay_alu instid0(VALU_DEP_1) | instskip(SKIP_1) | instid1(VALU_DEP_2)
	v_fma_f64 v[4:5], v[22:23], v[204:205], -v[4:5]
	v_mul_f64_e32 v[22:23], v[22:23], v[206:207]
	v_add_f64_e32 v[18:19], v[18:19], v[4:5]
	s_delay_alu instid0(VALU_DEP_2) | instskip(NEXT) | instid1(VALU_DEP_1)
	v_fmac_f64_e32 v[22:23], v[24:25], v[204:205]
	v_add_f64_e32 v[20:21], v[20:21], v[22:23]
.LBB83_438:                             ;   in Loop: Header=BB83_3 Depth=1
	s_or_b32 exec_lo, exec_lo, s40
	s_barrier_signal -1
	s_barrier_wait -1
	s_and_saveexec_b32 s40, s64
	s_cbranch_execz .LBB83_440
; %bb.439:                              ;   in Loop: Header=BB83_3 Depth=1
	ds_load_b128 v[22:25], v2 offset:16368
	s_wait_dscnt 0x0
	v_mul_f64_e32 v[4:5], v[20:21], v[24:25]
	v_mul_f64_e32 v[206:207], v[18:19], v[24:25]
	s_delay_alu instid0(VALU_DEP_2) | instskip(NEXT) | instid1(VALU_DEP_2)
	v_fma_f64 v[204:205], v[18:19], v[22:23], -v[4:5]
	v_fmac_f64_e32 v[206:207], v[20:21], v[22:23]
	s_delay_alu instid0(VALU_DEP_2) | instskip(NEXT) | instid1(VALU_DEP_2)
	v_mov_b64_e32 v[18:19], v[204:205]
	v_mov_b64_e32 v[20:21], v[206:207]
	ds_store_b128 v27, v[204:207]
.LBB83_440:                             ;   in Loop: Header=BB83_3 Depth=1
	s_or_b32 exec_lo, exec_lo, s40
	s_wait_dscnt 0x0
	s_barrier_signal -1
	s_barrier_wait -1
	s_barrier_signal -1
	s_barrier_wait -1
	s_and_saveexec_b32 s40, s0
; %bb.441:                              ;   in Loop: Header=BB83_3 Depth=1
	s_delay_alu instid0(VALU_DEP_3) | instskip(NEXT) | instid1(VALU_DEP_2)
	v_xor_b32_e32 v19, 0x80000000, v19
	v_xor_b32_e32 v21, 0x80000000, v21
	ds_store_b128 v43, v[18:21] offset:14816
; %bb.442:                              ;   in Loop: Header=BB83_3 Depth=1
	s_or_b32 exec_lo, exec_lo, s40
	s_wait_dscnt 0x0
	s_barrier_signal -1
	s_barrier_wait -1
	s_barrier_signal -1
	s_barrier_wait -1
	s_and_saveexec_b32 s40, s65
	s_cbranch_execz .LBB83_444
; %bb.443:                              ;   in Loop: Header=BB83_3 Depth=1
	ds_load_b128 v[18:21], v107
	s_wait_dscnt 0x0
	ds_store_b128 v111, v[18:21]
	ds_load_b128 v[18:21], v108
	s_wait_dscnt 0x0
	ds_store_b128 v112, v[18:21]
.LBB83_444:                             ;   in Loop: Header=BB83_3 Depth=1
	s_or_b32 exec_lo, exec_lo, s40
	s_wait_dscnt 0x0
	s_barrier_signal -1
	s_barrier_wait -1
	s_and_saveexec_b32 s40, s29
	s_cbranch_execz .LBB83_446
; %bb.445:                              ;   in Loop: Header=BB83_3 Depth=1
	ds_load_b128 v[18:21], v2 offset:16368
	ds_load_b128 v[22:25], v2 offset:15840
	s_wait_dscnt 0x0
	v_mul_f64_e32 v[4:5], v[18:19], v[24:25]
	v_mul_f64_e32 v[24:25], v[20:21], v[24:25]
	s_delay_alu instid0(VALU_DEP_2) | instskip(NEXT) | instid1(VALU_DEP_2)
	v_fmac_f64_e32 v[4:5], v[20:21], v[22:23]
	v_fma_f64 v[24:25], v[18:19], v[22:23], -v[24:25]
	ds_load_b128 v[18:21], v2 offset:15856
	s_wait_dscnt 0x0
	v_mul_f64_e32 v[204:205], v[4:5], v[20:21]
	v_mul_f64_e32 v[22:23], v[24:25], v[20:21]
	s_delay_alu instid0(VALU_DEP_2) | instskip(NEXT) | instid1(VALU_DEP_2)
	v_fma_f64 v[20:21], v[18:19], v[24:25], -v[204:205]
	v_fmac_f64_e32 v[22:23], v[18:19], v[4:5]
	ds_store_b128 v2, v[20:23] offset:15856
	ds_store_b128 v2, v[20:23] offset:16352
.LBB83_446:                             ;   in Loop: Header=BB83_3 Depth=1
	s_or_b32 exec_lo, exec_lo, s40
.LBB83_447:                             ;   in Loop: Header=BB83_3 Depth=1
	v_mov_b64_e32 v[18:19], 0
	v_mov_b64_e32 v[20:21], 0
	s_mul_u64 s[40:41], s[52:53], s[56:57]
	s_wait_dscnt 0x0
	s_lshl_b64 s[40:41], s[40:41], 4
	s_barrier_signal -1
	s_add_nc_u64 s[40:41], s[38:39], s[40:41]
	s_barrier_wait -1
	s_and_saveexec_b32 s46, s9
	s_cbranch_execz .LBB83_449
; %bb.448:                              ;   in Loop: Header=BB83_3 Depth=1
	v_lshl_add_u64 v[4:5], v[32:33], 4, s[40:41]
	global_load_b128 v[20:23], v[4:5], off
	s_wait_loadcnt 0x0
	v_mul_f64_e32 v[4:5], v[14:15], v[20:21]
	s_delay_alu instid0(VALU_DEP_1) | instskip(SKIP_1) | instid1(VALU_DEP_1)
	v_fma_f64 v[18:19], v[16:17], v[22:23], -v[4:5]
	v_mul_f64_e32 v[4:5], v[14:15], v[22:23]
	v_fma_f64 v[20:21], v[20:21], -v[16:17], -v[4:5]
.LBB83_449:                             ;   in Loop: Header=BB83_3 Depth=1
	s_or_b32 exec_lo, exec_lo, s46
	s_delay_alu instid0(SALU_CYCLE_1)
	s_and_not1_b32 vcc_lo, exec_lo, s88
	s_cbranch_vccnz .LBB83_472
; %bb.450:                              ;   in Loop: Header=BB83_3 Depth=1
	v_mov_b32_e32 v24, -1
	s_lshl_b64 s[46:47], s[56:57], 2
	s_mov_b32 s94, 0
	s_add_nc_u64 s[46:47], s[54:55], s[46:47]
	s_branch .LBB83_453
.LBB83_451:                             ;   in Loop: Header=BB83_453 Depth=2
	ds_load_b128 v[204:207], v129 offset:256
	s_wait_loadcnt_dscnt 0x0
	v_mul_f64_e32 v[4:5], v[16:17], v[206:207]
	s_delay_alu instid0(VALU_DEP_1) | instskip(SKIP_1) | instid1(VALU_DEP_2)
	v_fma_f64 v[4:5], v[14:15], v[204:205], -v[4:5]
	v_mul_f64_e32 v[14:15], v[14:15], v[206:207]
	v_add_f64_e32 v[18:19], v[18:19], v[4:5]
	s_delay_alu instid0(VALU_DEP_2) | instskip(NEXT) | instid1(VALU_DEP_1)
	v_fmac_f64_e32 v[14:15], v[16:17], v[204:205]
	v_add_f64_e32 v[20:21], v[20:21], v[14:15]
.LBB83_452:                             ;   in Loop: Header=BB83_453 Depth=2
	s_or_b32 exec_lo, exec_lo, s95
	s_add_co_i32 s94, s94, 1
	s_delay_alu instid0(SALU_CYCLE_1)
	s_cmp_eq_u32 s94, s48
	s_cbranch_scc1 .LBB83_472
.LBB83_453:                             ;   Parent Loop BB83_3 Depth=1
                                        ; =>  This Loop Header: Depth=2
                                        ;       Child Loop BB83_455 Depth 3
	v_cmp_gt_i32_e32 vcc_lo, s94, v24
	s_and_b32 s96, s33, vcc_lo
	s_delay_alu instid0(SALU_CYCLE_1)
	s_and_saveexec_b32 s95, s96
	s_cbranch_execz .LBB83_456
; %bb.454:                              ;   in Loop: Header=BB83_453 Depth=2
	global_load_b32 v24, v2, s[46:47]
	s_wait_loadcnt 0x0
	v_cmp_le_i32_e32 vcc_lo, s94, v24
	s_cbranch_vccnz .LBB83_456
.LBB83_455:                             ;   Parent Loop BB83_3 Depth=1
                                        ;     Parent Loop BB83_453 Depth=2
                                        ; =>    This Inner Loop Header: Depth=3
	global_wb scope:SCOPE_DEV
	s_wait_storecnt 0x0
	global_inv scope:SCOPE_DEV
	global_load_b32 v24, v2, s[46:47]
	s_wait_loadcnt 0x0
	v_cmp_gt_i32_e32 vcc_lo, s94, v24
	s_cbranch_vccnz .LBB83_455
.LBB83_456:                             ;   in Loop: Header=BB83_453 Depth=2
	s_or_b32 exec_lo, exec_lo, s95
	s_sub_co_i32 s95, s49, s94
	global_wb scope:SCOPE_DEV
	s_wait_storecnt 0x0
	global_inv scope:SCOPE_DEV
	s_lshl_b32 s96, s95, 5
	s_wait_loadcnt 0x0
	s_barrier_signal -1
	s_barrier_wait -1
	s_and_saveexec_b32 s97, s34
	s_cbranch_execz .LBB83_461
; %bb.457:                              ;   in Loop: Header=BB83_453 Depth=2
	s_ashr_i32 vcc_lo, s96, 31
	s_delay_alu instid0(SALU_CYCLE_1) | instskip(NEXT) | instid1(VALU_DEP_1)
	v_dual_mov_b32 v5, vcc_lo :: v_dual_bitop2_b32 v4, s96, v28 bitop3:0x54
	v_cmp_le_i64_e32 vcc_lo, s[58:59], v[4:5]
	s_and_saveexec_b32 s98, vcc_lo
	s_delay_alu instid0(SALU_CYCLE_1)
	s_xor_b32 vcc_lo, exec_lo, s98
; %bb.458:                              ;   in Loop: Header=BB83_453 Depth=2
	v_dual_mov_b32 v3, v2 :: v_dual_mov_b32 v4, v2
	v_mov_b32_e32 v5, v2
	ds_store_b128 v198, v[2:5]
                                        ; implicit-def: $vgpr4_vgpr5
; %bb.459:                              ;   in Loop: Header=BB83_453 Depth=2
	s_and_not1_saveexec_b32 s98, vcc_lo
	s_cbranch_execz .LBB83_461
; %bb.460:                              ;   in Loop: Header=BB83_453 Depth=2
	v_mul_u64_e32 v[4:5], s[50:51], v[4:5]
	s_delay_alu instid0(VALU_DEP_1)
	v_lshl_add_u64 v[4:5], v[4:5], 4, s[40:41]
	global_load_b128 v[14:17], v[4:5], off
	s_wait_loadcnt 0x0
	ds_store_2addr_b64 v198, v[14:15], v[16:17] offset1:1
.LBB83_461:                             ;   in Loop: Header=BB83_453 Depth=2
	s_or_b32 exec_lo, exec_lo, s97
	v_add_nc_u32_e32 v14, s96, v42
	s_cmp_lg_u32 s95, s89
	s_wait_dscnt 0x0
	s_cselect_b32 s96, -1, 0
	s_barrier_signal -1
	v_ashrrev_i32_e32 v15, 31, v14
	v_cmp_gt_i32_e32 vcc_lo, s58, v14
	v_cndmask_b32_e64 v3, 0, 1, s96
	s_barrier_wait -1
	s_delay_alu instid0(VALU_DEP_3) | instskip(SKIP_1) | instid1(SALU_CYCLE_1)
	v_lshl_add_u64 v[4:5], v[14:15], 4, v[40:41]
	s_and_b32 s97, vcc_lo, s5
	s_and_saveexec_b32 s95, s97
	s_cbranch_execz .LBB83_467
; %bb.462:                              ;   in Loop: Header=BB83_453 Depth=2
	v_mov_b64_e32 v[16:17], v[6:7]
	s_and_not1_b32 vcc_lo, exec_lo, s96
	s_cbranch_vccnz .LBB83_464
; %bb.463:                              ;   in Loop: Header=BB83_453 Depth=2
	global_load_b64 v[16:17], v[4:5], off
.LBB83_464:                             ;   in Loop: Header=BB83_453 Depth=2
	v_cmp_ne_u32_e32 vcc_lo, 1, v3
	v_mov_b64_e32 v[22:23], v[8:9]
	s_cbranch_vccnz .LBB83_466
; %bb.465:                              ;   in Loop: Header=BB83_453 Depth=2
	global_load_b64 v[22:23], v[4:5], off offset:8
.LBB83_466:                             ;   in Loop: Header=BB83_453 Depth=2
	ds_load_b128 v[204:207], v129
	s_wait_loadcnt_dscnt 0x0
	v_mul_f64_e32 v[208:209], v[22:23], v[206:207]
	s_delay_alu instid0(VALU_DEP_1) | instskip(SKIP_1) | instid1(VALU_DEP_2)
	v_fma_f64 v[208:209], v[16:17], v[204:205], -v[208:209]
	v_mul_f64_e32 v[16:17], v[16:17], v[206:207]
	v_add_f64_e32 v[18:19], v[18:19], v[208:209]
	s_delay_alu instid0(VALU_DEP_2) | instskip(NEXT) | instid1(VALU_DEP_1)
	v_fmac_f64_e32 v[16:17], v[22:23], v[204:205]
	v_add_f64_e32 v[20:21], v[20:21], v[16:17]
.LBB83_467:                             ;   in Loop: Header=BB83_453 Depth=2
	s_or_b32 exec_lo, exec_lo, s95
	v_add_nc_u32_e32 v14, 16, v14
	s_delay_alu instid0(VALU_DEP_1) | instskip(SKIP_1) | instid1(SALU_CYCLE_1)
	v_cmp_gt_i32_e32 vcc_lo, s58, v14
	s_and_b32 s96, vcc_lo, s5
	s_and_saveexec_b32 s95, s96
	s_cbranch_execz .LBB83_452
; %bb.468:                              ;   in Loop: Header=BB83_453 Depth=2
	v_cmp_ne_u32_e32 vcc_lo, 1, v3
	v_mov_b64_e32 v[14:15], v[10:11]
	s_cbranch_vccnz .LBB83_470
; %bb.469:                              ;   in Loop: Header=BB83_453 Depth=2
	global_load_b64 v[14:15], v[4:5], off offset:256
.LBB83_470:                             ;   in Loop: Header=BB83_453 Depth=2
	v_cmp_ne_u32_e32 vcc_lo, 1, v3
	v_mov_b64_e32 v[16:17], v[12:13]
	s_cbranch_vccnz .LBB83_451
; %bb.471:                              ;   in Loop: Header=BB83_453 Depth=2
	global_load_b64 v[16:17], v[4:5], off offset:264
	s_branch .LBB83_451
.LBB83_472:                             ;   in Loop: Header=BB83_3 Depth=1
	ds_store_b128 v199, v[18:21]
	s_wait_dscnt 0x0
	s_barrier_signal -1
	s_barrier_wait -1
	s_and_saveexec_b32 s46, s1
	s_cbranch_execz .LBB83_474
; %bb.473:                              ;   in Loop: Header=BB83_3 Depth=1
	ds_load_b128 v[14:17], v200 offset:512
	s_wait_dscnt 0x0
	v_add_f64_e32 v[4:5], v[18:19], v[14:15]
	v_add_f64_e32 v[18:19], v[20:21], v[16:17]
	ds_load_b128 v[14:17], v200 offset:1024
	s_wait_dscnt 0x0
	v_add_f64_e32 v[4:5], v[4:5], v[14:15]
	v_add_f64_e32 v[18:19], v[18:19], v[16:17]
	ds_load_b128 v[14:17], v200 offset:1536
	s_wait_dscnt 0x0
	v_add_f64_e32 v[4:5], v[4:5], v[14:15]
	v_add_f64_e32 v[18:19], v[18:19], v[16:17]
	ds_load_b128 v[14:17], v200 offset:2048
	s_wait_dscnt 0x0
	v_add_f64_e32 v[4:5], v[4:5], v[14:15]
	v_add_f64_e32 v[18:19], v[18:19], v[16:17]
	ds_load_b128 v[14:17], v200 offset:2560
	s_wait_dscnt 0x0
	v_add_f64_e32 v[4:5], v[4:5], v[14:15]
	v_add_f64_e32 v[18:19], v[18:19], v[16:17]
	ds_load_b128 v[14:17], v200 offset:3072
	s_wait_dscnt 0x0
	v_add_f64_e32 v[4:5], v[4:5], v[14:15]
	v_add_f64_e32 v[18:19], v[18:19], v[16:17]
	ds_load_b128 v[14:17], v200 offset:3584
	s_wait_dscnt 0x0
	v_add_f64_e32 v[4:5], v[4:5], v[14:15]
	v_add_f64_e32 v[18:19], v[18:19], v[16:17]
	ds_load_b128 v[14:17], v200 offset:4096
	s_wait_dscnt 0x0
	v_add_f64_e32 v[4:5], v[4:5], v[14:15]
	v_add_f64_e32 v[18:19], v[18:19], v[16:17]
	ds_load_b128 v[14:17], v200 offset:4608
	s_wait_dscnt 0x0
	v_add_f64_e32 v[4:5], v[4:5], v[14:15]
	v_add_f64_e32 v[18:19], v[18:19], v[16:17]
	ds_load_b128 v[14:17], v200 offset:5120
	s_wait_dscnt 0x0
	v_add_f64_e32 v[4:5], v[4:5], v[14:15]
	v_add_f64_e32 v[18:19], v[18:19], v[16:17]
	ds_load_b128 v[14:17], v200 offset:5632
	s_wait_dscnt 0x0
	v_add_f64_e32 v[4:5], v[4:5], v[14:15]
	v_add_f64_e32 v[18:19], v[18:19], v[16:17]
	ds_load_b128 v[14:17], v200 offset:6144
	s_wait_dscnt 0x0
	v_add_f64_e32 v[4:5], v[4:5], v[14:15]
	v_add_f64_e32 v[18:19], v[18:19], v[16:17]
	ds_load_b128 v[14:17], v200 offset:6656
	s_wait_dscnt 0x0
	v_add_f64_e32 v[4:5], v[4:5], v[14:15]
	v_add_f64_e32 v[18:19], v[18:19], v[16:17]
	ds_load_b128 v[14:17], v200 offset:7168
	s_wait_dscnt 0x0
	v_add_f64_e32 v[4:5], v[4:5], v[14:15]
	v_add_f64_e32 v[18:19], v[18:19], v[16:17]
	ds_load_b128 v[14:17], v200 offset:7680
	s_wait_dscnt 0x0
	v_add_f64_e32 v[4:5], v[4:5], v[14:15]
	v_add_f64_e32 v[14:15], v[18:19], v[16:17]
	s_delay_alu instid0(VALU_DEP_2) | instskip(NEXT) | instid1(VALU_DEP_2)
	v_xor_b32_e32 v3, 0x80000000, v5
	v_xor_b32_e32 v5, 0x80000000, v15
	s_delay_alu instid0(VALU_DEP_4) | instskip(NEXT) | instid1(VALU_DEP_4)
	v_cndmask_b32_e64 v18, v4, 0, s8
	v_cndmask_b32_e64 v20, v14, 0, s8
	s_delay_alu instid0(VALU_DEP_4) | instskip(NEXT) | instid1(VALU_DEP_4)
	v_cndmask_b32_e64 v19, v3, 0, s8
	v_cndmask_b32_e64 v21, v5, 0, s8
.LBB83_474:                             ;   in Loop: Header=BB83_3 Depth=1
	s_or_b32 exec_lo, exec_lo, s46
	s_delay_alu instid0(SALU_CYCLE_1)
	s_and_not1_b32 vcc_lo, exec_lo, s62
	s_cbranch_vccnz .LBB83_483
; %bb.475:                              ;   in Loop: Header=BB83_3 Depth=1
	s_and_saveexec_b32 s46, s1
; %bb.476:                              ;   in Loop: Header=BB83_3 Depth=1
	ds_store_b128 v201, v[18:21]
; %bb.477:                              ;   in Loop: Header=BB83_3 Depth=1
	s_or_b32 exec_lo, exec_lo, s46
	v_mov_b64_e32 v[14:15], 0
	v_mov_b64_e32 v[16:17], 0
	s_wait_dscnt 0x0
	s_barrier_signal -1
	s_barrier_wait -1
	s_and_saveexec_b32 s46, s6
	s_cbranch_execz .LBB83_479
; %bb.478:                              ;   in Loop: Header=BB83_3 Depth=1
	ds_load_b128 v[14:17], v129
	ds_load_b128 v[22:25], v190
	s_wait_dscnt 0x0
	v_mul_f64_e32 v[4:5], v[16:17], v[24:25]
	v_mul_f64_e32 v[24:25], v[14:15], v[24:25]
	s_delay_alu instid0(VALU_DEP_2) | instskip(NEXT) | instid1(VALU_DEP_2)
	v_fma_f64 v[4:5], v[14:15], v[22:23], -v[4:5]
	v_fmac_f64_e32 v[24:25], v[16:17], v[22:23]
	s_delay_alu instid0(VALU_DEP_2) | instskip(NEXT) | instid1(VALU_DEP_2)
	v_add_f64_e32 v[14:15], 0, v[4:5]
	v_add_f64_e32 v[16:17], 0, v[24:25]
.LBB83_479:                             ;   in Loop: Header=BB83_3 Depth=1
	s_or_b32 exec_lo, exec_lo, s46
	s_and_saveexec_b32 s46, s7
	s_cbranch_execz .LBB83_481
; %bb.480:                              ;   in Loop: Header=BB83_3 Depth=1
	ds_load_b128 v[22:25], v129 offset:256
	ds_load_b128 v[204:207], v190 offset:8192
	s_wait_dscnt 0x0
	v_mul_f64_e32 v[4:5], v[24:25], v[206:207]
	s_delay_alu instid0(VALU_DEP_1) | instskip(SKIP_1) | instid1(VALU_DEP_2)
	v_fma_f64 v[4:5], v[22:23], v[204:205], -v[4:5]
	v_mul_f64_e32 v[22:23], v[22:23], v[206:207]
	v_add_f64_e32 v[14:15], v[14:15], v[4:5]
	s_delay_alu instid0(VALU_DEP_2) | instskip(NEXT) | instid1(VALU_DEP_1)
	v_fmac_f64_e32 v[22:23], v[24:25], v[204:205]
	v_add_f64_e32 v[16:17], v[16:17], v[22:23]
.LBB83_481:                             ;   in Loop: Header=BB83_3 Depth=1
	s_or_b32 exec_lo, exec_lo, s46
	s_mov_b32 s47, 0
	s_mov_b32 s46, 0
	ds_store_b128 v199, v[14:17]
	s_wait_dscnt 0x0
	s_barrier_signal -1
	s_barrier_wait -1
                                        ; implicit-def: $vgpr4_vgpr5
                                        ; implicit-def: $vgpr22_vgpr23
	s_and_saveexec_b32 vcc_lo, s1
	s_cbranch_execz .LBB83_546
; %bb.482:                              ;   in Loop: Header=BB83_3 Depth=1
	ds_load_b128 v[22:25], v200 offset:512
	s_mov_b32 s46, exec_lo
	s_wait_dscnt 0x0
	v_add_f64_e32 v[4:5], v[14:15], v[22:23]
	v_add_f64_e32 v[22:23], v[16:17], v[24:25]
	ds_load_b128 v[14:17], v200 offset:1024
	s_wait_dscnt 0x0
	v_add_f64_e32 v[4:5], v[4:5], v[14:15]
	v_add_f64_e32 v[22:23], v[22:23], v[16:17]
	ds_load_b128 v[14:17], v200 offset:1536
	;; [unrolled: 4-line block ×14, first 2 shown]
	s_wait_dscnt 0x0
	v_add_f64_e32 v[22:23], v[4:5], v[14:15]
	v_add_f64_e32 v[4:5], v[24:25], v[16:17]
	s_or_b32 exec_lo, exec_lo, vcc_lo
	s_delay_alu instid0(SALU_CYCLE_1)
	s_and_b32 vcc_lo, exec_lo, s47
	s_cbranch_vccnz .LBB83_484
	s_branch .LBB83_547
.LBB83_483:                             ;   in Loop: Header=BB83_3 Depth=1
	s_mov_b32 s46, 0
                                        ; implicit-def: $vgpr4_vgpr5
                                        ; implicit-def: $vgpr22_vgpr23
	s_cbranch_execz .LBB83_547
.LBB83_484:                             ;   in Loop: Header=BB83_3 Depth=1
	v_mov_b32_e32 v3, v192
	s_mov_b32 s47, 31
	s_branch .LBB83_486
.LBB83_485:                             ;   in Loop: Header=BB83_486 Depth=2
	s_or_b32 exec_lo, exec_lo, s95
	v_add_nc_u32_e32 v3, 0xfffffc00, v3
	s_add_co_i32 s47, s47, -2
	s_cmp_lg_u32 s94, 0
	s_barrier_signal -1
	s_barrier_wait -1
	s_cbranch_scc0 .LBB83_494
.LBB83_486:                             ;   Parent Loop BB83_3 Depth=1
                                        ; =>  This Inner Loop Header: Depth=2
	s_delay_alu instid0(VALU_DEP_1) | instskip(SKIP_1) | instid1(SALU_CYCLE_1)
	v_cmp_eq_u32_e32 vcc_lo, 0xffffc200, v3
	s_and_b32 s95, s1, vcc_lo
	s_and_saveexec_b32 s94, s95
	s_cbranch_execz .LBB83_488
; %bb.487:                              ;   in Loop: Header=BB83_486 Depth=2
	ds_load_b128 v[14:17], v202
	s_wait_dscnt 0x0
	v_mul_f64_e32 v[4:5], v[20:21], v[16:17]
	v_mul_f64_e32 v[24:25], v[18:19], v[16:17]
	s_delay_alu instid0(VALU_DEP_2) | instskip(NEXT) | instid1(VALU_DEP_2)
	v_fma_f64 v[22:23], v[18:19], v[14:15], -v[4:5]
	v_fmac_f64_e32 v[24:25], v[20:21], v[14:15]
	s_delay_alu instid0(VALU_DEP_2) | instskip(NEXT) | instid1(VALU_DEP_2)
	v_mov_b64_e32 v[18:19], v[22:23]
	v_mov_b64_e32 v[20:21], v[24:25]
	ds_store_b128 v2, v[22:25] offset:25088
.LBB83_488:                             ;   in Loop: Header=BB83_486 Depth=2
	s_or_b32 exec_lo, exec_lo, s94
	v_cmp_gt_u32_e32 vcc_lo, s47, v26
	v_add_nc_u32_e32 v4, v29, v3
	s_wait_dscnt 0x0
	s_barrier_signal -1
	s_barrier_wait -1
	s_and_b32 s95, s1, vcc_lo
	s_delay_alu instid0(SALU_CYCLE_1)
	s_and_saveexec_b32 s94, s95
	s_cbranch_execz .LBB83_490
; %bb.489:                              ;   in Loop: Header=BB83_486 Depth=2
	ds_load_b128 v[14:17], v2 offset:25088
	ds_load_b128 v[22:25], v4 offset:512
	s_wait_dscnt 0x0
	v_mul_f64_e32 v[40:41], v[16:17], v[24:25]
	s_delay_alu instid0(VALU_DEP_1) | instskip(SKIP_1) | instid1(VALU_DEP_2)
	v_fma_f64 v[40:41], v[14:15], v[22:23], -v[40:41]
	v_mul_f64_e32 v[14:15], v[14:15], v[24:25]
	v_add_f64_e32 v[18:19], v[18:19], v[40:41]
	s_delay_alu instid0(VALU_DEP_2) | instskip(NEXT) | instid1(VALU_DEP_1)
	v_fmac_f64_e32 v[14:15], v[16:17], v[22:23]
	v_add_f64_e32 v[20:21], v[20:21], v[14:15]
.LBB83_490:                             ;   in Loop: Header=BB83_486 Depth=2
	s_or_b32 exec_lo, exec_lo, s94
	s_add_co_i32 s94, s47, -1
	s_delay_alu instid0(SALU_CYCLE_1) | instskip(SKIP_3) | instid1(SALU_CYCLE_1)
	v_cmp_eq_u32_e32 vcc_lo, s94, v26
	s_barrier_signal -1
	s_barrier_wait -1
	s_and_b32 s96, s1, vcc_lo
	s_and_saveexec_b32 s95, s96
	s_cbranch_execz .LBB83_492
; %bb.491:                              ;   in Loop: Header=BB83_486 Depth=2
	ds_load_b128 v[14:17], v202
	s_wait_dscnt 0x0
	v_mul_f64_e32 v[22:23], v[20:21], v[16:17]
	v_mul_f64_e32 v[24:25], v[18:19], v[16:17]
	s_delay_alu instid0(VALU_DEP_2) | instskip(NEXT) | instid1(VALU_DEP_2)
	v_fma_f64 v[22:23], v[18:19], v[14:15], -v[22:23]
	v_fmac_f64_e32 v[24:25], v[20:21], v[14:15]
	s_delay_alu instid0(VALU_DEP_2) | instskip(NEXT) | instid1(VALU_DEP_2)
	v_mov_b64_e32 v[18:19], v[22:23]
	v_mov_b64_e32 v[20:21], v[24:25]
	ds_store_b128 v2, v[22:25] offset:25088
.LBB83_492:                             ;   in Loop: Header=BB83_486 Depth=2
	s_or_b32 exec_lo, exec_lo, s95
	v_cmp_gt_u32_e32 vcc_lo, s94, v26
	s_wait_dscnt 0x0
	s_barrier_signal -1
	s_barrier_wait -1
	s_and_b32 s96, s1, vcc_lo
	s_delay_alu instid0(SALU_CYCLE_1)
	s_and_saveexec_b32 s95, s96
	s_cbranch_execz .LBB83_485
; %bb.493:                              ;   in Loop: Header=BB83_486 Depth=2
	ds_load_b128 v[14:17], v2 offset:25088
	ds_load_b128 v[22:25], v4
	s_wait_dscnt 0x0
	v_mul_f64_e32 v[4:5], v[16:17], v[24:25]
	s_delay_alu instid0(VALU_DEP_1) | instskip(SKIP_1) | instid1(VALU_DEP_2)
	v_fma_f64 v[4:5], v[14:15], v[22:23], -v[4:5]
	v_mul_f64_e32 v[14:15], v[14:15], v[24:25]
	v_add_f64_e32 v[18:19], v[18:19], v[4:5]
	s_delay_alu instid0(VALU_DEP_2) | instskip(NEXT) | instid1(VALU_DEP_1)
	v_fmac_f64_e32 v[14:15], v[16:17], v[22:23]
	v_add_f64_e32 v[20:21], v[20:21], v[14:15]
	s_branch .LBB83_485
.LBB83_494:                             ;   in Loop: Header=BB83_3 Depth=1
	s_and_b32 vcc_lo, exec_lo, s60
	s_mov_b32 s47, -1
	s_cbranch_vccnz .LBB83_548
; %bb.495:                              ;   in Loop: Header=BB83_3 Depth=1
	s_and_not1_b32 vcc_lo, exec_lo, s47
	s_cbranch_vccz .LBB83_549
.LBB83_496:                             ;   in Loop: Header=BB83_3 Depth=1
	s_and_saveexec_b32 s47, s46
	s_cbranch_execz .LBB83_498
.LBB83_497:                             ;   in Loop: Header=BB83_3 Depth=1
	v_lshl_add_u64 v[4:5], v[36:37], 4, s[40:41]
	global_store_b128 v[4:5], v[18:21], off
.LBB83_498:                             ;   in Loop: Header=BB83_3 Depth=1
	s_wait_xcnt 0x0
	s_or_b32 exec_lo, exec_lo, s47
	global_wb scope:SCOPE_DEV
	s_wait_storecnt 0x0
	global_inv scope:SCOPE_DEV
	s_wait_loadcnt 0x0
	s_barrier_signal -1
	s_barrier_wait -1
	s_and_saveexec_b32 s40, s33
	s_cbranch_execz .LBB83_2
; %bb.499:                              ;   in Loop: Header=BB83_3 Depth=1
	s_lshl_b64 s[46:47], s[56:57], 2
	s_delay_alu instid0(SALU_CYCLE_1)
	s_add_nc_u64 s[46:47], s[54:55], s[46:47]
	global_load_b32 v3, v2, s[46:47]
	s_wait_loadcnt 0x0
	v_add_nc_u32_e32 v3, 1, v3
	global_store_b32 v2, v3, s[46:47]
	s_branch .LBB83_2
.LBB83_500:                             ;   in Loop: Header=BB83_3 Depth=1
	s_mov_b32 s47, exec_lo
	v_readlane_b32 s94, v203, 13
	s_and_b32 s94, s47, s94
	s_delay_alu instid0(SALU_CYCLE_1)
	s_xor_b32 s47, s94, s47
	s_mov_b32 exec_lo, s94
	s_cbranch_execz .LBB83_504
; %bb.501:                              ;   in Loop: Header=BB83_3 Depth=1
	s_mov_b32 s94, exec_lo
	v_readlane_b32 s95, v203, 28
	s_and_b32 s95, s94, s95
	s_delay_alu instid0(SALU_CYCLE_1)
	s_mov_b32 exec_lo, s95
; %bb.502:                              ;   in Loop: Header=BB83_3 Depth=1
	v_dual_mov_b32 v3, v2 :: v_dual_mov_b32 v4, v2
	v_mov_b32_e32 v5, v2
	ds_store_b128 v196, v[2:5]
; %bb.503:                              ;   in Loop: Header=BB83_3 Depth=1
	s_or_b32 exec_lo, exec_lo, s94
.LBB83_504:                             ;   in Loop: Header=BB83_3 Depth=1
	s_and_not1_saveexec_b32 s47, s47
	s_cbranch_execz .LBB83_510
; %bb.505:                              ;   in Loop: Header=BB83_3 Depth=1
	v_lshl_add_u64 v[4:5], v[34:35], 4, s[40:41]
                                        ; implicit-def: $vgpr22_vgpr23
	global_load_b128 v[18:21], v[4:5], off
	s_wait_loadcnt 0x0
	v_cmp_ngt_f64_e64 s94, |v[18:19]|, |v[20:21]|
	s_and_saveexec_b32 s95, s94
	s_delay_alu instid0(SALU_CYCLE_1)
	s_xor_b32 s94, exec_lo, s95
	s_cbranch_execz .LBB83_507
; %bb.506:                              ;   in Loop: Header=BB83_3 Depth=1
	v_div_scale_f64 v[4:5], null, v[20:21], v[20:21], v[18:19]
	v_div_scale_f64 v[204:205], vcc_lo, v[18:19], v[20:21], v[18:19]
	s_delay_alu instid0(VALU_DEP_2) | instskip(SKIP_1) | instid1(TRANS32_DEP_1)
	v_rcp_f64_e32 v[22:23], v[4:5]
	v_nop
	v_fma_f64 v[24:25], -v[4:5], v[22:23], 1.0
	s_delay_alu instid0(VALU_DEP_1) | instskip(NEXT) | instid1(VALU_DEP_1)
	v_fmac_f64_e32 v[22:23], v[22:23], v[24:25]
	v_fma_f64 v[24:25], -v[4:5], v[22:23], 1.0
	s_delay_alu instid0(VALU_DEP_1) | instskip(NEXT) | instid1(VALU_DEP_1)
	v_fmac_f64_e32 v[22:23], v[22:23], v[24:25]
	v_mul_f64_e32 v[24:25], v[204:205], v[22:23]
	s_delay_alu instid0(VALU_DEP_1) | instskip(NEXT) | instid1(VALU_DEP_1)
	v_fma_f64 v[4:5], -v[4:5], v[24:25], v[204:205]
	v_div_fmas_f64 v[4:5], v[4:5], v[22:23], v[24:25]
	s_delay_alu instid0(VALU_DEP_1) | instskip(NEXT) | instid1(VALU_DEP_1)
	v_div_fixup_f64 v[4:5], v[4:5], v[20:21], v[18:19]
	v_fmac_f64_e32 v[20:21], v[18:19], v[4:5]
	s_delay_alu instid0(VALU_DEP_1) | instskip(NEXT) | instid1(VALU_DEP_1)
	v_div_scale_f64 v[18:19], null, v[20:21], v[20:21], 1.0
	v_rcp_f64_e32 v[22:23], v[18:19]
	v_nop
	s_delay_alu instid0(TRANS32_DEP_1) | instskip(NEXT) | instid1(VALU_DEP_1)
	v_fma_f64 v[24:25], -v[18:19], v[22:23], 1.0
	v_fmac_f64_e32 v[22:23], v[22:23], v[24:25]
	s_delay_alu instid0(VALU_DEP_1) | instskip(NEXT) | instid1(VALU_DEP_1)
	v_fma_f64 v[24:25], -v[18:19], v[22:23], 1.0
	v_fmac_f64_e32 v[22:23], v[22:23], v[24:25]
	v_div_scale_f64 v[24:25], vcc_lo, 1.0, v[20:21], 1.0
	s_delay_alu instid0(VALU_DEP_1) | instskip(NEXT) | instid1(VALU_DEP_1)
	v_mul_f64_e32 v[204:205], v[24:25], v[22:23]
	v_fma_f64 v[18:19], -v[18:19], v[204:205], v[24:25]
	s_delay_alu instid0(VALU_DEP_1) | instskip(NEXT) | instid1(VALU_DEP_1)
	v_div_fmas_f64 v[18:19], v[18:19], v[22:23], v[204:205]
	v_div_fixup_f64 v[24:25], v[18:19], v[20:21], 1.0
                                        ; implicit-def: $vgpr18_vgpr19
	s_delay_alu instid0(VALU_DEP_1)
	v_mul_f64_e32 v[22:23], v[4:5], v[24:25]
	v_xor_b32_e32 v25, 0x80000000, v25
.LBB83_507:                             ;   in Loop: Header=BB83_3 Depth=1
	s_and_not1_saveexec_b32 s94, s94
	s_cbranch_execz .LBB83_509
; %bb.508:                              ;   in Loop: Header=BB83_3 Depth=1
	v_div_scale_f64 v[4:5], null, v[18:19], v[18:19], v[20:21]
	v_div_scale_f64 v[204:205], vcc_lo, v[20:21], v[18:19], v[20:21]
	s_delay_alu instid0(VALU_DEP_2) | instskip(SKIP_1) | instid1(TRANS32_DEP_1)
	v_rcp_f64_e32 v[22:23], v[4:5]
	v_nop
	v_fma_f64 v[24:25], -v[4:5], v[22:23], 1.0
	s_delay_alu instid0(VALU_DEP_1) | instskip(NEXT) | instid1(VALU_DEP_1)
	v_fmac_f64_e32 v[22:23], v[22:23], v[24:25]
	v_fma_f64 v[24:25], -v[4:5], v[22:23], 1.0
	s_delay_alu instid0(VALU_DEP_1) | instskip(NEXT) | instid1(VALU_DEP_1)
	v_fmac_f64_e32 v[22:23], v[22:23], v[24:25]
	v_mul_f64_e32 v[24:25], v[204:205], v[22:23]
	s_delay_alu instid0(VALU_DEP_1) | instskip(NEXT) | instid1(VALU_DEP_1)
	v_fma_f64 v[4:5], -v[4:5], v[24:25], v[204:205]
	v_div_fmas_f64 v[4:5], v[4:5], v[22:23], v[24:25]
	s_delay_alu instid0(VALU_DEP_1) | instskip(NEXT) | instid1(VALU_DEP_1)
	v_div_fixup_f64 v[4:5], v[4:5], v[18:19], v[20:21]
	v_fmac_f64_e32 v[18:19], v[20:21], v[4:5]
	s_delay_alu instid0(VALU_DEP_1) | instskip(NEXT) | instid1(VALU_DEP_1)
	v_div_scale_f64 v[20:21], null, v[18:19], v[18:19], 1.0
	v_rcp_f64_e32 v[22:23], v[20:21]
	v_nop
	s_delay_alu instid0(TRANS32_DEP_1) | instskip(NEXT) | instid1(VALU_DEP_1)
	v_fma_f64 v[24:25], -v[20:21], v[22:23], 1.0
	v_fmac_f64_e32 v[22:23], v[22:23], v[24:25]
	s_delay_alu instid0(VALU_DEP_1) | instskip(NEXT) | instid1(VALU_DEP_1)
	v_fma_f64 v[24:25], -v[20:21], v[22:23], 1.0
	v_fmac_f64_e32 v[22:23], v[22:23], v[24:25]
	v_div_scale_f64 v[24:25], vcc_lo, 1.0, v[18:19], 1.0
	s_delay_alu instid0(VALU_DEP_1) | instskip(NEXT) | instid1(VALU_DEP_1)
	v_mul_f64_e32 v[204:205], v[24:25], v[22:23]
	v_fma_f64 v[20:21], -v[20:21], v[204:205], v[24:25]
	s_delay_alu instid0(VALU_DEP_1) | instskip(NEXT) | instid1(VALU_DEP_1)
	v_div_fmas_f64 v[20:21], v[20:21], v[22:23], v[204:205]
	v_div_fixup_f64 v[22:23], v[20:21], v[18:19], 1.0
	s_delay_alu instid0(VALU_DEP_1)
	v_mul_f64_e64 v[24:25], v[4:5], -v[22:23]
.LBB83_509:                             ;   in Loop: Header=BB83_3 Depth=1
	s_or_b32 exec_lo, exec_lo, s94
	ds_store_b128 v196, v[22:25]
.LBB83_510:                             ;   in Loop: Header=BB83_3 Depth=1
	s_or_b32 exec_lo, exec_lo, s47
	s_and_not1_saveexec_b32 s46, s46
	s_cbranch_execz .LBB83_12
.LBB83_511:                             ;   in Loop: Header=BB83_3 Depth=1
	v_lshl_add_u64 v[4:5], v[34:35], 4, s[40:41]
	global_load_b128 v[18:21], v[4:5], off
	s_wait_loadcnt 0x0
	v_xor_b32_e32 v19, 0x80000000, v19
	v_xor_b32_e32 v21, 0x80000000, v21
	ds_store_b128 v196, v[18:21]
	s_or_b32 exec_lo, exec_lo, s46
	s_and_saveexec_b32 s46, s7
	s_delay_alu instid0(SALU_CYCLE_1)
	s_xor_b32 s46, exec_lo, s46
	s_cbranch_execz .LBB83_13
.LBB83_512:                             ;   in Loop: Header=BB83_3 Depth=1
	s_mov_b32 s47, exec_lo
	v_readlane_b32 s94, v203, 15
	s_and_b32 s94, s47, s94
	s_delay_alu instid0(SALU_CYCLE_1)
	s_xor_b32 s47, s94, s47
	s_mov_b32 exec_lo, s94
	s_cbranch_execz .LBB83_516
; %bb.513:                              ;   in Loop: Header=BB83_3 Depth=1
	s_mov_b32 s94, exec_lo
	v_readlane_b32 s95, v203, 29
	s_and_b32 s95, s94, s95
	s_delay_alu instid0(SALU_CYCLE_1)
	s_mov_b32 exec_lo, s95
; %bb.514:                              ;   in Loop: Header=BB83_3 Depth=1
	v_dual_mov_b32 v3, v2 :: v_dual_mov_b32 v4, v2
	v_mov_b32_e32 v5, v2
	ds_store_b128 v197, v[2:5]
; %bb.515:                              ;   in Loop: Header=BB83_3 Depth=1
	s_or_b32 exec_lo, exec_lo, s94
.LBB83_516:                             ;   in Loop: Header=BB83_3 Depth=1
	s_and_not1_saveexec_b32 s47, s47
	s_cbranch_execz .LBB83_522
; %bb.517:                              ;   in Loop: Header=BB83_3 Depth=1
	v_lshl_add_u64 v[4:5], v[38:39], 4, s[40:41]
                                        ; implicit-def: $vgpr22_vgpr23
	global_load_b128 v[18:21], v[4:5], off
	s_wait_loadcnt 0x0
	v_cmp_ngt_f64_e64 s94, |v[18:19]|, |v[20:21]|
	s_and_saveexec_b32 s95, s94
	s_delay_alu instid0(SALU_CYCLE_1)
	s_xor_b32 s94, exec_lo, s95
	s_cbranch_execz .LBB83_519
; %bb.518:                              ;   in Loop: Header=BB83_3 Depth=1
	v_div_scale_f64 v[4:5], null, v[20:21], v[20:21], v[18:19]
	v_div_scale_f64 v[204:205], vcc_lo, v[18:19], v[20:21], v[18:19]
	s_delay_alu instid0(VALU_DEP_2) | instskip(SKIP_1) | instid1(TRANS32_DEP_1)
	v_rcp_f64_e32 v[22:23], v[4:5]
	v_nop
	v_fma_f64 v[24:25], -v[4:5], v[22:23], 1.0
	s_delay_alu instid0(VALU_DEP_1) | instskip(NEXT) | instid1(VALU_DEP_1)
	v_fmac_f64_e32 v[22:23], v[22:23], v[24:25]
	v_fma_f64 v[24:25], -v[4:5], v[22:23], 1.0
	s_delay_alu instid0(VALU_DEP_1) | instskip(NEXT) | instid1(VALU_DEP_1)
	v_fmac_f64_e32 v[22:23], v[22:23], v[24:25]
	v_mul_f64_e32 v[24:25], v[204:205], v[22:23]
	s_delay_alu instid0(VALU_DEP_1) | instskip(NEXT) | instid1(VALU_DEP_1)
	v_fma_f64 v[4:5], -v[4:5], v[24:25], v[204:205]
	v_div_fmas_f64 v[4:5], v[4:5], v[22:23], v[24:25]
	s_delay_alu instid0(VALU_DEP_1) | instskip(NEXT) | instid1(VALU_DEP_1)
	v_div_fixup_f64 v[4:5], v[4:5], v[20:21], v[18:19]
	v_fmac_f64_e32 v[20:21], v[18:19], v[4:5]
	s_delay_alu instid0(VALU_DEP_1) | instskip(NEXT) | instid1(VALU_DEP_1)
	v_div_scale_f64 v[18:19], null, v[20:21], v[20:21], 1.0
	v_rcp_f64_e32 v[22:23], v[18:19]
	v_nop
	s_delay_alu instid0(TRANS32_DEP_1) | instskip(NEXT) | instid1(VALU_DEP_1)
	v_fma_f64 v[24:25], -v[18:19], v[22:23], 1.0
	v_fmac_f64_e32 v[22:23], v[22:23], v[24:25]
	s_delay_alu instid0(VALU_DEP_1) | instskip(NEXT) | instid1(VALU_DEP_1)
	v_fma_f64 v[24:25], -v[18:19], v[22:23], 1.0
	v_fmac_f64_e32 v[22:23], v[22:23], v[24:25]
	v_div_scale_f64 v[24:25], vcc_lo, 1.0, v[20:21], 1.0
	s_delay_alu instid0(VALU_DEP_1) | instskip(NEXT) | instid1(VALU_DEP_1)
	v_mul_f64_e32 v[204:205], v[24:25], v[22:23]
	v_fma_f64 v[18:19], -v[18:19], v[204:205], v[24:25]
	s_delay_alu instid0(VALU_DEP_1) | instskip(NEXT) | instid1(VALU_DEP_1)
	v_div_fmas_f64 v[18:19], v[18:19], v[22:23], v[204:205]
	v_div_fixup_f64 v[24:25], v[18:19], v[20:21], 1.0
                                        ; implicit-def: $vgpr18_vgpr19
	s_delay_alu instid0(VALU_DEP_1)
	v_mul_f64_e32 v[22:23], v[4:5], v[24:25]
	v_xor_b32_e32 v25, 0x80000000, v25
.LBB83_519:                             ;   in Loop: Header=BB83_3 Depth=1
	s_and_not1_saveexec_b32 s94, s94
	s_cbranch_execz .LBB83_521
; %bb.520:                              ;   in Loop: Header=BB83_3 Depth=1
	v_div_scale_f64 v[4:5], null, v[18:19], v[18:19], v[20:21]
	v_div_scale_f64 v[204:205], vcc_lo, v[20:21], v[18:19], v[20:21]
	s_delay_alu instid0(VALU_DEP_2) | instskip(SKIP_1) | instid1(TRANS32_DEP_1)
	v_rcp_f64_e32 v[22:23], v[4:5]
	v_nop
	v_fma_f64 v[24:25], -v[4:5], v[22:23], 1.0
	s_delay_alu instid0(VALU_DEP_1) | instskip(NEXT) | instid1(VALU_DEP_1)
	v_fmac_f64_e32 v[22:23], v[22:23], v[24:25]
	v_fma_f64 v[24:25], -v[4:5], v[22:23], 1.0
	s_delay_alu instid0(VALU_DEP_1) | instskip(NEXT) | instid1(VALU_DEP_1)
	v_fmac_f64_e32 v[22:23], v[22:23], v[24:25]
	v_mul_f64_e32 v[24:25], v[204:205], v[22:23]
	s_delay_alu instid0(VALU_DEP_1) | instskip(NEXT) | instid1(VALU_DEP_1)
	v_fma_f64 v[4:5], -v[4:5], v[24:25], v[204:205]
	v_div_fmas_f64 v[4:5], v[4:5], v[22:23], v[24:25]
	s_delay_alu instid0(VALU_DEP_1) | instskip(NEXT) | instid1(VALU_DEP_1)
	v_div_fixup_f64 v[4:5], v[4:5], v[18:19], v[20:21]
	v_fmac_f64_e32 v[18:19], v[20:21], v[4:5]
	s_delay_alu instid0(VALU_DEP_1) | instskip(NEXT) | instid1(VALU_DEP_1)
	v_div_scale_f64 v[20:21], null, v[18:19], v[18:19], 1.0
	v_rcp_f64_e32 v[22:23], v[20:21]
	v_nop
	s_delay_alu instid0(TRANS32_DEP_1) | instskip(NEXT) | instid1(VALU_DEP_1)
	v_fma_f64 v[24:25], -v[20:21], v[22:23], 1.0
	v_fmac_f64_e32 v[22:23], v[22:23], v[24:25]
	s_delay_alu instid0(VALU_DEP_1) | instskip(NEXT) | instid1(VALU_DEP_1)
	v_fma_f64 v[24:25], -v[20:21], v[22:23], 1.0
	v_fmac_f64_e32 v[22:23], v[22:23], v[24:25]
	v_div_scale_f64 v[24:25], vcc_lo, 1.0, v[18:19], 1.0
	s_delay_alu instid0(VALU_DEP_1) | instskip(NEXT) | instid1(VALU_DEP_1)
	v_mul_f64_e32 v[204:205], v[24:25], v[22:23]
	v_fma_f64 v[20:21], -v[20:21], v[204:205], v[24:25]
	s_delay_alu instid0(VALU_DEP_1) | instskip(NEXT) | instid1(VALU_DEP_1)
	v_div_fmas_f64 v[20:21], v[20:21], v[22:23], v[204:205]
	v_div_fixup_f64 v[22:23], v[20:21], v[18:19], 1.0
	s_delay_alu instid0(VALU_DEP_1)
	v_mul_f64_e64 v[24:25], v[4:5], -v[22:23]
.LBB83_521:                             ;   in Loop: Header=BB83_3 Depth=1
	s_or_b32 exec_lo, exec_lo, s94
	ds_store_b128 v197, v[22:25]
.LBB83_522:                             ;   in Loop: Header=BB83_3 Depth=1
	s_or_b32 exec_lo, exec_lo, s47
	s_and_not1_saveexec_b32 s46, s46
	s_cbranch_execnz .LBB83_14
	s_branch .LBB83_15
.LBB83_523:                             ;   in Loop: Header=BB83_3 Depth=1
	s_mov_b32 s47, exec_lo
	v_readlane_b32 s94, v203, 14
	s_and_b32 s94, s47, s94
	s_delay_alu instid0(SALU_CYCLE_1)
	s_xor_b32 s47, s94, s47
	s_mov_b32 exec_lo, s94
	s_cbranch_execz .LBB83_527
; %bb.524:                              ;   in Loop: Header=BB83_3 Depth=1
	s_mov_b32 s94, exec_lo
	v_readlane_b32 s95, v203, 28
	s_and_b32 s95, s94, s95
	s_delay_alu instid0(SALU_CYCLE_1)
	s_mov_b32 exec_lo, s95
; %bb.525:                              ;   in Loop: Header=BB83_3 Depth=1
	v_dual_mov_b32 v3, v2 :: v_dual_mov_b32 v4, v2
	v_mov_b32_e32 v5, v2
	ds_store_b128 v191, v[2:5]
; %bb.526:                              ;   in Loop: Header=BB83_3 Depth=1
	s_or_b32 exec_lo, exec_lo, s94
.LBB83_527:                             ;   in Loop: Header=BB83_3 Depth=1
	s_and_not1_saveexec_b32 s47, s47
	s_cbranch_execz .LBB83_533
; %bb.528:                              ;   in Loop: Header=BB83_3 Depth=1
	v_lshl_add_u64 v[4:5], v[34:35], 4, s[40:41]
                                        ; implicit-def: $vgpr22_vgpr23
	global_load_b128 v[18:21], v[4:5], off
	s_wait_loadcnt 0x0
	v_cmp_ngt_f64_e64 s94, |v[18:19]|, |v[20:21]|
	s_and_saveexec_b32 s95, s94
	s_delay_alu instid0(SALU_CYCLE_1)
	s_xor_b32 s94, exec_lo, s95
	s_cbranch_execz .LBB83_530
; %bb.529:                              ;   in Loop: Header=BB83_3 Depth=1
	v_div_scale_f64 v[4:5], null, v[20:21], v[20:21], v[18:19]
	v_div_scale_f64 v[204:205], vcc_lo, v[18:19], v[20:21], v[18:19]
	s_delay_alu instid0(VALU_DEP_2) | instskip(SKIP_1) | instid1(TRANS32_DEP_1)
	v_rcp_f64_e32 v[22:23], v[4:5]
	v_nop
	v_fma_f64 v[24:25], -v[4:5], v[22:23], 1.0
	s_delay_alu instid0(VALU_DEP_1) | instskip(NEXT) | instid1(VALU_DEP_1)
	v_fmac_f64_e32 v[22:23], v[22:23], v[24:25]
	v_fma_f64 v[24:25], -v[4:5], v[22:23], 1.0
	s_delay_alu instid0(VALU_DEP_1) | instskip(NEXT) | instid1(VALU_DEP_1)
	v_fmac_f64_e32 v[22:23], v[22:23], v[24:25]
	v_mul_f64_e32 v[24:25], v[204:205], v[22:23]
	s_delay_alu instid0(VALU_DEP_1) | instskip(NEXT) | instid1(VALU_DEP_1)
	v_fma_f64 v[4:5], -v[4:5], v[24:25], v[204:205]
	v_div_fmas_f64 v[4:5], v[4:5], v[22:23], v[24:25]
	s_delay_alu instid0(VALU_DEP_1) | instskip(NEXT) | instid1(VALU_DEP_1)
	v_div_fixup_f64 v[4:5], v[4:5], v[20:21], v[18:19]
	v_fmac_f64_e32 v[20:21], v[18:19], v[4:5]
	s_delay_alu instid0(VALU_DEP_1) | instskip(NEXT) | instid1(VALU_DEP_1)
	v_div_scale_f64 v[18:19], null, v[20:21], v[20:21], 1.0
	v_rcp_f64_e32 v[22:23], v[18:19]
	v_nop
	s_delay_alu instid0(TRANS32_DEP_1) | instskip(NEXT) | instid1(VALU_DEP_1)
	v_fma_f64 v[24:25], -v[18:19], v[22:23], 1.0
	v_fmac_f64_e32 v[22:23], v[22:23], v[24:25]
	s_delay_alu instid0(VALU_DEP_1) | instskip(NEXT) | instid1(VALU_DEP_1)
	v_fma_f64 v[24:25], -v[18:19], v[22:23], 1.0
	v_fmac_f64_e32 v[22:23], v[22:23], v[24:25]
	v_div_scale_f64 v[24:25], vcc_lo, 1.0, v[20:21], 1.0
	s_delay_alu instid0(VALU_DEP_1) | instskip(NEXT) | instid1(VALU_DEP_1)
	v_mul_f64_e32 v[204:205], v[24:25], v[22:23]
	v_fma_f64 v[18:19], -v[18:19], v[204:205], v[24:25]
	s_delay_alu instid0(VALU_DEP_1) | instskip(NEXT) | instid1(VALU_DEP_1)
	v_div_fmas_f64 v[18:19], v[18:19], v[22:23], v[204:205]
	v_div_fixup_f64 v[24:25], v[18:19], v[20:21], 1.0
                                        ; implicit-def: $vgpr18_vgpr19
	s_delay_alu instid0(VALU_DEP_1)
	v_mul_f64_e32 v[22:23], v[4:5], v[24:25]
	v_xor_b32_e32 v25, 0x80000000, v25
.LBB83_530:                             ;   in Loop: Header=BB83_3 Depth=1
	s_and_not1_saveexec_b32 s94, s94
	s_cbranch_execz .LBB83_532
; %bb.531:                              ;   in Loop: Header=BB83_3 Depth=1
	v_div_scale_f64 v[4:5], null, v[18:19], v[18:19], v[20:21]
	v_div_scale_f64 v[204:205], vcc_lo, v[20:21], v[18:19], v[20:21]
	s_delay_alu instid0(VALU_DEP_2) | instskip(SKIP_1) | instid1(TRANS32_DEP_1)
	v_rcp_f64_e32 v[22:23], v[4:5]
	v_nop
	v_fma_f64 v[24:25], -v[4:5], v[22:23], 1.0
	s_delay_alu instid0(VALU_DEP_1) | instskip(NEXT) | instid1(VALU_DEP_1)
	v_fmac_f64_e32 v[22:23], v[22:23], v[24:25]
	v_fma_f64 v[24:25], -v[4:5], v[22:23], 1.0
	s_delay_alu instid0(VALU_DEP_1) | instskip(NEXT) | instid1(VALU_DEP_1)
	v_fmac_f64_e32 v[22:23], v[22:23], v[24:25]
	v_mul_f64_e32 v[24:25], v[204:205], v[22:23]
	s_delay_alu instid0(VALU_DEP_1) | instskip(NEXT) | instid1(VALU_DEP_1)
	v_fma_f64 v[4:5], -v[4:5], v[24:25], v[204:205]
	v_div_fmas_f64 v[4:5], v[4:5], v[22:23], v[24:25]
	s_delay_alu instid0(VALU_DEP_1) | instskip(NEXT) | instid1(VALU_DEP_1)
	v_div_fixup_f64 v[4:5], v[4:5], v[18:19], v[20:21]
	v_fmac_f64_e32 v[18:19], v[20:21], v[4:5]
	s_delay_alu instid0(VALU_DEP_1) | instskip(NEXT) | instid1(VALU_DEP_1)
	v_div_scale_f64 v[20:21], null, v[18:19], v[18:19], 1.0
	v_rcp_f64_e32 v[22:23], v[20:21]
	v_nop
	s_delay_alu instid0(TRANS32_DEP_1) | instskip(NEXT) | instid1(VALU_DEP_1)
	v_fma_f64 v[24:25], -v[20:21], v[22:23], 1.0
	v_fmac_f64_e32 v[22:23], v[22:23], v[24:25]
	s_delay_alu instid0(VALU_DEP_1) | instskip(NEXT) | instid1(VALU_DEP_1)
	v_fma_f64 v[24:25], -v[20:21], v[22:23], 1.0
	v_fmac_f64_e32 v[22:23], v[22:23], v[24:25]
	v_div_scale_f64 v[24:25], vcc_lo, 1.0, v[18:19], 1.0
	s_delay_alu instid0(VALU_DEP_1) | instskip(NEXT) | instid1(VALU_DEP_1)
	v_mul_f64_e32 v[204:205], v[24:25], v[22:23]
	v_fma_f64 v[20:21], -v[20:21], v[204:205], v[24:25]
	s_delay_alu instid0(VALU_DEP_1) | instskip(NEXT) | instid1(VALU_DEP_1)
	v_div_fmas_f64 v[20:21], v[20:21], v[22:23], v[204:205]
	v_div_fixup_f64 v[22:23], v[20:21], v[18:19], 1.0
	s_delay_alu instid0(VALU_DEP_1)
	v_mul_f64_e64 v[24:25], v[4:5], -v[22:23]
.LBB83_532:                             ;   in Loop: Header=BB83_3 Depth=1
	s_or_b32 exec_lo, exec_lo, s94
	ds_store_b128 v191, v[22:25]
.LBB83_533:                             ;   in Loop: Header=BB83_3 Depth=1
	s_or_b32 exec_lo, exec_lo, s47
	s_and_not1_saveexec_b32 s46, s46
	s_cbranch_execz .LBB83_19
.LBB83_534:                             ;   in Loop: Header=BB83_3 Depth=1
	v_lshl_add_u64 v[4:5], v[34:35], 4, s[40:41]
	global_load_b128 v[18:21], v[4:5], off
	s_wait_loadcnt 0x0
	v_xor_b32_e32 v19, 0x80000000, v19
	v_xor_b32_e32 v21, 0x80000000, v21
	ds_store_b128 v191, v[18:21]
	s_or_b32 exec_lo, exec_lo, s46
	s_and_saveexec_b32 s46, s93
	s_delay_alu instid0(SALU_CYCLE_1)
	s_xor_b32 s46, exec_lo, s46
	s_cbranch_execz .LBB83_20
.LBB83_535:                             ;   in Loop: Header=BB83_3 Depth=1
	s_mov_b32 s47, exec_lo
	v_readlane_b32 s94, v203, 16
	s_and_b32 s94, s47, s94
	s_delay_alu instid0(SALU_CYCLE_1)
	s_xor_b32 s47, s94, s47
	s_mov_b32 exec_lo, s94
	s_cbranch_execz .LBB83_539
; %bb.536:                              ;   in Loop: Header=BB83_3 Depth=1
	s_mov_b32 s94, exec_lo
	v_readlane_b32 s95, v203, 29
	s_and_b32 s95, s94, s95
	s_delay_alu instid0(SALU_CYCLE_1)
	s_mov_b32 exec_lo, s95
; %bb.537:                              ;   in Loop: Header=BB83_3 Depth=1
	v_dual_mov_b32 v3, v2 :: v_dual_mov_b32 v4, v2
	v_mov_b32_e32 v5, v2
	ds_store_b128 v197, v[2:5]
; %bb.538:                              ;   in Loop: Header=BB83_3 Depth=1
	s_or_b32 exec_lo, exec_lo, s94
.LBB83_539:                             ;   in Loop: Header=BB83_3 Depth=1
	s_and_not1_saveexec_b32 s47, s47
	s_cbranch_execz .LBB83_545
; %bb.540:                              ;   in Loop: Header=BB83_3 Depth=1
	v_lshl_add_u64 v[4:5], v[38:39], 4, s[40:41]
                                        ; implicit-def: $vgpr22_vgpr23
	global_load_b128 v[18:21], v[4:5], off
	s_wait_loadcnt 0x0
	v_cmp_ngt_f64_e64 s94, |v[18:19]|, |v[20:21]|
	s_and_saveexec_b32 s95, s94
	s_delay_alu instid0(SALU_CYCLE_1)
	s_xor_b32 s94, exec_lo, s95
	s_cbranch_execz .LBB83_542
; %bb.541:                              ;   in Loop: Header=BB83_3 Depth=1
	v_div_scale_f64 v[4:5], null, v[20:21], v[20:21], v[18:19]
	v_div_scale_f64 v[204:205], vcc_lo, v[18:19], v[20:21], v[18:19]
	s_delay_alu instid0(VALU_DEP_2) | instskip(SKIP_1) | instid1(TRANS32_DEP_1)
	v_rcp_f64_e32 v[22:23], v[4:5]
	v_nop
	v_fma_f64 v[24:25], -v[4:5], v[22:23], 1.0
	s_delay_alu instid0(VALU_DEP_1) | instskip(NEXT) | instid1(VALU_DEP_1)
	v_fmac_f64_e32 v[22:23], v[22:23], v[24:25]
	v_fma_f64 v[24:25], -v[4:5], v[22:23], 1.0
	s_delay_alu instid0(VALU_DEP_1) | instskip(NEXT) | instid1(VALU_DEP_1)
	v_fmac_f64_e32 v[22:23], v[22:23], v[24:25]
	v_mul_f64_e32 v[24:25], v[204:205], v[22:23]
	s_delay_alu instid0(VALU_DEP_1) | instskip(NEXT) | instid1(VALU_DEP_1)
	v_fma_f64 v[4:5], -v[4:5], v[24:25], v[204:205]
	v_div_fmas_f64 v[4:5], v[4:5], v[22:23], v[24:25]
	s_delay_alu instid0(VALU_DEP_1) | instskip(NEXT) | instid1(VALU_DEP_1)
	v_div_fixup_f64 v[4:5], v[4:5], v[20:21], v[18:19]
	v_fmac_f64_e32 v[20:21], v[18:19], v[4:5]
	s_delay_alu instid0(VALU_DEP_1) | instskip(NEXT) | instid1(VALU_DEP_1)
	v_div_scale_f64 v[18:19], null, v[20:21], v[20:21], 1.0
	v_rcp_f64_e32 v[22:23], v[18:19]
	v_nop
	s_delay_alu instid0(TRANS32_DEP_1) | instskip(NEXT) | instid1(VALU_DEP_1)
	v_fma_f64 v[24:25], -v[18:19], v[22:23], 1.0
	v_fmac_f64_e32 v[22:23], v[22:23], v[24:25]
	s_delay_alu instid0(VALU_DEP_1) | instskip(NEXT) | instid1(VALU_DEP_1)
	v_fma_f64 v[24:25], -v[18:19], v[22:23], 1.0
	v_fmac_f64_e32 v[22:23], v[22:23], v[24:25]
	v_div_scale_f64 v[24:25], vcc_lo, 1.0, v[20:21], 1.0
	s_delay_alu instid0(VALU_DEP_1) | instskip(NEXT) | instid1(VALU_DEP_1)
	v_mul_f64_e32 v[204:205], v[24:25], v[22:23]
	v_fma_f64 v[18:19], -v[18:19], v[204:205], v[24:25]
	s_delay_alu instid0(VALU_DEP_1) | instskip(NEXT) | instid1(VALU_DEP_1)
	v_div_fmas_f64 v[18:19], v[18:19], v[22:23], v[204:205]
	v_div_fixup_f64 v[24:25], v[18:19], v[20:21], 1.0
                                        ; implicit-def: $vgpr18_vgpr19
	s_delay_alu instid0(VALU_DEP_1)
	v_mul_f64_e32 v[22:23], v[4:5], v[24:25]
	v_xor_b32_e32 v25, 0x80000000, v25
.LBB83_542:                             ;   in Loop: Header=BB83_3 Depth=1
	s_and_not1_saveexec_b32 s94, s94
	s_cbranch_execz .LBB83_544
; %bb.543:                              ;   in Loop: Header=BB83_3 Depth=1
	v_div_scale_f64 v[4:5], null, v[18:19], v[18:19], v[20:21]
	v_div_scale_f64 v[204:205], vcc_lo, v[20:21], v[18:19], v[20:21]
	s_delay_alu instid0(VALU_DEP_2) | instskip(SKIP_1) | instid1(TRANS32_DEP_1)
	v_rcp_f64_e32 v[22:23], v[4:5]
	v_nop
	v_fma_f64 v[24:25], -v[4:5], v[22:23], 1.0
	s_delay_alu instid0(VALU_DEP_1) | instskip(NEXT) | instid1(VALU_DEP_1)
	v_fmac_f64_e32 v[22:23], v[22:23], v[24:25]
	v_fma_f64 v[24:25], -v[4:5], v[22:23], 1.0
	s_delay_alu instid0(VALU_DEP_1) | instskip(NEXT) | instid1(VALU_DEP_1)
	v_fmac_f64_e32 v[22:23], v[22:23], v[24:25]
	v_mul_f64_e32 v[24:25], v[204:205], v[22:23]
	s_delay_alu instid0(VALU_DEP_1) | instskip(NEXT) | instid1(VALU_DEP_1)
	v_fma_f64 v[4:5], -v[4:5], v[24:25], v[204:205]
	v_div_fmas_f64 v[4:5], v[4:5], v[22:23], v[24:25]
	s_delay_alu instid0(VALU_DEP_1) | instskip(NEXT) | instid1(VALU_DEP_1)
	v_div_fixup_f64 v[4:5], v[4:5], v[18:19], v[20:21]
	v_fmac_f64_e32 v[18:19], v[20:21], v[4:5]
	s_delay_alu instid0(VALU_DEP_1) | instskip(NEXT) | instid1(VALU_DEP_1)
	v_div_scale_f64 v[20:21], null, v[18:19], v[18:19], 1.0
	v_rcp_f64_e32 v[22:23], v[20:21]
	v_nop
	s_delay_alu instid0(TRANS32_DEP_1) | instskip(NEXT) | instid1(VALU_DEP_1)
	v_fma_f64 v[24:25], -v[20:21], v[22:23], 1.0
	v_fmac_f64_e32 v[22:23], v[22:23], v[24:25]
	s_delay_alu instid0(VALU_DEP_1) | instskip(NEXT) | instid1(VALU_DEP_1)
	v_fma_f64 v[24:25], -v[20:21], v[22:23], 1.0
	v_fmac_f64_e32 v[22:23], v[22:23], v[24:25]
	v_div_scale_f64 v[24:25], vcc_lo, 1.0, v[18:19], 1.0
	s_delay_alu instid0(VALU_DEP_1) | instskip(NEXT) | instid1(VALU_DEP_1)
	v_mul_f64_e32 v[204:205], v[24:25], v[22:23]
	v_fma_f64 v[20:21], -v[20:21], v[204:205], v[24:25]
	s_delay_alu instid0(VALU_DEP_1) | instskip(NEXT) | instid1(VALU_DEP_1)
	v_div_fmas_f64 v[20:21], v[20:21], v[22:23], v[204:205]
	v_div_fixup_f64 v[22:23], v[20:21], v[18:19], 1.0
	s_delay_alu instid0(VALU_DEP_1)
	v_mul_f64_e64 v[24:25], v[4:5], -v[22:23]
.LBB83_544:                             ;   in Loop: Header=BB83_3 Depth=1
	s_or_b32 exec_lo, exec_lo, s94
	ds_store_b128 v197, v[22:25]
.LBB83_545:                             ;   in Loop: Header=BB83_3 Depth=1
	s_or_b32 exec_lo, exec_lo, s47
	s_and_not1_saveexec_b32 s46, s46
	s_cbranch_execnz .LBB83_21
	s_branch .LBB83_22
.LBB83_546:                             ;   in Loop: Header=BB83_3 Depth=1
	s_or_b32 exec_lo, exec_lo, vcc_lo
	s_delay_alu instid0(SALU_CYCLE_1)
	s_and_b32 vcc_lo, exec_lo, s47
	s_cbranch_vccnz .LBB83_484
.LBB83_547:                             ;   in Loop: Header=BB83_3 Depth=1
	s_delay_alu instid0(VALU_DEP_1) | instskip(NEXT) | instid1(VALU_DEP_3)
	v_mov_b64_e32 v[20:21], v[4:5]
	v_mov_b64_e32 v[18:19], v[22:23]
	s_and_saveexec_b32 s47, s46
	s_cbranch_execnz .LBB83_497
	s_branch .LBB83_498
.LBB83_548:                             ;   in Loop: Header=BB83_3 Depth=1
	s_and_not1_b32 s46, s46, exec_lo
	s_and_b32 s94, s1, exec_lo
	s_delay_alu instid0(SALU_CYCLE_1)
	s_or_b32 s46, s46, s94
	s_cbranch_execnz .LBB83_496
.LBB83_549:                             ;   in Loop: Header=BB83_3 Depth=1
	v_readlane_b32 s47, v203, 12
	s_and_not1_b32 s46, s46, exec_lo
	s_and_b32 s47, s47, exec_lo
	s_delay_alu instid0(SALU_CYCLE_1) | instskip(NEXT) | instid1(SALU_CYCLE_1)
	s_or_b32 s46, s46, s47
	s_and_saveexec_b32 s47, s46
	s_cbranch_execnz .LBB83_497
	s_branch .LBB83_498
.LBB83_550:                             ;   in Loop: Header=BB83_3 Depth=1
	ds_load_b128 v[22:25], v46 offset:16
	ds_load_b128 v[204:207], v53 offset:576
	s_wait_dscnt 0x0
	v_mul_f64_e32 v[4:5], v[24:25], v[206:207]
	s_delay_alu instid0(VALU_DEP_1) | instskip(SKIP_1) | instid1(VALU_DEP_2)
	v_fma_f64 v[4:5], v[22:23], v[204:205], -v[4:5]
	v_mul_f64_e32 v[22:23], v[22:23], v[206:207]
	v_add_f64_e32 v[18:19], v[18:19], v[4:5]
	s_delay_alu instid0(VALU_DEP_2) | instskip(NEXT) | instid1(VALU_DEP_1)
	v_fmac_f64_e32 v[22:23], v[24:25], v[204:205]
	v_add_f64_e32 v[20:21], v[20:21], v[22:23]
	s_or_b32 exec_lo, exec_lo, s41
	s_and_saveexec_b32 s41, s12
	s_cbranch_execz .LBB83_45
.LBB83_551:                             ;   in Loop: Header=BB83_3 Depth=1
	ds_load_b128 v[22:25], v46 offset:32
	ds_load_b128 v[204:207], v52 offset:1088
	s_wait_dscnt 0x0
	v_mul_f64_e32 v[4:5], v[24:25], v[206:207]
	s_delay_alu instid0(VALU_DEP_1) | instskip(SKIP_1) | instid1(VALU_DEP_2)
	v_fma_f64 v[4:5], v[22:23], v[204:205], -v[4:5]
	v_mul_f64_e32 v[22:23], v[22:23], v[206:207]
	v_add_f64_e32 v[18:19], v[18:19], v[4:5]
	s_delay_alu instid0(VALU_DEP_2) | instskip(NEXT) | instid1(VALU_DEP_1)
	v_fmac_f64_e32 v[22:23], v[24:25], v[204:205]
	v_add_f64_e32 v[20:21], v[20:21], v[22:23]
	s_or_b32 exec_lo, exec_lo, s41
	s_and_saveexec_b32 s41, s0
	s_cbranch_execnz .LBB83_46
	s_branch .LBB83_47
.LBB83_552:                             ;   in Loop: Header=BB83_3 Depth=1
	ds_load_b128 v[22:25], v54 offset:16
	ds_load_b128 v[204:207], v60 offset:640
	s_wait_dscnt 0x0
	v_mul_f64_e32 v[4:5], v[24:25], v[206:207]
	s_delay_alu instid0(VALU_DEP_1) | instskip(SKIP_1) | instid1(VALU_DEP_2)
	v_fma_f64 v[4:5], v[22:23], v[204:205], -v[4:5]
	v_mul_f64_e32 v[22:23], v[22:23], v[206:207]
	v_add_f64_e32 v[18:19], v[18:19], v[4:5]
	s_delay_alu instid0(VALU_DEP_2) | instskip(NEXT) | instid1(VALU_DEP_1)
	v_fmac_f64_e32 v[22:23], v[24:25], v[204:205]
	v_add_f64_e32 v[20:21], v[20:21], v[22:23]
	s_or_b32 exec_lo, exec_lo, s41
	s_and_saveexec_b32 s41, s14
	s_cbranch_execz .LBB83_87
.LBB83_553:                             ;   in Loop: Header=BB83_3 Depth=1
	ds_load_b128 v[22:25], v54 offset:32
	ds_load_b128 v[204:207], v60 offset:1152
	s_wait_dscnt 0x0
	v_mul_f64_e32 v[4:5], v[24:25], v[206:207]
	s_delay_alu instid0(VALU_DEP_1) | instskip(SKIP_1) | instid1(VALU_DEP_2)
	v_fma_f64 v[4:5], v[22:23], v[204:205], -v[4:5]
	v_mul_f64_e32 v[22:23], v[22:23], v[206:207]
	v_add_f64_e32 v[18:19], v[18:19], v[4:5]
	s_delay_alu instid0(VALU_DEP_2) | instskip(NEXT) | instid1(VALU_DEP_1)
	v_fmac_f64_e32 v[22:23], v[24:25], v[204:205]
	v_add_f64_e32 v[20:21], v[20:21], v[22:23]
	s_or_b32 exec_lo, exec_lo, s41
	s_and_saveexec_b32 s41, s15
	s_cbranch_execz .LBB83_88
.LBB83_554:                             ;   in Loop: Header=BB83_3 Depth=1
	ds_load_b128 v[22:25], v54 offset:48
	ds_load_b128 v[204:207], v60 offset:1664
	s_wait_dscnt 0x0
	v_mul_f64_e32 v[4:5], v[24:25], v[206:207]
	s_delay_alu instid0(VALU_DEP_1) | instskip(SKIP_1) | instid1(VALU_DEP_2)
	v_fma_f64 v[4:5], v[22:23], v[204:205], -v[4:5]
	v_mul_f64_e32 v[22:23], v[22:23], v[206:207]
	v_add_f64_e32 v[18:19], v[18:19], v[4:5]
	s_delay_alu instid0(VALU_DEP_2) | instskip(NEXT) | instid1(VALU_DEP_1)
	v_fmac_f64_e32 v[22:23], v[24:25], v[204:205]
	v_add_f64_e32 v[20:21], v[20:21], v[22:23]
	s_or_b32 exec_lo, exec_lo, s41
	s_and_saveexec_b32 s41, s16
	s_cbranch_execz .LBB83_89
.LBB83_555:                             ;   in Loop: Header=BB83_3 Depth=1
	ds_load_b128 v[22:25], v54 offset:64
	ds_load_b128 v[204:207], v59 offset:2176
	s_wait_dscnt 0x0
	v_mul_f64_e32 v[4:5], v[24:25], v[206:207]
	s_delay_alu instid0(VALU_DEP_1) | instskip(SKIP_1) | instid1(VALU_DEP_2)
	v_fma_f64 v[4:5], v[22:23], v[204:205], -v[4:5]
	v_mul_f64_e32 v[22:23], v[22:23], v[206:207]
	v_add_f64_e32 v[18:19], v[18:19], v[4:5]
	s_delay_alu instid0(VALU_DEP_2) | instskip(NEXT) | instid1(VALU_DEP_1)
	v_fmac_f64_e32 v[22:23], v[24:25], v[204:205]
	v_add_f64_e32 v[20:21], v[20:21], v[22:23]
	s_or_b32 exec_lo, exec_lo, s41
	s_and_saveexec_b32 s41, s17
	s_cbranch_execz .LBB83_90
.LBB83_556:                             ;   in Loop: Header=BB83_3 Depth=1
	ds_load_b128 v[22:25], v54 offset:80
	ds_load_b128 v[204:207], v60 offset:2688
	s_wait_dscnt 0x0
	v_mul_f64_e32 v[4:5], v[24:25], v[206:207]
	s_delay_alu instid0(VALU_DEP_1) | instskip(SKIP_1) | instid1(VALU_DEP_2)
	v_fma_f64 v[4:5], v[22:23], v[204:205], -v[4:5]
	v_mul_f64_e32 v[22:23], v[22:23], v[206:207]
	v_add_f64_e32 v[18:19], v[18:19], v[4:5]
	s_delay_alu instid0(VALU_DEP_2) | instskip(NEXT) | instid1(VALU_DEP_1)
	v_fmac_f64_e32 v[22:23], v[24:25], v[204:205]
	v_add_f64_e32 v[20:21], v[20:21], v[22:23]
	s_or_b32 exec_lo, exec_lo, s41
	s_and_saveexec_b32 s41, s2
	s_cbranch_execz .LBB83_91
.LBB83_557:                             ;   in Loop: Header=BB83_3 Depth=1
	ds_load_b128 v[22:25], v54 offset:96
	ds_load_b128 v[204:207], v59 offset:3200
	s_wait_dscnt 0x0
	v_mul_f64_e32 v[4:5], v[24:25], v[206:207]
	s_delay_alu instid0(VALU_DEP_1) | instskip(SKIP_1) | instid1(VALU_DEP_2)
	v_fma_f64 v[4:5], v[22:23], v[204:205], -v[4:5]
	v_mul_f64_e32 v[22:23], v[22:23], v[206:207]
	v_add_f64_e32 v[18:19], v[18:19], v[4:5]
	s_delay_alu instid0(VALU_DEP_2) | instskip(NEXT) | instid1(VALU_DEP_1)
	v_fmac_f64_e32 v[22:23], v[24:25], v[204:205]
	v_add_f64_e32 v[20:21], v[20:21], v[22:23]
	s_or_b32 exec_lo, exec_lo, s41
	s_and_saveexec_b32 s41, s12
	s_cbranch_execnz .LBB83_92
	s_branch .LBB83_93
.LBB83_558:                             ;   in Loop: Header=BB83_3 Depth=1
	ds_load_b128 v[22:25], v46 offset:4240
	ds_load_b128 v[204:207], v53 offset:4800
	s_wait_dscnt 0x0
	v_mul_f64_e32 v[4:5], v[24:25], v[206:207]
	s_delay_alu instid0(VALU_DEP_1) | instskip(SKIP_1) | instid1(VALU_DEP_2)
	v_fma_f64 v[4:5], v[22:23], v[204:205], -v[4:5]
	v_mul_f64_e32 v[22:23], v[22:23], v[206:207]
	v_add_f64_e32 v[18:19], v[18:19], v[4:5]
	s_delay_alu instid0(VALU_DEP_2) | instskip(NEXT) | instid1(VALU_DEP_1)
	v_fmac_f64_e32 v[22:23], v[24:25], v[204:205]
	v_add_f64_e32 v[20:21], v[20:21], v[22:23]
	s_or_b32 exec_lo, exec_lo, s41
	s_and_saveexec_b32 s41, s12
	s_cbranch_execz .LBB83_149
.LBB83_559:                             ;   in Loop: Header=BB83_3 Depth=1
	ds_load_b128 v[22:25], v46 offset:4256
	ds_load_b128 v[204:207], v52 offset:5312
	s_wait_dscnt 0x0
	v_mul_f64_e32 v[4:5], v[24:25], v[206:207]
	s_delay_alu instid0(VALU_DEP_1) | instskip(SKIP_1) | instid1(VALU_DEP_2)
	v_fma_f64 v[4:5], v[22:23], v[204:205], -v[4:5]
	v_mul_f64_e32 v[22:23], v[22:23], v[206:207]
	v_add_f64_e32 v[18:19], v[18:19], v[4:5]
	s_delay_alu instid0(VALU_DEP_2) | instskip(NEXT) | instid1(VALU_DEP_1)
	v_fmac_f64_e32 v[22:23], v[24:25], v[204:205]
	v_add_f64_e32 v[20:21], v[20:21], v[22:23]
	s_or_b32 exec_lo, exec_lo, s41
	s_and_saveexec_b32 s41, s0
	s_cbranch_execnz .LBB83_150
	s_branch .LBB83_151
.LBB83_560:                             ;   in Loop: Header=BB83_3 Depth=1
	ds_load_b128 v[22:25], v3 offset:176
	ds_load_b128 v[204:207], v170 offset:5888
	s_wait_dscnt 0x0
	v_mul_f64_e32 v[4:5], v[24:25], v[206:207]
	s_delay_alu instid0(VALU_DEP_1) | instskip(SKIP_1) | instid1(VALU_DEP_2)
	v_fma_f64 v[4:5], v[22:23], v[204:205], -v[4:5]
	v_mul_f64_e32 v[22:23], v[22:23], v[206:207]
	v_add_f64_e32 v[18:19], v[18:19], v[4:5]
	s_delay_alu instid0(VALU_DEP_2) | instskip(NEXT) | instid1(VALU_DEP_1)
	v_fmac_f64_e32 v[22:23], v[24:25], v[204:205]
	v_add_f64_e32 v[20:21], v[20:21], v[22:23]
	s_or_b32 exec_lo, exec_lo, s41
	s_and_saveexec_b32 s41, s3
	s_cbranch_execz .LBB83_211
.LBB83_561:                             ;   in Loop: Header=BB83_3 Depth=1
	ds_load_b128 v[22:25], v3 offset:192
	ds_load_b128 v[204:207], v170 offset:6400
	s_wait_dscnt 0x0
	v_mul_f64_e32 v[4:5], v[24:25], v[206:207]
	s_delay_alu instid0(VALU_DEP_1) | instskip(SKIP_1) | instid1(VALU_DEP_2)
	v_fma_f64 v[4:5], v[22:23], v[204:205], -v[4:5]
	v_mul_f64_e32 v[22:23], v[22:23], v[206:207]
	v_add_f64_e32 v[18:19], v[18:19], v[4:5]
	s_delay_alu instid0(VALU_DEP_2) | instskip(NEXT) | instid1(VALU_DEP_1)
	v_fmac_f64_e32 v[22:23], v[24:25], v[204:205]
	v_add_f64_e32 v[20:21], v[20:21], v[22:23]
	s_or_b32 exec_lo, exec_lo, s41
	s_and_saveexec_b32 s41, s14
	s_cbranch_execz .LBB83_212
.LBB83_562:                             ;   in Loop: Header=BB83_3 Depth=1
	ds_load_b128 v[22:25], v3 offset:208
	ds_load_b128 v[204:207], v170 offset:6912
	s_wait_dscnt 0x0
	v_mul_f64_e32 v[4:5], v[24:25], v[206:207]
	s_delay_alu instid0(VALU_DEP_1) | instskip(SKIP_1) | instid1(VALU_DEP_2)
	v_fma_f64 v[4:5], v[22:23], v[204:205], -v[4:5]
	v_mul_f64_e32 v[22:23], v[22:23], v[206:207]
	v_add_f64_e32 v[18:19], v[18:19], v[4:5]
	s_delay_alu instid0(VALU_DEP_2) | instskip(NEXT) | instid1(VALU_DEP_1)
	v_fmac_f64_e32 v[22:23], v[24:25], v[204:205]
	v_add_f64_e32 v[20:21], v[20:21], v[22:23]
	s_or_b32 exec_lo, exec_lo, s41
	s_and_saveexec_b32 s41, s16
	s_cbranch_execz .LBB83_213
.LBB83_563:                             ;   in Loop: Header=BB83_3 Depth=1
	ds_load_b128 v[22:25], v3 offset:224
	ds_load_b128 v[204:207], v170 offset:7424
	s_wait_dscnt 0x0
	v_mul_f64_e32 v[4:5], v[24:25], v[206:207]
	s_delay_alu instid0(VALU_DEP_1) | instskip(SKIP_1) | instid1(VALU_DEP_2)
	v_fma_f64 v[4:5], v[22:23], v[204:205], -v[4:5]
	v_mul_f64_e32 v[22:23], v[22:23], v[206:207]
	v_add_f64_e32 v[18:19], v[18:19], v[4:5]
	s_delay_alu instid0(VALU_DEP_2) | instskip(NEXT) | instid1(VALU_DEP_1)
	v_fmac_f64_e32 v[22:23], v[24:25], v[204:205]
	v_add_f64_e32 v[20:21], v[20:21], v[22:23]
	s_or_b32 exec_lo, exec_lo, s41
	s_and_saveexec_b32 s41, s2
	s_cbranch_execnz .LBB83_214
	s_branch .LBB83_215
.LBB83_564:                             ;   in Loop: Header=BB83_3 Depth=1
	ds_load_b128 v[22:25], v46 offset:8464
	ds_load_b128 v[204:207], v53 offset:9024
	s_wait_dscnt 0x0
	v_mul_f64_e32 v[4:5], v[24:25], v[206:207]
	s_delay_alu instid0(VALU_DEP_1) | instskip(SKIP_1) | instid1(VALU_DEP_2)
	v_fma_f64 v[4:5], v[22:23], v[204:205], -v[4:5]
	v_mul_f64_e32 v[22:23], v[22:23], v[206:207]
	v_add_f64_e32 v[18:19], v[18:19], v[4:5]
	s_delay_alu instid0(VALU_DEP_2) | instskip(NEXT) | instid1(VALU_DEP_1)
	v_fmac_f64_e32 v[22:23], v[24:25], v[204:205]
	v_add_f64_e32 v[20:21], v[20:21], v[22:23]
	s_or_b32 exec_lo, exec_lo, s41
	s_and_saveexec_b32 s41, s12
	s_cbranch_execz .LBB83_303
.LBB83_565:                             ;   in Loop: Header=BB83_3 Depth=1
	ds_load_b128 v[22:25], v46 offset:8480
	ds_load_b128 v[204:207], v52 offset:9536
	s_wait_dscnt 0x0
	v_mul_f64_e32 v[4:5], v[24:25], v[206:207]
	s_delay_alu instid0(VALU_DEP_1) | instskip(SKIP_1) | instid1(VALU_DEP_2)
	v_fma_f64 v[4:5], v[22:23], v[204:205], -v[4:5]
	v_mul_f64_e32 v[22:23], v[22:23], v[206:207]
	v_add_f64_e32 v[18:19], v[18:19], v[4:5]
	s_delay_alu instid0(VALU_DEP_2) | instskip(NEXT) | instid1(VALU_DEP_1)
	v_fmac_f64_e32 v[22:23], v[24:25], v[204:205]
	v_add_f64_e32 v[20:21], v[20:21], v[22:23]
	s_or_b32 exec_lo, exec_lo, s41
	s_and_saveexec_b32 s41, s0
	s_cbranch_execnz .LBB83_304
	s_branch .LBB83_305
.LBB83_566:                             ;   in Loop: Header=BB83_3 Depth=1
	ds_load_b128 v[22:25], v54 offset:8464
	ds_load_b128 v[204:207], v60 offset:9088
	s_wait_dscnt 0x0
	v_mul_f64_e32 v[4:5], v[24:25], v[206:207]
	s_delay_alu instid0(VALU_DEP_1) | instskip(SKIP_1) | instid1(VALU_DEP_2)
	v_fma_f64 v[4:5], v[22:23], v[204:205], -v[4:5]
	v_mul_f64_e32 v[22:23], v[22:23], v[206:207]
	v_add_f64_e32 v[18:19], v[18:19], v[4:5]
	s_delay_alu instid0(VALU_DEP_2) | instskip(NEXT) | instid1(VALU_DEP_1)
	v_fmac_f64_e32 v[22:23], v[24:25], v[204:205]
	v_add_f64_e32 v[20:21], v[20:21], v[22:23]
	s_or_b32 exec_lo, exec_lo, s41
	s_and_saveexec_b32 s41, s14
	s_cbranch_execz .LBB83_345
.LBB83_567:                             ;   in Loop: Header=BB83_3 Depth=1
	ds_load_b128 v[22:25], v54 offset:8480
	ds_load_b128 v[204:207], v60 offset:9600
	s_wait_dscnt 0x0
	v_mul_f64_e32 v[4:5], v[24:25], v[206:207]
	s_delay_alu instid0(VALU_DEP_1) | instskip(SKIP_1) | instid1(VALU_DEP_2)
	v_fma_f64 v[4:5], v[22:23], v[204:205], -v[4:5]
	v_mul_f64_e32 v[22:23], v[22:23], v[206:207]
	v_add_f64_e32 v[18:19], v[18:19], v[4:5]
	s_delay_alu instid0(VALU_DEP_2) | instskip(NEXT) | instid1(VALU_DEP_1)
	v_fmac_f64_e32 v[22:23], v[24:25], v[204:205]
	v_add_f64_e32 v[20:21], v[20:21], v[22:23]
	s_or_b32 exec_lo, exec_lo, s41
	s_and_saveexec_b32 s41, s15
	s_cbranch_execz .LBB83_346
.LBB83_568:                             ;   in Loop: Header=BB83_3 Depth=1
	ds_load_b128 v[22:25], v54 offset:8496
	ds_load_b128 v[204:207], v60 offset:10112
	s_wait_dscnt 0x0
	v_mul_f64_e32 v[4:5], v[24:25], v[206:207]
	s_delay_alu instid0(VALU_DEP_1) | instskip(SKIP_1) | instid1(VALU_DEP_2)
	v_fma_f64 v[4:5], v[22:23], v[204:205], -v[4:5]
	v_mul_f64_e32 v[22:23], v[22:23], v[206:207]
	v_add_f64_e32 v[18:19], v[18:19], v[4:5]
	s_delay_alu instid0(VALU_DEP_2) | instskip(NEXT) | instid1(VALU_DEP_1)
	v_fmac_f64_e32 v[22:23], v[24:25], v[204:205]
	v_add_f64_e32 v[20:21], v[20:21], v[22:23]
	s_or_b32 exec_lo, exec_lo, s41
	s_and_saveexec_b32 s41, s16
	s_cbranch_execz .LBB83_347
.LBB83_569:                             ;   in Loop: Header=BB83_3 Depth=1
	ds_load_b128 v[22:25], v54 offset:8512
	ds_load_b128 v[204:207], v59 offset:10624
	s_wait_dscnt 0x0
	v_mul_f64_e32 v[4:5], v[24:25], v[206:207]
	s_delay_alu instid0(VALU_DEP_1) | instskip(SKIP_1) | instid1(VALU_DEP_2)
	v_fma_f64 v[4:5], v[22:23], v[204:205], -v[4:5]
	v_mul_f64_e32 v[22:23], v[22:23], v[206:207]
	v_add_f64_e32 v[18:19], v[18:19], v[4:5]
	s_delay_alu instid0(VALU_DEP_2) | instskip(NEXT) | instid1(VALU_DEP_1)
	v_fmac_f64_e32 v[22:23], v[24:25], v[204:205]
	v_add_f64_e32 v[20:21], v[20:21], v[22:23]
	s_or_b32 exec_lo, exec_lo, s41
	s_and_saveexec_b32 s41, s17
	s_cbranch_execz .LBB83_348
.LBB83_570:                             ;   in Loop: Header=BB83_3 Depth=1
	ds_load_b128 v[22:25], v54 offset:8528
	ds_load_b128 v[204:207], v60 offset:11136
	s_wait_dscnt 0x0
	v_mul_f64_e32 v[4:5], v[24:25], v[206:207]
	s_delay_alu instid0(VALU_DEP_1) | instskip(SKIP_1) | instid1(VALU_DEP_2)
	v_fma_f64 v[4:5], v[22:23], v[204:205], -v[4:5]
	v_mul_f64_e32 v[22:23], v[22:23], v[206:207]
	v_add_f64_e32 v[18:19], v[18:19], v[4:5]
	s_delay_alu instid0(VALU_DEP_2) | instskip(NEXT) | instid1(VALU_DEP_1)
	v_fmac_f64_e32 v[22:23], v[24:25], v[204:205]
	v_add_f64_e32 v[20:21], v[20:21], v[22:23]
	s_or_b32 exec_lo, exec_lo, s41
	s_and_saveexec_b32 s41, s2
	s_cbranch_execz .LBB83_349
.LBB83_571:                             ;   in Loop: Header=BB83_3 Depth=1
	ds_load_b128 v[22:25], v54 offset:8544
	ds_load_b128 v[204:207], v59 offset:11648
	s_wait_dscnt 0x0
	v_mul_f64_e32 v[4:5], v[24:25], v[206:207]
	s_delay_alu instid0(VALU_DEP_1) | instskip(SKIP_1) | instid1(VALU_DEP_2)
	v_fma_f64 v[4:5], v[22:23], v[204:205], -v[4:5]
	v_mul_f64_e32 v[22:23], v[22:23], v[206:207]
	v_add_f64_e32 v[18:19], v[18:19], v[4:5]
	s_delay_alu instid0(VALU_DEP_2) | instskip(NEXT) | instid1(VALU_DEP_1)
	v_fmac_f64_e32 v[22:23], v[24:25], v[204:205]
	v_add_f64_e32 v[20:21], v[20:21], v[22:23]
	s_or_b32 exec_lo, exec_lo, s41
	s_and_saveexec_b32 s41, s12
	s_cbranch_execnz .LBB83_350
	s_branch .LBB83_351
.LBB83_572:                             ;   in Loop: Header=BB83_3 Depth=1
	ds_load_b128 v[22:25], v46 offset:12688
	ds_load_b128 v[204:207], v53 offset:13248
	s_wait_dscnt 0x0
	v_mul_f64_e32 v[4:5], v[24:25], v[206:207]
	s_delay_alu instid0(VALU_DEP_1) | instskip(SKIP_1) | instid1(VALU_DEP_2)
	v_fma_f64 v[4:5], v[22:23], v[204:205], -v[4:5]
	v_mul_f64_e32 v[22:23], v[22:23], v[206:207]
	v_add_f64_e32 v[18:19], v[18:19], v[4:5]
	s_delay_alu instid0(VALU_DEP_2) | instskip(NEXT) | instid1(VALU_DEP_1)
	v_fmac_f64_e32 v[22:23], v[24:25], v[204:205]
	v_add_f64_e32 v[20:21], v[20:21], v[22:23]
	s_or_b32 exec_lo, exec_lo, s41
	s_and_saveexec_b32 s41, s12
	s_cbranch_execz .LBB83_407
.LBB83_573:                             ;   in Loop: Header=BB83_3 Depth=1
	ds_load_b128 v[22:25], v46 offset:12704
	ds_load_b128 v[204:207], v52 offset:13760
	s_wait_dscnt 0x0
	v_mul_f64_e32 v[4:5], v[24:25], v[206:207]
	s_delay_alu instid0(VALU_DEP_1) | instskip(SKIP_1) | instid1(VALU_DEP_2)
	v_fma_f64 v[4:5], v[22:23], v[204:205], -v[4:5]
	v_mul_f64_e32 v[22:23], v[22:23], v[206:207]
	v_add_f64_e32 v[18:19], v[18:19], v[4:5]
	s_delay_alu instid0(VALU_DEP_2) | instskip(NEXT) | instid1(VALU_DEP_1)
	v_fmac_f64_e32 v[22:23], v[24:25], v[204:205]
	v_add_f64_e32 v[20:21], v[20:21], v[22:23]
	s_or_b32 exec_lo, exec_lo, s41
	s_and_saveexec_b32 s41, s0
	s_cbranch_execnz .LBB83_408
	s_branch .LBB83_409
.LBB83_574:
	s_endpgm
	.section	.rodata,"a",@progbits
	.p2align	6, 0x0
	.amdhsa_kernel _ZL19rocblas_trsv_deviceILi32ELi16ELb1ELb1ELb0ELb0E19rocblas_complex_numIdEPKS1_S3_PS1_EviT7_lllT6_T8_lllPii
		.amdhsa_group_segment_fixed_size 25104
		.amdhsa_private_segment_fixed_size 0
		.amdhsa_kernarg_size 352
		.amdhsa_user_sgpr_count 2
		.amdhsa_user_sgpr_dispatch_ptr 0
		.amdhsa_user_sgpr_queue_ptr 0
		.amdhsa_user_sgpr_kernarg_segment_ptr 1
		.amdhsa_user_sgpr_dispatch_id 0
		.amdhsa_user_sgpr_kernarg_preload_length 0
		.amdhsa_user_sgpr_kernarg_preload_offset 0
		.amdhsa_user_sgpr_private_segment_size 0
		.amdhsa_wavefront_size32 1
		.amdhsa_uses_dynamic_stack 0
		.amdhsa_enable_private_segment 0
		.amdhsa_system_sgpr_workgroup_id_x 1
		.amdhsa_system_sgpr_workgroup_id_y 0
		.amdhsa_system_sgpr_workgroup_id_z 1
		.amdhsa_system_sgpr_workgroup_info 0
		.amdhsa_system_vgpr_workitem_id 1
		.amdhsa_next_free_vgpr 210
		.amdhsa_next_free_sgpr 105
		.amdhsa_named_barrier_count 0
		.amdhsa_reserve_vcc 1
		.amdhsa_float_round_mode_32 0
		.amdhsa_float_round_mode_16_64 0
		.amdhsa_float_denorm_mode_32 3
		.amdhsa_float_denorm_mode_16_64 3
		.amdhsa_fp16_overflow 0
		.amdhsa_memory_ordered 1
		.amdhsa_forward_progress 1
		.amdhsa_inst_pref_size 215
		.amdhsa_round_robin_scheduling 0
		.amdhsa_exception_fp_ieee_invalid_op 0
		.amdhsa_exception_fp_denorm_src 0
		.amdhsa_exception_fp_ieee_div_zero 0
		.amdhsa_exception_fp_ieee_overflow 0
		.amdhsa_exception_fp_ieee_underflow 0
		.amdhsa_exception_fp_ieee_inexact 0
		.amdhsa_exception_int_div_zero 0
	.end_amdhsa_kernel
	.section	.text._ZL19rocblas_trsv_deviceILi32ELi16ELb1ELb1ELb0ELb0E19rocblas_complex_numIdEPKS1_S3_PS1_EviT7_lllT6_T8_lllPii,"axG",@progbits,_ZL19rocblas_trsv_deviceILi32ELi16ELb1ELb1ELb0ELb0E19rocblas_complex_numIdEPKS1_S3_PS1_EviT7_lllT6_T8_lllPii,comdat
.Lfunc_end83:
	.size	_ZL19rocblas_trsv_deviceILi32ELi16ELb1ELb1ELb0ELb0E19rocblas_complex_numIdEPKS1_S3_PS1_EviT7_lllT6_T8_lllPii, .Lfunc_end83-_ZL19rocblas_trsv_deviceILi32ELi16ELb1ELb1ELb0ELb0E19rocblas_complex_numIdEPKS1_S3_PS1_EviT7_lllT6_T8_lllPii
                                        ; -- End function
	.set _ZL19rocblas_trsv_deviceILi32ELi16ELb1ELb1ELb0ELb0E19rocblas_complex_numIdEPKS1_S3_PS1_EviT7_lllT6_T8_lllPii.num_vgpr, 210
	.set _ZL19rocblas_trsv_deviceILi32ELi16ELb1ELb1ELb0ELb0E19rocblas_complex_numIdEPKS1_S3_PS1_EviT7_lllT6_T8_lllPii.num_agpr, 0
	.set _ZL19rocblas_trsv_deviceILi32ELi16ELb1ELb1ELb0ELb0E19rocblas_complex_numIdEPKS1_S3_PS1_EviT7_lllT6_T8_lllPii.numbered_sgpr, 105
	.set _ZL19rocblas_trsv_deviceILi32ELi16ELb1ELb1ELb0ELb0E19rocblas_complex_numIdEPKS1_S3_PS1_EviT7_lllT6_T8_lllPii.num_named_barrier, 0
	.set _ZL19rocblas_trsv_deviceILi32ELi16ELb1ELb1ELb0ELb0E19rocblas_complex_numIdEPKS1_S3_PS1_EviT7_lllT6_T8_lllPii.private_seg_size, 0
	.set _ZL19rocblas_trsv_deviceILi32ELi16ELb1ELb1ELb0ELb0E19rocblas_complex_numIdEPKS1_S3_PS1_EviT7_lllT6_T8_lllPii.uses_vcc, 1
	.set _ZL19rocblas_trsv_deviceILi32ELi16ELb1ELb1ELb0ELb0E19rocblas_complex_numIdEPKS1_S3_PS1_EviT7_lllT6_T8_lllPii.uses_flat_scratch, 0
	.set _ZL19rocblas_trsv_deviceILi32ELi16ELb1ELb1ELb0ELb0E19rocblas_complex_numIdEPKS1_S3_PS1_EviT7_lllT6_T8_lllPii.has_dyn_sized_stack, 0
	.set _ZL19rocblas_trsv_deviceILi32ELi16ELb1ELb1ELb0ELb0E19rocblas_complex_numIdEPKS1_S3_PS1_EviT7_lllT6_T8_lllPii.has_recursion, 0
	.set _ZL19rocblas_trsv_deviceILi32ELi16ELb1ELb1ELb0ELb0E19rocblas_complex_numIdEPKS1_S3_PS1_EviT7_lllT6_T8_lllPii.has_indirect_call, 0
	.section	.AMDGPU.csdata,"",@progbits
; Kernel info:
; codeLenInByte = 27408
; TotalNumSgprs: 107
; NumVgprs: 210
; ScratchSize: 0
; MemoryBound: 1
; FloatMode: 240
; IeeeMode: 1
; LDSByteSize: 25104 bytes/workgroup (compile time only)
; SGPRBlocks: 0
; VGPRBlocks: 13
; NumSGPRsForWavesPerEU: 107
; NumVGPRsForWavesPerEU: 210
; NamedBarCnt: 0
; Occupancy: 4
; WaveLimiterHint : 0
; COMPUTE_PGM_RSRC2:SCRATCH_EN: 0
; COMPUTE_PGM_RSRC2:USER_SGPR: 2
; COMPUTE_PGM_RSRC2:TRAP_HANDLER: 0
; COMPUTE_PGM_RSRC2:TGID_X_EN: 1
; COMPUTE_PGM_RSRC2:TGID_Y_EN: 0
; COMPUTE_PGM_RSRC2:TGID_Z_EN: 1
; COMPUTE_PGM_RSRC2:TIDIG_COMP_CNT: 1
	.section	.text._ZL19rocblas_trsv_deviceILi32ELi16ELb1ELb1ELb1ELb0E19rocblas_complex_numIdEPKS1_S3_PS1_EviT7_lllT6_T8_lllPii,"axG",@progbits,_ZL19rocblas_trsv_deviceILi32ELi16ELb1ELb1ELb1ELb0E19rocblas_complex_numIdEPKS1_S3_PS1_EviT7_lllT6_T8_lllPii,comdat
	.globl	_ZL19rocblas_trsv_deviceILi32ELi16ELb1ELb1ELb1ELb0E19rocblas_complex_numIdEPKS1_S3_PS1_EviT7_lllT6_T8_lllPii ; -- Begin function _ZL19rocblas_trsv_deviceILi32ELi16ELb1ELb1ELb1ELb0E19rocblas_complex_numIdEPKS1_S3_PS1_EviT7_lllT6_T8_lllPii
	.p2align	8
	.type	_ZL19rocblas_trsv_deviceILi32ELi16ELb1ELb1ELb1ELb0E19rocblas_complex_numIdEPKS1_S3_PS1_EviT7_lllT6_T8_lllPii,@function
_ZL19rocblas_trsv_deviceILi32ELi16ELb1ELb1ELb1ELb0E19rocblas_complex_numIdEPKS1_S3_PS1_EviT7_lllT6_T8_lllPii: ; @_ZL19rocblas_trsv_deviceILi32ELi16ELb1ELb1ELb1ELb0E19rocblas_complex_numIdEPKS1_S3_PS1_EviT7_lllT6_T8_lllPii
; %bb.0:
	s_load_b32 s35, s[0:1], 0x58
	s_bfe_u32 s2, ttmp6, 0x40014
	s_lshr_b32 s3, ttmp7, 16
	s_add_co_i32 s2, s2, 1
	s_bfe_u32 s5, ttmp6, 0x40008
	s_mul_i32 s4, s3, s2
	s_getreg_b32 s2, hwreg(HW_REG_IB_STS2, 6, 4)
	s_add_co_i32 s5, s5, s4
	s_cmp_eq_u32 s2, 0
	s_mov_b32 s57, 0
	s_cselect_b32 s56, s3, s5
	s_wait_kmcnt 0x0
	s_cmp_ge_u32 s56, s35
	s_cbranch_scc1 .LBB84_574
; %bb.1:
	s_clause 0x3
	s_load_b512 s[36:51], s[0:1], 0x8
	s_load_b32 s4, s[0:1], 0x6c
	s_load_b32 s3, s[0:1], 0x60
	;; [unrolled: 1-line block ×3, first 2 shown]
	s_bfe_u32 s6, ttmp6, 0x4000c
	s_and_b32 s5, ttmp6, 15
	s_add_co_i32 s6, s6, 1
	s_load_b128 s[52:55], s[0:1], 0x48
	s_wait_xcnt 0x0
	s_mul_i32 s0, ttmp9, s6
	v_bfe_u32 v42, v0, 10, 10
	s_add_co_i32 s5, s5, s0
	v_and_b32_e32 v26, 0x3ff, v0
	v_mov_b32_e32 v2, 0
                                        ; implicit-def: $vgpr203 : SGPR spill to VGPR lane
	v_dual_lshrrev_b32 v11, 10, v0 :: v_dual_bitop2_b32 v13, 1, v0 bitop3:0x40
	s_delay_alu instid0(VALU_DEP_3) | instskip(NEXT) | instid1(VALU_DEP_3)
	v_lshlrev_b32_e32 v1, 5, v26
	v_dual_mov_b32 v29, v2 :: v_dual_add_nc_u32 v12, 16, v42
	v_mov_b32_e32 v27, v2
	s_wait_kmcnt 0x0
	s_lshl_b64 s[0:1], s[38:39], 4
	s_lshl_b64 s[6:7], s[48:49], 4
	s_cmp_eq_u32 s2, 0
	v_add_nc_u32_e32 v8, v42, v1
	s_cselect_b32 s48, ttmp9, s5
	s_add_co_i32 s2, s58, -1
	s_ashr_i32 s59, s58, 31
	s_add_co_i32 s49, s3, -1
	s_ashr_i32 s3, s2, 31
	s_lshr_b32 s5, s59, 27
	s_lshr_b32 s3, s3, 27
	s_add_co_i32 s5, s58, s5
	s_add_co_i32 s2, s2, s3
	s_and_not1_b32 s5, s5, 31
	s_sub_co_i32 s89, s49, s48
	s_ashr_i32 s2, s2, 5
	s_and_b32 s4, s4, 0xffff
	s_sub_co_i32 s12, s58, s5
	s_cmp_eq_u32 s2, s89
	v_add_nc_u32_e32 v1, v12, v1
	s_cselect_b32 s2, -1, 0
	s_cmp_lg_u32 s12, 0
	v_lshl_add_u32 v3, v42, 5, v26
	s_cselect_b32 s3, -1, 0
	v_lshl_add_u32 v9, v12, 5, v26
	s_and_b32 s9, s3, s2
	s_add_nc_u64 s[2:3], s[40:41], 1
	s_xor_b32 s60, s9, -1
	s_cmp_lg_u32 s48, 0
	s_add_nc_u64 s[36:37], s[36:37], s[0:1]
	s_cselect_b32 s61, -1, 0
	s_lshl_b32 s10, s89, 5
	s_cmp_lt_i32 s48, 5
	v_add_nc_u32_e32 v4, s10, v26
	v_add_nc_u32_e32 v10, s10, v42
	v_mad_nc_u64_u32 v[6:7], s2, s10, v[26:27]
	s_cselect_b32 vcc_lo, -1, 0
	s_ashr_i32 s11, s10, 31
	s_delay_alu instid0(VALU_DEP_2) | instskip(SKIP_3) | instid1(VALU_DEP_3)
	v_dual_ashrrev_i32 v5, 31, v4 :: v_dual_add_nc_u32 v30, 32, v10
	v_cndmask_b32_e32 v14, v3, v8, vcc_lo
	s_or_b32 vcc_lo, vcc_lo, s9
	v_lshlrev_b32_e32 v8, 4, v13
	v_dual_cndmask_b32 v15, v9, v1, vcc_lo :: v_dual_ashrrev_i32 v31, 31, v30
	v_lshrrev_b32_e32 v1, 1, v3
	s_mul_i32 s0, s2, s11
	s_mul_i32 s1, s3, s10
	s_xor_b32 s62, vcc_lo, -1
	v_cmp_eq_u32_e32 vcc_lo, 1, v13
	v_add3_u32 v7, s0, s1, v7
	v_cmp_gt_u32_e64 s0, 4, v3
	v_lshl_add_u32 v27, v1, 4, 0x4000
	v_lshl_or_b32 v43, v1, 9, v8
	v_mul_u32_u24_e32 v44, 0x210, v1
	v_dual_lshlrev_b32 v45, 4, v26 :: v_dual_lshrrev_b32 v1, 2, v3
	s_xor_b32 s1, vcc_lo, -1
	s_and_b32 s64, vcc_lo, s0
	s_and_b32 s63, s1, s0
	v_cmp_eq_u32_e64 s1, 0, v42
	v_cmp_gt_u32_e32 vcc_lo, 2, v26
	v_dual_lshlrev_b32 v9, 4, v1 :: v_dual_bitop2_b32 v8, 3, v0 bitop3:0x40
	v_mul_u32_u24_e32 v46, 0x210, v1
	v_cmp_gt_u32_e64 s2, 16, v3
	s_and_b32 s65, s1, vcc_lo
	v_lshlrev_b32_e32 v49, 4, v8
	v_cmp_eq_u32_e32 vcc_lo, 0, v8
	v_sub_nc_u32_e32 v13, v46, v9
	v_cmp_ne_u32_e64 s3, 0, v8
	s_add_nc_u64 s[38:39], s[46:47], s[6:7]
	v_mad_u32_u24 v28, v42, s4, v26
	v_lshl_or_b32 v52, v1, 9, v49
	v_dual_add_nc_u32 v53, v13, v49 :: v_dual_lshrrev_b32 v1, 3, v3
	v_cmp_eq_u32_e64 s4, 1, v8
	v_cmp_lt_u32_e64 s5, 1, v8
	v_cmp_eq_u32_e64 s6, 2, v8
	s_and_b32 s66, vcc_lo, s2
	s_and_b32 s67, s3, s2
	v_cmp_eq_u32_e32 vcc_lo, 3, v8
	v_cmp_gt_u32_e64 s3, 4, v26
	v_and_b32_e32 v8, 7, v0
	v_add_nc_u32_e32 v51, 0x4000, v9
	s_and_b32 s68, s4, s2
	v_lshlrev_b32_e32 v9, 4, v1
	s_and_b32 s71, vcc_lo, s2
	s_and_b32 s72, s1, s3
	v_cmp_gt_u32_e64 s3, 64, v3
	v_cmp_eq_u32_e32 vcc_lo, 0, v8
	v_cmp_ne_u32_e64 s4, 0, v8
	s_and_b32 s69, s5, s2
	s_and_b32 s70, s6, s2
	v_mul_u32_u24_e32 v54, 0x210, v1
	v_cmp_eq_u32_e64 s5, 1, v8
	v_cmp_lt_u32_e64 s6, 1, v8
	s_and_b32 s73, vcc_lo, s3
	s_and_b32 s74, s4, s3
	v_cmp_lt_u32_e32 vcc_lo, 2, v8
	v_cmp_eq_u32_e64 s4, 3, v8
	v_bitop3_b32 v16, v0, v11, 0x3ff bitop3:0xa8
	v_dual_sub_nc_u32 v17, v54, v9 :: v_dual_bitop2_b32 v0, 15, v0 bitop3:0x40
	s_and_b32 s75, s5, s3
	s_and_b32 s76, s6, s3
	v_cmp_lt_u32_e64 s5, 3, v8
	v_cmp_eq_u32_e64 s6, 4, v8
	s_and_b32 s78, vcc_lo, s3
	s_and_b32 s79, s4, s3
	v_cmp_eq_u32_e32 vcc_lo, 5, v8
	v_cmp_lt_u32_e64 s4, 5, v8
	s_and_b32 s80, s5, s3
	s_and_b32 s81, s6, s3
	v_cmp_eq_u32_e64 s5, 6, v8
	v_cmp_eq_u32_e64 s6, 7, v8
	s_and_b32 s83, vcc_lo, s3
	s_and_b32 s84, s4, s3
	v_cmp_gt_u32_e64 s4, 0x100, v3
	v_cmp_eq_u32_e32 vcc_lo, 0, v0
	v_cmp_eq_u32_e64 s7, 2, v8
	s_and_b32 s85, s5, s3
	s_and_b32 s86, s6, s3
	v_cmp_ne_u32_e64 s5, 0, v0
	s_and_b32 s6, vcc_lo, s4
	s_and_b32 s77, s7, s3
	v_writelane_b32 v203, s6, 0
	v_cmp_lt_u32_e64 s7, 4, v8
	v_cmp_eq_u32_e32 vcc_lo, 1, v0
	s_and_b32 s5, s5, s4
	v_cmp_lt_u32_e64 s6, 1, v0
	v_writelane_b32 v203, s5, 1
	s_and_b32 s82, s7, s3
	v_cmp_gt_u32_e64 s7, 8, v26
	s_and_b32 s5, vcc_lo, s4
	v_cmp_lt_u32_e64 s8, 2, v0
	v_writelane_b32 v203, s5, 2
	s_and_b32 s5, s6, s4
	s_and_b32 s87, s1, s7
	v_cmp_eq_u32_e64 s7, 2, v0
	v_cmp_eq_u32_e32 vcc_lo, 3, v0
	v_writelane_b32 v203, s5, 3
	v_cmp_eq_u32_e64 s6, 4, v0
	v_mad_u32_u24 v11, 0x1f0, v26, v45
	s_and_b32 s5, s7, s4
	s_and_b32 s13, vcc_lo, s4
	v_writelane_b32 v203, s5, 4
	s_and_b32 s5, s8, s4
	v_cmp_lt_u32_e64 s7, 4, v0
	v_cmp_eq_u32_e64 s8, 5, v0
	v_cmp_lt_u32_e32 vcc_lo, 5, v0
	v_writelane_b32 v203, s5, 5
	v_cmp_lt_u32_e64 s5, 3, v0
	v_mad_i32_i24 v50, 0xfffffe10, v26, v11
	v_lshlrev_b32_e32 v56, 4, v8
	v_add_nc_u32_e32 v58, 0x4000, v9
	v_writelane_b32 v203, s13, 6
	s_and_b32 s5, s5, s4
	s_and_b32 s13, vcc_lo, s4
	v_cmp_eq_u32_e32 vcc_lo, 8, v0
	v_mad_u32_u24 v13, 0x1f0, v26, v50
	v_writelane_b32 v203, s5, 7
	s_and_b32 s5, s6, s4
	v_cmp_lt_u32_e64 s6, 6, v0
	s_and_b32 s104, vcc_lo, s4
	v_cmp_lt_u32_e32 vcc_lo, 10, v0
	v_writelane_b32 v203, s5, 8
	s_and_b32 s5, s7, s4
	v_cmp_eq_u32_e64 s7, 7, v0
	s_and_b32 s101, s6, s4
	v_cmp_eq_u32_e64 s6, 9, v0
	v_writelane_b32 v203, s5, 9
	s_and_b32 s5, s8, s4
	v_cmp_lt_u32_e64 s8, 7, v0
	s_and_b32 s102, s7, s4
	v_cmp_lt_u32_e64 s7, 9, v0
	v_writelane_b32 v203, s5, 10
	v_cmp_eq_u32_e64 s5, 6, v0
	s_and_b32 s103, s8, s4
	v_cmp_eq_u32_e64 s8, 10, v0
	s_and_b32 s21, vcc_lo, s4
	v_cmp_eq_u32_e32 vcc_lo, 13, v0
	s_and_b32 s100, s5, s4
	v_cmp_lt_u32_e64 s5, 8, v0
	s_and_b32 s20, s8, s4
	v_cmp_lt_u32_e64 s8, 12, v0
	;; [unrolled: 2-line block ×3, first 2 shown]
	s_and_b32 vcc_hi, s5, s4
	v_cmp_eq_u32_e64 s5, 11, v0
	s_and_b32 s25, s8, s4
	s_movk_i32 s8, 0x3c00
	s_and_b32 s19, s7, s4
	v_cmp_eq_u32_e64 s7, 12, v0
	v_add_nc_u32_e32 v55, 64, v13
	v_add_nc_u64_e32 v[8:9], s[10:11], v[28:29]
	v_mad_u32_u24 v29, 0x210, v26, s8
	v_cmp_gt_u32_e64 s8, 16, v26
	s_and_b32 s26, vcc_lo, s4
	v_cmp_le_i32_e32 vcc_lo, s12, v26
	s_and_b32 s22, s5, s4
	s_and_b32 s23, s6, s4
	v_cmp_lt_u32_e64 s5, 13, v0
	v_cmp_eq_u32_e64 s6, 14, v0
	s_and_b32 s24, s7, s4
	v_cmp_eq_u32_e64 s7, 15, v0
	s_and_b32 s31, s1, s8
	s_and_b32 s8, vcc_lo, s9
	s_and_b32 s27, s5, s4
	s_and_b32 s28, s6, s4
	s_xor_b32 s5, s8, -1
	v_cmp_gt_i32_e64 s6, s12, v26
	v_dual_lshlrev_b32 v70, 4, v0 :: v_dual_add_nc_u32 v10, 48, v10
	v_writelane_b32 v203, s13, 11
	s_and_b32 s30, s7, s4
	s_and_b32 s9, s1, s5
	s_cmp_gt_i32 s48, 0
	v_cmp_gt_i32_e64 s5, s58, v4
	s_cselect_b32 s88, -1, 0
	s_and_b32 s6, s1, s6
	v_cmp_gt_i32_e64 s7, s58, v30
	v_writelane_b32 v203, s6, 12
	v_cmp_gt_i32_e64 s6, s58, v10
	v_cmp_ne_u32_e64 s11, v26, v12
	v_cmp_gt_u32_e64 s29, 0xf0, v3
	s_and_b32 s90, s7, s5
	v_cmp_le_i32_e64 s7, s12, v12
	s_and_b32 s91, s6, s5
	v_cmp_le_i32_e64 s6, s12, v42
	v_mad_i32_i24 v83, 0xfffffe10, v26, v13
	v_lshl_or_b32 v59, v1, 9, v56
	v_dual_add_nc_u32 v60, v17, v56 :: v_dual_lshlrev_b32 v1, 5, v3
	s_or_b32 s10, s6, vcc_lo
	v_cmp_le_u32_e64 s6, v26, v42
	v_mad_u32_u24 v0, 0x1f0, v26, v83
	v_mul_u64_e32 v[32:33], s[50:51], v[4:5]
	v_and_b32_e32 v69, 0xfffffe00, v1
	v_mul_u64_e32 v[36:37], s[50:51], v[8:9]
	s_or_b32 s92, s10, s6
	s_or_b32 s10, s7, vcc_lo
	v_cmp_le_u32_e64 s7, v26, v12
	v_mad_i32_i24 v94, 0xfffffe10, v26, v0
	v_add_nc_u32_e32 v92, 0x860, v0
	v_add_nc_u32_e32 v93, 0x870, v0
	;; [unrolled: 1-line block ×3, first 2 shown]
	s_or_b32 s93, s10, s7
	v_cmp_ne_u32_e64 s10, v26, v42
	v_mad_u32_u24 v1, 0x1f0, v26, v94
	v_add_nc_u32_e32 v96, 0x10f0, v0
	v_add_nc_u32_e32 v97, 0x10e0, v0
	v_add_nc_u32_e32 v98, 0x10d0, v0
	v_writelane_b32 v203, s10, 13
	s_or_b32 s10, vcc_lo, s10
	v_add_nc_u32_e32 v99, 0x2960, v0
	v_add_nc_u32_e32 v100, 0x2970, v0
	;; [unrolled: 1-line block ×3, first 2 shown]
	v_writelane_b32 v203, s10, 14
	s_or_b32 s10, vcc_lo, s11
	v_add_nc_u32_e32 v102, 0x31f0, v0
	v_add_nc_u32_e32 v103, 0x31e0, v0
	;; [unrolled: 1-line block ×3, first 2 shown]
	v_writelane_b32 v203, s11, 15
	v_mad_i32_i24 v0, 0xfffffe10, v26, v1
	v_add_nc_u32_e32 v105, 0x18e0, v1
	v_add_nc_u32_e32 v106, 0x18f0, v1
	;; [unrolled: 1-line block ×3, first 2 shown]
	v_writelane_b32 v203, s10, 16
	v_add_nc_u32_e32 v108, 0x39f0, v1
	v_add_nc_u32_e32 v109, 0x1cc0, v0
	;; [unrolled: 1-line block ×4, first 2 shown]
	v_writelane_b32 v203, s29, 17
	v_cmp_gt_u32_e64 s29, 0xe0, v3
	v_add_nc_u32_e32 v112, 0x3fc0, v0
	v_mul_u64_e32 v[0:1], s[40:41], v[4:5]
	v_mad_nc_u64_u32 v[34:35], s40, v42, v[6:7]
	v_mad_nc_u64_u32 v[38:39], s40, v12, v[6:7]
	v_writelane_b32 v203, s29, 18
	v_cmp_gt_u32_e64 s29, 0xd0, v3
	v_dual_add_nc_u32 v47, 32, v11 :: v_dual_add_nc_u32 v48, 48, v11
	v_add_nc_u32_e32 v61, 0x80, v11
	v_add_nc_u32_e32 v62, 0x90, v11
	s_delay_alu instid0(VALU_DEP_4)
	v_writelane_b32 v203, s29, 19
	v_cmp_gt_u32_e64 s29, 0xc0, v3
	v_add_nc_u32_e32 v63, 0xa0, v11
	v_add_nc_u32_e32 v64, 0xb0, v11
	v_add_nc_u32_e32 v65, 0xc0, v11
	v_add_nc_u32_e32 v66, 0xd0, v11
	v_writelane_b32 v203, s29, 20
	v_cmp_gt_u32_e64 s29, 0xb0, v3
	v_add_nc_u32_e32 v67, 0xe0, v11
	v_add_nc_u32_e32 v68, 0xf0, v11
	v_add_nc_u32_e32 v71, 0x2120, v11
	v_add_nc_u32_e32 v72, 0x2130, v11
	v_writelane_b32 v203, s29, 21
	v_cmp_gt_u32_e64 s29, 0xa0, v3
	v_add_nc_u32_e32 v73, 0x2180, v11
	v_add_nc_u32_e32 v74, 0x2190, v11
	v_add_nc_u32_e32 v75, 0x21a0, v11
	v_add_nc_u32_e32 v76, 0x21b0, v11
	v_writelane_b32 v203, s29, 22
	v_cmp_gt_u32_e64 s29, 0x90, v3
	v_add_nc_u32_e32 v77, 0x21c0, v11
	v_add_nc_u32_e32 v78, 0x21d0, v11
	v_add_nc_u32_e32 v79, 0x21e0, v11
	v_add_nc_u32_e32 v80, 0x21f0, v11
	v_writelane_b32 v203, s29, 23
	v_cmp_gt_u32_e64 s29, 0x80, v3
	v_dual_lshlrev_b32 v11, 9, v26 :: v_dual_bitop2_b32 v17, v12, v26 bitop3:0x54
	v_dual_lshlrev_b32 v5, 4, v42 :: v_dual_bitop2_b32 v164, -16, v3 bitop3:0x40
	s_delay_alu instid0(VALU_DEP_3)
	v_writelane_b32 v203, s29, 24
	v_cmp_gt_u32_e64 s29, 0x70, v3
	v_cmp_gt_u32_e64 s33, 32, v16
	v_mad_u32 v35, s41, v42, v35
	v_mad_u32 v39, s41, v12, v39
	v_add_nc_u32_e32 v57, 0x70, v13
	v_writelane_b32 v203, s29, 25
	v_cmp_gt_u32_e64 s29, 0x60, v3
	v_add_nc_u32_e32 v81, 0x60, v13
	v_add_nc_u32_e32 v82, 0x50, v13
	;; [unrolled: 1-line block ×4, first 2 shown]
	v_writelane_b32 v203, s29, 26
	v_cmp_gt_u32_e64 s29, 0x50, v3
	v_add_nc_u32_e32 v86, 0x2140, v13
	v_add_nc_u32_e32 v87, 0x2170, v13
	;; [unrolled: 1-line block ×4, first 2 shown]
	v_writelane_b32 v203, s29, 27
	v_add_nc_u32_e32 v90, 0x31a0, v13
	v_add_nc_u32_e32 v91, 0x31b0, v13
	v_mad_i32_i24 v13, 0xfffffe10, v26, v11
	v_add_nc_u32_e32 v129, 0x6000, v5
	v_writelane_b32 v203, s33, 28
	v_cmp_gt_u32_e64 s33, 32, v17
	v_or_b32_e32 v130, 0x100, v11
	v_add_nc_u32_e32 v113, 0x2000, v13
	v_add_nc_u32_e32 v114, 0x2200, v13
	;; [unrolled: 1-line block ×16, first 2 shown]
	v_or_b32_e32 v131, 0x110, v11
	v_or_b32_e32 v132, 0x120, v11
	;; [unrolled: 1-line block ×15, first 2 shown]
	v_add_nc_u32_e32 v146, 0x400, v50
	v_add_nc_u32_e32 v147, 0x600, v50
	;; [unrolled: 1-line block ×23, first 2 shown]
	v_dual_add_nc_u32 v191, v11, v5 :: v_dual_bitop2_b32 v170, v69, v70 bitop3:0x54
	v_add_nc_u32_e32 v171, 0x2500, v50
	v_add_nc_u32_e32 v172, 0x2700, v50
	;; [unrolled: 1-line block ×19, first 2 shown]
	v_lshl_add_u32 v190, v42, 9, v13
	v_dual_sub_nc_u32 v192, 0, v11 :: v_dual_lshlrev_b32 v196, 4, v14
	v_add_nc_u32_e32 v193, 0x3f80, v83
	v_add_nc_u32_e32 v194, 0x3d80, v83
	;; [unrolled: 1-line block ×3, first 2 shown]
	v_dual_lshlrev_b32 v197, 4, v15 :: v_dual_add_nc_u32 v201, v129, v45
	v_lshl_add_u32 v198, v28, 4, 0x6000
	v_lshl_add_u32 v199, v3, 4, 0x4000
	v_add_nc_u32_e32 v200, 0x4000, v45
	v_mul_u32_u24_e32 v202, 0x210, v26
	v_cmp_gt_u32_e64 s10, 2, v3
	v_cmp_gt_u32_e64 s11, 12, v3
	;; [unrolled: 1-line block ×8, first 2 shown]
	v_cmp_eq_u32_e64 s29, 0, v16
	v_writelane_b32 v203, s33, 29
	v_cmp_eq_u32_e64 s33, 0, v28
	v_cmp_gt_u32_e64 s34, 32, v28
	s_add_co_i32 s89, s89, 1
                                        ; implicit-def: $vgpr6_vgpr7
                                        ; implicit-def: $vgpr10_vgpr11
	s_branch .LBB84_3
.LBB84_2:                               ;   in Loop: Header=BB84_3 Depth=1
	s_wait_xcnt 0x0
	s_or_b32 exec_lo, exec_lo, s40
	s_add_co_i32 s56, s56, 0x10000
	global_wb scope:SCOPE_DEV
	s_wait_storecnt 0x0
	global_inv scope:SCOPE_DEV
	s_cmp_lt_u32 s56, s35
	s_cbranch_scc0 .LBB84_574
.LBB84_3:                               ; =>This Loop Header: Depth=1
                                        ;     Child Loop BB84_453 Depth 2
                                        ;       Child Loop BB84_455 Depth 3
                                        ;     Child Loop BB84_486 Depth 2
	global_load_b128 v[14:17], v2, s[44:45]
	s_mul_u64 s[40:41], s[42:43], s[56:57]
	s_and_not1_b32 vcc_lo, exec_lo, s61
	s_lshl_b64 s[40:41], s[40:41], 4
	s_delay_alu instid0(SALU_CYCLE_1) | instskip(NEXT) | instid1(SALU_CYCLE_1)
	s_add_nc_u64 s[40:41], s[36:37], s[40:41]
	v_lshl_add_u64 v[40:41], v[0:1], 4, s[40:41]
	s_cbranch_vccnz .LBB84_9
; %bb.4:                                ;   in Loop: Header=BB84_3 Depth=1
	v_mov_b64_e32 v[12:13], 0
	v_mov_b64_e32 v[6:7], 0
	;; [unrolled: 1-line block ×3, first 2 shown]
	v_lshl_add_u64 v[4:5], v[30:31], 4, v[40:41]
	s_wait_loadcnt 0x0
	s_barrier_signal -1
	s_barrier_wait -1
	s_wait_xcnt 0x0
	s_and_saveexec_b32 s46, s90
	s_cbranch_execz .LBB84_6
; %bb.5:                                ;   in Loop: Header=BB84_3 Depth=1
	global_load_b128 v[6:9], v[4:5], off
.LBB84_6:                               ;   in Loop: Header=BB84_3 Depth=1
	s_wait_xcnt 0x0
	s_or_b32 exec_lo, exec_lo, s46
	v_mov_b64_e32 v[10:11], 0
	s_wait_loadcnt 0x0
	s_barrier_signal -1
	s_barrier_wait -1
	s_and_saveexec_b32 s46, s91
	s_cbranch_execz .LBB84_8
; %bb.7:                                ;   in Loop: Header=BB84_3 Depth=1
	global_load_b128 v[10:13], v[4:5], off offset:256
.LBB84_8:                               ;   in Loop: Header=BB84_3 Depth=1
	s_wait_xcnt 0x0
	s_or_b32 exec_lo, exec_lo, s46
.LBB84_9:                               ;   in Loop: Header=BB84_3 Depth=1
	s_delay_alu instid0(SALU_CYCLE_1)
	s_and_not1_b32 vcc_lo, exec_lo, s60
	s_mov_b32 s46, -1
	s_cbranch_vccnz .LBB84_16
; %bb.10:                               ;   in Loop: Header=BB84_3 Depth=1
	s_wait_xcnt 0x0
	s_and_saveexec_b32 s46, s6
	s_delay_alu instid0(SALU_CYCLE_1)
	s_xor_b32 s46, exec_lo, s46
	s_cbranch_execnz .LBB84_500
; %bb.11:                               ;   in Loop: Header=BB84_3 Depth=1
	s_and_not1_saveexec_b32 s46, s46
	s_cbranch_execnz .LBB84_511
.LBB84_12:                              ;   in Loop: Header=BB84_3 Depth=1
	s_or_b32 exec_lo, exec_lo, s46
	s_and_saveexec_b32 s46, s7
	s_delay_alu instid0(SALU_CYCLE_1)
	s_xor_b32 s46, exec_lo, s46
	s_cbranch_execnz .LBB84_512
.LBB84_13:                              ;   in Loop: Header=BB84_3 Depth=1
	s_and_not1_saveexec_b32 s46, s46
	s_cbranch_execz .LBB84_15
.LBB84_14:                              ;   in Loop: Header=BB84_3 Depth=1
	v_lshl_add_u64 v[4:5], v[38:39], 4, s[40:41]
	global_load_b128 v[18:21], v[4:5], off
	s_wait_loadcnt 0x0
	v_xor_b32_e32 v19, 0x80000000, v19
	ds_store_b128 v197, v[18:21]
.LBB84_15:                              ;   in Loop: Header=BB84_3 Depth=1
	s_or_b32 exec_lo, exec_lo, s46
	s_mov_b32 s46, 0
.LBB84_16:                              ;   in Loop: Header=BB84_3 Depth=1
	s_delay_alu instid0(SALU_CYCLE_1)
	s_and_b32 vcc_lo, exec_lo, s46
	s_cbranch_vccz .LBB84_23
; %bb.17:                               ;   in Loop: Header=BB84_3 Depth=1
	s_wait_xcnt 0x0
	s_and_saveexec_b32 s46, s92
	s_delay_alu instid0(SALU_CYCLE_1)
	s_xor_b32 s46, exec_lo, s46
	s_cbranch_execnz .LBB84_523
; %bb.18:                               ;   in Loop: Header=BB84_3 Depth=1
	s_and_not1_saveexec_b32 s46, s46
	s_cbranch_execnz .LBB84_534
.LBB84_19:                              ;   in Loop: Header=BB84_3 Depth=1
	s_or_b32 exec_lo, exec_lo, s46
	s_and_saveexec_b32 s46, s93
	s_delay_alu instid0(SALU_CYCLE_1)
	s_xor_b32 s46, exec_lo, s46
	s_cbranch_execnz .LBB84_535
.LBB84_20:                              ;   in Loop: Header=BB84_3 Depth=1
	s_and_not1_saveexec_b32 s46, s46
	s_cbranch_execz .LBB84_22
.LBB84_21:                              ;   in Loop: Header=BB84_3 Depth=1
	v_lshl_add_u64 v[4:5], v[38:39], 4, s[40:41]
	global_load_b128 v[18:21], v[4:5], off
	s_wait_loadcnt 0x0
	v_xor_b32_e32 v19, 0x80000000, v19
	ds_store_b128 v197, v[18:21]
.LBB84_22:                              ;   in Loop: Header=BB84_3 Depth=1
	s_or_b32 exec_lo, exec_lo, s46
.LBB84_23:                              ;   in Loop: Header=BB84_3 Depth=1
	s_delay_alu instid0(SALU_CYCLE_1)
	s_and_not1_b32 vcc_lo, exec_lo, s62
	s_wait_loadcnt_dscnt 0x0
	s_barrier_signal -1
	s_barrier_wait -1
	s_cbranch_vccnz .LBB84_447
; %bb.24:                               ;   in Loop: Header=BB84_3 Depth=1
	s_and_saveexec_b32 s40, s29
	s_cbranch_execz .LBB84_26
; %bb.25:                               ;   in Loop: Header=BB84_3 Depth=1
	ds_load_b128 v[18:21], v2 offset:528
	ds_load_b128 v[22:25], v2
	s_wait_dscnt 0x0
	v_mul_f64_e32 v[4:5], v[18:19], v[24:25]
	v_mul_f64_e32 v[24:25], v[20:21], v[24:25]
	s_delay_alu instid0(VALU_DEP_2) | instskip(NEXT) | instid1(VALU_DEP_2)
	v_fmac_f64_e32 v[4:5], v[20:21], v[22:23]
	v_fma_f64 v[24:25], v[18:19], v[22:23], -v[24:25]
	ds_load_b128 v[18:21], v2 offset:16
	s_wait_dscnt 0x0
	v_mul_f64_e32 v[204:205], v[4:5], v[20:21]
	v_mul_f64_e32 v[22:23], v[24:25], v[20:21]
	s_delay_alu instid0(VALU_DEP_2) | instskip(NEXT) | instid1(VALU_DEP_2)
	v_fma_f64 v[20:21], v[18:19], v[24:25], -v[204:205]
	v_fmac_f64_e32 v[22:23], v[18:19], v[4:5]
	ds_store_b128 v2, v[20:23] offset:16
	ds_store_b128 v2, v[20:23] offset:512
.LBB84_26:                              ;   in Loop: Header=BB84_3 Depth=1
	s_or_b32 exec_lo, exec_lo, s40
	v_mov_b64_e32 v[20:21], 0
	v_mov_b64_e32 v[18:19], 0
	s_wait_dscnt 0x0
	s_barrier_signal -1
	s_barrier_wait -1
	s_and_saveexec_b32 s40, s0
	s_cbranch_execz .LBB84_30
; %bb.27:                               ;   in Loop: Header=BB84_3 Depth=1
	ds_load_b128 v[18:21], v44
	ds_load_b128 v[22:25], v43 offset:32
	s_wait_dscnt 0x0
	v_mul_f64_e32 v[4:5], v[20:21], v[24:25]
	v_mul_f64_e32 v[24:25], v[18:19], v[24:25]
	s_delay_alu instid0(VALU_DEP_2) | instskip(NEXT) | instid1(VALU_DEP_2)
	v_fma_f64 v[4:5], v[18:19], v[22:23], -v[4:5]
	v_fmac_f64_e32 v[24:25], v[20:21], v[22:23]
	s_delay_alu instid0(VALU_DEP_2) | instskip(NEXT) | instid1(VALU_DEP_2)
	v_add_f64_e32 v[18:19], 0, v[4:5]
	v_add_f64_e32 v[20:21], 0, v[24:25]
	s_and_saveexec_b32 s41, s10
	s_cbranch_execz .LBB84_29
; %bb.28:                               ;   in Loop: Header=BB84_3 Depth=1
	ds_load_b128 v[22:25], v2 offset:16
	ds_load_b128 v[204:207], v45 offset:544
	s_wait_dscnt 0x0
	v_mul_f64_e32 v[4:5], v[24:25], v[206:207]
	s_delay_alu instid0(VALU_DEP_1) | instskip(SKIP_1) | instid1(VALU_DEP_2)
	v_fma_f64 v[4:5], v[22:23], v[204:205], -v[4:5]
	v_mul_f64_e32 v[22:23], v[22:23], v[206:207]
	v_add_f64_e32 v[18:19], v[18:19], v[4:5]
	s_delay_alu instid0(VALU_DEP_2) | instskip(NEXT) | instid1(VALU_DEP_1)
	v_fmac_f64_e32 v[22:23], v[24:25], v[204:205]
	v_add_f64_e32 v[20:21], v[20:21], v[22:23]
.LBB84_29:                              ;   in Loop: Header=BB84_3 Depth=1
	s_or_b32 exec_lo, exec_lo, s41
	s_delay_alu instid0(VALU_DEP_2) | instskip(NEXT) | instid1(VALU_DEP_2)
	v_xor_b32_e32 v19, 0x80000000, v19
	v_xor_b32_e32 v21, 0x80000000, v21
.LBB84_30:                              ;   in Loop: Header=BB84_3 Depth=1
	s_or_b32 exec_lo, exec_lo, s40
	s_and_saveexec_b32 s40, s63
	s_cbranch_execz .LBB84_32
; %bb.31:                               ;   in Loop: Header=BB84_3 Depth=1
	ds_load_b128 v[22:25], v2 offset:1056
	s_wait_dscnt 0x0
	v_mul_f64_e32 v[4:5], v[20:21], v[24:25]
	v_mul_f64_e32 v[206:207], v[18:19], v[24:25]
	s_delay_alu instid0(VALU_DEP_2) | instskip(NEXT) | instid1(VALU_DEP_2)
	v_fma_f64 v[204:205], v[18:19], v[22:23], -v[4:5]
	v_fmac_f64_e32 v[206:207], v[20:21], v[22:23]
	s_delay_alu instid0(VALU_DEP_2) | instskip(NEXT) | instid1(VALU_DEP_2)
	v_mov_b64_e32 v[18:19], v[204:205]
	v_mov_b64_e32 v[20:21], v[206:207]
	ds_store_b128 v27, v[204:207]
.LBB84_32:                              ;   in Loop: Header=BB84_3 Depth=1
	s_or_b32 exec_lo, exec_lo, s40
	s_wait_dscnt 0x0
	s_barrier_signal -1
	s_barrier_wait -1
	s_and_saveexec_b32 s40, s64
	s_cbranch_execz .LBB84_34
; %bb.33:                               ;   in Loop: Header=BB84_3 Depth=1
	ds_load_b128 v[22:25], v27
	ds_load_b128 v[204:207], v2 offset:1072
	s_wait_dscnt 0x0
	v_mul_f64_e32 v[4:5], v[24:25], v[206:207]
	s_delay_alu instid0(VALU_DEP_1) | instskip(SKIP_1) | instid1(VALU_DEP_2)
	v_fma_f64 v[4:5], v[22:23], v[204:205], -v[4:5]
	v_mul_f64_e32 v[22:23], v[22:23], v[206:207]
	v_add_f64_e32 v[18:19], v[18:19], v[4:5]
	s_delay_alu instid0(VALU_DEP_2) | instskip(NEXT) | instid1(VALU_DEP_1)
	v_fmac_f64_e32 v[22:23], v[24:25], v[204:205]
	v_add_f64_e32 v[20:21], v[20:21], v[22:23]
.LBB84_34:                              ;   in Loop: Header=BB84_3 Depth=1
	s_or_b32 exec_lo, exec_lo, s40
	s_barrier_signal -1
	s_barrier_wait -1
	s_and_saveexec_b32 s40, s64
	s_cbranch_execz .LBB84_36
; %bb.35:                               ;   in Loop: Header=BB84_3 Depth=1
	ds_load_b128 v[22:25], v2 offset:1584
	s_wait_dscnt 0x0
	v_mul_f64_e32 v[4:5], v[20:21], v[24:25]
	v_mul_f64_e32 v[206:207], v[18:19], v[24:25]
	s_delay_alu instid0(VALU_DEP_2) | instskip(NEXT) | instid1(VALU_DEP_2)
	v_fma_f64 v[204:205], v[18:19], v[22:23], -v[4:5]
	v_fmac_f64_e32 v[206:207], v[20:21], v[22:23]
	s_delay_alu instid0(VALU_DEP_2) | instskip(NEXT) | instid1(VALU_DEP_2)
	v_mov_b64_e32 v[18:19], v[204:205]
	v_mov_b64_e32 v[20:21], v[206:207]
	ds_store_b128 v27, v[204:207]
.LBB84_36:                              ;   in Loop: Header=BB84_3 Depth=1
	s_or_b32 exec_lo, exec_lo, s40
	s_wait_dscnt 0x0
	s_barrier_signal -1
	s_barrier_wait -1
	s_barrier_signal -1
	s_barrier_wait -1
	s_and_saveexec_b32 s40, s0
; %bb.37:                               ;   in Loop: Header=BB84_3 Depth=1
	s_delay_alu instid0(VALU_DEP_3) | instskip(NEXT) | instid1(VALU_DEP_2)
	v_xor_b32_e32 v19, 0x80000000, v19
	v_xor_b32_e32 v21, 0x80000000, v21
	ds_store_b128 v43, v[18:21] offset:32
; %bb.38:                               ;   in Loop: Header=BB84_3 Depth=1
	s_or_b32 exec_lo, exec_lo, s40
	s_wait_dscnt 0x0
	s_barrier_signal -1
	s_barrier_wait -1
	s_barrier_signal -1
	s_barrier_wait -1
	s_and_saveexec_b32 s40, s65
	s_cbranch_execz .LBB84_40
; %bb.39:                               ;   in Loop: Header=BB84_3 Depth=1
	ds_load_b128 v[18:21], v47
	s_wait_dscnt 0x0
	ds_store_b128 v146, v[18:21]
	ds_load_b128 v[18:21], v48
	s_wait_dscnt 0x0
	ds_store_b128 v147, v[18:21]
.LBB84_40:                              ;   in Loop: Header=BB84_3 Depth=1
	s_or_b32 exec_lo, exec_lo, s40
	s_wait_dscnt 0x0
	s_barrier_signal -1
	s_barrier_wait -1
	s_and_saveexec_b32 s40, s29
	s_cbranch_execz .LBB84_42
; %bb.41:                               ;   in Loop: Header=BB84_3 Depth=1
	ds_load_b128 v[18:21], v2 offset:1584
	ds_load_b128 v[22:25], v2 offset:1056
	s_wait_dscnt 0x0
	v_mul_f64_e32 v[4:5], v[18:19], v[24:25]
	v_mul_f64_e32 v[24:25], v[20:21], v[24:25]
	s_delay_alu instid0(VALU_DEP_2) | instskip(NEXT) | instid1(VALU_DEP_2)
	v_fmac_f64_e32 v[4:5], v[20:21], v[22:23]
	v_fma_f64 v[24:25], v[18:19], v[22:23], -v[24:25]
	ds_load_b128 v[18:21], v2 offset:1072
	s_wait_dscnt 0x0
	v_mul_f64_e32 v[204:205], v[4:5], v[20:21]
	v_mul_f64_e32 v[22:23], v[24:25], v[20:21]
	s_delay_alu instid0(VALU_DEP_2) | instskip(NEXT) | instid1(VALU_DEP_2)
	v_fma_f64 v[20:21], v[18:19], v[24:25], -v[204:205]
	v_fmac_f64_e32 v[22:23], v[18:19], v[4:5]
	ds_store_b128 v2, v[20:23] offset:1072
	ds_store_b128 v2, v[20:23] offset:1568
.LBB84_42:                              ;   in Loop: Header=BB84_3 Depth=1
	s_or_b32 exec_lo, exec_lo, s40
	v_mov_b64_e32 v[20:21], 0
	v_mov_b64_e32 v[18:19], 0
	s_wait_dscnt 0x0
	s_barrier_signal -1
	s_barrier_wait -1
	s_and_saveexec_b32 s40, s2
	s_cbranch_execz .LBB84_48
; %bb.43:                               ;   in Loop: Header=BB84_3 Depth=1
	ds_load_b128 v[18:21], v46
	ds_load_b128 v[22:25], v52 offset:64
	s_wait_dscnt 0x0
	v_mul_f64_e32 v[4:5], v[20:21], v[24:25]
	v_mul_f64_e32 v[24:25], v[18:19], v[24:25]
	s_delay_alu instid0(VALU_DEP_2) | instskip(NEXT) | instid1(VALU_DEP_2)
	v_fma_f64 v[4:5], v[18:19], v[22:23], -v[4:5]
	v_fmac_f64_e32 v[24:25], v[20:21], v[22:23]
	s_delay_alu instid0(VALU_DEP_2) | instskip(NEXT) | instid1(VALU_DEP_2)
	v_add_f64_e32 v[18:19], 0, v[4:5]
	v_add_f64_e32 v[20:21], 0, v[24:25]
	s_and_saveexec_b32 s41, s11
	s_cbranch_execnz .LBB84_550
; %bb.44:                               ;   in Loop: Header=BB84_3 Depth=1
	s_or_b32 exec_lo, exec_lo, s41
	s_and_saveexec_b32 s41, s12
	s_cbranch_execnz .LBB84_551
.LBB84_45:                              ;   in Loop: Header=BB84_3 Depth=1
	s_or_b32 exec_lo, exec_lo, s41
	s_and_saveexec_b32 s41, s0
	s_cbranch_execz .LBB84_47
.LBB84_46:                              ;   in Loop: Header=BB84_3 Depth=1
	ds_load_b128 v[22:25], v2 offset:48
	ds_load_b128 v[204:207], v50 offset:1600
	s_wait_dscnt 0x0
	v_mul_f64_e32 v[4:5], v[24:25], v[206:207]
	s_delay_alu instid0(VALU_DEP_1) | instskip(SKIP_1) | instid1(VALU_DEP_2)
	v_fma_f64 v[4:5], v[22:23], v[204:205], -v[4:5]
	v_mul_f64_e32 v[22:23], v[22:23], v[206:207]
	v_add_f64_e32 v[18:19], v[18:19], v[4:5]
	s_delay_alu instid0(VALU_DEP_2) | instskip(NEXT) | instid1(VALU_DEP_1)
	v_fmac_f64_e32 v[22:23], v[24:25], v[204:205]
	v_add_f64_e32 v[20:21], v[20:21], v[22:23]
.LBB84_47:                              ;   in Loop: Header=BB84_3 Depth=1
	s_or_b32 exec_lo, exec_lo, s41
	s_delay_alu instid0(VALU_DEP_2) | instskip(NEXT) | instid1(VALU_DEP_2)
	v_xor_b32_e32 v19, 0x80000000, v19
	v_xor_b32_e32 v21, 0x80000000, v21
.LBB84_48:                              ;   in Loop: Header=BB84_3 Depth=1
	s_or_b32 exec_lo, exec_lo, s40
	s_and_saveexec_b32 s40, s66
	s_cbranch_execz .LBB84_50
; %bb.49:                               ;   in Loop: Header=BB84_3 Depth=1
	ds_load_b128 v[22:25], v2 offset:2112
	s_wait_dscnt 0x0
	v_mul_f64_e32 v[4:5], v[20:21], v[24:25]
	v_mul_f64_e32 v[206:207], v[18:19], v[24:25]
	s_delay_alu instid0(VALU_DEP_2) | instskip(NEXT) | instid1(VALU_DEP_2)
	v_fma_f64 v[204:205], v[18:19], v[22:23], -v[4:5]
	v_fmac_f64_e32 v[206:207], v[20:21], v[22:23]
	s_delay_alu instid0(VALU_DEP_2) | instskip(NEXT) | instid1(VALU_DEP_2)
	v_mov_b64_e32 v[18:19], v[204:205]
	v_mov_b64_e32 v[20:21], v[206:207]
	ds_store_b128 v51, v[204:207]
.LBB84_50:                              ;   in Loop: Header=BB84_3 Depth=1
	s_or_b32 exec_lo, exec_lo, s40
	s_wait_dscnt 0x0
	s_barrier_signal -1
	s_barrier_wait -1
	s_and_saveexec_b32 s40, s67
	s_cbranch_execz .LBB84_52
; %bb.51:                               ;   in Loop: Header=BB84_3 Depth=1
	ds_load_b128 v[22:25], v51
	ds_load_b128 v[204:207], v49 offset:2112
	s_wait_dscnt 0x0
	v_mul_f64_e32 v[4:5], v[24:25], v[206:207]
	s_delay_alu instid0(VALU_DEP_1) | instskip(SKIP_1) | instid1(VALU_DEP_2)
	v_fma_f64 v[4:5], v[22:23], v[204:205], -v[4:5]
	v_mul_f64_e32 v[22:23], v[22:23], v[206:207]
	v_add_f64_e32 v[18:19], v[18:19], v[4:5]
	s_delay_alu instid0(VALU_DEP_2) | instskip(NEXT) | instid1(VALU_DEP_1)
	v_fmac_f64_e32 v[22:23], v[24:25], v[204:205]
	v_add_f64_e32 v[20:21], v[20:21], v[22:23]
.LBB84_52:                              ;   in Loop: Header=BB84_3 Depth=1
	s_or_b32 exec_lo, exec_lo, s40
	s_barrier_signal -1
	s_barrier_wait -1
	s_and_saveexec_b32 s40, s68
	s_cbranch_execz .LBB84_54
; %bb.53:                               ;   in Loop: Header=BB84_3 Depth=1
	ds_load_b128 v[22:25], v2 offset:2640
	s_wait_dscnt 0x0
	v_mul_f64_e32 v[4:5], v[20:21], v[24:25]
	v_mul_f64_e32 v[206:207], v[18:19], v[24:25]
	s_delay_alu instid0(VALU_DEP_2) | instskip(NEXT) | instid1(VALU_DEP_2)
	v_fma_f64 v[204:205], v[18:19], v[22:23], -v[4:5]
	v_fmac_f64_e32 v[206:207], v[20:21], v[22:23]
	s_delay_alu instid0(VALU_DEP_2) | instskip(NEXT) | instid1(VALU_DEP_2)
	v_mov_b64_e32 v[18:19], v[204:205]
	v_mov_b64_e32 v[20:21], v[206:207]
	ds_store_b128 v51, v[204:207]
.LBB84_54:                              ;   in Loop: Header=BB84_3 Depth=1
	s_or_b32 exec_lo, exec_lo, s40
	s_wait_dscnt 0x0
	s_barrier_signal -1
	s_barrier_wait -1
	s_and_saveexec_b32 s40, s69
	s_cbranch_execz .LBB84_56
; %bb.55:                               ;   in Loop: Header=BB84_3 Depth=1
	ds_load_b128 v[22:25], v51
	ds_load_b128 v[204:207], v49 offset:2624
	s_wait_dscnt 0x0
	v_mul_f64_e32 v[4:5], v[24:25], v[206:207]
	s_delay_alu instid0(VALU_DEP_1) | instskip(SKIP_1) | instid1(VALU_DEP_2)
	v_fma_f64 v[4:5], v[22:23], v[204:205], -v[4:5]
	v_mul_f64_e32 v[22:23], v[22:23], v[206:207]
	v_add_f64_e32 v[18:19], v[18:19], v[4:5]
	s_delay_alu instid0(VALU_DEP_2) | instskip(NEXT) | instid1(VALU_DEP_1)
	v_fmac_f64_e32 v[22:23], v[24:25], v[204:205]
	v_add_f64_e32 v[20:21], v[20:21], v[22:23]
.LBB84_56:                              ;   in Loop: Header=BB84_3 Depth=1
	s_or_b32 exec_lo, exec_lo, s40
	s_barrier_signal -1
	s_barrier_wait -1
	s_and_saveexec_b32 s40, s70
	s_cbranch_execz .LBB84_58
; %bb.57:                               ;   in Loop: Header=BB84_3 Depth=1
	ds_load_b128 v[22:25], v2 offset:3168
	s_wait_dscnt 0x0
	v_mul_f64_e32 v[4:5], v[20:21], v[24:25]
	v_mul_f64_e32 v[206:207], v[18:19], v[24:25]
	s_delay_alu instid0(VALU_DEP_2) | instskip(NEXT) | instid1(VALU_DEP_2)
	v_fma_f64 v[204:205], v[18:19], v[22:23], -v[4:5]
	v_fmac_f64_e32 v[206:207], v[20:21], v[22:23]
	s_delay_alu instid0(VALU_DEP_2) | instskip(NEXT) | instid1(VALU_DEP_2)
	v_mov_b64_e32 v[18:19], v[204:205]
	v_mov_b64_e32 v[20:21], v[206:207]
	ds_store_b128 v51, v[204:207]
.LBB84_58:                              ;   in Loop: Header=BB84_3 Depth=1
	s_or_b32 exec_lo, exec_lo, s40
	s_wait_dscnt 0x0
	s_barrier_signal -1
	s_barrier_wait -1
	s_and_saveexec_b32 s40, s71
	s_cbranch_execz .LBB84_60
; %bb.59:                               ;   in Loop: Header=BB84_3 Depth=1
	ds_load_b128 v[22:25], v51
	ds_load_b128 v[204:207], v2 offset:3184
	s_wait_dscnt 0x0
	v_mul_f64_e32 v[4:5], v[24:25], v[206:207]
	s_delay_alu instid0(VALU_DEP_1) | instskip(SKIP_1) | instid1(VALU_DEP_2)
	v_fma_f64 v[4:5], v[22:23], v[204:205], -v[4:5]
	v_mul_f64_e32 v[22:23], v[22:23], v[206:207]
	v_add_f64_e32 v[18:19], v[18:19], v[4:5]
	s_delay_alu instid0(VALU_DEP_2) | instskip(NEXT) | instid1(VALU_DEP_1)
	v_fmac_f64_e32 v[22:23], v[24:25], v[204:205]
	v_add_f64_e32 v[20:21], v[20:21], v[22:23]
.LBB84_60:                              ;   in Loop: Header=BB84_3 Depth=1
	s_or_b32 exec_lo, exec_lo, s40
	s_barrier_signal -1
	s_barrier_wait -1
	s_and_saveexec_b32 s40, s71
	s_cbranch_execz .LBB84_62
; %bb.61:                               ;   in Loop: Header=BB84_3 Depth=1
	ds_load_b128 v[22:25], v2 offset:3696
	s_wait_dscnt 0x0
	v_mul_f64_e32 v[4:5], v[20:21], v[24:25]
	v_mul_f64_e32 v[206:207], v[18:19], v[24:25]
	s_delay_alu instid0(VALU_DEP_2) | instskip(NEXT) | instid1(VALU_DEP_2)
	v_fma_f64 v[204:205], v[18:19], v[22:23], -v[4:5]
	v_fmac_f64_e32 v[206:207], v[20:21], v[22:23]
	s_delay_alu instid0(VALU_DEP_2) | instskip(NEXT) | instid1(VALU_DEP_2)
	v_mov_b64_e32 v[18:19], v[204:205]
	v_mov_b64_e32 v[20:21], v[206:207]
	ds_store_b128 v51, v[204:207]
.LBB84_62:                              ;   in Loop: Header=BB84_3 Depth=1
	s_or_b32 exec_lo, exec_lo, s40
	s_wait_dscnt 0x0
	s_barrier_signal -1
	s_barrier_wait -1
	s_barrier_signal -1
	s_barrier_wait -1
	s_and_saveexec_b32 s40, s2
; %bb.63:                               ;   in Loop: Header=BB84_3 Depth=1
	s_delay_alu instid0(VALU_DEP_1) | instskip(NEXT) | instid1(VALU_DEP_4)
	v_xor_b32_e32 v21, 0x80000000, v21
	v_xor_b32_e32 v19, 0x80000000, v19
	ds_store_b128 v52, v[18:21] offset:64
; %bb.64:                               ;   in Loop: Header=BB84_3 Depth=1
	s_or_b32 exec_lo, exec_lo, s40
	s_wait_dscnt 0x0
	s_barrier_signal -1
	s_barrier_wait -1
	s_barrier_signal -1
	s_barrier_wait -1
	s_and_saveexec_b32 s40, s72
	s_cbranch_execz .LBB84_66
; %bb.65:                               ;   in Loop: Header=BB84_3 Depth=1
	ds_load_b128 v[18:21], v55
	s_wait_dscnt 0x0
	ds_store_b128 v148, v[18:21]
	ds_load_b128 v[18:21], v82
	s_wait_dscnt 0x0
	ds_store_b128 v151, v[18:21]
	ds_load_b128 v[18:21], v81
	s_wait_dscnt 0x0
	ds_store_b128 v150, v[18:21]
	ds_load_b128 v[18:21], v57
	s_wait_dscnt 0x0
	ds_store_b128 v149, v[18:21]
.LBB84_66:                              ;   in Loop: Header=BB84_3 Depth=1
	s_or_b32 exec_lo, exec_lo, s40
	s_wait_dscnt 0x0
	s_barrier_signal -1
	s_barrier_wait -1
	s_and_saveexec_b32 s40, s29
	s_cbranch_execz .LBB84_68
; %bb.67:                               ;   in Loop: Header=BB84_3 Depth=1
	ds_load_b128 v[18:21], v2 offset:2640
	ds_load_b128 v[22:25], v2 offset:2112
	s_wait_dscnt 0x0
	v_mul_f64_e32 v[4:5], v[18:19], v[24:25]
	v_mul_f64_e32 v[24:25], v[20:21], v[24:25]
	s_delay_alu instid0(VALU_DEP_2) | instskip(NEXT) | instid1(VALU_DEP_2)
	v_fmac_f64_e32 v[4:5], v[20:21], v[22:23]
	v_fma_f64 v[24:25], v[18:19], v[22:23], -v[24:25]
	ds_load_b128 v[18:21], v2 offset:2128
	s_wait_dscnt 0x0
	v_mul_f64_e32 v[204:205], v[4:5], v[20:21]
	v_mul_f64_e32 v[22:23], v[24:25], v[20:21]
	s_delay_alu instid0(VALU_DEP_2) | instskip(NEXT) | instid1(VALU_DEP_2)
	v_fma_f64 v[20:21], v[18:19], v[24:25], -v[204:205]
	v_fmac_f64_e32 v[22:23], v[18:19], v[4:5]
	ds_store_b128 v2, v[20:23] offset:2128
	ds_store_b128 v2, v[20:23] offset:2624
.LBB84_68:                              ;   in Loop: Header=BB84_3 Depth=1
	s_or_b32 exec_lo, exec_lo, s40
	v_mov_b64_e32 v[20:21], 0
	v_mov_b64_e32 v[18:19], 0
	s_wait_dscnt 0x0
	s_barrier_signal -1
	s_barrier_wait -1
	s_and_saveexec_b32 s40, s0
	s_cbranch_execz .LBB84_72
; %bb.69:                               ;   in Loop: Header=BB84_3 Depth=1
	ds_load_b128 v[18:21], v44 offset:2112
	ds_load_b128 v[22:25], v43 offset:2144
	s_wait_dscnt 0x0
	v_mul_f64_e32 v[4:5], v[20:21], v[24:25]
	v_mul_f64_e32 v[24:25], v[18:19], v[24:25]
	s_delay_alu instid0(VALU_DEP_2) | instskip(NEXT) | instid1(VALU_DEP_2)
	v_fma_f64 v[4:5], v[18:19], v[22:23], -v[4:5]
	v_fmac_f64_e32 v[24:25], v[20:21], v[22:23]
	s_delay_alu instid0(VALU_DEP_2) | instskip(NEXT) | instid1(VALU_DEP_2)
	v_add_f64_e32 v[18:19], 0, v[4:5]
	v_add_f64_e32 v[20:21], 0, v[24:25]
	s_and_saveexec_b32 s41, s10
	s_cbranch_execz .LBB84_71
; %bb.70:                               ;   in Loop: Header=BB84_3 Depth=1
	ds_load_b128 v[22:25], v2 offset:2128
	ds_load_b128 v[204:207], v83 offset:2656
	s_wait_dscnt 0x0
	v_mul_f64_e32 v[4:5], v[24:25], v[206:207]
	s_delay_alu instid0(VALU_DEP_1) | instskip(SKIP_1) | instid1(VALU_DEP_2)
	v_fma_f64 v[4:5], v[22:23], v[204:205], -v[4:5]
	v_mul_f64_e32 v[22:23], v[22:23], v[206:207]
	v_add_f64_e32 v[18:19], v[18:19], v[4:5]
	s_delay_alu instid0(VALU_DEP_2) | instskip(NEXT) | instid1(VALU_DEP_1)
	v_fmac_f64_e32 v[22:23], v[24:25], v[204:205]
	v_add_f64_e32 v[20:21], v[20:21], v[22:23]
.LBB84_71:                              ;   in Loop: Header=BB84_3 Depth=1
	s_or_b32 exec_lo, exec_lo, s41
	s_delay_alu instid0(VALU_DEP_2) | instskip(NEXT) | instid1(VALU_DEP_2)
	v_xor_b32_e32 v19, 0x80000000, v19
	v_xor_b32_e32 v21, 0x80000000, v21
.LBB84_72:                              ;   in Loop: Header=BB84_3 Depth=1
	s_or_b32 exec_lo, exec_lo, s40
	s_and_saveexec_b32 s40, s63
	s_cbranch_execz .LBB84_74
; %bb.73:                               ;   in Loop: Header=BB84_3 Depth=1
	ds_load_b128 v[22:25], v2 offset:3168
	s_wait_dscnt 0x0
	v_mul_f64_e32 v[4:5], v[20:21], v[24:25]
	v_mul_f64_e32 v[206:207], v[18:19], v[24:25]
	s_delay_alu instid0(VALU_DEP_2) | instskip(NEXT) | instid1(VALU_DEP_2)
	v_fma_f64 v[204:205], v[18:19], v[22:23], -v[4:5]
	v_fmac_f64_e32 v[206:207], v[20:21], v[22:23]
	s_delay_alu instid0(VALU_DEP_2) | instskip(NEXT) | instid1(VALU_DEP_2)
	v_mov_b64_e32 v[18:19], v[204:205]
	v_mov_b64_e32 v[20:21], v[206:207]
	ds_store_b128 v27, v[204:207]
.LBB84_74:                              ;   in Loop: Header=BB84_3 Depth=1
	s_or_b32 exec_lo, exec_lo, s40
	s_wait_dscnt 0x0
	s_barrier_signal -1
	s_barrier_wait -1
	s_and_saveexec_b32 s40, s64
	s_cbranch_execz .LBB84_76
; %bb.75:                               ;   in Loop: Header=BB84_3 Depth=1
	ds_load_b128 v[22:25], v27
	ds_load_b128 v[204:207], v2 offset:3184
	s_wait_dscnt 0x0
	v_mul_f64_e32 v[4:5], v[24:25], v[206:207]
	s_delay_alu instid0(VALU_DEP_1) | instskip(SKIP_1) | instid1(VALU_DEP_2)
	v_fma_f64 v[4:5], v[22:23], v[204:205], -v[4:5]
	v_mul_f64_e32 v[22:23], v[22:23], v[206:207]
	v_add_f64_e32 v[18:19], v[18:19], v[4:5]
	s_delay_alu instid0(VALU_DEP_2) | instskip(NEXT) | instid1(VALU_DEP_1)
	v_fmac_f64_e32 v[22:23], v[24:25], v[204:205]
	v_add_f64_e32 v[20:21], v[20:21], v[22:23]
.LBB84_76:                              ;   in Loop: Header=BB84_3 Depth=1
	s_or_b32 exec_lo, exec_lo, s40
	s_barrier_signal -1
	s_barrier_wait -1
	s_and_saveexec_b32 s40, s64
	s_cbranch_execz .LBB84_78
; %bb.77:                               ;   in Loop: Header=BB84_3 Depth=1
	ds_load_b128 v[22:25], v2 offset:3696
	s_wait_dscnt 0x0
	v_mul_f64_e32 v[4:5], v[20:21], v[24:25]
	v_mul_f64_e32 v[206:207], v[18:19], v[24:25]
	s_delay_alu instid0(VALU_DEP_2) | instskip(NEXT) | instid1(VALU_DEP_2)
	v_fma_f64 v[204:205], v[18:19], v[22:23], -v[4:5]
	v_fmac_f64_e32 v[206:207], v[20:21], v[22:23]
	s_delay_alu instid0(VALU_DEP_2) | instskip(NEXT) | instid1(VALU_DEP_2)
	v_mov_b64_e32 v[18:19], v[204:205]
	v_mov_b64_e32 v[20:21], v[206:207]
	ds_store_b128 v27, v[204:207]
.LBB84_78:                              ;   in Loop: Header=BB84_3 Depth=1
	s_or_b32 exec_lo, exec_lo, s40
	s_wait_dscnt 0x0
	s_barrier_signal -1
	s_barrier_wait -1
	s_barrier_signal -1
	s_barrier_wait -1
	s_and_saveexec_b32 s40, s0
; %bb.79:                               ;   in Loop: Header=BB84_3 Depth=1
	s_delay_alu instid0(VALU_DEP_3) | instskip(NEXT) | instid1(VALU_DEP_2)
	v_xor_b32_e32 v19, 0x80000000, v19
	v_xor_b32_e32 v21, 0x80000000, v21
	ds_store_b128 v43, v[18:21] offset:2144
; %bb.80:                               ;   in Loop: Header=BB84_3 Depth=1
	s_or_b32 exec_lo, exec_lo, s40
	s_wait_dscnt 0x0
	s_barrier_signal -1
	s_barrier_wait -1
	s_barrier_signal -1
	s_barrier_wait -1
	s_and_saveexec_b32 s40, s65
	s_cbranch_execz .LBB84_82
; %bb.81:                               ;   in Loop: Header=BB84_3 Depth=1
	ds_load_b128 v[18:21], v92
	s_wait_dscnt 0x0
	ds_store_b128 v152, v[18:21]
	ds_load_b128 v[18:21], v93
	s_wait_dscnt 0x0
	ds_store_b128 v153, v[18:21]
.LBB84_82:                              ;   in Loop: Header=BB84_3 Depth=1
	s_or_b32 exec_lo, exec_lo, s40
	s_wait_dscnt 0x0
	s_barrier_signal -1
	s_barrier_wait -1
	s_and_saveexec_b32 s40, s29
	s_cbranch_execz .LBB84_84
; %bb.83:                               ;   in Loop: Header=BB84_3 Depth=1
	ds_load_b128 v[18:21], v2 offset:3696
	ds_load_b128 v[22:25], v2 offset:3168
	s_wait_dscnt 0x0
	v_mul_f64_e32 v[4:5], v[18:19], v[24:25]
	v_mul_f64_e32 v[24:25], v[20:21], v[24:25]
	s_delay_alu instid0(VALU_DEP_2) | instskip(NEXT) | instid1(VALU_DEP_2)
	v_fmac_f64_e32 v[4:5], v[20:21], v[22:23]
	v_fma_f64 v[24:25], v[18:19], v[22:23], -v[24:25]
	ds_load_b128 v[18:21], v2 offset:3184
	s_wait_dscnt 0x0
	v_mul_f64_e32 v[204:205], v[4:5], v[20:21]
	v_mul_f64_e32 v[22:23], v[24:25], v[20:21]
	s_delay_alu instid0(VALU_DEP_2) | instskip(NEXT) | instid1(VALU_DEP_2)
	v_fma_f64 v[20:21], v[18:19], v[24:25], -v[204:205]
	v_fmac_f64_e32 v[22:23], v[18:19], v[4:5]
	ds_store_b128 v2, v[20:23] offset:3184
	ds_store_b128 v2, v[20:23] offset:3680
.LBB84_84:                              ;   in Loop: Header=BB84_3 Depth=1
	s_or_b32 exec_lo, exec_lo, s40
	v_mov_b64_e32 v[20:21], 0
	v_mov_b64_e32 v[18:19], 0
	s_wait_dscnt 0x0
	s_barrier_signal -1
	s_barrier_wait -1
	s_and_saveexec_b32 s40, s3
	s_cbranch_execz .LBB84_94
; %bb.85:                               ;   in Loop: Header=BB84_3 Depth=1
	ds_load_b128 v[18:21], v54
	ds_load_b128 v[22:25], v59 offset:128
	s_wait_dscnt 0x0
	v_mul_f64_e32 v[4:5], v[20:21], v[24:25]
	v_mul_f64_e32 v[24:25], v[18:19], v[24:25]
	s_delay_alu instid0(VALU_DEP_2) | instskip(NEXT) | instid1(VALU_DEP_2)
	v_fma_f64 v[4:5], v[18:19], v[22:23], -v[4:5]
	v_fmac_f64_e32 v[24:25], v[20:21], v[22:23]
	s_delay_alu instid0(VALU_DEP_2) | instskip(NEXT) | instid1(VALU_DEP_2)
	v_add_f64_e32 v[18:19], 0, v[4:5]
	v_add_f64_e32 v[20:21], 0, v[24:25]
	s_and_saveexec_b32 s41, s13
	s_cbranch_execnz .LBB84_552
; %bb.86:                               ;   in Loop: Header=BB84_3 Depth=1
	s_or_b32 exec_lo, exec_lo, s41
	s_and_saveexec_b32 s41, s14
	s_cbranch_execnz .LBB84_553
.LBB84_87:                              ;   in Loop: Header=BB84_3 Depth=1
	s_or_b32 exec_lo, exec_lo, s41
	s_and_saveexec_b32 s41, s15
	s_cbranch_execnz .LBB84_554
.LBB84_88:                              ;   in Loop: Header=BB84_3 Depth=1
	s_or_b32 exec_lo, exec_lo, s41
	s_and_saveexec_b32 s41, s16
	s_cbranch_execnz .LBB84_555
.LBB84_89:                              ;   in Loop: Header=BB84_3 Depth=1
	s_or_b32 exec_lo, exec_lo, s41
	s_and_saveexec_b32 s41, s17
	s_cbranch_execnz .LBB84_556
.LBB84_90:                              ;   in Loop: Header=BB84_3 Depth=1
	s_or_b32 exec_lo, exec_lo, s41
	s_and_saveexec_b32 s41, s2
	s_cbranch_execnz .LBB84_557
.LBB84_91:                              ;   in Loop: Header=BB84_3 Depth=1
	s_or_b32 exec_lo, exec_lo, s41
	s_and_saveexec_b32 s41, s12
	s_cbranch_execz .LBB84_93
.LBB84_92:                              ;   in Loop: Header=BB84_3 Depth=1
	ds_load_b128 v[22:25], v2 offset:112
	ds_load_b128 v[204:207], v45 offset:3712
	s_wait_dscnt 0x0
	v_mul_f64_e32 v[4:5], v[24:25], v[206:207]
	s_delay_alu instid0(VALU_DEP_1) | instskip(SKIP_1) | instid1(VALU_DEP_2)
	v_fma_f64 v[4:5], v[22:23], v[204:205], -v[4:5]
	v_mul_f64_e32 v[22:23], v[22:23], v[206:207]
	v_add_f64_e32 v[18:19], v[18:19], v[4:5]
	s_delay_alu instid0(VALU_DEP_2) | instskip(NEXT) | instid1(VALU_DEP_1)
	v_fmac_f64_e32 v[22:23], v[24:25], v[204:205]
	v_add_f64_e32 v[20:21], v[20:21], v[22:23]
.LBB84_93:                              ;   in Loop: Header=BB84_3 Depth=1
	s_or_b32 exec_lo, exec_lo, s41
	s_delay_alu instid0(VALU_DEP_2) | instskip(NEXT) | instid1(VALU_DEP_2)
	v_xor_b32_e32 v19, 0x80000000, v19
	v_xor_b32_e32 v21, 0x80000000, v21
.LBB84_94:                              ;   in Loop: Header=BB84_3 Depth=1
	s_or_b32 exec_lo, exec_lo, s40
	s_and_saveexec_b32 s40, s73
	s_cbranch_execz .LBB84_96
; %bb.95:                               ;   in Loop: Header=BB84_3 Depth=1
	ds_load_b128 v[22:25], v2 offset:4224
	s_wait_dscnt 0x0
	v_mul_f64_e32 v[4:5], v[20:21], v[24:25]
	v_mul_f64_e32 v[206:207], v[18:19], v[24:25]
	s_delay_alu instid0(VALU_DEP_2) | instskip(NEXT) | instid1(VALU_DEP_2)
	v_fma_f64 v[204:205], v[18:19], v[22:23], -v[4:5]
	v_fmac_f64_e32 v[206:207], v[20:21], v[22:23]
	s_delay_alu instid0(VALU_DEP_2) | instskip(NEXT) | instid1(VALU_DEP_2)
	v_mov_b64_e32 v[18:19], v[204:205]
	v_mov_b64_e32 v[20:21], v[206:207]
	ds_store_b128 v58, v[204:207]
.LBB84_96:                              ;   in Loop: Header=BB84_3 Depth=1
	s_or_b32 exec_lo, exec_lo, s40
	s_wait_dscnt 0x0
	s_barrier_signal -1
	s_barrier_wait -1
	s_and_saveexec_b32 s40, s74
	s_cbranch_execz .LBB84_98
; %bb.97:                               ;   in Loop: Header=BB84_3 Depth=1
	ds_load_b128 v[22:25], v58
	ds_load_b128 v[204:207], v56 offset:4224
	s_wait_dscnt 0x0
	v_mul_f64_e32 v[4:5], v[24:25], v[206:207]
	s_delay_alu instid0(VALU_DEP_1) | instskip(SKIP_1) | instid1(VALU_DEP_2)
	v_fma_f64 v[4:5], v[22:23], v[204:205], -v[4:5]
	v_mul_f64_e32 v[22:23], v[22:23], v[206:207]
	v_add_f64_e32 v[18:19], v[18:19], v[4:5]
	s_delay_alu instid0(VALU_DEP_2) | instskip(NEXT) | instid1(VALU_DEP_1)
	v_fmac_f64_e32 v[22:23], v[24:25], v[204:205]
	v_add_f64_e32 v[20:21], v[20:21], v[22:23]
.LBB84_98:                              ;   in Loop: Header=BB84_3 Depth=1
	s_or_b32 exec_lo, exec_lo, s40
	s_barrier_signal -1
	s_barrier_wait -1
	s_and_saveexec_b32 s40, s75
	s_cbranch_execz .LBB84_100
; %bb.99:                               ;   in Loop: Header=BB84_3 Depth=1
	ds_load_b128 v[22:25], v2 offset:4752
	s_wait_dscnt 0x0
	v_mul_f64_e32 v[4:5], v[20:21], v[24:25]
	v_mul_f64_e32 v[206:207], v[18:19], v[24:25]
	s_delay_alu instid0(VALU_DEP_2) | instskip(NEXT) | instid1(VALU_DEP_2)
	v_fma_f64 v[204:205], v[18:19], v[22:23], -v[4:5]
	v_fmac_f64_e32 v[206:207], v[20:21], v[22:23]
	s_delay_alu instid0(VALU_DEP_2) | instskip(NEXT) | instid1(VALU_DEP_2)
	v_mov_b64_e32 v[18:19], v[204:205]
	v_mov_b64_e32 v[20:21], v[206:207]
	ds_store_b128 v58, v[204:207]
.LBB84_100:                             ;   in Loop: Header=BB84_3 Depth=1
	s_or_b32 exec_lo, exec_lo, s40
	s_wait_dscnt 0x0
	s_barrier_signal -1
	s_barrier_wait -1
	s_and_saveexec_b32 s40, s76
	s_cbranch_execz .LBB84_102
; %bb.101:                              ;   in Loop: Header=BB84_3 Depth=1
	ds_load_b128 v[22:25], v58
	ds_load_b128 v[204:207], v56 offset:4736
	s_wait_dscnt 0x0
	v_mul_f64_e32 v[4:5], v[24:25], v[206:207]
	s_delay_alu instid0(VALU_DEP_1) | instskip(SKIP_1) | instid1(VALU_DEP_2)
	v_fma_f64 v[4:5], v[22:23], v[204:205], -v[4:5]
	v_mul_f64_e32 v[22:23], v[22:23], v[206:207]
	v_add_f64_e32 v[18:19], v[18:19], v[4:5]
	s_delay_alu instid0(VALU_DEP_2) | instskip(NEXT) | instid1(VALU_DEP_1)
	v_fmac_f64_e32 v[22:23], v[24:25], v[204:205]
	v_add_f64_e32 v[20:21], v[20:21], v[22:23]
.LBB84_102:                             ;   in Loop: Header=BB84_3 Depth=1
	s_or_b32 exec_lo, exec_lo, s40
	s_barrier_signal -1
	s_barrier_wait -1
	s_and_saveexec_b32 s40, s77
	s_cbranch_execz .LBB84_104
; %bb.103:                              ;   in Loop: Header=BB84_3 Depth=1
	ds_load_b128 v[22:25], v2 offset:5280
	s_wait_dscnt 0x0
	v_mul_f64_e32 v[4:5], v[20:21], v[24:25]
	v_mul_f64_e32 v[206:207], v[18:19], v[24:25]
	s_delay_alu instid0(VALU_DEP_2) | instskip(NEXT) | instid1(VALU_DEP_2)
	v_fma_f64 v[204:205], v[18:19], v[22:23], -v[4:5]
	v_fmac_f64_e32 v[206:207], v[20:21], v[22:23]
	s_delay_alu instid0(VALU_DEP_2) | instskip(NEXT) | instid1(VALU_DEP_2)
	v_mov_b64_e32 v[18:19], v[204:205]
	v_mov_b64_e32 v[20:21], v[206:207]
	ds_store_b128 v58, v[204:207]
.LBB84_104:                             ;   in Loop: Header=BB84_3 Depth=1
	s_or_b32 exec_lo, exec_lo, s40
	s_wait_dscnt 0x0
	s_barrier_signal -1
	s_barrier_wait -1
	s_and_saveexec_b32 s40, s78
	s_cbranch_execz .LBB84_106
; %bb.105:                              ;   in Loop: Header=BB84_3 Depth=1
	ds_load_b128 v[22:25], v58
	ds_load_b128 v[204:207], v56 offset:5248
	s_wait_dscnt 0x0
	v_mul_f64_e32 v[4:5], v[24:25], v[206:207]
	s_delay_alu instid0(VALU_DEP_1) | instskip(SKIP_1) | instid1(VALU_DEP_2)
	v_fma_f64 v[4:5], v[22:23], v[204:205], -v[4:5]
	v_mul_f64_e32 v[22:23], v[22:23], v[206:207]
	v_add_f64_e32 v[18:19], v[18:19], v[4:5]
	s_delay_alu instid0(VALU_DEP_2) | instskip(NEXT) | instid1(VALU_DEP_1)
	v_fmac_f64_e32 v[22:23], v[24:25], v[204:205]
	v_add_f64_e32 v[20:21], v[20:21], v[22:23]
.LBB84_106:                             ;   in Loop: Header=BB84_3 Depth=1
	s_or_b32 exec_lo, exec_lo, s40
	s_barrier_signal -1
	s_barrier_wait -1
	s_and_saveexec_b32 s40, s79
	s_cbranch_execz .LBB84_108
; %bb.107:                              ;   in Loop: Header=BB84_3 Depth=1
	ds_load_b128 v[22:25], v2 offset:5808
	s_wait_dscnt 0x0
	v_mul_f64_e32 v[4:5], v[20:21], v[24:25]
	v_mul_f64_e32 v[206:207], v[18:19], v[24:25]
	s_delay_alu instid0(VALU_DEP_2) | instskip(NEXT) | instid1(VALU_DEP_2)
	v_fma_f64 v[204:205], v[18:19], v[22:23], -v[4:5]
	v_fmac_f64_e32 v[206:207], v[20:21], v[22:23]
	s_delay_alu instid0(VALU_DEP_2) | instskip(NEXT) | instid1(VALU_DEP_2)
	v_mov_b64_e32 v[18:19], v[204:205]
	v_mov_b64_e32 v[20:21], v[206:207]
	ds_store_b128 v58, v[204:207]
.LBB84_108:                             ;   in Loop: Header=BB84_3 Depth=1
	;; [unrolled: 37-line block ×6, first 2 shown]
	s_or_b32 exec_lo, exec_lo, s40
	s_wait_dscnt 0x0
	s_barrier_signal -1
	s_barrier_wait -1
	s_barrier_signal -1
	s_barrier_wait -1
	s_and_saveexec_b32 s40, s3
; %bb.125:                              ;   in Loop: Header=BB84_3 Depth=1
	s_delay_alu instid0(VALU_DEP_3) | instskip(NEXT) | instid1(VALU_DEP_2)
	v_xor_b32_e32 v19, 0x80000000, v19
	v_xor_b32_e32 v21, 0x80000000, v21
	ds_store_b128 v59, v[18:21] offset:128
; %bb.126:                              ;   in Loop: Header=BB84_3 Depth=1
	s_or_b32 exec_lo, exec_lo, s40
	s_wait_dscnt 0x0
	s_barrier_signal -1
	s_barrier_wait -1
	s_barrier_signal -1
	s_barrier_wait -1
	s_and_saveexec_b32 s40, s87
	s_cbranch_execz .LBB84_128
; %bb.127:                              ;   in Loop: Header=BB84_3 Depth=1
	ds_load_b128 v[18:21], v61
	s_wait_dscnt 0x0
	ds_store_b128 v154, v[18:21]
	ds_load_b128 v[18:21], v62
	s_wait_dscnt 0x0
	ds_store_b128 v155, v[18:21]
	;; [unrolled: 3-line block ×8, first 2 shown]
.LBB84_128:                             ;   in Loop: Header=BB84_3 Depth=1
	s_or_b32 exec_lo, exec_lo, s40
	s_wait_dscnt 0x0
	s_barrier_signal -1
	s_barrier_wait -1
	s_and_saveexec_b32 s40, s29
	s_cbranch_execz .LBB84_130
; %bb.129:                              ;   in Loop: Header=BB84_3 Depth=1
	ds_load_b128 v[18:21], v2 offset:4752
	ds_load_b128 v[22:25], v2 offset:4224
	s_wait_dscnt 0x0
	v_mul_f64_e32 v[4:5], v[18:19], v[24:25]
	v_mul_f64_e32 v[24:25], v[20:21], v[24:25]
	s_delay_alu instid0(VALU_DEP_2) | instskip(NEXT) | instid1(VALU_DEP_2)
	v_fmac_f64_e32 v[4:5], v[20:21], v[22:23]
	v_fma_f64 v[24:25], v[18:19], v[22:23], -v[24:25]
	ds_load_b128 v[18:21], v2 offset:4240
	s_wait_dscnt 0x0
	v_mul_f64_e32 v[204:205], v[4:5], v[20:21]
	v_mul_f64_e32 v[22:23], v[24:25], v[20:21]
	s_delay_alu instid0(VALU_DEP_2) | instskip(NEXT) | instid1(VALU_DEP_2)
	v_fma_f64 v[20:21], v[18:19], v[24:25], -v[204:205]
	v_fmac_f64_e32 v[22:23], v[18:19], v[4:5]
	ds_store_b128 v2, v[20:23] offset:4240
	ds_store_b128 v2, v[20:23] offset:4736
.LBB84_130:                             ;   in Loop: Header=BB84_3 Depth=1
	s_or_b32 exec_lo, exec_lo, s40
	v_mov_b64_e32 v[20:21], 0
	v_mov_b64_e32 v[18:19], 0
	s_wait_dscnt 0x0
	s_barrier_signal -1
	s_barrier_wait -1
	s_and_saveexec_b32 s40, s0
	s_cbranch_execz .LBB84_134
; %bb.131:                              ;   in Loop: Header=BB84_3 Depth=1
	ds_load_b128 v[18:21], v44 offset:4224
	ds_load_b128 v[22:25], v43 offset:4256
	s_wait_dscnt 0x0
	v_mul_f64_e32 v[4:5], v[20:21], v[24:25]
	v_mul_f64_e32 v[24:25], v[18:19], v[24:25]
	s_delay_alu instid0(VALU_DEP_2) | instskip(NEXT) | instid1(VALU_DEP_2)
	v_fma_f64 v[4:5], v[18:19], v[22:23], -v[4:5]
	v_fmac_f64_e32 v[24:25], v[20:21], v[22:23]
	s_delay_alu instid0(VALU_DEP_2) | instskip(NEXT) | instid1(VALU_DEP_2)
	v_add_f64_e32 v[18:19], 0, v[4:5]
	v_add_f64_e32 v[20:21], 0, v[24:25]
	s_and_saveexec_b32 s41, s10
	s_cbranch_execz .LBB84_133
; %bb.132:                              ;   in Loop: Header=BB84_3 Depth=1
	ds_load_b128 v[22:25], v2 offset:4240
	ds_load_b128 v[204:207], v50 offset:4768
	s_wait_dscnt 0x0
	v_mul_f64_e32 v[4:5], v[24:25], v[206:207]
	s_delay_alu instid0(VALU_DEP_1) | instskip(SKIP_1) | instid1(VALU_DEP_2)
	v_fma_f64 v[4:5], v[22:23], v[204:205], -v[4:5]
	v_mul_f64_e32 v[22:23], v[22:23], v[206:207]
	v_add_f64_e32 v[18:19], v[18:19], v[4:5]
	s_delay_alu instid0(VALU_DEP_2) | instskip(NEXT) | instid1(VALU_DEP_1)
	v_fmac_f64_e32 v[22:23], v[24:25], v[204:205]
	v_add_f64_e32 v[20:21], v[20:21], v[22:23]
.LBB84_133:                             ;   in Loop: Header=BB84_3 Depth=1
	s_or_b32 exec_lo, exec_lo, s41
	s_delay_alu instid0(VALU_DEP_2) | instskip(NEXT) | instid1(VALU_DEP_2)
	v_xor_b32_e32 v19, 0x80000000, v19
	v_xor_b32_e32 v21, 0x80000000, v21
.LBB84_134:                             ;   in Loop: Header=BB84_3 Depth=1
	s_or_b32 exec_lo, exec_lo, s40
	s_and_saveexec_b32 s40, s63
	s_cbranch_execz .LBB84_136
; %bb.135:                              ;   in Loop: Header=BB84_3 Depth=1
	ds_load_b128 v[22:25], v2 offset:5280
	s_wait_dscnt 0x0
	v_mul_f64_e32 v[4:5], v[20:21], v[24:25]
	v_mul_f64_e32 v[206:207], v[18:19], v[24:25]
	s_delay_alu instid0(VALU_DEP_2) | instskip(NEXT) | instid1(VALU_DEP_2)
	v_fma_f64 v[204:205], v[18:19], v[22:23], -v[4:5]
	v_fmac_f64_e32 v[206:207], v[20:21], v[22:23]
	s_delay_alu instid0(VALU_DEP_2) | instskip(NEXT) | instid1(VALU_DEP_2)
	v_mov_b64_e32 v[18:19], v[204:205]
	v_mov_b64_e32 v[20:21], v[206:207]
	ds_store_b128 v27, v[204:207]
.LBB84_136:                             ;   in Loop: Header=BB84_3 Depth=1
	s_or_b32 exec_lo, exec_lo, s40
	s_wait_dscnt 0x0
	s_barrier_signal -1
	s_barrier_wait -1
	s_and_saveexec_b32 s40, s64
	s_cbranch_execz .LBB84_138
; %bb.137:                              ;   in Loop: Header=BB84_3 Depth=1
	ds_load_b128 v[22:25], v27
	ds_load_b128 v[204:207], v2 offset:5296
	s_wait_dscnt 0x0
	v_mul_f64_e32 v[4:5], v[24:25], v[206:207]
	s_delay_alu instid0(VALU_DEP_1) | instskip(SKIP_1) | instid1(VALU_DEP_2)
	v_fma_f64 v[4:5], v[22:23], v[204:205], -v[4:5]
	v_mul_f64_e32 v[22:23], v[22:23], v[206:207]
	v_add_f64_e32 v[18:19], v[18:19], v[4:5]
	s_delay_alu instid0(VALU_DEP_2) | instskip(NEXT) | instid1(VALU_DEP_1)
	v_fmac_f64_e32 v[22:23], v[24:25], v[204:205]
	v_add_f64_e32 v[20:21], v[20:21], v[22:23]
.LBB84_138:                             ;   in Loop: Header=BB84_3 Depth=1
	s_or_b32 exec_lo, exec_lo, s40
	s_barrier_signal -1
	s_barrier_wait -1
	s_and_saveexec_b32 s40, s64
	s_cbranch_execz .LBB84_140
; %bb.139:                              ;   in Loop: Header=BB84_3 Depth=1
	ds_load_b128 v[22:25], v2 offset:5808
	s_wait_dscnt 0x0
	v_mul_f64_e32 v[4:5], v[20:21], v[24:25]
	v_mul_f64_e32 v[206:207], v[18:19], v[24:25]
	s_delay_alu instid0(VALU_DEP_2) | instskip(NEXT) | instid1(VALU_DEP_2)
	v_fma_f64 v[204:205], v[18:19], v[22:23], -v[4:5]
	v_fmac_f64_e32 v[206:207], v[20:21], v[22:23]
	s_delay_alu instid0(VALU_DEP_2) | instskip(NEXT) | instid1(VALU_DEP_2)
	v_mov_b64_e32 v[18:19], v[204:205]
	v_mov_b64_e32 v[20:21], v[206:207]
	ds_store_b128 v27, v[204:207]
.LBB84_140:                             ;   in Loop: Header=BB84_3 Depth=1
	s_or_b32 exec_lo, exec_lo, s40
	s_wait_dscnt 0x0
	s_barrier_signal -1
	s_barrier_wait -1
	s_barrier_signal -1
	s_barrier_wait -1
	s_and_saveexec_b32 s40, s0
; %bb.141:                              ;   in Loop: Header=BB84_3 Depth=1
	s_delay_alu instid0(VALU_DEP_3) | instskip(NEXT) | instid1(VALU_DEP_2)
	v_xor_b32_e32 v19, 0x80000000, v19
	v_xor_b32_e32 v21, 0x80000000, v21
	ds_store_b128 v43, v[18:21] offset:4256
; %bb.142:                              ;   in Loop: Header=BB84_3 Depth=1
	s_or_b32 exec_lo, exec_lo, s40
	s_wait_dscnt 0x0
	s_barrier_signal -1
	s_barrier_wait -1
	s_barrier_signal -1
	s_barrier_wait -1
	s_and_saveexec_b32 s40, s65
	s_cbranch_execz .LBB84_144
; %bb.143:                              ;   in Loop: Header=BB84_3 Depth=1
	ds_load_b128 v[18:21], v84
	s_wait_dscnt 0x0
	ds_store_b128 v162, v[18:21]
	ds_load_b128 v[18:21], v85
	s_wait_dscnt 0x0
	ds_store_b128 v163, v[18:21]
.LBB84_144:                             ;   in Loop: Header=BB84_3 Depth=1
	s_or_b32 exec_lo, exec_lo, s40
	s_wait_dscnt 0x0
	s_barrier_signal -1
	s_barrier_wait -1
	s_and_saveexec_b32 s40, s29
	s_cbranch_execz .LBB84_146
; %bb.145:                              ;   in Loop: Header=BB84_3 Depth=1
	ds_load_b128 v[18:21], v2 offset:5808
	ds_load_b128 v[22:25], v2 offset:5280
	s_wait_dscnt 0x0
	v_mul_f64_e32 v[4:5], v[18:19], v[24:25]
	v_mul_f64_e32 v[24:25], v[20:21], v[24:25]
	s_delay_alu instid0(VALU_DEP_2) | instskip(NEXT) | instid1(VALU_DEP_2)
	v_fmac_f64_e32 v[4:5], v[20:21], v[22:23]
	v_fma_f64 v[24:25], v[18:19], v[22:23], -v[24:25]
	ds_load_b128 v[18:21], v2 offset:5296
	s_wait_dscnt 0x0
	v_mul_f64_e32 v[204:205], v[4:5], v[20:21]
	v_mul_f64_e32 v[22:23], v[24:25], v[20:21]
	s_delay_alu instid0(VALU_DEP_2) | instskip(NEXT) | instid1(VALU_DEP_2)
	v_fma_f64 v[20:21], v[18:19], v[24:25], -v[204:205]
	v_fmac_f64_e32 v[22:23], v[18:19], v[4:5]
	ds_store_b128 v2, v[20:23] offset:5296
	ds_store_b128 v2, v[20:23] offset:5792
.LBB84_146:                             ;   in Loop: Header=BB84_3 Depth=1
	s_or_b32 exec_lo, exec_lo, s40
	v_mov_b64_e32 v[20:21], 0
	v_mov_b64_e32 v[18:19], 0
	s_wait_dscnt 0x0
	s_barrier_signal -1
	s_barrier_wait -1
	s_and_saveexec_b32 s40, s2
	s_cbranch_execz .LBB84_152
; %bb.147:                              ;   in Loop: Header=BB84_3 Depth=1
	ds_load_b128 v[18:21], v46 offset:4224
	ds_load_b128 v[22:25], v52 offset:4288
	s_wait_dscnt 0x0
	v_mul_f64_e32 v[4:5], v[20:21], v[24:25]
	v_mul_f64_e32 v[24:25], v[18:19], v[24:25]
	s_delay_alu instid0(VALU_DEP_2) | instskip(NEXT) | instid1(VALU_DEP_2)
	v_fma_f64 v[4:5], v[18:19], v[22:23], -v[4:5]
	v_fmac_f64_e32 v[24:25], v[20:21], v[22:23]
	s_delay_alu instid0(VALU_DEP_2) | instskip(NEXT) | instid1(VALU_DEP_2)
	v_add_f64_e32 v[18:19], 0, v[4:5]
	v_add_f64_e32 v[20:21], 0, v[24:25]
	s_and_saveexec_b32 s41, s11
	s_cbranch_execnz .LBB84_558
; %bb.148:                              ;   in Loop: Header=BB84_3 Depth=1
	s_or_b32 exec_lo, exec_lo, s41
	s_and_saveexec_b32 s41, s12
	s_cbranch_execnz .LBB84_559
.LBB84_149:                             ;   in Loop: Header=BB84_3 Depth=1
	s_or_b32 exec_lo, exec_lo, s41
	s_and_saveexec_b32 s41, s0
	s_cbranch_execz .LBB84_151
.LBB84_150:                             ;   in Loop: Header=BB84_3 Depth=1
	ds_load_b128 v[22:25], v2 offset:4272
	ds_load_b128 v[204:207], v83 offset:5824
	s_wait_dscnt 0x0
	v_mul_f64_e32 v[4:5], v[24:25], v[206:207]
	s_delay_alu instid0(VALU_DEP_1) | instskip(SKIP_1) | instid1(VALU_DEP_2)
	v_fma_f64 v[4:5], v[22:23], v[204:205], -v[4:5]
	v_mul_f64_e32 v[22:23], v[22:23], v[206:207]
	v_add_f64_e32 v[18:19], v[18:19], v[4:5]
	s_delay_alu instid0(VALU_DEP_2) | instskip(NEXT) | instid1(VALU_DEP_1)
	v_fmac_f64_e32 v[22:23], v[24:25], v[204:205]
	v_add_f64_e32 v[20:21], v[20:21], v[22:23]
.LBB84_151:                             ;   in Loop: Header=BB84_3 Depth=1
	s_or_b32 exec_lo, exec_lo, s41
	s_delay_alu instid0(VALU_DEP_2) | instskip(NEXT) | instid1(VALU_DEP_2)
	v_xor_b32_e32 v19, 0x80000000, v19
	v_xor_b32_e32 v21, 0x80000000, v21
.LBB84_152:                             ;   in Loop: Header=BB84_3 Depth=1
	s_or_b32 exec_lo, exec_lo, s40
	s_and_saveexec_b32 s40, s66
	s_cbranch_execz .LBB84_154
; %bb.153:                              ;   in Loop: Header=BB84_3 Depth=1
	ds_load_b128 v[22:25], v2 offset:6336
	s_wait_dscnt 0x0
	v_mul_f64_e32 v[4:5], v[20:21], v[24:25]
	v_mul_f64_e32 v[206:207], v[18:19], v[24:25]
	s_delay_alu instid0(VALU_DEP_2) | instskip(NEXT) | instid1(VALU_DEP_2)
	v_fma_f64 v[204:205], v[18:19], v[22:23], -v[4:5]
	v_fmac_f64_e32 v[206:207], v[20:21], v[22:23]
	s_delay_alu instid0(VALU_DEP_2) | instskip(NEXT) | instid1(VALU_DEP_2)
	v_mov_b64_e32 v[18:19], v[204:205]
	v_mov_b64_e32 v[20:21], v[206:207]
	ds_store_b128 v51, v[204:207]
.LBB84_154:                             ;   in Loop: Header=BB84_3 Depth=1
	s_or_b32 exec_lo, exec_lo, s40
	s_wait_dscnt 0x0
	s_barrier_signal -1
	s_barrier_wait -1
	s_and_saveexec_b32 s40, s67
	s_cbranch_execz .LBB84_156
; %bb.155:                              ;   in Loop: Header=BB84_3 Depth=1
	ds_load_b128 v[22:25], v51
	ds_load_b128 v[204:207], v49 offset:6336
	s_wait_dscnt 0x0
	v_mul_f64_e32 v[4:5], v[24:25], v[206:207]
	s_delay_alu instid0(VALU_DEP_1) | instskip(SKIP_1) | instid1(VALU_DEP_2)
	v_fma_f64 v[4:5], v[22:23], v[204:205], -v[4:5]
	v_mul_f64_e32 v[22:23], v[22:23], v[206:207]
	v_add_f64_e32 v[18:19], v[18:19], v[4:5]
	s_delay_alu instid0(VALU_DEP_2) | instskip(NEXT) | instid1(VALU_DEP_1)
	v_fmac_f64_e32 v[22:23], v[24:25], v[204:205]
	v_add_f64_e32 v[20:21], v[20:21], v[22:23]
.LBB84_156:                             ;   in Loop: Header=BB84_3 Depth=1
	s_or_b32 exec_lo, exec_lo, s40
	s_barrier_signal -1
	s_barrier_wait -1
	s_and_saveexec_b32 s40, s68
	s_cbranch_execz .LBB84_158
; %bb.157:                              ;   in Loop: Header=BB84_3 Depth=1
	ds_load_b128 v[22:25], v2 offset:6864
	s_wait_dscnt 0x0
	v_mul_f64_e32 v[4:5], v[20:21], v[24:25]
	v_mul_f64_e32 v[206:207], v[18:19], v[24:25]
	s_delay_alu instid0(VALU_DEP_2) | instskip(NEXT) | instid1(VALU_DEP_2)
	v_fma_f64 v[204:205], v[18:19], v[22:23], -v[4:5]
	v_fmac_f64_e32 v[206:207], v[20:21], v[22:23]
	s_delay_alu instid0(VALU_DEP_2) | instskip(NEXT) | instid1(VALU_DEP_2)
	v_mov_b64_e32 v[18:19], v[204:205]
	v_mov_b64_e32 v[20:21], v[206:207]
	ds_store_b128 v51, v[204:207]
.LBB84_158:                             ;   in Loop: Header=BB84_3 Depth=1
	s_or_b32 exec_lo, exec_lo, s40
	s_wait_dscnt 0x0
	s_barrier_signal -1
	s_barrier_wait -1
	s_and_saveexec_b32 s40, s69
	s_cbranch_execz .LBB84_160
; %bb.159:                              ;   in Loop: Header=BB84_3 Depth=1
	ds_load_b128 v[22:25], v51
	ds_load_b128 v[204:207], v49 offset:6848
	s_wait_dscnt 0x0
	v_mul_f64_e32 v[4:5], v[24:25], v[206:207]
	s_delay_alu instid0(VALU_DEP_1) | instskip(SKIP_1) | instid1(VALU_DEP_2)
	v_fma_f64 v[4:5], v[22:23], v[204:205], -v[4:5]
	v_mul_f64_e32 v[22:23], v[22:23], v[206:207]
	v_add_f64_e32 v[18:19], v[18:19], v[4:5]
	s_delay_alu instid0(VALU_DEP_2) | instskip(NEXT) | instid1(VALU_DEP_1)
	v_fmac_f64_e32 v[22:23], v[24:25], v[204:205]
	v_add_f64_e32 v[20:21], v[20:21], v[22:23]
.LBB84_160:                             ;   in Loop: Header=BB84_3 Depth=1
	s_or_b32 exec_lo, exec_lo, s40
	s_barrier_signal -1
	s_barrier_wait -1
	;; [unrolled: 37-line block ×3, first 2 shown]
	s_and_saveexec_b32 s40, s71
	s_cbranch_execz .LBB84_166
; %bb.165:                              ;   in Loop: Header=BB84_3 Depth=1
	ds_load_b128 v[22:25], v2 offset:7920
	s_wait_dscnt 0x0
	v_mul_f64_e32 v[4:5], v[20:21], v[24:25]
	v_mul_f64_e32 v[206:207], v[18:19], v[24:25]
	s_delay_alu instid0(VALU_DEP_2) | instskip(NEXT) | instid1(VALU_DEP_2)
	v_fma_f64 v[204:205], v[18:19], v[22:23], -v[4:5]
	v_fmac_f64_e32 v[206:207], v[20:21], v[22:23]
	s_delay_alu instid0(VALU_DEP_2) | instskip(NEXT) | instid1(VALU_DEP_2)
	v_mov_b64_e32 v[18:19], v[204:205]
	v_mov_b64_e32 v[20:21], v[206:207]
	ds_store_b128 v51, v[204:207]
.LBB84_166:                             ;   in Loop: Header=BB84_3 Depth=1
	s_or_b32 exec_lo, exec_lo, s40
	s_wait_dscnt 0x0
	s_barrier_signal -1
	s_barrier_wait -1
	s_barrier_signal -1
	s_barrier_wait -1
	s_and_saveexec_b32 s40, s2
; %bb.167:                              ;   in Loop: Header=BB84_3 Depth=1
	s_delay_alu instid0(VALU_DEP_1) | instskip(NEXT) | instid1(VALU_DEP_4)
	v_xor_b32_e32 v21, 0x80000000, v21
	v_xor_b32_e32 v19, 0x80000000, v19
	ds_store_b128 v52, v[18:21] offset:4288
; %bb.168:                              ;   in Loop: Header=BB84_3 Depth=1
	s_or_b32 exec_lo, exec_lo, s40
	s_wait_dscnt 0x0
	s_barrier_signal -1
	s_barrier_wait -1
	s_barrier_signal -1
	s_barrier_wait -1
	s_and_saveexec_b32 s40, s72
	s_cbranch_execz .LBB84_170
; %bb.169:                              ;   in Loop: Header=BB84_3 Depth=1
	ds_load_b128 v[18:21], v95
	s_wait_dscnt 0x0
	ds_store_b128 v165, v[18:21]
	ds_load_b128 v[18:21], v98
	s_wait_dscnt 0x0
	ds_store_b128 v168, v[18:21]
	;; [unrolled: 3-line block ×4, first 2 shown]
.LBB84_170:                             ;   in Loop: Header=BB84_3 Depth=1
	s_or_b32 exec_lo, exec_lo, s40
	s_wait_dscnt 0x0
	s_barrier_signal -1
	s_barrier_wait -1
	s_and_saveexec_b32 s40, s29
	s_cbranch_execz .LBB84_172
; %bb.171:                              ;   in Loop: Header=BB84_3 Depth=1
	ds_load_b128 v[18:21], v2 offset:6864
	ds_load_b128 v[22:25], v2 offset:6336
	s_wait_dscnt 0x0
	v_mul_f64_e32 v[4:5], v[18:19], v[24:25]
	v_mul_f64_e32 v[24:25], v[20:21], v[24:25]
	s_delay_alu instid0(VALU_DEP_2) | instskip(NEXT) | instid1(VALU_DEP_2)
	v_fmac_f64_e32 v[4:5], v[20:21], v[22:23]
	v_fma_f64 v[24:25], v[18:19], v[22:23], -v[24:25]
	ds_load_b128 v[18:21], v2 offset:6352
	s_wait_dscnt 0x0
	v_mul_f64_e32 v[204:205], v[4:5], v[20:21]
	v_mul_f64_e32 v[22:23], v[24:25], v[20:21]
	s_delay_alu instid0(VALU_DEP_2) | instskip(NEXT) | instid1(VALU_DEP_2)
	v_fma_f64 v[20:21], v[18:19], v[24:25], -v[204:205]
	v_fmac_f64_e32 v[22:23], v[18:19], v[4:5]
	ds_store_b128 v2, v[20:23] offset:6352
	ds_store_b128 v2, v[20:23] offset:6848
.LBB84_172:                             ;   in Loop: Header=BB84_3 Depth=1
	s_or_b32 exec_lo, exec_lo, s40
	v_mov_b64_e32 v[20:21], 0
	v_mov_b64_e32 v[18:19], 0
	s_wait_dscnt 0x0
	s_barrier_signal -1
	s_barrier_wait -1
	s_and_saveexec_b32 s40, s0
	s_cbranch_execz .LBB84_176
; %bb.173:                              ;   in Loop: Header=BB84_3 Depth=1
	ds_load_b128 v[18:21], v44 offset:6336
	ds_load_b128 v[22:25], v43 offset:6368
	s_wait_dscnt 0x0
	v_mul_f64_e32 v[4:5], v[20:21], v[24:25]
	v_mul_f64_e32 v[24:25], v[18:19], v[24:25]
	s_delay_alu instid0(VALU_DEP_2) | instskip(NEXT) | instid1(VALU_DEP_2)
	v_fma_f64 v[4:5], v[18:19], v[22:23], -v[4:5]
	v_fmac_f64_e32 v[24:25], v[20:21], v[22:23]
	s_delay_alu instid0(VALU_DEP_2) | instskip(NEXT) | instid1(VALU_DEP_2)
	v_add_f64_e32 v[18:19], 0, v[4:5]
	v_add_f64_e32 v[20:21], 0, v[24:25]
	s_and_saveexec_b32 s41, s10
	s_cbranch_execz .LBB84_175
; %bb.174:                              ;   in Loop: Header=BB84_3 Depth=1
	ds_load_b128 v[22:25], v2 offset:6352
	ds_load_b128 v[204:207], v94 offset:6880
	s_wait_dscnt 0x0
	v_mul_f64_e32 v[4:5], v[24:25], v[206:207]
	s_delay_alu instid0(VALU_DEP_1) | instskip(SKIP_1) | instid1(VALU_DEP_2)
	v_fma_f64 v[4:5], v[22:23], v[204:205], -v[4:5]
	v_mul_f64_e32 v[22:23], v[22:23], v[206:207]
	v_add_f64_e32 v[18:19], v[18:19], v[4:5]
	s_delay_alu instid0(VALU_DEP_2) | instskip(NEXT) | instid1(VALU_DEP_1)
	v_fmac_f64_e32 v[22:23], v[24:25], v[204:205]
	v_add_f64_e32 v[20:21], v[20:21], v[22:23]
.LBB84_175:                             ;   in Loop: Header=BB84_3 Depth=1
	s_or_b32 exec_lo, exec_lo, s41
	s_delay_alu instid0(VALU_DEP_2) | instskip(NEXT) | instid1(VALU_DEP_2)
	v_xor_b32_e32 v19, 0x80000000, v19
	v_xor_b32_e32 v21, 0x80000000, v21
.LBB84_176:                             ;   in Loop: Header=BB84_3 Depth=1
	s_or_b32 exec_lo, exec_lo, s40
	s_and_saveexec_b32 s40, s63
	s_cbranch_execz .LBB84_178
; %bb.177:                              ;   in Loop: Header=BB84_3 Depth=1
	ds_load_b128 v[22:25], v2 offset:7392
	s_wait_dscnt 0x0
	v_mul_f64_e32 v[4:5], v[20:21], v[24:25]
	v_mul_f64_e32 v[206:207], v[18:19], v[24:25]
	s_delay_alu instid0(VALU_DEP_2) | instskip(NEXT) | instid1(VALU_DEP_2)
	v_fma_f64 v[204:205], v[18:19], v[22:23], -v[4:5]
	v_fmac_f64_e32 v[206:207], v[20:21], v[22:23]
	s_delay_alu instid0(VALU_DEP_2) | instskip(NEXT) | instid1(VALU_DEP_2)
	v_mov_b64_e32 v[18:19], v[204:205]
	v_mov_b64_e32 v[20:21], v[206:207]
	ds_store_b128 v27, v[204:207]
.LBB84_178:                             ;   in Loop: Header=BB84_3 Depth=1
	s_or_b32 exec_lo, exec_lo, s40
	s_wait_dscnt 0x0
	s_barrier_signal -1
	s_barrier_wait -1
	s_and_saveexec_b32 s40, s64
	s_cbranch_execz .LBB84_180
; %bb.179:                              ;   in Loop: Header=BB84_3 Depth=1
	ds_load_b128 v[22:25], v27
	ds_load_b128 v[204:207], v2 offset:7408
	s_wait_dscnt 0x0
	v_mul_f64_e32 v[4:5], v[24:25], v[206:207]
	s_delay_alu instid0(VALU_DEP_1) | instskip(SKIP_1) | instid1(VALU_DEP_2)
	v_fma_f64 v[4:5], v[22:23], v[204:205], -v[4:5]
	v_mul_f64_e32 v[22:23], v[22:23], v[206:207]
	v_add_f64_e32 v[18:19], v[18:19], v[4:5]
	s_delay_alu instid0(VALU_DEP_2) | instskip(NEXT) | instid1(VALU_DEP_1)
	v_fmac_f64_e32 v[22:23], v[24:25], v[204:205]
	v_add_f64_e32 v[20:21], v[20:21], v[22:23]
.LBB84_180:                             ;   in Loop: Header=BB84_3 Depth=1
	s_or_b32 exec_lo, exec_lo, s40
	s_barrier_signal -1
	s_barrier_wait -1
	s_and_saveexec_b32 s40, s64
	s_cbranch_execz .LBB84_182
; %bb.181:                              ;   in Loop: Header=BB84_3 Depth=1
	ds_load_b128 v[22:25], v2 offset:7920
	s_wait_dscnt 0x0
	v_mul_f64_e32 v[4:5], v[20:21], v[24:25]
	v_mul_f64_e32 v[206:207], v[18:19], v[24:25]
	s_delay_alu instid0(VALU_DEP_2) | instskip(NEXT) | instid1(VALU_DEP_2)
	v_fma_f64 v[204:205], v[18:19], v[22:23], -v[4:5]
	v_fmac_f64_e32 v[206:207], v[20:21], v[22:23]
	s_delay_alu instid0(VALU_DEP_2) | instskip(NEXT) | instid1(VALU_DEP_2)
	v_mov_b64_e32 v[18:19], v[204:205]
	v_mov_b64_e32 v[20:21], v[206:207]
	ds_store_b128 v27, v[204:207]
.LBB84_182:                             ;   in Loop: Header=BB84_3 Depth=1
	s_or_b32 exec_lo, exec_lo, s40
	s_wait_dscnt 0x0
	s_barrier_signal -1
	s_barrier_wait -1
	s_barrier_signal -1
	s_barrier_wait -1
	s_and_saveexec_b32 s40, s0
; %bb.183:                              ;   in Loop: Header=BB84_3 Depth=1
	s_delay_alu instid0(VALU_DEP_3) | instskip(NEXT) | instid1(VALU_DEP_2)
	v_xor_b32_e32 v19, 0x80000000, v19
	v_xor_b32_e32 v21, 0x80000000, v21
	ds_store_b128 v43, v[18:21] offset:6368
; %bb.184:                              ;   in Loop: Header=BB84_3 Depth=1
	s_or_b32 exec_lo, exec_lo, s40
	s_wait_dscnt 0x0
	s_barrier_signal -1
	s_barrier_wait -1
	s_barrier_signal -1
	s_barrier_wait -1
	s_and_saveexec_b32 s40, s65
	s_cbranch_execz .LBB84_186
; %bb.185:                              ;   in Loop: Header=BB84_3 Depth=1
	ds_load_b128 v[18:21], v105
	s_wait_dscnt 0x0
	ds_store_b128 v109, v[18:21]
	ds_load_b128 v[18:21], v106
	s_wait_dscnt 0x0
	ds_store_b128 v110, v[18:21]
.LBB84_186:                             ;   in Loop: Header=BB84_3 Depth=1
	s_or_b32 exec_lo, exec_lo, s40
	s_wait_dscnt 0x0
	s_barrier_signal -1
	s_barrier_wait -1
	s_and_saveexec_b32 s40, s29
	s_cbranch_execz .LBB84_188
; %bb.187:                              ;   in Loop: Header=BB84_3 Depth=1
	ds_load_b128 v[18:21], v2 offset:7920
	ds_load_b128 v[22:25], v2 offset:7392
	s_wait_dscnt 0x0
	v_mul_f64_e32 v[4:5], v[18:19], v[24:25]
	v_mul_f64_e32 v[24:25], v[20:21], v[24:25]
	s_delay_alu instid0(VALU_DEP_2) | instskip(NEXT) | instid1(VALU_DEP_2)
	v_fmac_f64_e32 v[4:5], v[20:21], v[22:23]
	v_fma_f64 v[24:25], v[18:19], v[22:23], -v[24:25]
	ds_load_b128 v[18:21], v2 offset:7408
	s_wait_dscnt 0x0
	v_mul_f64_e32 v[204:205], v[4:5], v[20:21]
	v_mul_f64_e32 v[22:23], v[24:25], v[20:21]
	s_delay_alu instid0(VALU_DEP_2) | instskip(NEXT) | instid1(VALU_DEP_2)
	v_fma_f64 v[20:21], v[18:19], v[24:25], -v[204:205]
	v_fmac_f64_e32 v[22:23], v[18:19], v[4:5]
	ds_store_b128 v2, v[20:23] offset:7408
	ds_store_b128 v2, v[20:23] offset:7904
.LBB84_188:                             ;   in Loop: Header=BB84_3 Depth=1
	s_or_b32 exec_lo, exec_lo, s40
	v_mov_b64_e32 v[20:21], 0
	v_mov_b64_e32 v[18:19], 0
	s_wait_dscnt 0x0
	s_barrier_signal -1
	s_barrier_wait -1
	s_and_saveexec_b32 s40, s4
	s_cbranch_execz .LBB84_216
; %bb.189:                              ;   in Loop: Header=BB84_3 Depth=1
	v_add_nc_u32_e32 v3, v69, v164
	ds_load_b128 v[18:21], v3
	ds_load_b128 v[22:25], v170 offset:256
	s_wait_dscnt 0x0
	v_mul_f64_e32 v[4:5], v[20:21], v[24:25]
	v_mul_f64_e32 v[24:25], v[18:19], v[24:25]
	s_delay_alu instid0(VALU_DEP_2) | instskip(NEXT) | instid1(VALU_DEP_2)
	v_fma_f64 v[4:5], v[18:19], v[22:23], -v[4:5]
	v_fmac_f64_e32 v[24:25], v[20:21], v[22:23]
	s_delay_alu instid0(VALU_DEP_2) | instskip(NEXT) | instid1(VALU_DEP_2)
	v_add_f64_e32 v[18:19], 0, v[4:5]
	v_add_f64_e32 v[20:21], 0, v[24:25]
	s_mov_b32 s41, exec_lo
	v_readlane_b32 s46, v203, 17
	s_and_b32 s46, s41, s46
	s_delay_alu instid0(SALU_CYCLE_1)
	s_mov_b32 exec_lo, s46
	s_cbranch_execz .LBB84_191
; %bb.190:                              ;   in Loop: Header=BB84_3 Depth=1
	ds_load_b128 v[22:25], v3 offset:16
	ds_load_b128 v[204:207], v170 offset:768
	s_wait_dscnt 0x0
	v_mul_f64_e32 v[4:5], v[24:25], v[206:207]
	s_delay_alu instid0(VALU_DEP_1) | instskip(SKIP_1) | instid1(VALU_DEP_2)
	v_fma_f64 v[4:5], v[22:23], v[204:205], -v[4:5]
	v_mul_f64_e32 v[22:23], v[22:23], v[206:207]
	v_add_f64_e32 v[18:19], v[18:19], v[4:5]
	s_delay_alu instid0(VALU_DEP_2) | instskip(NEXT) | instid1(VALU_DEP_1)
	v_fmac_f64_e32 v[22:23], v[24:25], v[204:205]
	v_add_f64_e32 v[20:21], v[20:21], v[22:23]
.LBB84_191:                             ;   in Loop: Header=BB84_3 Depth=1
	s_or_b32 exec_lo, exec_lo, s41
	s_delay_alu instid0(SALU_CYCLE_1) | instskip(SKIP_2) | instid1(SALU_CYCLE_1)
	s_mov_b32 s41, exec_lo
	v_readlane_b32 s46, v203, 18
	s_and_b32 s46, s41, s46
	s_mov_b32 exec_lo, s46
	s_cbranch_execz .LBB84_193
; %bb.192:                              ;   in Loop: Header=BB84_3 Depth=1
	ds_load_b128 v[22:25], v3 offset:32
	ds_load_b128 v[204:207], v170 offset:1280
	s_wait_dscnt 0x0
	v_mul_f64_e32 v[4:5], v[24:25], v[206:207]
	s_delay_alu instid0(VALU_DEP_1) | instskip(SKIP_1) | instid1(VALU_DEP_2)
	v_fma_f64 v[4:5], v[22:23], v[204:205], -v[4:5]
	v_mul_f64_e32 v[22:23], v[22:23], v[206:207]
	v_add_f64_e32 v[18:19], v[18:19], v[4:5]
	s_delay_alu instid0(VALU_DEP_2) | instskip(NEXT) | instid1(VALU_DEP_1)
	v_fmac_f64_e32 v[22:23], v[24:25], v[204:205]
	v_add_f64_e32 v[20:21], v[20:21], v[22:23]
.LBB84_193:                             ;   in Loop: Header=BB84_3 Depth=1
	s_or_b32 exec_lo, exec_lo, s41
	s_delay_alu instid0(SALU_CYCLE_1) | instskip(SKIP_2) | instid1(SALU_CYCLE_1)
	s_mov_b32 s41, exec_lo
	v_readlane_b32 s46, v203, 19
	s_and_b32 s46, s41, s46
	;; [unrolled: 20-line block ×10, first 2 shown]
	s_mov_b32 exec_lo, s46
	s_cbranch_execnz .LBB84_560
; %bb.210:                              ;   in Loop: Header=BB84_3 Depth=1
	s_or_b32 exec_lo, exec_lo, s41
	s_and_saveexec_b32 s41, s3
	s_cbranch_execnz .LBB84_561
.LBB84_211:                             ;   in Loop: Header=BB84_3 Depth=1
	s_or_b32 exec_lo, exec_lo, s41
	s_and_saveexec_b32 s41, s14
	s_cbranch_execnz .LBB84_562
.LBB84_212:                             ;   in Loop: Header=BB84_3 Depth=1
	s_or_b32 exec_lo, exec_lo, s41
	s_and_saveexec_b32 s41, s16
	s_cbranch_execnz .LBB84_563
.LBB84_213:                             ;   in Loop: Header=BB84_3 Depth=1
	s_or_b32 exec_lo, exec_lo, s41
	s_and_saveexec_b32 s41, s2
	s_cbranch_execz .LBB84_215
.LBB84_214:                             ;   in Loop: Header=BB84_3 Depth=1
	ds_load_b128 v[22:25], v2 offset:240
	ds_load_b128 v[204:207], v45 offset:7936
	s_wait_dscnt 0x0
	v_mul_f64_e32 v[4:5], v[24:25], v[206:207]
	s_delay_alu instid0(VALU_DEP_1) | instskip(SKIP_1) | instid1(VALU_DEP_2)
	v_fma_f64 v[4:5], v[22:23], v[204:205], -v[4:5]
	v_mul_f64_e32 v[22:23], v[22:23], v[206:207]
	v_add_f64_e32 v[18:19], v[18:19], v[4:5]
	s_delay_alu instid0(VALU_DEP_2) | instskip(NEXT) | instid1(VALU_DEP_1)
	v_fmac_f64_e32 v[22:23], v[24:25], v[204:205]
	v_add_f64_e32 v[20:21], v[20:21], v[22:23]
.LBB84_215:                             ;   in Loop: Header=BB84_3 Depth=1
	s_or_b32 exec_lo, exec_lo, s41
	s_delay_alu instid0(VALU_DEP_3) | instskip(NEXT) | instid1(VALU_DEP_2)
	v_xor_b32_e32 v19, 0x80000000, v19
	v_xor_b32_e32 v21, 0x80000000, v21
.LBB84_216:                             ;   in Loop: Header=BB84_3 Depth=1
	s_or_b32 exec_lo, exec_lo, s40
	s_delay_alu instid0(SALU_CYCLE_1) | instskip(SKIP_2) | instid1(SALU_CYCLE_1)
	s_mov_b32 s40, exec_lo
	v_readlane_b32 s41, v203, 0
	s_and_b32 s41, s40, s41
	s_mov_b32 exec_lo, s41
	s_cbranch_execz .LBB84_218
; %bb.217:                              ;   in Loop: Header=BB84_3 Depth=1
	ds_load_b128 v[22:25], v2 offset:8448
	s_wait_dscnt 0x0
	v_mul_f64_e32 v[4:5], v[20:21], v[24:25]
	v_mul_f64_e32 v[206:207], v[18:19], v[24:25]
	s_delay_alu instid0(VALU_DEP_2) | instskip(NEXT) | instid1(VALU_DEP_2)
	v_fma_f64 v[204:205], v[18:19], v[22:23], -v[4:5]
	v_fmac_f64_e32 v[206:207], v[20:21], v[22:23]
	s_delay_alu instid0(VALU_DEP_2) | instskip(NEXT) | instid1(VALU_DEP_2)
	v_mov_b64_e32 v[18:19], v[204:205]
	v_mov_b64_e32 v[20:21], v[206:207]
	ds_store_b128 v169, v[204:207]
.LBB84_218:                             ;   in Loop: Header=BB84_3 Depth=1
	s_or_b32 exec_lo, exec_lo, s40
	s_wait_dscnt 0x0
	s_barrier_signal -1
	s_barrier_wait -1
	s_mov_b32 s40, exec_lo
	v_readlane_b32 s41, v203, 1
	s_and_b32 s41, s40, s41
	s_delay_alu instid0(SALU_CYCLE_1)
	s_mov_b32 exec_lo, s41
	s_cbranch_execz .LBB84_220
; %bb.219:                              ;   in Loop: Header=BB84_3 Depth=1
	ds_load_b128 v[22:25], v169
	ds_load_b128 v[204:207], v70 offset:8448
	s_wait_dscnt 0x0
	v_mul_f64_e32 v[4:5], v[24:25], v[206:207]
	s_delay_alu instid0(VALU_DEP_1) | instskip(SKIP_1) | instid1(VALU_DEP_2)
	v_fma_f64 v[4:5], v[22:23], v[204:205], -v[4:5]
	v_mul_f64_e32 v[22:23], v[22:23], v[206:207]
	v_add_f64_e32 v[18:19], v[18:19], v[4:5]
	s_delay_alu instid0(VALU_DEP_2) | instskip(NEXT) | instid1(VALU_DEP_1)
	v_fmac_f64_e32 v[22:23], v[24:25], v[204:205]
	v_add_f64_e32 v[20:21], v[20:21], v[22:23]
.LBB84_220:                             ;   in Loop: Header=BB84_3 Depth=1
	s_or_b32 exec_lo, exec_lo, s40
	s_barrier_signal -1
	s_barrier_wait -1
	s_mov_b32 s40, exec_lo
	v_readlane_b32 s41, v203, 2
	s_and_b32 s41, s40, s41
	s_delay_alu instid0(SALU_CYCLE_1)
	s_mov_b32 exec_lo, s41
	s_cbranch_execz .LBB84_222
; %bb.221:                              ;   in Loop: Header=BB84_3 Depth=1
	ds_load_b128 v[22:25], v2 offset:8976
	s_wait_dscnt 0x0
	v_mul_f64_e32 v[4:5], v[20:21], v[24:25]
	v_mul_f64_e32 v[206:207], v[18:19], v[24:25]
	s_delay_alu instid0(VALU_DEP_2) | instskip(NEXT) | instid1(VALU_DEP_2)
	v_fma_f64 v[204:205], v[18:19], v[22:23], -v[4:5]
	v_fmac_f64_e32 v[206:207], v[20:21], v[22:23]
	s_delay_alu instid0(VALU_DEP_2) | instskip(NEXT) | instid1(VALU_DEP_2)
	v_mov_b64_e32 v[18:19], v[204:205]
	v_mov_b64_e32 v[20:21], v[206:207]
	ds_store_b128 v169, v[204:207]
.LBB84_222:                             ;   in Loop: Header=BB84_3 Depth=1
	s_or_b32 exec_lo, exec_lo, s40
	s_wait_dscnt 0x0
	s_barrier_signal -1
	s_barrier_wait -1
	s_mov_b32 s40, exec_lo
	v_readlane_b32 s41, v203, 3
	s_and_b32 s41, s40, s41
	s_delay_alu instid0(SALU_CYCLE_1)
	s_mov_b32 exec_lo, s41
	s_cbranch_execz .LBB84_224
; %bb.223:                              ;   in Loop: Header=BB84_3 Depth=1
	ds_load_b128 v[22:25], v169
	ds_load_b128 v[204:207], v70 offset:8960
	s_wait_dscnt 0x0
	v_mul_f64_e32 v[4:5], v[24:25], v[206:207]
	s_delay_alu instid0(VALU_DEP_1) | instskip(SKIP_1) | instid1(VALU_DEP_2)
	v_fma_f64 v[4:5], v[22:23], v[204:205], -v[4:5]
	v_mul_f64_e32 v[22:23], v[22:23], v[206:207]
	v_add_f64_e32 v[18:19], v[18:19], v[4:5]
	s_delay_alu instid0(VALU_DEP_2) | instskip(NEXT) | instid1(VALU_DEP_1)
	v_fmac_f64_e32 v[22:23], v[24:25], v[204:205]
	v_add_f64_e32 v[20:21], v[20:21], v[22:23]
.LBB84_224:                             ;   in Loop: Header=BB84_3 Depth=1
	s_or_b32 exec_lo, exec_lo, s40
	s_barrier_signal -1
	s_barrier_wait -1
	s_mov_b32 s40, exec_lo
	v_readlane_b32 s41, v203, 4
	s_and_b32 s41, s40, s41
	s_delay_alu instid0(SALU_CYCLE_1)
	;; [unrolled: 45-line block ×5, first 2 shown]
	s_mov_b32 exec_lo, s41
	s_cbranch_execz .LBB84_238
; %bb.237:                              ;   in Loop: Header=BB84_3 Depth=1
	ds_load_b128 v[22:25], v2 offset:11088
	s_wait_dscnt 0x0
	v_mul_f64_e32 v[4:5], v[20:21], v[24:25]
	v_mul_f64_e32 v[206:207], v[18:19], v[24:25]
	s_delay_alu instid0(VALU_DEP_2) | instskip(NEXT) | instid1(VALU_DEP_2)
	v_fma_f64 v[204:205], v[18:19], v[22:23], -v[4:5]
	v_fmac_f64_e32 v[206:207], v[20:21], v[22:23]
	s_delay_alu instid0(VALU_DEP_2) | instskip(NEXT) | instid1(VALU_DEP_2)
	v_mov_b64_e32 v[18:19], v[204:205]
	v_mov_b64_e32 v[20:21], v[206:207]
	ds_store_b128 v169, v[204:207]
.LBB84_238:                             ;   in Loop: Header=BB84_3 Depth=1
	s_or_b32 exec_lo, exec_lo, s40
	s_wait_dscnt 0x0
	s_barrier_signal -1
	s_barrier_wait -1
	s_mov_b32 s40, exec_lo
	v_readlane_b32 s41, v203, 11
	s_and_b32 s41, s40, s41
	s_delay_alu instid0(SALU_CYCLE_1)
	s_mov_b32 exec_lo, s41
	s_cbranch_execz .LBB84_240
; %bb.239:                              ;   in Loop: Header=BB84_3 Depth=1
	ds_load_b128 v[22:25], v169
	ds_load_b128 v[204:207], v70 offset:11008
	s_wait_dscnt 0x0
	v_mul_f64_e32 v[4:5], v[24:25], v[206:207]
	s_delay_alu instid0(VALU_DEP_1) | instskip(SKIP_1) | instid1(VALU_DEP_2)
	v_fma_f64 v[4:5], v[22:23], v[204:205], -v[4:5]
	v_mul_f64_e32 v[22:23], v[22:23], v[206:207]
	v_add_f64_e32 v[18:19], v[18:19], v[4:5]
	s_delay_alu instid0(VALU_DEP_2) | instskip(NEXT) | instid1(VALU_DEP_1)
	v_fmac_f64_e32 v[22:23], v[24:25], v[204:205]
	v_add_f64_e32 v[20:21], v[20:21], v[22:23]
.LBB84_240:                             ;   in Loop: Header=BB84_3 Depth=1
	s_or_b32 exec_lo, exec_lo, s40
	s_barrier_signal -1
	s_barrier_wait -1
	s_and_saveexec_b32 s40, s100
	s_cbranch_execz .LBB84_242
; %bb.241:                              ;   in Loop: Header=BB84_3 Depth=1
	ds_load_b128 v[22:25], v2 offset:11616
	s_wait_dscnt 0x0
	v_mul_f64_e32 v[4:5], v[20:21], v[24:25]
	v_mul_f64_e32 v[206:207], v[18:19], v[24:25]
	s_delay_alu instid0(VALU_DEP_2) | instskip(NEXT) | instid1(VALU_DEP_2)
	v_fma_f64 v[204:205], v[18:19], v[22:23], -v[4:5]
	v_fmac_f64_e32 v[206:207], v[20:21], v[22:23]
	s_delay_alu instid0(VALU_DEP_2) | instskip(NEXT) | instid1(VALU_DEP_2)
	v_mov_b64_e32 v[18:19], v[204:205]
	v_mov_b64_e32 v[20:21], v[206:207]
	ds_store_b128 v169, v[204:207]
.LBB84_242:                             ;   in Loop: Header=BB84_3 Depth=1
	s_or_b32 exec_lo, exec_lo, s40
	s_wait_dscnt 0x0
	s_barrier_signal -1
	s_barrier_wait -1
	s_and_saveexec_b32 s40, s101
	s_cbranch_execz .LBB84_244
; %bb.243:                              ;   in Loop: Header=BB84_3 Depth=1
	ds_load_b128 v[22:25], v169
	ds_load_b128 v[204:207], v70 offset:11520
	s_wait_dscnt 0x0
	v_mul_f64_e32 v[4:5], v[24:25], v[206:207]
	s_delay_alu instid0(VALU_DEP_1) | instskip(SKIP_1) | instid1(VALU_DEP_2)
	v_fma_f64 v[4:5], v[22:23], v[204:205], -v[4:5]
	v_mul_f64_e32 v[22:23], v[22:23], v[206:207]
	v_add_f64_e32 v[18:19], v[18:19], v[4:5]
	s_delay_alu instid0(VALU_DEP_2) | instskip(NEXT) | instid1(VALU_DEP_1)
	v_fmac_f64_e32 v[22:23], v[24:25], v[204:205]
	v_add_f64_e32 v[20:21], v[20:21], v[22:23]
.LBB84_244:                             ;   in Loop: Header=BB84_3 Depth=1
	s_or_b32 exec_lo, exec_lo, s40
	s_barrier_signal -1
	s_barrier_wait -1
	s_and_saveexec_b32 s40, s102
	s_cbranch_execz .LBB84_246
; %bb.245:                              ;   in Loop: Header=BB84_3 Depth=1
	ds_load_b128 v[22:25], v2 offset:12144
	s_wait_dscnt 0x0
	v_mul_f64_e32 v[4:5], v[20:21], v[24:25]
	v_mul_f64_e32 v[206:207], v[18:19], v[24:25]
	s_delay_alu instid0(VALU_DEP_2) | instskip(NEXT) | instid1(VALU_DEP_2)
	v_fma_f64 v[204:205], v[18:19], v[22:23], -v[4:5]
	v_fmac_f64_e32 v[206:207], v[20:21], v[22:23]
	s_delay_alu instid0(VALU_DEP_2) | instskip(NEXT) | instid1(VALU_DEP_2)
	v_mov_b64_e32 v[18:19], v[204:205]
	v_mov_b64_e32 v[20:21], v[206:207]
	ds_store_b128 v169, v[204:207]
.LBB84_246:                             ;   in Loop: Header=BB84_3 Depth=1
	s_or_b32 exec_lo, exec_lo, s40
	s_wait_dscnt 0x0
	s_barrier_signal -1
	s_barrier_wait -1
	s_and_saveexec_b32 s40, s103
	s_cbranch_execz .LBB84_248
; %bb.247:                              ;   in Loop: Header=BB84_3 Depth=1
	ds_load_b128 v[22:25], v169
	ds_load_b128 v[204:207], v70 offset:12032
	s_wait_dscnt 0x0
	v_mul_f64_e32 v[4:5], v[24:25], v[206:207]
	s_delay_alu instid0(VALU_DEP_1) | instskip(SKIP_1) | instid1(VALU_DEP_2)
	v_fma_f64 v[4:5], v[22:23], v[204:205], -v[4:5]
	v_mul_f64_e32 v[22:23], v[22:23], v[206:207]
	v_add_f64_e32 v[18:19], v[18:19], v[4:5]
	s_delay_alu instid0(VALU_DEP_2) | instskip(NEXT) | instid1(VALU_DEP_1)
	v_fmac_f64_e32 v[22:23], v[24:25], v[204:205]
	v_add_f64_e32 v[20:21], v[20:21], v[22:23]
.LBB84_248:                             ;   in Loop: Header=BB84_3 Depth=1
	s_or_b32 exec_lo, exec_lo, s40
	s_barrier_signal -1
	s_barrier_wait -1
	s_and_saveexec_b32 s40, s104
	s_cbranch_execz .LBB84_250
; %bb.249:                              ;   in Loop: Header=BB84_3 Depth=1
	ds_load_b128 v[22:25], v2 offset:12672
	s_wait_dscnt 0x0
	v_mul_f64_e32 v[4:5], v[20:21], v[24:25]
	v_mul_f64_e32 v[206:207], v[18:19], v[24:25]
	s_delay_alu instid0(VALU_DEP_2) | instskip(NEXT) | instid1(VALU_DEP_2)
	v_fma_f64 v[204:205], v[18:19], v[22:23], -v[4:5]
	v_fmac_f64_e32 v[206:207], v[20:21], v[22:23]
	s_delay_alu instid0(VALU_DEP_2) | instskip(NEXT) | instid1(VALU_DEP_2)
	v_mov_b64_e32 v[18:19], v[204:205]
	v_mov_b64_e32 v[20:21], v[206:207]
	ds_store_b128 v169, v[204:207]
.LBB84_250:                             ;   in Loop: Header=BB84_3 Depth=1
	s_or_b32 exec_lo, exec_lo, s40
	s_wait_dscnt 0x0
	s_barrier_signal -1
	s_barrier_wait -1
	s_and_saveexec_b32 s40, vcc_hi
	s_cbranch_execz .LBB84_252
; %bb.251:                              ;   in Loop: Header=BB84_3 Depth=1
	ds_load_b128 v[22:25], v169
	ds_load_b128 v[204:207], v70 offset:12544
	s_wait_dscnt 0x0
	v_mul_f64_e32 v[4:5], v[24:25], v[206:207]
	s_delay_alu instid0(VALU_DEP_1) | instskip(SKIP_1) | instid1(VALU_DEP_2)
	v_fma_f64 v[4:5], v[22:23], v[204:205], -v[4:5]
	v_mul_f64_e32 v[22:23], v[22:23], v[206:207]
	v_add_f64_e32 v[18:19], v[18:19], v[4:5]
	s_delay_alu instid0(VALU_DEP_2) | instskip(NEXT) | instid1(VALU_DEP_1)
	v_fmac_f64_e32 v[22:23], v[24:25], v[204:205]
	v_add_f64_e32 v[20:21], v[20:21], v[22:23]
.LBB84_252:                             ;   in Loop: Header=BB84_3 Depth=1
	s_or_b32 exec_lo, exec_lo, s40
	s_barrier_signal -1
	s_barrier_wait -1
	s_and_saveexec_b32 s40, s18
	s_cbranch_execz .LBB84_254
; %bb.253:                              ;   in Loop: Header=BB84_3 Depth=1
	ds_load_b128 v[22:25], v2 offset:13200
	s_wait_dscnt 0x0
	v_mul_f64_e32 v[4:5], v[20:21], v[24:25]
	v_mul_f64_e32 v[206:207], v[18:19], v[24:25]
	s_delay_alu instid0(VALU_DEP_2) | instskip(NEXT) | instid1(VALU_DEP_2)
	v_fma_f64 v[204:205], v[18:19], v[22:23], -v[4:5]
	v_fmac_f64_e32 v[206:207], v[20:21], v[22:23]
	s_delay_alu instid0(VALU_DEP_2) | instskip(NEXT) | instid1(VALU_DEP_2)
	v_mov_b64_e32 v[18:19], v[204:205]
	v_mov_b64_e32 v[20:21], v[206:207]
	ds_store_b128 v169, v[204:207]
.LBB84_254:                             ;   in Loop: Header=BB84_3 Depth=1
	s_or_b32 exec_lo, exec_lo, s40
	s_wait_dscnt 0x0
	s_barrier_signal -1
	s_barrier_wait -1
	s_and_saveexec_b32 s40, s19
	s_cbranch_execz .LBB84_256
; %bb.255:                              ;   in Loop: Header=BB84_3 Depth=1
	ds_load_b128 v[22:25], v169
	ds_load_b128 v[204:207], v70 offset:13056
	s_wait_dscnt 0x0
	v_mul_f64_e32 v[4:5], v[24:25], v[206:207]
	s_delay_alu instid0(VALU_DEP_1) | instskip(SKIP_1) | instid1(VALU_DEP_2)
	v_fma_f64 v[4:5], v[22:23], v[204:205], -v[4:5]
	v_mul_f64_e32 v[22:23], v[22:23], v[206:207]
	v_add_f64_e32 v[18:19], v[18:19], v[4:5]
	s_delay_alu instid0(VALU_DEP_2) | instskip(NEXT) | instid1(VALU_DEP_1)
	v_fmac_f64_e32 v[22:23], v[24:25], v[204:205]
	v_add_f64_e32 v[20:21], v[20:21], v[22:23]
.LBB84_256:                             ;   in Loop: Header=BB84_3 Depth=1
	s_or_b32 exec_lo, exec_lo, s40
	s_barrier_signal -1
	s_barrier_wait -1
	s_and_saveexec_b32 s40, s20
	s_cbranch_execz .LBB84_258
; %bb.257:                              ;   in Loop: Header=BB84_3 Depth=1
	ds_load_b128 v[22:25], v2 offset:13728
	s_wait_dscnt 0x0
	v_mul_f64_e32 v[4:5], v[20:21], v[24:25]
	v_mul_f64_e32 v[206:207], v[18:19], v[24:25]
	s_delay_alu instid0(VALU_DEP_2) | instskip(NEXT) | instid1(VALU_DEP_2)
	v_fma_f64 v[204:205], v[18:19], v[22:23], -v[4:5]
	v_fmac_f64_e32 v[206:207], v[20:21], v[22:23]
	s_delay_alu instid0(VALU_DEP_2) | instskip(NEXT) | instid1(VALU_DEP_2)
	v_mov_b64_e32 v[18:19], v[204:205]
	v_mov_b64_e32 v[20:21], v[206:207]
	ds_store_b128 v169, v[204:207]
.LBB84_258:                             ;   in Loop: Header=BB84_3 Depth=1
	s_or_b32 exec_lo, exec_lo, s40
	s_wait_dscnt 0x0
	s_barrier_signal -1
	s_barrier_wait -1
	s_and_saveexec_b32 s40, s21
	;; [unrolled: 37-line block ×6, first 2 shown]
	s_cbranch_execz .LBB84_276
; %bb.275:                              ;   in Loop: Header=BB84_3 Depth=1
	ds_load_b128 v[22:25], v169
	ds_load_b128 v[204:207], v2 offset:15856
	s_wait_dscnt 0x0
	v_mul_f64_e32 v[4:5], v[24:25], v[206:207]
	s_delay_alu instid0(VALU_DEP_1) | instskip(SKIP_1) | instid1(VALU_DEP_2)
	v_fma_f64 v[4:5], v[22:23], v[204:205], -v[4:5]
	v_mul_f64_e32 v[22:23], v[22:23], v[206:207]
	v_add_f64_e32 v[18:19], v[18:19], v[4:5]
	s_delay_alu instid0(VALU_DEP_2) | instskip(NEXT) | instid1(VALU_DEP_1)
	v_fmac_f64_e32 v[22:23], v[24:25], v[204:205]
	v_add_f64_e32 v[20:21], v[20:21], v[22:23]
.LBB84_276:                             ;   in Loop: Header=BB84_3 Depth=1
	s_or_b32 exec_lo, exec_lo, s40
	s_barrier_signal -1
	s_barrier_wait -1
	s_and_saveexec_b32 s40, s30
	s_cbranch_execz .LBB84_278
; %bb.277:                              ;   in Loop: Header=BB84_3 Depth=1
	ds_load_b128 v[22:25], v2 offset:16368
	s_wait_dscnt 0x0
	v_mul_f64_e32 v[4:5], v[20:21], v[24:25]
	v_mul_f64_e32 v[206:207], v[18:19], v[24:25]
	s_delay_alu instid0(VALU_DEP_2) | instskip(NEXT) | instid1(VALU_DEP_2)
	v_fma_f64 v[204:205], v[18:19], v[22:23], -v[4:5]
	v_fmac_f64_e32 v[206:207], v[20:21], v[22:23]
	s_delay_alu instid0(VALU_DEP_2) | instskip(NEXT) | instid1(VALU_DEP_2)
	v_mov_b64_e32 v[18:19], v[204:205]
	v_mov_b64_e32 v[20:21], v[206:207]
	ds_store_b128 v169, v[204:207]
.LBB84_278:                             ;   in Loop: Header=BB84_3 Depth=1
	s_or_b32 exec_lo, exec_lo, s40
	s_wait_dscnt 0x0
	s_barrier_signal -1
	s_barrier_wait -1
	s_barrier_signal -1
	s_barrier_wait -1
	s_and_saveexec_b32 s40, s4
; %bb.279:                              ;   in Loop: Header=BB84_3 Depth=1
	s_delay_alu instid0(VALU_DEP_1) | instskip(NEXT) | instid1(VALU_DEP_4)
	v_xor_b32_e32 v21, 0x80000000, v21
	v_xor_b32_e32 v19, 0x80000000, v19
	ds_store_b128 v170, v[18:21] offset:256
; %bb.280:                              ;   in Loop: Header=BB84_3 Depth=1
	s_or_b32 exec_lo, exec_lo, s40
	s_wait_dscnt 0x0
	s_barrier_signal -1
	s_barrier_wait -1
	s_barrier_signal -1
	s_barrier_wait -1
	s_and_saveexec_b32 s40, s31
	s_cbranch_execz .LBB84_282
; %bb.281:                              ;   in Loop: Header=BB84_3 Depth=1
	ds_load_b128 v[18:21], v130
	s_wait_dscnt 0x0
	ds_store_b128 v113, v[18:21]
	ds_load_b128 v[18:21], v131
	s_wait_dscnt 0x0
	ds_store_b128 v114, v[18:21]
	;; [unrolled: 3-line block ×16, first 2 shown]
.LBB84_282:                             ;   in Loop: Header=BB84_3 Depth=1
	s_or_b32 exec_lo, exec_lo, s40
	s_wait_dscnt 0x0
	s_barrier_signal -1
	s_barrier_wait -1
	s_and_saveexec_b32 s40, s29
	s_cbranch_execz .LBB84_284
; %bb.283:                              ;   in Loop: Header=BB84_3 Depth=1
	ds_load_b128 v[18:21], v2 offset:8976
	ds_load_b128 v[22:25], v2 offset:8448
	s_wait_dscnt 0x0
	v_mul_f64_e32 v[4:5], v[18:19], v[24:25]
	v_mul_f64_e32 v[24:25], v[20:21], v[24:25]
	s_delay_alu instid0(VALU_DEP_2) | instskip(NEXT) | instid1(VALU_DEP_2)
	v_fmac_f64_e32 v[4:5], v[20:21], v[22:23]
	v_fma_f64 v[24:25], v[18:19], v[22:23], -v[24:25]
	ds_load_b128 v[18:21], v2 offset:8464
	s_wait_dscnt 0x0
	v_mul_f64_e32 v[204:205], v[4:5], v[20:21]
	v_mul_f64_e32 v[22:23], v[24:25], v[20:21]
	s_delay_alu instid0(VALU_DEP_2) | instskip(NEXT) | instid1(VALU_DEP_2)
	v_fma_f64 v[20:21], v[18:19], v[24:25], -v[204:205]
	v_fmac_f64_e32 v[22:23], v[18:19], v[4:5]
	ds_store_b128 v2, v[20:23] offset:8464
	ds_store_b128 v2, v[20:23] offset:8960
.LBB84_284:                             ;   in Loop: Header=BB84_3 Depth=1
	s_or_b32 exec_lo, exec_lo, s40
	v_mov_b64_e32 v[20:21], 0
	v_mov_b64_e32 v[18:19], 0
	s_wait_dscnt 0x0
	s_barrier_signal -1
	s_barrier_wait -1
	s_and_saveexec_b32 s40, s0
	s_cbranch_execz .LBB84_288
; %bb.285:                              ;   in Loop: Header=BB84_3 Depth=1
	ds_load_b128 v[18:21], v44 offset:8448
	ds_load_b128 v[22:25], v43 offset:8480
	s_wait_dscnt 0x0
	v_mul_f64_e32 v[4:5], v[20:21], v[24:25]
	v_mul_f64_e32 v[24:25], v[18:19], v[24:25]
	s_delay_alu instid0(VALU_DEP_2) | instskip(NEXT) | instid1(VALU_DEP_2)
	v_fma_f64 v[4:5], v[18:19], v[22:23], -v[4:5]
	v_fmac_f64_e32 v[24:25], v[20:21], v[22:23]
	s_delay_alu instid0(VALU_DEP_2) | instskip(NEXT) | instid1(VALU_DEP_2)
	v_add_f64_e32 v[18:19], 0, v[4:5]
	v_add_f64_e32 v[20:21], 0, v[24:25]
	s_and_saveexec_b32 s41, s10
	s_cbranch_execz .LBB84_287
; %bb.286:                              ;   in Loop: Header=BB84_3 Depth=1
	ds_load_b128 v[22:25], v2 offset:8464
	ds_load_b128 v[204:207], v45 offset:8992
	s_wait_dscnt 0x0
	v_mul_f64_e32 v[4:5], v[24:25], v[206:207]
	s_delay_alu instid0(VALU_DEP_1) | instskip(SKIP_1) | instid1(VALU_DEP_2)
	v_fma_f64 v[4:5], v[22:23], v[204:205], -v[4:5]
	v_mul_f64_e32 v[22:23], v[22:23], v[206:207]
	v_add_f64_e32 v[18:19], v[18:19], v[4:5]
	s_delay_alu instid0(VALU_DEP_2) | instskip(NEXT) | instid1(VALU_DEP_1)
	v_fmac_f64_e32 v[22:23], v[24:25], v[204:205]
	v_add_f64_e32 v[20:21], v[20:21], v[22:23]
.LBB84_287:                             ;   in Loop: Header=BB84_3 Depth=1
	s_or_b32 exec_lo, exec_lo, s41
	s_delay_alu instid0(VALU_DEP_2) | instskip(NEXT) | instid1(VALU_DEP_2)
	v_xor_b32_e32 v19, 0x80000000, v19
	v_xor_b32_e32 v21, 0x80000000, v21
.LBB84_288:                             ;   in Loop: Header=BB84_3 Depth=1
	s_or_b32 exec_lo, exec_lo, s40
	s_and_saveexec_b32 s40, s63
	s_cbranch_execz .LBB84_290
; %bb.289:                              ;   in Loop: Header=BB84_3 Depth=1
	ds_load_b128 v[22:25], v2 offset:9504
	s_wait_dscnt 0x0
	v_mul_f64_e32 v[4:5], v[20:21], v[24:25]
	v_mul_f64_e32 v[206:207], v[18:19], v[24:25]
	s_delay_alu instid0(VALU_DEP_2) | instskip(NEXT) | instid1(VALU_DEP_2)
	v_fma_f64 v[204:205], v[18:19], v[22:23], -v[4:5]
	v_fmac_f64_e32 v[206:207], v[20:21], v[22:23]
	s_delay_alu instid0(VALU_DEP_2) | instskip(NEXT) | instid1(VALU_DEP_2)
	v_mov_b64_e32 v[18:19], v[204:205]
	v_mov_b64_e32 v[20:21], v[206:207]
	ds_store_b128 v27, v[204:207]
.LBB84_290:                             ;   in Loop: Header=BB84_3 Depth=1
	s_or_b32 exec_lo, exec_lo, s40
	s_wait_dscnt 0x0
	s_barrier_signal -1
	s_barrier_wait -1
	s_and_saveexec_b32 s40, s64
	s_cbranch_execz .LBB84_292
; %bb.291:                              ;   in Loop: Header=BB84_3 Depth=1
	ds_load_b128 v[22:25], v27
	ds_load_b128 v[204:207], v2 offset:9520
	s_wait_dscnt 0x0
	v_mul_f64_e32 v[4:5], v[24:25], v[206:207]
	s_delay_alu instid0(VALU_DEP_1) | instskip(SKIP_1) | instid1(VALU_DEP_2)
	v_fma_f64 v[4:5], v[22:23], v[204:205], -v[4:5]
	v_mul_f64_e32 v[22:23], v[22:23], v[206:207]
	v_add_f64_e32 v[18:19], v[18:19], v[4:5]
	s_delay_alu instid0(VALU_DEP_2) | instskip(NEXT) | instid1(VALU_DEP_1)
	v_fmac_f64_e32 v[22:23], v[24:25], v[204:205]
	v_add_f64_e32 v[20:21], v[20:21], v[22:23]
.LBB84_292:                             ;   in Loop: Header=BB84_3 Depth=1
	s_or_b32 exec_lo, exec_lo, s40
	s_barrier_signal -1
	s_barrier_wait -1
	s_and_saveexec_b32 s40, s64
	s_cbranch_execz .LBB84_294
; %bb.293:                              ;   in Loop: Header=BB84_3 Depth=1
	ds_load_b128 v[22:25], v2 offset:10032
	s_wait_dscnt 0x0
	v_mul_f64_e32 v[4:5], v[20:21], v[24:25]
	v_mul_f64_e32 v[206:207], v[18:19], v[24:25]
	s_delay_alu instid0(VALU_DEP_2) | instskip(NEXT) | instid1(VALU_DEP_2)
	v_fma_f64 v[204:205], v[18:19], v[22:23], -v[4:5]
	v_fmac_f64_e32 v[206:207], v[20:21], v[22:23]
	s_delay_alu instid0(VALU_DEP_2) | instskip(NEXT) | instid1(VALU_DEP_2)
	v_mov_b64_e32 v[18:19], v[204:205]
	v_mov_b64_e32 v[20:21], v[206:207]
	ds_store_b128 v27, v[204:207]
.LBB84_294:                             ;   in Loop: Header=BB84_3 Depth=1
	s_or_b32 exec_lo, exec_lo, s40
	s_wait_dscnt 0x0
	s_barrier_signal -1
	s_barrier_wait -1
	s_barrier_signal -1
	s_barrier_wait -1
	s_and_saveexec_b32 s40, s0
; %bb.295:                              ;   in Loop: Header=BB84_3 Depth=1
	s_delay_alu instid0(VALU_DEP_3) | instskip(NEXT) | instid1(VALU_DEP_2)
	v_xor_b32_e32 v19, 0x80000000, v19
	v_xor_b32_e32 v21, 0x80000000, v21
	ds_store_b128 v43, v[18:21] offset:8480
; %bb.296:                              ;   in Loop: Header=BB84_3 Depth=1
	s_or_b32 exec_lo, exec_lo, s40
	s_wait_dscnt 0x0
	s_barrier_signal -1
	s_barrier_wait -1
	s_barrier_signal -1
	s_barrier_wait -1
	s_and_saveexec_b32 s40, s65
	s_cbranch_execz .LBB84_298
; %bb.297:                              ;   in Loop: Header=BB84_3 Depth=1
	ds_load_b128 v[18:21], v71
	s_wait_dscnt 0x0
	ds_store_b128 v171, v[18:21]
	ds_load_b128 v[18:21], v72
	s_wait_dscnt 0x0
	ds_store_b128 v172, v[18:21]
.LBB84_298:                             ;   in Loop: Header=BB84_3 Depth=1
	s_or_b32 exec_lo, exec_lo, s40
	s_wait_dscnt 0x0
	s_barrier_signal -1
	s_barrier_wait -1
	s_and_saveexec_b32 s40, s29
	s_cbranch_execz .LBB84_300
; %bb.299:                              ;   in Loop: Header=BB84_3 Depth=1
	ds_load_b128 v[18:21], v2 offset:10032
	ds_load_b128 v[22:25], v2 offset:9504
	s_wait_dscnt 0x0
	v_mul_f64_e32 v[4:5], v[18:19], v[24:25]
	v_mul_f64_e32 v[24:25], v[20:21], v[24:25]
	s_delay_alu instid0(VALU_DEP_2) | instskip(NEXT) | instid1(VALU_DEP_2)
	v_fmac_f64_e32 v[4:5], v[20:21], v[22:23]
	v_fma_f64 v[24:25], v[18:19], v[22:23], -v[24:25]
	ds_load_b128 v[18:21], v2 offset:9520
	s_wait_dscnt 0x0
	v_mul_f64_e32 v[204:205], v[4:5], v[20:21]
	v_mul_f64_e32 v[22:23], v[24:25], v[20:21]
	s_delay_alu instid0(VALU_DEP_2) | instskip(NEXT) | instid1(VALU_DEP_2)
	v_fma_f64 v[20:21], v[18:19], v[24:25], -v[204:205]
	v_fmac_f64_e32 v[22:23], v[18:19], v[4:5]
	ds_store_b128 v2, v[20:23] offset:9520
	ds_store_b128 v2, v[20:23] offset:10016
.LBB84_300:                             ;   in Loop: Header=BB84_3 Depth=1
	s_or_b32 exec_lo, exec_lo, s40
	v_mov_b64_e32 v[20:21], 0
	v_mov_b64_e32 v[18:19], 0
	s_wait_dscnt 0x0
	s_barrier_signal -1
	s_barrier_wait -1
	s_and_saveexec_b32 s40, s2
	s_cbranch_execz .LBB84_306
; %bb.301:                              ;   in Loop: Header=BB84_3 Depth=1
	ds_load_b128 v[18:21], v46 offset:8448
	ds_load_b128 v[22:25], v52 offset:8512
	s_wait_dscnt 0x0
	v_mul_f64_e32 v[4:5], v[20:21], v[24:25]
	v_mul_f64_e32 v[24:25], v[18:19], v[24:25]
	s_delay_alu instid0(VALU_DEP_2) | instskip(NEXT) | instid1(VALU_DEP_2)
	v_fma_f64 v[4:5], v[18:19], v[22:23], -v[4:5]
	v_fmac_f64_e32 v[24:25], v[20:21], v[22:23]
	s_delay_alu instid0(VALU_DEP_2) | instskip(NEXT) | instid1(VALU_DEP_2)
	v_add_f64_e32 v[18:19], 0, v[4:5]
	v_add_f64_e32 v[20:21], 0, v[24:25]
	s_and_saveexec_b32 s41, s11
	s_cbranch_execnz .LBB84_564
; %bb.302:                              ;   in Loop: Header=BB84_3 Depth=1
	s_or_b32 exec_lo, exec_lo, s41
	s_and_saveexec_b32 s41, s12
	s_cbranch_execnz .LBB84_565
.LBB84_303:                             ;   in Loop: Header=BB84_3 Depth=1
	s_or_b32 exec_lo, exec_lo, s41
	s_and_saveexec_b32 s41, s0
	s_cbranch_execz .LBB84_305
.LBB84_304:                             ;   in Loop: Header=BB84_3 Depth=1
	ds_load_b128 v[22:25], v2 offset:8496
	ds_load_b128 v[204:207], v50 offset:10048
	s_wait_dscnt 0x0
	v_mul_f64_e32 v[4:5], v[24:25], v[206:207]
	s_delay_alu instid0(VALU_DEP_1) | instskip(SKIP_1) | instid1(VALU_DEP_2)
	v_fma_f64 v[4:5], v[22:23], v[204:205], -v[4:5]
	v_mul_f64_e32 v[22:23], v[22:23], v[206:207]
	v_add_f64_e32 v[18:19], v[18:19], v[4:5]
	s_delay_alu instid0(VALU_DEP_2) | instskip(NEXT) | instid1(VALU_DEP_1)
	v_fmac_f64_e32 v[22:23], v[24:25], v[204:205]
	v_add_f64_e32 v[20:21], v[20:21], v[22:23]
.LBB84_305:                             ;   in Loop: Header=BB84_3 Depth=1
	s_or_b32 exec_lo, exec_lo, s41
	s_delay_alu instid0(VALU_DEP_2) | instskip(NEXT) | instid1(VALU_DEP_2)
	v_xor_b32_e32 v19, 0x80000000, v19
	v_xor_b32_e32 v21, 0x80000000, v21
.LBB84_306:                             ;   in Loop: Header=BB84_3 Depth=1
	s_or_b32 exec_lo, exec_lo, s40
	s_and_saveexec_b32 s40, s66
	s_cbranch_execz .LBB84_308
; %bb.307:                              ;   in Loop: Header=BB84_3 Depth=1
	ds_load_b128 v[22:25], v2 offset:10560
	s_wait_dscnt 0x0
	v_mul_f64_e32 v[4:5], v[20:21], v[24:25]
	v_mul_f64_e32 v[206:207], v[18:19], v[24:25]
	s_delay_alu instid0(VALU_DEP_2) | instskip(NEXT) | instid1(VALU_DEP_2)
	v_fma_f64 v[204:205], v[18:19], v[22:23], -v[4:5]
	v_fmac_f64_e32 v[206:207], v[20:21], v[22:23]
	s_delay_alu instid0(VALU_DEP_2) | instskip(NEXT) | instid1(VALU_DEP_2)
	v_mov_b64_e32 v[18:19], v[204:205]
	v_mov_b64_e32 v[20:21], v[206:207]
	ds_store_b128 v51, v[204:207]
.LBB84_308:                             ;   in Loop: Header=BB84_3 Depth=1
	s_or_b32 exec_lo, exec_lo, s40
	s_wait_dscnt 0x0
	s_barrier_signal -1
	s_barrier_wait -1
	s_and_saveexec_b32 s40, s67
	s_cbranch_execz .LBB84_310
; %bb.309:                              ;   in Loop: Header=BB84_3 Depth=1
	ds_load_b128 v[22:25], v51
	ds_load_b128 v[204:207], v49 offset:10560
	s_wait_dscnt 0x0
	v_mul_f64_e32 v[4:5], v[24:25], v[206:207]
	s_delay_alu instid0(VALU_DEP_1) | instskip(SKIP_1) | instid1(VALU_DEP_2)
	v_fma_f64 v[4:5], v[22:23], v[204:205], -v[4:5]
	v_mul_f64_e32 v[22:23], v[22:23], v[206:207]
	v_add_f64_e32 v[18:19], v[18:19], v[4:5]
	s_delay_alu instid0(VALU_DEP_2) | instskip(NEXT) | instid1(VALU_DEP_1)
	v_fmac_f64_e32 v[22:23], v[24:25], v[204:205]
	v_add_f64_e32 v[20:21], v[20:21], v[22:23]
.LBB84_310:                             ;   in Loop: Header=BB84_3 Depth=1
	s_or_b32 exec_lo, exec_lo, s40
	s_barrier_signal -1
	s_barrier_wait -1
	s_and_saveexec_b32 s40, s68
	s_cbranch_execz .LBB84_312
; %bb.311:                              ;   in Loop: Header=BB84_3 Depth=1
	ds_load_b128 v[22:25], v2 offset:11088
	s_wait_dscnt 0x0
	v_mul_f64_e32 v[4:5], v[20:21], v[24:25]
	v_mul_f64_e32 v[206:207], v[18:19], v[24:25]
	s_delay_alu instid0(VALU_DEP_2) | instskip(NEXT) | instid1(VALU_DEP_2)
	v_fma_f64 v[204:205], v[18:19], v[22:23], -v[4:5]
	v_fmac_f64_e32 v[206:207], v[20:21], v[22:23]
	s_delay_alu instid0(VALU_DEP_2) | instskip(NEXT) | instid1(VALU_DEP_2)
	v_mov_b64_e32 v[18:19], v[204:205]
	v_mov_b64_e32 v[20:21], v[206:207]
	ds_store_b128 v51, v[204:207]
.LBB84_312:                             ;   in Loop: Header=BB84_3 Depth=1
	s_or_b32 exec_lo, exec_lo, s40
	s_wait_dscnt 0x0
	s_barrier_signal -1
	s_barrier_wait -1
	s_and_saveexec_b32 s40, s69
	s_cbranch_execz .LBB84_314
; %bb.313:                              ;   in Loop: Header=BB84_3 Depth=1
	ds_load_b128 v[22:25], v51
	ds_load_b128 v[204:207], v49 offset:11072
	s_wait_dscnt 0x0
	v_mul_f64_e32 v[4:5], v[24:25], v[206:207]
	s_delay_alu instid0(VALU_DEP_1) | instskip(SKIP_1) | instid1(VALU_DEP_2)
	v_fma_f64 v[4:5], v[22:23], v[204:205], -v[4:5]
	v_mul_f64_e32 v[22:23], v[22:23], v[206:207]
	v_add_f64_e32 v[18:19], v[18:19], v[4:5]
	s_delay_alu instid0(VALU_DEP_2) | instskip(NEXT) | instid1(VALU_DEP_1)
	v_fmac_f64_e32 v[22:23], v[24:25], v[204:205]
	v_add_f64_e32 v[20:21], v[20:21], v[22:23]
.LBB84_314:                             ;   in Loop: Header=BB84_3 Depth=1
	s_or_b32 exec_lo, exec_lo, s40
	s_barrier_signal -1
	s_barrier_wait -1
	;; [unrolled: 37-line block ×3, first 2 shown]
	s_and_saveexec_b32 s40, s71
	s_cbranch_execz .LBB84_320
; %bb.319:                              ;   in Loop: Header=BB84_3 Depth=1
	ds_load_b128 v[22:25], v2 offset:12144
	s_wait_dscnt 0x0
	v_mul_f64_e32 v[4:5], v[20:21], v[24:25]
	v_mul_f64_e32 v[206:207], v[18:19], v[24:25]
	s_delay_alu instid0(VALU_DEP_2) | instskip(NEXT) | instid1(VALU_DEP_2)
	v_fma_f64 v[204:205], v[18:19], v[22:23], -v[4:5]
	v_fmac_f64_e32 v[206:207], v[20:21], v[22:23]
	s_delay_alu instid0(VALU_DEP_2) | instskip(NEXT) | instid1(VALU_DEP_2)
	v_mov_b64_e32 v[18:19], v[204:205]
	v_mov_b64_e32 v[20:21], v[206:207]
	ds_store_b128 v51, v[204:207]
.LBB84_320:                             ;   in Loop: Header=BB84_3 Depth=1
	s_or_b32 exec_lo, exec_lo, s40
	s_wait_dscnt 0x0
	s_barrier_signal -1
	s_barrier_wait -1
	s_barrier_signal -1
	s_barrier_wait -1
	s_and_saveexec_b32 s40, s2
; %bb.321:                              ;   in Loop: Header=BB84_3 Depth=1
	s_delay_alu instid0(VALU_DEP_1) | instskip(NEXT) | instid1(VALU_DEP_4)
	v_xor_b32_e32 v21, 0x80000000, v21
	v_xor_b32_e32 v19, 0x80000000, v19
	ds_store_b128 v52, v[18:21] offset:8512
; %bb.322:                              ;   in Loop: Header=BB84_3 Depth=1
	s_or_b32 exec_lo, exec_lo, s40
	s_wait_dscnt 0x0
	s_barrier_signal -1
	s_barrier_wait -1
	s_barrier_signal -1
	s_barrier_wait -1
	s_and_saveexec_b32 s40, s72
	s_cbranch_execz .LBB84_324
; %bb.323:                              ;   in Loop: Header=BB84_3 Depth=1
	ds_load_b128 v[18:21], v86
	s_wait_dscnt 0x0
	ds_store_b128 v173, v[18:21]
	ds_load_b128 v[18:21], v89
	s_wait_dscnt 0x0
	ds_store_b128 v176, v[18:21]
	;; [unrolled: 3-line block ×4, first 2 shown]
.LBB84_324:                             ;   in Loop: Header=BB84_3 Depth=1
	s_or_b32 exec_lo, exec_lo, s40
	s_wait_dscnt 0x0
	s_barrier_signal -1
	s_barrier_wait -1
	s_and_saveexec_b32 s40, s29
	s_cbranch_execz .LBB84_326
; %bb.325:                              ;   in Loop: Header=BB84_3 Depth=1
	ds_load_b128 v[18:21], v2 offset:11088
	ds_load_b128 v[22:25], v2 offset:10560
	s_wait_dscnt 0x0
	v_mul_f64_e32 v[4:5], v[18:19], v[24:25]
	v_mul_f64_e32 v[24:25], v[20:21], v[24:25]
	s_delay_alu instid0(VALU_DEP_2) | instskip(NEXT) | instid1(VALU_DEP_2)
	v_fmac_f64_e32 v[4:5], v[20:21], v[22:23]
	v_fma_f64 v[24:25], v[18:19], v[22:23], -v[24:25]
	ds_load_b128 v[18:21], v2 offset:10576
	s_wait_dscnt 0x0
	v_mul_f64_e32 v[204:205], v[4:5], v[20:21]
	v_mul_f64_e32 v[22:23], v[24:25], v[20:21]
	s_delay_alu instid0(VALU_DEP_2) | instskip(NEXT) | instid1(VALU_DEP_2)
	v_fma_f64 v[20:21], v[18:19], v[24:25], -v[204:205]
	v_fmac_f64_e32 v[22:23], v[18:19], v[4:5]
	ds_store_b128 v2, v[20:23] offset:10576
	ds_store_b128 v2, v[20:23] offset:11072
.LBB84_326:                             ;   in Loop: Header=BB84_3 Depth=1
	s_or_b32 exec_lo, exec_lo, s40
	v_mov_b64_e32 v[20:21], 0
	v_mov_b64_e32 v[18:19], 0
	s_wait_dscnt 0x0
	s_barrier_signal -1
	s_barrier_wait -1
	s_and_saveexec_b32 s40, s0
	s_cbranch_execz .LBB84_330
; %bb.327:                              ;   in Loop: Header=BB84_3 Depth=1
	ds_load_b128 v[18:21], v44 offset:10560
	ds_load_b128 v[22:25], v43 offset:10592
	s_wait_dscnt 0x0
	v_mul_f64_e32 v[4:5], v[20:21], v[24:25]
	v_mul_f64_e32 v[24:25], v[18:19], v[24:25]
	s_delay_alu instid0(VALU_DEP_2) | instskip(NEXT) | instid1(VALU_DEP_2)
	v_fma_f64 v[4:5], v[18:19], v[22:23], -v[4:5]
	v_fmac_f64_e32 v[24:25], v[20:21], v[22:23]
	s_delay_alu instid0(VALU_DEP_2) | instskip(NEXT) | instid1(VALU_DEP_2)
	v_add_f64_e32 v[18:19], 0, v[4:5]
	v_add_f64_e32 v[20:21], 0, v[24:25]
	s_and_saveexec_b32 s41, s10
	s_cbranch_execz .LBB84_329
; %bb.328:                              ;   in Loop: Header=BB84_3 Depth=1
	ds_load_b128 v[22:25], v2 offset:10576
	ds_load_b128 v[204:207], v83 offset:11104
	s_wait_dscnt 0x0
	v_mul_f64_e32 v[4:5], v[24:25], v[206:207]
	s_delay_alu instid0(VALU_DEP_1) | instskip(SKIP_1) | instid1(VALU_DEP_2)
	v_fma_f64 v[4:5], v[22:23], v[204:205], -v[4:5]
	v_mul_f64_e32 v[22:23], v[22:23], v[206:207]
	v_add_f64_e32 v[18:19], v[18:19], v[4:5]
	s_delay_alu instid0(VALU_DEP_2) | instskip(NEXT) | instid1(VALU_DEP_1)
	v_fmac_f64_e32 v[22:23], v[24:25], v[204:205]
	v_add_f64_e32 v[20:21], v[20:21], v[22:23]
.LBB84_329:                             ;   in Loop: Header=BB84_3 Depth=1
	s_or_b32 exec_lo, exec_lo, s41
	s_delay_alu instid0(VALU_DEP_2) | instskip(NEXT) | instid1(VALU_DEP_2)
	v_xor_b32_e32 v19, 0x80000000, v19
	v_xor_b32_e32 v21, 0x80000000, v21
.LBB84_330:                             ;   in Loop: Header=BB84_3 Depth=1
	s_or_b32 exec_lo, exec_lo, s40
	s_and_saveexec_b32 s40, s63
	s_cbranch_execz .LBB84_332
; %bb.331:                              ;   in Loop: Header=BB84_3 Depth=1
	ds_load_b128 v[22:25], v2 offset:11616
	s_wait_dscnt 0x0
	v_mul_f64_e32 v[4:5], v[20:21], v[24:25]
	v_mul_f64_e32 v[206:207], v[18:19], v[24:25]
	s_delay_alu instid0(VALU_DEP_2) | instskip(NEXT) | instid1(VALU_DEP_2)
	v_fma_f64 v[204:205], v[18:19], v[22:23], -v[4:5]
	v_fmac_f64_e32 v[206:207], v[20:21], v[22:23]
	s_delay_alu instid0(VALU_DEP_2) | instskip(NEXT) | instid1(VALU_DEP_2)
	v_mov_b64_e32 v[18:19], v[204:205]
	v_mov_b64_e32 v[20:21], v[206:207]
	ds_store_b128 v27, v[204:207]
.LBB84_332:                             ;   in Loop: Header=BB84_3 Depth=1
	s_or_b32 exec_lo, exec_lo, s40
	s_wait_dscnt 0x0
	s_barrier_signal -1
	s_barrier_wait -1
	s_and_saveexec_b32 s40, s64
	s_cbranch_execz .LBB84_334
; %bb.333:                              ;   in Loop: Header=BB84_3 Depth=1
	ds_load_b128 v[22:25], v27
	ds_load_b128 v[204:207], v2 offset:11632
	s_wait_dscnt 0x0
	v_mul_f64_e32 v[4:5], v[24:25], v[206:207]
	s_delay_alu instid0(VALU_DEP_1) | instskip(SKIP_1) | instid1(VALU_DEP_2)
	v_fma_f64 v[4:5], v[22:23], v[204:205], -v[4:5]
	v_mul_f64_e32 v[22:23], v[22:23], v[206:207]
	v_add_f64_e32 v[18:19], v[18:19], v[4:5]
	s_delay_alu instid0(VALU_DEP_2) | instskip(NEXT) | instid1(VALU_DEP_1)
	v_fmac_f64_e32 v[22:23], v[24:25], v[204:205]
	v_add_f64_e32 v[20:21], v[20:21], v[22:23]
.LBB84_334:                             ;   in Loop: Header=BB84_3 Depth=1
	s_or_b32 exec_lo, exec_lo, s40
	s_barrier_signal -1
	s_barrier_wait -1
	s_and_saveexec_b32 s40, s64
	s_cbranch_execz .LBB84_336
; %bb.335:                              ;   in Loop: Header=BB84_3 Depth=1
	ds_load_b128 v[22:25], v2 offset:12144
	s_wait_dscnt 0x0
	v_mul_f64_e32 v[4:5], v[20:21], v[24:25]
	v_mul_f64_e32 v[206:207], v[18:19], v[24:25]
	s_delay_alu instid0(VALU_DEP_2) | instskip(NEXT) | instid1(VALU_DEP_2)
	v_fma_f64 v[204:205], v[18:19], v[22:23], -v[4:5]
	v_fmac_f64_e32 v[206:207], v[20:21], v[22:23]
	s_delay_alu instid0(VALU_DEP_2) | instskip(NEXT) | instid1(VALU_DEP_2)
	v_mov_b64_e32 v[18:19], v[204:205]
	v_mov_b64_e32 v[20:21], v[206:207]
	ds_store_b128 v27, v[204:207]
.LBB84_336:                             ;   in Loop: Header=BB84_3 Depth=1
	s_or_b32 exec_lo, exec_lo, s40
	s_wait_dscnt 0x0
	s_barrier_signal -1
	s_barrier_wait -1
	s_barrier_signal -1
	s_barrier_wait -1
	s_and_saveexec_b32 s40, s0
; %bb.337:                              ;   in Loop: Header=BB84_3 Depth=1
	s_delay_alu instid0(VALU_DEP_3) | instskip(NEXT) | instid1(VALU_DEP_2)
	v_xor_b32_e32 v19, 0x80000000, v19
	v_xor_b32_e32 v21, 0x80000000, v21
	ds_store_b128 v43, v[18:21] offset:10592
; %bb.338:                              ;   in Loop: Header=BB84_3 Depth=1
	s_or_b32 exec_lo, exec_lo, s40
	s_wait_dscnt 0x0
	s_barrier_signal -1
	s_barrier_wait -1
	s_barrier_signal -1
	s_barrier_wait -1
	s_and_saveexec_b32 s40, s65
	s_cbranch_execz .LBB84_340
; %bb.339:                              ;   in Loop: Header=BB84_3 Depth=1
	ds_load_b128 v[18:21], v99
	s_wait_dscnt 0x0
	ds_store_b128 v177, v[18:21]
	ds_load_b128 v[18:21], v100
	s_wait_dscnt 0x0
	ds_store_b128 v178, v[18:21]
.LBB84_340:                             ;   in Loop: Header=BB84_3 Depth=1
	s_or_b32 exec_lo, exec_lo, s40
	s_wait_dscnt 0x0
	s_barrier_signal -1
	s_barrier_wait -1
	s_and_saveexec_b32 s40, s29
	s_cbranch_execz .LBB84_342
; %bb.341:                              ;   in Loop: Header=BB84_3 Depth=1
	ds_load_b128 v[18:21], v2 offset:12144
	ds_load_b128 v[22:25], v2 offset:11616
	s_wait_dscnt 0x0
	v_mul_f64_e32 v[4:5], v[18:19], v[24:25]
	v_mul_f64_e32 v[24:25], v[20:21], v[24:25]
	s_delay_alu instid0(VALU_DEP_2) | instskip(NEXT) | instid1(VALU_DEP_2)
	v_fmac_f64_e32 v[4:5], v[20:21], v[22:23]
	v_fma_f64 v[24:25], v[18:19], v[22:23], -v[24:25]
	ds_load_b128 v[18:21], v2 offset:11632
	s_wait_dscnt 0x0
	v_mul_f64_e32 v[204:205], v[4:5], v[20:21]
	v_mul_f64_e32 v[22:23], v[24:25], v[20:21]
	s_delay_alu instid0(VALU_DEP_2) | instskip(NEXT) | instid1(VALU_DEP_2)
	v_fma_f64 v[20:21], v[18:19], v[24:25], -v[204:205]
	v_fmac_f64_e32 v[22:23], v[18:19], v[4:5]
	ds_store_b128 v2, v[20:23] offset:11632
	ds_store_b128 v2, v[20:23] offset:12128
.LBB84_342:                             ;   in Loop: Header=BB84_3 Depth=1
	s_or_b32 exec_lo, exec_lo, s40
	v_mov_b64_e32 v[20:21], 0
	v_mov_b64_e32 v[18:19], 0
	s_wait_dscnt 0x0
	s_barrier_signal -1
	s_barrier_wait -1
	s_and_saveexec_b32 s40, s3
	s_cbranch_execz .LBB84_352
; %bb.343:                              ;   in Loop: Header=BB84_3 Depth=1
	ds_load_b128 v[18:21], v54 offset:8448
	ds_load_b128 v[22:25], v59 offset:8576
	s_wait_dscnt 0x0
	v_mul_f64_e32 v[4:5], v[20:21], v[24:25]
	v_mul_f64_e32 v[24:25], v[18:19], v[24:25]
	s_delay_alu instid0(VALU_DEP_2) | instskip(NEXT) | instid1(VALU_DEP_2)
	v_fma_f64 v[4:5], v[18:19], v[22:23], -v[4:5]
	v_fmac_f64_e32 v[24:25], v[20:21], v[22:23]
	s_delay_alu instid0(VALU_DEP_2) | instskip(NEXT) | instid1(VALU_DEP_2)
	v_add_f64_e32 v[18:19], 0, v[4:5]
	v_add_f64_e32 v[20:21], 0, v[24:25]
	s_and_saveexec_b32 s41, s13
	s_cbranch_execnz .LBB84_566
; %bb.344:                              ;   in Loop: Header=BB84_3 Depth=1
	s_or_b32 exec_lo, exec_lo, s41
	s_and_saveexec_b32 s41, s14
	s_cbranch_execnz .LBB84_567
.LBB84_345:                             ;   in Loop: Header=BB84_3 Depth=1
	s_or_b32 exec_lo, exec_lo, s41
	s_and_saveexec_b32 s41, s15
	s_cbranch_execnz .LBB84_568
.LBB84_346:                             ;   in Loop: Header=BB84_3 Depth=1
	s_or_b32 exec_lo, exec_lo, s41
	s_and_saveexec_b32 s41, s16
	s_cbranch_execnz .LBB84_569
.LBB84_347:                             ;   in Loop: Header=BB84_3 Depth=1
	s_or_b32 exec_lo, exec_lo, s41
	s_and_saveexec_b32 s41, s17
	s_cbranch_execnz .LBB84_570
.LBB84_348:                             ;   in Loop: Header=BB84_3 Depth=1
	s_or_b32 exec_lo, exec_lo, s41
	s_and_saveexec_b32 s41, s2
	s_cbranch_execnz .LBB84_571
.LBB84_349:                             ;   in Loop: Header=BB84_3 Depth=1
	s_or_b32 exec_lo, exec_lo, s41
	s_and_saveexec_b32 s41, s12
	s_cbranch_execz .LBB84_351
.LBB84_350:                             ;   in Loop: Header=BB84_3 Depth=1
	ds_load_b128 v[22:25], v2 offset:8560
	ds_load_b128 v[204:207], v45 offset:12160
	s_wait_dscnt 0x0
	v_mul_f64_e32 v[4:5], v[24:25], v[206:207]
	s_delay_alu instid0(VALU_DEP_1) | instskip(SKIP_1) | instid1(VALU_DEP_2)
	v_fma_f64 v[4:5], v[22:23], v[204:205], -v[4:5]
	v_mul_f64_e32 v[22:23], v[22:23], v[206:207]
	v_add_f64_e32 v[18:19], v[18:19], v[4:5]
	s_delay_alu instid0(VALU_DEP_2) | instskip(NEXT) | instid1(VALU_DEP_1)
	v_fmac_f64_e32 v[22:23], v[24:25], v[204:205]
	v_add_f64_e32 v[20:21], v[20:21], v[22:23]
.LBB84_351:                             ;   in Loop: Header=BB84_3 Depth=1
	s_or_b32 exec_lo, exec_lo, s41
	s_delay_alu instid0(VALU_DEP_2) | instskip(NEXT) | instid1(VALU_DEP_2)
	v_xor_b32_e32 v19, 0x80000000, v19
	v_xor_b32_e32 v21, 0x80000000, v21
.LBB84_352:                             ;   in Loop: Header=BB84_3 Depth=1
	s_or_b32 exec_lo, exec_lo, s40
	s_and_saveexec_b32 s40, s73
	s_cbranch_execz .LBB84_354
; %bb.353:                              ;   in Loop: Header=BB84_3 Depth=1
	ds_load_b128 v[22:25], v2 offset:12672
	s_wait_dscnt 0x0
	v_mul_f64_e32 v[4:5], v[20:21], v[24:25]
	v_mul_f64_e32 v[206:207], v[18:19], v[24:25]
	s_delay_alu instid0(VALU_DEP_2) | instskip(NEXT) | instid1(VALU_DEP_2)
	v_fma_f64 v[204:205], v[18:19], v[22:23], -v[4:5]
	v_fmac_f64_e32 v[206:207], v[20:21], v[22:23]
	s_delay_alu instid0(VALU_DEP_2) | instskip(NEXT) | instid1(VALU_DEP_2)
	v_mov_b64_e32 v[18:19], v[204:205]
	v_mov_b64_e32 v[20:21], v[206:207]
	ds_store_b128 v58, v[204:207]
.LBB84_354:                             ;   in Loop: Header=BB84_3 Depth=1
	s_or_b32 exec_lo, exec_lo, s40
	s_wait_dscnt 0x0
	s_barrier_signal -1
	s_barrier_wait -1
	s_and_saveexec_b32 s40, s74
	s_cbranch_execz .LBB84_356
; %bb.355:                              ;   in Loop: Header=BB84_3 Depth=1
	ds_load_b128 v[22:25], v58
	ds_load_b128 v[204:207], v56 offset:12672
	s_wait_dscnt 0x0
	v_mul_f64_e32 v[4:5], v[24:25], v[206:207]
	s_delay_alu instid0(VALU_DEP_1) | instskip(SKIP_1) | instid1(VALU_DEP_2)
	v_fma_f64 v[4:5], v[22:23], v[204:205], -v[4:5]
	v_mul_f64_e32 v[22:23], v[22:23], v[206:207]
	v_add_f64_e32 v[18:19], v[18:19], v[4:5]
	s_delay_alu instid0(VALU_DEP_2) | instskip(NEXT) | instid1(VALU_DEP_1)
	v_fmac_f64_e32 v[22:23], v[24:25], v[204:205]
	v_add_f64_e32 v[20:21], v[20:21], v[22:23]
.LBB84_356:                             ;   in Loop: Header=BB84_3 Depth=1
	s_or_b32 exec_lo, exec_lo, s40
	s_barrier_signal -1
	s_barrier_wait -1
	s_and_saveexec_b32 s40, s75
	s_cbranch_execz .LBB84_358
; %bb.357:                              ;   in Loop: Header=BB84_3 Depth=1
	ds_load_b128 v[22:25], v2 offset:13200
	s_wait_dscnt 0x0
	v_mul_f64_e32 v[4:5], v[20:21], v[24:25]
	v_mul_f64_e32 v[206:207], v[18:19], v[24:25]
	s_delay_alu instid0(VALU_DEP_2) | instskip(NEXT) | instid1(VALU_DEP_2)
	v_fma_f64 v[204:205], v[18:19], v[22:23], -v[4:5]
	v_fmac_f64_e32 v[206:207], v[20:21], v[22:23]
	s_delay_alu instid0(VALU_DEP_2) | instskip(NEXT) | instid1(VALU_DEP_2)
	v_mov_b64_e32 v[18:19], v[204:205]
	v_mov_b64_e32 v[20:21], v[206:207]
	ds_store_b128 v58, v[204:207]
.LBB84_358:                             ;   in Loop: Header=BB84_3 Depth=1
	s_or_b32 exec_lo, exec_lo, s40
	s_wait_dscnt 0x0
	s_barrier_signal -1
	s_barrier_wait -1
	s_and_saveexec_b32 s40, s76
	s_cbranch_execz .LBB84_360
; %bb.359:                              ;   in Loop: Header=BB84_3 Depth=1
	ds_load_b128 v[22:25], v58
	ds_load_b128 v[204:207], v56 offset:13184
	s_wait_dscnt 0x0
	v_mul_f64_e32 v[4:5], v[24:25], v[206:207]
	s_delay_alu instid0(VALU_DEP_1) | instskip(SKIP_1) | instid1(VALU_DEP_2)
	v_fma_f64 v[4:5], v[22:23], v[204:205], -v[4:5]
	v_mul_f64_e32 v[22:23], v[22:23], v[206:207]
	v_add_f64_e32 v[18:19], v[18:19], v[4:5]
	s_delay_alu instid0(VALU_DEP_2) | instskip(NEXT) | instid1(VALU_DEP_1)
	v_fmac_f64_e32 v[22:23], v[24:25], v[204:205]
	v_add_f64_e32 v[20:21], v[20:21], v[22:23]
.LBB84_360:                             ;   in Loop: Header=BB84_3 Depth=1
	s_or_b32 exec_lo, exec_lo, s40
	s_barrier_signal -1
	s_barrier_wait -1
	;; [unrolled: 37-line block ×7, first 2 shown]
	s_and_saveexec_b32 s40, s86
	s_cbranch_execz .LBB84_382
; %bb.381:                              ;   in Loop: Header=BB84_3 Depth=1
	ds_load_b128 v[22:25], v2 offset:16368
	s_wait_dscnt 0x0
	v_mul_f64_e32 v[4:5], v[20:21], v[24:25]
	v_mul_f64_e32 v[206:207], v[18:19], v[24:25]
	s_delay_alu instid0(VALU_DEP_2) | instskip(NEXT) | instid1(VALU_DEP_2)
	v_fma_f64 v[204:205], v[18:19], v[22:23], -v[4:5]
	v_fmac_f64_e32 v[206:207], v[20:21], v[22:23]
	s_delay_alu instid0(VALU_DEP_2) | instskip(NEXT) | instid1(VALU_DEP_2)
	v_mov_b64_e32 v[18:19], v[204:205]
	v_mov_b64_e32 v[20:21], v[206:207]
	ds_store_b128 v58, v[204:207]
.LBB84_382:                             ;   in Loop: Header=BB84_3 Depth=1
	s_or_b32 exec_lo, exec_lo, s40
	s_wait_dscnt 0x0
	s_barrier_signal -1
	s_barrier_wait -1
	s_barrier_signal -1
	s_barrier_wait -1
	s_and_saveexec_b32 s40, s3
; %bb.383:                              ;   in Loop: Header=BB84_3 Depth=1
	s_delay_alu instid0(VALU_DEP_3) | instskip(NEXT) | instid1(VALU_DEP_2)
	v_xor_b32_e32 v19, 0x80000000, v19
	v_xor_b32_e32 v21, 0x80000000, v21
	ds_store_b128 v59, v[18:21] offset:8576
; %bb.384:                              ;   in Loop: Header=BB84_3 Depth=1
	s_or_b32 exec_lo, exec_lo, s40
	s_wait_dscnt 0x0
	s_barrier_signal -1
	s_barrier_wait -1
	s_barrier_signal -1
	s_barrier_wait -1
	s_and_saveexec_b32 s40, s87
	s_cbranch_execz .LBB84_386
; %bb.385:                              ;   in Loop: Header=BB84_3 Depth=1
	ds_load_b128 v[18:21], v73
	s_wait_dscnt 0x0
	ds_store_b128 v179, v[18:21]
	ds_load_b128 v[18:21], v74
	s_wait_dscnt 0x0
	ds_store_b128 v180, v[18:21]
	ds_load_b128 v[18:21], v75
	s_wait_dscnt 0x0
	ds_store_b128 v181, v[18:21]
	ds_load_b128 v[18:21], v76
	s_wait_dscnt 0x0
	ds_store_b128 v182, v[18:21]
	ds_load_b128 v[18:21], v77
	s_wait_dscnt 0x0
	ds_store_b128 v183, v[18:21]
	ds_load_b128 v[18:21], v78
	s_wait_dscnt 0x0
	ds_store_b128 v184, v[18:21]
	ds_load_b128 v[18:21], v79
	s_wait_dscnt 0x0
	ds_store_b128 v185, v[18:21]
	ds_load_b128 v[18:21], v80
	s_wait_dscnt 0x0
	ds_store_b128 v186, v[18:21]
.LBB84_386:                             ;   in Loop: Header=BB84_3 Depth=1
	s_or_b32 exec_lo, exec_lo, s40
	s_wait_dscnt 0x0
	s_barrier_signal -1
	s_barrier_wait -1
	s_and_saveexec_b32 s40, s29
	s_cbranch_execz .LBB84_388
; %bb.387:                              ;   in Loop: Header=BB84_3 Depth=1
	ds_load_b128 v[18:21], v2 offset:13200
	ds_load_b128 v[22:25], v2 offset:12672
	s_wait_dscnt 0x0
	v_mul_f64_e32 v[4:5], v[18:19], v[24:25]
	v_mul_f64_e32 v[24:25], v[20:21], v[24:25]
	s_delay_alu instid0(VALU_DEP_2) | instskip(NEXT) | instid1(VALU_DEP_2)
	v_fmac_f64_e32 v[4:5], v[20:21], v[22:23]
	v_fma_f64 v[24:25], v[18:19], v[22:23], -v[24:25]
	ds_load_b128 v[18:21], v2 offset:12688
	s_wait_dscnt 0x0
	v_mul_f64_e32 v[204:205], v[4:5], v[20:21]
	v_mul_f64_e32 v[22:23], v[24:25], v[20:21]
	s_delay_alu instid0(VALU_DEP_2) | instskip(NEXT) | instid1(VALU_DEP_2)
	v_fma_f64 v[20:21], v[18:19], v[24:25], -v[204:205]
	v_fmac_f64_e32 v[22:23], v[18:19], v[4:5]
	ds_store_b128 v2, v[20:23] offset:12688
	ds_store_b128 v2, v[20:23] offset:13184
.LBB84_388:                             ;   in Loop: Header=BB84_3 Depth=1
	s_or_b32 exec_lo, exec_lo, s40
	v_mov_b64_e32 v[20:21], 0
	v_mov_b64_e32 v[18:19], 0
	s_wait_dscnt 0x0
	s_barrier_signal -1
	s_barrier_wait -1
	s_and_saveexec_b32 s40, s0
	s_cbranch_execz .LBB84_392
; %bb.389:                              ;   in Loop: Header=BB84_3 Depth=1
	ds_load_b128 v[18:21], v44 offset:12672
	ds_load_b128 v[22:25], v43 offset:12704
	s_wait_dscnt 0x0
	v_mul_f64_e32 v[4:5], v[20:21], v[24:25]
	v_mul_f64_e32 v[24:25], v[18:19], v[24:25]
	s_delay_alu instid0(VALU_DEP_2) | instskip(NEXT) | instid1(VALU_DEP_2)
	v_fma_f64 v[4:5], v[18:19], v[22:23], -v[4:5]
	v_fmac_f64_e32 v[24:25], v[20:21], v[22:23]
	s_delay_alu instid0(VALU_DEP_2) | instskip(NEXT) | instid1(VALU_DEP_2)
	v_add_f64_e32 v[18:19], 0, v[4:5]
	v_add_f64_e32 v[20:21], 0, v[24:25]
	s_and_saveexec_b32 s41, s10
	s_cbranch_execz .LBB84_391
; %bb.390:                              ;   in Loop: Header=BB84_3 Depth=1
	ds_load_b128 v[22:25], v2 offset:12688
	ds_load_b128 v[204:207], v50 offset:13216
	s_wait_dscnt 0x0
	v_mul_f64_e32 v[4:5], v[24:25], v[206:207]
	s_delay_alu instid0(VALU_DEP_1) | instskip(SKIP_1) | instid1(VALU_DEP_2)
	v_fma_f64 v[4:5], v[22:23], v[204:205], -v[4:5]
	v_mul_f64_e32 v[22:23], v[22:23], v[206:207]
	v_add_f64_e32 v[18:19], v[18:19], v[4:5]
	s_delay_alu instid0(VALU_DEP_2) | instskip(NEXT) | instid1(VALU_DEP_1)
	v_fmac_f64_e32 v[22:23], v[24:25], v[204:205]
	v_add_f64_e32 v[20:21], v[20:21], v[22:23]
.LBB84_391:                             ;   in Loop: Header=BB84_3 Depth=1
	s_or_b32 exec_lo, exec_lo, s41
	s_delay_alu instid0(VALU_DEP_2) | instskip(NEXT) | instid1(VALU_DEP_2)
	v_xor_b32_e32 v19, 0x80000000, v19
	v_xor_b32_e32 v21, 0x80000000, v21
.LBB84_392:                             ;   in Loop: Header=BB84_3 Depth=1
	s_or_b32 exec_lo, exec_lo, s40
	s_and_saveexec_b32 s40, s63
	s_cbranch_execz .LBB84_394
; %bb.393:                              ;   in Loop: Header=BB84_3 Depth=1
	ds_load_b128 v[22:25], v2 offset:13728
	s_wait_dscnt 0x0
	v_mul_f64_e32 v[4:5], v[20:21], v[24:25]
	v_mul_f64_e32 v[206:207], v[18:19], v[24:25]
	s_delay_alu instid0(VALU_DEP_2) | instskip(NEXT) | instid1(VALU_DEP_2)
	v_fma_f64 v[204:205], v[18:19], v[22:23], -v[4:5]
	v_fmac_f64_e32 v[206:207], v[20:21], v[22:23]
	s_delay_alu instid0(VALU_DEP_2) | instskip(NEXT) | instid1(VALU_DEP_2)
	v_mov_b64_e32 v[18:19], v[204:205]
	v_mov_b64_e32 v[20:21], v[206:207]
	ds_store_b128 v27, v[204:207]
.LBB84_394:                             ;   in Loop: Header=BB84_3 Depth=1
	s_or_b32 exec_lo, exec_lo, s40
	s_wait_dscnt 0x0
	s_barrier_signal -1
	s_barrier_wait -1
	s_and_saveexec_b32 s40, s64
	s_cbranch_execz .LBB84_396
; %bb.395:                              ;   in Loop: Header=BB84_3 Depth=1
	ds_load_b128 v[22:25], v27
	ds_load_b128 v[204:207], v2 offset:13744
	s_wait_dscnt 0x0
	v_mul_f64_e32 v[4:5], v[24:25], v[206:207]
	s_delay_alu instid0(VALU_DEP_1) | instskip(SKIP_1) | instid1(VALU_DEP_2)
	v_fma_f64 v[4:5], v[22:23], v[204:205], -v[4:5]
	v_mul_f64_e32 v[22:23], v[22:23], v[206:207]
	v_add_f64_e32 v[18:19], v[18:19], v[4:5]
	s_delay_alu instid0(VALU_DEP_2) | instskip(NEXT) | instid1(VALU_DEP_1)
	v_fmac_f64_e32 v[22:23], v[24:25], v[204:205]
	v_add_f64_e32 v[20:21], v[20:21], v[22:23]
.LBB84_396:                             ;   in Loop: Header=BB84_3 Depth=1
	s_or_b32 exec_lo, exec_lo, s40
	s_barrier_signal -1
	s_barrier_wait -1
	s_and_saveexec_b32 s40, s64
	s_cbranch_execz .LBB84_398
; %bb.397:                              ;   in Loop: Header=BB84_3 Depth=1
	ds_load_b128 v[22:25], v2 offset:14256
	s_wait_dscnt 0x0
	v_mul_f64_e32 v[4:5], v[20:21], v[24:25]
	v_mul_f64_e32 v[206:207], v[18:19], v[24:25]
	s_delay_alu instid0(VALU_DEP_2) | instskip(NEXT) | instid1(VALU_DEP_2)
	v_fma_f64 v[204:205], v[18:19], v[22:23], -v[4:5]
	v_fmac_f64_e32 v[206:207], v[20:21], v[22:23]
	s_delay_alu instid0(VALU_DEP_2) | instskip(NEXT) | instid1(VALU_DEP_2)
	v_mov_b64_e32 v[18:19], v[204:205]
	v_mov_b64_e32 v[20:21], v[206:207]
	ds_store_b128 v27, v[204:207]
.LBB84_398:                             ;   in Loop: Header=BB84_3 Depth=1
	s_or_b32 exec_lo, exec_lo, s40
	s_wait_dscnt 0x0
	s_barrier_signal -1
	s_barrier_wait -1
	s_barrier_signal -1
	s_barrier_wait -1
	s_and_saveexec_b32 s40, s0
; %bb.399:                              ;   in Loop: Header=BB84_3 Depth=1
	s_delay_alu instid0(VALU_DEP_3) | instskip(NEXT) | instid1(VALU_DEP_2)
	v_xor_b32_e32 v19, 0x80000000, v19
	v_xor_b32_e32 v21, 0x80000000, v21
	ds_store_b128 v43, v[18:21] offset:12704
; %bb.400:                              ;   in Loop: Header=BB84_3 Depth=1
	s_or_b32 exec_lo, exec_lo, s40
	s_wait_dscnt 0x0
	s_barrier_signal -1
	s_barrier_wait -1
	s_barrier_signal -1
	s_barrier_wait -1
	s_and_saveexec_b32 s40, s65
	s_cbranch_execz .LBB84_402
; %bb.401:                              ;   in Loop: Header=BB84_3 Depth=1
	ds_load_b128 v[18:21], v90
	s_wait_dscnt 0x0
	ds_store_b128 v187, v[18:21]
	ds_load_b128 v[18:21], v91
	s_wait_dscnt 0x0
	ds_store_b128 v188, v[18:21]
.LBB84_402:                             ;   in Loop: Header=BB84_3 Depth=1
	s_or_b32 exec_lo, exec_lo, s40
	s_wait_dscnt 0x0
	s_barrier_signal -1
	s_barrier_wait -1
	s_and_saveexec_b32 s40, s29
	s_cbranch_execz .LBB84_404
; %bb.403:                              ;   in Loop: Header=BB84_3 Depth=1
	ds_load_b128 v[18:21], v2 offset:14256
	ds_load_b128 v[22:25], v2 offset:13728
	s_wait_dscnt 0x0
	v_mul_f64_e32 v[4:5], v[18:19], v[24:25]
	v_mul_f64_e32 v[24:25], v[20:21], v[24:25]
	s_delay_alu instid0(VALU_DEP_2) | instskip(NEXT) | instid1(VALU_DEP_2)
	v_fmac_f64_e32 v[4:5], v[20:21], v[22:23]
	v_fma_f64 v[24:25], v[18:19], v[22:23], -v[24:25]
	ds_load_b128 v[18:21], v2 offset:13744
	s_wait_dscnt 0x0
	v_mul_f64_e32 v[204:205], v[4:5], v[20:21]
	v_mul_f64_e32 v[22:23], v[24:25], v[20:21]
	s_delay_alu instid0(VALU_DEP_2) | instskip(NEXT) | instid1(VALU_DEP_2)
	v_fma_f64 v[20:21], v[18:19], v[24:25], -v[204:205]
	v_fmac_f64_e32 v[22:23], v[18:19], v[4:5]
	ds_store_b128 v2, v[20:23] offset:13744
	ds_store_b128 v2, v[20:23] offset:14240
.LBB84_404:                             ;   in Loop: Header=BB84_3 Depth=1
	s_or_b32 exec_lo, exec_lo, s40
	v_mov_b64_e32 v[20:21], 0
	v_mov_b64_e32 v[18:19], 0
	s_wait_dscnt 0x0
	s_barrier_signal -1
	s_barrier_wait -1
	s_and_saveexec_b32 s40, s2
	s_cbranch_execz .LBB84_410
; %bb.405:                              ;   in Loop: Header=BB84_3 Depth=1
	ds_load_b128 v[18:21], v46 offset:12672
	ds_load_b128 v[22:25], v52 offset:12736
	s_wait_dscnt 0x0
	v_mul_f64_e32 v[4:5], v[20:21], v[24:25]
	v_mul_f64_e32 v[24:25], v[18:19], v[24:25]
	s_delay_alu instid0(VALU_DEP_2) | instskip(NEXT) | instid1(VALU_DEP_2)
	v_fma_f64 v[4:5], v[18:19], v[22:23], -v[4:5]
	v_fmac_f64_e32 v[24:25], v[20:21], v[22:23]
	s_delay_alu instid0(VALU_DEP_2) | instskip(NEXT) | instid1(VALU_DEP_2)
	v_add_f64_e32 v[18:19], 0, v[4:5]
	v_add_f64_e32 v[20:21], 0, v[24:25]
	s_and_saveexec_b32 s41, s11
	s_cbranch_execnz .LBB84_572
; %bb.406:                              ;   in Loop: Header=BB84_3 Depth=1
	s_or_b32 exec_lo, exec_lo, s41
	s_and_saveexec_b32 s41, s12
	s_cbranch_execnz .LBB84_573
.LBB84_407:                             ;   in Loop: Header=BB84_3 Depth=1
	s_or_b32 exec_lo, exec_lo, s41
	s_and_saveexec_b32 s41, s0
	s_cbranch_execz .LBB84_409
.LBB84_408:                             ;   in Loop: Header=BB84_3 Depth=1
	ds_load_b128 v[22:25], v2 offset:12720
	ds_load_b128 v[204:207], v83 offset:14272
	s_wait_dscnt 0x0
	v_mul_f64_e32 v[4:5], v[24:25], v[206:207]
	s_delay_alu instid0(VALU_DEP_1) | instskip(SKIP_1) | instid1(VALU_DEP_2)
	v_fma_f64 v[4:5], v[22:23], v[204:205], -v[4:5]
	v_mul_f64_e32 v[22:23], v[22:23], v[206:207]
	v_add_f64_e32 v[18:19], v[18:19], v[4:5]
	s_delay_alu instid0(VALU_DEP_2) | instskip(NEXT) | instid1(VALU_DEP_1)
	v_fmac_f64_e32 v[22:23], v[24:25], v[204:205]
	v_add_f64_e32 v[20:21], v[20:21], v[22:23]
.LBB84_409:                             ;   in Loop: Header=BB84_3 Depth=1
	s_or_b32 exec_lo, exec_lo, s41
	s_delay_alu instid0(VALU_DEP_2) | instskip(NEXT) | instid1(VALU_DEP_2)
	v_xor_b32_e32 v19, 0x80000000, v19
	v_xor_b32_e32 v21, 0x80000000, v21
.LBB84_410:                             ;   in Loop: Header=BB84_3 Depth=1
	s_or_b32 exec_lo, exec_lo, s40
	s_and_saveexec_b32 s40, s66
	s_cbranch_execz .LBB84_412
; %bb.411:                              ;   in Loop: Header=BB84_3 Depth=1
	ds_load_b128 v[22:25], v2 offset:14784
	s_wait_dscnt 0x0
	v_mul_f64_e32 v[4:5], v[20:21], v[24:25]
	v_mul_f64_e32 v[206:207], v[18:19], v[24:25]
	s_delay_alu instid0(VALU_DEP_2) | instskip(NEXT) | instid1(VALU_DEP_2)
	v_fma_f64 v[204:205], v[18:19], v[22:23], -v[4:5]
	v_fmac_f64_e32 v[206:207], v[20:21], v[22:23]
	s_delay_alu instid0(VALU_DEP_2) | instskip(NEXT) | instid1(VALU_DEP_2)
	v_mov_b64_e32 v[18:19], v[204:205]
	v_mov_b64_e32 v[20:21], v[206:207]
	ds_store_b128 v51, v[204:207]
.LBB84_412:                             ;   in Loop: Header=BB84_3 Depth=1
	s_or_b32 exec_lo, exec_lo, s40
	s_wait_dscnt 0x0
	s_barrier_signal -1
	s_barrier_wait -1
	s_and_saveexec_b32 s40, s67
	s_cbranch_execz .LBB84_414
; %bb.413:                              ;   in Loop: Header=BB84_3 Depth=1
	ds_load_b128 v[22:25], v51
	ds_load_b128 v[204:207], v49 offset:14784
	s_wait_dscnt 0x0
	v_mul_f64_e32 v[4:5], v[24:25], v[206:207]
	s_delay_alu instid0(VALU_DEP_1) | instskip(SKIP_1) | instid1(VALU_DEP_2)
	v_fma_f64 v[4:5], v[22:23], v[204:205], -v[4:5]
	v_mul_f64_e32 v[22:23], v[22:23], v[206:207]
	v_add_f64_e32 v[18:19], v[18:19], v[4:5]
	s_delay_alu instid0(VALU_DEP_2) | instskip(NEXT) | instid1(VALU_DEP_1)
	v_fmac_f64_e32 v[22:23], v[24:25], v[204:205]
	v_add_f64_e32 v[20:21], v[20:21], v[22:23]
.LBB84_414:                             ;   in Loop: Header=BB84_3 Depth=1
	s_or_b32 exec_lo, exec_lo, s40
	s_barrier_signal -1
	s_barrier_wait -1
	s_and_saveexec_b32 s40, s68
	s_cbranch_execz .LBB84_416
; %bb.415:                              ;   in Loop: Header=BB84_3 Depth=1
	ds_load_b128 v[22:25], v2 offset:15312
	s_wait_dscnt 0x0
	v_mul_f64_e32 v[4:5], v[20:21], v[24:25]
	v_mul_f64_e32 v[206:207], v[18:19], v[24:25]
	s_delay_alu instid0(VALU_DEP_2) | instskip(NEXT) | instid1(VALU_DEP_2)
	v_fma_f64 v[204:205], v[18:19], v[22:23], -v[4:5]
	v_fmac_f64_e32 v[206:207], v[20:21], v[22:23]
	s_delay_alu instid0(VALU_DEP_2) | instskip(NEXT) | instid1(VALU_DEP_2)
	v_mov_b64_e32 v[18:19], v[204:205]
	v_mov_b64_e32 v[20:21], v[206:207]
	ds_store_b128 v51, v[204:207]
.LBB84_416:                             ;   in Loop: Header=BB84_3 Depth=1
	s_or_b32 exec_lo, exec_lo, s40
	s_wait_dscnt 0x0
	s_barrier_signal -1
	s_barrier_wait -1
	s_and_saveexec_b32 s40, s69
	s_cbranch_execz .LBB84_418
; %bb.417:                              ;   in Loop: Header=BB84_3 Depth=1
	ds_load_b128 v[22:25], v51
	ds_load_b128 v[204:207], v49 offset:15296
	s_wait_dscnt 0x0
	v_mul_f64_e32 v[4:5], v[24:25], v[206:207]
	s_delay_alu instid0(VALU_DEP_1) | instskip(SKIP_1) | instid1(VALU_DEP_2)
	v_fma_f64 v[4:5], v[22:23], v[204:205], -v[4:5]
	v_mul_f64_e32 v[22:23], v[22:23], v[206:207]
	v_add_f64_e32 v[18:19], v[18:19], v[4:5]
	s_delay_alu instid0(VALU_DEP_2) | instskip(NEXT) | instid1(VALU_DEP_1)
	v_fmac_f64_e32 v[22:23], v[24:25], v[204:205]
	v_add_f64_e32 v[20:21], v[20:21], v[22:23]
.LBB84_418:                             ;   in Loop: Header=BB84_3 Depth=1
	s_or_b32 exec_lo, exec_lo, s40
	s_barrier_signal -1
	s_barrier_wait -1
	;; [unrolled: 37-line block ×3, first 2 shown]
	s_and_saveexec_b32 s40, s71
	s_cbranch_execz .LBB84_424
; %bb.423:                              ;   in Loop: Header=BB84_3 Depth=1
	ds_load_b128 v[22:25], v2 offset:16368
	s_wait_dscnt 0x0
	v_mul_f64_e32 v[4:5], v[20:21], v[24:25]
	v_mul_f64_e32 v[206:207], v[18:19], v[24:25]
	s_delay_alu instid0(VALU_DEP_2) | instskip(NEXT) | instid1(VALU_DEP_2)
	v_fma_f64 v[204:205], v[18:19], v[22:23], -v[4:5]
	v_fmac_f64_e32 v[206:207], v[20:21], v[22:23]
	s_delay_alu instid0(VALU_DEP_2) | instskip(NEXT) | instid1(VALU_DEP_2)
	v_mov_b64_e32 v[18:19], v[204:205]
	v_mov_b64_e32 v[20:21], v[206:207]
	ds_store_b128 v51, v[204:207]
.LBB84_424:                             ;   in Loop: Header=BB84_3 Depth=1
	s_or_b32 exec_lo, exec_lo, s40
	s_wait_dscnt 0x0
	s_barrier_signal -1
	s_barrier_wait -1
	s_barrier_signal -1
	s_barrier_wait -1
	s_and_saveexec_b32 s40, s2
; %bb.425:                              ;   in Loop: Header=BB84_3 Depth=1
	s_delay_alu instid0(VALU_DEP_1) | instskip(NEXT) | instid1(VALU_DEP_4)
	v_xor_b32_e32 v21, 0x80000000, v21
	v_xor_b32_e32 v19, 0x80000000, v19
	ds_store_b128 v52, v[18:21] offset:12736
; %bb.426:                              ;   in Loop: Header=BB84_3 Depth=1
	s_or_b32 exec_lo, exec_lo, s40
	s_wait_dscnt 0x0
	s_barrier_signal -1
	s_barrier_wait -1
	s_barrier_signal -1
	s_barrier_wait -1
	s_and_saveexec_b32 s40, s72
	s_cbranch_execz .LBB84_428
; %bb.427:                              ;   in Loop: Header=BB84_3 Depth=1
	ds_load_b128 v[18:21], v101
	s_wait_dscnt 0x0
	ds_store_b128 v189, v[18:21]
	ds_load_b128 v[18:21], v104
	s_wait_dscnt 0x0
	ds_store_b128 v195, v[18:21]
	;; [unrolled: 3-line block ×4, first 2 shown]
.LBB84_428:                             ;   in Loop: Header=BB84_3 Depth=1
	s_or_b32 exec_lo, exec_lo, s40
	s_wait_dscnt 0x0
	s_barrier_signal -1
	s_barrier_wait -1
	s_and_saveexec_b32 s40, s29
	s_cbranch_execz .LBB84_430
; %bb.429:                              ;   in Loop: Header=BB84_3 Depth=1
	ds_load_b128 v[18:21], v2 offset:15312
	ds_load_b128 v[22:25], v2 offset:14784
	s_wait_dscnt 0x0
	v_mul_f64_e32 v[4:5], v[18:19], v[24:25]
	v_mul_f64_e32 v[24:25], v[20:21], v[24:25]
	s_delay_alu instid0(VALU_DEP_2) | instskip(NEXT) | instid1(VALU_DEP_2)
	v_fmac_f64_e32 v[4:5], v[20:21], v[22:23]
	v_fma_f64 v[24:25], v[18:19], v[22:23], -v[24:25]
	ds_load_b128 v[18:21], v2 offset:14800
	s_wait_dscnt 0x0
	v_mul_f64_e32 v[204:205], v[4:5], v[20:21]
	v_mul_f64_e32 v[22:23], v[24:25], v[20:21]
	s_delay_alu instid0(VALU_DEP_2) | instskip(NEXT) | instid1(VALU_DEP_2)
	v_fma_f64 v[20:21], v[18:19], v[24:25], -v[204:205]
	v_fmac_f64_e32 v[22:23], v[18:19], v[4:5]
	ds_store_b128 v2, v[20:23] offset:14800
	ds_store_b128 v2, v[20:23] offset:15296
.LBB84_430:                             ;   in Loop: Header=BB84_3 Depth=1
	s_or_b32 exec_lo, exec_lo, s40
	v_mov_b64_e32 v[20:21], 0
	v_mov_b64_e32 v[18:19], 0
	s_wait_dscnt 0x0
	s_barrier_signal -1
	s_barrier_wait -1
	s_and_saveexec_b32 s40, s0
	s_cbranch_execz .LBB84_434
; %bb.431:                              ;   in Loop: Header=BB84_3 Depth=1
	ds_load_b128 v[18:21], v44 offset:14784
	ds_load_b128 v[22:25], v43 offset:14816
	s_wait_dscnt 0x0
	v_mul_f64_e32 v[4:5], v[20:21], v[24:25]
	v_mul_f64_e32 v[24:25], v[18:19], v[24:25]
	s_delay_alu instid0(VALU_DEP_2) | instskip(NEXT) | instid1(VALU_DEP_2)
	v_fma_f64 v[4:5], v[18:19], v[22:23], -v[4:5]
	v_fmac_f64_e32 v[24:25], v[20:21], v[22:23]
	s_delay_alu instid0(VALU_DEP_2) | instskip(NEXT) | instid1(VALU_DEP_2)
	v_add_f64_e32 v[18:19], 0, v[4:5]
	v_add_f64_e32 v[20:21], 0, v[24:25]
	s_and_saveexec_b32 s41, s10
	s_cbranch_execz .LBB84_433
; %bb.432:                              ;   in Loop: Header=BB84_3 Depth=1
	ds_load_b128 v[22:25], v2 offset:14800
	ds_load_b128 v[204:207], v94 offset:15328
	s_wait_dscnt 0x0
	v_mul_f64_e32 v[4:5], v[24:25], v[206:207]
	s_delay_alu instid0(VALU_DEP_1) | instskip(SKIP_1) | instid1(VALU_DEP_2)
	v_fma_f64 v[4:5], v[22:23], v[204:205], -v[4:5]
	v_mul_f64_e32 v[22:23], v[22:23], v[206:207]
	v_add_f64_e32 v[18:19], v[18:19], v[4:5]
	s_delay_alu instid0(VALU_DEP_2) | instskip(NEXT) | instid1(VALU_DEP_1)
	v_fmac_f64_e32 v[22:23], v[24:25], v[204:205]
	v_add_f64_e32 v[20:21], v[20:21], v[22:23]
.LBB84_433:                             ;   in Loop: Header=BB84_3 Depth=1
	s_or_b32 exec_lo, exec_lo, s41
	s_delay_alu instid0(VALU_DEP_2) | instskip(NEXT) | instid1(VALU_DEP_2)
	v_xor_b32_e32 v19, 0x80000000, v19
	v_xor_b32_e32 v21, 0x80000000, v21
.LBB84_434:                             ;   in Loop: Header=BB84_3 Depth=1
	s_or_b32 exec_lo, exec_lo, s40
	s_and_saveexec_b32 s40, s63
	s_cbranch_execz .LBB84_436
; %bb.435:                              ;   in Loop: Header=BB84_3 Depth=1
	ds_load_b128 v[22:25], v2 offset:15840
	s_wait_dscnt 0x0
	v_mul_f64_e32 v[4:5], v[20:21], v[24:25]
	v_mul_f64_e32 v[206:207], v[18:19], v[24:25]
	s_delay_alu instid0(VALU_DEP_2) | instskip(NEXT) | instid1(VALU_DEP_2)
	v_fma_f64 v[204:205], v[18:19], v[22:23], -v[4:5]
	v_fmac_f64_e32 v[206:207], v[20:21], v[22:23]
	s_delay_alu instid0(VALU_DEP_2) | instskip(NEXT) | instid1(VALU_DEP_2)
	v_mov_b64_e32 v[18:19], v[204:205]
	v_mov_b64_e32 v[20:21], v[206:207]
	ds_store_b128 v27, v[204:207]
.LBB84_436:                             ;   in Loop: Header=BB84_3 Depth=1
	s_or_b32 exec_lo, exec_lo, s40
	s_wait_dscnt 0x0
	s_barrier_signal -1
	s_barrier_wait -1
	s_and_saveexec_b32 s40, s64
	s_cbranch_execz .LBB84_438
; %bb.437:                              ;   in Loop: Header=BB84_3 Depth=1
	ds_load_b128 v[22:25], v27
	ds_load_b128 v[204:207], v2 offset:15856
	s_wait_dscnt 0x0
	v_mul_f64_e32 v[4:5], v[24:25], v[206:207]
	s_delay_alu instid0(VALU_DEP_1) | instskip(SKIP_1) | instid1(VALU_DEP_2)
	v_fma_f64 v[4:5], v[22:23], v[204:205], -v[4:5]
	v_mul_f64_e32 v[22:23], v[22:23], v[206:207]
	v_add_f64_e32 v[18:19], v[18:19], v[4:5]
	s_delay_alu instid0(VALU_DEP_2) | instskip(NEXT) | instid1(VALU_DEP_1)
	v_fmac_f64_e32 v[22:23], v[24:25], v[204:205]
	v_add_f64_e32 v[20:21], v[20:21], v[22:23]
.LBB84_438:                             ;   in Loop: Header=BB84_3 Depth=1
	s_or_b32 exec_lo, exec_lo, s40
	s_barrier_signal -1
	s_barrier_wait -1
	s_and_saveexec_b32 s40, s64
	s_cbranch_execz .LBB84_440
; %bb.439:                              ;   in Loop: Header=BB84_3 Depth=1
	ds_load_b128 v[22:25], v2 offset:16368
	s_wait_dscnt 0x0
	v_mul_f64_e32 v[4:5], v[20:21], v[24:25]
	v_mul_f64_e32 v[206:207], v[18:19], v[24:25]
	s_delay_alu instid0(VALU_DEP_2) | instskip(NEXT) | instid1(VALU_DEP_2)
	v_fma_f64 v[204:205], v[18:19], v[22:23], -v[4:5]
	v_fmac_f64_e32 v[206:207], v[20:21], v[22:23]
	s_delay_alu instid0(VALU_DEP_2) | instskip(NEXT) | instid1(VALU_DEP_2)
	v_mov_b64_e32 v[18:19], v[204:205]
	v_mov_b64_e32 v[20:21], v[206:207]
	ds_store_b128 v27, v[204:207]
.LBB84_440:                             ;   in Loop: Header=BB84_3 Depth=1
	s_or_b32 exec_lo, exec_lo, s40
	s_wait_dscnt 0x0
	s_barrier_signal -1
	s_barrier_wait -1
	s_barrier_signal -1
	s_barrier_wait -1
	s_and_saveexec_b32 s40, s0
; %bb.441:                              ;   in Loop: Header=BB84_3 Depth=1
	s_delay_alu instid0(VALU_DEP_3) | instskip(NEXT) | instid1(VALU_DEP_2)
	v_xor_b32_e32 v19, 0x80000000, v19
	v_xor_b32_e32 v21, 0x80000000, v21
	ds_store_b128 v43, v[18:21] offset:14816
; %bb.442:                              ;   in Loop: Header=BB84_3 Depth=1
	s_or_b32 exec_lo, exec_lo, s40
	s_wait_dscnt 0x0
	s_barrier_signal -1
	s_barrier_wait -1
	s_barrier_signal -1
	s_barrier_wait -1
	s_and_saveexec_b32 s40, s65
	s_cbranch_execz .LBB84_444
; %bb.443:                              ;   in Loop: Header=BB84_3 Depth=1
	ds_load_b128 v[18:21], v107
	s_wait_dscnt 0x0
	ds_store_b128 v111, v[18:21]
	ds_load_b128 v[18:21], v108
	s_wait_dscnt 0x0
	ds_store_b128 v112, v[18:21]
.LBB84_444:                             ;   in Loop: Header=BB84_3 Depth=1
	s_or_b32 exec_lo, exec_lo, s40
	s_wait_dscnt 0x0
	s_barrier_signal -1
	s_barrier_wait -1
	s_and_saveexec_b32 s40, s29
	s_cbranch_execz .LBB84_446
; %bb.445:                              ;   in Loop: Header=BB84_3 Depth=1
	ds_load_b128 v[18:21], v2 offset:16368
	ds_load_b128 v[22:25], v2 offset:15840
	s_wait_dscnt 0x0
	v_mul_f64_e32 v[4:5], v[18:19], v[24:25]
	v_mul_f64_e32 v[24:25], v[20:21], v[24:25]
	s_delay_alu instid0(VALU_DEP_2) | instskip(NEXT) | instid1(VALU_DEP_2)
	v_fmac_f64_e32 v[4:5], v[20:21], v[22:23]
	v_fma_f64 v[24:25], v[18:19], v[22:23], -v[24:25]
	ds_load_b128 v[18:21], v2 offset:15856
	s_wait_dscnt 0x0
	v_mul_f64_e32 v[204:205], v[4:5], v[20:21]
	v_mul_f64_e32 v[22:23], v[24:25], v[20:21]
	s_delay_alu instid0(VALU_DEP_2) | instskip(NEXT) | instid1(VALU_DEP_2)
	v_fma_f64 v[20:21], v[18:19], v[24:25], -v[204:205]
	v_fmac_f64_e32 v[22:23], v[18:19], v[4:5]
	ds_store_b128 v2, v[20:23] offset:15856
	ds_store_b128 v2, v[20:23] offset:16352
.LBB84_446:                             ;   in Loop: Header=BB84_3 Depth=1
	s_or_b32 exec_lo, exec_lo, s40
.LBB84_447:                             ;   in Loop: Header=BB84_3 Depth=1
	v_mov_b64_e32 v[18:19], 0
	v_mov_b64_e32 v[20:21], 0
	s_mul_u64 s[40:41], s[52:53], s[56:57]
	s_wait_dscnt 0x0
	s_lshl_b64 s[40:41], s[40:41], 4
	s_barrier_signal -1
	s_add_nc_u64 s[40:41], s[38:39], s[40:41]
	s_barrier_wait -1
	s_and_saveexec_b32 s46, s9
	s_cbranch_execz .LBB84_449
; %bb.448:                              ;   in Loop: Header=BB84_3 Depth=1
	v_lshl_add_u64 v[4:5], v[32:33], 4, s[40:41]
	global_load_b128 v[20:23], v[4:5], off
	s_wait_loadcnt 0x0
	v_mul_f64_e32 v[4:5], v[14:15], v[20:21]
	s_delay_alu instid0(VALU_DEP_1) | instskip(SKIP_1) | instid1(VALU_DEP_1)
	v_fma_f64 v[18:19], v[16:17], v[22:23], -v[4:5]
	v_mul_f64_e32 v[4:5], v[14:15], v[22:23]
	v_fma_f64 v[20:21], v[20:21], -v[16:17], -v[4:5]
.LBB84_449:                             ;   in Loop: Header=BB84_3 Depth=1
	s_or_b32 exec_lo, exec_lo, s46
	s_delay_alu instid0(SALU_CYCLE_1)
	s_and_not1_b32 vcc_lo, exec_lo, s88
	s_cbranch_vccnz .LBB84_472
; %bb.450:                              ;   in Loop: Header=BB84_3 Depth=1
	v_mov_b32_e32 v24, -1
	s_lshl_b64 s[46:47], s[56:57], 2
	s_mov_b32 s94, 0
	s_add_nc_u64 s[46:47], s[54:55], s[46:47]
	s_branch .LBB84_453
.LBB84_451:                             ;   in Loop: Header=BB84_453 Depth=2
	ds_load_b128 v[204:207], v129 offset:256
	s_wait_loadcnt_dscnt 0x0
	v_mul_f64_e32 v[4:5], v[16:17], v[206:207]
	v_mul_f64_e32 v[16:17], v[16:17], v[204:205]
	s_delay_alu instid0(VALU_DEP_2) | instskip(NEXT) | instid1(VALU_DEP_2)
	v_fmac_f64_e32 v[4:5], v[14:15], v[204:205]
	v_fma_f64 v[14:15], v[14:15], v[206:207], -v[16:17]
	s_delay_alu instid0(VALU_DEP_2) | instskip(NEXT) | instid1(VALU_DEP_2)
	v_add_f64_e32 v[18:19], v[18:19], v[4:5]
	v_add_f64_e32 v[20:21], v[20:21], v[14:15]
.LBB84_452:                             ;   in Loop: Header=BB84_453 Depth=2
	s_or_b32 exec_lo, exec_lo, s95
	s_add_co_i32 s94, s94, 1
	s_delay_alu instid0(SALU_CYCLE_1)
	s_cmp_eq_u32 s94, s48
	s_cbranch_scc1 .LBB84_472
.LBB84_453:                             ;   Parent Loop BB84_3 Depth=1
                                        ; =>  This Loop Header: Depth=2
                                        ;       Child Loop BB84_455 Depth 3
	v_cmp_gt_i32_e32 vcc_lo, s94, v24
	s_and_b32 s96, s33, vcc_lo
	s_delay_alu instid0(SALU_CYCLE_1)
	s_and_saveexec_b32 s95, s96
	s_cbranch_execz .LBB84_456
; %bb.454:                              ;   in Loop: Header=BB84_453 Depth=2
	global_load_b32 v24, v2, s[46:47]
	s_wait_loadcnt 0x0
	v_cmp_le_i32_e32 vcc_lo, s94, v24
	s_cbranch_vccnz .LBB84_456
.LBB84_455:                             ;   Parent Loop BB84_3 Depth=1
                                        ;     Parent Loop BB84_453 Depth=2
                                        ; =>    This Inner Loop Header: Depth=3
	global_wb scope:SCOPE_DEV
	s_wait_storecnt 0x0
	global_inv scope:SCOPE_DEV
	global_load_b32 v24, v2, s[46:47]
	s_wait_loadcnt 0x0
	v_cmp_gt_i32_e32 vcc_lo, s94, v24
	s_cbranch_vccnz .LBB84_455
.LBB84_456:                             ;   in Loop: Header=BB84_453 Depth=2
	s_or_b32 exec_lo, exec_lo, s95
	s_sub_co_i32 s95, s49, s94
	global_wb scope:SCOPE_DEV
	s_wait_storecnt 0x0
	global_inv scope:SCOPE_DEV
	s_lshl_b32 s96, s95, 5
	s_wait_loadcnt 0x0
	s_barrier_signal -1
	s_barrier_wait -1
	s_and_saveexec_b32 s97, s34
	s_cbranch_execz .LBB84_461
; %bb.457:                              ;   in Loop: Header=BB84_453 Depth=2
	s_ashr_i32 vcc_lo, s96, 31
	s_delay_alu instid0(SALU_CYCLE_1) | instskip(NEXT) | instid1(VALU_DEP_1)
	v_dual_mov_b32 v5, vcc_lo :: v_dual_bitop2_b32 v4, s96, v28 bitop3:0x54
	v_cmp_le_i64_e32 vcc_lo, s[58:59], v[4:5]
	s_and_saveexec_b32 s98, vcc_lo
	s_delay_alu instid0(SALU_CYCLE_1)
	s_xor_b32 vcc_lo, exec_lo, s98
; %bb.458:                              ;   in Loop: Header=BB84_453 Depth=2
	v_dual_mov_b32 v3, v2 :: v_dual_mov_b32 v4, v2
	v_mov_b32_e32 v5, v2
	ds_store_b128 v198, v[2:5]
                                        ; implicit-def: $vgpr4_vgpr5
; %bb.459:                              ;   in Loop: Header=BB84_453 Depth=2
	s_and_not1_saveexec_b32 s98, vcc_lo
	s_cbranch_execz .LBB84_461
; %bb.460:                              ;   in Loop: Header=BB84_453 Depth=2
	v_mul_u64_e32 v[4:5], s[50:51], v[4:5]
	s_delay_alu instid0(VALU_DEP_1)
	v_lshl_add_u64 v[4:5], v[4:5], 4, s[40:41]
	global_load_b128 v[14:17], v[4:5], off
	s_wait_loadcnt 0x0
	ds_store_2addr_b64 v198, v[14:15], v[16:17] offset1:1
.LBB84_461:                             ;   in Loop: Header=BB84_453 Depth=2
	s_or_b32 exec_lo, exec_lo, s97
	v_add_nc_u32_e32 v14, s96, v42
	s_cmp_lg_u32 s95, s89
	s_wait_dscnt 0x0
	s_cselect_b32 s96, -1, 0
	s_barrier_signal -1
	v_ashrrev_i32_e32 v15, 31, v14
	v_cmp_gt_i32_e32 vcc_lo, s58, v14
	v_cndmask_b32_e64 v3, 0, 1, s96
	s_barrier_wait -1
	s_delay_alu instid0(VALU_DEP_3) | instskip(SKIP_1) | instid1(SALU_CYCLE_1)
	v_lshl_add_u64 v[4:5], v[14:15], 4, v[40:41]
	s_and_b32 s97, vcc_lo, s5
	s_and_saveexec_b32 s95, s97
	s_cbranch_execz .LBB84_467
; %bb.462:                              ;   in Loop: Header=BB84_453 Depth=2
	v_mov_b64_e32 v[16:17], v[6:7]
	s_and_not1_b32 vcc_lo, exec_lo, s96
	s_cbranch_vccnz .LBB84_464
; %bb.463:                              ;   in Loop: Header=BB84_453 Depth=2
	global_load_b64 v[16:17], v[4:5], off
.LBB84_464:                             ;   in Loop: Header=BB84_453 Depth=2
	v_cmp_ne_u32_e32 vcc_lo, 1, v3
	v_mov_b64_e32 v[22:23], v[8:9]
	s_cbranch_vccnz .LBB84_466
; %bb.465:                              ;   in Loop: Header=BB84_453 Depth=2
	global_load_b64 v[22:23], v[4:5], off offset:8
.LBB84_466:                             ;   in Loop: Header=BB84_453 Depth=2
	ds_load_b128 v[204:207], v129
	s_wait_loadcnt_dscnt 0x0
	v_mul_f64_e32 v[208:209], v[22:23], v[206:207]
	v_mul_f64_e32 v[22:23], v[22:23], v[204:205]
	s_delay_alu instid0(VALU_DEP_2) | instskip(NEXT) | instid1(VALU_DEP_2)
	v_fmac_f64_e32 v[208:209], v[16:17], v[204:205]
	v_fma_f64 v[16:17], v[16:17], v[206:207], -v[22:23]
	s_delay_alu instid0(VALU_DEP_2) | instskip(NEXT) | instid1(VALU_DEP_2)
	v_add_f64_e32 v[18:19], v[18:19], v[208:209]
	v_add_f64_e32 v[20:21], v[20:21], v[16:17]
.LBB84_467:                             ;   in Loop: Header=BB84_453 Depth=2
	s_or_b32 exec_lo, exec_lo, s95
	v_add_nc_u32_e32 v14, 16, v14
	s_delay_alu instid0(VALU_DEP_1) | instskip(SKIP_1) | instid1(SALU_CYCLE_1)
	v_cmp_gt_i32_e32 vcc_lo, s58, v14
	s_and_b32 s96, vcc_lo, s5
	s_and_saveexec_b32 s95, s96
	s_cbranch_execz .LBB84_452
; %bb.468:                              ;   in Loop: Header=BB84_453 Depth=2
	v_cmp_ne_u32_e32 vcc_lo, 1, v3
	v_mov_b64_e32 v[14:15], v[10:11]
	s_cbranch_vccnz .LBB84_470
; %bb.469:                              ;   in Loop: Header=BB84_453 Depth=2
	global_load_b64 v[14:15], v[4:5], off offset:256
.LBB84_470:                             ;   in Loop: Header=BB84_453 Depth=2
	v_cmp_ne_u32_e32 vcc_lo, 1, v3
	v_mov_b64_e32 v[16:17], v[12:13]
	s_cbranch_vccnz .LBB84_451
; %bb.471:                              ;   in Loop: Header=BB84_453 Depth=2
	global_load_b64 v[16:17], v[4:5], off offset:264
	s_branch .LBB84_451
.LBB84_472:                             ;   in Loop: Header=BB84_3 Depth=1
	ds_store_b128 v199, v[18:21]
	s_wait_dscnt 0x0
	s_barrier_signal -1
	s_barrier_wait -1
	s_and_saveexec_b32 s46, s1
	s_cbranch_execz .LBB84_474
; %bb.473:                              ;   in Loop: Header=BB84_3 Depth=1
	ds_load_b128 v[14:17], v200 offset:512
	s_wait_dscnt 0x0
	v_add_f64_e32 v[4:5], v[18:19], v[14:15]
	v_add_f64_e32 v[18:19], v[20:21], v[16:17]
	ds_load_b128 v[14:17], v200 offset:1024
	s_wait_dscnt 0x0
	v_add_f64_e32 v[4:5], v[4:5], v[14:15]
	v_add_f64_e32 v[18:19], v[18:19], v[16:17]
	;; [unrolled: 4-line block ×15, first 2 shown]
	s_delay_alu instid0(VALU_DEP_2) | instskip(NEXT) | instid1(VALU_DEP_2)
	v_xor_b32_e32 v3, 0x80000000, v5
	v_xor_b32_e32 v5, 0x80000000, v15
	s_delay_alu instid0(VALU_DEP_4) | instskip(NEXT) | instid1(VALU_DEP_4)
	v_cndmask_b32_e64 v18, v4, 0, s8
	v_cndmask_b32_e64 v20, v14, 0, s8
	s_delay_alu instid0(VALU_DEP_4) | instskip(NEXT) | instid1(VALU_DEP_4)
	v_cndmask_b32_e64 v19, v3, 0, s8
	v_cndmask_b32_e64 v21, v5, 0, s8
.LBB84_474:                             ;   in Loop: Header=BB84_3 Depth=1
	s_or_b32 exec_lo, exec_lo, s46
	s_delay_alu instid0(SALU_CYCLE_1)
	s_and_not1_b32 vcc_lo, exec_lo, s62
	s_cbranch_vccnz .LBB84_483
; %bb.475:                              ;   in Loop: Header=BB84_3 Depth=1
	s_and_saveexec_b32 s46, s1
; %bb.476:                              ;   in Loop: Header=BB84_3 Depth=1
	ds_store_b128 v201, v[18:21]
; %bb.477:                              ;   in Loop: Header=BB84_3 Depth=1
	s_or_b32 exec_lo, exec_lo, s46
	v_mov_b64_e32 v[14:15], 0
	v_mov_b64_e32 v[16:17], 0
	s_wait_dscnt 0x0
	s_barrier_signal -1
	s_barrier_wait -1
	s_and_saveexec_b32 s46, s6
	s_cbranch_execz .LBB84_479
; %bb.478:                              ;   in Loop: Header=BB84_3 Depth=1
	ds_load_b128 v[14:17], v129
	ds_load_b128 v[22:25], v190
	s_wait_dscnt 0x0
	v_mul_f64_e32 v[4:5], v[16:17], v[24:25]
	v_mul_f64_e32 v[24:25], v[14:15], v[24:25]
	s_delay_alu instid0(VALU_DEP_2) | instskip(NEXT) | instid1(VALU_DEP_2)
	v_fma_f64 v[4:5], v[14:15], v[22:23], -v[4:5]
	v_fmac_f64_e32 v[24:25], v[16:17], v[22:23]
	s_delay_alu instid0(VALU_DEP_2) | instskip(NEXT) | instid1(VALU_DEP_2)
	v_add_f64_e32 v[14:15], 0, v[4:5]
	v_add_f64_e32 v[16:17], 0, v[24:25]
.LBB84_479:                             ;   in Loop: Header=BB84_3 Depth=1
	s_or_b32 exec_lo, exec_lo, s46
	s_and_saveexec_b32 s46, s7
	s_cbranch_execz .LBB84_481
; %bb.480:                              ;   in Loop: Header=BB84_3 Depth=1
	ds_load_b128 v[22:25], v129 offset:256
	ds_load_b128 v[204:207], v190 offset:8192
	s_wait_dscnt 0x0
	v_mul_f64_e32 v[4:5], v[24:25], v[206:207]
	s_delay_alu instid0(VALU_DEP_1) | instskip(SKIP_1) | instid1(VALU_DEP_2)
	v_fma_f64 v[4:5], v[22:23], v[204:205], -v[4:5]
	v_mul_f64_e32 v[22:23], v[22:23], v[206:207]
	v_add_f64_e32 v[14:15], v[14:15], v[4:5]
	s_delay_alu instid0(VALU_DEP_2) | instskip(NEXT) | instid1(VALU_DEP_1)
	v_fmac_f64_e32 v[22:23], v[24:25], v[204:205]
	v_add_f64_e32 v[16:17], v[16:17], v[22:23]
.LBB84_481:                             ;   in Loop: Header=BB84_3 Depth=1
	s_or_b32 exec_lo, exec_lo, s46
	s_mov_b32 s47, 0
	s_mov_b32 s46, 0
	ds_store_b128 v199, v[14:17]
	s_wait_dscnt 0x0
	s_barrier_signal -1
	s_barrier_wait -1
                                        ; implicit-def: $vgpr4_vgpr5
                                        ; implicit-def: $vgpr22_vgpr23
	s_and_saveexec_b32 vcc_lo, s1
	s_cbranch_execz .LBB84_546
; %bb.482:                              ;   in Loop: Header=BB84_3 Depth=1
	ds_load_b128 v[22:25], v200 offset:512
	s_mov_b32 s46, exec_lo
	s_wait_dscnt 0x0
	v_add_f64_e32 v[4:5], v[14:15], v[22:23]
	v_add_f64_e32 v[22:23], v[16:17], v[24:25]
	ds_load_b128 v[14:17], v200 offset:1024
	s_wait_dscnt 0x0
	v_add_f64_e32 v[4:5], v[4:5], v[14:15]
	v_add_f64_e32 v[22:23], v[22:23], v[16:17]
	ds_load_b128 v[14:17], v200 offset:1536
	;; [unrolled: 4-line block ×14, first 2 shown]
	s_wait_dscnt 0x0
	v_add_f64_e32 v[22:23], v[4:5], v[14:15]
	v_add_f64_e32 v[4:5], v[24:25], v[16:17]
	s_or_b32 exec_lo, exec_lo, vcc_lo
	s_delay_alu instid0(SALU_CYCLE_1)
	s_and_b32 vcc_lo, exec_lo, s47
	s_cbranch_vccnz .LBB84_484
	s_branch .LBB84_547
.LBB84_483:                             ;   in Loop: Header=BB84_3 Depth=1
	s_mov_b32 s46, 0
                                        ; implicit-def: $vgpr4_vgpr5
                                        ; implicit-def: $vgpr22_vgpr23
	s_cbranch_execz .LBB84_547
.LBB84_484:                             ;   in Loop: Header=BB84_3 Depth=1
	v_mov_b32_e32 v3, v192
	s_mov_b32 s47, 31
	s_branch .LBB84_486
.LBB84_485:                             ;   in Loop: Header=BB84_486 Depth=2
	s_or_b32 exec_lo, exec_lo, s95
	v_add_nc_u32_e32 v3, 0xfffffc00, v3
	s_add_co_i32 s47, s47, -2
	s_cmp_lg_u32 s94, 0
	s_barrier_signal -1
	s_barrier_wait -1
	s_cbranch_scc0 .LBB84_494
.LBB84_486:                             ;   Parent Loop BB84_3 Depth=1
                                        ; =>  This Inner Loop Header: Depth=2
	s_delay_alu instid0(VALU_DEP_1) | instskip(SKIP_1) | instid1(SALU_CYCLE_1)
	v_cmp_eq_u32_e32 vcc_lo, 0xffffc200, v3
	s_and_b32 s95, s1, vcc_lo
	s_and_saveexec_b32 s94, s95
	s_cbranch_execz .LBB84_488
; %bb.487:                              ;   in Loop: Header=BB84_486 Depth=2
	ds_load_b128 v[14:17], v202
	s_wait_dscnt 0x0
	v_mul_f64_e32 v[4:5], v[20:21], v[16:17]
	v_mul_f64_e32 v[24:25], v[18:19], v[16:17]
	s_delay_alu instid0(VALU_DEP_2) | instskip(NEXT) | instid1(VALU_DEP_2)
	v_fma_f64 v[22:23], v[18:19], v[14:15], -v[4:5]
	v_fmac_f64_e32 v[24:25], v[20:21], v[14:15]
	s_delay_alu instid0(VALU_DEP_2) | instskip(NEXT) | instid1(VALU_DEP_2)
	v_mov_b64_e32 v[18:19], v[22:23]
	v_mov_b64_e32 v[20:21], v[24:25]
	ds_store_b128 v2, v[22:25] offset:25088
.LBB84_488:                             ;   in Loop: Header=BB84_486 Depth=2
	s_or_b32 exec_lo, exec_lo, s94
	v_cmp_gt_u32_e32 vcc_lo, s47, v26
	v_add_nc_u32_e32 v4, v29, v3
	s_wait_dscnt 0x0
	s_barrier_signal -1
	s_barrier_wait -1
	s_and_b32 s95, s1, vcc_lo
	s_delay_alu instid0(SALU_CYCLE_1)
	s_and_saveexec_b32 s94, s95
	s_cbranch_execz .LBB84_490
; %bb.489:                              ;   in Loop: Header=BB84_486 Depth=2
	ds_load_b128 v[14:17], v2 offset:25088
	ds_load_b128 v[22:25], v4 offset:512
	s_wait_dscnt 0x0
	v_mul_f64_e32 v[40:41], v[16:17], v[24:25]
	s_delay_alu instid0(VALU_DEP_1) | instskip(SKIP_1) | instid1(VALU_DEP_2)
	v_fma_f64 v[40:41], v[14:15], v[22:23], -v[40:41]
	v_mul_f64_e32 v[14:15], v[14:15], v[24:25]
	v_add_f64_e32 v[18:19], v[18:19], v[40:41]
	s_delay_alu instid0(VALU_DEP_2) | instskip(NEXT) | instid1(VALU_DEP_1)
	v_fmac_f64_e32 v[14:15], v[16:17], v[22:23]
	v_add_f64_e32 v[20:21], v[20:21], v[14:15]
.LBB84_490:                             ;   in Loop: Header=BB84_486 Depth=2
	s_or_b32 exec_lo, exec_lo, s94
	s_add_co_i32 s94, s47, -1
	s_delay_alu instid0(SALU_CYCLE_1) | instskip(SKIP_3) | instid1(SALU_CYCLE_1)
	v_cmp_eq_u32_e32 vcc_lo, s94, v26
	s_barrier_signal -1
	s_barrier_wait -1
	s_and_b32 s96, s1, vcc_lo
	s_and_saveexec_b32 s95, s96
	s_cbranch_execz .LBB84_492
; %bb.491:                              ;   in Loop: Header=BB84_486 Depth=2
	ds_load_b128 v[14:17], v202
	s_wait_dscnt 0x0
	v_mul_f64_e32 v[22:23], v[20:21], v[16:17]
	v_mul_f64_e32 v[24:25], v[18:19], v[16:17]
	s_delay_alu instid0(VALU_DEP_2) | instskip(NEXT) | instid1(VALU_DEP_2)
	v_fma_f64 v[22:23], v[18:19], v[14:15], -v[22:23]
	v_fmac_f64_e32 v[24:25], v[20:21], v[14:15]
	s_delay_alu instid0(VALU_DEP_2) | instskip(NEXT) | instid1(VALU_DEP_2)
	v_mov_b64_e32 v[18:19], v[22:23]
	v_mov_b64_e32 v[20:21], v[24:25]
	ds_store_b128 v2, v[22:25] offset:25088
.LBB84_492:                             ;   in Loop: Header=BB84_486 Depth=2
	s_or_b32 exec_lo, exec_lo, s95
	v_cmp_gt_u32_e32 vcc_lo, s94, v26
	s_wait_dscnt 0x0
	s_barrier_signal -1
	s_barrier_wait -1
	s_and_b32 s96, s1, vcc_lo
	s_delay_alu instid0(SALU_CYCLE_1)
	s_and_saveexec_b32 s95, s96
	s_cbranch_execz .LBB84_485
; %bb.493:                              ;   in Loop: Header=BB84_486 Depth=2
	ds_load_b128 v[14:17], v2 offset:25088
	ds_load_b128 v[22:25], v4
	s_wait_dscnt 0x0
	v_mul_f64_e32 v[4:5], v[16:17], v[24:25]
	s_delay_alu instid0(VALU_DEP_1) | instskip(SKIP_1) | instid1(VALU_DEP_2)
	v_fma_f64 v[4:5], v[14:15], v[22:23], -v[4:5]
	v_mul_f64_e32 v[14:15], v[14:15], v[24:25]
	v_add_f64_e32 v[18:19], v[18:19], v[4:5]
	s_delay_alu instid0(VALU_DEP_2) | instskip(NEXT) | instid1(VALU_DEP_1)
	v_fmac_f64_e32 v[14:15], v[16:17], v[22:23]
	v_add_f64_e32 v[20:21], v[20:21], v[14:15]
	s_branch .LBB84_485
.LBB84_494:                             ;   in Loop: Header=BB84_3 Depth=1
	s_and_b32 vcc_lo, exec_lo, s60
	s_mov_b32 s47, -1
	s_cbranch_vccnz .LBB84_548
; %bb.495:                              ;   in Loop: Header=BB84_3 Depth=1
	s_and_not1_b32 vcc_lo, exec_lo, s47
	s_cbranch_vccz .LBB84_549
.LBB84_496:                             ;   in Loop: Header=BB84_3 Depth=1
	s_and_saveexec_b32 s47, s46
	s_cbranch_execz .LBB84_498
.LBB84_497:                             ;   in Loop: Header=BB84_3 Depth=1
	v_lshl_add_u64 v[4:5], v[36:37], 4, s[40:41]
	global_store_b128 v[4:5], v[18:21], off
.LBB84_498:                             ;   in Loop: Header=BB84_3 Depth=1
	s_wait_xcnt 0x0
	s_or_b32 exec_lo, exec_lo, s47
	global_wb scope:SCOPE_DEV
	s_wait_storecnt 0x0
	global_inv scope:SCOPE_DEV
	s_wait_loadcnt 0x0
	s_barrier_signal -1
	s_barrier_wait -1
	s_and_saveexec_b32 s40, s33
	s_cbranch_execz .LBB84_2
; %bb.499:                              ;   in Loop: Header=BB84_3 Depth=1
	s_lshl_b64 s[46:47], s[56:57], 2
	s_delay_alu instid0(SALU_CYCLE_1)
	s_add_nc_u64 s[46:47], s[54:55], s[46:47]
	global_load_b32 v3, v2, s[46:47]
	s_wait_loadcnt 0x0
	v_add_nc_u32_e32 v3, 1, v3
	global_store_b32 v2, v3, s[46:47]
	s_branch .LBB84_2
.LBB84_500:                             ;   in Loop: Header=BB84_3 Depth=1
	s_mov_b32 s47, exec_lo
	v_readlane_b32 s94, v203, 13
	s_and_b32 s94, s47, s94
	s_delay_alu instid0(SALU_CYCLE_1)
	s_xor_b32 s47, s94, s47
	s_mov_b32 exec_lo, s94
	s_cbranch_execz .LBB84_504
; %bb.501:                              ;   in Loop: Header=BB84_3 Depth=1
	s_mov_b32 s94, exec_lo
	v_readlane_b32 s95, v203, 28
	s_and_b32 s95, s94, s95
	s_delay_alu instid0(SALU_CYCLE_1)
	s_mov_b32 exec_lo, s95
; %bb.502:                              ;   in Loop: Header=BB84_3 Depth=1
	v_dual_mov_b32 v3, v2 :: v_dual_mov_b32 v4, v2
	v_mov_b32_e32 v5, v2
	ds_store_b128 v196, v[2:5]
; %bb.503:                              ;   in Loop: Header=BB84_3 Depth=1
	s_or_b32 exec_lo, exec_lo, s94
.LBB84_504:                             ;   in Loop: Header=BB84_3 Depth=1
	s_and_not1_saveexec_b32 s47, s47
	s_cbranch_execz .LBB84_510
; %bb.505:                              ;   in Loop: Header=BB84_3 Depth=1
	v_lshl_add_u64 v[4:5], v[34:35], 4, s[40:41]
                                        ; implicit-def: $vgpr22_vgpr23
	global_load_b128 v[18:21], v[4:5], off
	s_wait_loadcnt 0x0
	v_cmp_ngt_f64_e64 s94, |v[18:19]|, |v[20:21]|
	s_and_saveexec_b32 s95, s94
	s_delay_alu instid0(SALU_CYCLE_1)
	s_xor_b32 s94, exec_lo, s95
	s_cbranch_execz .LBB84_507
; %bb.506:                              ;   in Loop: Header=BB84_3 Depth=1
	v_div_scale_f64 v[4:5], null, -v[20:21], -v[20:21], v[18:19]
	v_div_scale_f64 v[204:205], vcc_lo, v[18:19], -v[20:21], v[18:19]
	s_delay_alu instid0(VALU_DEP_2) | instskip(SKIP_1) | instid1(TRANS32_DEP_1)
	v_rcp_f64_e32 v[22:23], v[4:5]
	v_nop
	v_fma_f64 v[24:25], -v[4:5], v[22:23], 1.0
	s_delay_alu instid0(VALU_DEP_1) | instskip(NEXT) | instid1(VALU_DEP_1)
	v_fmac_f64_e32 v[22:23], v[22:23], v[24:25]
	v_fma_f64 v[24:25], -v[4:5], v[22:23], 1.0
	s_delay_alu instid0(VALU_DEP_1) | instskip(NEXT) | instid1(VALU_DEP_1)
	v_fmac_f64_e32 v[22:23], v[22:23], v[24:25]
	v_mul_f64_e32 v[24:25], v[204:205], v[22:23]
	s_delay_alu instid0(VALU_DEP_1) | instskip(NEXT) | instid1(VALU_DEP_1)
	v_fma_f64 v[4:5], -v[4:5], v[24:25], v[204:205]
	v_div_fmas_f64 v[4:5], v[4:5], v[22:23], v[24:25]
	s_delay_alu instid0(VALU_DEP_1) | instskip(NEXT) | instid1(VALU_DEP_1)
	v_div_fixup_f64 v[4:5], v[4:5], -v[20:21], v[18:19]
	v_fma_f64 v[18:19], v[18:19], v[4:5], -v[20:21]
	s_delay_alu instid0(VALU_DEP_1) | instskip(NEXT) | instid1(VALU_DEP_1)
	v_div_scale_f64 v[20:21], null, v[18:19], v[18:19], 1.0
	v_rcp_f64_e32 v[22:23], v[20:21]
	v_nop
	s_delay_alu instid0(TRANS32_DEP_1) | instskip(NEXT) | instid1(VALU_DEP_1)
	v_fma_f64 v[24:25], -v[20:21], v[22:23], 1.0
	v_fmac_f64_e32 v[22:23], v[22:23], v[24:25]
	s_delay_alu instid0(VALU_DEP_1) | instskip(NEXT) | instid1(VALU_DEP_1)
	v_fma_f64 v[24:25], -v[20:21], v[22:23], 1.0
	v_fmac_f64_e32 v[22:23], v[22:23], v[24:25]
	v_div_scale_f64 v[24:25], vcc_lo, 1.0, v[18:19], 1.0
	s_delay_alu instid0(VALU_DEP_1) | instskip(NEXT) | instid1(VALU_DEP_1)
	v_mul_f64_e32 v[204:205], v[24:25], v[22:23]
	v_fma_f64 v[20:21], -v[20:21], v[204:205], v[24:25]
	s_delay_alu instid0(VALU_DEP_1) | instskip(NEXT) | instid1(VALU_DEP_1)
	v_div_fmas_f64 v[20:21], v[20:21], v[22:23], v[204:205]
	v_div_fixup_f64 v[24:25], v[20:21], v[18:19], 1.0
                                        ; implicit-def: $vgpr18_vgpr19
	s_delay_alu instid0(VALU_DEP_1)
	v_mul_f64_e32 v[22:23], v[4:5], v[24:25]
	v_xor_b32_e32 v25, 0x80000000, v25
.LBB84_507:                             ;   in Loop: Header=BB84_3 Depth=1
	s_and_not1_saveexec_b32 s94, s94
	s_cbranch_execz .LBB84_509
; %bb.508:                              ;   in Loop: Header=BB84_3 Depth=1
	v_div_scale_f64 v[4:5], null, v[18:19], v[18:19], -v[20:21]
	v_div_scale_f64 v[204:205], vcc_lo, -v[20:21], v[18:19], -v[20:21]
	s_delay_alu instid0(VALU_DEP_2) | instskip(SKIP_1) | instid1(TRANS32_DEP_1)
	v_rcp_f64_e32 v[22:23], v[4:5]
	v_nop
	v_fma_f64 v[24:25], -v[4:5], v[22:23], 1.0
	s_delay_alu instid0(VALU_DEP_1) | instskip(NEXT) | instid1(VALU_DEP_1)
	v_fmac_f64_e32 v[22:23], v[22:23], v[24:25]
	v_fma_f64 v[24:25], -v[4:5], v[22:23], 1.0
	s_delay_alu instid0(VALU_DEP_1) | instskip(NEXT) | instid1(VALU_DEP_1)
	v_fmac_f64_e32 v[22:23], v[22:23], v[24:25]
	v_mul_f64_e32 v[24:25], v[204:205], v[22:23]
	s_delay_alu instid0(VALU_DEP_1) | instskip(NEXT) | instid1(VALU_DEP_1)
	v_fma_f64 v[4:5], -v[4:5], v[24:25], v[204:205]
	v_div_fmas_f64 v[4:5], v[4:5], v[22:23], v[24:25]
	s_delay_alu instid0(VALU_DEP_1) | instskip(NEXT) | instid1(VALU_DEP_1)
	v_div_fixup_f64 v[4:5], v[4:5], v[18:19], -v[20:21]
	v_fma_f64 v[18:19], -v[20:21], v[4:5], v[18:19]
	s_delay_alu instid0(VALU_DEP_1) | instskip(NEXT) | instid1(VALU_DEP_1)
	v_div_scale_f64 v[20:21], null, v[18:19], v[18:19], 1.0
	v_rcp_f64_e32 v[22:23], v[20:21]
	v_nop
	s_delay_alu instid0(TRANS32_DEP_1) | instskip(NEXT) | instid1(VALU_DEP_1)
	v_fma_f64 v[24:25], -v[20:21], v[22:23], 1.0
	v_fmac_f64_e32 v[22:23], v[22:23], v[24:25]
	s_delay_alu instid0(VALU_DEP_1) | instskip(NEXT) | instid1(VALU_DEP_1)
	v_fma_f64 v[24:25], -v[20:21], v[22:23], 1.0
	v_fmac_f64_e32 v[22:23], v[22:23], v[24:25]
	v_div_scale_f64 v[24:25], vcc_lo, 1.0, v[18:19], 1.0
	s_delay_alu instid0(VALU_DEP_1) | instskip(NEXT) | instid1(VALU_DEP_1)
	v_mul_f64_e32 v[204:205], v[24:25], v[22:23]
	v_fma_f64 v[20:21], -v[20:21], v[204:205], v[24:25]
	s_delay_alu instid0(VALU_DEP_1) | instskip(NEXT) | instid1(VALU_DEP_1)
	v_div_fmas_f64 v[20:21], v[20:21], v[22:23], v[204:205]
	v_div_fixup_f64 v[22:23], v[20:21], v[18:19], 1.0
	s_delay_alu instid0(VALU_DEP_1)
	v_mul_f64_e64 v[24:25], v[4:5], -v[22:23]
.LBB84_509:                             ;   in Loop: Header=BB84_3 Depth=1
	s_or_b32 exec_lo, exec_lo, s94
	ds_store_b128 v196, v[22:25]
.LBB84_510:                             ;   in Loop: Header=BB84_3 Depth=1
	s_or_b32 exec_lo, exec_lo, s47
	s_and_not1_saveexec_b32 s46, s46
	s_cbranch_execz .LBB84_12
.LBB84_511:                             ;   in Loop: Header=BB84_3 Depth=1
	v_lshl_add_u64 v[4:5], v[34:35], 4, s[40:41]
	global_load_b128 v[18:21], v[4:5], off
	s_wait_loadcnt 0x0
	v_xor_b32_e32 v19, 0x80000000, v19
	ds_store_b128 v196, v[18:21]
	s_or_b32 exec_lo, exec_lo, s46
	s_and_saveexec_b32 s46, s7
	s_delay_alu instid0(SALU_CYCLE_1)
	s_xor_b32 s46, exec_lo, s46
	s_cbranch_execz .LBB84_13
.LBB84_512:                             ;   in Loop: Header=BB84_3 Depth=1
	s_mov_b32 s47, exec_lo
	v_readlane_b32 s94, v203, 15
	s_and_b32 s94, s47, s94
	s_delay_alu instid0(SALU_CYCLE_1)
	s_xor_b32 s47, s94, s47
	s_mov_b32 exec_lo, s94
	s_cbranch_execz .LBB84_516
; %bb.513:                              ;   in Loop: Header=BB84_3 Depth=1
	s_mov_b32 s94, exec_lo
	v_readlane_b32 s95, v203, 29
	s_and_b32 s95, s94, s95
	s_delay_alu instid0(SALU_CYCLE_1)
	s_mov_b32 exec_lo, s95
; %bb.514:                              ;   in Loop: Header=BB84_3 Depth=1
	v_dual_mov_b32 v3, v2 :: v_dual_mov_b32 v4, v2
	v_mov_b32_e32 v5, v2
	ds_store_b128 v197, v[2:5]
; %bb.515:                              ;   in Loop: Header=BB84_3 Depth=1
	s_or_b32 exec_lo, exec_lo, s94
.LBB84_516:                             ;   in Loop: Header=BB84_3 Depth=1
	s_and_not1_saveexec_b32 s47, s47
	s_cbranch_execz .LBB84_522
; %bb.517:                              ;   in Loop: Header=BB84_3 Depth=1
	v_lshl_add_u64 v[4:5], v[38:39], 4, s[40:41]
                                        ; implicit-def: $vgpr22_vgpr23
	global_load_b128 v[18:21], v[4:5], off
	s_wait_loadcnt 0x0
	v_cmp_ngt_f64_e64 s94, |v[18:19]|, |v[20:21]|
	s_and_saveexec_b32 s95, s94
	s_delay_alu instid0(SALU_CYCLE_1)
	s_xor_b32 s94, exec_lo, s95
	s_cbranch_execz .LBB84_519
; %bb.518:                              ;   in Loop: Header=BB84_3 Depth=1
	v_div_scale_f64 v[4:5], null, -v[20:21], -v[20:21], v[18:19]
	v_div_scale_f64 v[204:205], vcc_lo, v[18:19], -v[20:21], v[18:19]
	s_delay_alu instid0(VALU_DEP_2) | instskip(SKIP_1) | instid1(TRANS32_DEP_1)
	v_rcp_f64_e32 v[22:23], v[4:5]
	v_nop
	v_fma_f64 v[24:25], -v[4:5], v[22:23], 1.0
	s_delay_alu instid0(VALU_DEP_1) | instskip(NEXT) | instid1(VALU_DEP_1)
	v_fmac_f64_e32 v[22:23], v[22:23], v[24:25]
	v_fma_f64 v[24:25], -v[4:5], v[22:23], 1.0
	s_delay_alu instid0(VALU_DEP_1) | instskip(NEXT) | instid1(VALU_DEP_1)
	v_fmac_f64_e32 v[22:23], v[22:23], v[24:25]
	v_mul_f64_e32 v[24:25], v[204:205], v[22:23]
	s_delay_alu instid0(VALU_DEP_1) | instskip(NEXT) | instid1(VALU_DEP_1)
	v_fma_f64 v[4:5], -v[4:5], v[24:25], v[204:205]
	v_div_fmas_f64 v[4:5], v[4:5], v[22:23], v[24:25]
	s_delay_alu instid0(VALU_DEP_1) | instskip(NEXT) | instid1(VALU_DEP_1)
	v_div_fixup_f64 v[4:5], v[4:5], -v[20:21], v[18:19]
	v_fma_f64 v[18:19], v[18:19], v[4:5], -v[20:21]
	s_delay_alu instid0(VALU_DEP_1) | instskip(NEXT) | instid1(VALU_DEP_1)
	v_div_scale_f64 v[20:21], null, v[18:19], v[18:19], 1.0
	v_rcp_f64_e32 v[22:23], v[20:21]
	v_nop
	s_delay_alu instid0(TRANS32_DEP_1) | instskip(NEXT) | instid1(VALU_DEP_1)
	v_fma_f64 v[24:25], -v[20:21], v[22:23], 1.0
	v_fmac_f64_e32 v[22:23], v[22:23], v[24:25]
	s_delay_alu instid0(VALU_DEP_1) | instskip(NEXT) | instid1(VALU_DEP_1)
	v_fma_f64 v[24:25], -v[20:21], v[22:23], 1.0
	v_fmac_f64_e32 v[22:23], v[22:23], v[24:25]
	v_div_scale_f64 v[24:25], vcc_lo, 1.0, v[18:19], 1.0
	s_delay_alu instid0(VALU_DEP_1) | instskip(NEXT) | instid1(VALU_DEP_1)
	v_mul_f64_e32 v[204:205], v[24:25], v[22:23]
	v_fma_f64 v[20:21], -v[20:21], v[204:205], v[24:25]
	s_delay_alu instid0(VALU_DEP_1) | instskip(NEXT) | instid1(VALU_DEP_1)
	v_div_fmas_f64 v[20:21], v[20:21], v[22:23], v[204:205]
	v_div_fixup_f64 v[24:25], v[20:21], v[18:19], 1.0
                                        ; implicit-def: $vgpr18_vgpr19
	s_delay_alu instid0(VALU_DEP_1)
	v_mul_f64_e32 v[22:23], v[4:5], v[24:25]
	v_xor_b32_e32 v25, 0x80000000, v25
.LBB84_519:                             ;   in Loop: Header=BB84_3 Depth=1
	s_and_not1_saveexec_b32 s94, s94
	s_cbranch_execz .LBB84_521
; %bb.520:                              ;   in Loop: Header=BB84_3 Depth=1
	v_div_scale_f64 v[4:5], null, v[18:19], v[18:19], -v[20:21]
	v_div_scale_f64 v[204:205], vcc_lo, -v[20:21], v[18:19], -v[20:21]
	s_delay_alu instid0(VALU_DEP_2) | instskip(SKIP_1) | instid1(TRANS32_DEP_1)
	v_rcp_f64_e32 v[22:23], v[4:5]
	v_nop
	v_fma_f64 v[24:25], -v[4:5], v[22:23], 1.0
	s_delay_alu instid0(VALU_DEP_1) | instskip(NEXT) | instid1(VALU_DEP_1)
	v_fmac_f64_e32 v[22:23], v[22:23], v[24:25]
	v_fma_f64 v[24:25], -v[4:5], v[22:23], 1.0
	s_delay_alu instid0(VALU_DEP_1) | instskip(NEXT) | instid1(VALU_DEP_1)
	v_fmac_f64_e32 v[22:23], v[22:23], v[24:25]
	v_mul_f64_e32 v[24:25], v[204:205], v[22:23]
	s_delay_alu instid0(VALU_DEP_1) | instskip(NEXT) | instid1(VALU_DEP_1)
	v_fma_f64 v[4:5], -v[4:5], v[24:25], v[204:205]
	v_div_fmas_f64 v[4:5], v[4:5], v[22:23], v[24:25]
	s_delay_alu instid0(VALU_DEP_1) | instskip(NEXT) | instid1(VALU_DEP_1)
	v_div_fixup_f64 v[4:5], v[4:5], v[18:19], -v[20:21]
	v_fma_f64 v[18:19], -v[20:21], v[4:5], v[18:19]
	s_delay_alu instid0(VALU_DEP_1) | instskip(NEXT) | instid1(VALU_DEP_1)
	v_div_scale_f64 v[20:21], null, v[18:19], v[18:19], 1.0
	v_rcp_f64_e32 v[22:23], v[20:21]
	v_nop
	s_delay_alu instid0(TRANS32_DEP_1) | instskip(NEXT) | instid1(VALU_DEP_1)
	v_fma_f64 v[24:25], -v[20:21], v[22:23], 1.0
	v_fmac_f64_e32 v[22:23], v[22:23], v[24:25]
	s_delay_alu instid0(VALU_DEP_1) | instskip(NEXT) | instid1(VALU_DEP_1)
	v_fma_f64 v[24:25], -v[20:21], v[22:23], 1.0
	v_fmac_f64_e32 v[22:23], v[22:23], v[24:25]
	v_div_scale_f64 v[24:25], vcc_lo, 1.0, v[18:19], 1.0
	s_delay_alu instid0(VALU_DEP_1) | instskip(NEXT) | instid1(VALU_DEP_1)
	v_mul_f64_e32 v[204:205], v[24:25], v[22:23]
	v_fma_f64 v[20:21], -v[20:21], v[204:205], v[24:25]
	s_delay_alu instid0(VALU_DEP_1) | instskip(NEXT) | instid1(VALU_DEP_1)
	v_div_fmas_f64 v[20:21], v[20:21], v[22:23], v[204:205]
	v_div_fixup_f64 v[22:23], v[20:21], v[18:19], 1.0
	s_delay_alu instid0(VALU_DEP_1)
	v_mul_f64_e64 v[24:25], v[4:5], -v[22:23]
.LBB84_521:                             ;   in Loop: Header=BB84_3 Depth=1
	s_or_b32 exec_lo, exec_lo, s94
	ds_store_b128 v197, v[22:25]
.LBB84_522:                             ;   in Loop: Header=BB84_3 Depth=1
	s_or_b32 exec_lo, exec_lo, s47
	s_and_not1_saveexec_b32 s46, s46
	s_cbranch_execnz .LBB84_14
	s_branch .LBB84_15
.LBB84_523:                             ;   in Loop: Header=BB84_3 Depth=1
	s_mov_b32 s47, exec_lo
	v_readlane_b32 s94, v203, 14
	s_and_b32 s94, s47, s94
	s_delay_alu instid0(SALU_CYCLE_1)
	s_xor_b32 s47, s94, s47
	s_mov_b32 exec_lo, s94
	s_cbranch_execz .LBB84_527
; %bb.524:                              ;   in Loop: Header=BB84_3 Depth=1
	s_mov_b32 s94, exec_lo
	v_readlane_b32 s95, v203, 28
	s_and_b32 s95, s94, s95
	s_delay_alu instid0(SALU_CYCLE_1)
	s_mov_b32 exec_lo, s95
; %bb.525:                              ;   in Loop: Header=BB84_3 Depth=1
	v_dual_mov_b32 v3, v2 :: v_dual_mov_b32 v4, v2
	v_mov_b32_e32 v5, v2
	ds_store_b128 v191, v[2:5]
; %bb.526:                              ;   in Loop: Header=BB84_3 Depth=1
	s_or_b32 exec_lo, exec_lo, s94
.LBB84_527:                             ;   in Loop: Header=BB84_3 Depth=1
	s_and_not1_saveexec_b32 s47, s47
	s_cbranch_execz .LBB84_533
; %bb.528:                              ;   in Loop: Header=BB84_3 Depth=1
	v_lshl_add_u64 v[4:5], v[34:35], 4, s[40:41]
                                        ; implicit-def: $vgpr22_vgpr23
	global_load_b128 v[18:21], v[4:5], off
	s_wait_loadcnt 0x0
	v_cmp_ngt_f64_e64 s94, |v[18:19]|, |v[20:21]|
	s_and_saveexec_b32 s95, s94
	s_delay_alu instid0(SALU_CYCLE_1)
	s_xor_b32 s94, exec_lo, s95
	s_cbranch_execz .LBB84_530
; %bb.529:                              ;   in Loop: Header=BB84_3 Depth=1
	v_div_scale_f64 v[4:5], null, -v[20:21], -v[20:21], v[18:19]
	v_div_scale_f64 v[204:205], vcc_lo, v[18:19], -v[20:21], v[18:19]
	s_delay_alu instid0(VALU_DEP_2) | instskip(SKIP_1) | instid1(TRANS32_DEP_1)
	v_rcp_f64_e32 v[22:23], v[4:5]
	v_nop
	v_fma_f64 v[24:25], -v[4:5], v[22:23], 1.0
	s_delay_alu instid0(VALU_DEP_1) | instskip(NEXT) | instid1(VALU_DEP_1)
	v_fmac_f64_e32 v[22:23], v[22:23], v[24:25]
	v_fma_f64 v[24:25], -v[4:5], v[22:23], 1.0
	s_delay_alu instid0(VALU_DEP_1) | instskip(NEXT) | instid1(VALU_DEP_1)
	v_fmac_f64_e32 v[22:23], v[22:23], v[24:25]
	v_mul_f64_e32 v[24:25], v[204:205], v[22:23]
	s_delay_alu instid0(VALU_DEP_1) | instskip(NEXT) | instid1(VALU_DEP_1)
	v_fma_f64 v[4:5], -v[4:5], v[24:25], v[204:205]
	v_div_fmas_f64 v[4:5], v[4:5], v[22:23], v[24:25]
	s_delay_alu instid0(VALU_DEP_1) | instskip(NEXT) | instid1(VALU_DEP_1)
	v_div_fixup_f64 v[4:5], v[4:5], -v[20:21], v[18:19]
	v_fma_f64 v[18:19], v[18:19], v[4:5], -v[20:21]
	s_delay_alu instid0(VALU_DEP_1) | instskip(NEXT) | instid1(VALU_DEP_1)
	v_div_scale_f64 v[20:21], null, v[18:19], v[18:19], 1.0
	v_rcp_f64_e32 v[22:23], v[20:21]
	v_nop
	s_delay_alu instid0(TRANS32_DEP_1) | instskip(NEXT) | instid1(VALU_DEP_1)
	v_fma_f64 v[24:25], -v[20:21], v[22:23], 1.0
	v_fmac_f64_e32 v[22:23], v[22:23], v[24:25]
	s_delay_alu instid0(VALU_DEP_1) | instskip(NEXT) | instid1(VALU_DEP_1)
	v_fma_f64 v[24:25], -v[20:21], v[22:23], 1.0
	v_fmac_f64_e32 v[22:23], v[22:23], v[24:25]
	v_div_scale_f64 v[24:25], vcc_lo, 1.0, v[18:19], 1.0
	s_delay_alu instid0(VALU_DEP_1) | instskip(NEXT) | instid1(VALU_DEP_1)
	v_mul_f64_e32 v[204:205], v[24:25], v[22:23]
	v_fma_f64 v[20:21], -v[20:21], v[204:205], v[24:25]
	s_delay_alu instid0(VALU_DEP_1) | instskip(NEXT) | instid1(VALU_DEP_1)
	v_div_fmas_f64 v[20:21], v[20:21], v[22:23], v[204:205]
	v_div_fixup_f64 v[24:25], v[20:21], v[18:19], 1.0
                                        ; implicit-def: $vgpr18_vgpr19
	s_delay_alu instid0(VALU_DEP_1)
	v_mul_f64_e32 v[22:23], v[4:5], v[24:25]
	v_xor_b32_e32 v25, 0x80000000, v25
.LBB84_530:                             ;   in Loop: Header=BB84_3 Depth=1
	s_and_not1_saveexec_b32 s94, s94
	s_cbranch_execz .LBB84_532
; %bb.531:                              ;   in Loop: Header=BB84_3 Depth=1
	v_div_scale_f64 v[4:5], null, v[18:19], v[18:19], -v[20:21]
	v_div_scale_f64 v[204:205], vcc_lo, -v[20:21], v[18:19], -v[20:21]
	s_delay_alu instid0(VALU_DEP_2) | instskip(SKIP_1) | instid1(TRANS32_DEP_1)
	v_rcp_f64_e32 v[22:23], v[4:5]
	v_nop
	v_fma_f64 v[24:25], -v[4:5], v[22:23], 1.0
	s_delay_alu instid0(VALU_DEP_1) | instskip(NEXT) | instid1(VALU_DEP_1)
	v_fmac_f64_e32 v[22:23], v[22:23], v[24:25]
	v_fma_f64 v[24:25], -v[4:5], v[22:23], 1.0
	s_delay_alu instid0(VALU_DEP_1) | instskip(NEXT) | instid1(VALU_DEP_1)
	v_fmac_f64_e32 v[22:23], v[22:23], v[24:25]
	v_mul_f64_e32 v[24:25], v[204:205], v[22:23]
	s_delay_alu instid0(VALU_DEP_1) | instskip(NEXT) | instid1(VALU_DEP_1)
	v_fma_f64 v[4:5], -v[4:5], v[24:25], v[204:205]
	v_div_fmas_f64 v[4:5], v[4:5], v[22:23], v[24:25]
	s_delay_alu instid0(VALU_DEP_1) | instskip(NEXT) | instid1(VALU_DEP_1)
	v_div_fixup_f64 v[4:5], v[4:5], v[18:19], -v[20:21]
	v_fma_f64 v[18:19], -v[20:21], v[4:5], v[18:19]
	s_delay_alu instid0(VALU_DEP_1) | instskip(NEXT) | instid1(VALU_DEP_1)
	v_div_scale_f64 v[20:21], null, v[18:19], v[18:19], 1.0
	v_rcp_f64_e32 v[22:23], v[20:21]
	v_nop
	s_delay_alu instid0(TRANS32_DEP_1) | instskip(NEXT) | instid1(VALU_DEP_1)
	v_fma_f64 v[24:25], -v[20:21], v[22:23], 1.0
	v_fmac_f64_e32 v[22:23], v[22:23], v[24:25]
	s_delay_alu instid0(VALU_DEP_1) | instskip(NEXT) | instid1(VALU_DEP_1)
	v_fma_f64 v[24:25], -v[20:21], v[22:23], 1.0
	v_fmac_f64_e32 v[22:23], v[22:23], v[24:25]
	v_div_scale_f64 v[24:25], vcc_lo, 1.0, v[18:19], 1.0
	s_delay_alu instid0(VALU_DEP_1) | instskip(NEXT) | instid1(VALU_DEP_1)
	v_mul_f64_e32 v[204:205], v[24:25], v[22:23]
	v_fma_f64 v[20:21], -v[20:21], v[204:205], v[24:25]
	s_delay_alu instid0(VALU_DEP_1) | instskip(NEXT) | instid1(VALU_DEP_1)
	v_div_fmas_f64 v[20:21], v[20:21], v[22:23], v[204:205]
	v_div_fixup_f64 v[22:23], v[20:21], v[18:19], 1.0
	s_delay_alu instid0(VALU_DEP_1)
	v_mul_f64_e64 v[24:25], v[4:5], -v[22:23]
.LBB84_532:                             ;   in Loop: Header=BB84_3 Depth=1
	s_or_b32 exec_lo, exec_lo, s94
	ds_store_b128 v191, v[22:25]
.LBB84_533:                             ;   in Loop: Header=BB84_3 Depth=1
	s_or_b32 exec_lo, exec_lo, s47
	s_and_not1_saveexec_b32 s46, s46
	s_cbranch_execz .LBB84_19
.LBB84_534:                             ;   in Loop: Header=BB84_3 Depth=1
	v_lshl_add_u64 v[4:5], v[34:35], 4, s[40:41]
	global_load_b128 v[18:21], v[4:5], off
	s_wait_loadcnt 0x0
	v_xor_b32_e32 v19, 0x80000000, v19
	ds_store_b128 v191, v[18:21]
	s_or_b32 exec_lo, exec_lo, s46
	s_and_saveexec_b32 s46, s93
	s_delay_alu instid0(SALU_CYCLE_1)
	s_xor_b32 s46, exec_lo, s46
	s_cbranch_execz .LBB84_20
.LBB84_535:                             ;   in Loop: Header=BB84_3 Depth=1
	s_mov_b32 s47, exec_lo
	v_readlane_b32 s94, v203, 16
	s_and_b32 s94, s47, s94
	s_delay_alu instid0(SALU_CYCLE_1)
	s_xor_b32 s47, s94, s47
	s_mov_b32 exec_lo, s94
	s_cbranch_execz .LBB84_539
; %bb.536:                              ;   in Loop: Header=BB84_3 Depth=1
	s_mov_b32 s94, exec_lo
	v_readlane_b32 s95, v203, 29
	s_and_b32 s95, s94, s95
	s_delay_alu instid0(SALU_CYCLE_1)
	s_mov_b32 exec_lo, s95
; %bb.537:                              ;   in Loop: Header=BB84_3 Depth=1
	v_dual_mov_b32 v3, v2 :: v_dual_mov_b32 v4, v2
	v_mov_b32_e32 v5, v2
	ds_store_b128 v197, v[2:5]
; %bb.538:                              ;   in Loop: Header=BB84_3 Depth=1
	s_or_b32 exec_lo, exec_lo, s94
.LBB84_539:                             ;   in Loop: Header=BB84_3 Depth=1
	s_and_not1_saveexec_b32 s47, s47
	s_cbranch_execz .LBB84_545
; %bb.540:                              ;   in Loop: Header=BB84_3 Depth=1
	v_lshl_add_u64 v[4:5], v[38:39], 4, s[40:41]
                                        ; implicit-def: $vgpr22_vgpr23
	global_load_b128 v[18:21], v[4:5], off
	s_wait_loadcnt 0x0
	v_cmp_ngt_f64_e64 s94, |v[18:19]|, |v[20:21]|
	s_and_saveexec_b32 s95, s94
	s_delay_alu instid0(SALU_CYCLE_1)
	s_xor_b32 s94, exec_lo, s95
	s_cbranch_execz .LBB84_542
; %bb.541:                              ;   in Loop: Header=BB84_3 Depth=1
	v_div_scale_f64 v[4:5], null, -v[20:21], -v[20:21], v[18:19]
	v_div_scale_f64 v[204:205], vcc_lo, v[18:19], -v[20:21], v[18:19]
	s_delay_alu instid0(VALU_DEP_2) | instskip(SKIP_1) | instid1(TRANS32_DEP_1)
	v_rcp_f64_e32 v[22:23], v[4:5]
	v_nop
	v_fma_f64 v[24:25], -v[4:5], v[22:23], 1.0
	s_delay_alu instid0(VALU_DEP_1) | instskip(NEXT) | instid1(VALU_DEP_1)
	v_fmac_f64_e32 v[22:23], v[22:23], v[24:25]
	v_fma_f64 v[24:25], -v[4:5], v[22:23], 1.0
	s_delay_alu instid0(VALU_DEP_1) | instskip(NEXT) | instid1(VALU_DEP_1)
	v_fmac_f64_e32 v[22:23], v[22:23], v[24:25]
	v_mul_f64_e32 v[24:25], v[204:205], v[22:23]
	s_delay_alu instid0(VALU_DEP_1) | instskip(NEXT) | instid1(VALU_DEP_1)
	v_fma_f64 v[4:5], -v[4:5], v[24:25], v[204:205]
	v_div_fmas_f64 v[4:5], v[4:5], v[22:23], v[24:25]
	s_delay_alu instid0(VALU_DEP_1) | instskip(NEXT) | instid1(VALU_DEP_1)
	v_div_fixup_f64 v[4:5], v[4:5], -v[20:21], v[18:19]
	v_fma_f64 v[18:19], v[18:19], v[4:5], -v[20:21]
	s_delay_alu instid0(VALU_DEP_1) | instskip(NEXT) | instid1(VALU_DEP_1)
	v_div_scale_f64 v[20:21], null, v[18:19], v[18:19], 1.0
	v_rcp_f64_e32 v[22:23], v[20:21]
	v_nop
	s_delay_alu instid0(TRANS32_DEP_1) | instskip(NEXT) | instid1(VALU_DEP_1)
	v_fma_f64 v[24:25], -v[20:21], v[22:23], 1.0
	v_fmac_f64_e32 v[22:23], v[22:23], v[24:25]
	s_delay_alu instid0(VALU_DEP_1) | instskip(NEXT) | instid1(VALU_DEP_1)
	v_fma_f64 v[24:25], -v[20:21], v[22:23], 1.0
	v_fmac_f64_e32 v[22:23], v[22:23], v[24:25]
	v_div_scale_f64 v[24:25], vcc_lo, 1.0, v[18:19], 1.0
	s_delay_alu instid0(VALU_DEP_1) | instskip(NEXT) | instid1(VALU_DEP_1)
	v_mul_f64_e32 v[204:205], v[24:25], v[22:23]
	v_fma_f64 v[20:21], -v[20:21], v[204:205], v[24:25]
	s_delay_alu instid0(VALU_DEP_1) | instskip(NEXT) | instid1(VALU_DEP_1)
	v_div_fmas_f64 v[20:21], v[20:21], v[22:23], v[204:205]
	v_div_fixup_f64 v[24:25], v[20:21], v[18:19], 1.0
                                        ; implicit-def: $vgpr18_vgpr19
	s_delay_alu instid0(VALU_DEP_1)
	v_mul_f64_e32 v[22:23], v[4:5], v[24:25]
	v_xor_b32_e32 v25, 0x80000000, v25
.LBB84_542:                             ;   in Loop: Header=BB84_3 Depth=1
	s_and_not1_saveexec_b32 s94, s94
	s_cbranch_execz .LBB84_544
; %bb.543:                              ;   in Loop: Header=BB84_3 Depth=1
	v_div_scale_f64 v[4:5], null, v[18:19], v[18:19], -v[20:21]
	v_div_scale_f64 v[204:205], vcc_lo, -v[20:21], v[18:19], -v[20:21]
	s_delay_alu instid0(VALU_DEP_2) | instskip(SKIP_1) | instid1(TRANS32_DEP_1)
	v_rcp_f64_e32 v[22:23], v[4:5]
	v_nop
	v_fma_f64 v[24:25], -v[4:5], v[22:23], 1.0
	s_delay_alu instid0(VALU_DEP_1) | instskip(NEXT) | instid1(VALU_DEP_1)
	v_fmac_f64_e32 v[22:23], v[22:23], v[24:25]
	v_fma_f64 v[24:25], -v[4:5], v[22:23], 1.0
	s_delay_alu instid0(VALU_DEP_1) | instskip(NEXT) | instid1(VALU_DEP_1)
	v_fmac_f64_e32 v[22:23], v[22:23], v[24:25]
	v_mul_f64_e32 v[24:25], v[204:205], v[22:23]
	s_delay_alu instid0(VALU_DEP_1) | instskip(NEXT) | instid1(VALU_DEP_1)
	v_fma_f64 v[4:5], -v[4:5], v[24:25], v[204:205]
	v_div_fmas_f64 v[4:5], v[4:5], v[22:23], v[24:25]
	s_delay_alu instid0(VALU_DEP_1) | instskip(NEXT) | instid1(VALU_DEP_1)
	v_div_fixup_f64 v[4:5], v[4:5], v[18:19], -v[20:21]
	v_fma_f64 v[18:19], -v[20:21], v[4:5], v[18:19]
	s_delay_alu instid0(VALU_DEP_1) | instskip(NEXT) | instid1(VALU_DEP_1)
	v_div_scale_f64 v[20:21], null, v[18:19], v[18:19], 1.0
	v_rcp_f64_e32 v[22:23], v[20:21]
	v_nop
	s_delay_alu instid0(TRANS32_DEP_1) | instskip(NEXT) | instid1(VALU_DEP_1)
	v_fma_f64 v[24:25], -v[20:21], v[22:23], 1.0
	v_fmac_f64_e32 v[22:23], v[22:23], v[24:25]
	s_delay_alu instid0(VALU_DEP_1) | instskip(NEXT) | instid1(VALU_DEP_1)
	v_fma_f64 v[24:25], -v[20:21], v[22:23], 1.0
	v_fmac_f64_e32 v[22:23], v[22:23], v[24:25]
	v_div_scale_f64 v[24:25], vcc_lo, 1.0, v[18:19], 1.0
	s_delay_alu instid0(VALU_DEP_1) | instskip(NEXT) | instid1(VALU_DEP_1)
	v_mul_f64_e32 v[204:205], v[24:25], v[22:23]
	v_fma_f64 v[20:21], -v[20:21], v[204:205], v[24:25]
	s_delay_alu instid0(VALU_DEP_1) | instskip(NEXT) | instid1(VALU_DEP_1)
	v_div_fmas_f64 v[20:21], v[20:21], v[22:23], v[204:205]
	v_div_fixup_f64 v[22:23], v[20:21], v[18:19], 1.0
	s_delay_alu instid0(VALU_DEP_1)
	v_mul_f64_e64 v[24:25], v[4:5], -v[22:23]
.LBB84_544:                             ;   in Loop: Header=BB84_3 Depth=1
	s_or_b32 exec_lo, exec_lo, s94
	ds_store_b128 v197, v[22:25]
.LBB84_545:                             ;   in Loop: Header=BB84_3 Depth=1
	s_or_b32 exec_lo, exec_lo, s47
	s_and_not1_saveexec_b32 s46, s46
	s_cbranch_execnz .LBB84_21
	s_branch .LBB84_22
.LBB84_546:                             ;   in Loop: Header=BB84_3 Depth=1
	s_or_b32 exec_lo, exec_lo, vcc_lo
	s_delay_alu instid0(SALU_CYCLE_1)
	s_and_b32 vcc_lo, exec_lo, s47
	s_cbranch_vccnz .LBB84_484
.LBB84_547:                             ;   in Loop: Header=BB84_3 Depth=1
	s_delay_alu instid0(VALU_DEP_1) | instskip(NEXT) | instid1(VALU_DEP_3)
	v_mov_b64_e32 v[20:21], v[4:5]
	v_mov_b64_e32 v[18:19], v[22:23]
	s_and_saveexec_b32 s47, s46
	s_cbranch_execnz .LBB84_497
	s_branch .LBB84_498
.LBB84_548:                             ;   in Loop: Header=BB84_3 Depth=1
	s_and_not1_b32 s46, s46, exec_lo
	s_and_b32 s94, s1, exec_lo
	s_delay_alu instid0(SALU_CYCLE_1)
	s_or_b32 s46, s46, s94
	s_cbranch_execnz .LBB84_496
.LBB84_549:                             ;   in Loop: Header=BB84_3 Depth=1
	v_readlane_b32 s47, v203, 12
	s_and_not1_b32 s46, s46, exec_lo
	s_and_b32 s47, s47, exec_lo
	s_delay_alu instid0(SALU_CYCLE_1) | instskip(NEXT) | instid1(SALU_CYCLE_1)
	s_or_b32 s46, s46, s47
	s_and_saveexec_b32 s47, s46
	s_cbranch_execnz .LBB84_497
	s_branch .LBB84_498
.LBB84_550:                             ;   in Loop: Header=BB84_3 Depth=1
	ds_load_b128 v[22:25], v46 offset:16
	ds_load_b128 v[204:207], v53 offset:576
	s_wait_dscnt 0x0
	v_mul_f64_e32 v[4:5], v[24:25], v[206:207]
	s_delay_alu instid0(VALU_DEP_1) | instskip(SKIP_1) | instid1(VALU_DEP_2)
	v_fma_f64 v[4:5], v[22:23], v[204:205], -v[4:5]
	v_mul_f64_e32 v[22:23], v[22:23], v[206:207]
	v_add_f64_e32 v[18:19], v[18:19], v[4:5]
	s_delay_alu instid0(VALU_DEP_2) | instskip(NEXT) | instid1(VALU_DEP_1)
	v_fmac_f64_e32 v[22:23], v[24:25], v[204:205]
	v_add_f64_e32 v[20:21], v[20:21], v[22:23]
	s_or_b32 exec_lo, exec_lo, s41
	s_and_saveexec_b32 s41, s12
	s_cbranch_execz .LBB84_45
.LBB84_551:                             ;   in Loop: Header=BB84_3 Depth=1
	ds_load_b128 v[22:25], v46 offset:32
	ds_load_b128 v[204:207], v52 offset:1088
	s_wait_dscnt 0x0
	v_mul_f64_e32 v[4:5], v[24:25], v[206:207]
	s_delay_alu instid0(VALU_DEP_1) | instskip(SKIP_1) | instid1(VALU_DEP_2)
	v_fma_f64 v[4:5], v[22:23], v[204:205], -v[4:5]
	v_mul_f64_e32 v[22:23], v[22:23], v[206:207]
	v_add_f64_e32 v[18:19], v[18:19], v[4:5]
	s_delay_alu instid0(VALU_DEP_2) | instskip(NEXT) | instid1(VALU_DEP_1)
	v_fmac_f64_e32 v[22:23], v[24:25], v[204:205]
	v_add_f64_e32 v[20:21], v[20:21], v[22:23]
	s_or_b32 exec_lo, exec_lo, s41
	s_and_saveexec_b32 s41, s0
	s_cbranch_execnz .LBB84_46
	s_branch .LBB84_47
.LBB84_552:                             ;   in Loop: Header=BB84_3 Depth=1
	ds_load_b128 v[22:25], v54 offset:16
	ds_load_b128 v[204:207], v60 offset:640
	s_wait_dscnt 0x0
	v_mul_f64_e32 v[4:5], v[24:25], v[206:207]
	s_delay_alu instid0(VALU_DEP_1) | instskip(SKIP_1) | instid1(VALU_DEP_2)
	v_fma_f64 v[4:5], v[22:23], v[204:205], -v[4:5]
	v_mul_f64_e32 v[22:23], v[22:23], v[206:207]
	v_add_f64_e32 v[18:19], v[18:19], v[4:5]
	s_delay_alu instid0(VALU_DEP_2) | instskip(NEXT) | instid1(VALU_DEP_1)
	v_fmac_f64_e32 v[22:23], v[24:25], v[204:205]
	v_add_f64_e32 v[20:21], v[20:21], v[22:23]
	s_or_b32 exec_lo, exec_lo, s41
	s_and_saveexec_b32 s41, s14
	s_cbranch_execz .LBB84_87
.LBB84_553:                             ;   in Loop: Header=BB84_3 Depth=1
	ds_load_b128 v[22:25], v54 offset:32
	ds_load_b128 v[204:207], v60 offset:1152
	s_wait_dscnt 0x0
	v_mul_f64_e32 v[4:5], v[24:25], v[206:207]
	s_delay_alu instid0(VALU_DEP_1) | instskip(SKIP_1) | instid1(VALU_DEP_2)
	v_fma_f64 v[4:5], v[22:23], v[204:205], -v[4:5]
	v_mul_f64_e32 v[22:23], v[22:23], v[206:207]
	v_add_f64_e32 v[18:19], v[18:19], v[4:5]
	s_delay_alu instid0(VALU_DEP_2) | instskip(NEXT) | instid1(VALU_DEP_1)
	v_fmac_f64_e32 v[22:23], v[24:25], v[204:205]
	v_add_f64_e32 v[20:21], v[20:21], v[22:23]
	s_or_b32 exec_lo, exec_lo, s41
	s_and_saveexec_b32 s41, s15
	s_cbranch_execz .LBB84_88
.LBB84_554:                             ;   in Loop: Header=BB84_3 Depth=1
	ds_load_b128 v[22:25], v54 offset:48
	ds_load_b128 v[204:207], v60 offset:1664
	s_wait_dscnt 0x0
	v_mul_f64_e32 v[4:5], v[24:25], v[206:207]
	s_delay_alu instid0(VALU_DEP_1) | instskip(SKIP_1) | instid1(VALU_DEP_2)
	v_fma_f64 v[4:5], v[22:23], v[204:205], -v[4:5]
	v_mul_f64_e32 v[22:23], v[22:23], v[206:207]
	v_add_f64_e32 v[18:19], v[18:19], v[4:5]
	s_delay_alu instid0(VALU_DEP_2) | instskip(NEXT) | instid1(VALU_DEP_1)
	v_fmac_f64_e32 v[22:23], v[24:25], v[204:205]
	v_add_f64_e32 v[20:21], v[20:21], v[22:23]
	s_or_b32 exec_lo, exec_lo, s41
	s_and_saveexec_b32 s41, s16
	s_cbranch_execz .LBB84_89
.LBB84_555:                             ;   in Loop: Header=BB84_3 Depth=1
	ds_load_b128 v[22:25], v54 offset:64
	ds_load_b128 v[204:207], v59 offset:2176
	s_wait_dscnt 0x0
	v_mul_f64_e32 v[4:5], v[24:25], v[206:207]
	s_delay_alu instid0(VALU_DEP_1) | instskip(SKIP_1) | instid1(VALU_DEP_2)
	v_fma_f64 v[4:5], v[22:23], v[204:205], -v[4:5]
	v_mul_f64_e32 v[22:23], v[22:23], v[206:207]
	v_add_f64_e32 v[18:19], v[18:19], v[4:5]
	s_delay_alu instid0(VALU_DEP_2) | instskip(NEXT) | instid1(VALU_DEP_1)
	v_fmac_f64_e32 v[22:23], v[24:25], v[204:205]
	v_add_f64_e32 v[20:21], v[20:21], v[22:23]
	s_or_b32 exec_lo, exec_lo, s41
	s_and_saveexec_b32 s41, s17
	s_cbranch_execz .LBB84_90
.LBB84_556:                             ;   in Loop: Header=BB84_3 Depth=1
	ds_load_b128 v[22:25], v54 offset:80
	ds_load_b128 v[204:207], v60 offset:2688
	s_wait_dscnt 0x0
	v_mul_f64_e32 v[4:5], v[24:25], v[206:207]
	s_delay_alu instid0(VALU_DEP_1) | instskip(SKIP_1) | instid1(VALU_DEP_2)
	v_fma_f64 v[4:5], v[22:23], v[204:205], -v[4:5]
	v_mul_f64_e32 v[22:23], v[22:23], v[206:207]
	v_add_f64_e32 v[18:19], v[18:19], v[4:5]
	s_delay_alu instid0(VALU_DEP_2) | instskip(NEXT) | instid1(VALU_DEP_1)
	v_fmac_f64_e32 v[22:23], v[24:25], v[204:205]
	v_add_f64_e32 v[20:21], v[20:21], v[22:23]
	s_or_b32 exec_lo, exec_lo, s41
	s_and_saveexec_b32 s41, s2
	s_cbranch_execz .LBB84_91
.LBB84_557:                             ;   in Loop: Header=BB84_3 Depth=1
	ds_load_b128 v[22:25], v54 offset:96
	ds_load_b128 v[204:207], v59 offset:3200
	s_wait_dscnt 0x0
	v_mul_f64_e32 v[4:5], v[24:25], v[206:207]
	s_delay_alu instid0(VALU_DEP_1) | instskip(SKIP_1) | instid1(VALU_DEP_2)
	v_fma_f64 v[4:5], v[22:23], v[204:205], -v[4:5]
	v_mul_f64_e32 v[22:23], v[22:23], v[206:207]
	v_add_f64_e32 v[18:19], v[18:19], v[4:5]
	s_delay_alu instid0(VALU_DEP_2) | instskip(NEXT) | instid1(VALU_DEP_1)
	v_fmac_f64_e32 v[22:23], v[24:25], v[204:205]
	v_add_f64_e32 v[20:21], v[20:21], v[22:23]
	s_or_b32 exec_lo, exec_lo, s41
	s_and_saveexec_b32 s41, s12
	s_cbranch_execnz .LBB84_92
	s_branch .LBB84_93
.LBB84_558:                             ;   in Loop: Header=BB84_3 Depth=1
	ds_load_b128 v[22:25], v46 offset:4240
	ds_load_b128 v[204:207], v53 offset:4800
	s_wait_dscnt 0x0
	v_mul_f64_e32 v[4:5], v[24:25], v[206:207]
	s_delay_alu instid0(VALU_DEP_1) | instskip(SKIP_1) | instid1(VALU_DEP_2)
	v_fma_f64 v[4:5], v[22:23], v[204:205], -v[4:5]
	v_mul_f64_e32 v[22:23], v[22:23], v[206:207]
	v_add_f64_e32 v[18:19], v[18:19], v[4:5]
	s_delay_alu instid0(VALU_DEP_2) | instskip(NEXT) | instid1(VALU_DEP_1)
	v_fmac_f64_e32 v[22:23], v[24:25], v[204:205]
	v_add_f64_e32 v[20:21], v[20:21], v[22:23]
	s_or_b32 exec_lo, exec_lo, s41
	s_and_saveexec_b32 s41, s12
	s_cbranch_execz .LBB84_149
.LBB84_559:                             ;   in Loop: Header=BB84_3 Depth=1
	ds_load_b128 v[22:25], v46 offset:4256
	ds_load_b128 v[204:207], v52 offset:5312
	s_wait_dscnt 0x0
	v_mul_f64_e32 v[4:5], v[24:25], v[206:207]
	s_delay_alu instid0(VALU_DEP_1) | instskip(SKIP_1) | instid1(VALU_DEP_2)
	v_fma_f64 v[4:5], v[22:23], v[204:205], -v[4:5]
	v_mul_f64_e32 v[22:23], v[22:23], v[206:207]
	v_add_f64_e32 v[18:19], v[18:19], v[4:5]
	s_delay_alu instid0(VALU_DEP_2) | instskip(NEXT) | instid1(VALU_DEP_1)
	v_fmac_f64_e32 v[22:23], v[24:25], v[204:205]
	v_add_f64_e32 v[20:21], v[20:21], v[22:23]
	s_or_b32 exec_lo, exec_lo, s41
	s_and_saveexec_b32 s41, s0
	s_cbranch_execnz .LBB84_150
	s_branch .LBB84_151
.LBB84_560:                             ;   in Loop: Header=BB84_3 Depth=1
	ds_load_b128 v[22:25], v3 offset:176
	ds_load_b128 v[204:207], v170 offset:5888
	s_wait_dscnt 0x0
	v_mul_f64_e32 v[4:5], v[24:25], v[206:207]
	s_delay_alu instid0(VALU_DEP_1) | instskip(SKIP_1) | instid1(VALU_DEP_2)
	v_fma_f64 v[4:5], v[22:23], v[204:205], -v[4:5]
	v_mul_f64_e32 v[22:23], v[22:23], v[206:207]
	v_add_f64_e32 v[18:19], v[18:19], v[4:5]
	s_delay_alu instid0(VALU_DEP_2) | instskip(NEXT) | instid1(VALU_DEP_1)
	v_fmac_f64_e32 v[22:23], v[24:25], v[204:205]
	v_add_f64_e32 v[20:21], v[20:21], v[22:23]
	s_or_b32 exec_lo, exec_lo, s41
	s_and_saveexec_b32 s41, s3
	s_cbranch_execz .LBB84_211
.LBB84_561:                             ;   in Loop: Header=BB84_3 Depth=1
	ds_load_b128 v[22:25], v3 offset:192
	ds_load_b128 v[204:207], v170 offset:6400
	s_wait_dscnt 0x0
	v_mul_f64_e32 v[4:5], v[24:25], v[206:207]
	s_delay_alu instid0(VALU_DEP_1) | instskip(SKIP_1) | instid1(VALU_DEP_2)
	v_fma_f64 v[4:5], v[22:23], v[204:205], -v[4:5]
	v_mul_f64_e32 v[22:23], v[22:23], v[206:207]
	v_add_f64_e32 v[18:19], v[18:19], v[4:5]
	s_delay_alu instid0(VALU_DEP_2) | instskip(NEXT) | instid1(VALU_DEP_1)
	v_fmac_f64_e32 v[22:23], v[24:25], v[204:205]
	v_add_f64_e32 v[20:21], v[20:21], v[22:23]
	s_or_b32 exec_lo, exec_lo, s41
	s_and_saveexec_b32 s41, s14
	s_cbranch_execz .LBB84_212
.LBB84_562:                             ;   in Loop: Header=BB84_3 Depth=1
	ds_load_b128 v[22:25], v3 offset:208
	ds_load_b128 v[204:207], v170 offset:6912
	s_wait_dscnt 0x0
	v_mul_f64_e32 v[4:5], v[24:25], v[206:207]
	s_delay_alu instid0(VALU_DEP_1) | instskip(SKIP_1) | instid1(VALU_DEP_2)
	v_fma_f64 v[4:5], v[22:23], v[204:205], -v[4:5]
	v_mul_f64_e32 v[22:23], v[22:23], v[206:207]
	v_add_f64_e32 v[18:19], v[18:19], v[4:5]
	s_delay_alu instid0(VALU_DEP_2) | instskip(NEXT) | instid1(VALU_DEP_1)
	v_fmac_f64_e32 v[22:23], v[24:25], v[204:205]
	v_add_f64_e32 v[20:21], v[20:21], v[22:23]
	s_or_b32 exec_lo, exec_lo, s41
	s_and_saveexec_b32 s41, s16
	s_cbranch_execz .LBB84_213
.LBB84_563:                             ;   in Loop: Header=BB84_3 Depth=1
	ds_load_b128 v[22:25], v3 offset:224
	ds_load_b128 v[204:207], v170 offset:7424
	s_wait_dscnt 0x0
	v_mul_f64_e32 v[4:5], v[24:25], v[206:207]
	s_delay_alu instid0(VALU_DEP_1) | instskip(SKIP_1) | instid1(VALU_DEP_2)
	v_fma_f64 v[4:5], v[22:23], v[204:205], -v[4:5]
	v_mul_f64_e32 v[22:23], v[22:23], v[206:207]
	v_add_f64_e32 v[18:19], v[18:19], v[4:5]
	s_delay_alu instid0(VALU_DEP_2) | instskip(NEXT) | instid1(VALU_DEP_1)
	v_fmac_f64_e32 v[22:23], v[24:25], v[204:205]
	v_add_f64_e32 v[20:21], v[20:21], v[22:23]
	s_or_b32 exec_lo, exec_lo, s41
	s_and_saveexec_b32 s41, s2
	s_cbranch_execnz .LBB84_214
	s_branch .LBB84_215
.LBB84_564:                             ;   in Loop: Header=BB84_3 Depth=1
	ds_load_b128 v[22:25], v46 offset:8464
	ds_load_b128 v[204:207], v53 offset:9024
	s_wait_dscnt 0x0
	v_mul_f64_e32 v[4:5], v[24:25], v[206:207]
	s_delay_alu instid0(VALU_DEP_1) | instskip(SKIP_1) | instid1(VALU_DEP_2)
	v_fma_f64 v[4:5], v[22:23], v[204:205], -v[4:5]
	v_mul_f64_e32 v[22:23], v[22:23], v[206:207]
	v_add_f64_e32 v[18:19], v[18:19], v[4:5]
	s_delay_alu instid0(VALU_DEP_2) | instskip(NEXT) | instid1(VALU_DEP_1)
	v_fmac_f64_e32 v[22:23], v[24:25], v[204:205]
	v_add_f64_e32 v[20:21], v[20:21], v[22:23]
	s_or_b32 exec_lo, exec_lo, s41
	s_and_saveexec_b32 s41, s12
	s_cbranch_execz .LBB84_303
.LBB84_565:                             ;   in Loop: Header=BB84_3 Depth=1
	ds_load_b128 v[22:25], v46 offset:8480
	ds_load_b128 v[204:207], v52 offset:9536
	s_wait_dscnt 0x0
	v_mul_f64_e32 v[4:5], v[24:25], v[206:207]
	s_delay_alu instid0(VALU_DEP_1) | instskip(SKIP_1) | instid1(VALU_DEP_2)
	v_fma_f64 v[4:5], v[22:23], v[204:205], -v[4:5]
	v_mul_f64_e32 v[22:23], v[22:23], v[206:207]
	v_add_f64_e32 v[18:19], v[18:19], v[4:5]
	s_delay_alu instid0(VALU_DEP_2) | instskip(NEXT) | instid1(VALU_DEP_1)
	v_fmac_f64_e32 v[22:23], v[24:25], v[204:205]
	v_add_f64_e32 v[20:21], v[20:21], v[22:23]
	s_or_b32 exec_lo, exec_lo, s41
	s_and_saveexec_b32 s41, s0
	s_cbranch_execnz .LBB84_304
	s_branch .LBB84_305
.LBB84_566:                             ;   in Loop: Header=BB84_3 Depth=1
	ds_load_b128 v[22:25], v54 offset:8464
	ds_load_b128 v[204:207], v60 offset:9088
	s_wait_dscnt 0x0
	v_mul_f64_e32 v[4:5], v[24:25], v[206:207]
	s_delay_alu instid0(VALU_DEP_1) | instskip(SKIP_1) | instid1(VALU_DEP_2)
	v_fma_f64 v[4:5], v[22:23], v[204:205], -v[4:5]
	v_mul_f64_e32 v[22:23], v[22:23], v[206:207]
	v_add_f64_e32 v[18:19], v[18:19], v[4:5]
	s_delay_alu instid0(VALU_DEP_2) | instskip(NEXT) | instid1(VALU_DEP_1)
	v_fmac_f64_e32 v[22:23], v[24:25], v[204:205]
	v_add_f64_e32 v[20:21], v[20:21], v[22:23]
	s_or_b32 exec_lo, exec_lo, s41
	s_and_saveexec_b32 s41, s14
	s_cbranch_execz .LBB84_345
.LBB84_567:                             ;   in Loop: Header=BB84_3 Depth=1
	ds_load_b128 v[22:25], v54 offset:8480
	ds_load_b128 v[204:207], v60 offset:9600
	s_wait_dscnt 0x0
	v_mul_f64_e32 v[4:5], v[24:25], v[206:207]
	s_delay_alu instid0(VALU_DEP_1) | instskip(SKIP_1) | instid1(VALU_DEP_2)
	v_fma_f64 v[4:5], v[22:23], v[204:205], -v[4:5]
	v_mul_f64_e32 v[22:23], v[22:23], v[206:207]
	v_add_f64_e32 v[18:19], v[18:19], v[4:5]
	s_delay_alu instid0(VALU_DEP_2) | instskip(NEXT) | instid1(VALU_DEP_1)
	v_fmac_f64_e32 v[22:23], v[24:25], v[204:205]
	v_add_f64_e32 v[20:21], v[20:21], v[22:23]
	s_or_b32 exec_lo, exec_lo, s41
	s_and_saveexec_b32 s41, s15
	s_cbranch_execz .LBB84_346
.LBB84_568:                             ;   in Loop: Header=BB84_3 Depth=1
	ds_load_b128 v[22:25], v54 offset:8496
	ds_load_b128 v[204:207], v60 offset:10112
	s_wait_dscnt 0x0
	v_mul_f64_e32 v[4:5], v[24:25], v[206:207]
	s_delay_alu instid0(VALU_DEP_1) | instskip(SKIP_1) | instid1(VALU_DEP_2)
	v_fma_f64 v[4:5], v[22:23], v[204:205], -v[4:5]
	v_mul_f64_e32 v[22:23], v[22:23], v[206:207]
	v_add_f64_e32 v[18:19], v[18:19], v[4:5]
	s_delay_alu instid0(VALU_DEP_2) | instskip(NEXT) | instid1(VALU_DEP_1)
	v_fmac_f64_e32 v[22:23], v[24:25], v[204:205]
	v_add_f64_e32 v[20:21], v[20:21], v[22:23]
	s_or_b32 exec_lo, exec_lo, s41
	s_and_saveexec_b32 s41, s16
	s_cbranch_execz .LBB84_347
.LBB84_569:                             ;   in Loop: Header=BB84_3 Depth=1
	ds_load_b128 v[22:25], v54 offset:8512
	ds_load_b128 v[204:207], v59 offset:10624
	s_wait_dscnt 0x0
	v_mul_f64_e32 v[4:5], v[24:25], v[206:207]
	s_delay_alu instid0(VALU_DEP_1) | instskip(SKIP_1) | instid1(VALU_DEP_2)
	v_fma_f64 v[4:5], v[22:23], v[204:205], -v[4:5]
	v_mul_f64_e32 v[22:23], v[22:23], v[206:207]
	v_add_f64_e32 v[18:19], v[18:19], v[4:5]
	s_delay_alu instid0(VALU_DEP_2) | instskip(NEXT) | instid1(VALU_DEP_1)
	v_fmac_f64_e32 v[22:23], v[24:25], v[204:205]
	v_add_f64_e32 v[20:21], v[20:21], v[22:23]
	s_or_b32 exec_lo, exec_lo, s41
	s_and_saveexec_b32 s41, s17
	s_cbranch_execz .LBB84_348
.LBB84_570:                             ;   in Loop: Header=BB84_3 Depth=1
	ds_load_b128 v[22:25], v54 offset:8528
	ds_load_b128 v[204:207], v60 offset:11136
	s_wait_dscnt 0x0
	v_mul_f64_e32 v[4:5], v[24:25], v[206:207]
	s_delay_alu instid0(VALU_DEP_1) | instskip(SKIP_1) | instid1(VALU_DEP_2)
	v_fma_f64 v[4:5], v[22:23], v[204:205], -v[4:5]
	v_mul_f64_e32 v[22:23], v[22:23], v[206:207]
	v_add_f64_e32 v[18:19], v[18:19], v[4:5]
	s_delay_alu instid0(VALU_DEP_2) | instskip(NEXT) | instid1(VALU_DEP_1)
	v_fmac_f64_e32 v[22:23], v[24:25], v[204:205]
	v_add_f64_e32 v[20:21], v[20:21], v[22:23]
	s_or_b32 exec_lo, exec_lo, s41
	s_and_saveexec_b32 s41, s2
	s_cbranch_execz .LBB84_349
.LBB84_571:                             ;   in Loop: Header=BB84_3 Depth=1
	ds_load_b128 v[22:25], v54 offset:8544
	ds_load_b128 v[204:207], v59 offset:11648
	s_wait_dscnt 0x0
	v_mul_f64_e32 v[4:5], v[24:25], v[206:207]
	s_delay_alu instid0(VALU_DEP_1) | instskip(SKIP_1) | instid1(VALU_DEP_2)
	v_fma_f64 v[4:5], v[22:23], v[204:205], -v[4:5]
	v_mul_f64_e32 v[22:23], v[22:23], v[206:207]
	v_add_f64_e32 v[18:19], v[18:19], v[4:5]
	s_delay_alu instid0(VALU_DEP_2) | instskip(NEXT) | instid1(VALU_DEP_1)
	v_fmac_f64_e32 v[22:23], v[24:25], v[204:205]
	v_add_f64_e32 v[20:21], v[20:21], v[22:23]
	s_or_b32 exec_lo, exec_lo, s41
	s_and_saveexec_b32 s41, s12
	s_cbranch_execnz .LBB84_350
	s_branch .LBB84_351
.LBB84_572:                             ;   in Loop: Header=BB84_3 Depth=1
	ds_load_b128 v[22:25], v46 offset:12688
	ds_load_b128 v[204:207], v53 offset:13248
	s_wait_dscnt 0x0
	v_mul_f64_e32 v[4:5], v[24:25], v[206:207]
	s_delay_alu instid0(VALU_DEP_1) | instskip(SKIP_1) | instid1(VALU_DEP_2)
	v_fma_f64 v[4:5], v[22:23], v[204:205], -v[4:5]
	v_mul_f64_e32 v[22:23], v[22:23], v[206:207]
	v_add_f64_e32 v[18:19], v[18:19], v[4:5]
	s_delay_alu instid0(VALU_DEP_2) | instskip(NEXT) | instid1(VALU_DEP_1)
	v_fmac_f64_e32 v[22:23], v[24:25], v[204:205]
	v_add_f64_e32 v[20:21], v[20:21], v[22:23]
	s_or_b32 exec_lo, exec_lo, s41
	s_and_saveexec_b32 s41, s12
	s_cbranch_execz .LBB84_407
.LBB84_573:                             ;   in Loop: Header=BB84_3 Depth=1
	ds_load_b128 v[22:25], v46 offset:12704
	ds_load_b128 v[204:207], v52 offset:13760
	s_wait_dscnt 0x0
	v_mul_f64_e32 v[4:5], v[24:25], v[206:207]
	s_delay_alu instid0(VALU_DEP_1) | instskip(SKIP_1) | instid1(VALU_DEP_2)
	v_fma_f64 v[4:5], v[22:23], v[204:205], -v[4:5]
	v_mul_f64_e32 v[22:23], v[22:23], v[206:207]
	v_add_f64_e32 v[18:19], v[18:19], v[4:5]
	s_delay_alu instid0(VALU_DEP_2) | instskip(NEXT) | instid1(VALU_DEP_1)
	v_fmac_f64_e32 v[22:23], v[24:25], v[204:205]
	v_add_f64_e32 v[20:21], v[20:21], v[22:23]
	s_or_b32 exec_lo, exec_lo, s41
	s_and_saveexec_b32 s41, s0
	s_cbranch_execnz .LBB84_408
	s_branch .LBB84_409
.LBB84_574:
	s_endpgm
	.section	.rodata,"a",@progbits
	.p2align	6, 0x0
	.amdhsa_kernel _ZL19rocblas_trsv_deviceILi32ELi16ELb1ELb1ELb1ELb0E19rocblas_complex_numIdEPKS1_S3_PS1_EviT7_lllT6_T8_lllPii
		.amdhsa_group_segment_fixed_size 25104
		.amdhsa_private_segment_fixed_size 0
		.amdhsa_kernarg_size 352
		.amdhsa_user_sgpr_count 2
		.amdhsa_user_sgpr_dispatch_ptr 0
		.amdhsa_user_sgpr_queue_ptr 0
		.amdhsa_user_sgpr_kernarg_segment_ptr 1
		.amdhsa_user_sgpr_dispatch_id 0
		.amdhsa_user_sgpr_kernarg_preload_length 0
		.amdhsa_user_sgpr_kernarg_preload_offset 0
		.amdhsa_user_sgpr_private_segment_size 0
		.amdhsa_wavefront_size32 1
		.amdhsa_uses_dynamic_stack 0
		.amdhsa_enable_private_segment 0
		.amdhsa_system_sgpr_workgroup_id_x 1
		.amdhsa_system_sgpr_workgroup_id_y 0
		.amdhsa_system_sgpr_workgroup_id_z 1
		.amdhsa_system_sgpr_workgroup_info 0
		.amdhsa_system_vgpr_workitem_id 1
		.amdhsa_next_free_vgpr 210
		.amdhsa_next_free_sgpr 105
		.amdhsa_named_barrier_count 0
		.amdhsa_reserve_vcc 1
		.amdhsa_float_round_mode_32 0
		.amdhsa_float_round_mode_16_64 0
		.amdhsa_float_denorm_mode_32 3
		.amdhsa_float_denorm_mode_16_64 3
		.amdhsa_fp16_overflow 0
		.amdhsa_memory_ordered 1
		.amdhsa_forward_progress 1
		.amdhsa_inst_pref_size 215
		.amdhsa_round_robin_scheduling 0
		.amdhsa_exception_fp_ieee_invalid_op 0
		.amdhsa_exception_fp_denorm_src 0
		.amdhsa_exception_fp_ieee_div_zero 0
		.amdhsa_exception_fp_ieee_overflow 0
		.amdhsa_exception_fp_ieee_underflow 0
		.amdhsa_exception_fp_ieee_inexact 0
		.amdhsa_exception_int_div_zero 0
	.end_amdhsa_kernel
	.section	.text._ZL19rocblas_trsv_deviceILi32ELi16ELb1ELb1ELb1ELb0E19rocblas_complex_numIdEPKS1_S3_PS1_EviT7_lllT6_T8_lllPii,"axG",@progbits,_ZL19rocblas_trsv_deviceILi32ELi16ELb1ELb1ELb1ELb0E19rocblas_complex_numIdEPKS1_S3_PS1_EviT7_lllT6_T8_lllPii,comdat
.Lfunc_end84:
	.size	_ZL19rocblas_trsv_deviceILi32ELi16ELb1ELb1ELb1ELb0E19rocblas_complex_numIdEPKS1_S3_PS1_EviT7_lllT6_T8_lllPii, .Lfunc_end84-_ZL19rocblas_trsv_deviceILi32ELi16ELb1ELb1ELb1ELb0E19rocblas_complex_numIdEPKS1_S3_PS1_EviT7_lllT6_T8_lllPii
                                        ; -- End function
	.set _ZL19rocblas_trsv_deviceILi32ELi16ELb1ELb1ELb1ELb0E19rocblas_complex_numIdEPKS1_S3_PS1_EviT7_lllT6_T8_lllPii.num_vgpr, 210
	.set _ZL19rocblas_trsv_deviceILi32ELi16ELb1ELb1ELb1ELb0E19rocblas_complex_numIdEPKS1_S3_PS1_EviT7_lllT6_T8_lllPii.num_agpr, 0
	.set _ZL19rocblas_trsv_deviceILi32ELi16ELb1ELb1ELb1ELb0E19rocblas_complex_numIdEPKS1_S3_PS1_EviT7_lllT6_T8_lllPii.numbered_sgpr, 105
	.set _ZL19rocblas_trsv_deviceILi32ELi16ELb1ELb1ELb1ELb0E19rocblas_complex_numIdEPKS1_S3_PS1_EviT7_lllT6_T8_lllPii.num_named_barrier, 0
	.set _ZL19rocblas_trsv_deviceILi32ELi16ELb1ELb1ELb1ELb0E19rocblas_complex_numIdEPKS1_S3_PS1_EviT7_lllT6_T8_lllPii.private_seg_size, 0
	.set _ZL19rocblas_trsv_deviceILi32ELi16ELb1ELb1ELb1ELb0E19rocblas_complex_numIdEPKS1_S3_PS1_EviT7_lllT6_T8_lllPii.uses_vcc, 1
	.set _ZL19rocblas_trsv_deviceILi32ELi16ELb1ELb1ELb1ELb0E19rocblas_complex_numIdEPKS1_S3_PS1_EviT7_lllT6_T8_lllPii.uses_flat_scratch, 0
	.set _ZL19rocblas_trsv_deviceILi32ELi16ELb1ELb1ELb1ELb0E19rocblas_complex_numIdEPKS1_S3_PS1_EviT7_lllT6_T8_lllPii.has_dyn_sized_stack, 0
	.set _ZL19rocblas_trsv_deviceILi32ELi16ELb1ELb1ELb1ELb0E19rocblas_complex_numIdEPKS1_S3_PS1_EviT7_lllT6_T8_lllPii.has_recursion, 0
	.set _ZL19rocblas_trsv_deviceILi32ELi16ELb1ELb1ELb1ELb0E19rocblas_complex_numIdEPKS1_S3_PS1_EviT7_lllT6_T8_lllPii.has_indirect_call, 0
	.section	.AMDGPU.csdata,"",@progbits
; Kernel info:
; codeLenInByte = 27408
; TotalNumSgprs: 107
; NumVgprs: 210
; ScratchSize: 0
; MemoryBound: 1
; FloatMode: 240
; IeeeMode: 1
; LDSByteSize: 25104 bytes/workgroup (compile time only)
; SGPRBlocks: 0
; VGPRBlocks: 13
; NumSGPRsForWavesPerEU: 107
; NumVGPRsForWavesPerEU: 210
; NamedBarCnt: 0
; Occupancy: 4
; WaveLimiterHint : 0
; COMPUTE_PGM_RSRC2:SCRATCH_EN: 0
; COMPUTE_PGM_RSRC2:USER_SGPR: 2
; COMPUTE_PGM_RSRC2:TRAP_HANDLER: 0
; COMPUTE_PGM_RSRC2:TGID_X_EN: 1
; COMPUTE_PGM_RSRC2:TGID_Y_EN: 0
; COMPUTE_PGM_RSRC2:TGID_Z_EN: 1
; COMPUTE_PGM_RSRC2:TIDIG_COMP_CNT: 1
	.section	.text._ZL19rocblas_trsv_deviceILi32ELi16ELb0ELb0ELb0ELb1E19rocblas_complex_numIdES1_PKS1_PS1_EviT7_lllT6_T8_lllPii,"axG",@progbits,_ZL19rocblas_trsv_deviceILi32ELi16ELb0ELb0ELb0ELb1E19rocblas_complex_numIdES1_PKS1_PS1_EviT7_lllT6_T8_lllPii,comdat
	.globl	_ZL19rocblas_trsv_deviceILi32ELi16ELb0ELb0ELb0ELb1E19rocblas_complex_numIdES1_PKS1_PS1_EviT7_lllT6_T8_lllPii ; -- Begin function _ZL19rocblas_trsv_deviceILi32ELi16ELb0ELb0ELb0ELb1E19rocblas_complex_numIdES1_PKS1_PS1_EviT7_lllT6_T8_lllPii
	.p2align	8
	.type	_ZL19rocblas_trsv_deviceILi32ELi16ELb0ELb0ELb0ELb1E19rocblas_complex_numIdES1_PKS1_PS1_EviT7_lllT6_T8_lllPii,@function
_ZL19rocblas_trsv_deviceILi32ELi16ELb0ELb0ELb0ELb1E19rocblas_complex_numIdES1_PKS1_PS1_EviT7_lllT6_T8_lllPii: ; @_ZL19rocblas_trsv_deviceILi32ELi16ELb0ELb0ELb0ELb1E19rocblas_complex_numIdES1_PKS1_PS1_EviT7_lllT6_T8_lllPii
; %bb.0:
	s_load_b32 s35, s[0:1], 0x60
	s_bfe_u32 s2, ttmp6, 0x40014
	s_lshr_b32 s3, ttmp7, 16
	s_add_co_i32 s2, s2, 1
	s_bfe_u32 s5, ttmp6, 0x40008
	s_mul_i32 s4, s3, s2
	s_getreg_b32 s2, hwreg(HW_REG_IB_STS2, 6, 4)
	s_add_co_i32 s5, s5, s4
	s_cmp_eq_u32 s2, 0
	s_mov_b32 s57, 0
	s_cselect_b32 s56, s3, s5
	s_wait_kmcnt 0x0
	s_cmp_ge_u32 s56, s35
	s_cbranch_scc1 .LBB85_512
; %bb.1:
	s_clause 0x3
	s_load_b512 s[36:51], s[0:1], 0x8
	s_load_b32 s3, s[0:1], 0x74
	s_load_b32 s69, s[0:1], 0x68
	;; [unrolled: 1-line block ×3, first 2 shown]
	s_bfe_u32 s4, ttmp6, 0x4000c
	s_and_b32 s5, ttmp6, 15
	s_add_co_i32 s4, s4, 1
	v_bfe_u32 v22, v0, 10, 10
	s_mul_i32 s4, ttmp9, s4
	v_and_b32_e32 v24, 0x3ff, v0
	s_add_co_i32 s5, s5, s4
	v_dual_mov_b32 v2, 0 :: v_dual_bitop2_b32 v1, 1, v0 bitop3:0x40
	v_and_b32_e32 v4, 3, v0
	s_delay_alu instid0(VALU_DEP_3) | instskip(SKIP_1) | instid1(VALU_DEP_4)
	v_lshl_add_u32 v3, v22, 5, v24
	v_dual_add_nc_u32 v8, 16, v22 :: v_dual_bitop2_b32 v12, 7, v0 bitop3:0x40
	v_mov_b32_e32 v27, v2
	v_cmp_eq_u32_e32 vcc_lo, 0, v1
	v_cmp_ne_u32_e64 s6, 3, v4
	s_wait_kmcnt 0x0
	s_lshl_b64 s[12:13], s[38:39], 4
	s_lshl_b64 s[10:11], s[50:51], 4
	s_cmp_eq_u32 s2, 0
	v_cmp_eq_u32_e64 s7, 2, v4
	s_cselect_b32 s68, ttmp9, s5
	s_add_co_i32 s2, s58, -1
	s_ashr_i32 s59, s58, 31
	s_ashr_i32 s4, s2, 31
	s_lshr_b32 s5, s59, 27
	s_lshr_b32 s4, s4, 27
	s_add_co_i32 s5, s58, s5
	s_add_co_i32 s69, s69, -1
	s_add_co_i32 s2, s2, s4
	s_and_not1_b32 s5, s5, 31
	s_sub_co_i32 s19, s69, s68
	s_ashr_i32 s2, s2, 5
	s_and_b32 s3, s3, 0xffff
	s_sub_co_i32 s9, s58, s5
	s_cmp_eq_u32 s2, s19
	v_mad_u32_u24 v26, v22, s3, v24
	s_cselect_b32 s2, -1, 0
	s_cmp_lg_u32 s9, 0
                                        ; implicit-def: $vgpr75 : SGPR spill to VGPR lane
	s_clause 0x1
	s_load_b128 s[52:55], s[0:1], 0x48
	s_load_b64 s[50:51], s[0:1], 0x58
	s_cselect_b32 s4, -1, 0
	v_dual_lshrrev_b32 v14, 1, v3 :: v_dual_lshrrev_b32 v15, 10, v0
	s_and_b32 s18, s4, s2
	s_add_nc_u64 s[4:5], s[40:41], 1
	s_xor_b32 s70, s18, -1
	s_cmp_lg_u32 s68, 0
	v_cmp_gt_u32_e64 s2, 4, v3
	s_cselect_b32 s71, -1, 0
	s_lshl_b32 s14, s19, 5
	v_dual_lshrrev_b32 v18, 3, v3 :: v_dual_lshlrev_b32 v9, 5, v3
	s_ashr_i32 s15, s14, 31
	s_cmp_gt_i32 s68, 4
	s_mul_u64 s[16:17], s[4:5], s[14:15]
	s_cselect_b32 s3, -1, 0
	v_cmp_eq_u32_e64 s5, 3, v4
	s_and_b32 s72, s3, s70
	v_cmp_gt_u32_e64 s3, 16, v3
	v_cmp_eq_u32_e64 s4, 1, v1
	s_and_b32 s74, vcc_lo, s2
	v_cmp_gt_u32_e32 vcc_lo, 2, v4
	v_dual_add_nc_u32 v5, s14, v22 :: v_dual_add_nc_u32 v28, s14, v24
	s_and_b32 s75, s5, s3
	v_cmp_eq_u32_e64 s5, 1, v4
	s_and_b32 s73, s4, s2
	s_and_b32 s76, s6, s3
	;; [unrolled: 1-line block ×3, first 2 shown]
	v_cmp_eq_u32_e64 s6, 0, v4
	v_cmp_gt_u32_e64 s4, 64, v3
	v_cmp_eq_u32_e64 s7, 7, v12
	s_and_b32 s78, vcc_lo, s3
	v_cmp_ne_u32_e32 vcc_lo, 7, v12
	s_and_b32 s79, s5, s3
	v_cmp_eq_u32_e64 s5, 6, v12
	s_and_b32 s80, s6, s3
	s_and_b32 s81, s7, s4
	s_and_b32 s82, vcc_lo, s4
	v_cmp_gt_u32_e32 vcc_lo, 6, v12
	v_cmp_eq_u32_e64 s6, 5, v12
	v_cmp_gt_u32_e64 s7, 5, v12
	s_and_b32 s83, s5, s4
	v_cmp_eq_u32_e64 s5, 4, v12
	s_and_b32 s84, vcc_lo, s4
	s_and_b32 s85, s6, s4
	s_and_b32 s86, s7, s4
	v_cmp_gt_u32_e32 vcc_lo, 4, v12
	s_and_b32 s87, s5, s4
	v_cmp_eq_u32_e64 s5, 3, v12
	v_cmp_gt_u32_e64 s6, 3, v12
	v_cmp_eq_u32_e64 s7, 2, v12
	v_dual_add_nc_u32 v10, 32, v5 :: v_dual_bitop2_b32 v13, 15, v0 bitop3:0x40
	s_and_b32 s88, vcc_lo, s4
	v_cmp_gt_u32_e32 vcc_lo, 2, v12
	s_and_b32 s89, s5, s4
	s_and_b32 s90, s6, s4
	;; [unrolled: 1-line block ×3, first 2 shown]
	v_cmp_eq_u32_e64 s6, 0, v12
	v_cmp_gt_u32_e64 s5, 0x100, v3
	v_cmp_eq_u32_e64 s7, 15, v13
	s_and_b32 s92, vcc_lo, s4
	v_cmp_eq_u32_e32 vcc_lo, 1, v12
	v_cmp_ne_u32_e64 s8, 15, v13
	s_and_b32 s94, s6, s4
	s_and_b32 s6, s7, s5
	v_cmp_eq_u32_e64 s7, 13, v13
	v_writelane_b32 v75, s6, 0
	s_and_b32 s93, vcc_lo, s4
	v_cmp_eq_u32_e32 vcc_lo, 14, v13
	s_and_b32 s6, s8, s5
	v_add_nc_u64_e32 v[6:7], s[14:15], v[26:27]
	v_writelane_b32 v75, s6, 1
	v_cmp_gt_u32_e64 s6, 14, v13
	s_and_b32 s8, vcc_lo, s5
	v_cmp_gt_u32_e32 vcc_lo, 13, v13
	v_dual_ashrrev_i32 v11, 31, v10 :: v_dual_ashrrev_i32 v29, 31, v28
	v_writelane_b32 v75, s8, 2
	s_and_b32 s6, s6, s5
	v_cmp_eq_u32_e64 s8, 12, v13
	v_dual_lshrrev_b32 v16, 2, v3 :: v_dual_lshlrev_b32 v17, 9, v14
	v_writelane_b32 v75, s6, 3
	s_and_b32 s6, s7, s5
	s_and_b32 s7, vcc_lo, s5
	v_cmp_eq_u32_e32 vcc_lo, 11, v13
	v_dual_lshlrev_b32 v19, 9, v18 :: v_dual_lshlrev_b32 v27, 4, v24
	v_writelane_b32 v75, s6, 4
	v_cmp_gt_u32_e64 s6, 12, v13
	s_and_b32 s20, vcc_lo, s5
	v_cmp_eq_u32_e32 vcc_lo, 9, v13
	v_mul_u64_e32 v[30:31], s[40:41], v[10:11]
	v_writelane_b32 v75, s7, 5
	s_and_b32 s7, s8, s5
	s_and_b32 s6, s6, s5
	v_cmp_gt_u32_e64 s8, 10, v13
	v_dual_lshlrev_b32 v11, 9, v16 :: v_dual_sub_nc_u32 v25, 0, v17
	v_writelane_b32 v75, s7, 6
	v_cmp_gt_u32_e64 s7, 11, v13
	v_and_b32_e32 v20, 0xfffffe00, v9
	v_dual_mov_b32 v9, v2 :: v_dual_add_nc_u32 v50, 0x4000, v27
	v_writelane_b32 v75, s6, 7
	v_cmp_eq_u32_e64 s6, 10, v13
	s_and_b32 s7, s7, s5
	v_dual_lshlrev_b32 v55, 4, v4 :: v_dual_lshlrev_b32 v59, 4, v13
	v_writelane_b32 v75, s20, 8
	s_and_b32 s6, s6, s5
	s_delay_alu instid0(VALU_DEP_2)
	v_dual_lshlrev_b32 v57, 4, v12 :: v_dual_sub_nc_u32 v60, v55, v11
	v_dual_sub_nc_u32 v45, 0, v19 :: v_dual_mov_b32 v23, v2
	v_writelane_b32 v75, s7, 9
	v_cmp_eq_u32_e64 s7, 8, v13
	v_lshl_add_u32 v48, v22, 4, 0x6000
	v_mul_u64_e32 v[36:37], s[40:41], v[8:9]
	v_bitop3_b32 v9, v0, v15, 0x3ff bitop3:0xa8
	v_writelane_b32 v75, s6, 10
	s_and_b32 s6, s8, s5
	s_and_b32 s8, vcc_lo, s5
	v_cmp_gt_u32_e32 vcc_lo, 8, v13
	v_dual_sub_nc_u32 v62, v57, v19 :: v_dual_add_nc_u32 v0, 48, v5
	v_writelane_b32 v75, s6, 11
	v_cmp_gt_u32_e64 s6, 9, v13
	s_wait_kmcnt 0x0
	v_mul_u64_e32 v[32:33], s[52:53], v[28:29]
	v_dual_add_nc_u32 v52, v48, v27 :: v_dual_lshlrev_b32 v53, 4, v1
	v_writelane_b32 v75, s8, 12
	s_and_b32 s6, s6, s5
	v_cmp_eq_u32_e64 s8, 7, v13
	v_mul_u64_e32 v[34:35], s[40:41], v[22:23]
	v_cmp_gt_i32_e64 s1, s58, v10
	v_writelane_b32 v75, s6, 13
	s_and_b32 s6, s7, s5
	s_and_b32 s7, vcc_lo, s5
	v_cmp_eq_u32_e32 vcc_lo, 6, v13
	v_cmp_gt_i32_e64 s0, s58, v28
	v_writelane_b32 v75, s6, 14
	v_cmp_gt_u32_e64 s6, 7, v13
	v_and_b32_e32 v21, 0x7ff0, v3
	s_and_b32 s20, vcc_lo, s5
	v_cmp_eq_u32_e32 vcc_lo, 4, v13
	v_writelane_b32 v75, s7, 15
	s_and_b32 s7, s8, s5
	s_and_b32 s6, s6, s5
	v_cmp_gt_u32_e64 s8, 5, v13
	s_and_b32 s96, vcc_lo, s5
	v_writelane_b32 v75, s7, 16
	v_cmp_gt_u32_e64 s7, 6, v13
	v_cmp_gt_u32_e32 vcc_lo, 3, v13
	s_and_b32 s95, s8, s5
	v_cmp_eq_u32_e64 s8, 2, v13
	v_writelane_b32 v75, s6, 17
	v_cmp_eq_u32_e64 s6, 5, v13
	s_and_b32 s7, s7, s5
	s_and_b32 s99, vcc_lo, s5
	v_cmp_le_i32_e32 vcc_lo, s9, v24
	v_writelane_b32 v75, s20, 18
	s_and_b32 s6, s6, s5
	s_and_b32 s100, s8, s5
	v_cmp_eq_u32_e64 s8, 0, v13
	s_and_b32 s102, vcc_lo, s18
	v_writelane_b32 v75, s7, 19
	v_cmp_eq_u32_e64 s7, 3, v13
	v_dual_sub_nc_u32 v56, v53, v17 :: v_dual_bitop2_b32 v40, v8, v24 bitop3:0x54
	s_and_b32 s104, s8, s5
	v_writelane_b32 v75, s6, 20
	v_cmp_gt_u32_e64 s6, 4, v13
	s_and_b32 s98, s7, s5
	v_cmp_eq_u32_e64 s7, 1, v13
	v_cmp_le_i32_e64 s8, s9, v8
	v_dual_sub_nc_u32 v44, 0, v11 :: v_dual_sub_nc_u32 v46, 0, v20
	s_and_b32 s97, s6, s5
	v_cmp_gt_u32_e64 s6, 2, v13
	s_and_b32 s103, s7, s5
	s_xor_b32 s7, s102, -1
	v_lshl_add_u32 v47, v26, 4, 0x6000
	v_lshl_add_u32 v49, v3, 4, 0x4000
	s_and_b32 s101, s6, s5
	v_cmp_eq_u32_e64 s6, 0, v22
	v_lshl_add_u32 v51, v22, 9, v27
	v_lshl_add_u32 v23, v8, 9, v27
	s_add_nc_u64 s[60:61], s[36:37], s[12:13]
	s_add_nc_u64 s[48:49], s[48:49], s[10:11]
	s_and_b32 vcc_hi, s6, s7
	v_cmp_le_i32_e64 s7, s9, v22
	s_cmp_gt_i32 s68, 0
	v_lshl_add_u32 v54, v14, 4, 0x4000
	s_cselect_b32 s18, -1, 0
	s_or_b32 s8, s8, vcc_lo
	s_or_b32 s14, s7, vcc_lo
	v_cmp_gt_i32_e32 vcc_lo, s9, v24
	s_lshl_b64 s[62:63], s[16:17], 4
	v_cmp_gt_u32_e64 s17, 0xf0, v3
	v_cmp_gt_i32_e64 s7, s58, v0
	v_mul_u64_e32 v[0:1], s[52:53], v[6:7]
	s_and_b32 s9, s6, vcc_lo
	s_and_b32 s20, s0, s1
	v_writelane_b32 v75, s9, 21
	s_and_b32 s21, s0, s7
	v_cmp_le_u32_e64 s1, v22, v24
	v_cmp_le_u32_e64 s7, v8, v24
	v_lshl_add_u32 v58, v16, 4, 0x4000
	v_writelane_b32 v75, s17, 22
	v_cmp_gt_u32_e64 s17, 0xe0, v3
	v_lshl_add_u32 v61, v18, 4, 0x4000
	v_add_nc_u32_e32 v63, 0x4000, v21
	v_dual_mov_b32 v39, v2 :: v_dual_sub_nc_u32 v64, v59, v20
	s_delay_alu instid0(VALU_DEP_4)
	v_writelane_b32 v75, s17, 23
	v_cmp_gt_u32_e64 s17, 0xd0, v3
	v_lshlrev_b32_e32 v38, 4, v24
	v_add_nc_u32_e32 v65, 0x3c00, v27
	s_or_b32 s22, s14, s1
	v_subrev_nc_u32_e32 v66, 31, v24
	v_writelane_b32 v75, s17, 24
	v_cmp_gt_u32_e64 s17, 0xc0, v3
	s_or_b32 s23, s8, s7
	v_cmp_eq_u32_e64 s8, 0, v9
	v_cmp_gt_u32_e64 s9, 2, v3
	v_cmp_gt_u32_e64 s10, 12, v3
	v_writelane_b32 v75, s17, 25
	v_cmp_gt_u32_e64 s17, 0xb0, v3
	v_cmp_gt_u32_e64 s11, 8, v3
	;; [unrolled: 1-line block ×5, first 2 shown]
	v_writelane_b32 v75, s17, 26
	v_cmp_gt_u32_e64 s17, 0xa0, v3
	v_cmp_gt_u32_e64 s15, 32, v3
	;; [unrolled: 1-line block ×3, first 2 shown]
	v_cmp_eq_u32_e64 s28, 0, v26
	v_cmp_gt_u32_e64 s29, 32, v26
	v_writelane_b32 v75, s17, 27
	v_cmp_gt_u32_e64 s17, 0x90, v3
	v_cmp_le_u32_e64 s30, v24, v22
	v_cmp_le_u32_e64 s31, v24, v8
	v_cmp_gt_u32_e64 s33, 32, v9
	v_cmp_gt_u32_e64 s34, 32, v40
	v_writelane_b32 v75, s17, 28
	v_cmp_gt_u32_e64 s17, 0x80, v3
	s_add_co_i32 s19, s19, 1
	s_lshl_b64 s[64:65], s[40:41], 8
	s_mov_b32 s37, 0x3ff00000
                                        ; implicit-def: $vgpr74 : SGPR spill to VGPR lane
                                        ; implicit-def: $vgpr6_vgpr7
                                        ; implicit-def: $vgpr10_vgpr11
	v_writelane_b32 v75, s17, 29
	v_cmp_gt_u32_e64 s17, 0x70, v3
	s_delay_alu instid0(VALU_DEP_1) | instskip(SKIP_1) | instid1(VALU_DEP_1)
	v_writelane_b32 v75, s17, 30
	v_cmp_gt_u32_e64 s17, 0x60, v3
	v_writelane_b32 v75, s17, 31
	v_cmp_gt_u32_e64 s17, 0x50, v3
	s_delay_alu instid0(VALU_DEP_1)
	v_writelane_b32 v74, s17, 0
	s_branch .LBB85_3
.LBB85_2:                               ;   in Loop: Header=BB85_3 Depth=1
	s_wait_xcnt 0x0
	s_or_b32 exec_lo, exec_lo, s17
	s_add_co_i32 s56, s56, 0x10000
	global_wb scope:SCOPE_DEV
	s_wait_storecnt 0x0
	global_inv scope:SCOPE_DEV
	s_cmp_lt_u32 s56, s35
	s_cbranch_scc0 .LBB85_512
.LBB85_3:                               ; =>This Loop Header: Depth=1
                                        ;     Child Loop BB85_427 Depth 2
                                        ;       Child Loop BB85_429 Depth 3
                                        ;     Child Loop BB85_460 Depth 2
	s_mul_u64 s[24:25], s[42:43], s[56:57]
	s_and_not1_b32 vcc_lo, exec_lo, s71
	s_lshl_b64 s[24:25], s[24:25], 4
	s_delay_alu instid0(SALU_CYCLE_1)
	s_add_nc_u64 s[66:67], s[60:61], s[24:25]
	s_cbranch_vccnz .LBB85_9
; %bb.4:                                ;   in Loop: Header=BB85_3 Depth=1
	v_lshl_add_u64 v[4:5], v[30:31], 4, s[66:67]
	v_mov_b64_e32 v[12:13], 0
	v_mov_b64_e32 v[6:7], 0
	;; [unrolled: 1-line block ×3, first 2 shown]
	s_delay_alu instid0(VALU_DEP_4)
	v_lshl_add_u64 v[4:5], v[28:29], 4, v[4:5]
	s_barrier_signal -1
	s_barrier_wait -1
	s_and_saveexec_b32 s17, s20
	s_cbranch_execz .LBB85_6
; %bb.5:                                ;   in Loop: Header=BB85_3 Depth=1
	global_load_b128 v[6:9], v[4:5], off
.LBB85_6:                               ;   in Loop: Header=BB85_3 Depth=1
	s_wait_xcnt 0x0
	s_or_b32 exec_lo, exec_lo, s17
	v_mov_b64_e32 v[10:11], 0
	s_wait_loadcnt 0x0
	s_barrier_signal -1
	s_barrier_wait -1
	s_and_saveexec_b32 s17, s21
	s_cbranch_execz .LBB85_8
; %bb.7:                                ;   in Loop: Header=BB85_3 Depth=1
	v_add_nc_u64_e32 v[4:5], s[64:65], v[4:5]
	global_load_b128 v[10:13], v[4:5], off
.LBB85_8:                               ;   in Loop: Header=BB85_3 Depth=1
	s_wait_xcnt 0x0
	s_or_b32 exec_lo, exec_lo, s17
.LBB85_9:                               ;   in Loop: Header=BB85_3 Depth=1
	s_add_nc_u64 s[24:25], s[66:67], s[62:63]
	s_and_not1_b32 vcc_lo, exec_lo, s70
	v_add_nc_u64_e32 v[18:19], s[24:25], v[38:39]
	s_mov_b32 s17, -1
	s_cbranch_vccnz .LBB85_18
; %bb.10:                               ;   in Loop: Header=BB85_3 Depth=1
	s_mov_b32 s17, 0
	s_and_saveexec_b32 s24, s1
	s_delay_alu instid0(SALU_CYCLE_1)
	s_xor_b32 s24, exec_lo, s24
; %bb.11:                               ;   in Loop: Header=BB85_3 Depth=1
	s_and_b32 s17, s33, exec_lo
; %bb.12:                               ;   in Loop: Header=BB85_3 Depth=1
	s_or_saveexec_b32 s24, s24
	v_mov_b64_e32 v[16:17], 0
	v_mov_b64_e32 v[14:15], 0
	s_xor_b32 exec_lo, exec_lo, s24
	s_cbranch_execnz .LBB85_474
; %bb.13:                               ;   in Loop: Header=BB85_3 Depth=1
	s_or_b32 exec_lo, exec_lo, s24
	s_and_saveexec_b32 s24, s17
	s_cbranch_execnz .LBB85_475
.LBB85_14:                              ;   in Loop: Header=BB85_3 Depth=1
	s_or_b32 exec_lo, exec_lo, s24
	s_and_saveexec_b32 s17, s7
	s_delay_alu instid0(SALU_CYCLE_1)
	s_xor_b32 s17, exec_lo, s17
	s_cbranch_execnz .LBB85_476
.LBB85_15:                              ;   in Loop: Header=BB85_3 Depth=1
	s_and_not1_saveexec_b32 s17, s17
	s_cbranch_execz .LBB85_17
.LBB85_16:                              ;   in Loop: Header=BB85_3 Depth=1
	v_lshl_add_u64 v[4:5], v[36:37], 4, v[18:19]
	global_load_b128 v[14:17], v[4:5], off
	s_wait_loadcnt 0x0
	v_xor_b32_e32 v15, 0x80000000, v15
	v_xor_b32_e32 v17, 0x80000000, v17
	ds_store_b128 v23, v[14:17]
.LBB85_17:                              ;   in Loop: Header=BB85_3 Depth=1
	s_or_b32 exec_lo, exec_lo, s17
	s_mov_b32 s17, 0
.LBB85_18:                              ;   in Loop: Header=BB85_3 Depth=1
	s_delay_alu instid0(SALU_CYCLE_1)
	s_and_b32 vcc_lo, exec_lo, s17
	s_cbranch_vccz .LBB85_27
; %bb.19:                               ;   in Loop: Header=BB85_3 Depth=1
	s_mov_b32 s17, 0
	s_and_saveexec_b32 s24, s22
	s_delay_alu instid0(SALU_CYCLE_1)
	s_xor_b32 s24, exec_lo, s24
; %bb.20:                               ;   in Loop: Header=BB85_3 Depth=1
	s_and_b32 s17, s33, exec_lo
; %bb.21:                               ;   in Loop: Header=BB85_3 Depth=1
	s_or_saveexec_b32 s24, s24
	v_mov_b64_e32 v[16:17], 0
	v_mov_b64_e32 v[14:15], 0
	s_xor_b32 exec_lo, exec_lo, s24
	s_cbranch_execnz .LBB85_479
; %bb.22:                               ;   in Loop: Header=BB85_3 Depth=1
	s_or_b32 exec_lo, exec_lo, s24
	s_and_saveexec_b32 s24, s17
	s_cbranch_execnz .LBB85_480
.LBB85_23:                              ;   in Loop: Header=BB85_3 Depth=1
	s_or_b32 exec_lo, exec_lo, s24
	s_and_saveexec_b32 s17, s23
	s_delay_alu instid0(SALU_CYCLE_1)
	s_xor_b32 s17, exec_lo, s17
	s_cbranch_execnz .LBB85_481
.LBB85_24:                              ;   in Loop: Header=BB85_3 Depth=1
	s_and_not1_saveexec_b32 s17, s17
	s_cbranch_execz .LBB85_26
.LBB85_25:                              ;   in Loop: Header=BB85_3 Depth=1
	v_lshl_add_u64 v[4:5], v[36:37], 4, v[18:19]
	global_load_b128 v[14:17], v[4:5], off
	s_wait_loadcnt 0x0
	v_xor_b32_e32 v15, 0x80000000, v15
	v_xor_b32_e32 v17, 0x80000000, v17
	ds_store_b128 v23, v[14:17]
.LBB85_26:                              ;   in Loop: Header=BB85_3 Depth=1
	s_or_b32 exec_lo, exec_lo, s17
.LBB85_27:                              ;   in Loop: Header=BB85_3 Depth=1
	s_delay_alu instid0(SALU_CYCLE_1)
	s_and_not1_b32 vcc_lo, exec_lo, s72
	s_wait_loadcnt_dscnt 0x0
	s_barrier_signal -1
	s_barrier_wait -1
	s_cbranch_vccnz .LBB85_421
; %bb.28:                               ;   in Loop: Header=BB85_3 Depth=1
	s_and_saveexec_b32 s17, s8
	s_cbranch_execz .LBB85_30
; %bb.29:                               ;   in Loop: Header=BB85_3 Depth=1
	s_mov_b32 s36, s57
	s_mov_b32 s38, s57
	;; [unrolled: 1-line block ×3, first 2 shown]
	v_mov_b64_e32 v[14:15], s[36:37]
	v_mov_b64_e32 v[16:17], s[38:39]
	ds_store_b128 v2, v[14:17] offset:15840
	ds_store_b128 v2, v[14:17] offset:16368
.LBB85_30:                              ;   in Loop: Header=BB85_3 Depth=1
	s_or_b32 exec_lo, exec_lo, s17
	v_mov_b64_e32 v[14:15], 0
	v_mov_b64_e32 v[16:17], 0
	s_wait_dscnt 0x0
	s_barrier_signal -1
	s_barrier_wait -1
	global_wb scope:SCOPE_DEV
	s_wait_storecnt 0x0
	global_inv scope:SCOPE_DEV
	s_and_saveexec_b32 s36, s2
	s_cbranch_execz .LBB85_34
; %bb.31:                               ;   in Loop: Header=BB85_3 Depth=1
	ds_load_b128 v[14:17], v25 offset:16352
	ds_load_b128 v[18:21], v53 offset:15808
	s_wait_dscnt 0x0
	v_mul_f64_e32 v[4:5], v[16:17], v[20:21]
	v_mul_f64_e32 v[20:21], v[14:15], v[20:21]
	s_delay_alu instid0(VALU_DEP_2) | instskip(NEXT) | instid1(VALU_DEP_2)
	v_fma_f64 v[4:5], v[14:15], v[18:19], -v[4:5]
	v_fmac_f64_e32 v[20:21], v[16:17], v[18:19]
	s_delay_alu instid0(VALU_DEP_2) | instskip(NEXT) | instid1(VALU_DEP_2)
	v_add_f64_e32 v[14:15], 0, v[4:5]
	v_add_f64_e32 v[16:17], 0, v[20:21]
	s_and_saveexec_b32 s17, s9
	s_cbranch_execz .LBB85_33
; %bb.32:                               ;   in Loop: Header=BB85_3 Depth=1
	ds_load_b128 v[18:21], v2 offset:16368
	ds_load_b128 v[40:43], v27 offset:16320
	s_wait_dscnt 0x0
	v_mul_f64_e32 v[4:5], v[20:21], v[42:43]
	v_mul_f64_e32 v[42:43], v[18:19], v[42:43]
	s_delay_alu instid0(VALU_DEP_2) | instskip(NEXT) | instid1(VALU_DEP_2)
	v_fma_f64 v[4:5], v[18:19], v[40:41], -v[4:5]
	v_fmac_f64_e32 v[42:43], v[20:21], v[40:41]
	s_delay_alu instid0(VALU_DEP_2) | instskip(NEXT) | instid1(VALU_DEP_2)
	v_add_f64_e32 v[14:15], v[14:15], v[4:5]
	v_add_f64_e32 v[16:17], v[16:17], v[42:43]
.LBB85_33:                              ;   in Loop: Header=BB85_3 Depth=1
	s_or_b32 exec_lo, exec_lo, s17
.LBB85_34:                              ;   in Loop: Header=BB85_3 Depth=1
	s_delay_alu instid0(SALU_CYCLE_1)
	s_or_b32 exec_lo, exec_lo, s36
	s_and_saveexec_b32 s17, s73
	s_cbranch_execz .LBB85_36
; %bb.35:                               ;   in Loop: Header=BB85_3 Depth=1
	s_delay_alu instid0(VALU_DEP_2) | instskip(NEXT) | instid1(VALU_DEP_2)
	v_xor_b32_e32 v19, 0x80000000, v15
	v_xor_b32_e32 v21, 0x80000000, v17
	s_delay_alu instid0(VALU_DEP_3)
	v_dual_mov_b32 v18, v14 :: v_dual_mov_b32 v20, v16
	ds_store_b128 v54, v[18:21]
.LBB85_36:                              ;   in Loop: Header=BB85_3 Depth=1
	s_or_b32 exec_lo, exec_lo, s17
	s_wait_loadcnt_dscnt 0x0
	s_barrier_signal -1
	s_barrier_wait -1
	s_and_saveexec_b32 s17, s74
	s_cbranch_execz .LBB85_38
; %bb.37:                               ;   in Loop: Header=BB85_3 Depth=1
	ds_load_b128 v[18:21], v54
	ds_load_b128 v[40:43], v2 offset:15296
	s_wait_dscnt 0x0
	v_mul_f64_e32 v[4:5], v[18:19], v[40:41]
	v_mul_f64_e32 v[18:19], v[18:19], v[42:43]
	s_delay_alu instid0(VALU_DEP_2) | instskip(NEXT) | instid1(VALU_DEP_2)
	v_fma_f64 v[4:5], v[20:21], v[42:43], -v[4:5]
	v_fmac_f64_e32 v[18:19], v[20:21], v[40:41]
	s_delay_alu instid0(VALU_DEP_2) | instskip(NEXT) | instid1(VALU_DEP_2)
	v_add_f64_e32 v[14:15], v[14:15], v[4:5]
	v_add_f64_e64 v[16:17], v[16:17], -v[18:19]
.LBB85_38:                              ;   in Loop: Header=BB85_3 Depth=1
	s_or_b32 exec_lo, exec_lo, s17
	s_barrier_signal -1
	s_barrier_wait -1
	s_and_saveexec_b32 s17, s74
	s_cbranch_execz .LBB85_40
; %bb.39:                               ;   in Loop: Header=BB85_3 Depth=1
	s_delay_alu instid0(VALU_DEP_2) | instskip(NEXT) | instid1(VALU_DEP_2)
	v_xor_b32_e32 v19, 0x80000000, v15
	v_xor_b32_e32 v21, 0x80000000, v17
	s_delay_alu instid0(VALU_DEP_3)
	v_dual_mov_b32 v18, v14 :: v_dual_mov_b32 v20, v16
	ds_store_b128 v54, v[18:21]
.LBB85_40:                              ;   in Loop: Header=BB85_3 Depth=1
	s_or_b32 exec_lo, exec_lo, s17
	s_wait_dscnt 0x0
	s_barrier_signal -1
	s_barrier_wait -1
	s_barrier_signal -1
	s_barrier_wait -1
	s_and_saveexec_b32 s17, s2
; %bb.41:                               ;   in Loop: Header=BB85_3 Depth=1
	ds_store_b128 v56, v[14:17] offset:16320
; %bb.42:                               ;   in Loop: Header=BB85_3 Depth=1
	s_or_b32 exec_lo, exec_lo, s17
	s_wait_dscnt 0x0
	s_barrier_signal -1
	s_barrier_wait -1
	s_barrier_signal -1
	s_barrier_wait -1
	s_and_saveexec_b32 s17, s8
	s_cbranch_execz .LBB85_44
; %bb.43:                               ;   in Loop: Header=BB85_3 Depth=1
	s_mov_b32 s36, s57
	s_mov_b32 s38, s57
	;; [unrolled: 1-line block ×3, first 2 shown]
	v_mov_b64_e32 v[14:15], s[36:37]
	v_mov_b64_e32 v[16:17], s[38:39]
	ds_store_b128 v2, v[14:17] offset:14784
	ds_store_b128 v2, v[14:17] offset:15312
.LBB85_44:                              ;   in Loop: Header=BB85_3 Depth=1
	s_or_b32 exec_lo, exec_lo, s17
	v_mov_b64_e32 v[16:17], 0
	v_mov_b64_e32 v[14:15], 0
	s_wait_dscnt 0x0
	s_barrier_signal -1
	s_barrier_wait -1
	global_wb scope:SCOPE_DEV
	s_wait_storecnt 0x0
	global_inv scope:SCOPE_DEV
	s_and_saveexec_b32 s36, s3
	s_cbranch_execz .LBB85_50
; %bb.45:                               ;   in Loop: Header=BB85_3 Depth=1
	ds_load_b128 v[14:17], v44 offset:16320
	ds_load_b128 v[18:21], v55 offset:14720
	s_wait_dscnt 0x0
	v_mul_f64_e32 v[4:5], v[16:17], v[20:21]
	v_mul_f64_e32 v[20:21], v[14:15], v[20:21]
	s_delay_alu instid0(VALU_DEP_2) | instskip(NEXT) | instid1(VALU_DEP_2)
	v_fma_f64 v[4:5], v[14:15], v[18:19], -v[4:5]
	v_fmac_f64_e32 v[20:21], v[16:17], v[18:19]
	s_delay_alu instid0(VALU_DEP_2) | instskip(NEXT) | instid1(VALU_DEP_2)
	v_add_f64_e32 v[14:15], 0, v[4:5]
	v_add_f64_e32 v[16:17], 0, v[20:21]
	s_and_saveexec_b32 s17, s10
	s_cbranch_execnz .LBB85_488
; %bb.46:                               ;   in Loop: Header=BB85_3 Depth=1
	s_or_b32 exec_lo, exec_lo, s17
	s_and_saveexec_b32 s17, s11
	s_cbranch_execnz .LBB85_489
.LBB85_47:                              ;   in Loop: Header=BB85_3 Depth=1
	s_or_b32 exec_lo, exec_lo, s17
	s_and_saveexec_b32 s17, s2
	s_cbranch_execz .LBB85_49
.LBB85_48:                              ;   in Loop: Header=BB85_3 Depth=1
	ds_load_b128 v[18:21], v2 offset:16368
	ds_load_b128 v[40:43], v27 offset:16256
	s_wait_dscnt 0x0
	v_mul_f64_e32 v[4:5], v[20:21], v[42:43]
	v_mul_f64_e32 v[42:43], v[18:19], v[42:43]
	s_delay_alu instid0(VALU_DEP_2) | instskip(NEXT) | instid1(VALU_DEP_2)
	v_fma_f64 v[4:5], v[18:19], v[40:41], -v[4:5]
	v_fmac_f64_e32 v[42:43], v[20:21], v[40:41]
	s_delay_alu instid0(VALU_DEP_2) | instskip(NEXT) | instid1(VALU_DEP_2)
	v_add_f64_e32 v[14:15], v[14:15], v[4:5]
	v_add_f64_e32 v[16:17], v[16:17], v[42:43]
.LBB85_49:                              ;   in Loop: Header=BB85_3 Depth=1
	s_or_b32 exec_lo, exec_lo, s17
.LBB85_50:                              ;   in Loop: Header=BB85_3 Depth=1
	s_delay_alu instid0(SALU_CYCLE_1)
	s_or_b32 exec_lo, exec_lo, s36
	s_and_saveexec_b32 s17, s75
	s_cbranch_execz .LBB85_52
; %bb.51:                               ;   in Loop: Header=BB85_3 Depth=1
	s_delay_alu instid0(VALU_DEP_1) | instskip(NEXT) | instid1(VALU_DEP_3)
	v_xor_b32_e32 v21, 0x80000000, v17
	v_xor_b32_e32 v19, 0x80000000, v15
	s_delay_alu instid0(VALU_DEP_3)
	v_dual_mov_b32 v18, v14 :: v_dual_mov_b32 v20, v16
	ds_store_b128 v58, v[18:21]
.LBB85_52:                              ;   in Loop: Header=BB85_3 Depth=1
	s_or_b32 exec_lo, exec_lo, s17
	s_wait_loadcnt_dscnt 0x0
	s_barrier_signal -1
	s_barrier_wait -1
	s_and_saveexec_b32 s17, s76
	s_cbranch_execz .LBB85_54
; %bb.53:                               ;   in Loop: Header=BB85_3 Depth=1
	ds_load_b128 v[18:21], v58
	ds_load_b128 v[40:43], v55 offset:14208
	s_wait_dscnt 0x0
	v_mul_f64_e32 v[4:5], v[20:21], v[42:43]
	v_mul_f64_e32 v[42:43], v[18:19], v[42:43]
	s_delay_alu instid0(VALU_DEP_2) | instskip(NEXT) | instid1(VALU_DEP_2)
	v_fma_f64 v[4:5], v[18:19], v[40:41], -v[4:5]
	v_fmac_f64_e32 v[42:43], v[20:21], v[40:41]
	s_delay_alu instid0(VALU_DEP_2) | instskip(NEXT) | instid1(VALU_DEP_2)
	v_add_f64_e64 v[14:15], v[14:15], -v[4:5]
	v_add_f64_e64 v[16:17], v[16:17], -v[42:43]
.LBB85_54:                              ;   in Loop: Header=BB85_3 Depth=1
	s_or_b32 exec_lo, exec_lo, s17
	s_barrier_signal -1
	s_barrier_wait -1
	s_and_saveexec_b32 s17, s77
	s_cbranch_execz .LBB85_56
; %bb.55:                               ;   in Loop: Header=BB85_3 Depth=1
	s_delay_alu instid0(VALU_DEP_1) | instskip(NEXT) | instid1(VALU_DEP_3)
	v_xor_b32_e32 v21, 0x80000000, v17
	v_xor_b32_e32 v19, 0x80000000, v15
	s_delay_alu instid0(VALU_DEP_3)
	v_dual_mov_b32 v18, v14 :: v_dual_mov_b32 v20, v16
	ds_store_b128 v58, v[18:21]
.LBB85_56:                              ;   in Loop: Header=BB85_3 Depth=1
	s_or_b32 exec_lo, exec_lo, s17
	s_wait_dscnt 0x0
	s_barrier_signal -1
	s_barrier_wait -1
	s_and_saveexec_b32 s17, s78
	s_cbranch_execz .LBB85_58
; %bb.57:                               ;   in Loop: Header=BB85_3 Depth=1
	ds_load_b128 v[18:21], v58
	ds_load_b128 v[40:43], v55 offset:13696
	s_wait_dscnt 0x0
	v_mul_f64_e32 v[4:5], v[20:21], v[42:43]
	v_mul_f64_e32 v[42:43], v[18:19], v[42:43]
	s_delay_alu instid0(VALU_DEP_2) | instskip(NEXT) | instid1(VALU_DEP_2)
	v_fma_f64 v[4:5], v[18:19], v[40:41], -v[4:5]
	v_fmac_f64_e32 v[42:43], v[20:21], v[40:41]
	s_delay_alu instid0(VALU_DEP_2) | instskip(NEXT) | instid1(VALU_DEP_2)
	v_add_f64_e64 v[14:15], v[14:15], -v[4:5]
	v_add_f64_e64 v[16:17], v[16:17], -v[42:43]
.LBB85_58:                              ;   in Loop: Header=BB85_3 Depth=1
	s_or_b32 exec_lo, exec_lo, s17
	s_barrier_signal -1
	s_barrier_wait -1
	s_and_saveexec_b32 s17, s79
	s_cbranch_execz .LBB85_60
; %bb.59:                               ;   in Loop: Header=BB85_3 Depth=1
	s_delay_alu instid0(VALU_DEP_1) | instskip(NEXT) | instid1(VALU_DEP_3)
	v_xor_b32_e32 v21, 0x80000000, v17
	v_xor_b32_e32 v19, 0x80000000, v15
	s_delay_alu instid0(VALU_DEP_3)
	v_dual_mov_b32 v18, v14 :: v_dual_mov_b32 v20, v16
	ds_store_b128 v58, v[18:21]
.LBB85_60:                              ;   in Loop: Header=BB85_3 Depth=1
	s_or_b32 exec_lo, exec_lo, s17
	s_wait_dscnt 0x0
	;; [unrolled: 32-line block ×3, first 2 shown]
	s_barrier_signal -1
	s_barrier_wait -1
	s_barrier_signal -1
	s_barrier_wait -1
	s_and_saveexec_b32 s17, s3
; %bb.65:                               ;   in Loop: Header=BB85_3 Depth=1
	ds_store_b128 v60, v[14:17] offset:16256
; %bb.66:                               ;   in Loop: Header=BB85_3 Depth=1
	s_or_b32 exec_lo, exec_lo, s17
	s_wait_dscnt 0x0
	s_barrier_signal -1
	s_barrier_wait -1
	s_barrier_signal -1
	s_barrier_wait -1
	s_and_saveexec_b32 s17, s8
	s_cbranch_execz .LBB85_68
; %bb.67:                               ;   in Loop: Header=BB85_3 Depth=1
	s_mov_b32 s36, s57
	s_mov_b32 s38, s57
	;; [unrolled: 1-line block ×3, first 2 shown]
	v_mov_b64_e32 v[14:15], s[36:37]
	v_mov_b64_e32 v[16:17], s[38:39]
	ds_store_b128 v2, v[14:17] offset:13728
	ds_store_b128 v2, v[14:17] offset:14256
.LBB85_68:                              ;   in Loop: Header=BB85_3 Depth=1
	s_or_b32 exec_lo, exec_lo, s17
	v_mov_b64_e32 v[14:15], 0
	v_mov_b64_e32 v[16:17], 0
	s_wait_dscnt 0x0
	s_barrier_signal -1
	s_barrier_wait -1
	global_wb scope:SCOPE_DEV
	s_wait_storecnt 0x0
	global_inv scope:SCOPE_DEV
	s_and_saveexec_b32 s36, s2
	s_cbranch_execz .LBB85_72
; %bb.69:                               ;   in Loop: Header=BB85_3 Depth=1
	ds_load_b128 v[14:17], v25 offset:14240
	ds_load_b128 v[18:21], v53 offset:13696
	s_wait_dscnt 0x0
	v_mul_f64_e32 v[4:5], v[16:17], v[20:21]
	v_mul_f64_e32 v[20:21], v[14:15], v[20:21]
	s_delay_alu instid0(VALU_DEP_2) | instskip(NEXT) | instid1(VALU_DEP_2)
	v_fma_f64 v[4:5], v[14:15], v[18:19], -v[4:5]
	v_fmac_f64_e32 v[20:21], v[16:17], v[18:19]
	s_delay_alu instid0(VALU_DEP_2) | instskip(NEXT) | instid1(VALU_DEP_2)
	v_add_f64_e32 v[14:15], 0, v[4:5]
	v_add_f64_e32 v[16:17], 0, v[20:21]
	s_and_saveexec_b32 s17, s9
	s_cbranch_execz .LBB85_71
; %bb.70:                               ;   in Loop: Header=BB85_3 Depth=1
	ds_load_b128 v[18:21], v2 offset:14256
	ds_load_b128 v[40:43], v27 offset:14208
	s_wait_dscnt 0x0
	v_mul_f64_e32 v[4:5], v[20:21], v[42:43]
	v_mul_f64_e32 v[42:43], v[18:19], v[42:43]
	s_delay_alu instid0(VALU_DEP_2) | instskip(NEXT) | instid1(VALU_DEP_2)
	v_fma_f64 v[4:5], v[18:19], v[40:41], -v[4:5]
	v_fmac_f64_e32 v[42:43], v[20:21], v[40:41]
	s_delay_alu instid0(VALU_DEP_2) | instskip(NEXT) | instid1(VALU_DEP_2)
	v_add_f64_e32 v[14:15], v[14:15], v[4:5]
	v_add_f64_e32 v[16:17], v[16:17], v[42:43]
.LBB85_71:                              ;   in Loop: Header=BB85_3 Depth=1
	s_or_b32 exec_lo, exec_lo, s17
.LBB85_72:                              ;   in Loop: Header=BB85_3 Depth=1
	s_delay_alu instid0(SALU_CYCLE_1)
	s_or_b32 exec_lo, exec_lo, s36
	s_and_saveexec_b32 s17, s73
	s_cbranch_execz .LBB85_74
; %bb.73:                               ;   in Loop: Header=BB85_3 Depth=1
	s_delay_alu instid0(VALU_DEP_2) | instskip(NEXT) | instid1(VALU_DEP_2)
	v_xor_b32_e32 v19, 0x80000000, v15
	v_xor_b32_e32 v21, 0x80000000, v17
	s_delay_alu instid0(VALU_DEP_3)
	v_dual_mov_b32 v18, v14 :: v_dual_mov_b32 v20, v16
	ds_store_b128 v54, v[18:21]
.LBB85_74:                              ;   in Loop: Header=BB85_3 Depth=1
	s_or_b32 exec_lo, exec_lo, s17
	s_wait_loadcnt_dscnt 0x0
	s_barrier_signal -1
	s_barrier_wait -1
	s_and_saveexec_b32 s17, s74
	s_cbranch_execz .LBB85_76
; %bb.75:                               ;   in Loop: Header=BB85_3 Depth=1
	ds_load_b128 v[18:21], v54
	ds_load_b128 v[40:43], v2 offset:13184
	s_wait_dscnt 0x0
	v_mul_f64_e32 v[4:5], v[18:19], v[40:41]
	v_mul_f64_e32 v[18:19], v[18:19], v[42:43]
	s_delay_alu instid0(VALU_DEP_2) | instskip(NEXT) | instid1(VALU_DEP_2)
	v_fma_f64 v[4:5], v[20:21], v[42:43], -v[4:5]
	v_fmac_f64_e32 v[18:19], v[20:21], v[40:41]
	s_delay_alu instid0(VALU_DEP_2) | instskip(NEXT) | instid1(VALU_DEP_2)
	v_add_f64_e32 v[14:15], v[14:15], v[4:5]
	v_add_f64_e64 v[16:17], v[16:17], -v[18:19]
.LBB85_76:                              ;   in Loop: Header=BB85_3 Depth=1
	s_or_b32 exec_lo, exec_lo, s17
	s_barrier_signal -1
	s_barrier_wait -1
	s_and_saveexec_b32 s17, s74
	s_cbranch_execz .LBB85_78
; %bb.77:                               ;   in Loop: Header=BB85_3 Depth=1
	s_delay_alu instid0(VALU_DEP_2) | instskip(NEXT) | instid1(VALU_DEP_2)
	v_xor_b32_e32 v19, 0x80000000, v15
	v_xor_b32_e32 v21, 0x80000000, v17
	s_delay_alu instid0(VALU_DEP_3)
	v_dual_mov_b32 v18, v14 :: v_dual_mov_b32 v20, v16
	ds_store_b128 v54, v[18:21]
.LBB85_78:                              ;   in Loop: Header=BB85_3 Depth=1
	s_or_b32 exec_lo, exec_lo, s17
	s_wait_dscnt 0x0
	s_barrier_signal -1
	s_barrier_wait -1
	s_barrier_signal -1
	s_barrier_wait -1
	s_and_saveexec_b32 s17, s2
; %bb.79:                               ;   in Loop: Header=BB85_3 Depth=1
	ds_store_b128 v56, v[14:17] offset:14208
; %bb.80:                               ;   in Loop: Header=BB85_3 Depth=1
	s_or_b32 exec_lo, exec_lo, s17
	s_wait_dscnt 0x0
	s_barrier_signal -1
	s_barrier_wait -1
	s_barrier_signal -1
	s_barrier_wait -1
	s_and_saveexec_b32 s17, s8
	s_cbranch_execz .LBB85_82
; %bb.81:                               ;   in Loop: Header=BB85_3 Depth=1
	s_mov_b32 s36, s57
	s_mov_b32 s38, s57
	;; [unrolled: 1-line block ×3, first 2 shown]
	v_mov_b64_e32 v[14:15], s[36:37]
	v_mov_b64_e32 v[16:17], s[38:39]
	ds_store_b128 v2, v[14:17] offset:12672
	ds_store_b128 v2, v[14:17] offset:13200
.LBB85_82:                              ;   in Loop: Header=BB85_3 Depth=1
	s_or_b32 exec_lo, exec_lo, s17
	v_mov_b64_e32 v[16:17], 0
	v_mov_b64_e32 v[14:15], 0
	s_wait_dscnt 0x0
	s_barrier_signal -1
	s_barrier_wait -1
	global_wb scope:SCOPE_DEV
	s_wait_storecnt 0x0
	global_inv scope:SCOPE_DEV
	s_and_saveexec_b32 s36, s4
	s_cbranch_execz .LBB85_92
; %bb.83:                               ;   in Loop: Header=BB85_3 Depth=1
	ds_load_b128 v[14:17], v45 offset:16256
	ds_load_b128 v[18:21], v57 offset:12544
	s_wait_dscnt 0x0
	v_mul_f64_e32 v[4:5], v[16:17], v[20:21]
	v_mul_f64_e32 v[20:21], v[14:15], v[20:21]
	s_delay_alu instid0(VALU_DEP_2) | instskip(NEXT) | instid1(VALU_DEP_2)
	v_fma_f64 v[4:5], v[14:15], v[18:19], -v[4:5]
	v_fmac_f64_e32 v[20:21], v[16:17], v[18:19]
	s_delay_alu instid0(VALU_DEP_2) | instskip(NEXT) | instid1(VALU_DEP_2)
	v_add_f64_e32 v[14:15], 0, v[4:5]
	v_add_f64_e32 v[16:17], 0, v[20:21]
	s_and_saveexec_b32 s17, s12
	s_cbranch_execnz .LBB85_490
; %bb.84:                               ;   in Loop: Header=BB85_3 Depth=1
	s_or_b32 exec_lo, exec_lo, s17
	s_and_saveexec_b32 s17, s13
	s_cbranch_execnz .LBB85_491
.LBB85_85:                              ;   in Loop: Header=BB85_3 Depth=1
	s_or_b32 exec_lo, exec_lo, s17
	s_and_saveexec_b32 s17, s14
	s_cbranch_execnz .LBB85_492
.LBB85_86:                              ;   in Loop: Header=BB85_3 Depth=1
	s_or_b32 exec_lo, exec_lo, s17
	s_and_saveexec_b32 s17, s15
	s_cbranch_execnz .LBB85_493
.LBB85_87:                              ;   in Loop: Header=BB85_3 Depth=1
	s_or_b32 exec_lo, exec_lo, s17
	s_and_saveexec_b32 s17, s16
	s_cbranch_execnz .LBB85_494
.LBB85_88:                              ;   in Loop: Header=BB85_3 Depth=1
	s_or_b32 exec_lo, exec_lo, s17
	s_and_saveexec_b32 s17, s3
	s_cbranch_execnz .LBB85_495
.LBB85_89:                              ;   in Loop: Header=BB85_3 Depth=1
	s_or_b32 exec_lo, exec_lo, s17
	s_and_saveexec_b32 s17, s11
	s_cbranch_execz .LBB85_91
.LBB85_90:                              ;   in Loop: Header=BB85_3 Depth=1
	ds_load_b128 v[18:21], v2 offset:16368
	ds_load_b128 v[40:43], v27 offset:16128
	s_wait_dscnt 0x0
	v_mul_f64_e32 v[4:5], v[20:21], v[42:43]
	v_mul_f64_e32 v[42:43], v[18:19], v[42:43]
	s_delay_alu instid0(VALU_DEP_2) | instskip(NEXT) | instid1(VALU_DEP_2)
	v_fma_f64 v[4:5], v[18:19], v[40:41], -v[4:5]
	v_fmac_f64_e32 v[42:43], v[20:21], v[40:41]
	s_delay_alu instid0(VALU_DEP_2) | instskip(NEXT) | instid1(VALU_DEP_2)
	v_add_f64_e32 v[14:15], v[14:15], v[4:5]
	v_add_f64_e32 v[16:17], v[16:17], v[42:43]
.LBB85_91:                              ;   in Loop: Header=BB85_3 Depth=1
	s_or_b32 exec_lo, exec_lo, s17
.LBB85_92:                              ;   in Loop: Header=BB85_3 Depth=1
	s_delay_alu instid0(SALU_CYCLE_1)
	s_or_b32 exec_lo, exec_lo, s36
	s_and_saveexec_b32 s17, s81
	s_cbranch_execz .LBB85_94
; %bb.93:                               ;   in Loop: Header=BB85_3 Depth=1
	s_delay_alu instid0(VALU_DEP_2) | instskip(NEXT) | instid1(VALU_DEP_2)
	v_xor_b32_e32 v19, 0x80000000, v15
	v_xor_b32_e32 v21, 0x80000000, v17
	s_delay_alu instid0(VALU_DEP_3)
	v_dual_mov_b32 v18, v14 :: v_dual_mov_b32 v20, v16
	ds_store_b128 v61, v[18:21]
.LBB85_94:                              ;   in Loop: Header=BB85_3 Depth=1
	s_or_b32 exec_lo, exec_lo, s17
	s_wait_loadcnt_dscnt 0x0
	s_barrier_signal -1
	s_barrier_wait -1
	s_and_saveexec_b32 s17, s82
	s_cbranch_execz .LBB85_96
; %bb.95:                               ;   in Loop: Header=BB85_3 Depth=1
	ds_load_b128 v[18:21], v61
	ds_load_b128 v[40:43], v57 offset:12032
	s_wait_dscnt 0x0
	v_mul_f64_e32 v[4:5], v[20:21], v[42:43]
	v_mul_f64_e32 v[42:43], v[18:19], v[42:43]
	s_delay_alu instid0(VALU_DEP_2) | instskip(NEXT) | instid1(VALU_DEP_2)
	v_fma_f64 v[4:5], v[18:19], v[40:41], -v[4:5]
	v_fmac_f64_e32 v[42:43], v[20:21], v[40:41]
	s_delay_alu instid0(VALU_DEP_2) | instskip(NEXT) | instid1(VALU_DEP_2)
	v_add_f64_e64 v[14:15], v[14:15], -v[4:5]
	v_add_f64_e64 v[16:17], v[16:17], -v[42:43]
.LBB85_96:                              ;   in Loop: Header=BB85_3 Depth=1
	s_or_b32 exec_lo, exec_lo, s17
	s_barrier_signal -1
	s_barrier_wait -1
	s_and_saveexec_b32 s17, s83
	s_cbranch_execz .LBB85_98
; %bb.97:                               ;   in Loop: Header=BB85_3 Depth=1
	s_delay_alu instid0(VALU_DEP_2) | instskip(NEXT) | instid1(VALU_DEP_2)
	v_xor_b32_e32 v19, 0x80000000, v15
	v_xor_b32_e32 v21, 0x80000000, v17
	s_delay_alu instid0(VALU_DEP_3)
	v_dual_mov_b32 v18, v14 :: v_dual_mov_b32 v20, v16
	ds_store_b128 v61, v[18:21]
.LBB85_98:                              ;   in Loop: Header=BB85_3 Depth=1
	s_or_b32 exec_lo, exec_lo, s17
	s_wait_dscnt 0x0
	s_barrier_signal -1
	s_barrier_wait -1
	s_and_saveexec_b32 s17, s84
	s_cbranch_execz .LBB85_100
; %bb.99:                               ;   in Loop: Header=BB85_3 Depth=1
	ds_load_b128 v[18:21], v61
	ds_load_b128 v[40:43], v57 offset:11520
	s_wait_dscnt 0x0
	v_mul_f64_e32 v[4:5], v[20:21], v[42:43]
	v_mul_f64_e32 v[42:43], v[18:19], v[42:43]
	s_delay_alu instid0(VALU_DEP_2) | instskip(NEXT) | instid1(VALU_DEP_2)
	v_fma_f64 v[4:5], v[18:19], v[40:41], -v[4:5]
	v_fmac_f64_e32 v[42:43], v[20:21], v[40:41]
	s_delay_alu instid0(VALU_DEP_2) | instskip(NEXT) | instid1(VALU_DEP_2)
	v_add_f64_e64 v[14:15], v[14:15], -v[4:5]
	v_add_f64_e64 v[16:17], v[16:17], -v[42:43]
.LBB85_100:                             ;   in Loop: Header=BB85_3 Depth=1
	s_or_b32 exec_lo, exec_lo, s17
	s_barrier_signal -1
	s_barrier_wait -1
	s_and_saveexec_b32 s17, s85
	s_cbranch_execz .LBB85_102
; %bb.101:                              ;   in Loop: Header=BB85_3 Depth=1
	s_delay_alu instid0(VALU_DEP_2) | instskip(NEXT) | instid1(VALU_DEP_2)
	v_xor_b32_e32 v19, 0x80000000, v15
	v_xor_b32_e32 v21, 0x80000000, v17
	s_delay_alu instid0(VALU_DEP_3)
	v_dual_mov_b32 v18, v14 :: v_dual_mov_b32 v20, v16
	ds_store_b128 v61, v[18:21]
.LBB85_102:                             ;   in Loop: Header=BB85_3 Depth=1
	s_or_b32 exec_lo, exec_lo, s17
	s_wait_dscnt 0x0
	s_barrier_signal -1
	s_barrier_wait -1
	s_and_saveexec_b32 s17, s86
	s_cbranch_execz .LBB85_104
; %bb.103:                              ;   in Loop: Header=BB85_3 Depth=1
	ds_load_b128 v[18:21], v61
	ds_load_b128 v[40:43], v57 offset:11008
	s_wait_dscnt 0x0
	v_mul_f64_e32 v[4:5], v[20:21], v[42:43]
	v_mul_f64_e32 v[42:43], v[18:19], v[42:43]
	s_delay_alu instid0(VALU_DEP_2) | instskip(NEXT) | instid1(VALU_DEP_2)
	v_fma_f64 v[4:5], v[18:19], v[40:41], -v[4:5]
	v_fmac_f64_e32 v[42:43], v[20:21], v[40:41]
	s_delay_alu instid0(VALU_DEP_2) | instskip(NEXT) | instid1(VALU_DEP_2)
	v_add_f64_e64 v[14:15], v[14:15], -v[4:5]
	v_add_f64_e64 v[16:17], v[16:17], -v[42:43]
.LBB85_104:                             ;   in Loop: Header=BB85_3 Depth=1
	s_or_b32 exec_lo, exec_lo, s17
	s_barrier_signal -1
	s_barrier_wait -1
	s_and_saveexec_b32 s17, s87
	s_cbranch_execz .LBB85_106
; %bb.105:                              ;   in Loop: Header=BB85_3 Depth=1
	s_delay_alu instid0(VALU_DEP_2) | instskip(NEXT) | instid1(VALU_DEP_2)
	v_xor_b32_e32 v19, 0x80000000, v15
	v_xor_b32_e32 v21, 0x80000000, v17
	s_delay_alu instid0(VALU_DEP_3)
	v_dual_mov_b32 v18, v14 :: v_dual_mov_b32 v20, v16
	ds_store_b128 v61, v[18:21]
.LBB85_106:                             ;   in Loop: Header=BB85_3 Depth=1
	s_or_b32 exec_lo, exec_lo, s17
	s_wait_dscnt 0x0
	s_barrier_signal -1
	s_barrier_wait -1
	s_and_saveexec_b32 s17, s88
	s_cbranch_execz .LBB85_108
; %bb.107:                              ;   in Loop: Header=BB85_3 Depth=1
	ds_load_b128 v[18:21], v61
	ds_load_b128 v[40:43], v57 offset:10496
	s_wait_dscnt 0x0
	v_mul_f64_e32 v[4:5], v[20:21], v[42:43]
	v_mul_f64_e32 v[42:43], v[18:19], v[42:43]
	s_delay_alu instid0(VALU_DEP_2) | instskip(NEXT) | instid1(VALU_DEP_2)
	v_fma_f64 v[4:5], v[18:19], v[40:41], -v[4:5]
	v_fmac_f64_e32 v[42:43], v[20:21], v[40:41]
	s_delay_alu instid0(VALU_DEP_2) | instskip(NEXT) | instid1(VALU_DEP_2)
	v_add_f64_e64 v[14:15], v[14:15], -v[4:5]
	v_add_f64_e64 v[16:17], v[16:17], -v[42:43]
.LBB85_108:                             ;   in Loop: Header=BB85_3 Depth=1
	;; [unrolled: 32-line block ×5, first 2 shown]
	s_or_b32 exec_lo, exec_lo, s17
	s_barrier_signal -1
	s_barrier_wait -1
	s_and_saveexec_b32 s17, s94
	s_cbranch_execz .LBB85_122
; %bb.121:                              ;   in Loop: Header=BB85_3 Depth=1
	s_delay_alu instid0(VALU_DEP_2) | instskip(NEXT) | instid1(VALU_DEP_2)
	v_xor_b32_e32 v19, 0x80000000, v15
	v_xor_b32_e32 v21, 0x80000000, v17
	s_delay_alu instid0(VALU_DEP_3)
	v_dual_mov_b32 v18, v14 :: v_dual_mov_b32 v20, v16
	ds_store_b128 v61, v[18:21]
.LBB85_122:                             ;   in Loop: Header=BB85_3 Depth=1
	s_or_b32 exec_lo, exec_lo, s17
	s_wait_dscnt 0x0
	s_barrier_signal -1
	s_barrier_wait -1
	s_barrier_signal -1
	s_barrier_wait -1
	s_and_saveexec_b32 s17, s4
; %bb.123:                              ;   in Loop: Header=BB85_3 Depth=1
	ds_store_b128 v62, v[14:17] offset:16128
; %bb.124:                              ;   in Loop: Header=BB85_3 Depth=1
	s_or_b32 exec_lo, exec_lo, s17
	s_wait_dscnt 0x0
	s_barrier_signal -1
	s_barrier_wait -1
	s_barrier_signal -1
	s_barrier_wait -1
	s_and_saveexec_b32 s17, s8
	s_cbranch_execz .LBB85_126
; %bb.125:                              ;   in Loop: Header=BB85_3 Depth=1
	s_mov_b32 s36, s57
	s_mov_b32 s38, s57
	;; [unrolled: 1-line block ×3, first 2 shown]
	v_mov_b64_e32 v[14:15], s[36:37]
	v_mov_b64_e32 v[16:17], s[38:39]
	ds_store_b128 v2, v[14:17] offset:11616
	ds_store_b128 v2, v[14:17] offset:12144
.LBB85_126:                             ;   in Loop: Header=BB85_3 Depth=1
	s_or_b32 exec_lo, exec_lo, s17
	v_mov_b64_e32 v[14:15], 0
	v_mov_b64_e32 v[16:17], 0
	s_wait_dscnt 0x0
	s_barrier_signal -1
	s_barrier_wait -1
	global_wb scope:SCOPE_DEV
	s_wait_storecnt 0x0
	global_inv scope:SCOPE_DEV
	s_and_saveexec_b32 s36, s2
	s_cbranch_execz .LBB85_130
; %bb.127:                              ;   in Loop: Header=BB85_3 Depth=1
	ds_load_b128 v[14:17], v25 offset:12128
	ds_load_b128 v[18:21], v53 offset:11584
	s_wait_dscnt 0x0
	v_mul_f64_e32 v[4:5], v[16:17], v[20:21]
	v_mul_f64_e32 v[20:21], v[14:15], v[20:21]
	s_delay_alu instid0(VALU_DEP_2) | instskip(NEXT) | instid1(VALU_DEP_2)
	v_fma_f64 v[4:5], v[14:15], v[18:19], -v[4:5]
	v_fmac_f64_e32 v[20:21], v[16:17], v[18:19]
	s_delay_alu instid0(VALU_DEP_2) | instskip(NEXT) | instid1(VALU_DEP_2)
	v_add_f64_e32 v[14:15], 0, v[4:5]
	v_add_f64_e32 v[16:17], 0, v[20:21]
	s_and_saveexec_b32 s17, s9
	s_cbranch_execz .LBB85_129
; %bb.128:                              ;   in Loop: Header=BB85_3 Depth=1
	ds_load_b128 v[18:21], v2 offset:12144
	ds_load_b128 v[40:43], v27 offset:12096
	s_wait_dscnt 0x0
	v_mul_f64_e32 v[4:5], v[20:21], v[42:43]
	v_mul_f64_e32 v[42:43], v[18:19], v[42:43]
	s_delay_alu instid0(VALU_DEP_2) | instskip(NEXT) | instid1(VALU_DEP_2)
	v_fma_f64 v[4:5], v[18:19], v[40:41], -v[4:5]
	v_fmac_f64_e32 v[42:43], v[20:21], v[40:41]
	s_delay_alu instid0(VALU_DEP_2) | instskip(NEXT) | instid1(VALU_DEP_2)
	v_add_f64_e32 v[14:15], v[14:15], v[4:5]
	v_add_f64_e32 v[16:17], v[16:17], v[42:43]
.LBB85_129:                             ;   in Loop: Header=BB85_3 Depth=1
	s_or_b32 exec_lo, exec_lo, s17
.LBB85_130:                             ;   in Loop: Header=BB85_3 Depth=1
	s_delay_alu instid0(SALU_CYCLE_1)
	s_or_b32 exec_lo, exec_lo, s36
	s_and_saveexec_b32 s17, s73
	s_cbranch_execz .LBB85_132
; %bb.131:                              ;   in Loop: Header=BB85_3 Depth=1
	s_delay_alu instid0(VALU_DEP_2) | instskip(NEXT) | instid1(VALU_DEP_2)
	v_xor_b32_e32 v19, 0x80000000, v15
	v_xor_b32_e32 v21, 0x80000000, v17
	s_delay_alu instid0(VALU_DEP_3)
	v_dual_mov_b32 v18, v14 :: v_dual_mov_b32 v20, v16
	ds_store_b128 v54, v[18:21]
.LBB85_132:                             ;   in Loop: Header=BB85_3 Depth=1
	s_or_b32 exec_lo, exec_lo, s17
	s_wait_loadcnt_dscnt 0x0
	s_barrier_signal -1
	s_barrier_wait -1
	s_and_saveexec_b32 s17, s74
	s_cbranch_execz .LBB85_134
; %bb.133:                              ;   in Loop: Header=BB85_3 Depth=1
	ds_load_b128 v[18:21], v54
	ds_load_b128 v[40:43], v2 offset:11072
	s_wait_dscnt 0x0
	v_mul_f64_e32 v[4:5], v[18:19], v[40:41]
	v_mul_f64_e32 v[18:19], v[18:19], v[42:43]
	s_delay_alu instid0(VALU_DEP_2) | instskip(NEXT) | instid1(VALU_DEP_2)
	v_fma_f64 v[4:5], v[20:21], v[42:43], -v[4:5]
	v_fmac_f64_e32 v[18:19], v[20:21], v[40:41]
	s_delay_alu instid0(VALU_DEP_2) | instskip(NEXT) | instid1(VALU_DEP_2)
	v_add_f64_e32 v[14:15], v[14:15], v[4:5]
	v_add_f64_e64 v[16:17], v[16:17], -v[18:19]
.LBB85_134:                             ;   in Loop: Header=BB85_3 Depth=1
	s_or_b32 exec_lo, exec_lo, s17
	s_barrier_signal -1
	s_barrier_wait -1
	s_and_saveexec_b32 s17, s74
	s_cbranch_execz .LBB85_136
; %bb.135:                              ;   in Loop: Header=BB85_3 Depth=1
	s_delay_alu instid0(VALU_DEP_2) | instskip(NEXT) | instid1(VALU_DEP_2)
	v_xor_b32_e32 v19, 0x80000000, v15
	v_xor_b32_e32 v21, 0x80000000, v17
	s_delay_alu instid0(VALU_DEP_3)
	v_dual_mov_b32 v18, v14 :: v_dual_mov_b32 v20, v16
	ds_store_b128 v54, v[18:21]
.LBB85_136:                             ;   in Loop: Header=BB85_3 Depth=1
	s_or_b32 exec_lo, exec_lo, s17
	s_wait_dscnt 0x0
	s_barrier_signal -1
	s_barrier_wait -1
	s_barrier_signal -1
	s_barrier_wait -1
	s_and_saveexec_b32 s17, s2
; %bb.137:                              ;   in Loop: Header=BB85_3 Depth=1
	ds_store_b128 v56, v[14:17] offset:12096
; %bb.138:                              ;   in Loop: Header=BB85_3 Depth=1
	s_or_b32 exec_lo, exec_lo, s17
	s_wait_dscnt 0x0
	s_barrier_signal -1
	s_barrier_wait -1
	s_barrier_signal -1
	s_barrier_wait -1
	s_and_saveexec_b32 s17, s8
	s_cbranch_execz .LBB85_140
; %bb.139:                              ;   in Loop: Header=BB85_3 Depth=1
	s_mov_b32 s36, s57
	s_mov_b32 s38, s57
	;; [unrolled: 1-line block ×3, first 2 shown]
	v_mov_b64_e32 v[14:15], s[36:37]
	v_mov_b64_e32 v[16:17], s[38:39]
	ds_store_b128 v2, v[14:17] offset:10560
	ds_store_b128 v2, v[14:17] offset:11088
.LBB85_140:                             ;   in Loop: Header=BB85_3 Depth=1
	s_or_b32 exec_lo, exec_lo, s17
	v_mov_b64_e32 v[16:17], 0
	v_mov_b64_e32 v[14:15], 0
	s_wait_dscnt 0x0
	s_barrier_signal -1
	s_barrier_wait -1
	global_wb scope:SCOPE_DEV
	s_wait_storecnt 0x0
	global_inv scope:SCOPE_DEV
	s_and_saveexec_b32 s36, s3
	s_cbranch_execz .LBB85_146
; %bb.141:                              ;   in Loop: Header=BB85_3 Depth=1
	ds_load_b128 v[14:17], v44 offset:12096
	ds_load_b128 v[18:21], v55 offset:10496
	s_wait_dscnt 0x0
	v_mul_f64_e32 v[4:5], v[16:17], v[20:21]
	v_mul_f64_e32 v[20:21], v[14:15], v[20:21]
	s_delay_alu instid0(VALU_DEP_2) | instskip(NEXT) | instid1(VALU_DEP_2)
	v_fma_f64 v[4:5], v[14:15], v[18:19], -v[4:5]
	v_fmac_f64_e32 v[20:21], v[16:17], v[18:19]
	s_delay_alu instid0(VALU_DEP_2) | instskip(NEXT) | instid1(VALU_DEP_2)
	v_add_f64_e32 v[14:15], 0, v[4:5]
	v_add_f64_e32 v[16:17], 0, v[20:21]
	s_and_saveexec_b32 s17, s10
	s_cbranch_execnz .LBB85_496
; %bb.142:                              ;   in Loop: Header=BB85_3 Depth=1
	s_or_b32 exec_lo, exec_lo, s17
	s_and_saveexec_b32 s17, s11
	s_cbranch_execnz .LBB85_497
.LBB85_143:                             ;   in Loop: Header=BB85_3 Depth=1
	s_or_b32 exec_lo, exec_lo, s17
	s_and_saveexec_b32 s17, s2
	s_cbranch_execz .LBB85_145
.LBB85_144:                             ;   in Loop: Header=BB85_3 Depth=1
	ds_load_b128 v[18:21], v2 offset:12144
	ds_load_b128 v[40:43], v27 offset:12032
	s_wait_dscnt 0x0
	v_mul_f64_e32 v[4:5], v[20:21], v[42:43]
	v_mul_f64_e32 v[42:43], v[18:19], v[42:43]
	s_delay_alu instid0(VALU_DEP_2) | instskip(NEXT) | instid1(VALU_DEP_2)
	v_fma_f64 v[4:5], v[18:19], v[40:41], -v[4:5]
	v_fmac_f64_e32 v[42:43], v[20:21], v[40:41]
	s_delay_alu instid0(VALU_DEP_2) | instskip(NEXT) | instid1(VALU_DEP_2)
	v_add_f64_e32 v[14:15], v[14:15], v[4:5]
	v_add_f64_e32 v[16:17], v[16:17], v[42:43]
.LBB85_145:                             ;   in Loop: Header=BB85_3 Depth=1
	s_or_b32 exec_lo, exec_lo, s17
.LBB85_146:                             ;   in Loop: Header=BB85_3 Depth=1
	s_delay_alu instid0(SALU_CYCLE_1)
	s_or_b32 exec_lo, exec_lo, s36
	s_and_saveexec_b32 s17, s75
	s_cbranch_execz .LBB85_148
; %bb.147:                              ;   in Loop: Header=BB85_3 Depth=1
	s_delay_alu instid0(VALU_DEP_1) | instskip(NEXT) | instid1(VALU_DEP_3)
	v_xor_b32_e32 v21, 0x80000000, v17
	v_xor_b32_e32 v19, 0x80000000, v15
	s_delay_alu instid0(VALU_DEP_3)
	v_dual_mov_b32 v18, v14 :: v_dual_mov_b32 v20, v16
	ds_store_b128 v58, v[18:21]
.LBB85_148:                             ;   in Loop: Header=BB85_3 Depth=1
	s_or_b32 exec_lo, exec_lo, s17
	s_wait_loadcnt_dscnt 0x0
	s_barrier_signal -1
	s_barrier_wait -1
	s_and_saveexec_b32 s17, s76
	s_cbranch_execz .LBB85_150
; %bb.149:                              ;   in Loop: Header=BB85_3 Depth=1
	ds_load_b128 v[18:21], v58
	ds_load_b128 v[40:43], v55 offset:9984
	s_wait_dscnt 0x0
	v_mul_f64_e32 v[4:5], v[20:21], v[42:43]
	v_mul_f64_e32 v[42:43], v[18:19], v[42:43]
	s_delay_alu instid0(VALU_DEP_2) | instskip(NEXT) | instid1(VALU_DEP_2)
	v_fma_f64 v[4:5], v[18:19], v[40:41], -v[4:5]
	v_fmac_f64_e32 v[42:43], v[20:21], v[40:41]
	s_delay_alu instid0(VALU_DEP_2) | instskip(NEXT) | instid1(VALU_DEP_2)
	v_add_f64_e64 v[14:15], v[14:15], -v[4:5]
	v_add_f64_e64 v[16:17], v[16:17], -v[42:43]
.LBB85_150:                             ;   in Loop: Header=BB85_3 Depth=1
	s_or_b32 exec_lo, exec_lo, s17
	s_barrier_signal -1
	s_barrier_wait -1
	s_and_saveexec_b32 s17, s77
	s_cbranch_execz .LBB85_152
; %bb.151:                              ;   in Loop: Header=BB85_3 Depth=1
	s_delay_alu instid0(VALU_DEP_1) | instskip(NEXT) | instid1(VALU_DEP_3)
	v_xor_b32_e32 v21, 0x80000000, v17
	v_xor_b32_e32 v19, 0x80000000, v15
	s_delay_alu instid0(VALU_DEP_3)
	v_dual_mov_b32 v18, v14 :: v_dual_mov_b32 v20, v16
	ds_store_b128 v58, v[18:21]
.LBB85_152:                             ;   in Loop: Header=BB85_3 Depth=1
	s_or_b32 exec_lo, exec_lo, s17
	s_wait_dscnt 0x0
	s_barrier_signal -1
	s_barrier_wait -1
	s_and_saveexec_b32 s17, s78
	s_cbranch_execz .LBB85_154
; %bb.153:                              ;   in Loop: Header=BB85_3 Depth=1
	ds_load_b128 v[18:21], v58
	ds_load_b128 v[40:43], v55 offset:9472
	s_wait_dscnt 0x0
	v_mul_f64_e32 v[4:5], v[20:21], v[42:43]
	v_mul_f64_e32 v[42:43], v[18:19], v[42:43]
	s_delay_alu instid0(VALU_DEP_2) | instskip(NEXT) | instid1(VALU_DEP_2)
	v_fma_f64 v[4:5], v[18:19], v[40:41], -v[4:5]
	v_fmac_f64_e32 v[42:43], v[20:21], v[40:41]
	s_delay_alu instid0(VALU_DEP_2) | instskip(NEXT) | instid1(VALU_DEP_2)
	v_add_f64_e64 v[14:15], v[14:15], -v[4:5]
	v_add_f64_e64 v[16:17], v[16:17], -v[42:43]
.LBB85_154:                             ;   in Loop: Header=BB85_3 Depth=1
	s_or_b32 exec_lo, exec_lo, s17
	s_barrier_signal -1
	s_barrier_wait -1
	s_and_saveexec_b32 s17, s79
	s_cbranch_execz .LBB85_156
; %bb.155:                              ;   in Loop: Header=BB85_3 Depth=1
	s_delay_alu instid0(VALU_DEP_1) | instskip(NEXT) | instid1(VALU_DEP_3)
	v_xor_b32_e32 v21, 0x80000000, v17
	v_xor_b32_e32 v19, 0x80000000, v15
	s_delay_alu instid0(VALU_DEP_3)
	v_dual_mov_b32 v18, v14 :: v_dual_mov_b32 v20, v16
	ds_store_b128 v58, v[18:21]
.LBB85_156:                             ;   in Loop: Header=BB85_3 Depth=1
	s_or_b32 exec_lo, exec_lo, s17
	s_wait_dscnt 0x0
	;; [unrolled: 32-line block ×3, first 2 shown]
	s_barrier_signal -1
	s_barrier_wait -1
	s_barrier_signal -1
	s_barrier_wait -1
	s_and_saveexec_b32 s17, s3
; %bb.161:                              ;   in Loop: Header=BB85_3 Depth=1
	ds_store_b128 v60, v[14:17] offset:12032
; %bb.162:                              ;   in Loop: Header=BB85_3 Depth=1
	s_or_b32 exec_lo, exec_lo, s17
	s_wait_dscnt 0x0
	s_barrier_signal -1
	s_barrier_wait -1
	s_barrier_signal -1
	s_barrier_wait -1
	s_and_saveexec_b32 s17, s8
	s_cbranch_execz .LBB85_164
; %bb.163:                              ;   in Loop: Header=BB85_3 Depth=1
	s_mov_b32 s36, s57
	s_mov_b32 s38, s57
	;; [unrolled: 1-line block ×3, first 2 shown]
	v_mov_b64_e32 v[14:15], s[36:37]
	v_mov_b64_e32 v[16:17], s[38:39]
	ds_store_b128 v2, v[14:17] offset:9504
	ds_store_b128 v2, v[14:17] offset:10032
.LBB85_164:                             ;   in Loop: Header=BB85_3 Depth=1
	s_or_b32 exec_lo, exec_lo, s17
	v_mov_b64_e32 v[14:15], 0
	v_mov_b64_e32 v[16:17], 0
	s_wait_dscnt 0x0
	s_barrier_signal -1
	s_barrier_wait -1
	global_wb scope:SCOPE_DEV
	s_wait_storecnt 0x0
	global_inv scope:SCOPE_DEV
	s_and_saveexec_b32 s36, s2
	s_cbranch_execz .LBB85_168
; %bb.165:                              ;   in Loop: Header=BB85_3 Depth=1
	ds_load_b128 v[14:17], v25 offset:10016
	ds_load_b128 v[18:21], v53 offset:9472
	s_wait_dscnt 0x0
	v_mul_f64_e32 v[4:5], v[16:17], v[20:21]
	v_mul_f64_e32 v[20:21], v[14:15], v[20:21]
	s_delay_alu instid0(VALU_DEP_2) | instskip(NEXT) | instid1(VALU_DEP_2)
	v_fma_f64 v[4:5], v[14:15], v[18:19], -v[4:5]
	v_fmac_f64_e32 v[20:21], v[16:17], v[18:19]
	s_delay_alu instid0(VALU_DEP_2) | instskip(NEXT) | instid1(VALU_DEP_2)
	v_add_f64_e32 v[14:15], 0, v[4:5]
	v_add_f64_e32 v[16:17], 0, v[20:21]
	s_and_saveexec_b32 s17, s9
	s_cbranch_execz .LBB85_167
; %bb.166:                              ;   in Loop: Header=BB85_3 Depth=1
	ds_load_b128 v[18:21], v2 offset:10032
	ds_load_b128 v[40:43], v27 offset:9984
	s_wait_dscnt 0x0
	v_mul_f64_e32 v[4:5], v[20:21], v[42:43]
	v_mul_f64_e32 v[42:43], v[18:19], v[42:43]
	s_delay_alu instid0(VALU_DEP_2) | instskip(NEXT) | instid1(VALU_DEP_2)
	v_fma_f64 v[4:5], v[18:19], v[40:41], -v[4:5]
	v_fmac_f64_e32 v[42:43], v[20:21], v[40:41]
	s_delay_alu instid0(VALU_DEP_2) | instskip(NEXT) | instid1(VALU_DEP_2)
	v_add_f64_e32 v[14:15], v[14:15], v[4:5]
	v_add_f64_e32 v[16:17], v[16:17], v[42:43]
.LBB85_167:                             ;   in Loop: Header=BB85_3 Depth=1
	s_or_b32 exec_lo, exec_lo, s17
.LBB85_168:                             ;   in Loop: Header=BB85_3 Depth=1
	s_delay_alu instid0(SALU_CYCLE_1)
	s_or_b32 exec_lo, exec_lo, s36
	s_and_saveexec_b32 s17, s73
	s_cbranch_execz .LBB85_170
; %bb.169:                              ;   in Loop: Header=BB85_3 Depth=1
	s_delay_alu instid0(VALU_DEP_2) | instskip(NEXT) | instid1(VALU_DEP_2)
	v_xor_b32_e32 v19, 0x80000000, v15
	v_xor_b32_e32 v21, 0x80000000, v17
	s_delay_alu instid0(VALU_DEP_3)
	v_dual_mov_b32 v18, v14 :: v_dual_mov_b32 v20, v16
	ds_store_b128 v54, v[18:21]
.LBB85_170:                             ;   in Loop: Header=BB85_3 Depth=1
	s_or_b32 exec_lo, exec_lo, s17
	s_wait_loadcnt_dscnt 0x0
	s_barrier_signal -1
	s_barrier_wait -1
	s_and_saveexec_b32 s17, s74
	s_cbranch_execz .LBB85_172
; %bb.171:                              ;   in Loop: Header=BB85_3 Depth=1
	ds_load_b128 v[18:21], v54
	ds_load_b128 v[40:43], v2 offset:8960
	s_wait_dscnt 0x0
	v_mul_f64_e32 v[4:5], v[18:19], v[40:41]
	v_mul_f64_e32 v[18:19], v[18:19], v[42:43]
	s_delay_alu instid0(VALU_DEP_2) | instskip(NEXT) | instid1(VALU_DEP_2)
	v_fma_f64 v[4:5], v[20:21], v[42:43], -v[4:5]
	v_fmac_f64_e32 v[18:19], v[20:21], v[40:41]
	s_delay_alu instid0(VALU_DEP_2) | instskip(NEXT) | instid1(VALU_DEP_2)
	v_add_f64_e32 v[14:15], v[14:15], v[4:5]
	v_add_f64_e64 v[16:17], v[16:17], -v[18:19]
.LBB85_172:                             ;   in Loop: Header=BB85_3 Depth=1
	s_or_b32 exec_lo, exec_lo, s17
	s_barrier_signal -1
	s_barrier_wait -1
	s_and_saveexec_b32 s17, s74
	s_cbranch_execz .LBB85_174
; %bb.173:                              ;   in Loop: Header=BB85_3 Depth=1
	s_delay_alu instid0(VALU_DEP_2) | instskip(NEXT) | instid1(VALU_DEP_2)
	v_xor_b32_e32 v19, 0x80000000, v15
	v_xor_b32_e32 v21, 0x80000000, v17
	s_delay_alu instid0(VALU_DEP_3)
	v_dual_mov_b32 v18, v14 :: v_dual_mov_b32 v20, v16
	ds_store_b128 v54, v[18:21]
.LBB85_174:                             ;   in Loop: Header=BB85_3 Depth=1
	s_or_b32 exec_lo, exec_lo, s17
	s_wait_dscnt 0x0
	s_barrier_signal -1
	s_barrier_wait -1
	s_barrier_signal -1
	s_barrier_wait -1
	s_and_saveexec_b32 s17, s2
; %bb.175:                              ;   in Loop: Header=BB85_3 Depth=1
	ds_store_b128 v56, v[14:17] offset:9984
; %bb.176:                              ;   in Loop: Header=BB85_3 Depth=1
	s_or_b32 exec_lo, exec_lo, s17
	s_wait_dscnt 0x0
	s_barrier_signal -1
	s_barrier_wait -1
	s_barrier_signal -1
	s_barrier_wait -1
	s_and_saveexec_b32 s17, s8
	s_cbranch_execz .LBB85_178
; %bb.177:                              ;   in Loop: Header=BB85_3 Depth=1
	s_mov_b32 s36, s57
	s_mov_b32 s38, s57
	;; [unrolled: 1-line block ×3, first 2 shown]
	v_mov_b64_e32 v[14:15], s[36:37]
	v_mov_b64_e32 v[16:17], s[38:39]
	ds_store_b128 v2, v[14:17] offset:8448
	ds_store_b128 v2, v[14:17] offset:8976
.LBB85_178:                             ;   in Loop: Header=BB85_3 Depth=1
	s_or_b32 exec_lo, exec_lo, s17
	v_mov_b64_e32 v[16:17], 0
	v_mov_b64_e32 v[14:15], 0
	s_wait_dscnt 0x0
	s_barrier_signal -1
	s_barrier_wait -1
	global_wb scope:SCOPE_DEV
	s_wait_storecnt 0x0
	global_inv scope:SCOPE_DEV
	s_and_saveexec_b32 s36, s5
	s_cbranch_execz .LBB85_206
; %bb.179:                              ;   in Loop: Header=BB85_3 Depth=1
	ds_load_b128 v[14:17], v46 offset:16128
	ds_load_b128 v[18:21], v59 offset:8192
	s_wait_dscnt 0x0
	v_mul_f64_e32 v[4:5], v[16:17], v[20:21]
	v_mul_f64_e32 v[20:21], v[14:15], v[20:21]
	s_delay_alu instid0(VALU_DEP_2) | instskip(NEXT) | instid1(VALU_DEP_2)
	v_fma_f64 v[4:5], v[14:15], v[18:19], -v[4:5]
	v_fmac_f64_e32 v[20:21], v[16:17], v[18:19]
	s_delay_alu instid0(VALU_DEP_2) | instskip(NEXT) | instid1(VALU_DEP_2)
	v_add_f64_e32 v[14:15], 0, v[4:5]
	v_add_f64_e32 v[16:17], 0, v[20:21]
	s_mov_b32 s17, exec_lo
	v_readlane_b32 s24, v75, 22
	s_and_b32 s24, s17, s24
	s_delay_alu instid0(SALU_CYCLE_1)
	s_mov_b32 exec_lo, s24
	s_cbranch_execz .LBB85_181
; %bb.180:                              ;   in Loop: Header=BB85_3 Depth=1
	ds_load_b128 v[18:21], v46 offset:16144
	ds_load_b128 v[40:43], v59 offset:8704
	s_wait_dscnt 0x0
	v_mul_f64_e32 v[4:5], v[20:21], v[42:43]
	v_mul_f64_e32 v[42:43], v[18:19], v[42:43]
	s_delay_alu instid0(VALU_DEP_2) | instskip(NEXT) | instid1(VALU_DEP_2)
	v_fma_f64 v[4:5], v[18:19], v[40:41], -v[4:5]
	v_fmac_f64_e32 v[42:43], v[20:21], v[40:41]
	s_delay_alu instid0(VALU_DEP_2) | instskip(NEXT) | instid1(VALU_DEP_2)
	v_add_f64_e32 v[14:15], v[14:15], v[4:5]
	v_add_f64_e32 v[16:17], v[16:17], v[42:43]
.LBB85_181:                             ;   in Loop: Header=BB85_3 Depth=1
	s_or_b32 exec_lo, exec_lo, s17
	s_delay_alu instid0(SALU_CYCLE_1) | instskip(SKIP_2) | instid1(SALU_CYCLE_1)
	s_mov_b32 s17, exec_lo
	v_readlane_b32 s24, v75, 23
	s_and_b32 s24, s17, s24
	s_mov_b32 exec_lo, s24
	s_cbranch_execz .LBB85_183
; %bb.182:                              ;   in Loop: Header=BB85_3 Depth=1
	ds_load_b128 v[18:21], v46 offset:16160
	ds_load_b128 v[40:43], v59 offset:9216
	s_wait_dscnt 0x0
	v_mul_f64_e32 v[4:5], v[20:21], v[42:43]
	v_mul_f64_e32 v[42:43], v[18:19], v[42:43]
	s_delay_alu instid0(VALU_DEP_2) | instskip(NEXT) | instid1(VALU_DEP_2)
	v_fma_f64 v[4:5], v[18:19], v[40:41], -v[4:5]
	v_fmac_f64_e32 v[42:43], v[20:21], v[40:41]
	s_delay_alu instid0(VALU_DEP_2) | instskip(NEXT) | instid1(VALU_DEP_2)
	v_add_f64_e32 v[14:15], v[14:15], v[4:5]
	v_add_f64_e32 v[16:17], v[16:17], v[42:43]
.LBB85_183:                             ;   in Loop: Header=BB85_3 Depth=1
	s_or_b32 exec_lo, exec_lo, s17
	s_delay_alu instid0(SALU_CYCLE_1) | instskip(SKIP_2) | instid1(SALU_CYCLE_1)
	s_mov_b32 s17, exec_lo
	v_readlane_b32 s24, v75, 24
	s_and_b32 s24, s17, s24
	;; [unrolled: 20-line block ×10, first 2 shown]
	s_mov_b32 exec_lo, s24
	s_cbranch_execnz .LBB85_498
; %bb.200:                              ;   in Loop: Header=BB85_3 Depth=1
	s_or_b32 exec_lo, exec_lo, s17
	s_and_saveexec_b32 s17, s4
	s_cbranch_execnz .LBB85_499
.LBB85_201:                             ;   in Loop: Header=BB85_3 Depth=1
	s_or_b32 exec_lo, exec_lo, s17
	s_and_saveexec_b32 s17, s13
	s_cbranch_execnz .LBB85_500
.LBB85_202:                             ;   in Loop: Header=BB85_3 Depth=1
	s_or_b32 exec_lo, exec_lo, s17
	s_and_saveexec_b32 s17, s15
	s_cbranch_execnz .LBB85_501
.LBB85_203:                             ;   in Loop: Header=BB85_3 Depth=1
	s_or_b32 exec_lo, exec_lo, s17
	s_and_saveexec_b32 s17, s3
	s_cbranch_execz .LBB85_205
.LBB85_204:                             ;   in Loop: Header=BB85_3 Depth=1
	ds_load_b128 v[18:21], v2 offset:16368
	ds_load_b128 v[40:43], v27 offset:15872
	s_wait_dscnt 0x0
	v_mul_f64_e32 v[4:5], v[20:21], v[42:43]
	v_mul_f64_e32 v[42:43], v[18:19], v[42:43]
	s_delay_alu instid0(VALU_DEP_2) | instskip(NEXT) | instid1(VALU_DEP_2)
	v_fma_f64 v[4:5], v[18:19], v[40:41], -v[4:5]
	v_fmac_f64_e32 v[42:43], v[20:21], v[40:41]
	s_delay_alu instid0(VALU_DEP_2) | instskip(NEXT) | instid1(VALU_DEP_2)
	v_add_f64_e32 v[14:15], v[14:15], v[4:5]
	v_add_f64_e32 v[16:17], v[16:17], v[42:43]
.LBB85_205:                             ;   in Loop: Header=BB85_3 Depth=1
	s_or_b32 exec_lo, exec_lo, s17
.LBB85_206:                             ;   in Loop: Header=BB85_3 Depth=1
	s_delay_alu instid0(SALU_CYCLE_1) | instskip(NEXT) | instid1(SALU_CYCLE_1)
	s_or_b32 exec_lo, exec_lo, s36
	s_mov_b32 s17, exec_lo
	v_readlane_b32 s24, v75, 0
	s_and_b32 s24, s17, s24
	s_delay_alu instid0(SALU_CYCLE_1)
	s_mov_b32 exec_lo, s24
	s_cbranch_execz .LBB85_208
; %bb.207:                              ;   in Loop: Header=BB85_3 Depth=1
	v_xor_b32_e32 v21, 0x80000000, v17
	v_xor_b32_e32 v19, 0x80000000, v15
	v_dual_mov_b32 v18, v14 :: v_dual_mov_b32 v20, v16
	ds_store_b128 v63, v[18:21]
.LBB85_208:                             ;   in Loop: Header=BB85_3 Depth=1
	s_or_b32 exec_lo, exec_lo, s17
	s_wait_loadcnt_dscnt 0x0
	s_barrier_signal -1
	s_barrier_wait -1
	s_mov_b32 s17, exec_lo
	v_readlane_b32 s24, v75, 1
	s_and_b32 s24, s17, s24
	s_delay_alu instid0(SALU_CYCLE_1)
	s_mov_b32 exec_lo, s24
	s_cbranch_execz .LBB85_210
; %bb.209:                              ;   in Loop: Header=BB85_3 Depth=1
	ds_load_b128 v[18:21], v63
	ds_load_b128 v[40:43], v59 offset:7680
	s_wait_dscnt 0x0
	v_mul_f64_e32 v[4:5], v[20:21], v[42:43]
	v_mul_f64_e32 v[42:43], v[18:19], v[42:43]
	s_delay_alu instid0(VALU_DEP_2) | instskip(NEXT) | instid1(VALU_DEP_2)
	v_fma_f64 v[4:5], v[18:19], v[40:41], -v[4:5]
	v_fmac_f64_e32 v[42:43], v[20:21], v[40:41]
	s_delay_alu instid0(VALU_DEP_2) | instskip(NEXT) | instid1(VALU_DEP_2)
	v_add_f64_e64 v[14:15], v[14:15], -v[4:5]
	v_add_f64_e64 v[16:17], v[16:17], -v[42:43]
.LBB85_210:                             ;   in Loop: Header=BB85_3 Depth=1
	s_or_b32 exec_lo, exec_lo, s17
	s_barrier_signal -1
	s_barrier_wait -1
	s_mov_b32 s17, exec_lo
	v_readlane_b32 s24, v75, 2
	s_and_b32 s24, s17, s24
	s_delay_alu instid0(SALU_CYCLE_1)
	s_mov_b32 exec_lo, s24
	s_cbranch_execz .LBB85_212
; %bb.211:                              ;   in Loop: Header=BB85_3 Depth=1
	v_xor_b32_e32 v21, 0x80000000, v17
	v_xor_b32_e32 v19, 0x80000000, v15
	v_dual_mov_b32 v18, v14 :: v_dual_mov_b32 v20, v16
	ds_store_b128 v63, v[18:21]
.LBB85_212:                             ;   in Loop: Header=BB85_3 Depth=1
	s_or_b32 exec_lo, exec_lo, s17
	s_wait_dscnt 0x0
	s_barrier_signal -1
	s_barrier_wait -1
	s_mov_b32 s17, exec_lo
	v_readlane_b32 s24, v75, 3
	s_and_b32 s24, s17, s24
	s_delay_alu instid0(SALU_CYCLE_1)
	s_mov_b32 exec_lo, s24
	s_cbranch_execz .LBB85_214
; %bb.213:                              ;   in Loop: Header=BB85_3 Depth=1
	ds_load_b128 v[18:21], v63
	ds_load_b128 v[40:43], v59 offset:7168
	s_wait_dscnt 0x0
	v_mul_f64_e32 v[4:5], v[20:21], v[42:43]
	v_mul_f64_e32 v[42:43], v[18:19], v[42:43]
	s_delay_alu instid0(VALU_DEP_2) | instskip(NEXT) | instid1(VALU_DEP_2)
	v_fma_f64 v[4:5], v[18:19], v[40:41], -v[4:5]
	v_fmac_f64_e32 v[42:43], v[20:21], v[40:41]
	s_delay_alu instid0(VALU_DEP_2) | instskip(NEXT) | instid1(VALU_DEP_2)
	v_add_f64_e64 v[14:15], v[14:15], -v[4:5]
	v_add_f64_e64 v[16:17], v[16:17], -v[42:43]
.LBB85_214:                             ;   in Loop: Header=BB85_3 Depth=1
	s_or_b32 exec_lo, exec_lo, s17
	s_barrier_signal -1
	s_barrier_wait -1
	s_mov_b32 s17, exec_lo
	v_readlane_b32 s24, v75, 4
	s_and_b32 s24, s17, s24
	s_delay_alu instid0(SALU_CYCLE_1)
	s_mov_b32 exec_lo, s24
	s_cbranch_execz .LBB85_216
; %bb.215:                              ;   in Loop: Header=BB85_3 Depth=1
	v_xor_b32_e32 v21, 0x80000000, v17
	v_xor_b32_e32 v19, 0x80000000, v15
	v_dual_mov_b32 v18, v14 :: v_dual_mov_b32 v20, v16
	ds_store_b128 v63, v[18:21]
.LBB85_216:                             ;   in Loop: Header=BB85_3 Depth=1
	s_or_b32 exec_lo, exec_lo, s17
	s_wait_dscnt 0x0
	;; [unrolled: 38-line block ×10, first 2 shown]
	s_barrier_signal -1
	s_barrier_wait -1
	s_and_saveexec_b32 s17, s95
	s_cbranch_execz .LBB85_250
; %bb.249:                              ;   in Loop: Header=BB85_3 Depth=1
	ds_load_b128 v[18:21], v63
	ds_load_b128 v[40:43], v59 offset:2560
	s_wait_dscnt 0x0
	v_mul_f64_e32 v[4:5], v[20:21], v[42:43]
	v_mul_f64_e32 v[42:43], v[18:19], v[42:43]
	s_delay_alu instid0(VALU_DEP_2) | instskip(NEXT) | instid1(VALU_DEP_2)
	v_fma_f64 v[4:5], v[18:19], v[40:41], -v[4:5]
	v_fmac_f64_e32 v[42:43], v[20:21], v[40:41]
	s_delay_alu instid0(VALU_DEP_2) | instskip(NEXT) | instid1(VALU_DEP_2)
	v_add_f64_e64 v[14:15], v[14:15], -v[4:5]
	v_add_f64_e64 v[16:17], v[16:17], -v[42:43]
.LBB85_250:                             ;   in Loop: Header=BB85_3 Depth=1
	s_or_b32 exec_lo, exec_lo, s17
	s_barrier_signal -1
	s_barrier_wait -1
	s_and_saveexec_b32 s17, s96
	s_cbranch_execz .LBB85_252
; %bb.251:                              ;   in Loop: Header=BB85_3 Depth=1
	s_delay_alu instid0(VALU_DEP_1) | instskip(NEXT) | instid1(VALU_DEP_3)
	v_xor_b32_e32 v21, 0x80000000, v17
	v_xor_b32_e32 v19, 0x80000000, v15
	s_delay_alu instid0(VALU_DEP_3)
	v_dual_mov_b32 v18, v14 :: v_dual_mov_b32 v20, v16
	ds_store_b128 v63, v[18:21]
.LBB85_252:                             ;   in Loop: Header=BB85_3 Depth=1
	s_or_b32 exec_lo, exec_lo, s17
	s_wait_dscnt 0x0
	s_barrier_signal -1
	s_barrier_wait -1
	s_and_saveexec_b32 s17, s97
	s_cbranch_execz .LBB85_254
; %bb.253:                              ;   in Loop: Header=BB85_3 Depth=1
	ds_load_b128 v[18:21], v63
	ds_load_b128 v[40:43], v59 offset:2048
	s_wait_dscnt 0x0
	v_mul_f64_e32 v[4:5], v[20:21], v[42:43]
	v_mul_f64_e32 v[42:43], v[18:19], v[42:43]
	s_delay_alu instid0(VALU_DEP_2) | instskip(NEXT) | instid1(VALU_DEP_2)
	v_fma_f64 v[4:5], v[18:19], v[40:41], -v[4:5]
	v_fmac_f64_e32 v[42:43], v[20:21], v[40:41]
	s_delay_alu instid0(VALU_DEP_2) | instskip(NEXT) | instid1(VALU_DEP_2)
	v_add_f64_e64 v[14:15], v[14:15], -v[4:5]
	v_add_f64_e64 v[16:17], v[16:17], -v[42:43]
.LBB85_254:                             ;   in Loop: Header=BB85_3 Depth=1
	s_or_b32 exec_lo, exec_lo, s17
	s_barrier_signal -1
	s_barrier_wait -1
	s_and_saveexec_b32 s17, s98
	s_cbranch_execz .LBB85_256
; %bb.255:                              ;   in Loop: Header=BB85_3 Depth=1
	s_delay_alu instid0(VALU_DEP_1) | instskip(NEXT) | instid1(VALU_DEP_3)
	v_xor_b32_e32 v21, 0x80000000, v17
	v_xor_b32_e32 v19, 0x80000000, v15
	s_delay_alu instid0(VALU_DEP_3)
	v_dual_mov_b32 v18, v14 :: v_dual_mov_b32 v20, v16
	ds_store_b128 v63, v[18:21]
.LBB85_256:                             ;   in Loop: Header=BB85_3 Depth=1
	s_or_b32 exec_lo, exec_lo, s17
	s_wait_dscnt 0x0
	;; [unrolled: 32-line block ×5, first 2 shown]
	s_barrier_signal -1
	s_barrier_wait -1
	s_barrier_signal -1
	s_barrier_wait -1
	s_and_saveexec_b32 s17, s5
; %bb.269:                              ;   in Loop: Header=BB85_3 Depth=1
	ds_store_b128 v64, v[14:17] offset:15872
; %bb.270:                              ;   in Loop: Header=BB85_3 Depth=1
	s_or_b32 exec_lo, exec_lo, s17
	s_wait_dscnt 0x0
	s_barrier_signal -1
	s_barrier_wait -1
	s_barrier_signal -1
	s_barrier_wait -1
	s_and_saveexec_b32 s17, s8
	s_cbranch_execz .LBB85_272
; %bb.271:                              ;   in Loop: Header=BB85_3 Depth=1
	s_mov_b32 s36, s57
	s_mov_b32 s38, s57
	;; [unrolled: 1-line block ×3, first 2 shown]
	v_mov_b64_e32 v[14:15], s[36:37]
	v_mov_b64_e32 v[16:17], s[38:39]
	ds_store_b128 v2, v[14:17] offset:7392
	ds_store_b128 v2, v[14:17] offset:7920
.LBB85_272:                             ;   in Loop: Header=BB85_3 Depth=1
	s_or_b32 exec_lo, exec_lo, s17
	v_mov_b64_e32 v[14:15], 0
	v_mov_b64_e32 v[16:17], 0
	s_wait_dscnt 0x0
	s_barrier_signal -1
	s_barrier_wait -1
	global_wb scope:SCOPE_DEV
	s_wait_storecnt 0x0
	global_inv scope:SCOPE_DEV
	s_and_saveexec_b32 s36, s2
	s_cbranch_execz .LBB85_276
; %bb.273:                              ;   in Loop: Header=BB85_3 Depth=1
	ds_load_b128 v[14:17], v25 offset:7904
	ds_load_b128 v[18:21], v53 offset:7360
	s_wait_dscnt 0x0
	v_mul_f64_e32 v[4:5], v[16:17], v[20:21]
	v_mul_f64_e32 v[20:21], v[14:15], v[20:21]
	s_delay_alu instid0(VALU_DEP_2) | instskip(NEXT) | instid1(VALU_DEP_2)
	v_fma_f64 v[4:5], v[14:15], v[18:19], -v[4:5]
	v_fmac_f64_e32 v[20:21], v[16:17], v[18:19]
	s_delay_alu instid0(VALU_DEP_2) | instskip(NEXT) | instid1(VALU_DEP_2)
	v_add_f64_e32 v[14:15], 0, v[4:5]
	v_add_f64_e32 v[16:17], 0, v[20:21]
	s_and_saveexec_b32 s17, s9
	s_cbranch_execz .LBB85_275
; %bb.274:                              ;   in Loop: Header=BB85_3 Depth=1
	ds_load_b128 v[18:21], v2 offset:7920
	ds_load_b128 v[40:43], v27 offset:7872
	s_wait_dscnt 0x0
	v_mul_f64_e32 v[4:5], v[20:21], v[42:43]
	v_mul_f64_e32 v[42:43], v[18:19], v[42:43]
	s_delay_alu instid0(VALU_DEP_2) | instskip(NEXT) | instid1(VALU_DEP_2)
	v_fma_f64 v[4:5], v[18:19], v[40:41], -v[4:5]
	v_fmac_f64_e32 v[42:43], v[20:21], v[40:41]
	s_delay_alu instid0(VALU_DEP_2) | instskip(NEXT) | instid1(VALU_DEP_2)
	v_add_f64_e32 v[14:15], v[14:15], v[4:5]
	v_add_f64_e32 v[16:17], v[16:17], v[42:43]
.LBB85_275:                             ;   in Loop: Header=BB85_3 Depth=1
	s_or_b32 exec_lo, exec_lo, s17
.LBB85_276:                             ;   in Loop: Header=BB85_3 Depth=1
	s_delay_alu instid0(SALU_CYCLE_1)
	s_or_b32 exec_lo, exec_lo, s36
	s_and_saveexec_b32 s17, s73
	s_cbranch_execz .LBB85_278
; %bb.277:                              ;   in Loop: Header=BB85_3 Depth=1
	s_delay_alu instid0(VALU_DEP_2) | instskip(NEXT) | instid1(VALU_DEP_2)
	v_xor_b32_e32 v19, 0x80000000, v15
	v_xor_b32_e32 v21, 0x80000000, v17
	s_delay_alu instid0(VALU_DEP_3)
	v_dual_mov_b32 v18, v14 :: v_dual_mov_b32 v20, v16
	ds_store_b128 v54, v[18:21]
.LBB85_278:                             ;   in Loop: Header=BB85_3 Depth=1
	s_or_b32 exec_lo, exec_lo, s17
	s_wait_loadcnt_dscnt 0x0
	s_barrier_signal -1
	s_barrier_wait -1
	s_and_saveexec_b32 s17, s74
	s_cbranch_execz .LBB85_280
; %bb.279:                              ;   in Loop: Header=BB85_3 Depth=1
	ds_load_b128 v[18:21], v54
	ds_load_b128 v[40:43], v2 offset:6848
	s_wait_dscnt 0x0
	v_mul_f64_e32 v[4:5], v[18:19], v[40:41]
	v_mul_f64_e32 v[18:19], v[18:19], v[42:43]
	s_delay_alu instid0(VALU_DEP_2) | instskip(NEXT) | instid1(VALU_DEP_2)
	v_fma_f64 v[4:5], v[20:21], v[42:43], -v[4:5]
	v_fmac_f64_e32 v[18:19], v[20:21], v[40:41]
	s_delay_alu instid0(VALU_DEP_2) | instskip(NEXT) | instid1(VALU_DEP_2)
	v_add_f64_e32 v[14:15], v[14:15], v[4:5]
	v_add_f64_e64 v[16:17], v[16:17], -v[18:19]
.LBB85_280:                             ;   in Loop: Header=BB85_3 Depth=1
	s_or_b32 exec_lo, exec_lo, s17
	s_barrier_signal -1
	s_barrier_wait -1
	s_and_saveexec_b32 s17, s74
	s_cbranch_execz .LBB85_282
; %bb.281:                              ;   in Loop: Header=BB85_3 Depth=1
	s_delay_alu instid0(VALU_DEP_2) | instskip(NEXT) | instid1(VALU_DEP_2)
	v_xor_b32_e32 v19, 0x80000000, v15
	v_xor_b32_e32 v21, 0x80000000, v17
	s_delay_alu instid0(VALU_DEP_3)
	v_dual_mov_b32 v18, v14 :: v_dual_mov_b32 v20, v16
	ds_store_b128 v54, v[18:21]
.LBB85_282:                             ;   in Loop: Header=BB85_3 Depth=1
	s_or_b32 exec_lo, exec_lo, s17
	s_wait_dscnt 0x0
	s_barrier_signal -1
	s_barrier_wait -1
	s_barrier_signal -1
	s_barrier_wait -1
	s_and_saveexec_b32 s17, s2
; %bb.283:                              ;   in Loop: Header=BB85_3 Depth=1
	ds_store_b128 v56, v[14:17] offset:7872
; %bb.284:                              ;   in Loop: Header=BB85_3 Depth=1
	s_or_b32 exec_lo, exec_lo, s17
	s_wait_dscnt 0x0
	s_barrier_signal -1
	s_barrier_wait -1
	s_barrier_signal -1
	s_barrier_wait -1
	s_and_saveexec_b32 s17, s8
	s_cbranch_execz .LBB85_286
; %bb.285:                              ;   in Loop: Header=BB85_3 Depth=1
	s_mov_b32 s36, s57
	s_mov_b32 s38, s57
	;; [unrolled: 1-line block ×3, first 2 shown]
	v_mov_b64_e32 v[14:15], s[36:37]
	v_mov_b64_e32 v[16:17], s[38:39]
	ds_store_b128 v2, v[14:17] offset:6336
	ds_store_b128 v2, v[14:17] offset:6864
.LBB85_286:                             ;   in Loop: Header=BB85_3 Depth=1
	s_or_b32 exec_lo, exec_lo, s17
	v_mov_b64_e32 v[16:17], 0
	v_mov_b64_e32 v[14:15], 0
	s_wait_dscnt 0x0
	s_barrier_signal -1
	s_barrier_wait -1
	global_wb scope:SCOPE_DEV
	s_wait_storecnt 0x0
	global_inv scope:SCOPE_DEV
	s_and_saveexec_b32 s36, s3
	s_cbranch_execz .LBB85_292
; %bb.287:                              ;   in Loop: Header=BB85_3 Depth=1
	ds_load_b128 v[14:17], v44 offset:7872
	ds_load_b128 v[18:21], v55 offset:6272
	s_wait_dscnt 0x0
	v_mul_f64_e32 v[4:5], v[16:17], v[20:21]
	v_mul_f64_e32 v[20:21], v[14:15], v[20:21]
	s_delay_alu instid0(VALU_DEP_2) | instskip(NEXT) | instid1(VALU_DEP_2)
	v_fma_f64 v[4:5], v[14:15], v[18:19], -v[4:5]
	v_fmac_f64_e32 v[20:21], v[16:17], v[18:19]
	s_delay_alu instid0(VALU_DEP_2) | instskip(NEXT) | instid1(VALU_DEP_2)
	v_add_f64_e32 v[14:15], 0, v[4:5]
	v_add_f64_e32 v[16:17], 0, v[20:21]
	s_and_saveexec_b32 s17, s10
	s_cbranch_execnz .LBB85_502
; %bb.288:                              ;   in Loop: Header=BB85_3 Depth=1
	s_or_b32 exec_lo, exec_lo, s17
	s_and_saveexec_b32 s17, s11
	s_cbranch_execnz .LBB85_503
.LBB85_289:                             ;   in Loop: Header=BB85_3 Depth=1
	s_or_b32 exec_lo, exec_lo, s17
	s_and_saveexec_b32 s17, s2
	s_cbranch_execz .LBB85_291
.LBB85_290:                             ;   in Loop: Header=BB85_3 Depth=1
	ds_load_b128 v[18:21], v2 offset:7920
	ds_load_b128 v[40:43], v27 offset:7808
	s_wait_dscnt 0x0
	v_mul_f64_e32 v[4:5], v[20:21], v[42:43]
	v_mul_f64_e32 v[42:43], v[18:19], v[42:43]
	s_delay_alu instid0(VALU_DEP_2) | instskip(NEXT) | instid1(VALU_DEP_2)
	v_fma_f64 v[4:5], v[18:19], v[40:41], -v[4:5]
	v_fmac_f64_e32 v[42:43], v[20:21], v[40:41]
	s_delay_alu instid0(VALU_DEP_2) | instskip(NEXT) | instid1(VALU_DEP_2)
	v_add_f64_e32 v[14:15], v[14:15], v[4:5]
	v_add_f64_e32 v[16:17], v[16:17], v[42:43]
.LBB85_291:                             ;   in Loop: Header=BB85_3 Depth=1
	s_or_b32 exec_lo, exec_lo, s17
.LBB85_292:                             ;   in Loop: Header=BB85_3 Depth=1
	s_delay_alu instid0(SALU_CYCLE_1)
	s_or_b32 exec_lo, exec_lo, s36
	s_and_saveexec_b32 s17, s75
	s_cbranch_execz .LBB85_294
; %bb.293:                              ;   in Loop: Header=BB85_3 Depth=1
	s_delay_alu instid0(VALU_DEP_1) | instskip(NEXT) | instid1(VALU_DEP_3)
	v_xor_b32_e32 v21, 0x80000000, v17
	v_xor_b32_e32 v19, 0x80000000, v15
	s_delay_alu instid0(VALU_DEP_3)
	v_dual_mov_b32 v18, v14 :: v_dual_mov_b32 v20, v16
	ds_store_b128 v58, v[18:21]
.LBB85_294:                             ;   in Loop: Header=BB85_3 Depth=1
	s_or_b32 exec_lo, exec_lo, s17
	s_wait_loadcnt_dscnt 0x0
	s_barrier_signal -1
	s_barrier_wait -1
	s_and_saveexec_b32 s17, s76
	s_cbranch_execz .LBB85_296
; %bb.295:                              ;   in Loop: Header=BB85_3 Depth=1
	ds_load_b128 v[18:21], v58
	ds_load_b128 v[40:43], v55 offset:5760
	s_wait_dscnt 0x0
	v_mul_f64_e32 v[4:5], v[20:21], v[42:43]
	v_mul_f64_e32 v[42:43], v[18:19], v[42:43]
	s_delay_alu instid0(VALU_DEP_2) | instskip(NEXT) | instid1(VALU_DEP_2)
	v_fma_f64 v[4:5], v[18:19], v[40:41], -v[4:5]
	v_fmac_f64_e32 v[42:43], v[20:21], v[40:41]
	s_delay_alu instid0(VALU_DEP_2) | instskip(NEXT) | instid1(VALU_DEP_2)
	v_add_f64_e64 v[14:15], v[14:15], -v[4:5]
	v_add_f64_e64 v[16:17], v[16:17], -v[42:43]
.LBB85_296:                             ;   in Loop: Header=BB85_3 Depth=1
	s_or_b32 exec_lo, exec_lo, s17
	s_barrier_signal -1
	s_barrier_wait -1
	s_and_saveexec_b32 s17, s77
	s_cbranch_execz .LBB85_298
; %bb.297:                              ;   in Loop: Header=BB85_3 Depth=1
	s_delay_alu instid0(VALU_DEP_1) | instskip(NEXT) | instid1(VALU_DEP_3)
	v_xor_b32_e32 v21, 0x80000000, v17
	v_xor_b32_e32 v19, 0x80000000, v15
	s_delay_alu instid0(VALU_DEP_3)
	v_dual_mov_b32 v18, v14 :: v_dual_mov_b32 v20, v16
	ds_store_b128 v58, v[18:21]
.LBB85_298:                             ;   in Loop: Header=BB85_3 Depth=1
	s_or_b32 exec_lo, exec_lo, s17
	s_wait_dscnt 0x0
	s_barrier_signal -1
	s_barrier_wait -1
	s_and_saveexec_b32 s17, s78
	s_cbranch_execz .LBB85_300
; %bb.299:                              ;   in Loop: Header=BB85_3 Depth=1
	ds_load_b128 v[18:21], v58
	ds_load_b128 v[40:43], v55 offset:5248
	s_wait_dscnt 0x0
	v_mul_f64_e32 v[4:5], v[20:21], v[42:43]
	v_mul_f64_e32 v[42:43], v[18:19], v[42:43]
	s_delay_alu instid0(VALU_DEP_2) | instskip(NEXT) | instid1(VALU_DEP_2)
	v_fma_f64 v[4:5], v[18:19], v[40:41], -v[4:5]
	v_fmac_f64_e32 v[42:43], v[20:21], v[40:41]
	s_delay_alu instid0(VALU_DEP_2) | instskip(NEXT) | instid1(VALU_DEP_2)
	v_add_f64_e64 v[14:15], v[14:15], -v[4:5]
	v_add_f64_e64 v[16:17], v[16:17], -v[42:43]
.LBB85_300:                             ;   in Loop: Header=BB85_3 Depth=1
	s_or_b32 exec_lo, exec_lo, s17
	s_barrier_signal -1
	s_barrier_wait -1
	s_and_saveexec_b32 s17, s79
	s_cbranch_execz .LBB85_302
; %bb.301:                              ;   in Loop: Header=BB85_3 Depth=1
	s_delay_alu instid0(VALU_DEP_1) | instskip(NEXT) | instid1(VALU_DEP_3)
	v_xor_b32_e32 v21, 0x80000000, v17
	v_xor_b32_e32 v19, 0x80000000, v15
	s_delay_alu instid0(VALU_DEP_3)
	v_dual_mov_b32 v18, v14 :: v_dual_mov_b32 v20, v16
	ds_store_b128 v58, v[18:21]
.LBB85_302:                             ;   in Loop: Header=BB85_3 Depth=1
	s_or_b32 exec_lo, exec_lo, s17
	s_wait_dscnt 0x0
	;; [unrolled: 32-line block ×3, first 2 shown]
	s_barrier_signal -1
	s_barrier_wait -1
	s_barrier_signal -1
	s_barrier_wait -1
	s_and_saveexec_b32 s17, s3
; %bb.307:                              ;   in Loop: Header=BB85_3 Depth=1
	ds_store_b128 v60, v[14:17] offset:7808
; %bb.308:                              ;   in Loop: Header=BB85_3 Depth=1
	s_or_b32 exec_lo, exec_lo, s17
	s_wait_dscnt 0x0
	s_barrier_signal -1
	s_barrier_wait -1
	s_barrier_signal -1
	s_barrier_wait -1
	s_and_saveexec_b32 s17, s8
	s_cbranch_execz .LBB85_310
; %bb.309:                              ;   in Loop: Header=BB85_3 Depth=1
	s_mov_b32 s36, s57
	s_mov_b32 s38, s57
	;; [unrolled: 1-line block ×3, first 2 shown]
	v_mov_b64_e32 v[14:15], s[36:37]
	v_mov_b64_e32 v[16:17], s[38:39]
	ds_store_b128 v2, v[14:17] offset:5280
	ds_store_b128 v2, v[14:17] offset:5808
.LBB85_310:                             ;   in Loop: Header=BB85_3 Depth=1
	s_or_b32 exec_lo, exec_lo, s17
	v_mov_b64_e32 v[14:15], 0
	v_mov_b64_e32 v[16:17], 0
	s_wait_dscnt 0x0
	s_barrier_signal -1
	s_barrier_wait -1
	global_wb scope:SCOPE_DEV
	s_wait_storecnt 0x0
	global_inv scope:SCOPE_DEV
	s_and_saveexec_b32 s36, s2
	s_cbranch_execz .LBB85_314
; %bb.311:                              ;   in Loop: Header=BB85_3 Depth=1
	ds_load_b128 v[14:17], v25 offset:5792
	ds_load_b128 v[18:21], v53 offset:5248
	s_wait_dscnt 0x0
	v_mul_f64_e32 v[4:5], v[16:17], v[20:21]
	v_mul_f64_e32 v[20:21], v[14:15], v[20:21]
	s_delay_alu instid0(VALU_DEP_2) | instskip(NEXT) | instid1(VALU_DEP_2)
	v_fma_f64 v[4:5], v[14:15], v[18:19], -v[4:5]
	v_fmac_f64_e32 v[20:21], v[16:17], v[18:19]
	s_delay_alu instid0(VALU_DEP_2) | instskip(NEXT) | instid1(VALU_DEP_2)
	v_add_f64_e32 v[14:15], 0, v[4:5]
	v_add_f64_e32 v[16:17], 0, v[20:21]
	s_and_saveexec_b32 s17, s9
	s_cbranch_execz .LBB85_313
; %bb.312:                              ;   in Loop: Header=BB85_3 Depth=1
	ds_load_b128 v[18:21], v2 offset:5808
	ds_load_b128 v[40:43], v27 offset:5760
	s_wait_dscnt 0x0
	v_mul_f64_e32 v[4:5], v[20:21], v[42:43]
	v_mul_f64_e32 v[42:43], v[18:19], v[42:43]
	s_delay_alu instid0(VALU_DEP_2) | instskip(NEXT) | instid1(VALU_DEP_2)
	v_fma_f64 v[4:5], v[18:19], v[40:41], -v[4:5]
	v_fmac_f64_e32 v[42:43], v[20:21], v[40:41]
	s_delay_alu instid0(VALU_DEP_2) | instskip(NEXT) | instid1(VALU_DEP_2)
	v_add_f64_e32 v[14:15], v[14:15], v[4:5]
	v_add_f64_e32 v[16:17], v[16:17], v[42:43]
.LBB85_313:                             ;   in Loop: Header=BB85_3 Depth=1
	s_or_b32 exec_lo, exec_lo, s17
.LBB85_314:                             ;   in Loop: Header=BB85_3 Depth=1
	s_delay_alu instid0(SALU_CYCLE_1)
	s_or_b32 exec_lo, exec_lo, s36
	s_and_saveexec_b32 s17, s73
	s_cbranch_execz .LBB85_316
; %bb.315:                              ;   in Loop: Header=BB85_3 Depth=1
	s_delay_alu instid0(VALU_DEP_2) | instskip(NEXT) | instid1(VALU_DEP_2)
	v_xor_b32_e32 v19, 0x80000000, v15
	v_xor_b32_e32 v21, 0x80000000, v17
	s_delay_alu instid0(VALU_DEP_3)
	v_dual_mov_b32 v18, v14 :: v_dual_mov_b32 v20, v16
	ds_store_b128 v54, v[18:21]
.LBB85_316:                             ;   in Loop: Header=BB85_3 Depth=1
	s_or_b32 exec_lo, exec_lo, s17
	s_wait_loadcnt_dscnt 0x0
	s_barrier_signal -1
	s_barrier_wait -1
	s_and_saveexec_b32 s17, s74
	s_cbranch_execz .LBB85_318
; %bb.317:                              ;   in Loop: Header=BB85_3 Depth=1
	ds_load_b128 v[18:21], v54
	ds_load_b128 v[40:43], v2 offset:4736
	s_wait_dscnt 0x0
	v_mul_f64_e32 v[4:5], v[18:19], v[40:41]
	v_mul_f64_e32 v[18:19], v[18:19], v[42:43]
	s_delay_alu instid0(VALU_DEP_2) | instskip(NEXT) | instid1(VALU_DEP_2)
	v_fma_f64 v[4:5], v[20:21], v[42:43], -v[4:5]
	v_fmac_f64_e32 v[18:19], v[20:21], v[40:41]
	s_delay_alu instid0(VALU_DEP_2) | instskip(NEXT) | instid1(VALU_DEP_2)
	v_add_f64_e32 v[14:15], v[14:15], v[4:5]
	v_add_f64_e64 v[16:17], v[16:17], -v[18:19]
.LBB85_318:                             ;   in Loop: Header=BB85_3 Depth=1
	s_or_b32 exec_lo, exec_lo, s17
	s_barrier_signal -1
	s_barrier_wait -1
	s_and_saveexec_b32 s17, s74
	s_cbranch_execz .LBB85_320
; %bb.319:                              ;   in Loop: Header=BB85_3 Depth=1
	s_delay_alu instid0(VALU_DEP_2) | instskip(NEXT) | instid1(VALU_DEP_2)
	v_xor_b32_e32 v19, 0x80000000, v15
	v_xor_b32_e32 v21, 0x80000000, v17
	s_delay_alu instid0(VALU_DEP_3)
	v_dual_mov_b32 v18, v14 :: v_dual_mov_b32 v20, v16
	ds_store_b128 v54, v[18:21]
.LBB85_320:                             ;   in Loop: Header=BB85_3 Depth=1
	s_or_b32 exec_lo, exec_lo, s17
	s_wait_dscnt 0x0
	s_barrier_signal -1
	s_barrier_wait -1
	s_barrier_signal -1
	s_barrier_wait -1
	s_and_saveexec_b32 s17, s2
; %bb.321:                              ;   in Loop: Header=BB85_3 Depth=1
	ds_store_b128 v56, v[14:17] offset:5760
; %bb.322:                              ;   in Loop: Header=BB85_3 Depth=1
	s_or_b32 exec_lo, exec_lo, s17
	s_wait_dscnt 0x0
	s_barrier_signal -1
	s_barrier_wait -1
	s_barrier_signal -1
	s_barrier_wait -1
	s_and_saveexec_b32 s17, s8
	s_cbranch_execz .LBB85_324
; %bb.323:                              ;   in Loop: Header=BB85_3 Depth=1
	s_mov_b32 s36, s57
	s_mov_b32 s38, s57
	;; [unrolled: 1-line block ×3, first 2 shown]
	v_mov_b64_e32 v[14:15], s[36:37]
	v_mov_b64_e32 v[16:17], s[38:39]
	ds_store_b128 v2, v[14:17] offset:4224
	ds_store_b128 v2, v[14:17] offset:4752
.LBB85_324:                             ;   in Loop: Header=BB85_3 Depth=1
	s_or_b32 exec_lo, exec_lo, s17
	v_mov_b64_e32 v[16:17], 0
	v_mov_b64_e32 v[14:15], 0
	s_wait_dscnt 0x0
	s_barrier_signal -1
	s_barrier_wait -1
	global_wb scope:SCOPE_DEV
	s_wait_storecnt 0x0
	global_inv scope:SCOPE_DEV
	s_and_saveexec_b32 s36, s4
	s_cbranch_execz .LBB85_334
; %bb.325:                              ;   in Loop: Header=BB85_3 Depth=1
	ds_load_b128 v[14:17], v45 offset:7808
	ds_load_b128 v[18:21], v57 offset:4096
	s_wait_dscnt 0x0
	v_mul_f64_e32 v[4:5], v[16:17], v[20:21]
	v_mul_f64_e32 v[20:21], v[14:15], v[20:21]
	s_delay_alu instid0(VALU_DEP_2) | instskip(NEXT) | instid1(VALU_DEP_2)
	v_fma_f64 v[4:5], v[14:15], v[18:19], -v[4:5]
	v_fmac_f64_e32 v[20:21], v[16:17], v[18:19]
	s_delay_alu instid0(VALU_DEP_2) | instskip(NEXT) | instid1(VALU_DEP_2)
	v_add_f64_e32 v[14:15], 0, v[4:5]
	v_add_f64_e32 v[16:17], 0, v[20:21]
	s_and_saveexec_b32 s17, s12
	s_cbranch_execnz .LBB85_504
; %bb.326:                              ;   in Loop: Header=BB85_3 Depth=1
	s_or_b32 exec_lo, exec_lo, s17
	s_and_saveexec_b32 s17, s13
	s_cbranch_execnz .LBB85_505
.LBB85_327:                             ;   in Loop: Header=BB85_3 Depth=1
	s_or_b32 exec_lo, exec_lo, s17
	s_and_saveexec_b32 s17, s14
	s_cbranch_execnz .LBB85_506
.LBB85_328:                             ;   in Loop: Header=BB85_3 Depth=1
	s_or_b32 exec_lo, exec_lo, s17
	s_and_saveexec_b32 s17, s15
	s_cbranch_execnz .LBB85_507
.LBB85_329:                             ;   in Loop: Header=BB85_3 Depth=1
	s_or_b32 exec_lo, exec_lo, s17
	s_and_saveexec_b32 s17, s16
	s_cbranch_execnz .LBB85_508
.LBB85_330:                             ;   in Loop: Header=BB85_3 Depth=1
	s_or_b32 exec_lo, exec_lo, s17
	s_and_saveexec_b32 s17, s3
	s_cbranch_execnz .LBB85_509
.LBB85_331:                             ;   in Loop: Header=BB85_3 Depth=1
	s_or_b32 exec_lo, exec_lo, s17
	s_and_saveexec_b32 s17, s11
	s_cbranch_execz .LBB85_333
.LBB85_332:                             ;   in Loop: Header=BB85_3 Depth=1
	ds_load_b128 v[18:21], v2 offset:7920
	ds_load_b128 v[40:43], v27 offset:7680
	s_wait_dscnt 0x0
	v_mul_f64_e32 v[4:5], v[20:21], v[42:43]
	v_mul_f64_e32 v[42:43], v[18:19], v[42:43]
	s_delay_alu instid0(VALU_DEP_2) | instskip(NEXT) | instid1(VALU_DEP_2)
	v_fma_f64 v[4:5], v[18:19], v[40:41], -v[4:5]
	v_fmac_f64_e32 v[42:43], v[20:21], v[40:41]
	s_delay_alu instid0(VALU_DEP_2) | instskip(NEXT) | instid1(VALU_DEP_2)
	v_add_f64_e32 v[14:15], v[14:15], v[4:5]
	v_add_f64_e32 v[16:17], v[16:17], v[42:43]
.LBB85_333:                             ;   in Loop: Header=BB85_3 Depth=1
	s_or_b32 exec_lo, exec_lo, s17
.LBB85_334:                             ;   in Loop: Header=BB85_3 Depth=1
	s_delay_alu instid0(SALU_CYCLE_1)
	s_or_b32 exec_lo, exec_lo, s36
	s_and_saveexec_b32 s17, s81
	s_cbranch_execz .LBB85_336
; %bb.335:                              ;   in Loop: Header=BB85_3 Depth=1
	s_delay_alu instid0(VALU_DEP_2) | instskip(NEXT) | instid1(VALU_DEP_2)
	v_xor_b32_e32 v19, 0x80000000, v15
	v_xor_b32_e32 v21, 0x80000000, v17
	s_delay_alu instid0(VALU_DEP_3)
	v_dual_mov_b32 v18, v14 :: v_dual_mov_b32 v20, v16
	ds_store_b128 v61, v[18:21]
.LBB85_336:                             ;   in Loop: Header=BB85_3 Depth=1
	s_or_b32 exec_lo, exec_lo, s17
	s_wait_loadcnt_dscnt 0x0
	s_barrier_signal -1
	s_barrier_wait -1
	s_and_saveexec_b32 s17, s82
	s_cbranch_execz .LBB85_338
; %bb.337:                              ;   in Loop: Header=BB85_3 Depth=1
	ds_load_b128 v[18:21], v61
	ds_load_b128 v[40:43], v57 offset:3584
	s_wait_dscnt 0x0
	v_mul_f64_e32 v[4:5], v[20:21], v[42:43]
	v_mul_f64_e32 v[42:43], v[18:19], v[42:43]
	s_delay_alu instid0(VALU_DEP_2) | instskip(NEXT) | instid1(VALU_DEP_2)
	v_fma_f64 v[4:5], v[18:19], v[40:41], -v[4:5]
	v_fmac_f64_e32 v[42:43], v[20:21], v[40:41]
	s_delay_alu instid0(VALU_DEP_2) | instskip(NEXT) | instid1(VALU_DEP_2)
	v_add_f64_e64 v[14:15], v[14:15], -v[4:5]
	v_add_f64_e64 v[16:17], v[16:17], -v[42:43]
.LBB85_338:                             ;   in Loop: Header=BB85_3 Depth=1
	s_or_b32 exec_lo, exec_lo, s17
	s_barrier_signal -1
	s_barrier_wait -1
	s_and_saveexec_b32 s17, s83
	s_cbranch_execz .LBB85_340
; %bb.339:                              ;   in Loop: Header=BB85_3 Depth=1
	s_delay_alu instid0(VALU_DEP_2) | instskip(NEXT) | instid1(VALU_DEP_2)
	v_xor_b32_e32 v19, 0x80000000, v15
	v_xor_b32_e32 v21, 0x80000000, v17
	s_delay_alu instid0(VALU_DEP_3)
	v_dual_mov_b32 v18, v14 :: v_dual_mov_b32 v20, v16
	ds_store_b128 v61, v[18:21]
.LBB85_340:                             ;   in Loop: Header=BB85_3 Depth=1
	s_or_b32 exec_lo, exec_lo, s17
	s_wait_dscnt 0x0
	s_barrier_signal -1
	s_barrier_wait -1
	s_and_saveexec_b32 s17, s84
	s_cbranch_execz .LBB85_342
; %bb.341:                              ;   in Loop: Header=BB85_3 Depth=1
	ds_load_b128 v[18:21], v61
	ds_load_b128 v[40:43], v57 offset:3072
	s_wait_dscnt 0x0
	v_mul_f64_e32 v[4:5], v[20:21], v[42:43]
	v_mul_f64_e32 v[42:43], v[18:19], v[42:43]
	s_delay_alu instid0(VALU_DEP_2) | instskip(NEXT) | instid1(VALU_DEP_2)
	v_fma_f64 v[4:5], v[18:19], v[40:41], -v[4:5]
	v_fmac_f64_e32 v[42:43], v[20:21], v[40:41]
	s_delay_alu instid0(VALU_DEP_2) | instskip(NEXT) | instid1(VALU_DEP_2)
	v_add_f64_e64 v[14:15], v[14:15], -v[4:5]
	v_add_f64_e64 v[16:17], v[16:17], -v[42:43]
.LBB85_342:                             ;   in Loop: Header=BB85_3 Depth=1
	s_or_b32 exec_lo, exec_lo, s17
	s_barrier_signal -1
	s_barrier_wait -1
	s_and_saveexec_b32 s17, s85
	s_cbranch_execz .LBB85_344
; %bb.343:                              ;   in Loop: Header=BB85_3 Depth=1
	s_delay_alu instid0(VALU_DEP_2) | instskip(NEXT) | instid1(VALU_DEP_2)
	v_xor_b32_e32 v19, 0x80000000, v15
	v_xor_b32_e32 v21, 0x80000000, v17
	s_delay_alu instid0(VALU_DEP_3)
	v_dual_mov_b32 v18, v14 :: v_dual_mov_b32 v20, v16
	ds_store_b128 v61, v[18:21]
.LBB85_344:                             ;   in Loop: Header=BB85_3 Depth=1
	s_or_b32 exec_lo, exec_lo, s17
	s_wait_dscnt 0x0
	;; [unrolled: 32-line block ×7, first 2 shown]
	s_barrier_signal -1
	s_barrier_wait -1
	s_barrier_signal -1
	s_barrier_wait -1
	s_and_saveexec_b32 s17, s4
; %bb.365:                              ;   in Loop: Header=BB85_3 Depth=1
	ds_store_b128 v62, v[14:17] offset:7680
; %bb.366:                              ;   in Loop: Header=BB85_3 Depth=1
	s_or_b32 exec_lo, exec_lo, s17
	s_wait_dscnt 0x0
	s_barrier_signal -1
	s_barrier_wait -1
	s_barrier_signal -1
	s_barrier_wait -1
	s_and_saveexec_b32 s17, s8
	s_cbranch_execz .LBB85_368
; %bb.367:                              ;   in Loop: Header=BB85_3 Depth=1
	s_mov_b32 s36, s57
	s_mov_b32 s38, s57
	;; [unrolled: 1-line block ×3, first 2 shown]
	v_mov_b64_e32 v[14:15], s[36:37]
	v_mov_b64_e32 v[16:17], s[38:39]
	ds_store_b128 v2, v[14:17] offset:3168
	ds_store_b128 v2, v[14:17] offset:3696
.LBB85_368:                             ;   in Loop: Header=BB85_3 Depth=1
	s_or_b32 exec_lo, exec_lo, s17
	v_mov_b64_e32 v[14:15], 0
	v_mov_b64_e32 v[16:17], 0
	s_wait_dscnt 0x0
	s_barrier_signal -1
	s_barrier_wait -1
	global_wb scope:SCOPE_DEV
	s_wait_storecnt 0x0
	global_inv scope:SCOPE_DEV
	s_and_saveexec_b32 s36, s2
	s_cbranch_execz .LBB85_372
; %bb.369:                              ;   in Loop: Header=BB85_3 Depth=1
	ds_load_b128 v[14:17], v25 offset:3680
	ds_load_b128 v[18:21], v53 offset:3136
	s_wait_dscnt 0x0
	v_mul_f64_e32 v[4:5], v[16:17], v[20:21]
	v_mul_f64_e32 v[20:21], v[14:15], v[20:21]
	s_delay_alu instid0(VALU_DEP_2) | instskip(NEXT) | instid1(VALU_DEP_2)
	v_fma_f64 v[4:5], v[14:15], v[18:19], -v[4:5]
	v_fmac_f64_e32 v[20:21], v[16:17], v[18:19]
	s_delay_alu instid0(VALU_DEP_2) | instskip(NEXT) | instid1(VALU_DEP_2)
	v_add_f64_e32 v[14:15], 0, v[4:5]
	v_add_f64_e32 v[16:17], 0, v[20:21]
	s_and_saveexec_b32 s17, s9
	s_cbranch_execz .LBB85_371
; %bb.370:                              ;   in Loop: Header=BB85_3 Depth=1
	ds_load_b128 v[18:21], v2 offset:3696
	ds_load_b128 v[40:43], v27 offset:3648
	s_wait_dscnt 0x0
	v_mul_f64_e32 v[4:5], v[20:21], v[42:43]
	v_mul_f64_e32 v[42:43], v[18:19], v[42:43]
	s_delay_alu instid0(VALU_DEP_2) | instskip(NEXT) | instid1(VALU_DEP_2)
	v_fma_f64 v[4:5], v[18:19], v[40:41], -v[4:5]
	v_fmac_f64_e32 v[42:43], v[20:21], v[40:41]
	s_delay_alu instid0(VALU_DEP_2) | instskip(NEXT) | instid1(VALU_DEP_2)
	v_add_f64_e32 v[14:15], v[14:15], v[4:5]
	v_add_f64_e32 v[16:17], v[16:17], v[42:43]
.LBB85_371:                             ;   in Loop: Header=BB85_3 Depth=1
	s_or_b32 exec_lo, exec_lo, s17
.LBB85_372:                             ;   in Loop: Header=BB85_3 Depth=1
	s_delay_alu instid0(SALU_CYCLE_1)
	s_or_b32 exec_lo, exec_lo, s36
	s_and_saveexec_b32 s17, s73
	s_cbranch_execz .LBB85_374
; %bb.373:                              ;   in Loop: Header=BB85_3 Depth=1
	s_delay_alu instid0(VALU_DEP_2) | instskip(NEXT) | instid1(VALU_DEP_2)
	v_xor_b32_e32 v19, 0x80000000, v15
	v_xor_b32_e32 v21, 0x80000000, v17
	s_delay_alu instid0(VALU_DEP_3)
	v_dual_mov_b32 v18, v14 :: v_dual_mov_b32 v20, v16
	ds_store_b128 v54, v[18:21]
.LBB85_374:                             ;   in Loop: Header=BB85_3 Depth=1
	s_or_b32 exec_lo, exec_lo, s17
	s_wait_loadcnt_dscnt 0x0
	s_barrier_signal -1
	s_barrier_wait -1
	s_and_saveexec_b32 s17, s74
	s_cbranch_execz .LBB85_376
; %bb.375:                              ;   in Loop: Header=BB85_3 Depth=1
	ds_load_b128 v[18:21], v54
	ds_load_b128 v[40:43], v2 offset:2624
	s_wait_dscnt 0x0
	v_mul_f64_e32 v[4:5], v[18:19], v[40:41]
	v_mul_f64_e32 v[18:19], v[18:19], v[42:43]
	s_delay_alu instid0(VALU_DEP_2) | instskip(NEXT) | instid1(VALU_DEP_2)
	v_fma_f64 v[4:5], v[20:21], v[42:43], -v[4:5]
	v_fmac_f64_e32 v[18:19], v[20:21], v[40:41]
	s_delay_alu instid0(VALU_DEP_2) | instskip(NEXT) | instid1(VALU_DEP_2)
	v_add_f64_e32 v[14:15], v[14:15], v[4:5]
	v_add_f64_e64 v[16:17], v[16:17], -v[18:19]
.LBB85_376:                             ;   in Loop: Header=BB85_3 Depth=1
	s_or_b32 exec_lo, exec_lo, s17
	s_barrier_signal -1
	s_barrier_wait -1
	s_and_saveexec_b32 s17, s74
	s_cbranch_execz .LBB85_378
; %bb.377:                              ;   in Loop: Header=BB85_3 Depth=1
	s_delay_alu instid0(VALU_DEP_2) | instskip(NEXT) | instid1(VALU_DEP_2)
	v_xor_b32_e32 v19, 0x80000000, v15
	v_xor_b32_e32 v21, 0x80000000, v17
	s_delay_alu instid0(VALU_DEP_3)
	v_dual_mov_b32 v18, v14 :: v_dual_mov_b32 v20, v16
	ds_store_b128 v54, v[18:21]
.LBB85_378:                             ;   in Loop: Header=BB85_3 Depth=1
	s_or_b32 exec_lo, exec_lo, s17
	s_wait_dscnt 0x0
	s_barrier_signal -1
	s_barrier_wait -1
	s_barrier_signal -1
	s_barrier_wait -1
	s_and_saveexec_b32 s17, s2
; %bb.379:                              ;   in Loop: Header=BB85_3 Depth=1
	ds_store_b128 v56, v[14:17] offset:3648
; %bb.380:                              ;   in Loop: Header=BB85_3 Depth=1
	s_or_b32 exec_lo, exec_lo, s17
	s_wait_dscnt 0x0
	s_barrier_signal -1
	s_barrier_wait -1
	s_barrier_signal -1
	s_barrier_wait -1
	s_and_saveexec_b32 s17, s8
	s_cbranch_execz .LBB85_382
; %bb.381:                              ;   in Loop: Header=BB85_3 Depth=1
	s_mov_b32 s36, s57
	s_mov_b32 s38, s57
	;; [unrolled: 1-line block ×3, first 2 shown]
	v_mov_b64_e32 v[14:15], s[36:37]
	v_mov_b64_e32 v[16:17], s[38:39]
	ds_store_b128 v2, v[14:17] offset:2112
	ds_store_b128 v2, v[14:17] offset:2640
.LBB85_382:                             ;   in Loop: Header=BB85_3 Depth=1
	s_or_b32 exec_lo, exec_lo, s17
	v_mov_b64_e32 v[16:17], 0
	v_mov_b64_e32 v[14:15], 0
	s_wait_dscnt 0x0
	s_barrier_signal -1
	s_barrier_wait -1
	global_wb scope:SCOPE_DEV
	s_wait_storecnt 0x0
	global_inv scope:SCOPE_DEV
	s_and_saveexec_b32 s36, s3
	s_cbranch_execz .LBB85_388
; %bb.383:                              ;   in Loop: Header=BB85_3 Depth=1
	ds_load_b128 v[14:17], v44 offset:3648
	ds_load_b128 v[18:21], v55 offset:2048
	s_wait_dscnt 0x0
	v_mul_f64_e32 v[4:5], v[16:17], v[20:21]
	v_mul_f64_e32 v[20:21], v[14:15], v[20:21]
	s_delay_alu instid0(VALU_DEP_2) | instskip(NEXT) | instid1(VALU_DEP_2)
	v_fma_f64 v[4:5], v[14:15], v[18:19], -v[4:5]
	v_fmac_f64_e32 v[20:21], v[16:17], v[18:19]
	s_delay_alu instid0(VALU_DEP_2) | instskip(NEXT) | instid1(VALU_DEP_2)
	v_add_f64_e32 v[14:15], 0, v[4:5]
	v_add_f64_e32 v[16:17], 0, v[20:21]
	s_and_saveexec_b32 s17, s10
	s_cbranch_execnz .LBB85_510
; %bb.384:                              ;   in Loop: Header=BB85_3 Depth=1
	s_or_b32 exec_lo, exec_lo, s17
	s_and_saveexec_b32 s17, s11
	s_cbranch_execnz .LBB85_511
.LBB85_385:                             ;   in Loop: Header=BB85_3 Depth=1
	s_or_b32 exec_lo, exec_lo, s17
	s_and_saveexec_b32 s17, s2
	s_cbranch_execz .LBB85_387
.LBB85_386:                             ;   in Loop: Header=BB85_3 Depth=1
	ds_load_b128 v[18:21], v2 offset:3696
	ds_load_b128 v[40:43], v27 offset:3584
	s_wait_dscnt 0x0
	v_mul_f64_e32 v[4:5], v[20:21], v[42:43]
	v_mul_f64_e32 v[42:43], v[18:19], v[42:43]
	s_delay_alu instid0(VALU_DEP_2) | instskip(NEXT) | instid1(VALU_DEP_2)
	v_fma_f64 v[4:5], v[18:19], v[40:41], -v[4:5]
	v_fmac_f64_e32 v[42:43], v[20:21], v[40:41]
	s_delay_alu instid0(VALU_DEP_2) | instskip(NEXT) | instid1(VALU_DEP_2)
	v_add_f64_e32 v[14:15], v[14:15], v[4:5]
	v_add_f64_e32 v[16:17], v[16:17], v[42:43]
.LBB85_387:                             ;   in Loop: Header=BB85_3 Depth=1
	s_or_b32 exec_lo, exec_lo, s17
.LBB85_388:                             ;   in Loop: Header=BB85_3 Depth=1
	s_delay_alu instid0(SALU_CYCLE_1)
	s_or_b32 exec_lo, exec_lo, s36
	s_and_saveexec_b32 s17, s75
	s_cbranch_execz .LBB85_390
; %bb.389:                              ;   in Loop: Header=BB85_3 Depth=1
	s_delay_alu instid0(VALU_DEP_1) | instskip(NEXT) | instid1(VALU_DEP_3)
	v_xor_b32_e32 v21, 0x80000000, v17
	v_xor_b32_e32 v19, 0x80000000, v15
	s_delay_alu instid0(VALU_DEP_3)
	v_dual_mov_b32 v18, v14 :: v_dual_mov_b32 v20, v16
	ds_store_b128 v58, v[18:21]
.LBB85_390:                             ;   in Loop: Header=BB85_3 Depth=1
	s_or_b32 exec_lo, exec_lo, s17
	s_wait_loadcnt_dscnt 0x0
	s_barrier_signal -1
	s_barrier_wait -1
	s_and_saveexec_b32 s17, s76
	s_cbranch_execz .LBB85_392
; %bb.391:                              ;   in Loop: Header=BB85_3 Depth=1
	ds_load_b128 v[18:21], v58
	ds_load_b128 v[40:43], v55 offset:1536
	s_wait_dscnt 0x0
	v_mul_f64_e32 v[4:5], v[20:21], v[42:43]
	v_mul_f64_e32 v[42:43], v[18:19], v[42:43]
	s_delay_alu instid0(VALU_DEP_2) | instskip(NEXT) | instid1(VALU_DEP_2)
	v_fma_f64 v[4:5], v[18:19], v[40:41], -v[4:5]
	v_fmac_f64_e32 v[42:43], v[20:21], v[40:41]
	s_delay_alu instid0(VALU_DEP_2) | instskip(NEXT) | instid1(VALU_DEP_2)
	v_add_f64_e64 v[14:15], v[14:15], -v[4:5]
	v_add_f64_e64 v[16:17], v[16:17], -v[42:43]
.LBB85_392:                             ;   in Loop: Header=BB85_3 Depth=1
	s_or_b32 exec_lo, exec_lo, s17
	s_barrier_signal -1
	s_barrier_wait -1
	s_and_saveexec_b32 s17, s77
	s_cbranch_execz .LBB85_394
; %bb.393:                              ;   in Loop: Header=BB85_3 Depth=1
	s_delay_alu instid0(VALU_DEP_1) | instskip(NEXT) | instid1(VALU_DEP_3)
	v_xor_b32_e32 v21, 0x80000000, v17
	v_xor_b32_e32 v19, 0x80000000, v15
	s_delay_alu instid0(VALU_DEP_3)
	v_dual_mov_b32 v18, v14 :: v_dual_mov_b32 v20, v16
	ds_store_b128 v58, v[18:21]
.LBB85_394:                             ;   in Loop: Header=BB85_3 Depth=1
	s_or_b32 exec_lo, exec_lo, s17
	s_wait_dscnt 0x0
	s_barrier_signal -1
	s_barrier_wait -1
	s_and_saveexec_b32 s17, s78
	s_cbranch_execz .LBB85_396
; %bb.395:                              ;   in Loop: Header=BB85_3 Depth=1
	ds_load_b128 v[18:21], v58
	ds_load_b128 v[40:43], v55 offset:1024
	s_wait_dscnt 0x0
	v_mul_f64_e32 v[4:5], v[20:21], v[42:43]
	v_mul_f64_e32 v[42:43], v[18:19], v[42:43]
	s_delay_alu instid0(VALU_DEP_2) | instskip(NEXT) | instid1(VALU_DEP_2)
	v_fma_f64 v[4:5], v[18:19], v[40:41], -v[4:5]
	v_fmac_f64_e32 v[42:43], v[20:21], v[40:41]
	s_delay_alu instid0(VALU_DEP_2) | instskip(NEXT) | instid1(VALU_DEP_2)
	v_add_f64_e64 v[14:15], v[14:15], -v[4:5]
	v_add_f64_e64 v[16:17], v[16:17], -v[42:43]
.LBB85_396:                             ;   in Loop: Header=BB85_3 Depth=1
	s_or_b32 exec_lo, exec_lo, s17
	s_barrier_signal -1
	s_barrier_wait -1
	s_and_saveexec_b32 s17, s79
	s_cbranch_execz .LBB85_398
; %bb.397:                              ;   in Loop: Header=BB85_3 Depth=1
	s_delay_alu instid0(VALU_DEP_1) | instskip(NEXT) | instid1(VALU_DEP_3)
	v_xor_b32_e32 v21, 0x80000000, v17
	v_xor_b32_e32 v19, 0x80000000, v15
	s_delay_alu instid0(VALU_DEP_3)
	v_dual_mov_b32 v18, v14 :: v_dual_mov_b32 v20, v16
	ds_store_b128 v58, v[18:21]
.LBB85_398:                             ;   in Loop: Header=BB85_3 Depth=1
	s_or_b32 exec_lo, exec_lo, s17
	s_wait_dscnt 0x0
	;; [unrolled: 32-line block ×3, first 2 shown]
	s_barrier_signal -1
	s_barrier_wait -1
	s_barrier_signal -1
	s_barrier_wait -1
	s_and_saveexec_b32 s17, s3
; %bb.403:                              ;   in Loop: Header=BB85_3 Depth=1
	ds_store_b128 v60, v[14:17] offset:3584
; %bb.404:                              ;   in Loop: Header=BB85_3 Depth=1
	s_or_b32 exec_lo, exec_lo, s17
	s_wait_dscnt 0x0
	s_barrier_signal -1
	s_barrier_wait -1
	s_barrier_signal -1
	s_barrier_wait -1
	s_and_saveexec_b32 s17, s8
	s_cbranch_execz .LBB85_406
; %bb.405:                              ;   in Loop: Header=BB85_3 Depth=1
	s_mov_b32 s36, s57
	s_mov_b32 s38, s57
	;; [unrolled: 1-line block ×3, first 2 shown]
	v_mov_b64_e32 v[14:15], s[36:37]
	v_mov_b64_e32 v[16:17], s[38:39]
	ds_store_b128 v2, v[14:17] offset:1056
	ds_store_b128 v2, v[14:17] offset:1584
.LBB85_406:                             ;   in Loop: Header=BB85_3 Depth=1
	s_or_b32 exec_lo, exec_lo, s17
	v_mov_b64_e32 v[14:15], 0
	v_mov_b64_e32 v[16:17], 0
	s_wait_dscnt 0x0
	s_barrier_signal -1
	s_barrier_wait -1
	global_wb scope:SCOPE_DEV
	s_wait_storecnt 0x0
	global_inv scope:SCOPE_DEV
	s_and_saveexec_b32 s36, s2
	s_cbranch_execz .LBB85_410
; %bb.407:                              ;   in Loop: Header=BB85_3 Depth=1
	ds_load_b128 v[14:17], v25 offset:1568
	ds_load_b128 v[18:21], v53 offset:1024
	s_wait_dscnt 0x0
	v_mul_f64_e32 v[4:5], v[16:17], v[20:21]
	v_mul_f64_e32 v[20:21], v[14:15], v[20:21]
	s_delay_alu instid0(VALU_DEP_2) | instskip(NEXT) | instid1(VALU_DEP_2)
	v_fma_f64 v[4:5], v[14:15], v[18:19], -v[4:5]
	v_fmac_f64_e32 v[20:21], v[16:17], v[18:19]
	s_delay_alu instid0(VALU_DEP_2) | instskip(NEXT) | instid1(VALU_DEP_2)
	v_add_f64_e32 v[14:15], 0, v[4:5]
	v_add_f64_e32 v[16:17], 0, v[20:21]
	s_and_saveexec_b32 s17, s9
	s_cbranch_execz .LBB85_409
; %bb.408:                              ;   in Loop: Header=BB85_3 Depth=1
	ds_load_b128 v[18:21], v2 offset:1584
	ds_load_b128 v[40:43], v27 offset:1536
	s_wait_dscnt 0x0
	v_mul_f64_e32 v[4:5], v[20:21], v[42:43]
	v_mul_f64_e32 v[42:43], v[18:19], v[42:43]
	s_delay_alu instid0(VALU_DEP_2) | instskip(NEXT) | instid1(VALU_DEP_2)
	v_fma_f64 v[4:5], v[18:19], v[40:41], -v[4:5]
	v_fmac_f64_e32 v[42:43], v[20:21], v[40:41]
	s_delay_alu instid0(VALU_DEP_2) | instskip(NEXT) | instid1(VALU_DEP_2)
	v_add_f64_e32 v[14:15], v[14:15], v[4:5]
	v_add_f64_e32 v[16:17], v[16:17], v[42:43]
.LBB85_409:                             ;   in Loop: Header=BB85_3 Depth=1
	s_or_b32 exec_lo, exec_lo, s17
.LBB85_410:                             ;   in Loop: Header=BB85_3 Depth=1
	s_delay_alu instid0(SALU_CYCLE_1)
	s_or_b32 exec_lo, exec_lo, s36
	s_and_saveexec_b32 s17, s73
	s_cbranch_execz .LBB85_412
; %bb.411:                              ;   in Loop: Header=BB85_3 Depth=1
	s_delay_alu instid0(VALU_DEP_2) | instskip(NEXT) | instid1(VALU_DEP_2)
	v_xor_b32_e32 v19, 0x80000000, v15
	v_xor_b32_e32 v21, 0x80000000, v17
	s_delay_alu instid0(VALU_DEP_3)
	v_dual_mov_b32 v18, v14 :: v_dual_mov_b32 v20, v16
	ds_store_b128 v54, v[18:21]
.LBB85_412:                             ;   in Loop: Header=BB85_3 Depth=1
	s_or_b32 exec_lo, exec_lo, s17
	s_wait_loadcnt_dscnt 0x0
	s_barrier_signal -1
	s_barrier_wait -1
	s_and_saveexec_b32 s17, s74
	s_cbranch_execz .LBB85_414
; %bb.413:                              ;   in Loop: Header=BB85_3 Depth=1
	ds_load_b128 v[18:21], v54
	ds_load_b128 v[40:43], v2 offset:512
	s_wait_dscnt 0x0
	v_mul_f64_e32 v[4:5], v[18:19], v[40:41]
	v_mul_f64_e32 v[18:19], v[18:19], v[42:43]
	s_delay_alu instid0(VALU_DEP_2) | instskip(NEXT) | instid1(VALU_DEP_2)
	v_fma_f64 v[4:5], v[20:21], v[42:43], -v[4:5]
	v_fmac_f64_e32 v[18:19], v[20:21], v[40:41]
	s_delay_alu instid0(VALU_DEP_2) | instskip(NEXT) | instid1(VALU_DEP_2)
	v_add_f64_e32 v[14:15], v[14:15], v[4:5]
	v_add_f64_e64 v[16:17], v[16:17], -v[18:19]
.LBB85_414:                             ;   in Loop: Header=BB85_3 Depth=1
	s_or_b32 exec_lo, exec_lo, s17
	s_barrier_signal -1
	s_barrier_wait -1
	s_and_saveexec_b32 s17, s74
	s_cbranch_execz .LBB85_416
; %bb.415:                              ;   in Loop: Header=BB85_3 Depth=1
	s_delay_alu instid0(VALU_DEP_2) | instskip(NEXT) | instid1(VALU_DEP_2)
	v_xor_b32_e32 v19, 0x80000000, v15
	v_xor_b32_e32 v21, 0x80000000, v17
	s_delay_alu instid0(VALU_DEP_3)
	v_dual_mov_b32 v18, v14 :: v_dual_mov_b32 v20, v16
	ds_store_b128 v54, v[18:21]
.LBB85_416:                             ;   in Loop: Header=BB85_3 Depth=1
	s_or_b32 exec_lo, exec_lo, s17
	s_wait_dscnt 0x0
	s_barrier_signal -1
	s_barrier_wait -1
	s_barrier_signal -1
	s_barrier_wait -1
	s_and_saveexec_b32 s17, s2
; %bb.417:                              ;   in Loop: Header=BB85_3 Depth=1
	ds_store_b128 v56, v[14:17] offset:1536
; %bb.418:                              ;   in Loop: Header=BB85_3 Depth=1
	s_or_b32 exec_lo, exec_lo, s17
	s_wait_dscnt 0x0
	s_barrier_signal -1
	s_barrier_wait -1
	s_barrier_signal -1
	s_barrier_wait -1
	s_and_saveexec_b32 s17, s8
	s_cbranch_execz .LBB85_420
; %bb.419:                              ;   in Loop: Header=BB85_3 Depth=1
	s_mov_b32 s36, s57
	s_mov_b32 s38, s57
	;; [unrolled: 1-line block ×3, first 2 shown]
	v_mov_b64_e32 v[14:15], s[36:37]
	v_mov_b64_e32 v[16:17], s[38:39]
	ds_store_b128 v2, v[14:17]
	ds_store_b128 v2, v[14:17] offset:528
.LBB85_420:                             ;   in Loop: Header=BB85_3 Depth=1
	s_or_b32 exec_lo, exec_lo, s17
.LBB85_421:                             ;   in Loop: Header=BB85_3 Depth=1
	v_mov_b64_e32 v[14:15], 0
	s_mul_u64 s[24:25], s[54:55], s[56:57]
	s_wait_dscnt 0x0
	s_lshl_b64 s[24:25], s[24:25], 4
	s_barrier_signal -1
	s_add_nc_u64 s[38:39], s[48:49], s[24:25]
	s_barrier_wait -1
	v_mov_b64_e32 v[16:17], v[14:15]
	s_and_saveexec_b32 s17, vcc_hi
	s_cbranch_execz .LBB85_423
; %bb.422:                              ;   in Loop: Header=BB85_3 Depth=1
	v_lshl_add_u64 v[4:5], v[32:33], 4, s[38:39]
	global_load_b128 v[16:19], v[4:5], off
	s_wait_loadcnt 0x0
	v_mul_f64_e32 v[4:5], s[44:45], v[16:17]
	v_mul_f64_e32 v[20:21], s[44:45], v[18:19]
	s_delay_alu instid0(VALU_DEP_2) | instskip(NEXT) | instid1(VALU_DEP_2)
	v_fma_f64 v[14:15], s[46:47], v[18:19], -v[4:5]
	v_fma_f64 v[16:17], v[16:17], -s[46:47], -v[20:21]
.LBB85_423:                             ;   in Loop: Header=BB85_3 Depth=1
	s_or_b32 exec_lo, exec_lo, s17
	s_delay_alu instid0(SALU_CYCLE_1)
	s_and_not1_b32 vcc_lo, exec_lo, s18
	s_cbranch_vccnz .LBB85_446
; %bb.424:                              ;   in Loop: Header=BB85_3 Depth=1
	v_lshl_add_u64 v[18:19], v[28:29], 4, s[66:67]
	v_mov_b32_e32 v67, -1
	s_lshl_b64 s[24:25], s[56:57], 2
	s_mov_b32 s36, 0
	s_add_nc_u64 s[66:67], s[50:51], s[24:25]
	s_branch .LBB85_427
.LBB85_425:                             ;   in Loop: Header=BB85_427 Depth=2
	ds_load_b128 v[68:71], v48 offset:256
	s_wait_loadcnt_dscnt 0x0
	v_mul_f64_e32 v[20:21], v[40:41], v[70:71]
	v_mul_f64_e32 v[42:43], v[4:5], v[70:71]
	s_delay_alu instid0(VALU_DEP_2) | instskip(NEXT) | instid1(VALU_DEP_2)
	v_fma_f64 v[4:5], v[4:5], v[68:69], -v[20:21]
	v_fmac_f64_e32 v[42:43], v[40:41], v[68:69]
	s_delay_alu instid0(VALU_DEP_2) | instskip(NEXT) | instid1(VALU_DEP_2)
	v_add_f64_e32 v[14:15], v[14:15], v[4:5]
	v_add_f64_e32 v[16:17], v[16:17], v[42:43]
.LBB85_426:                             ;   in Loop: Header=BB85_427 Depth=2
	s_or_b32 exec_lo, exec_lo, s17
	s_add_co_i32 s36, s36, 1
	s_delay_alu instid0(SALU_CYCLE_1)
	s_cmp_eq_u32 s36, s68
	s_cbranch_scc1 .LBB85_446
.LBB85_427:                             ;   Parent Loop BB85_3 Depth=1
                                        ; =>  This Loop Header: Depth=2
                                        ;       Child Loop BB85_429 Depth 3
	v_cmp_gt_i32_e32 vcc_lo, s36, v67
	s_and_b32 s24, s28, vcc_lo
	s_delay_alu instid0(SALU_CYCLE_1)
	s_and_saveexec_b32 s17, s24
	s_cbranch_execz .LBB85_430
; %bb.428:                              ;   in Loop: Header=BB85_427 Depth=2
	global_load_b32 v67, v2, s[66:67]
	s_wait_loadcnt 0x0
	v_cmp_le_i32_e32 vcc_lo, s36, v67
	s_cbranch_vccnz .LBB85_430
.LBB85_429:                             ;   Parent Loop BB85_3 Depth=1
                                        ;     Parent Loop BB85_427 Depth=2
                                        ; =>    This Inner Loop Header: Depth=3
	global_wb scope:SCOPE_DEV
	s_wait_storecnt 0x0
	global_inv scope:SCOPE_DEV
	global_load_b32 v67, v2, s[66:67]
	s_wait_loadcnt 0x0
	v_cmp_gt_i32_e32 vcc_lo, s36, v67
	s_cbranch_vccnz .LBB85_429
.LBB85_430:                             ;   in Loop: Header=BB85_427 Depth=2
	s_or_b32 exec_lo, exec_lo, s17
	s_sub_co_i32 s17, s69, s36
	global_wb scope:SCOPE_DEV
	s_wait_storecnt 0x0
	global_inv scope:SCOPE_DEV
	s_lshl_b32 s24, s17, 5
	s_wait_loadcnt 0x0
	s_barrier_signal -1
	s_barrier_wait -1
	s_and_saveexec_b32 s25, s29
	s_cbranch_execz .LBB85_435
; %bb.431:                              ;   in Loop: Header=BB85_427 Depth=2
	s_ashr_i32 vcc_lo, s24, 31
	s_delay_alu instid0(SALU_CYCLE_1) | instskip(NEXT) | instid1(VALU_DEP_1)
	v_dual_mov_b32 v5, vcc_lo :: v_dual_bitop2_b32 v4, s24, v26 bitop3:0x54
	v_cmp_le_i64_e32 vcc_lo, s[58:59], v[4:5]
	s_and_saveexec_b32 s26, vcc_lo
	s_delay_alu instid0(SALU_CYCLE_1)
	s_xor_b32 vcc_lo, exec_lo, s26
; %bb.432:                              ;   in Loop: Header=BB85_427 Depth=2
	v_dual_mov_b32 v3, v2 :: v_dual_mov_b32 v4, v2
	v_mov_b32_e32 v5, v2
	ds_store_b128 v47, v[2:5]
                                        ; implicit-def: $vgpr4_vgpr5
; %bb.433:                              ;   in Loop: Header=BB85_427 Depth=2
	s_and_not1_saveexec_b32 s26, vcc_lo
	s_cbranch_execz .LBB85_435
; %bb.434:                              ;   in Loop: Header=BB85_427 Depth=2
	v_mul_u64_e32 v[4:5], s[52:53], v[4:5]
	s_delay_alu instid0(VALU_DEP_1)
	v_lshl_add_u64 v[4:5], v[4:5], 4, s[38:39]
	global_load_b128 v[40:43], v[4:5], off
	s_wait_loadcnt 0x0
	ds_store_2addr_b64 v47, v[40:41], v[42:43] offset1:1
.LBB85_435:                             ;   in Loop: Header=BB85_427 Depth=2
	s_or_b32 exec_lo, exec_lo, s25
	v_add_nc_u32_e32 v4, s24, v22
	s_cmp_lg_u32 s17, s19
	s_wait_dscnt 0x0
	s_cselect_b32 s24, -1, 0
	s_barrier_signal -1
	v_ashrrev_i32_e32 v5, 31, v4
	v_cmp_gt_i32_e32 vcc_lo, s58, v4
	v_cndmask_b32_e64 v3, 0, 1, s24
	s_barrier_wait -1
	s_delay_alu instid0(VALU_DEP_3) | instskip(SKIP_1) | instid1(VALU_DEP_1)
	v_mul_u64_e32 v[20:21], s[40:41], v[4:5]
	s_and_b32 s25, s0, vcc_lo
	v_lshl_add_u64 v[20:21], v[20:21], 4, v[18:19]
	s_and_saveexec_b32 s17, s25
	s_cbranch_execz .LBB85_441
; %bb.436:                              ;   in Loop: Header=BB85_427 Depth=2
	v_mov_b64_e32 v[40:41], v[6:7]
	s_and_not1_b32 vcc_lo, exec_lo, s24
	s_cbranch_vccnz .LBB85_438
; %bb.437:                              ;   in Loop: Header=BB85_427 Depth=2
	global_load_b64 v[40:41], v[20:21], off
.LBB85_438:                             ;   in Loop: Header=BB85_427 Depth=2
	v_cmp_ne_u32_e32 vcc_lo, 1, v3
	v_mov_b64_e32 v[42:43], v[8:9]
	s_cbranch_vccnz .LBB85_440
; %bb.439:                              ;   in Loop: Header=BB85_427 Depth=2
	global_load_b64 v[42:43], v[20:21], off offset:8
.LBB85_440:                             ;   in Loop: Header=BB85_427 Depth=2
	ds_load_b128 v[68:71], v48
	s_wait_loadcnt_dscnt 0x0
	v_mul_f64_e32 v[72:73], v[42:43], v[70:71]
	v_mul_f64_e32 v[70:71], v[40:41], v[70:71]
	s_delay_alu instid0(VALU_DEP_2) | instskip(NEXT) | instid1(VALU_DEP_2)
	v_fma_f64 v[40:41], v[40:41], v[68:69], -v[72:73]
	v_fmac_f64_e32 v[70:71], v[42:43], v[68:69]
	s_delay_alu instid0(VALU_DEP_2) | instskip(NEXT) | instid1(VALU_DEP_2)
	v_add_f64_e32 v[14:15], v[14:15], v[40:41]
	v_add_f64_e32 v[16:17], v[16:17], v[70:71]
.LBB85_441:                             ;   in Loop: Header=BB85_427 Depth=2
	s_or_b32 exec_lo, exec_lo, s17
	v_add_nc_u32_e32 v4, 16, v4
	s_delay_alu instid0(VALU_DEP_1) | instskip(SKIP_1) | instid1(SALU_CYCLE_1)
	v_cmp_gt_i32_e32 vcc_lo, s58, v4
	s_and_b32 s24, s0, vcc_lo
	s_and_saveexec_b32 s17, s24
	s_cbranch_execz .LBB85_426
; %bb.442:                              ;   in Loop: Header=BB85_427 Depth=2
	v_cmp_ne_u32_e32 vcc_lo, 1, v3
	v_add_nc_u64_e32 v[20:21], s[64:65], v[20:21]
	v_mov_b64_e32 v[4:5], v[10:11]
	s_cbranch_vccnz .LBB85_444
; %bb.443:                              ;   in Loop: Header=BB85_427 Depth=2
	global_load_b64 v[4:5], v[20:21], off
.LBB85_444:                             ;   in Loop: Header=BB85_427 Depth=2
	v_cmp_ne_u32_e32 vcc_lo, 1, v3
	v_mov_b64_e32 v[40:41], v[12:13]
	s_cbranch_vccnz .LBB85_425
; %bb.445:                              ;   in Loop: Header=BB85_427 Depth=2
	global_load_b64 v[40:41], v[20:21], off offset:8
	s_branch .LBB85_425
.LBB85_446:                             ;   in Loop: Header=BB85_3 Depth=1
	ds_store_b128 v49, v[14:17]
	s_wait_dscnt 0x0
	s_barrier_signal -1
	s_barrier_wait -1
	s_and_saveexec_b32 s36, s6
	s_cbranch_execz .LBB85_448
; %bb.447:                              ;   in Loop: Header=BB85_3 Depth=1
	ds_load_b128 v[18:21], v50 offset:512
	ds_load_b128 v[40:43], v50 offset:1024
	s_wait_dscnt 0x1
	v_add_f64_e32 v[4:5], v[14:15], v[18:19]
	v_add_f64_e32 v[14:15], v[16:17], v[20:21]
	s_wait_dscnt 0x0
	s_delay_alu instid0(VALU_DEP_2) | instskip(NEXT) | instid1(VALU_DEP_2)
	v_add_f64_e32 v[4:5], v[4:5], v[40:41]
	v_add_f64_e32 v[40:41], v[14:15], v[42:43]
	ds_load_b128 v[14:17], v50 offset:1536
	ds_load_b128 v[18:21], v50 offset:2048
	s_wait_dscnt 0x1
	v_add_f64_e32 v[4:5], v[4:5], v[14:15]
	v_add_f64_e32 v[14:15], v[40:41], v[16:17]
	s_wait_dscnt 0x0
	s_delay_alu instid0(VALU_DEP_2) | instskip(NEXT) | instid1(VALU_DEP_2)
	v_add_f64_e32 v[4:5], v[4:5], v[18:19]
	v_add_f64_e32 v[40:41], v[14:15], v[20:21]
	;; [unrolled: 9-line block ×7, first 2 shown]
	ds_load_b128 v[14:17], v50 offset:7680
	s_wait_dscnt 0x0
	v_add_f64_e32 v[4:5], v[4:5], v[14:15]
	v_add_f64_e32 v[16:17], v[18:19], v[16:17]
	s_delay_alu instid0(VALU_DEP_2) | instskip(NEXT) | instid1(VALU_DEP_2)
	v_xor_b32_e32 v3, 0x80000000, v5
	v_xor_b32_e32 v5, 0x80000000, v17
	s_delay_alu instid0(VALU_DEP_4) | instskip(NEXT) | instid1(VALU_DEP_4)
	v_cndmask_b32_e64 v14, v4, 0, s102
	v_cndmask_b32_e64 v16, v16, 0, s102
	s_delay_alu instid0(VALU_DEP_4) | instskip(NEXT) | instid1(VALU_DEP_4)
	v_cndmask_b32_e64 v15, v3, 0, s102
	v_cndmask_b32_e64 v17, v5, 0, s102
.LBB85_448:                             ;   in Loop: Header=BB85_3 Depth=1
	s_or_b32 exec_lo, exec_lo, s36
	s_delay_alu instid0(SALU_CYCLE_1)
	s_and_not1_b32 vcc_lo, exec_lo, s72
	s_cbranch_vccnz .LBB85_457
; %bb.449:                              ;   in Loop: Header=BB85_3 Depth=1
	s_and_saveexec_b32 s17, s6
; %bb.450:                              ;   in Loop: Header=BB85_3 Depth=1
	ds_store_b128 v52, v[14:17]
; %bb.451:                              ;   in Loop: Header=BB85_3 Depth=1
	s_or_b32 exec_lo, exec_lo, s17
	v_mov_b64_e32 v[18:19], 0
	v_mov_b64_e32 v[20:21], 0
	s_wait_dscnt 0x0
	s_barrier_signal -1
	s_barrier_wait -1
	s_and_saveexec_b32 s17, s30
	s_cbranch_execz .LBB85_453
; %bb.452:                              ;   in Loop: Header=BB85_3 Depth=1
	ds_load_b128 v[18:21], v48
	ds_load_b128 v[40:43], v51
	s_wait_dscnt 0x0
	v_mul_f64_e32 v[4:5], v[20:21], v[42:43]
	v_mul_f64_e32 v[42:43], v[18:19], v[42:43]
	s_delay_alu instid0(VALU_DEP_2) | instskip(NEXT) | instid1(VALU_DEP_2)
	v_fma_f64 v[4:5], v[18:19], v[40:41], -v[4:5]
	v_fmac_f64_e32 v[42:43], v[20:21], v[40:41]
	s_delay_alu instid0(VALU_DEP_2) | instskip(NEXT) | instid1(VALU_DEP_2)
	v_add_f64_e32 v[18:19], 0, v[4:5]
	v_add_f64_e32 v[20:21], 0, v[42:43]
.LBB85_453:                             ;   in Loop: Header=BB85_3 Depth=1
	s_or_b32 exec_lo, exec_lo, s17
	s_and_saveexec_b32 s17, s31
	s_cbranch_execz .LBB85_455
; %bb.454:                              ;   in Loop: Header=BB85_3 Depth=1
	ds_load_b128 v[40:43], v48 offset:256
	ds_load_b128 v[68:71], v51 offset:8192
	s_wait_dscnt 0x0
	v_mul_f64_e32 v[4:5], v[42:43], v[70:71]
	v_mul_f64_e32 v[70:71], v[40:41], v[70:71]
	s_delay_alu instid0(VALU_DEP_2) | instskip(NEXT) | instid1(VALU_DEP_2)
	v_fma_f64 v[4:5], v[40:41], v[68:69], -v[4:5]
	v_fmac_f64_e32 v[70:71], v[42:43], v[68:69]
	s_delay_alu instid0(VALU_DEP_2) | instskip(NEXT) | instid1(VALU_DEP_2)
	v_add_f64_e32 v[18:19], v[18:19], v[4:5]
	v_add_f64_e32 v[20:21], v[20:21], v[70:71]
.LBB85_455:                             ;   in Loop: Header=BB85_3 Depth=1
	s_or_b32 exec_lo, exec_lo, s17
	s_mov_b32 s66, 0
	s_mov_b32 s36, 0
	ds_store_b128 v49, v[18:21]
	s_wait_dscnt 0x0
	s_barrier_signal -1
	s_barrier_wait -1
                                        ; implicit-def: $vgpr4_vgpr5
                                        ; implicit-def: $vgpr40_vgpr41
	s_and_saveexec_b32 s67, s6
	s_cbranch_execz .LBB85_484
; %bb.456:                              ;   in Loop: Header=BB85_3 Depth=1
	ds_load_b128 v[40:43], v50 offset:512
	ds_load_b128 v[68:71], v50 offset:1024
	s_mov_b32 s36, exec_lo
	s_wait_dscnt 0x1
	v_add_f64_e32 v[4:5], v[18:19], v[40:41]
	v_add_f64_e32 v[18:19], v[20:21], v[42:43]
	s_wait_dscnt 0x0
	s_delay_alu instid0(VALU_DEP_2) | instskip(NEXT) | instid1(VALU_DEP_2)
	v_add_f64_e32 v[4:5], v[4:5], v[68:69]
	v_add_f64_e32 v[68:69], v[18:19], v[70:71]
	ds_load_b128 v[18:21], v50 offset:1536
	ds_load_b128 v[40:43], v50 offset:2048
	s_wait_dscnt 0x1
	v_add_f64_e32 v[4:5], v[4:5], v[18:19]
	v_add_f64_e32 v[18:19], v[68:69], v[20:21]
	s_wait_dscnt 0x0
	s_delay_alu instid0(VALU_DEP_2) | instskip(NEXT) | instid1(VALU_DEP_2)
	v_add_f64_e32 v[4:5], v[4:5], v[40:41]
	v_add_f64_e32 v[68:69], v[18:19], v[42:43]
	ds_load_b128 v[18:21], v50 offset:2560
	ds_load_b128 v[40:43], v50 offset:3072
	;; [unrolled: 9-line block ×6, first 2 shown]
	s_wait_dscnt 0x1
	v_add_f64_e32 v[4:5], v[4:5], v[18:19]
	v_add_f64_e32 v[18:19], v[68:69], v[20:21]
	s_wait_dscnt 0x0
	s_delay_alu instid0(VALU_DEP_2) | instskip(NEXT) | instid1(VALU_DEP_2)
	v_add_f64_e32 v[4:5], v[4:5], v[40:41]
	v_add_f64_e32 v[42:43], v[18:19], v[42:43]
	ds_load_b128 v[18:21], v50 offset:7680
	s_wait_dscnt 0x0
	v_add_f64_e32 v[40:41], v[4:5], v[18:19]
	v_add_f64_e32 v[4:5], v[42:43], v[20:21]
	s_or_b32 exec_lo, exec_lo, s67
	s_delay_alu instid0(SALU_CYCLE_1)
	s_and_b32 vcc_lo, exec_lo, s66
	s_cbranch_vccnz .LBB85_458
	s_branch .LBB85_485
.LBB85_457:                             ;   in Loop: Header=BB85_3 Depth=1
	s_mov_b32 s36, 0
                                        ; implicit-def: $vgpr4_vgpr5
                                        ; implicit-def: $vgpr40_vgpr41
	s_cbranch_execz .LBB85_485
.LBB85_458:                             ;   in Loop: Header=BB85_3 Depth=1
	v_dual_mov_b32 v3, v66 :: v_dual_mov_b32 v4, v65
	s_mov_b32 s66, 31
	s_branch .LBB85_460
.LBB85_459:                             ;   in Loop: Header=BB85_460 Depth=2
	s_or_b32 exec_lo, exec_lo, s17
	v_add_nc_u32_e32 v4, 0xfffffc00, v4
	v_add_nc_u32_e32 v3, 2, v3
	s_add_co_i32 s66, s66, -2
	s_cmp_lg_u32 s67, 0
	s_barrier_signal -1
	s_barrier_wait -1
	s_cbranch_scc0 .LBB85_468
.LBB85_460:                             ;   Parent Loop BB85_3 Depth=1
                                        ; =>  This Inner Loop Header: Depth=2
	s_delay_alu instid0(VALU_DEP_1) | instskip(SKIP_1) | instid1(SALU_CYCLE_1)
	v_cmp_eq_u32_e32 vcc_lo, 0, v3
	s_and_b32 s24, s6, vcc_lo
	s_and_saveexec_b32 s17, s24
; %bb.461:                              ;   in Loop: Header=BB85_460 Depth=2
	ds_store_b128 v2, v[14:17] offset:25088
; %bb.462:                              ;   in Loop: Header=BB85_460 Depth=2
	s_or_b32 exec_lo, exec_lo, s17
	v_cmp_gt_u32_e32 vcc_lo, s66, v24
	s_wait_dscnt 0x0
	s_barrier_signal -1
	s_barrier_wait -1
	s_and_b32 s24, s6, vcc_lo
	s_delay_alu instid0(SALU_CYCLE_1)
	s_and_saveexec_b32 s17, s24
	s_cbranch_execz .LBB85_464
; %bb.463:                              ;   in Loop: Header=BB85_460 Depth=2
	ds_load_b128 v[18:21], v2 offset:25088
	ds_load_b128 v[40:43], v4 offset:512
	s_wait_dscnt 0x0
	v_mul_f64_e32 v[68:69], v[20:21], v[42:43]
	v_mul_f64_e32 v[42:43], v[18:19], v[42:43]
	s_delay_alu instid0(VALU_DEP_2) | instskip(NEXT) | instid1(VALU_DEP_2)
	v_fma_f64 v[18:19], v[18:19], v[40:41], -v[68:69]
	v_fmac_f64_e32 v[42:43], v[20:21], v[40:41]
	s_delay_alu instid0(VALU_DEP_2) | instskip(NEXT) | instid1(VALU_DEP_2)
	v_add_f64_e32 v[14:15], v[14:15], v[18:19]
	v_add_f64_e32 v[16:17], v[16:17], v[42:43]
.LBB85_464:                             ;   in Loop: Header=BB85_460 Depth=2
	s_or_b32 exec_lo, exec_lo, s17
	s_add_co_i32 s67, s66, -1
	s_delay_alu instid0(SALU_CYCLE_1) | instskip(SKIP_3) | instid1(SALU_CYCLE_1)
	v_cmp_eq_u32_e32 vcc_lo, s67, v24
	s_barrier_signal -1
	s_barrier_wait -1
	s_and_b32 s24, s6, vcc_lo
	s_and_saveexec_b32 s17, s24
; %bb.465:                              ;   in Loop: Header=BB85_460 Depth=2
	ds_store_b128 v2, v[14:17] offset:25088
; %bb.466:                              ;   in Loop: Header=BB85_460 Depth=2
	s_or_b32 exec_lo, exec_lo, s17
	v_cmp_gt_u32_e32 vcc_lo, s67, v24
	s_wait_dscnt 0x0
	s_barrier_signal -1
	s_barrier_wait -1
	s_and_b32 s24, s6, vcc_lo
	s_delay_alu instid0(SALU_CYCLE_1)
	s_and_saveexec_b32 s17, s24
	s_cbranch_execz .LBB85_459
; %bb.467:                              ;   in Loop: Header=BB85_460 Depth=2
	ds_load_b128 v[18:21], v2 offset:25088
	ds_load_b128 v[40:43], v4
	s_wait_dscnt 0x0
	v_mul_f64_e32 v[68:69], v[20:21], v[42:43]
	v_mul_f64_e32 v[42:43], v[18:19], v[42:43]
	s_delay_alu instid0(VALU_DEP_2) | instskip(NEXT) | instid1(VALU_DEP_2)
	v_fma_f64 v[18:19], v[18:19], v[40:41], -v[68:69]
	v_fmac_f64_e32 v[42:43], v[20:21], v[40:41]
	s_delay_alu instid0(VALU_DEP_2) | instskip(NEXT) | instid1(VALU_DEP_2)
	v_add_f64_e32 v[14:15], v[14:15], v[18:19]
	v_add_f64_e32 v[16:17], v[16:17], v[42:43]
	s_branch .LBB85_459
.LBB85_468:                             ;   in Loop: Header=BB85_3 Depth=1
	s_and_b32 vcc_lo, exec_lo, s70
	s_mov_b32 s17, -1
	s_cbranch_vccnz .LBB85_486
; %bb.469:                              ;   in Loop: Header=BB85_3 Depth=1
	s_and_not1_b32 vcc_lo, exec_lo, s17
	s_cbranch_vccz .LBB85_487
.LBB85_470:                             ;   in Loop: Header=BB85_3 Depth=1
	s_and_saveexec_b32 s17, s36
	s_cbranch_execz .LBB85_472
.LBB85_471:                             ;   in Loop: Header=BB85_3 Depth=1
	v_lshl_add_u64 v[4:5], v[0:1], 4, s[38:39]
	global_store_b128 v[4:5], v[14:17], off
.LBB85_472:                             ;   in Loop: Header=BB85_3 Depth=1
	s_wait_xcnt 0x0
	s_or_b32 exec_lo, exec_lo, s17
	global_wb scope:SCOPE_DEV
	s_wait_storecnt 0x0
	global_inv scope:SCOPE_DEV
	s_wait_loadcnt 0x0
	s_barrier_signal -1
	s_barrier_wait -1
	s_and_saveexec_b32 s17, s28
	s_cbranch_execz .LBB85_2
; %bb.473:                              ;   in Loop: Header=BB85_3 Depth=1
	s_lshl_b64 s[24:25], s[56:57], 2
	s_delay_alu instid0(SALU_CYCLE_1)
	s_add_nc_u64 s[24:25], s[50:51], s[24:25]
	global_load_b32 v3, v2, s[24:25]
	s_wait_loadcnt 0x0
	v_add_nc_u32_e32 v3, 1, v3
	global_store_b32 v2, v3, s[24:25]
	s_branch .LBB85_2
.LBB85_474:                             ;   in Loop: Header=BB85_3 Depth=1
	v_lshl_add_u64 v[4:5], v[34:35], 4, v[18:19]
	s_or_b32 s17, s17, exec_lo
	global_load_b128 v[14:17], v[4:5], off
	s_wait_loadcnt 0x0
	v_xor_b32_e32 v15, 0x80000000, v15
	v_xor_b32_e32 v17, 0x80000000, v17
	s_or_b32 exec_lo, exec_lo, s24
	s_and_saveexec_b32 s24, s17
	s_cbranch_execz .LBB85_14
.LBB85_475:                             ;   in Loop: Header=BB85_3 Depth=1
	ds_store_b128 v51, v[14:17]
	s_or_b32 exec_lo, exec_lo, s24
	s_and_saveexec_b32 s17, s7
	s_delay_alu instid0(SALU_CYCLE_1)
	s_xor_b32 s17, exec_lo, s17
	s_cbranch_execz .LBB85_15
.LBB85_476:                             ;   in Loop: Header=BB85_3 Depth=1
	s_and_saveexec_b32 s24, s34
; %bb.477:                              ;   in Loop: Header=BB85_3 Depth=1
	v_dual_mov_b32 v3, v2 :: v_dual_mov_b32 v4, v2
	v_mov_b32_e32 v5, v2
	ds_store_b128 v23, v[2:5]
; %bb.478:                              ;   in Loop: Header=BB85_3 Depth=1
	s_or_b32 exec_lo, exec_lo, s24
	s_and_not1_saveexec_b32 s17, s17
	s_cbranch_execnz .LBB85_16
	s_branch .LBB85_17
.LBB85_479:                             ;   in Loop: Header=BB85_3 Depth=1
	v_lshl_add_u64 v[4:5], v[34:35], 4, v[18:19]
	s_or_b32 s17, s17, exec_lo
	global_load_b128 v[14:17], v[4:5], off
	s_wait_loadcnt 0x0
	v_xor_b32_e32 v15, 0x80000000, v15
	v_xor_b32_e32 v17, 0x80000000, v17
	s_or_b32 exec_lo, exec_lo, s24
	s_and_saveexec_b32 s24, s17
	s_cbranch_execz .LBB85_23
.LBB85_480:                             ;   in Loop: Header=BB85_3 Depth=1
	ds_store_b128 v51, v[14:17]
	s_or_b32 exec_lo, exec_lo, s24
	s_and_saveexec_b32 s17, s23
	s_delay_alu instid0(SALU_CYCLE_1)
	s_xor_b32 s17, exec_lo, s17
	s_cbranch_execz .LBB85_24
.LBB85_481:                             ;   in Loop: Header=BB85_3 Depth=1
	s_and_saveexec_b32 s24, s34
; %bb.482:                              ;   in Loop: Header=BB85_3 Depth=1
	v_dual_mov_b32 v3, v2 :: v_dual_mov_b32 v4, v2
	v_mov_b32_e32 v5, v2
	ds_store_b128 v23, v[2:5]
; %bb.483:                              ;   in Loop: Header=BB85_3 Depth=1
	s_or_b32 exec_lo, exec_lo, s24
                                        ; implicit-def: $vgpr18_vgpr19
	s_and_not1_saveexec_b32 s17, s17
	s_cbranch_execnz .LBB85_25
	s_branch .LBB85_26
.LBB85_484:                             ;   in Loop: Header=BB85_3 Depth=1
	s_or_b32 exec_lo, exec_lo, s67
	s_delay_alu instid0(SALU_CYCLE_1)
	s_and_b32 vcc_lo, exec_lo, s66
	s_cbranch_vccnz .LBB85_458
.LBB85_485:                             ;   in Loop: Header=BB85_3 Depth=1
	s_delay_alu instid0(VALU_DEP_1) | instskip(NEXT) | instid1(VALU_DEP_3)
	v_mov_b64_e32 v[16:17], v[4:5]
	v_mov_b64_e32 v[14:15], v[40:41]
	s_and_saveexec_b32 s17, s36
	s_cbranch_execnz .LBB85_471
	s_branch .LBB85_472
.LBB85_486:                             ;   in Loop: Header=BB85_3 Depth=1
	s_and_not1_b32 s24, s36, exec_lo
	s_and_b32 s25, s6, exec_lo
	s_delay_alu instid0(SALU_CYCLE_1)
	s_or_b32 s36, s24, s25
	s_cbranch_execnz .LBB85_470
.LBB85_487:                             ;   in Loop: Header=BB85_3 Depth=1
	v_readlane_b32 s24, v75, 21
	s_and_not1_b32 s17, s36, exec_lo
	s_and_b32 s24, s24, exec_lo
	s_delay_alu instid0(SALU_CYCLE_1) | instskip(NEXT) | instid1(SALU_CYCLE_1)
	s_or_b32 s36, s17, s24
	s_and_saveexec_b32 s17, s36
	s_cbranch_execnz .LBB85_471
	s_branch .LBB85_472
.LBB85_488:                             ;   in Loop: Header=BB85_3 Depth=1
	ds_load_b128 v[18:21], v44 offset:16336
	ds_load_b128 v[40:43], v55 offset:15232
	s_wait_dscnt 0x0
	v_mul_f64_e32 v[4:5], v[20:21], v[42:43]
	v_mul_f64_e32 v[42:43], v[18:19], v[42:43]
	s_delay_alu instid0(VALU_DEP_2) | instskip(NEXT) | instid1(VALU_DEP_2)
	v_fma_f64 v[4:5], v[18:19], v[40:41], -v[4:5]
	v_fmac_f64_e32 v[42:43], v[20:21], v[40:41]
	s_delay_alu instid0(VALU_DEP_2) | instskip(NEXT) | instid1(VALU_DEP_2)
	v_add_f64_e32 v[14:15], v[14:15], v[4:5]
	v_add_f64_e32 v[16:17], v[16:17], v[42:43]
	s_or_b32 exec_lo, exec_lo, s17
	s_and_saveexec_b32 s17, s11
	s_cbranch_execz .LBB85_47
.LBB85_489:                             ;   in Loop: Header=BB85_3 Depth=1
	ds_load_b128 v[18:21], v44 offset:16352
	ds_load_b128 v[40:43], v55 offset:15744
	s_wait_dscnt 0x0
	v_mul_f64_e32 v[4:5], v[20:21], v[42:43]
	v_mul_f64_e32 v[42:43], v[18:19], v[42:43]
	s_delay_alu instid0(VALU_DEP_2) | instskip(NEXT) | instid1(VALU_DEP_2)
	v_fma_f64 v[4:5], v[18:19], v[40:41], -v[4:5]
	v_fmac_f64_e32 v[42:43], v[20:21], v[40:41]
	s_delay_alu instid0(VALU_DEP_2) | instskip(NEXT) | instid1(VALU_DEP_2)
	v_add_f64_e32 v[14:15], v[14:15], v[4:5]
	v_add_f64_e32 v[16:17], v[16:17], v[42:43]
	s_or_b32 exec_lo, exec_lo, s17
	s_and_saveexec_b32 s17, s2
	s_cbranch_execnz .LBB85_48
	s_branch .LBB85_49
.LBB85_490:                             ;   in Loop: Header=BB85_3 Depth=1
	ds_load_b128 v[18:21], v45 offset:16272
	ds_load_b128 v[40:43], v57 offset:13056
	s_wait_dscnt 0x0
	v_mul_f64_e32 v[4:5], v[20:21], v[42:43]
	v_mul_f64_e32 v[42:43], v[18:19], v[42:43]
	s_delay_alu instid0(VALU_DEP_2) | instskip(NEXT) | instid1(VALU_DEP_2)
	v_fma_f64 v[4:5], v[18:19], v[40:41], -v[4:5]
	v_fmac_f64_e32 v[42:43], v[20:21], v[40:41]
	s_delay_alu instid0(VALU_DEP_2) | instskip(NEXT) | instid1(VALU_DEP_2)
	v_add_f64_e32 v[14:15], v[14:15], v[4:5]
	v_add_f64_e32 v[16:17], v[16:17], v[42:43]
	s_or_b32 exec_lo, exec_lo, s17
	s_and_saveexec_b32 s17, s13
	s_cbranch_execz .LBB85_85
.LBB85_491:                             ;   in Loop: Header=BB85_3 Depth=1
	ds_load_b128 v[18:21], v45 offset:16288
	ds_load_b128 v[40:43], v57 offset:13568
	s_wait_dscnt 0x0
	v_mul_f64_e32 v[4:5], v[20:21], v[42:43]
	v_mul_f64_e32 v[42:43], v[18:19], v[42:43]
	s_delay_alu instid0(VALU_DEP_2) | instskip(NEXT) | instid1(VALU_DEP_2)
	v_fma_f64 v[4:5], v[18:19], v[40:41], -v[4:5]
	v_fmac_f64_e32 v[42:43], v[20:21], v[40:41]
	s_delay_alu instid0(VALU_DEP_2) | instskip(NEXT) | instid1(VALU_DEP_2)
	v_add_f64_e32 v[14:15], v[14:15], v[4:5]
	v_add_f64_e32 v[16:17], v[16:17], v[42:43]
	s_or_b32 exec_lo, exec_lo, s17
	s_and_saveexec_b32 s17, s14
	s_cbranch_execz .LBB85_86
.LBB85_492:                             ;   in Loop: Header=BB85_3 Depth=1
	ds_load_b128 v[18:21], v45 offset:16304
	ds_load_b128 v[40:43], v57 offset:14080
	s_wait_dscnt 0x0
	v_mul_f64_e32 v[4:5], v[20:21], v[42:43]
	v_mul_f64_e32 v[42:43], v[18:19], v[42:43]
	s_delay_alu instid0(VALU_DEP_2) | instskip(NEXT) | instid1(VALU_DEP_2)
	v_fma_f64 v[4:5], v[18:19], v[40:41], -v[4:5]
	v_fmac_f64_e32 v[42:43], v[20:21], v[40:41]
	s_delay_alu instid0(VALU_DEP_2) | instskip(NEXT) | instid1(VALU_DEP_2)
	v_add_f64_e32 v[14:15], v[14:15], v[4:5]
	v_add_f64_e32 v[16:17], v[16:17], v[42:43]
	s_or_b32 exec_lo, exec_lo, s17
	s_and_saveexec_b32 s17, s15
	s_cbranch_execz .LBB85_87
.LBB85_493:                             ;   in Loop: Header=BB85_3 Depth=1
	ds_load_b128 v[18:21], v45 offset:16320
	ds_load_b128 v[40:43], v57 offset:14592
	s_wait_dscnt 0x0
	v_mul_f64_e32 v[4:5], v[20:21], v[42:43]
	v_mul_f64_e32 v[42:43], v[18:19], v[42:43]
	s_delay_alu instid0(VALU_DEP_2) | instskip(NEXT) | instid1(VALU_DEP_2)
	v_fma_f64 v[4:5], v[18:19], v[40:41], -v[4:5]
	v_fmac_f64_e32 v[42:43], v[20:21], v[40:41]
	s_delay_alu instid0(VALU_DEP_2) | instskip(NEXT) | instid1(VALU_DEP_2)
	v_add_f64_e32 v[14:15], v[14:15], v[4:5]
	v_add_f64_e32 v[16:17], v[16:17], v[42:43]
	s_or_b32 exec_lo, exec_lo, s17
	s_and_saveexec_b32 s17, s16
	s_cbranch_execz .LBB85_88
.LBB85_494:                             ;   in Loop: Header=BB85_3 Depth=1
	ds_load_b128 v[18:21], v45 offset:16336
	ds_load_b128 v[40:43], v57 offset:15104
	s_wait_dscnt 0x0
	v_mul_f64_e32 v[4:5], v[20:21], v[42:43]
	v_mul_f64_e32 v[42:43], v[18:19], v[42:43]
	s_delay_alu instid0(VALU_DEP_2) | instskip(NEXT) | instid1(VALU_DEP_2)
	v_fma_f64 v[4:5], v[18:19], v[40:41], -v[4:5]
	v_fmac_f64_e32 v[42:43], v[20:21], v[40:41]
	s_delay_alu instid0(VALU_DEP_2) | instskip(NEXT) | instid1(VALU_DEP_2)
	v_add_f64_e32 v[14:15], v[14:15], v[4:5]
	v_add_f64_e32 v[16:17], v[16:17], v[42:43]
	s_or_b32 exec_lo, exec_lo, s17
	s_and_saveexec_b32 s17, s3
	s_cbranch_execz .LBB85_89
.LBB85_495:                             ;   in Loop: Header=BB85_3 Depth=1
	ds_load_b128 v[18:21], v45 offset:16352
	ds_load_b128 v[40:43], v57 offset:15616
	s_wait_dscnt 0x0
	v_mul_f64_e32 v[4:5], v[20:21], v[42:43]
	v_mul_f64_e32 v[42:43], v[18:19], v[42:43]
	s_delay_alu instid0(VALU_DEP_2) | instskip(NEXT) | instid1(VALU_DEP_2)
	v_fma_f64 v[4:5], v[18:19], v[40:41], -v[4:5]
	v_fmac_f64_e32 v[42:43], v[20:21], v[40:41]
	s_delay_alu instid0(VALU_DEP_2) | instskip(NEXT) | instid1(VALU_DEP_2)
	v_add_f64_e32 v[14:15], v[14:15], v[4:5]
	v_add_f64_e32 v[16:17], v[16:17], v[42:43]
	s_or_b32 exec_lo, exec_lo, s17
	s_and_saveexec_b32 s17, s11
	s_cbranch_execnz .LBB85_90
	s_branch .LBB85_91
.LBB85_496:                             ;   in Loop: Header=BB85_3 Depth=1
	ds_load_b128 v[18:21], v44 offset:12112
	ds_load_b128 v[40:43], v55 offset:11008
	s_wait_dscnt 0x0
	v_mul_f64_e32 v[4:5], v[20:21], v[42:43]
	v_mul_f64_e32 v[42:43], v[18:19], v[42:43]
	s_delay_alu instid0(VALU_DEP_2) | instskip(NEXT) | instid1(VALU_DEP_2)
	v_fma_f64 v[4:5], v[18:19], v[40:41], -v[4:5]
	v_fmac_f64_e32 v[42:43], v[20:21], v[40:41]
	s_delay_alu instid0(VALU_DEP_2) | instskip(NEXT) | instid1(VALU_DEP_2)
	v_add_f64_e32 v[14:15], v[14:15], v[4:5]
	v_add_f64_e32 v[16:17], v[16:17], v[42:43]
	s_or_b32 exec_lo, exec_lo, s17
	s_and_saveexec_b32 s17, s11
	s_cbranch_execz .LBB85_143
.LBB85_497:                             ;   in Loop: Header=BB85_3 Depth=1
	ds_load_b128 v[18:21], v44 offset:12128
	ds_load_b128 v[40:43], v55 offset:11520
	s_wait_dscnt 0x0
	v_mul_f64_e32 v[4:5], v[20:21], v[42:43]
	v_mul_f64_e32 v[42:43], v[18:19], v[42:43]
	s_delay_alu instid0(VALU_DEP_2) | instskip(NEXT) | instid1(VALU_DEP_2)
	v_fma_f64 v[4:5], v[18:19], v[40:41], -v[4:5]
	v_fmac_f64_e32 v[42:43], v[20:21], v[40:41]
	s_delay_alu instid0(VALU_DEP_2) | instskip(NEXT) | instid1(VALU_DEP_2)
	v_add_f64_e32 v[14:15], v[14:15], v[4:5]
	v_add_f64_e32 v[16:17], v[16:17], v[42:43]
	s_or_b32 exec_lo, exec_lo, s17
	s_and_saveexec_b32 s17, s2
	s_cbranch_execnz .LBB85_144
	s_branch .LBB85_145
.LBB85_498:                             ;   in Loop: Header=BB85_3 Depth=1
	ds_load_b128 v[18:21], v46 offset:16304
	ds_load_b128 v[40:43], v59 offset:13824
	s_wait_dscnt 0x0
	v_mul_f64_e32 v[4:5], v[20:21], v[42:43]
	v_mul_f64_e32 v[42:43], v[18:19], v[42:43]
	s_delay_alu instid0(VALU_DEP_2) | instskip(NEXT) | instid1(VALU_DEP_2)
	v_fma_f64 v[4:5], v[18:19], v[40:41], -v[4:5]
	v_fmac_f64_e32 v[42:43], v[20:21], v[40:41]
	s_delay_alu instid0(VALU_DEP_2) | instskip(NEXT) | instid1(VALU_DEP_2)
	v_add_f64_e32 v[14:15], v[14:15], v[4:5]
	v_add_f64_e32 v[16:17], v[16:17], v[42:43]
	s_or_b32 exec_lo, exec_lo, s17
	s_and_saveexec_b32 s17, s4
	s_cbranch_execz .LBB85_201
.LBB85_499:                             ;   in Loop: Header=BB85_3 Depth=1
	ds_load_b128 v[18:21], v46 offset:16320
	ds_load_b128 v[40:43], v59 offset:14336
	s_wait_dscnt 0x0
	v_mul_f64_e32 v[4:5], v[20:21], v[42:43]
	v_mul_f64_e32 v[42:43], v[18:19], v[42:43]
	s_delay_alu instid0(VALU_DEP_2) | instskip(NEXT) | instid1(VALU_DEP_2)
	v_fma_f64 v[4:5], v[18:19], v[40:41], -v[4:5]
	v_fmac_f64_e32 v[42:43], v[20:21], v[40:41]
	s_delay_alu instid0(VALU_DEP_2) | instskip(NEXT) | instid1(VALU_DEP_2)
	v_add_f64_e32 v[14:15], v[14:15], v[4:5]
	v_add_f64_e32 v[16:17], v[16:17], v[42:43]
	s_or_b32 exec_lo, exec_lo, s17
	s_and_saveexec_b32 s17, s13
	s_cbranch_execz .LBB85_202
.LBB85_500:                             ;   in Loop: Header=BB85_3 Depth=1
	ds_load_b128 v[18:21], v46 offset:16336
	ds_load_b128 v[40:43], v59 offset:14848
	s_wait_dscnt 0x0
	v_mul_f64_e32 v[4:5], v[20:21], v[42:43]
	v_mul_f64_e32 v[42:43], v[18:19], v[42:43]
	s_delay_alu instid0(VALU_DEP_2) | instskip(NEXT) | instid1(VALU_DEP_2)
	v_fma_f64 v[4:5], v[18:19], v[40:41], -v[4:5]
	v_fmac_f64_e32 v[42:43], v[20:21], v[40:41]
	s_delay_alu instid0(VALU_DEP_2) | instskip(NEXT) | instid1(VALU_DEP_2)
	v_add_f64_e32 v[14:15], v[14:15], v[4:5]
	v_add_f64_e32 v[16:17], v[16:17], v[42:43]
	s_or_b32 exec_lo, exec_lo, s17
	s_and_saveexec_b32 s17, s15
	s_cbranch_execz .LBB85_203
.LBB85_501:                             ;   in Loop: Header=BB85_3 Depth=1
	ds_load_b128 v[18:21], v46 offset:16352
	ds_load_b128 v[40:43], v59 offset:15360
	s_wait_dscnt 0x0
	v_mul_f64_e32 v[4:5], v[20:21], v[42:43]
	v_mul_f64_e32 v[42:43], v[18:19], v[42:43]
	s_delay_alu instid0(VALU_DEP_2) | instskip(NEXT) | instid1(VALU_DEP_2)
	v_fma_f64 v[4:5], v[18:19], v[40:41], -v[4:5]
	v_fmac_f64_e32 v[42:43], v[20:21], v[40:41]
	s_delay_alu instid0(VALU_DEP_2) | instskip(NEXT) | instid1(VALU_DEP_2)
	v_add_f64_e32 v[14:15], v[14:15], v[4:5]
	v_add_f64_e32 v[16:17], v[16:17], v[42:43]
	s_or_b32 exec_lo, exec_lo, s17
	s_and_saveexec_b32 s17, s3
	s_cbranch_execnz .LBB85_204
	s_branch .LBB85_205
.LBB85_502:                             ;   in Loop: Header=BB85_3 Depth=1
	ds_load_b128 v[18:21], v44 offset:7888
	ds_load_b128 v[40:43], v55 offset:6784
	s_wait_dscnt 0x0
	v_mul_f64_e32 v[4:5], v[20:21], v[42:43]
	v_mul_f64_e32 v[42:43], v[18:19], v[42:43]
	s_delay_alu instid0(VALU_DEP_2) | instskip(NEXT) | instid1(VALU_DEP_2)
	v_fma_f64 v[4:5], v[18:19], v[40:41], -v[4:5]
	v_fmac_f64_e32 v[42:43], v[20:21], v[40:41]
	s_delay_alu instid0(VALU_DEP_2) | instskip(NEXT) | instid1(VALU_DEP_2)
	v_add_f64_e32 v[14:15], v[14:15], v[4:5]
	v_add_f64_e32 v[16:17], v[16:17], v[42:43]
	s_or_b32 exec_lo, exec_lo, s17
	s_and_saveexec_b32 s17, s11
	s_cbranch_execz .LBB85_289
.LBB85_503:                             ;   in Loop: Header=BB85_3 Depth=1
	ds_load_b128 v[18:21], v44 offset:7904
	ds_load_b128 v[40:43], v55 offset:7296
	s_wait_dscnt 0x0
	v_mul_f64_e32 v[4:5], v[20:21], v[42:43]
	v_mul_f64_e32 v[42:43], v[18:19], v[42:43]
	s_delay_alu instid0(VALU_DEP_2) | instskip(NEXT) | instid1(VALU_DEP_2)
	v_fma_f64 v[4:5], v[18:19], v[40:41], -v[4:5]
	v_fmac_f64_e32 v[42:43], v[20:21], v[40:41]
	s_delay_alu instid0(VALU_DEP_2) | instskip(NEXT) | instid1(VALU_DEP_2)
	v_add_f64_e32 v[14:15], v[14:15], v[4:5]
	v_add_f64_e32 v[16:17], v[16:17], v[42:43]
	s_or_b32 exec_lo, exec_lo, s17
	s_and_saveexec_b32 s17, s2
	s_cbranch_execnz .LBB85_290
	s_branch .LBB85_291
.LBB85_504:                             ;   in Loop: Header=BB85_3 Depth=1
	ds_load_b128 v[18:21], v45 offset:7824
	ds_load_b128 v[40:43], v57 offset:4608
	s_wait_dscnt 0x0
	v_mul_f64_e32 v[4:5], v[20:21], v[42:43]
	v_mul_f64_e32 v[42:43], v[18:19], v[42:43]
	s_delay_alu instid0(VALU_DEP_2) | instskip(NEXT) | instid1(VALU_DEP_2)
	v_fma_f64 v[4:5], v[18:19], v[40:41], -v[4:5]
	v_fmac_f64_e32 v[42:43], v[20:21], v[40:41]
	s_delay_alu instid0(VALU_DEP_2) | instskip(NEXT) | instid1(VALU_DEP_2)
	v_add_f64_e32 v[14:15], v[14:15], v[4:5]
	v_add_f64_e32 v[16:17], v[16:17], v[42:43]
	s_or_b32 exec_lo, exec_lo, s17
	s_and_saveexec_b32 s17, s13
	s_cbranch_execz .LBB85_327
.LBB85_505:                             ;   in Loop: Header=BB85_3 Depth=1
	ds_load_b128 v[18:21], v45 offset:7840
	ds_load_b128 v[40:43], v57 offset:5120
	s_wait_dscnt 0x0
	v_mul_f64_e32 v[4:5], v[20:21], v[42:43]
	v_mul_f64_e32 v[42:43], v[18:19], v[42:43]
	s_delay_alu instid0(VALU_DEP_2) | instskip(NEXT) | instid1(VALU_DEP_2)
	v_fma_f64 v[4:5], v[18:19], v[40:41], -v[4:5]
	v_fmac_f64_e32 v[42:43], v[20:21], v[40:41]
	s_delay_alu instid0(VALU_DEP_2) | instskip(NEXT) | instid1(VALU_DEP_2)
	v_add_f64_e32 v[14:15], v[14:15], v[4:5]
	v_add_f64_e32 v[16:17], v[16:17], v[42:43]
	s_or_b32 exec_lo, exec_lo, s17
	s_and_saveexec_b32 s17, s14
	s_cbranch_execz .LBB85_328
.LBB85_506:                             ;   in Loop: Header=BB85_3 Depth=1
	ds_load_b128 v[18:21], v45 offset:7856
	ds_load_b128 v[40:43], v57 offset:5632
	s_wait_dscnt 0x0
	v_mul_f64_e32 v[4:5], v[20:21], v[42:43]
	v_mul_f64_e32 v[42:43], v[18:19], v[42:43]
	s_delay_alu instid0(VALU_DEP_2) | instskip(NEXT) | instid1(VALU_DEP_2)
	v_fma_f64 v[4:5], v[18:19], v[40:41], -v[4:5]
	v_fmac_f64_e32 v[42:43], v[20:21], v[40:41]
	s_delay_alu instid0(VALU_DEP_2) | instskip(NEXT) | instid1(VALU_DEP_2)
	v_add_f64_e32 v[14:15], v[14:15], v[4:5]
	v_add_f64_e32 v[16:17], v[16:17], v[42:43]
	s_or_b32 exec_lo, exec_lo, s17
	s_and_saveexec_b32 s17, s15
	s_cbranch_execz .LBB85_329
.LBB85_507:                             ;   in Loop: Header=BB85_3 Depth=1
	ds_load_b128 v[18:21], v45 offset:7872
	ds_load_b128 v[40:43], v57 offset:6144
	s_wait_dscnt 0x0
	v_mul_f64_e32 v[4:5], v[20:21], v[42:43]
	v_mul_f64_e32 v[42:43], v[18:19], v[42:43]
	s_delay_alu instid0(VALU_DEP_2) | instskip(NEXT) | instid1(VALU_DEP_2)
	v_fma_f64 v[4:5], v[18:19], v[40:41], -v[4:5]
	v_fmac_f64_e32 v[42:43], v[20:21], v[40:41]
	s_delay_alu instid0(VALU_DEP_2) | instskip(NEXT) | instid1(VALU_DEP_2)
	v_add_f64_e32 v[14:15], v[14:15], v[4:5]
	v_add_f64_e32 v[16:17], v[16:17], v[42:43]
	s_or_b32 exec_lo, exec_lo, s17
	s_and_saveexec_b32 s17, s16
	s_cbranch_execz .LBB85_330
.LBB85_508:                             ;   in Loop: Header=BB85_3 Depth=1
	ds_load_b128 v[18:21], v45 offset:7888
	ds_load_b128 v[40:43], v57 offset:6656
	s_wait_dscnt 0x0
	v_mul_f64_e32 v[4:5], v[20:21], v[42:43]
	v_mul_f64_e32 v[42:43], v[18:19], v[42:43]
	s_delay_alu instid0(VALU_DEP_2) | instskip(NEXT) | instid1(VALU_DEP_2)
	v_fma_f64 v[4:5], v[18:19], v[40:41], -v[4:5]
	v_fmac_f64_e32 v[42:43], v[20:21], v[40:41]
	s_delay_alu instid0(VALU_DEP_2) | instskip(NEXT) | instid1(VALU_DEP_2)
	v_add_f64_e32 v[14:15], v[14:15], v[4:5]
	v_add_f64_e32 v[16:17], v[16:17], v[42:43]
	s_or_b32 exec_lo, exec_lo, s17
	s_and_saveexec_b32 s17, s3
	s_cbranch_execz .LBB85_331
.LBB85_509:                             ;   in Loop: Header=BB85_3 Depth=1
	ds_load_b128 v[18:21], v45 offset:7904
	ds_load_b128 v[40:43], v57 offset:7168
	s_wait_dscnt 0x0
	v_mul_f64_e32 v[4:5], v[20:21], v[42:43]
	v_mul_f64_e32 v[42:43], v[18:19], v[42:43]
	s_delay_alu instid0(VALU_DEP_2) | instskip(NEXT) | instid1(VALU_DEP_2)
	v_fma_f64 v[4:5], v[18:19], v[40:41], -v[4:5]
	v_fmac_f64_e32 v[42:43], v[20:21], v[40:41]
	s_delay_alu instid0(VALU_DEP_2) | instskip(NEXT) | instid1(VALU_DEP_2)
	v_add_f64_e32 v[14:15], v[14:15], v[4:5]
	v_add_f64_e32 v[16:17], v[16:17], v[42:43]
	s_or_b32 exec_lo, exec_lo, s17
	s_and_saveexec_b32 s17, s11
	s_cbranch_execnz .LBB85_332
	s_branch .LBB85_333
.LBB85_510:                             ;   in Loop: Header=BB85_3 Depth=1
	ds_load_b128 v[18:21], v44 offset:3664
	ds_load_b128 v[40:43], v55 offset:2560
	s_wait_dscnt 0x0
	v_mul_f64_e32 v[4:5], v[20:21], v[42:43]
	v_mul_f64_e32 v[42:43], v[18:19], v[42:43]
	s_delay_alu instid0(VALU_DEP_2) | instskip(NEXT) | instid1(VALU_DEP_2)
	v_fma_f64 v[4:5], v[18:19], v[40:41], -v[4:5]
	v_fmac_f64_e32 v[42:43], v[20:21], v[40:41]
	s_delay_alu instid0(VALU_DEP_2) | instskip(NEXT) | instid1(VALU_DEP_2)
	v_add_f64_e32 v[14:15], v[14:15], v[4:5]
	v_add_f64_e32 v[16:17], v[16:17], v[42:43]
	s_or_b32 exec_lo, exec_lo, s17
	s_and_saveexec_b32 s17, s11
	s_cbranch_execz .LBB85_385
.LBB85_511:                             ;   in Loop: Header=BB85_3 Depth=1
	ds_load_b128 v[18:21], v44 offset:3680
	ds_load_b128 v[40:43], v55 offset:3072
	s_wait_dscnt 0x0
	v_mul_f64_e32 v[4:5], v[20:21], v[42:43]
	v_mul_f64_e32 v[42:43], v[18:19], v[42:43]
	s_delay_alu instid0(VALU_DEP_2) | instskip(NEXT) | instid1(VALU_DEP_2)
	v_fma_f64 v[4:5], v[18:19], v[40:41], -v[4:5]
	v_fmac_f64_e32 v[42:43], v[20:21], v[40:41]
	s_delay_alu instid0(VALU_DEP_2) | instskip(NEXT) | instid1(VALU_DEP_2)
	v_add_f64_e32 v[14:15], v[14:15], v[4:5]
	v_add_f64_e32 v[16:17], v[16:17], v[42:43]
	s_or_b32 exec_lo, exec_lo, s17
	s_and_saveexec_b32 s17, s2
	s_cbranch_execnz .LBB85_386
	s_branch .LBB85_387
.LBB85_512:
	s_endpgm
	.section	.rodata,"a",@progbits
	.p2align	6, 0x0
	.amdhsa_kernel _ZL19rocblas_trsv_deviceILi32ELi16ELb0ELb0ELb0ELb1E19rocblas_complex_numIdES1_PKS1_PS1_EviT7_lllT6_T8_lllPii
		.amdhsa_group_segment_fixed_size 25104
		.amdhsa_private_segment_fixed_size 0
		.amdhsa_kernarg_size 360
		.amdhsa_user_sgpr_count 2
		.amdhsa_user_sgpr_dispatch_ptr 0
		.amdhsa_user_sgpr_queue_ptr 0
		.amdhsa_user_sgpr_kernarg_segment_ptr 1
		.amdhsa_user_sgpr_dispatch_id 0
		.amdhsa_user_sgpr_kernarg_preload_length 0
		.amdhsa_user_sgpr_kernarg_preload_offset 0
		.amdhsa_user_sgpr_private_segment_size 0
		.amdhsa_wavefront_size32 1
		.amdhsa_uses_dynamic_stack 0
		.amdhsa_enable_private_segment 0
		.amdhsa_system_sgpr_workgroup_id_x 1
		.amdhsa_system_sgpr_workgroup_id_y 0
		.amdhsa_system_sgpr_workgroup_id_z 1
		.amdhsa_system_sgpr_workgroup_info 0
		.amdhsa_system_vgpr_workitem_id 1
		.amdhsa_next_free_vgpr 76
		.amdhsa_next_free_sgpr 105
		.amdhsa_named_barrier_count 0
		.amdhsa_reserve_vcc 1
		.amdhsa_float_round_mode_32 0
		.amdhsa_float_round_mode_16_64 0
		.amdhsa_float_denorm_mode_32 3
		.amdhsa_float_denorm_mode_16_64 3
		.amdhsa_fp16_overflow 0
		.amdhsa_memory_ordered 1
		.amdhsa_forward_progress 1
		.amdhsa_inst_pref_size 164
		.amdhsa_round_robin_scheduling 0
		.amdhsa_exception_fp_ieee_invalid_op 0
		.amdhsa_exception_fp_denorm_src 0
		.amdhsa_exception_fp_ieee_div_zero 0
		.amdhsa_exception_fp_ieee_overflow 0
		.amdhsa_exception_fp_ieee_underflow 0
		.amdhsa_exception_fp_ieee_inexact 0
		.amdhsa_exception_int_div_zero 0
	.end_amdhsa_kernel
	.section	.text._ZL19rocblas_trsv_deviceILi32ELi16ELb0ELb0ELb0ELb1E19rocblas_complex_numIdES1_PKS1_PS1_EviT7_lllT6_T8_lllPii,"axG",@progbits,_ZL19rocblas_trsv_deviceILi32ELi16ELb0ELb0ELb0ELb1E19rocblas_complex_numIdES1_PKS1_PS1_EviT7_lllT6_T8_lllPii,comdat
.Lfunc_end85:
	.size	_ZL19rocblas_trsv_deviceILi32ELi16ELb0ELb0ELb0ELb1E19rocblas_complex_numIdES1_PKS1_PS1_EviT7_lllT6_T8_lllPii, .Lfunc_end85-_ZL19rocblas_trsv_deviceILi32ELi16ELb0ELb0ELb0ELb1E19rocblas_complex_numIdES1_PKS1_PS1_EviT7_lllT6_T8_lllPii
                                        ; -- End function
	.set _ZL19rocblas_trsv_deviceILi32ELi16ELb0ELb0ELb0ELb1E19rocblas_complex_numIdES1_PKS1_PS1_EviT7_lllT6_T8_lllPii.num_vgpr, 76
	.set _ZL19rocblas_trsv_deviceILi32ELi16ELb0ELb0ELb0ELb1E19rocblas_complex_numIdES1_PKS1_PS1_EviT7_lllT6_T8_lllPii.num_agpr, 0
	.set _ZL19rocblas_trsv_deviceILi32ELi16ELb0ELb0ELb0ELb1E19rocblas_complex_numIdES1_PKS1_PS1_EviT7_lllT6_T8_lllPii.numbered_sgpr, 105
	.set _ZL19rocblas_trsv_deviceILi32ELi16ELb0ELb0ELb0ELb1E19rocblas_complex_numIdES1_PKS1_PS1_EviT7_lllT6_T8_lllPii.num_named_barrier, 0
	.set _ZL19rocblas_trsv_deviceILi32ELi16ELb0ELb0ELb0ELb1E19rocblas_complex_numIdES1_PKS1_PS1_EviT7_lllT6_T8_lllPii.private_seg_size, 0
	.set _ZL19rocblas_trsv_deviceILi32ELi16ELb0ELb0ELb0ELb1E19rocblas_complex_numIdES1_PKS1_PS1_EviT7_lllT6_T8_lllPii.uses_vcc, 1
	.set _ZL19rocblas_trsv_deviceILi32ELi16ELb0ELb0ELb0ELb1E19rocblas_complex_numIdES1_PKS1_PS1_EviT7_lllT6_T8_lllPii.uses_flat_scratch, 0
	.set _ZL19rocblas_trsv_deviceILi32ELi16ELb0ELb0ELb0ELb1E19rocblas_complex_numIdES1_PKS1_PS1_EviT7_lllT6_T8_lllPii.has_dyn_sized_stack, 0
	.set _ZL19rocblas_trsv_deviceILi32ELi16ELb0ELb0ELb0ELb1E19rocblas_complex_numIdES1_PKS1_PS1_EviT7_lllT6_T8_lllPii.has_recursion, 0
	.set _ZL19rocblas_trsv_deviceILi32ELi16ELb0ELb0ELb0ELb1E19rocblas_complex_numIdES1_PKS1_PS1_EviT7_lllT6_T8_lllPii.has_indirect_call, 0
	.section	.AMDGPU.csdata,"",@progbits
; Kernel info:
; codeLenInByte = 20904
; TotalNumSgprs: 107
; NumVgprs: 76
; ScratchSize: 0
; MemoryBound: 1
; FloatMode: 240
; IeeeMode: 1
; LDSByteSize: 25104 bytes/workgroup (compile time only)
; SGPRBlocks: 0
; VGPRBlocks: 4
; NumSGPRsForWavesPerEU: 107
; NumVGPRsForWavesPerEU: 76
; NamedBarCnt: 0
; Occupancy: 12
; WaveLimiterHint : 0
; COMPUTE_PGM_RSRC2:SCRATCH_EN: 0
; COMPUTE_PGM_RSRC2:USER_SGPR: 2
; COMPUTE_PGM_RSRC2:TRAP_HANDLER: 0
; COMPUTE_PGM_RSRC2:TGID_X_EN: 1
; COMPUTE_PGM_RSRC2:TGID_Y_EN: 0
; COMPUTE_PGM_RSRC2:TGID_Z_EN: 1
; COMPUTE_PGM_RSRC2:TIDIG_COMP_CNT: 1
	.section	.text._ZL19rocblas_trsv_deviceILi32ELi16ELb0ELb1ELb0ELb1E19rocblas_complex_numIdES1_PKS1_PS1_EviT7_lllT6_T8_lllPii,"axG",@progbits,_ZL19rocblas_trsv_deviceILi32ELi16ELb0ELb1ELb0ELb1E19rocblas_complex_numIdES1_PKS1_PS1_EviT7_lllT6_T8_lllPii,comdat
	.globl	_ZL19rocblas_trsv_deviceILi32ELi16ELb0ELb1ELb0ELb1E19rocblas_complex_numIdES1_PKS1_PS1_EviT7_lllT6_T8_lllPii ; -- Begin function _ZL19rocblas_trsv_deviceILi32ELi16ELb0ELb1ELb0ELb1E19rocblas_complex_numIdES1_PKS1_PS1_EviT7_lllT6_T8_lllPii
	.p2align	8
	.type	_ZL19rocblas_trsv_deviceILi32ELi16ELb0ELb1ELb0ELb1E19rocblas_complex_numIdES1_PKS1_PS1_EviT7_lllT6_T8_lllPii,@function
_ZL19rocblas_trsv_deviceILi32ELi16ELb0ELb1ELb0ELb1E19rocblas_complex_numIdES1_PKS1_PS1_EviT7_lllT6_T8_lllPii: ; @_ZL19rocblas_trsv_deviceILi32ELi16ELb0ELb1ELb0ELb1E19rocblas_complex_numIdES1_PKS1_PS1_EviT7_lllT6_T8_lllPii
; %bb.0:
	s_load_b32 s60, s[0:1], 0x60
	s_bfe_u32 s2, ttmp6, 0x40014
	s_lshr_b32 s3, ttmp7, 16
	s_add_co_i32 s2, s2, 1
	s_bfe_u32 s5, ttmp6, 0x40008
	s_mul_i32 s4, s3, s2
	s_getreg_b32 s2, hwreg(HW_REG_IB_STS2, 6, 4)
	s_add_co_i32 s5, s5, s4
	s_cmp_eq_u32 s2, 0
	s_mov_b32 s35, 0
	s_cselect_b32 s34, s3, s5
	s_wait_kmcnt 0x0
	s_cmp_ge_u32 s34, s60
	s_cbranch_scc1 .LBB86_542
; %bb.1:
	s_clause 0x2
	s_load_b512 s[36:51], s[0:1], 0x8
	s_load_b32 s3, s[0:1], 0x74
	s_load_b32 s61, s[0:1], 0x0
	s_bfe_u32 s4, ttmp6, 0x4000c
	v_and_b32_e32 v24, 0x3ff, v0
	s_add_co_i32 s5, s4, 1
	s_and_b32 s4, ttmp6, 15
	s_mul_i32 s5, ttmp9, s5
	v_bfe_u32 v22, v0, 10, 10
	s_add_co_i32 s4, s4, s5
	v_dual_mov_b32 v3, 0 :: v_dual_lshlrev_b32 v1, 5, v24
	v_cmp_gt_u32_e64 s6, 2, v24
	s_delay_alu instid0(VALU_DEP_3) | instskip(SKIP_1) | instid1(VALU_DEP_4)
	v_add_nc_u32_e32 v4, 16, v22
	v_lshl_add_u32 v12, v22, 5, v24
	v_dual_mov_b32 v27, v3 :: v_dual_add_nc_u32 v2, v22, v1
	v_dual_lshrrev_b32 v23, 10, v0 :: v_dual_bitop2_b32 v15, 7, v0 bitop3:0x40
	s_delay_alu instid0(VALU_DEP_4)
	v_add_nc_u32_e32 v1, v4, v1
	s_wait_kmcnt 0x0
	s_lshl_b64 s[12:13], s[38:39], 4
	s_lshl_b64 s[14:15], s[50:51], 4
	s_cmp_eq_u32 s2, 0
	v_lshl_add_u32 v5, v4, 5, v24
	s_cselect_b32 s62, ttmp9, s4
	s_and_b32 s2, s3, 0xffff
	s_add_co_i32 s3, s61, -1
	s_ashr_i32 s4, s61, 31
	s_ashr_i32 s5, s3, 31
	s_lshr_b32 s4, s4, 27
	s_lshr_b32 s5, s5, 27
	s_add_co_i32 s4, s61, s4
	s_add_co_i32 s3, s3, s5
	s_and_not1_b32 s4, s4, 31
	s_ashr_i32 s3, s3, 5
	s_sub_co_i32 s11, s61, s4
	s_cmp_eq_u32 s3, s62
	v_sub_co_u32 v25, s5, s62, 1
	s_cselect_b32 s3, -1, 0
	s_cmp_lg_u32 s11, 0
	v_mad_u32_u24 v26, v22, s2, v24
	s_cselect_b32 s4, -1, 0
	s_lshl_b32 s18, s62, 5
	s_and_b32 s27, s4, s3
	s_xor_b32 s63, s5, -1
	s_xor_b32 s64, s27, -1
	s_cmp_lt_i32 s62, 5
	s_add_nc_u64 s[2:3], s[40:41], 1
	s_cselect_b32 vcc_lo, -1, 0
	s_ashr_i32 s19, s18, 31
	v_cndmask_b32_e32 v11, v12, v2, vcc_lo
	s_or_b32 vcc_lo, vcc_lo, s27
	s_mul_u64 s[16:17], s[2:3], s[18:19]
	v_dual_cndmask_b32 v13, v5, v1, vcc_lo :: v_dual_bitop2_b32 v1, 1, v0 bitop3:0x40
	v_add_nc_u32_e32 v2, s18, v26
	s_xor_b32 s65, vcc_lo, -1
	v_cmp_gt_u32_e64 s2, 4, v12
	v_dual_lshrrev_b32 v17, 1, v12 :: v_dual_lshrrev_b32 v19, 2, v12
	v_cmp_eq_u32_e32 vcc_lo, 1, v1
	v_and_b32_e32 v14, 3, v0
	v_cmp_eq_u32_e64 s5, 0, v1
	v_cmp_gt_u32_e64 s4, 16, v12
	v_lshlrev_b32_e32 v18, 9, v17
	s_and_b32 s66, vcc_lo, s2
	v_cmp_eq_u32_e32 vcc_lo, 3, v14
	v_cmp_eq_u32_e64 s3, 0, v22
	s_and_b32 s67, s5, s2
	v_cmp_ne_u32_e64 s5, 3, v14
	v_cmp_eq_u32_e64 s7, 1, v14
	s_and_b32 s69, vcc_lo, s4
	v_cmp_gt_u32_e32 vcc_lo, 2, v14
	s_and_b32 s68, s3, s6
	v_cmp_eq_u32_e64 s6, 2, v14
	s_and_b32 s70, s5, s4
	v_cmp_eq_u32_e64 s5, 0, v14
	s_and_b32 s72, vcc_lo, s4
	v_cmp_gt_u32_e32 vcc_lo, 4, v24
	s_and_b32 s71, s6, s4
	v_cmp_eq_u32_e64 s6, 7, v15
	s_and_b32 s74, s5, s4
	v_cmp_gt_u32_e64 s5, 64, v12
	s_and_b32 s75, s3, vcc_lo
	v_cmp_ne_u32_e32 vcc_lo, 7, v15
	s_and_b32 s73, s7, s4
	v_cmp_eq_u32_e64 s7, 6, v15
	s_and_b32 s76, s6, s5
	v_cmp_eq_u32_e64 s6, 5, v15
	s_and_b32 s77, vcc_lo, s5
	v_cmp_gt_u32_e32 vcc_lo, 5, v15
	v_cmp_gt_u32_e64 s8, 6, v15
	s_and_b32 s78, s7, s5
	s_and_b32 s80, s6, s5
	v_cmp_eq_u32_e64 s6, 4, v15
	s_and_b32 s81, vcc_lo, s5
	v_cmp_gt_u32_e32 vcc_lo, 3, v15
	s_and_b32 s79, s8, s5
	v_cmp_gt_u32_e64 s7, 4, v15
	v_cmp_eq_u32_e64 s8, 3, v15
	s_and_b32 s82, s6, s5
	v_cmp_eq_u32_e64 s6, 2, v15
	s_and_b32 s85, vcc_lo, s5
	v_cmp_gt_u32_e32 vcc_lo, 2, v15
	v_dual_sub_nc_u32 v44, 0, v18 :: v_dual_bitop2_b32 v16, 15, v0 bitop3:0x40
	s_and_b32 s83, s7, s5
	s_and_b32 s84, s8, s5
	v_cmp_eq_u32_e64 s7, 1, v15
	v_cmp_eq_u32_e64 s8, 0, v15
	s_and_b32 s86, s6, s5
	s_and_b32 s87, vcc_lo, s5
	v_cmp_gt_u32_e64 s6, 0x100, v12
	v_cmp_eq_u32_e32 vcc_lo, 15, v16
	s_and_b32 s88, s7, s5
	s_and_b32 s89, s8, s5
	v_cmp_ne_u32_e64 s7, 15, v16
                                        ; implicit-def: $vgpr208 : SGPR spill to VGPR lane
	v_cmp_gt_u32_e64 s9, 8, v24
	s_and_b32 s8, vcc_lo, s6
	v_cmp_eq_u32_e32 vcc_lo, 14, v16
	v_writelane_b32 v208, s8, 0
	s_and_b32 s7, s7, s6
	v_cmp_gt_u32_e64 s8, 14, v16
	s_and_b32 s90, s3, s9
	s_and_b32 s10, vcc_lo, s6
	v_writelane_b32 v208, s7, 1
	v_cmp_eq_u32_e64 s9, 13, v16
	s_and_b32 s8, s8, s6
	v_cmp_gt_u32_e64 s7, 13, v16
	v_cmp_eq_u32_e32 vcc_lo, 12, v16
	v_writelane_b32 v208, s10, 2
	v_add_nc_u64_e32 v[6:7], s[18:19], v[26:27]
	v_dual_lshlrev_b32 v27, 4, v24 :: v_dual_lshlrev_b32 v37, 9, v19
	s_and_b32 s7, s7, s6
	v_writelane_b32 v208, s8, 3
	s_and_b32 s8, s9, s6
	s_and_b32 s10, vcc_lo, s6
	v_cmp_gt_u32_e64 s9, 11, v16
	v_cmp_eq_u32_e32 vcc_lo, 10, v16
	v_writelane_b32 v208, s8, 4
	v_cmp_eq_u32_e64 s8, 11, v16
	v_mad_u32_u24 v21, 0x1f0, v24, v27
	v_dual_lshlrev_b32 v5, 5, v12 :: v_dual_bitop2_b32 v40, -16, v12 bitop3:0x40
	v_writelane_b32 v208, s7, 5
	v_cmp_gt_u32_e64 s7, 12, v16
	v_dual_add_nc_u32 v10, s18, v22 :: v_dual_add_nc_u32 v8, s18, v24
	v_add_nc_u32_e32 v46, 0x3dd0, v21
	v_writelane_b32 v208, s10, 6
	s_and_b32 s7, s7, s6
	v_mad_i32_i24 v47, 0xfffffe10, v24, v21
	v_and_b32_e32 v39, 0xfffffe00, v5
	v_mov_b32_e32 v5, v3
	v_writelane_b32 v208, s7, 7
	s_and_b32 s7, s8, s6
	s_and_b32 s8, vcc_lo, s6
	v_cmp_eq_u32_e32 vcc_lo, 9, v16
	v_dual_ashrrev_i32 v9, 31, v8 :: v_dual_sub_nc_u32 v48, 0, v37
	v_writelane_b32 v208, s7, 8
	s_and_b32 s7, s9, s6
	s_and_b32 s10, vcc_lo, s6
	v_cmp_eq_u32_e32 vcc_lo, 7, v16
	v_cmp_eq_u32_e64 s9, 8, v16
	v_writelane_b32 v208, s7, 9
	v_cmp_gt_u32_e64 s7, 10, v16
	v_add_nc_u32_e32 v50, 0x3100, v21
	s_and_b32 s21, vcc_lo, s6
	v_cmp_eq_u32_e32 vcc_lo, 5, v16
	v_writelane_b32 v208, s8, 10
	s_and_b32 s7, s7, s6
	v_cmp_gt_u32_e64 s8, 9, v16
	v_mad_u32_u24 v41, 0x1f0, v24, v47
	s_and_b32 s25, vcc_lo, s6
	v_writelane_b32 v208, s7, 11
	v_cmp_gt_u32_e64 s7, 8, v16
	s_and_b32 s8, s8, s6
	v_cmp_eq_u32_e32 vcc_lo, 4, v16
	v_mul_u64_e32 v[34:35], s[40:41], v[4:5]
	v_writelane_b32 v208, s10, 12
	s_and_b32 s20, s7, s6
	v_cmp_gt_u32_e64 s7, 7, v16
	s_and_b32 s91, vcc_lo, s6
	v_cmp_eq_u32_e32 vcc_lo, 2, v16
	v_writelane_b32 v208, s8, 13
	s_and_b32 s8, s9, s6
	s_and_b32 s22, s7, s6
	v_cmp_gt_u32_e64 s7, 5, v16
	v_cmp_gt_u32_e64 s9, 6, v16
	v_writelane_b32 v208, s8, 14
	v_cmp_eq_u32_e64 s8, 6, v16
	s_and_b32 s95, vcc_lo, s6
	s_and_b32 s26, s7, s6
	v_cmp_gt_u32_e64 s7, 3, v16
	v_cmp_le_i32_e32 vcc_lo, s11, v24
	s_and_b32 s23, s8, s6
	v_cmp_gt_u32_e64 s8, 4, v16
	s_and_b32 s24, s9, s6
	v_cmp_eq_u32_e64 s9, 3, v16
	s_and_b32 s94, s7, s6
	v_cmp_gt_u32_e64 s7, 2, v16
	s_and_b32 s92, s8, s6
	v_cmp_eq_u32_e64 s8, 1, v16
	s_and_b32 s98, vcc_lo, s27
	s_and_b32 s93, s9, s6
	v_cmp_eq_u32_e64 s9, 0, v16
	v_cmp_gt_u32_e64 s10, 16, v24
	s_and_b32 s96, s7, s6
	s_xor_b32 s7, s98, -1
	s_and_b32 s97, s8, s6
	s_and_b32 s101, s3, s7
	v_cmp_le_i32_e64 s7, s11, v22
	v_cmp_le_i32_e64 s8, s11, v4
	s_and_b32 s99, s9, s6
	s_and_b32 s100, s3, s10
	s_cmp_gt_i32 s62, 0
	v_bitop3_b32 v5, v0, v23, 0x3ff bitop3:0xa8
	s_cselect_b32 s19, -1, 0
	s_or_b32 s7, s7, vcc_lo
	s_or_b32 s8, s8, vcc_lo
	v_cmp_gt_i32_e32 vcc_lo, s11, v24
	v_mov_b32_e32 v23, v3
	s_clause 0x1
	s_load_b128 s[52:55], s[0:1], 0x48
	s_load_b64 s[50:51], s[0:1], 0x58
	v_add_nc_u32_e32 v84, 0x3980, v41
	s_wait_xcnt 0x0
	s_and_b32 s0, s3, vcc_lo
	v_add_nc_u32_e32 v85, 0x39b0, v41
	v_add_nc_u32_e32 v86, 0x39a0, v41
	v_mad_i32_i24 v87, 0xfffffe10, v24, v41
	v_add_nc_u32_e32 v88, 0x3990, v41
	v_add_nc_u32_e32 v89, 0x2d40, v41
	;; [unrolled: 1-line block ×8, first 2 shown]
	v_mul_u64_e32 v[30:31], s[40:41], v[8:9]
	v_add_nc_u32_e32 v188, 0x4000, v40
	v_add_nc_u32_e32 v191, 0xc50, v41
	v_writelane_b32 v208, s0, 15
	v_mul_u64_e32 v[40:41], s[40:41], v[22:23]
	s_lshl_b64 s[40:41], s[16:17], 4
	v_cmp_gt_u32_e64 s16, 0xf0, v12
	v_subrev_nc_u32_e32 v28, 32, v10
	v_dual_lshrrev_b32 v20, 3, v12 :: v_dual_add_nc_u32 v172, 64, v87
	v_lshlrev_b32_e32 v178, 4, v1
	s_delay_alu instid0(VALU_DEP_4) | instskip(SKIP_1) | instid1(VALU_DEP_4)
	v_writelane_b32 v208, s16, 16
	v_cmp_gt_u32_e64 s16, 0xe0, v12
	v_dual_lshlrev_b32 v38, 9, v20 :: v_dual_sub_nc_u32 v58, 0, v39
	v_dual_ashrrev_i32 v29, 31, v28 :: v_dual_lshlrev_b32 v180, 4, v14
	s_delay_alu instid0(VALU_DEP_3) | instskip(SKIP_2) | instid1(VALU_DEP_4)
	v_writelane_b32 v208, s16, 17
	v_cmp_gt_u32_e64 s16, 0xd0, v12
	v_dual_sub_nc_u32 v181, v178, v18 :: v_dual_lshlrev_b32 v182, 4, v15
	v_dual_lshlrev_b32 v184, 4, v16 :: v_dual_sub_nc_u32 v185, v180, v37
	s_delay_alu instid0(VALU_DEP_3)
	v_writelane_b32 v208, s16, 18
	v_cmp_gt_u32_e64 s16, 0xc0, v12
	v_sub_nc_u32_e32 v49, 0, v38
	s_wait_kmcnt 0x0
	v_mul_u64_e32 v[32:33], s[52:53], v[8:9]
	v_dual_sub_nc_u32 v187, v182, v38 :: v_dual_sub_nc_u32 v189, v184, v39
	v_writelane_b32 v208, s16, 19
	v_cmp_gt_u32_e64 s16, 0xb0, v12
	v_mul_u64_e32 v[0:1], s[52:53], v[6:7]
	v_mul_u64_e32 v[38:39], s[52:53], v[2:3]
	v_mad_u32_u24 v42, 0x1f0, v24, v87
	v_cmp_ge_u32_e64 s1, v24, v22
	v_writelane_b32 v208, s16, 20
	v_cmp_gt_u32_e64 s16, 0xa0, v12
	v_dual_add_nc_u32 v10, -16, v10 :: v_dual_lshlrev_b32 v197, 4, v13
	v_mad_i32_i24 v98, 0xfffffe10, v24, v42
	v_cmp_gt_i32_e64 s0, s61, v8
	s_delay_alu instid0(VALU_DEP_4) | instskip(SKIP_4) | instid1(VALU_DEP_4)
	v_writelane_b32 v208, s16, 21
	v_cmp_gt_u32_e64 s16, 0x90, v12
	v_cmp_gt_i32_e32 vcc_lo, s61, v28
	v_mad_u32_u24 v43, 0x1f0, v24, v98
	v_dual_lshlrev_b32 v36, 4, v24 :: v_dual_bitop2_b32 v9, v4, v24 bitop3:0x54
	v_writelane_b32 v208, s16, 22
	v_cmp_gt_u32_e64 s16, 0x80, v12
	s_delay_alu instid0(VALU_DEP_4)
	v_mad_i32_i24 v195, 0xfffffe10, v24, v43
	v_lshlrev_b32_e32 v194, 4, v22
	s_or_b32 s103, s7, s1
	v_cmp_ge_u32_e64 s7, v24, v4
	v_writelane_b32 v208, s16, 23
	v_cmp_gt_u32_e64 s16, 0x70, v12
	v_dual_add_nc_u32 v114, 32, v195 :: v_dual_add_nc_u32 v193, v43, v194
	v_lshlrev_b32_e32 v196, 4, v11
	v_add_nc_u32_e32 v194, 0x6000, v194
	s_delay_alu instid0(VALU_DEP_4)
	v_writelane_b32 v208, s16, 24
	v_cmp_gt_u32_e64 s16, 0x60, v12
	s_and_b32 s18, vcc_lo, s0
	v_cmp_gt_i32_e32 vcc_lo, s61, v10
	v_add_nc_u32_e32 v45, 0x3dc0, v21
	v_add_nc_u32_e32 v51, 0x3110, v21
	v_dual_mov_b32 v37, v3 :: v_dual_add_nc_u32 v52, 0x3120, v21
	v_add_nc_u32_e32 v53, 0x3130, v21
	v_add_nc_u32_e32 v54, 0x3140, v21
	;; [unrolled: 1-line block ×107, first 2 shown]
	v_lshl_add_u32 v176, v26, 4, 0x6000
	v_lshl_add_u32 v177, v12, 4, 0x4000
	s_add_nc_u64 s[56:57], s[36:37], s[12:13]
	s_add_nc_u64 s[48:49], s[48:49], s[14:15]
	v_lshl_add_u32 v179, v17, 4, 0x4000
	v_lshl_add_u32 v183, v19, 4, 0x4000
	;; [unrolled: 1-line block ×3, first 2 shown]
	v_add_nc_u32_e32 v190, 0x1070, v21
	v_add_nc_u32_e32 v192, 0x810, v42
	v_lshl_add_u32 v195, v22, 9, v195
	v_add_nc_u32_e32 v198, 0x4000, v27
	v_add_nc_u32_e32 v199, v194, v27
	s_or_b32 s104, s8, s7
	v_cmp_gt_u32_e64 s8, 2, v12
	v_cmp_gt_u32_e64 s9, 12, v12
	v_cmp_gt_u32_e64 s10, 8, v12
	v_cmp_gt_u32_e64 s11, 56, v12
	v_cmp_gt_u32_e64 s12, 48, v12
	v_cmp_gt_u32_e64 s13, 40, v12
	v_cmp_gt_u32_e64 s14, 32, v12
	v_cmp_gt_u32_e64 s15, 24, v12
	v_writelane_b32 v208, s16, 25
	v_cmp_gt_u32_e64 s16, 0x50, v12
	v_cmp_eq_u32_e64 s27, 0, v5
	v_cmp_gt_u32_e64 s28, 32, v5
	v_cmp_gt_u32_e64 s29, 32, v9
	v_cmp_eq_u32_e64 s30, 0, v26
	v_cmp_gt_u32_e64 s31, 32, v26
	s_and_b32 s102, vcc_lo, s0
	s_mov_b32 s37, 0x3ff00000
                                        ; implicit-def: $vgpr6_vgpr7
                                        ; implicit-def: $vgpr10_vgpr11
	v_writelane_b32 v208, s16, 26
	s_branch .LBB86_3
.LBB86_2:                               ;   in Loop: Header=BB86_3 Depth=1
	s_wait_xcnt 0x0
	s_or_b32 exec_lo, exec_lo, s17
	s_add_co_i32 s34, s34, 0x10000
	global_wb scope:SCOPE_DEV
	s_wait_storecnt 0x0
	global_inv scope:SCOPE_DEV
	s_cmp_lt_u32 s34, s60
	s_cbranch_scc0 .LBB86_542
.LBB86_3:                               ; =>This Loop Header: Depth=1
                                        ;     Child Loop BB86_453 Depth 2
                                        ;       Child Loop BB86_455 Depth 3
                                        ;     Child Loop BB86_486 Depth 2
	s_mul_u64 s[38:39], s[42:43], s[34:35]
	s_and_not1_b32 vcc_lo, exec_lo, s63
	s_lshl_b64 s[38:39], s[38:39], 4
	s_delay_alu instid0(SALU_CYCLE_1) | instskip(NEXT) | instid1(SALU_CYCLE_1)
	s_add_nc_u64 s[38:39], s[56:57], s[38:39]
	v_lshl_add_u64 v[18:19], v[30:31], 4, s[38:39]
	s_cbranch_vccnz .LBB86_9
; %bb.4:                                ;   in Loop: Header=BB86_3 Depth=1
	v_mov_b64_e32 v[12:13], 0
	v_mov_b64_e32 v[6:7], 0
	;; [unrolled: 1-line block ×3, first 2 shown]
	v_lshl_add_u64 v[4:5], v[28:29], 4, v[18:19]
	s_barrier_signal -1
	s_barrier_wait -1
	s_and_saveexec_b32 s17, s18
	s_cbranch_execz .LBB86_6
; %bb.5:                                ;   in Loop: Header=BB86_3 Depth=1
	global_load_b128 v[6:9], v[4:5], off
.LBB86_6:                               ;   in Loop: Header=BB86_3 Depth=1
	s_wait_xcnt 0x0
	s_or_b32 exec_lo, exec_lo, s17
	v_mov_b64_e32 v[10:11], 0
	s_wait_loadcnt 0x0
	s_barrier_signal -1
	s_barrier_wait -1
	s_and_saveexec_b32 s17, s102
	s_cbranch_execz .LBB86_8
; %bb.7:                                ;   in Loop: Header=BB86_3 Depth=1
	global_load_b128 v[10:13], v[4:5], off offset:256
.LBB86_8:                               ;   in Loop: Header=BB86_3 Depth=1
	s_wait_xcnt 0x0
	s_or_b32 exec_lo, exec_lo, s17
.LBB86_9:                               ;   in Loop: Header=BB86_3 Depth=1
	s_add_nc_u64 s[38:39], s[38:39], s[40:41]
	s_and_not1_b32 vcc_lo, exec_lo, s64
	v_add_nc_u64_e32 v[14:15], s[38:39], v[36:37]
	s_mov_b32 s17, -1
	s_cbranch_vccnz .LBB86_16
; %bb.10:                               ;   in Loop: Header=BB86_3 Depth=1
	s_and_saveexec_b32 s17, s1
	s_delay_alu instid0(SALU_CYCLE_1)
	s_xor_b32 s17, exec_lo, s17
	s_cbranch_execnz .LBB86_499
; %bb.11:                               ;   in Loop: Header=BB86_3 Depth=1
	s_and_not1_saveexec_b32 s17, s17
	s_cbranch_execnz .LBB86_502
.LBB86_12:                              ;   in Loop: Header=BB86_3 Depth=1
	s_or_b32 exec_lo, exec_lo, s17
	s_and_saveexec_b32 s17, s7
	s_delay_alu instid0(SALU_CYCLE_1)
	s_xor_b32 s17, exec_lo, s17
	s_cbranch_execnz .LBB86_503
.LBB86_13:                              ;   in Loop: Header=BB86_3 Depth=1
	s_and_not1_saveexec_b32 s17, s17
	s_cbranch_execz .LBB86_15
.LBB86_14:                              ;   in Loop: Header=BB86_3 Depth=1
	v_lshl_add_u64 v[4:5], v[34:35], 4, v[14:15]
	global_load_b128 v[200:203], v[4:5], off
	s_wait_loadcnt 0x0
	v_xor_b32_e32 v201, 0x80000000, v201
	v_xor_b32_e32 v203, 0x80000000, v203
	ds_store_b128 v197, v[200:203]
.LBB86_15:                              ;   in Loop: Header=BB86_3 Depth=1
	s_or_b32 exec_lo, exec_lo, s17
	s_mov_b32 s17, 0
.LBB86_16:                              ;   in Loop: Header=BB86_3 Depth=1
	s_delay_alu instid0(SALU_CYCLE_1)
	s_and_b32 vcc_lo, exec_lo, s17
	s_cbranch_vccz .LBB86_23
; %bb.17:                               ;   in Loop: Header=BB86_3 Depth=1
	s_and_saveexec_b32 s17, s103
	s_delay_alu instid0(SALU_CYCLE_1)
	s_xor_b32 s17, exec_lo, s17
	s_cbranch_execnz .LBB86_506
; %bb.18:                               ;   in Loop: Header=BB86_3 Depth=1
	s_and_not1_saveexec_b32 s17, s17
	s_cbranch_execnz .LBB86_509
.LBB86_19:                              ;   in Loop: Header=BB86_3 Depth=1
	s_or_b32 exec_lo, exec_lo, s17
	s_and_saveexec_b32 s17, s104
	s_delay_alu instid0(SALU_CYCLE_1)
	s_xor_b32 s17, exec_lo, s17
	s_cbranch_execnz .LBB86_510
.LBB86_20:                              ;   in Loop: Header=BB86_3 Depth=1
	s_and_not1_saveexec_b32 s17, s17
	s_cbranch_execz .LBB86_22
.LBB86_21:                              ;   in Loop: Header=BB86_3 Depth=1
	v_lshl_add_u64 v[4:5], v[34:35], 4, v[14:15]
	global_load_b128 v[14:17], v[4:5], off
	s_wait_loadcnt 0x0
	v_xor_b32_e32 v15, 0x80000000, v15
	v_xor_b32_e32 v17, 0x80000000, v17
	ds_store_b128 v197, v[14:17]
.LBB86_22:                              ;   in Loop: Header=BB86_3 Depth=1
	s_or_b32 exec_lo, exec_lo, s17
.LBB86_23:                              ;   in Loop: Header=BB86_3 Depth=1
	s_delay_alu instid0(SALU_CYCLE_1)
	s_and_not1_b32 vcc_lo, exec_lo, s65
	s_wait_loadcnt_dscnt 0x0
	s_barrier_signal -1
	s_barrier_wait -1
	s_cbranch_vccnz .LBB86_447
; %bb.24:                               ;   in Loop: Header=BB86_3 Depth=1
	s_and_saveexec_b32 s33, s27
	s_cbranch_execz .LBB86_26
; %bb.25:                               ;   in Loop: Header=BB86_3 Depth=1
	s_mov_b32 s36, s35
	s_mov_b32 s38, s35
	;; [unrolled: 1-line block ×3, first 2 shown]
	v_mov_b64_e32 v[14:15], s[36:37]
	v_mov_b64_e32 v[16:17], s[38:39]
	ds_store_b128 v3, v[14:17] offset:15840
	ds_store_b128 v3, v[14:17] offset:16368
	ds_load_b128 v[14:17], v3 offset:16352
	s_wait_dscnt 0x0
	ds_store_b128 v3, v[14:17] offset:15856
.LBB86_26:                              ;   in Loop: Header=BB86_3 Depth=1
	s_or_b32 exec_lo, exec_lo, s33
	v_mov_b64_e32 v[14:15], 0
	v_mov_b64_e32 v[16:17], 0
	s_wait_dscnt 0x0
	s_barrier_signal -1
	s_barrier_wait -1
	global_wb scope:SCOPE_DEV
	s_wait_storecnt 0x0
	global_inv scope:SCOPE_DEV
	s_and_saveexec_b32 s33, s2
	s_cbranch_execz .LBB86_30
; %bb.27:                               ;   in Loop: Header=BB86_3 Depth=1
	ds_load_b128 v[14:17], v44 offset:16352
	ds_load_b128 v[200:203], v178 offset:15808
	s_wait_dscnt 0x0
	v_mul_f64_e32 v[4:5], v[16:17], v[202:203]
	v_mul_f64_e32 v[20:21], v[14:15], v[202:203]
	s_delay_alu instid0(VALU_DEP_2) | instskip(NEXT) | instid1(VALU_DEP_2)
	v_fma_f64 v[4:5], v[14:15], v[200:201], -v[4:5]
	v_fmac_f64_e32 v[20:21], v[16:17], v[200:201]
	s_delay_alu instid0(VALU_DEP_2) | instskip(NEXT) | instid1(VALU_DEP_2)
	v_add_f64_e32 v[14:15], 0, v[4:5]
	v_add_f64_e32 v[16:17], 0, v[20:21]
	s_and_saveexec_b32 s17, s8
	s_cbranch_execz .LBB86_29
; %bb.28:                               ;   in Loop: Header=BB86_3 Depth=1
	ds_load_b128 v[200:203], v3 offset:16368
	ds_load_b128 v[204:207], v27 offset:16320
	s_wait_dscnt 0x0
	v_mul_f64_e32 v[4:5], v[202:203], v[206:207]
	v_mul_f64_e32 v[20:21], v[200:201], v[206:207]
	s_delay_alu instid0(VALU_DEP_2) | instskip(NEXT) | instid1(VALU_DEP_2)
	v_fma_f64 v[4:5], v[200:201], v[204:205], -v[4:5]
	v_fmac_f64_e32 v[20:21], v[202:203], v[204:205]
	s_delay_alu instid0(VALU_DEP_2) | instskip(NEXT) | instid1(VALU_DEP_2)
	v_add_f64_e32 v[14:15], v[14:15], v[4:5]
	v_add_f64_e32 v[16:17], v[16:17], v[20:21]
.LBB86_29:                              ;   in Loop: Header=BB86_3 Depth=1
	s_or_b32 exec_lo, exec_lo, s17
.LBB86_30:                              ;   in Loop: Header=BB86_3 Depth=1
	s_delay_alu instid0(SALU_CYCLE_1)
	s_or_b32 exec_lo, exec_lo, s33
	s_and_saveexec_b32 s17, s66
	s_cbranch_execz .LBB86_32
; %bb.31:                               ;   in Loop: Header=BB86_3 Depth=1
	s_delay_alu instid0(VALU_DEP_2) | instskip(NEXT) | instid1(VALU_DEP_2)
	v_xor_b32_e32 v201, 0x80000000, v15
	v_xor_b32_e32 v203, 0x80000000, v17
	s_delay_alu instid0(VALU_DEP_3)
	v_dual_mov_b32 v200, v14 :: v_dual_mov_b32 v202, v16
	ds_store_b128 v179, v[200:203]
.LBB86_32:                              ;   in Loop: Header=BB86_3 Depth=1
	s_or_b32 exec_lo, exec_lo, s17
	s_wait_loadcnt_dscnt 0x0
	s_barrier_signal -1
	s_barrier_wait -1
	s_and_saveexec_b32 s17, s67
	s_cbranch_execz .LBB86_34
; %bb.33:                               ;   in Loop: Header=BB86_3 Depth=1
	ds_load_b128 v[200:203], v179
	ds_load_b128 v[204:207], v3 offset:15296
	s_wait_dscnt 0x0
	v_mul_f64_e32 v[4:5], v[200:201], v[204:205]
	v_mul_f64_e32 v[20:21], v[200:201], v[206:207]
	s_delay_alu instid0(VALU_DEP_2) | instskip(NEXT) | instid1(VALU_DEP_2)
	v_fma_f64 v[4:5], v[202:203], v[206:207], -v[4:5]
	v_fmac_f64_e32 v[20:21], v[202:203], v[204:205]
	s_delay_alu instid0(VALU_DEP_2) | instskip(NEXT) | instid1(VALU_DEP_2)
	v_add_f64_e32 v[14:15], v[14:15], v[4:5]
	v_add_f64_e64 v[16:17], v[16:17], -v[20:21]
.LBB86_34:                              ;   in Loop: Header=BB86_3 Depth=1
	s_or_b32 exec_lo, exec_lo, s17
	s_barrier_signal -1
	s_barrier_wait -1
	s_and_saveexec_b32 s17, s67
	s_cbranch_execz .LBB86_36
; %bb.35:                               ;   in Loop: Header=BB86_3 Depth=1
	s_delay_alu instid0(VALU_DEP_2) | instskip(NEXT) | instid1(VALU_DEP_2)
	v_xor_b32_e32 v201, 0x80000000, v15
	v_xor_b32_e32 v203, 0x80000000, v17
	s_delay_alu instid0(VALU_DEP_3)
	v_dual_mov_b32 v200, v14 :: v_dual_mov_b32 v202, v16
	ds_store_b128 v179, v[200:203]
.LBB86_36:                              ;   in Loop: Header=BB86_3 Depth=1
	s_or_b32 exec_lo, exec_lo, s17
	s_wait_dscnt 0x0
	s_barrier_signal -1
	s_barrier_wait -1
	s_barrier_signal -1
	s_barrier_wait -1
	s_and_saveexec_b32 s17, s2
; %bb.37:                               ;   in Loop: Header=BB86_3 Depth=1
	ds_store_b128 v181, v[14:17] offset:16320
; %bb.38:                               ;   in Loop: Header=BB86_3 Depth=1
	s_or_b32 exec_lo, exec_lo, s17
	s_wait_dscnt 0x0
	s_barrier_signal -1
	s_barrier_wait -1
	s_barrier_signal -1
	s_barrier_wait -1
	s_and_saveexec_b32 s17, s68
	s_cbranch_execz .LBB86_40
; %bb.39:                               ;   in Loop: Header=BB86_3 Depth=1
	ds_load_b128 v[14:17], v45
	s_wait_dscnt 0x0
	ds_store_b128 v116, v[14:17]
	ds_load_b128 v[14:17], v46
	s_wait_dscnt 0x0
	ds_store_b128 v117, v[14:17]
.LBB86_40:                              ;   in Loop: Header=BB86_3 Depth=1
	s_or_b32 exec_lo, exec_lo, s17
	s_wait_dscnt 0x0
	s_barrier_signal -1
	s_barrier_wait -1
	s_and_saveexec_b32 s33, s27
	s_cbranch_execz .LBB86_42
; %bb.41:                               ;   in Loop: Header=BB86_3 Depth=1
	s_mov_b32 s36, s35
	s_mov_b32 s38, s35
	;; [unrolled: 1-line block ×3, first 2 shown]
	v_mov_b64_e32 v[14:15], s[36:37]
	v_mov_b64_e32 v[16:17], s[38:39]
	ds_store_b128 v3, v[14:17] offset:14784
	ds_store_b128 v3, v[14:17] offset:15312
	ds_load_b128 v[14:17], v3 offset:15296
	s_wait_dscnt 0x0
	ds_store_b128 v3, v[14:17] offset:14800
.LBB86_42:                              ;   in Loop: Header=BB86_3 Depth=1
	s_or_b32 exec_lo, exec_lo, s33
	v_mov_b64_e32 v[16:17], 0
	v_mov_b64_e32 v[14:15], 0
	s_wait_dscnt 0x0
	s_barrier_signal -1
	s_barrier_wait -1
	global_wb scope:SCOPE_DEV
	s_wait_storecnt 0x0
	global_inv scope:SCOPE_DEV
	s_and_saveexec_b32 s33, s4
	s_cbranch_execz .LBB86_48
; %bb.43:                               ;   in Loop: Header=BB86_3 Depth=1
	ds_load_b128 v[14:17], v48 offset:16320
	ds_load_b128 v[200:203], v180 offset:14720
	s_wait_dscnt 0x0
	v_mul_f64_e32 v[4:5], v[16:17], v[202:203]
	v_mul_f64_e32 v[20:21], v[14:15], v[202:203]
	s_delay_alu instid0(VALU_DEP_2) | instskip(NEXT) | instid1(VALU_DEP_2)
	v_fma_f64 v[4:5], v[14:15], v[200:201], -v[4:5]
	v_fmac_f64_e32 v[20:21], v[16:17], v[200:201]
	s_delay_alu instid0(VALU_DEP_2) | instskip(NEXT) | instid1(VALU_DEP_2)
	v_add_f64_e32 v[14:15], 0, v[4:5]
	v_add_f64_e32 v[16:17], 0, v[20:21]
	s_and_saveexec_b32 s17, s9
	s_cbranch_execnz .LBB86_518
; %bb.44:                               ;   in Loop: Header=BB86_3 Depth=1
	s_or_b32 exec_lo, exec_lo, s17
	s_and_saveexec_b32 s17, s10
	s_cbranch_execnz .LBB86_519
.LBB86_45:                              ;   in Loop: Header=BB86_3 Depth=1
	s_or_b32 exec_lo, exec_lo, s17
	s_and_saveexec_b32 s17, s2
	s_cbranch_execz .LBB86_47
.LBB86_46:                              ;   in Loop: Header=BB86_3 Depth=1
	ds_load_b128 v[200:203], v3 offset:16368
	ds_load_b128 v[204:207], v47 offset:16256
	s_wait_dscnt 0x0
	v_mul_f64_e32 v[4:5], v[202:203], v[206:207]
	v_mul_f64_e32 v[20:21], v[200:201], v[206:207]
	s_delay_alu instid0(VALU_DEP_2) | instskip(NEXT) | instid1(VALU_DEP_2)
	v_fma_f64 v[4:5], v[200:201], v[204:205], -v[4:5]
	v_fmac_f64_e32 v[20:21], v[202:203], v[204:205]
	s_delay_alu instid0(VALU_DEP_2) | instskip(NEXT) | instid1(VALU_DEP_2)
	v_add_f64_e32 v[14:15], v[14:15], v[4:5]
	v_add_f64_e32 v[16:17], v[16:17], v[20:21]
.LBB86_47:                              ;   in Loop: Header=BB86_3 Depth=1
	s_or_b32 exec_lo, exec_lo, s17
.LBB86_48:                              ;   in Loop: Header=BB86_3 Depth=1
	s_delay_alu instid0(SALU_CYCLE_1)
	s_or_b32 exec_lo, exec_lo, s33
	s_and_saveexec_b32 s17, s69
	s_cbranch_execz .LBB86_50
; %bb.49:                               ;   in Loop: Header=BB86_3 Depth=1
	s_delay_alu instid0(VALU_DEP_1) | instskip(NEXT) | instid1(VALU_DEP_3)
	v_xor_b32_e32 v203, 0x80000000, v17
	v_xor_b32_e32 v201, 0x80000000, v15
	s_delay_alu instid0(VALU_DEP_3)
	v_dual_mov_b32 v200, v14 :: v_dual_mov_b32 v202, v16
	ds_store_b128 v183, v[200:203]
.LBB86_50:                              ;   in Loop: Header=BB86_3 Depth=1
	s_or_b32 exec_lo, exec_lo, s17
	s_wait_loadcnt_dscnt 0x0
	s_barrier_signal -1
	s_barrier_wait -1
	s_and_saveexec_b32 s17, s70
	s_cbranch_execz .LBB86_52
; %bb.51:                               ;   in Loop: Header=BB86_3 Depth=1
	ds_load_b128 v[200:203], v183
	ds_load_b128 v[204:207], v180 offset:14208
	s_wait_dscnt 0x0
	v_mul_f64_e32 v[4:5], v[202:203], v[206:207]
	v_mul_f64_e32 v[20:21], v[200:201], v[206:207]
	s_delay_alu instid0(VALU_DEP_2) | instskip(NEXT) | instid1(VALU_DEP_2)
	v_fma_f64 v[4:5], v[200:201], v[204:205], -v[4:5]
	v_fmac_f64_e32 v[20:21], v[202:203], v[204:205]
	s_delay_alu instid0(VALU_DEP_2) | instskip(NEXT) | instid1(VALU_DEP_2)
	v_add_f64_e64 v[14:15], v[14:15], -v[4:5]
	v_add_f64_e64 v[16:17], v[16:17], -v[20:21]
.LBB86_52:                              ;   in Loop: Header=BB86_3 Depth=1
	s_or_b32 exec_lo, exec_lo, s17
	s_barrier_signal -1
	s_barrier_wait -1
	s_and_saveexec_b32 s17, s71
	s_cbranch_execz .LBB86_54
; %bb.53:                               ;   in Loop: Header=BB86_3 Depth=1
	s_delay_alu instid0(VALU_DEP_1) | instskip(NEXT) | instid1(VALU_DEP_3)
	v_xor_b32_e32 v203, 0x80000000, v17
	v_xor_b32_e32 v201, 0x80000000, v15
	s_delay_alu instid0(VALU_DEP_3)
	v_dual_mov_b32 v200, v14 :: v_dual_mov_b32 v202, v16
	ds_store_b128 v183, v[200:203]
.LBB86_54:                              ;   in Loop: Header=BB86_3 Depth=1
	s_or_b32 exec_lo, exec_lo, s17
	s_wait_dscnt 0x0
	s_barrier_signal -1
	s_barrier_wait -1
	s_and_saveexec_b32 s17, s72
	s_cbranch_execz .LBB86_56
; %bb.55:                               ;   in Loop: Header=BB86_3 Depth=1
	ds_load_b128 v[200:203], v183
	ds_load_b128 v[204:207], v180 offset:13696
	s_wait_dscnt 0x0
	v_mul_f64_e32 v[4:5], v[202:203], v[206:207]
	v_mul_f64_e32 v[20:21], v[200:201], v[206:207]
	s_delay_alu instid0(VALU_DEP_2) | instskip(NEXT) | instid1(VALU_DEP_2)
	v_fma_f64 v[4:5], v[200:201], v[204:205], -v[4:5]
	v_fmac_f64_e32 v[20:21], v[202:203], v[204:205]
	s_delay_alu instid0(VALU_DEP_2) | instskip(NEXT) | instid1(VALU_DEP_2)
	v_add_f64_e64 v[14:15], v[14:15], -v[4:5]
	v_add_f64_e64 v[16:17], v[16:17], -v[20:21]
.LBB86_56:                              ;   in Loop: Header=BB86_3 Depth=1
	s_or_b32 exec_lo, exec_lo, s17
	s_barrier_signal -1
	s_barrier_wait -1
	s_and_saveexec_b32 s17, s73
	s_cbranch_execz .LBB86_58
; %bb.57:                               ;   in Loop: Header=BB86_3 Depth=1
	s_delay_alu instid0(VALU_DEP_1) | instskip(NEXT) | instid1(VALU_DEP_3)
	v_xor_b32_e32 v203, 0x80000000, v17
	v_xor_b32_e32 v201, 0x80000000, v15
	s_delay_alu instid0(VALU_DEP_3)
	v_dual_mov_b32 v200, v14 :: v_dual_mov_b32 v202, v16
	ds_store_b128 v183, v[200:203]
.LBB86_58:                              ;   in Loop: Header=BB86_3 Depth=1
	s_or_b32 exec_lo, exec_lo, s17
	s_wait_dscnt 0x0
	;; [unrolled: 32-line block ×3, first 2 shown]
	s_barrier_signal -1
	s_barrier_wait -1
	s_barrier_signal -1
	s_barrier_wait -1
	s_and_saveexec_b32 s17, s4
; %bb.63:                               ;   in Loop: Header=BB86_3 Depth=1
	ds_store_b128 v185, v[14:17] offset:16256
; %bb.64:                               ;   in Loop: Header=BB86_3 Depth=1
	s_or_b32 exec_lo, exec_lo, s17
	s_wait_dscnt 0x0
	s_barrier_signal -1
	s_barrier_wait -1
	s_barrier_signal -1
	s_barrier_wait -1
	s_and_saveexec_b32 s17, s75
	s_cbranch_execz .LBB86_66
; %bb.65:                               ;   in Loop: Header=BB86_3 Depth=1
	ds_load_b128 v[14:17], v84
	s_wait_dscnt 0x0
	ds_store_b128 v118, v[14:17]
	ds_load_b128 v[14:17], v88
	s_wait_dscnt 0x0
	ds_store_b128 v121, v[14:17]
	;; [unrolled: 3-line block ×4, first 2 shown]
.LBB86_66:                              ;   in Loop: Header=BB86_3 Depth=1
	s_or_b32 exec_lo, exec_lo, s17
	s_wait_dscnt 0x0
	s_barrier_signal -1
	s_barrier_wait -1
	s_and_saveexec_b32 s33, s27
	s_cbranch_execz .LBB86_68
; %bb.67:                               ;   in Loop: Header=BB86_3 Depth=1
	s_mov_b32 s36, s35
	s_mov_b32 s38, s35
	;; [unrolled: 1-line block ×3, first 2 shown]
	v_mov_b64_e32 v[14:15], s[36:37]
	v_mov_b64_e32 v[16:17], s[38:39]
	ds_store_b128 v3, v[14:17] offset:13728
	ds_store_b128 v3, v[14:17] offset:14256
	ds_load_b128 v[14:17], v3 offset:14240
	s_wait_dscnt 0x0
	ds_store_b128 v3, v[14:17] offset:13744
.LBB86_68:                              ;   in Loop: Header=BB86_3 Depth=1
	s_or_b32 exec_lo, exec_lo, s33
	v_mov_b64_e32 v[14:15], 0
	v_mov_b64_e32 v[16:17], 0
	s_wait_dscnt 0x0
	s_barrier_signal -1
	s_barrier_wait -1
	global_wb scope:SCOPE_DEV
	s_wait_storecnt 0x0
	global_inv scope:SCOPE_DEV
	s_and_saveexec_b32 s33, s2
	s_cbranch_execz .LBB86_72
; %bb.69:                               ;   in Loop: Header=BB86_3 Depth=1
	ds_load_b128 v[14:17], v44 offset:14240
	ds_load_b128 v[200:203], v178 offset:13696
	s_wait_dscnt 0x0
	v_mul_f64_e32 v[4:5], v[16:17], v[202:203]
	v_mul_f64_e32 v[20:21], v[14:15], v[202:203]
	s_delay_alu instid0(VALU_DEP_2) | instskip(NEXT) | instid1(VALU_DEP_2)
	v_fma_f64 v[4:5], v[14:15], v[200:201], -v[4:5]
	v_fmac_f64_e32 v[20:21], v[16:17], v[200:201]
	s_delay_alu instid0(VALU_DEP_2) | instskip(NEXT) | instid1(VALU_DEP_2)
	v_add_f64_e32 v[14:15], 0, v[4:5]
	v_add_f64_e32 v[16:17], 0, v[20:21]
	s_and_saveexec_b32 s17, s8
	s_cbranch_execz .LBB86_71
; %bb.70:                               ;   in Loop: Header=BB86_3 Depth=1
	ds_load_b128 v[200:203], v3 offset:14256
	ds_load_b128 v[204:207], v87 offset:14208
	s_wait_dscnt 0x0
	v_mul_f64_e32 v[4:5], v[202:203], v[206:207]
	v_mul_f64_e32 v[20:21], v[200:201], v[206:207]
	s_delay_alu instid0(VALU_DEP_2) | instskip(NEXT) | instid1(VALU_DEP_2)
	v_fma_f64 v[4:5], v[200:201], v[204:205], -v[4:5]
	v_fmac_f64_e32 v[20:21], v[202:203], v[204:205]
	s_delay_alu instid0(VALU_DEP_2) | instskip(NEXT) | instid1(VALU_DEP_2)
	v_add_f64_e32 v[14:15], v[14:15], v[4:5]
	v_add_f64_e32 v[16:17], v[16:17], v[20:21]
.LBB86_71:                              ;   in Loop: Header=BB86_3 Depth=1
	s_or_b32 exec_lo, exec_lo, s17
.LBB86_72:                              ;   in Loop: Header=BB86_3 Depth=1
	s_delay_alu instid0(SALU_CYCLE_1)
	s_or_b32 exec_lo, exec_lo, s33
	s_and_saveexec_b32 s17, s66
	s_cbranch_execz .LBB86_74
; %bb.73:                               ;   in Loop: Header=BB86_3 Depth=1
	s_delay_alu instid0(VALU_DEP_2) | instskip(NEXT) | instid1(VALU_DEP_2)
	v_xor_b32_e32 v201, 0x80000000, v15
	v_xor_b32_e32 v203, 0x80000000, v17
	s_delay_alu instid0(VALU_DEP_3)
	v_dual_mov_b32 v200, v14 :: v_dual_mov_b32 v202, v16
	ds_store_b128 v179, v[200:203]
.LBB86_74:                              ;   in Loop: Header=BB86_3 Depth=1
	s_or_b32 exec_lo, exec_lo, s17
	s_wait_loadcnt_dscnt 0x0
	s_barrier_signal -1
	s_barrier_wait -1
	s_and_saveexec_b32 s17, s67
	s_cbranch_execz .LBB86_76
; %bb.75:                               ;   in Loop: Header=BB86_3 Depth=1
	ds_load_b128 v[200:203], v179
	ds_load_b128 v[204:207], v3 offset:13184
	s_wait_dscnt 0x0
	v_mul_f64_e32 v[4:5], v[200:201], v[204:205]
	v_mul_f64_e32 v[20:21], v[200:201], v[206:207]
	s_delay_alu instid0(VALU_DEP_2) | instskip(NEXT) | instid1(VALU_DEP_2)
	v_fma_f64 v[4:5], v[202:203], v[206:207], -v[4:5]
	v_fmac_f64_e32 v[20:21], v[202:203], v[204:205]
	s_delay_alu instid0(VALU_DEP_2) | instskip(NEXT) | instid1(VALU_DEP_2)
	v_add_f64_e32 v[14:15], v[14:15], v[4:5]
	v_add_f64_e64 v[16:17], v[16:17], -v[20:21]
.LBB86_76:                              ;   in Loop: Header=BB86_3 Depth=1
	s_or_b32 exec_lo, exec_lo, s17
	s_barrier_signal -1
	s_barrier_wait -1
	s_and_saveexec_b32 s17, s67
	s_cbranch_execz .LBB86_78
; %bb.77:                               ;   in Loop: Header=BB86_3 Depth=1
	s_delay_alu instid0(VALU_DEP_2) | instskip(NEXT) | instid1(VALU_DEP_2)
	v_xor_b32_e32 v201, 0x80000000, v15
	v_xor_b32_e32 v203, 0x80000000, v17
	s_delay_alu instid0(VALU_DEP_3)
	v_dual_mov_b32 v200, v14 :: v_dual_mov_b32 v202, v16
	ds_store_b128 v179, v[200:203]
.LBB86_78:                              ;   in Loop: Header=BB86_3 Depth=1
	s_or_b32 exec_lo, exec_lo, s17
	s_wait_dscnt 0x0
	s_barrier_signal -1
	s_barrier_wait -1
	s_barrier_signal -1
	s_barrier_wait -1
	s_and_saveexec_b32 s17, s2
; %bb.79:                               ;   in Loop: Header=BB86_3 Depth=1
	ds_store_b128 v181, v[14:17] offset:14208
; %bb.80:                               ;   in Loop: Header=BB86_3 Depth=1
	s_or_b32 exec_lo, exec_lo, s17
	s_wait_dscnt 0x0
	s_barrier_signal -1
	s_barrier_wait -1
	s_barrier_signal -1
	s_barrier_wait -1
	s_and_saveexec_b32 s17, s68
	s_cbranch_execz .LBB86_82
; %bb.81:                               ;   in Loop: Header=BB86_3 Depth=1
	ds_load_b128 v[14:17], v96
	s_wait_dscnt 0x0
	ds_store_b128 v122, v[14:17]
	ds_load_b128 v[14:17], v97
	s_wait_dscnt 0x0
	ds_store_b128 v123, v[14:17]
.LBB86_82:                              ;   in Loop: Header=BB86_3 Depth=1
	s_or_b32 exec_lo, exec_lo, s17
	s_wait_dscnt 0x0
	s_barrier_signal -1
	s_barrier_wait -1
	s_and_saveexec_b32 s33, s27
	s_cbranch_execz .LBB86_84
; %bb.83:                               ;   in Loop: Header=BB86_3 Depth=1
	s_mov_b32 s36, s35
	s_mov_b32 s38, s35
	s_mov_b32 s39, s35
	v_mov_b64_e32 v[14:15], s[36:37]
	v_mov_b64_e32 v[16:17], s[38:39]
	ds_store_b128 v3, v[14:17] offset:12672
	ds_store_b128 v3, v[14:17] offset:13200
	ds_load_b128 v[14:17], v3 offset:13184
	s_wait_dscnt 0x0
	ds_store_b128 v3, v[14:17] offset:12688
.LBB86_84:                              ;   in Loop: Header=BB86_3 Depth=1
	s_or_b32 exec_lo, exec_lo, s33
	v_mov_b64_e32 v[16:17], 0
	v_mov_b64_e32 v[14:15], 0
	s_wait_dscnt 0x0
	s_barrier_signal -1
	s_barrier_wait -1
	global_wb scope:SCOPE_DEV
	s_wait_storecnt 0x0
	global_inv scope:SCOPE_DEV
	s_and_saveexec_b32 s33, s5
	s_cbranch_execz .LBB86_94
; %bb.85:                               ;   in Loop: Header=BB86_3 Depth=1
	ds_load_b128 v[14:17], v49 offset:16256
	ds_load_b128 v[200:203], v182 offset:12544
	s_wait_dscnt 0x0
	v_mul_f64_e32 v[4:5], v[16:17], v[202:203]
	v_mul_f64_e32 v[20:21], v[14:15], v[202:203]
	s_delay_alu instid0(VALU_DEP_2) | instskip(NEXT) | instid1(VALU_DEP_2)
	v_fma_f64 v[4:5], v[14:15], v[200:201], -v[4:5]
	v_fmac_f64_e32 v[20:21], v[16:17], v[200:201]
	s_delay_alu instid0(VALU_DEP_2) | instskip(NEXT) | instid1(VALU_DEP_2)
	v_add_f64_e32 v[14:15], 0, v[4:5]
	v_add_f64_e32 v[16:17], 0, v[20:21]
	s_and_saveexec_b32 s17, s11
	s_cbranch_execnz .LBB86_520
; %bb.86:                               ;   in Loop: Header=BB86_3 Depth=1
	s_or_b32 exec_lo, exec_lo, s17
	s_and_saveexec_b32 s17, s12
	s_cbranch_execnz .LBB86_521
.LBB86_87:                              ;   in Loop: Header=BB86_3 Depth=1
	s_or_b32 exec_lo, exec_lo, s17
	s_and_saveexec_b32 s17, s13
	s_cbranch_execnz .LBB86_522
.LBB86_88:                              ;   in Loop: Header=BB86_3 Depth=1
	s_or_b32 exec_lo, exec_lo, s17
	s_and_saveexec_b32 s17, s14
	s_cbranch_execnz .LBB86_523
.LBB86_89:                              ;   in Loop: Header=BB86_3 Depth=1
	s_or_b32 exec_lo, exec_lo, s17
	s_and_saveexec_b32 s17, s15
	s_cbranch_execnz .LBB86_524
.LBB86_90:                              ;   in Loop: Header=BB86_3 Depth=1
	s_or_b32 exec_lo, exec_lo, s17
	s_and_saveexec_b32 s17, s4
	s_cbranch_execnz .LBB86_525
.LBB86_91:                              ;   in Loop: Header=BB86_3 Depth=1
	s_or_b32 exec_lo, exec_lo, s17
	s_and_saveexec_b32 s17, s10
	s_cbranch_execz .LBB86_93
.LBB86_92:                              ;   in Loop: Header=BB86_3 Depth=1
	ds_load_b128 v[200:203], v3 offset:16368
	ds_load_b128 v[204:207], v27 offset:16128
	s_wait_dscnt 0x0
	v_mul_f64_e32 v[4:5], v[202:203], v[206:207]
	v_mul_f64_e32 v[20:21], v[200:201], v[206:207]
	s_delay_alu instid0(VALU_DEP_2) | instskip(NEXT) | instid1(VALU_DEP_2)
	v_fma_f64 v[4:5], v[200:201], v[204:205], -v[4:5]
	v_fmac_f64_e32 v[20:21], v[202:203], v[204:205]
	s_delay_alu instid0(VALU_DEP_2) | instskip(NEXT) | instid1(VALU_DEP_2)
	v_add_f64_e32 v[14:15], v[14:15], v[4:5]
	v_add_f64_e32 v[16:17], v[16:17], v[20:21]
.LBB86_93:                              ;   in Loop: Header=BB86_3 Depth=1
	s_or_b32 exec_lo, exec_lo, s17
.LBB86_94:                              ;   in Loop: Header=BB86_3 Depth=1
	s_delay_alu instid0(SALU_CYCLE_1)
	s_or_b32 exec_lo, exec_lo, s33
	s_and_saveexec_b32 s17, s76
	s_cbranch_execz .LBB86_96
; %bb.95:                               ;   in Loop: Header=BB86_3 Depth=1
	s_delay_alu instid0(VALU_DEP_2) | instskip(NEXT) | instid1(VALU_DEP_2)
	v_xor_b32_e32 v201, 0x80000000, v15
	v_xor_b32_e32 v203, 0x80000000, v17
	s_delay_alu instid0(VALU_DEP_3)
	v_dual_mov_b32 v200, v14 :: v_dual_mov_b32 v202, v16
	ds_store_b128 v186, v[200:203]
.LBB86_96:                              ;   in Loop: Header=BB86_3 Depth=1
	s_or_b32 exec_lo, exec_lo, s17
	s_wait_loadcnt_dscnt 0x0
	s_barrier_signal -1
	s_barrier_wait -1
	s_and_saveexec_b32 s17, s77
	s_cbranch_execz .LBB86_98
; %bb.97:                               ;   in Loop: Header=BB86_3 Depth=1
	ds_load_b128 v[200:203], v186
	ds_load_b128 v[204:207], v182 offset:12032
	s_wait_dscnt 0x0
	v_mul_f64_e32 v[4:5], v[202:203], v[206:207]
	v_mul_f64_e32 v[20:21], v[200:201], v[206:207]
	s_delay_alu instid0(VALU_DEP_2) | instskip(NEXT) | instid1(VALU_DEP_2)
	v_fma_f64 v[4:5], v[200:201], v[204:205], -v[4:5]
	v_fmac_f64_e32 v[20:21], v[202:203], v[204:205]
	s_delay_alu instid0(VALU_DEP_2) | instskip(NEXT) | instid1(VALU_DEP_2)
	v_add_f64_e64 v[14:15], v[14:15], -v[4:5]
	v_add_f64_e64 v[16:17], v[16:17], -v[20:21]
.LBB86_98:                              ;   in Loop: Header=BB86_3 Depth=1
	s_or_b32 exec_lo, exec_lo, s17
	s_barrier_signal -1
	s_barrier_wait -1
	s_and_saveexec_b32 s17, s78
	s_cbranch_execz .LBB86_100
; %bb.99:                               ;   in Loop: Header=BB86_3 Depth=1
	s_delay_alu instid0(VALU_DEP_2) | instskip(NEXT) | instid1(VALU_DEP_2)
	v_xor_b32_e32 v201, 0x80000000, v15
	v_xor_b32_e32 v203, 0x80000000, v17
	s_delay_alu instid0(VALU_DEP_3)
	v_dual_mov_b32 v200, v14 :: v_dual_mov_b32 v202, v16
	ds_store_b128 v186, v[200:203]
.LBB86_100:                             ;   in Loop: Header=BB86_3 Depth=1
	s_or_b32 exec_lo, exec_lo, s17
	s_wait_dscnt 0x0
	s_barrier_signal -1
	s_barrier_wait -1
	s_and_saveexec_b32 s17, s79
	s_cbranch_execz .LBB86_102
; %bb.101:                              ;   in Loop: Header=BB86_3 Depth=1
	ds_load_b128 v[200:203], v186
	ds_load_b128 v[204:207], v182 offset:11520
	s_wait_dscnt 0x0
	v_mul_f64_e32 v[4:5], v[202:203], v[206:207]
	v_mul_f64_e32 v[20:21], v[200:201], v[206:207]
	s_delay_alu instid0(VALU_DEP_2) | instskip(NEXT) | instid1(VALU_DEP_2)
	v_fma_f64 v[4:5], v[200:201], v[204:205], -v[4:5]
	v_fmac_f64_e32 v[20:21], v[202:203], v[204:205]
	s_delay_alu instid0(VALU_DEP_2) | instskip(NEXT) | instid1(VALU_DEP_2)
	v_add_f64_e64 v[14:15], v[14:15], -v[4:5]
	v_add_f64_e64 v[16:17], v[16:17], -v[20:21]
.LBB86_102:                             ;   in Loop: Header=BB86_3 Depth=1
	s_or_b32 exec_lo, exec_lo, s17
	s_barrier_signal -1
	s_barrier_wait -1
	s_and_saveexec_b32 s17, s80
	s_cbranch_execz .LBB86_104
; %bb.103:                              ;   in Loop: Header=BB86_3 Depth=1
	s_delay_alu instid0(VALU_DEP_2) | instskip(NEXT) | instid1(VALU_DEP_2)
	v_xor_b32_e32 v201, 0x80000000, v15
	v_xor_b32_e32 v203, 0x80000000, v17
	s_delay_alu instid0(VALU_DEP_3)
	v_dual_mov_b32 v200, v14 :: v_dual_mov_b32 v202, v16
	ds_store_b128 v186, v[200:203]
.LBB86_104:                             ;   in Loop: Header=BB86_3 Depth=1
	s_or_b32 exec_lo, exec_lo, s17
	s_wait_dscnt 0x0
	s_barrier_signal -1
	s_barrier_wait -1
	s_and_saveexec_b32 s17, s81
	s_cbranch_execz .LBB86_106
; %bb.105:                              ;   in Loop: Header=BB86_3 Depth=1
	ds_load_b128 v[200:203], v186
	ds_load_b128 v[204:207], v182 offset:11008
	s_wait_dscnt 0x0
	v_mul_f64_e32 v[4:5], v[202:203], v[206:207]
	v_mul_f64_e32 v[20:21], v[200:201], v[206:207]
	s_delay_alu instid0(VALU_DEP_2) | instskip(NEXT) | instid1(VALU_DEP_2)
	v_fma_f64 v[4:5], v[200:201], v[204:205], -v[4:5]
	v_fmac_f64_e32 v[20:21], v[202:203], v[204:205]
	s_delay_alu instid0(VALU_DEP_2) | instskip(NEXT) | instid1(VALU_DEP_2)
	v_add_f64_e64 v[14:15], v[14:15], -v[4:5]
	v_add_f64_e64 v[16:17], v[16:17], -v[20:21]
.LBB86_106:                             ;   in Loop: Header=BB86_3 Depth=1
	s_or_b32 exec_lo, exec_lo, s17
	s_barrier_signal -1
	s_barrier_wait -1
	s_and_saveexec_b32 s17, s82
	s_cbranch_execz .LBB86_108
; %bb.107:                              ;   in Loop: Header=BB86_3 Depth=1
	s_delay_alu instid0(VALU_DEP_2) | instskip(NEXT) | instid1(VALU_DEP_2)
	v_xor_b32_e32 v201, 0x80000000, v15
	v_xor_b32_e32 v203, 0x80000000, v17
	s_delay_alu instid0(VALU_DEP_3)
	v_dual_mov_b32 v200, v14 :: v_dual_mov_b32 v202, v16
	ds_store_b128 v186, v[200:203]
.LBB86_108:                             ;   in Loop: Header=BB86_3 Depth=1
	;; [unrolled: 32-line block ×6, first 2 shown]
	s_or_b32 exec_lo, exec_lo, s17
	s_wait_dscnt 0x0
	s_barrier_signal -1
	s_barrier_wait -1
	s_barrier_signal -1
	s_barrier_wait -1
	s_and_saveexec_b32 s17, s5
; %bb.125:                              ;   in Loop: Header=BB86_3 Depth=1
	ds_store_b128 v187, v[14:17] offset:16128
; %bb.126:                              ;   in Loop: Header=BB86_3 Depth=1
	s_or_b32 exec_lo, exec_lo, s17
	s_wait_dscnt 0x0
	s_barrier_signal -1
	s_barrier_wait -1
	s_barrier_signal -1
	s_barrier_wait -1
	s_and_saveexec_b32 s17, s90
	s_cbranch_execz .LBB86_128
; %bb.127:                              ;   in Loop: Header=BB86_3 Depth=1
	ds_load_b128 v[14:17], v50
	s_wait_dscnt 0x0
	ds_store_b128 v124, v[14:17]
	ds_load_b128 v[14:17], v51
	s_wait_dscnt 0x0
	ds_store_b128 v125, v[14:17]
	;; [unrolled: 3-line block ×8, first 2 shown]
.LBB86_128:                             ;   in Loop: Header=BB86_3 Depth=1
	s_or_b32 exec_lo, exec_lo, s17
	s_wait_dscnt 0x0
	s_barrier_signal -1
	s_barrier_wait -1
	s_and_saveexec_b32 s33, s27
	s_cbranch_execz .LBB86_130
; %bb.129:                              ;   in Loop: Header=BB86_3 Depth=1
	s_mov_b32 s36, s35
	s_mov_b32 s38, s35
	;; [unrolled: 1-line block ×3, first 2 shown]
	v_mov_b64_e32 v[14:15], s[36:37]
	v_mov_b64_e32 v[16:17], s[38:39]
	ds_store_b128 v3, v[14:17] offset:11616
	ds_store_b128 v3, v[14:17] offset:12144
	ds_load_b128 v[14:17], v3 offset:12128
	s_wait_dscnt 0x0
	ds_store_b128 v3, v[14:17] offset:11632
.LBB86_130:                             ;   in Loop: Header=BB86_3 Depth=1
	s_or_b32 exec_lo, exec_lo, s33
	v_mov_b64_e32 v[14:15], 0
	v_mov_b64_e32 v[16:17], 0
	s_wait_dscnt 0x0
	s_barrier_signal -1
	s_barrier_wait -1
	global_wb scope:SCOPE_DEV
	s_wait_storecnt 0x0
	global_inv scope:SCOPE_DEV
	s_and_saveexec_b32 s33, s2
	s_cbranch_execz .LBB86_134
; %bb.131:                              ;   in Loop: Header=BB86_3 Depth=1
	ds_load_b128 v[14:17], v44 offset:12128
	ds_load_b128 v[200:203], v178 offset:11584
	s_wait_dscnt 0x0
	v_mul_f64_e32 v[4:5], v[16:17], v[202:203]
	v_mul_f64_e32 v[20:21], v[14:15], v[202:203]
	s_delay_alu instid0(VALU_DEP_2) | instskip(NEXT) | instid1(VALU_DEP_2)
	v_fma_f64 v[4:5], v[14:15], v[200:201], -v[4:5]
	v_fmac_f64_e32 v[20:21], v[16:17], v[200:201]
	s_delay_alu instid0(VALU_DEP_2) | instskip(NEXT) | instid1(VALU_DEP_2)
	v_add_f64_e32 v[14:15], 0, v[4:5]
	v_add_f64_e32 v[16:17], 0, v[20:21]
	s_and_saveexec_b32 s17, s8
	s_cbranch_execz .LBB86_133
; %bb.132:                              ;   in Loop: Header=BB86_3 Depth=1
	ds_load_b128 v[200:203], v3 offset:12144
	ds_load_b128 v[204:207], v47 offset:12096
	s_wait_dscnt 0x0
	v_mul_f64_e32 v[4:5], v[202:203], v[206:207]
	v_mul_f64_e32 v[20:21], v[200:201], v[206:207]
	s_delay_alu instid0(VALU_DEP_2) | instskip(NEXT) | instid1(VALU_DEP_2)
	v_fma_f64 v[4:5], v[200:201], v[204:205], -v[4:5]
	v_fmac_f64_e32 v[20:21], v[202:203], v[204:205]
	s_delay_alu instid0(VALU_DEP_2) | instskip(NEXT) | instid1(VALU_DEP_2)
	v_add_f64_e32 v[14:15], v[14:15], v[4:5]
	v_add_f64_e32 v[16:17], v[16:17], v[20:21]
.LBB86_133:                             ;   in Loop: Header=BB86_3 Depth=1
	s_or_b32 exec_lo, exec_lo, s17
.LBB86_134:                             ;   in Loop: Header=BB86_3 Depth=1
	s_delay_alu instid0(SALU_CYCLE_1)
	s_or_b32 exec_lo, exec_lo, s33
	s_and_saveexec_b32 s17, s66
	s_cbranch_execz .LBB86_136
; %bb.135:                              ;   in Loop: Header=BB86_3 Depth=1
	s_delay_alu instid0(VALU_DEP_2) | instskip(NEXT) | instid1(VALU_DEP_2)
	v_xor_b32_e32 v201, 0x80000000, v15
	v_xor_b32_e32 v203, 0x80000000, v17
	s_delay_alu instid0(VALU_DEP_3)
	v_dual_mov_b32 v200, v14 :: v_dual_mov_b32 v202, v16
	ds_store_b128 v179, v[200:203]
.LBB86_136:                             ;   in Loop: Header=BB86_3 Depth=1
	s_or_b32 exec_lo, exec_lo, s17
	s_wait_loadcnt_dscnt 0x0
	s_barrier_signal -1
	s_barrier_wait -1
	s_and_saveexec_b32 s17, s67
	s_cbranch_execz .LBB86_138
; %bb.137:                              ;   in Loop: Header=BB86_3 Depth=1
	ds_load_b128 v[200:203], v179
	ds_load_b128 v[204:207], v3 offset:11072
	s_wait_dscnt 0x0
	v_mul_f64_e32 v[4:5], v[200:201], v[204:205]
	v_mul_f64_e32 v[20:21], v[200:201], v[206:207]
	s_delay_alu instid0(VALU_DEP_2) | instskip(NEXT) | instid1(VALU_DEP_2)
	v_fma_f64 v[4:5], v[202:203], v[206:207], -v[4:5]
	v_fmac_f64_e32 v[20:21], v[202:203], v[204:205]
	s_delay_alu instid0(VALU_DEP_2) | instskip(NEXT) | instid1(VALU_DEP_2)
	v_add_f64_e32 v[14:15], v[14:15], v[4:5]
	v_add_f64_e64 v[16:17], v[16:17], -v[20:21]
.LBB86_138:                             ;   in Loop: Header=BB86_3 Depth=1
	s_or_b32 exec_lo, exec_lo, s17
	s_barrier_signal -1
	s_barrier_wait -1
	s_and_saveexec_b32 s17, s67
	s_cbranch_execz .LBB86_140
; %bb.139:                              ;   in Loop: Header=BB86_3 Depth=1
	s_delay_alu instid0(VALU_DEP_2) | instskip(NEXT) | instid1(VALU_DEP_2)
	v_xor_b32_e32 v201, 0x80000000, v15
	v_xor_b32_e32 v203, 0x80000000, v17
	s_delay_alu instid0(VALU_DEP_3)
	v_dual_mov_b32 v200, v14 :: v_dual_mov_b32 v202, v16
	ds_store_b128 v179, v[200:203]
.LBB86_140:                             ;   in Loop: Header=BB86_3 Depth=1
	s_or_b32 exec_lo, exec_lo, s17
	s_wait_dscnt 0x0
	s_barrier_signal -1
	s_barrier_wait -1
	s_barrier_signal -1
	s_barrier_wait -1
	s_and_saveexec_b32 s17, s2
; %bb.141:                              ;   in Loop: Header=BB86_3 Depth=1
	ds_store_b128 v181, v[14:17] offset:12096
; %bb.142:                              ;   in Loop: Header=BB86_3 Depth=1
	s_or_b32 exec_lo, exec_lo, s17
	s_wait_dscnt 0x0
	s_barrier_signal -1
	s_barrier_wait -1
	s_barrier_signal -1
	s_barrier_wait -1
	s_and_saveexec_b32 s17, s68
	s_cbranch_execz .LBB86_144
; %bb.143:                              ;   in Loop: Header=BB86_3 Depth=1
	ds_load_b128 v[14:17], v89
	s_wait_dscnt 0x0
	ds_store_b128 v132, v[14:17]
	ds_load_b128 v[14:17], v90
	s_wait_dscnt 0x0
	ds_store_b128 v133, v[14:17]
.LBB86_144:                             ;   in Loop: Header=BB86_3 Depth=1
	s_or_b32 exec_lo, exec_lo, s17
	s_wait_dscnt 0x0
	s_barrier_signal -1
	s_barrier_wait -1
	s_and_saveexec_b32 s33, s27
	s_cbranch_execz .LBB86_146
; %bb.145:                              ;   in Loop: Header=BB86_3 Depth=1
	s_mov_b32 s36, s35
	s_mov_b32 s38, s35
	;; [unrolled: 1-line block ×3, first 2 shown]
	v_mov_b64_e32 v[14:15], s[36:37]
	v_mov_b64_e32 v[16:17], s[38:39]
	ds_store_b128 v3, v[14:17] offset:10560
	ds_store_b128 v3, v[14:17] offset:11088
	ds_load_b128 v[14:17], v3 offset:11072
	s_wait_dscnt 0x0
	ds_store_b128 v3, v[14:17] offset:10576
.LBB86_146:                             ;   in Loop: Header=BB86_3 Depth=1
	s_or_b32 exec_lo, exec_lo, s33
	v_mov_b64_e32 v[16:17], 0
	v_mov_b64_e32 v[14:15], 0
	s_wait_dscnt 0x0
	s_barrier_signal -1
	s_barrier_wait -1
	global_wb scope:SCOPE_DEV
	s_wait_storecnt 0x0
	global_inv scope:SCOPE_DEV
	s_and_saveexec_b32 s33, s4
	s_cbranch_execz .LBB86_152
; %bb.147:                              ;   in Loop: Header=BB86_3 Depth=1
	ds_load_b128 v[14:17], v48 offset:12096
	ds_load_b128 v[200:203], v180 offset:10496
	s_wait_dscnt 0x0
	v_mul_f64_e32 v[4:5], v[16:17], v[202:203]
	v_mul_f64_e32 v[20:21], v[14:15], v[202:203]
	s_delay_alu instid0(VALU_DEP_2) | instskip(NEXT) | instid1(VALU_DEP_2)
	v_fma_f64 v[4:5], v[14:15], v[200:201], -v[4:5]
	v_fmac_f64_e32 v[20:21], v[16:17], v[200:201]
	s_delay_alu instid0(VALU_DEP_2) | instskip(NEXT) | instid1(VALU_DEP_2)
	v_add_f64_e32 v[14:15], 0, v[4:5]
	v_add_f64_e32 v[16:17], 0, v[20:21]
	s_and_saveexec_b32 s17, s9
	s_cbranch_execnz .LBB86_526
; %bb.148:                              ;   in Loop: Header=BB86_3 Depth=1
	s_or_b32 exec_lo, exec_lo, s17
	s_and_saveexec_b32 s17, s10
	s_cbranch_execnz .LBB86_527
.LBB86_149:                             ;   in Loop: Header=BB86_3 Depth=1
	s_or_b32 exec_lo, exec_lo, s17
	s_and_saveexec_b32 s17, s2
	s_cbranch_execz .LBB86_151
.LBB86_150:                             ;   in Loop: Header=BB86_3 Depth=1
	ds_load_b128 v[200:203], v3 offset:12144
	ds_load_b128 v[204:207], v87 offset:12032
	s_wait_dscnt 0x0
	v_mul_f64_e32 v[4:5], v[202:203], v[206:207]
	v_mul_f64_e32 v[20:21], v[200:201], v[206:207]
	s_delay_alu instid0(VALU_DEP_2) | instskip(NEXT) | instid1(VALU_DEP_2)
	v_fma_f64 v[4:5], v[200:201], v[204:205], -v[4:5]
	v_fmac_f64_e32 v[20:21], v[202:203], v[204:205]
	s_delay_alu instid0(VALU_DEP_2) | instskip(NEXT) | instid1(VALU_DEP_2)
	v_add_f64_e32 v[14:15], v[14:15], v[4:5]
	v_add_f64_e32 v[16:17], v[16:17], v[20:21]
.LBB86_151:                             ;   in Loop: Header=BB86_3 Depth=1
	s_or_b32 exec_lo, exec_lo, s17
.LBB86_152:                             ;   in Loop: Header=BB86_3 Depth=1
	s_delay_alu instid0(SALU_CYCLE_1)
	s_or_b32 exec_lo, exec_lo, s33
	s_and_saveexec_b32 s17, s69
	s_cbranch_execz .LBB86_154
; %bb.153:                              ;   in Loop: Header=BB86_3 Depth=1
	s_delay_alu instid0(VALU_DEP_1) | instskip(NEXT) | instid1(VALU_DEP_3)
	v_xor_b32_e32 v203, 0x80000000, v17
	v_xor_b32_e32 v201, 0x80000000, v15
	s_delay_alu instid0(VALU_DEP_3)
	v_dual_mov_b32 v200, v14 :: v_dual_mov_b32 v202, v16
	ds_store_b128 v183, v[200:203]
.LBB86_154:                             ;   in Loop: Header=BB86_3 Depth=1
	s_or_b32 exec_lo, exec_lo, s17
	s_wait_loadcnt_dscnt 0x0
	s_barrier_signal -1
	s_barrier_wait -1
	s_and_saveexec_b32 s17, s70
	s_cbranch_execz .LBB86_156
; %bb.155:                              ;   in Loop: Header=BB86_3 Depth=1
	ds_load_b128 v[200:203], v183
	ds_load_b128 v[204:207], v180 offset:9984
	s_wait_dscnt 0x0
	v_mul_f64_e32 v[4:5], v[202:203], v[206:207]
	v_mul_f64_e32 v[20:21], v[200:201], v[206:207]
	s_delay_alu instid0(VALU_DEP_2) | instskip(NEXT) | instid1(VALU_DEP_2)
	v_fma_f64 v[4:5], v[200:201], v[204:205], -v[4:5]
	v_fmac_f64_e32 v[20:21], v[202:203], v[204:205]
	s_delay_alu instid0(VALU_DEP_2) | instskip(NEXT) | instid1(VALU_DEP_2)
	v_add_f64_e64 v[14:15], v[14:15], -v[4:5]
	v_add_f64_e64 v[16:17], v[16:17], -v[20:21]
.LBB86_156:                             ;   in Loop: Header=BB86_3 Depth=1
	s_or_b32 exec_lo, exec_lo, s17
	s_barrier_signal -1
	s_barrier_wait -1
	s_and_saveexec_b32 s17, s71
	s_cbranch_execz .LBB86_158
; %bb.157:                              ;   in Loop: Header=BB86_3 Depth=1
	s_delay_alu instid0(VALU_DEP_1) | instskip(NEXT) | instid1(VALU_DEP_3)
	v_xor_b32_e32 v203, 0x80000000, v17
	v_xor_b32_e32 v201, 0x80000000, v15
	s_delay_alu instid0(VALU_DEP_3)
	v_dual_mov_b32 v200, v14 :: v_dual_mov_b32 v202, v16
	ds_store_b128 v183, v[200:203]
.LBB86_158:                             ;   in Loop: Header=BB86_3 Depth=1
	s_or_b32 exec_lo, exec_lo, s17
	s_wait_dscnt 0x0
	s_barrier_signal -1
	s_barrier_wait -1
	s_and_saveexec_b32 s17, s72
	s_cbranch_execz .LBB86_160
; %bb.159:                              ;   in Loop: Header=BB86_3 Depth=1
	ds_load_b128 v[200:203], v183
	ds_load_b128 v[204:207], v180 offset:9472
	s_wait_dscnt 0x0
	v_mul_f64_e32 v[4:5], v[202:203], v[206:207]
	v_mul_f64_e32 v[20:21], v[200:201], v[206:207]
	s_delay_alu instid0(VALU_DEP_2) | instskip(NEXT) | instid1(VALU_DEP_2)
	v_fma_f64 v[4:5], v[200:201], v[204:205], -v[4:5]
	v_fmac_f64_e32 v[20:21], v[202:203], v[204:205]
	s_delay_alu instid0(VALU_DEP_2) | instskip(NEXT) | instid1(VALU_DEP_2)
	v_add_f64_e64 v[14:15], v[14:15], -v[4:5]
	v_add_f64_e64 v[16:17], v[16:17], -v[20:21]
.LBB86_160:                             ;   in Loop: Header=BB86_3 Depth=1
	s_or_b32 exec_lo, exec_lo, s17
	s_barrier_signal -1
	s_barrier_wait -1
	s_and_saveexec_b32 s17, s73
	s_cbranch_execz .LBB86_162
; %bb.161:                              ;   in Loop: Header=BB86_3 Depth=1
	s_delay_alu instid0(VALU_DEP_1) | instskip(NEXT) | instid1(VALU_DEP_3)
	v_xor_b32_e32 v203, 0x80000000, v17
	v_xor_b32_e32 v201, 0x80000000, v15
	s_delay_alu instid0(VALU_DEP_3)
	v_dual_mov_b32 v200, v14 :: v_dual_mov_b32 v202, v16
	ds_store_b128 v183, v[200:203]
.LBB86_162:                             ;   in Loop: Header=BB86_3 Depth=1
	s_or_b32 exec_lo, exec_lo, s17
	s_wait_dscnt 0x0
	;; [unrolled: 32-line block ×3, first 2 shown]
	s_barrier_signal -1
	s_barrier_wait -1
	s_barrier_signal -1
	s_barrier_wait -1
	s_and_saveexec_b32 s17, s4
; %bb.167:                              ;   in Loop: Header=BB86_3 Depth=1
	ds_store_b128 v185, v[14:17] offset:12032
; %bb.168:                              ;   in Loop: Header=BB86_3 Depth=1
	s_or_b32 exec_lo, exec_lo, s17
	s_wait_dscnt 0x0
	s_barrier_signal -1
	s_barrier_wait -1
	s_barrier_signal -1
	s_barrier_wait -1
	s_and_saveexec_b32 s17, s75
	s_cbranch_execz .LBB86_170
; %bb.169:                              ;   in Loop: Header=BB86_3 Depth=1
	ds_load_b128 v[14:17], v99
	s_wait_dscnt 0x0
	ds_store_b128 v134, v[14:17]
	ds_load_b128 v[14:17], v102
	s_wait_dscnt 0x0
	ds_store_b128 v137, v[14:17]
	;; [unrolled: 3-line block ×4, first 2 shown]
.LBB86_170:                             ;   in Loop: Header=BB86_3 Depth=1
	s_or_b32 exec_lo, exec_lo, s17
	s_wait_dscnt 0x0
	s_barrier_signal -1
	s_barrier_wait -1
	s_and_saveexec_b32 s33, s27
	s_cbranch_execz .LBB86_172
; %bb.171:                              ;   in Loop: Header=BB86_3 Depth=1
	s_mov_b32 s36, s35
	s_mov_b32 s38, s35
	;; [unrolled: 1-line block ×3, first 2 shown]
	v_mov_b64_e32 v[14:15], s[36:37]
	v_mov_b64_e32 v[16:17], s[38:39]
	ds_store_b128 v3, v[14:17] offset:9504
	ds_store_b128 v3, v[14:17] offset:10032
	ds_load_b128 v[14:17], v3 offset:10016
	s_wait_dscnt 0x0
	ds_store_b128 v3, v[14:17] offset:9520
.LBB86_172:                             ;   in Loop: Header=BB86_3 Depth=1
	s_or_b32 exec_lo, exec_lo, s33
	v_mov_b64_e32 v[14:15], 0
	v_mov_b64_e32 v[16:17], 0
	s_wait_dscnt 0x0
	s_barrier_signal -1
	s_barrier_wait -1
	global_wb scope:SCOPE_DEV
	s_wait_storecnt 0x0
	global_inv scope:SCOPE_DEV
	s_and_saveexec_b32 s33, s2
	s_cbranch_execz .LBB86_176
; %bb.173:                              ;   in Loop: Header=BB86_3 Depth=1
	ds_load_b128 v[14:17], v44 offset:10016
	ds_load_b128 v[200:203], v178 offset:9472
	s_wait_dscnt 0x0
	v_mul_f64_e32 v[4:5], v[16:17], v[202:203]
	v_mul_f64_e32 v[20:21], v[14:15], v[202:203]
	s_delay_alu instid0(VALU_DEP_2) | instskip(NEXT) | instid1(VALU_DEP_2)
	v_fma_f64 v[4:5], v[14:15], v[200:201], -v[4:5]
	v_fmac_f64_e32 v[20:21], v[16:17], v[200:201]
	s_delay_alu instid0(VALU_DEP_2) | instskip(NEXT) | instid1(VALU_DEP_2)
	v_add_f64_e32 v[14:15], 0, v[4:5]
	v_add_f64_e32 v[16:17], 0, v[20:21]
	s_and_saveexec_b32 s17, s8
	s_cbranch_execz .LBB86_175
; %bb.174:                              ;   in Loop: Header=BB86_3 Depth=1
	ds_load_b128 v[200:203], v3 offset:10032
	ds_load_b128 v[204:207], v98 offset:9984
	s_wait_dscnt 0x0
	v_mul_f64_e32 v[4:5], v[202:203], v[206:207]
	v_mul_f64_e32 v[20:21], v[200:201], v[206:207]
	s_delay_alu instid0(VALU_DEP_2) | instskip(NEXT) | instid1(VALU_DEP_2)
	v_fma_f64 v[4:5], v[200:201], v[204:205], -v[4:5]
	v_fmac_f64_e32 v[20:21], v[202:203], v[204:205]
	s_delay_alu instid0(VALU_DEP_2) | instskip(NEXT) | instid1(VALU_DEP_2)
	v_add_f64_e32 v[14:15], v[14:15], v[4:5]
	v_add_f64_e32 v[16:17], v[16:17], v[20:21]
.LBB86_175:                             ;   in Loop: Header=BB86_3 Depth=1
	s_or_b32 exec_lo, exec_lo, s17
.LBB86_176:                             ;   in Loop: Header=BB86_3 Depth=1
	s_delay_alu instid0(SALU_CYCLE_1)
	s_or_b32 exec_lo, exec_lo, s33
	s_and_saveexec_b32 s17, s66
	s_cbranch_execz .LBB86_178
; %bb.177:                              ;   in Loop: Header=BB86_3 Depth=1
	s_delay_alu instid0(VALU_DEP_2) | instskip(NEXT) | instid1(VALU_DEP_2)
	v_xor_b32_e32 v201, 0x80000000, v15
	v_xor_b32_e32 v203, 0x80000000, v17
	s_delay_alu instid0(VALU_DEP_3)
	v_dual_mov_b32 v200, v14 :: v_dual_mov_b32 v202, v16
	ds_store_b128 v179, v[200:203]
.LBB86_178:                             ;   in Loop: Header=BB86_3 Depth=1
	s_or_b32 exec_lo, exec_lo, s17
	s_wait_loadcnt_dscnt 0x0
	s_barrier_signal -1
	s_barrier_wait -1
	s_and_saveexec_b32 s17, s67
	s_cbranch_execz .LBB86_180
; %bb.179:                              ;   in Loop: Header=BB86_3 Depth=1
	ds_load_b128 v[200:203], v179
	ds_load_b128 v[204:207], v3 offset:8960
	s_wait_dscnt 0x0
	v_mul_f64_e32 v[4:5], v[200:201], v[204:205]
	v_mul_f64_e32 v[20:21], v[200:201], v[206:207]
	s_delay_alu instid0(VALU_DEP_2) | instskip(NEXT) | instid1(VALU_DEP_2)
	v_fma_f64 v[4:5], v[202:203], v[206:207], -v[4:5]
	v_fmac_f64_e32 v[20:21], v[202:203], v[204:205]
	s_delay_alu instid0(VALU_DEP_2) | instskip(NEXT) | instid1(VALU_DEP_2)
	v_add_f64_e32 v[14:15], v[14:15], v[4:5]
	v_add_f64_e64 v[16:17], v[16:17], -v[20:21]
.LBB86_180:                             ;   in Loop: Header=BB86_3 Depth=1
	s_or_b32 exec_lo, exec_lo, s17
	s_barrier_signal -1
	s_barrier_wait -1
	s_and_saveexec_b32 s17, s67
	s_cbranch_execz .LBB86_182
; %bb.181:                              ;   in Loop: Header=BB86_3 Depth=1
	s_delay_alu instid0(VALU_DEP_2) | instskip(NEXT) | instid1(VALU_DEP_2)
	v_xor_b32_e32 v201, 0x80000000, v15
	v_xor_b32_e32 v203, 0x80000000, v17
	s_delay_alu instid0(VALU_DEP_3)
	v_dual_mov_b32 v200, v14 :: v_dual_mov_b32 v202, v16
	ds_store_b128 v179, v[200:203]
.LBB86_182:                             ;   in Loop: Header=BB86_3 Depth=1
	s_or_b32 exec_lo, exec_lo, s17
	s_wait_dscnt 0x0
	s_barrier_signal -1
	s_barrier_wait -1
	s_barrier_signal -1
	s_barrier_wait -1
	s_and_saveexec_b32 s17, s2
; %bb.183:                              ;   in Loop: Header=BB86_3 Depth=1
	ds_store_b128 v181, v[14:17] offset:9984
; %bb.184:                              ;   in Loop: Header=BB86_3 Depth=1
	s_or_b32 exec_lo, exec_lo, s17
	s_wait_dscnt 0x0
	s_barrier_signal -1
	s_barrier_wait -1
	s_barrier_signal -1
	s_barrier_wait -1
	s_and_saveexec_b32 s17, s68
	s_cbranch_execz .LBB86_186
; %bb.185:                              ;   in Loop: Header=BB86_3 Depth=1
	ds_load_b128 v[14:17], v108
	s_wait_dscnt 0x0
	ds_store_b128 v112, v[14:17]
	ds_load_b128 v[14:17], v109
	s_wait_dscnt 0x0
	ds_store_b128 v113, v[14:17]
.LBB86_186:                             ;   in Loop: Header=BB86_3 Depth=1
	s_or_b32 exec_lo, exec_lo, s17
	s_wait_dscnt 0x0
	s_barrier_signal -1
	s_barrier_wait -1
	s_and_saveexec_b32 s33, s27
	s_cbranch_execz .LBB86_188
; %bb.187:                              ;   in Loop: Header=BB86_3 Depth=1
	s_mov_b32 s36, s35
	s_mov_b32 s38, s35
	;; [unrolled: 1-line block ×3, first 2 shown]
	v_mov_b64_e32 v[14:15], s[36:37]
	v_mov_b64_e32 v[16:17], s[38:39]
	ds_store_b128 v3, v[14:17] offset:8448
	ds_store_b128 v3, v[14:17] offset:8976
	ds_load_b128 v[14:17], v3 offset:8960
	s_wait_dscnt 0x0
	ds_store_b128 v3, v[14:17] offset:8464
.LBB86_188:                             ;   in Loop: Header=BB86_3 Depth=1
	s_or_b32 exec_lo, exec_lo, s33
	v_mov_b64_e32 v[16:17], 0
	v_mov_b64_e32 v[14:15], 0
	s_wait_dscnt 0x0
	s_barrier_signal -1
	s_barrier_wait -1
	global_wb scope:SCOPE_DEV
	s_wait_storecnt 0x0
	global_inv scope:SCOPE_DEV
	s_and_saveexec_b32 s33, s6
	s_cbranch_execz .LBB86_216
; %bb.189:                              ;   in Loop: Header=BB86_3 Depth=1
	ds_load_b128 v[14:17], v58 offset:16128
	ds_load_b128 v[200:203], v184 offset:8192
	v_readlane_b32 s16, v208, 16
	s_wait_dscnt 0x0
	v_mul_f64_e32 v[4:5], v[16:17], v[202:203]
	v_mul_f64_e32 v[20:21], v[14:15], v[202:203]
	s_delay_alu instid0(VALU_DEP_2) | instskip(NEXT) | instid1(VALU_DEP_2)
	v_fma_f64 v[4:5], v[14:15], v[200:201], -v[4:5]
	v_fmac_f64_e32 v[20:21], v[16:17], v[200:201]
	s_delay_alu instid0(VALU_DEP_2) | instskip(NEXT) | instid1(VALU_DEP_2)
	v_add_f64_e32 v[14:15], 0, v[4:5]
	v_add_f64_e32 v[16:17], 0, v[20:21]
	s_and_saveexec_b32 s17, s16
	s_cbranch_execz .LBB86_191
; %bb.190:                              ;   in Loop: Header=BB86_3 Depth=1
	ds_load_b128 v[200:203], v58 offset:16144
	ds_load_b128 v[204:207], v184 offset:8704
	s_wait_dscnt 0x0
	v_mul_f64_e32 v[4:5], v[202:203], v[206:207]
	v_mul_f64_e32 v[20:21], v[200:201], v[206:207]
	s_delay_alu instid0(VALU_DEP_2) | instskip(NEXT) | instid1(VALU_DEP_2)
	v_fma_f64 v[4:5], v[200:201], v[204:205], -v[4:5]
	v_fmac_f64_e32 v[20:21], v[202:203], v[204:205]
	s_delay_alu instid0(VALU_DEP_2) | instskip(NEXT) | instid1(VALU_DEP_2)
	v_add_f64_e32 v[14:15], v[14:15], v[4:5]
	v_add_f64_e32 v[16:17], v[16:17], v[20:21]
.LBB86_191:                             ;   in Loop: Header=BB86_3 Depth=1
	s_or_b32 exec_lo, exec_lo, s17
	v_readlane_b32 s16, v208, 17
	s_and_saveexec_b32 s17, s16
	s_cbranch_execz .LBB86_193
; %bb.192:                              ;   in Loop: Header=BB86_3 Depth=1
	ds_load_b128 v[200:203], v58 offset:16160
	ds_load_b128 v[204:207], v184 offset:9216
	s_wait_dscnt 0x0
	v_mul_f64_e32 v[4:5], v[202:203], v[206:207]
	v_mul_f64_e32 v[20:21], v[200:201], v[206:207]
	s_delay_alu instid0(VALU_DEP_2) | instskip(NEXT) | instid1(VALU_DEP_2)
	v_fma_f64 v[4:5], v[200:201], v[204:205], -v[4:5]
	v_fmac_f64_e32 v[20:21], v[202:203], v[204:205]
	s_delay_alu instid0(VALU_DEP_2) | instskip(NEXT) | instid1(VALU_DEP_2)
	v_add_f64_e32 v[14:15], v[14:15], v[4:5]
	v_add_f64_e32 v[16:17], v[16:17], v[20:21]
.LBB86_193:                             ;   in Loop: Header=BB86_3 Depth=1
	s_or_b32 exec_lo, exec_lo, s17
	v_readlane_b32 s16, v208, 18
	;; [unrolled: 17-line block ×10, first 2 shown]
	s_and_saveexec_b32 s17, s16
	s_cbranch_execnz .LBB86_528
; %bb.210:                              ;   in Loop: Header=BB86_3 Depth=1
	s_or_b32 exec_lo, exec_lo, s17
	s_and_saveexec_b32 s17, s5
	s_cbranch_execnz .LBB86_529
.LBB86_211:                             ;   in Loop: Header=BB86_3 Depth=1
	s_or_b32 exec_lo, exec_lo, s17
	s_and_saveexec_b32 s17, s12
	s_cbranch_execnz .LBB86_530
.LBB86_212:                             ;   in Loop: Header=BB86_3 Depth=1
	s_or_b32 exec_lo, exec_lo, s17
	s_and_saveexec_b32 s17, s14
	s_cbranch_execnz .LBB86_531
.LBB86_213:                             ;   in Loop: Header=BB86_3 Depth=1
	s_or_b32 exec_lo, exec_lo, s17
	s_and_saveexec_b32 s17, s4
	s_cbranch_execz .LBB86_215
.LBB86_214:                             ;   in Loop: Header=BB86_3 Depth=1
	ds_load_b128 v[200:203], v3 offset:16368
	ds_load_b128 v[204:207], v27 offset:15872
	s_wait_dscnt 0x0
	v_mul_f64_e32 v[4:5], v[202:203], v[206:207]
	v_mul_f64_e32 v[20:21], v[200:201], v[206:207]
	s_delay_alu instid0(VALU_DEP_2) | instskip(NEXT) | instid1(VALU_DEP_2)
	v_fma_f64 v[4:5], v[200:201], v[204:205], -v[4:5]
	v_fmac_f64_e32 v[20:21], v[202:203], v[204:205]
	s_delay_alu instid0(VALU_DEP_2) | instskip(NEXT) | instid1(VALU_DEP_2)
	v_add_f64_e32 v[14:15], v[14:15], v[4:5]
	v_add_f64_e32 v[16:17], v[16:17], v[20:21]
.LBB86_215:                             ;   in Loop: Header=BB86_3 Depth=1
	s_or_b32 exec_lo, exec_lo, s17
.LBB86_216:                             ;   in Loop: Header=BB86_3 Depth=1
	s_delay_alu instid0(SALU_CYCLE_1)
	s_or_b32 exec_lo, exec_lo, s33
	v_readlane_b32 s16, v208, 0
	s_and_saveexec_b32 s17, s16
	s_cbranch_execz .LBB86_218
; %bb.217:                              ;   in Loop: Header=BB86_3 Depth=1
	v_xor_b32_e32 v203, 0x80000000, v17
	v_xor_b32_e32 v201, 0x80000000, v15
	v_dual_mov_b32 v200, v14 :: v_dual_mov_b32 v202, v16
	ds_store_b128 v188, v[200:203]
.LBB86_218:                             ;   in Loop: Header=BB86_3 Depth=1
	s_or_b32 exec_lo, exec_lo, s17
	v_readlane_b32 s16, v208, 1
	s_wait_loadcnt_dscnt 0x0
	s_barrier_signal -1
	s_barrier_wait -1
	s_and_saveexec_b32 s17, s16
	s_cbranch_execz .LBB86_220
; %bb.219:                              ;   in Loop: Header=BB86_3 Depth=1
	ds_load_b128 v[200:203], v188
	ds_load_b128 v[204:207], v184 offset:7680
	s_wait_dscnt 0x0
	v_mul_f64_e32 v[4:5], v[202:203], v[206:207]
	v_mul_f64_e32 v[20:21], v[200:201], v[206:207]
	s_delay_alu instid0(VALU_DEP_2) | instskip(NEXT) | instid1(VALU_DEP_2)
	v_fma_f64 v[4:5], v[200:201], v[204:205], -v[4:5]
	v_fmac_f64_e32 v[20:21], v[202:203], v[204:205]
	s_delay_alu instid0(VALU_DEP_2) | instskip(NEXT) | instid1(VALU_DEP_2)
	v_add_f64_e64 v[14:15], v[14:15], -v[4:5]
	v_add_f64_e64 v[16:17], v[16:17], -v[20:21]
.LBB86_220:                             ;   in Loop: Header=BB86_3 Depth=1
	s_or_b32 exec_lo, exec_lo, s17
	v_readlane_b32 s16, v208, 2
	s_barrier_signal -1
	s_barrier_wait -1
	s_and_saveexec_b32 s17, s16
	s_cbranch_execz .LBB86_222
; %bb.221:                              ;   in Loop: Header=BB86_3 Depth=1
	v_xor_b32_e32 v203, 0x80000000, v17
	v_xor_b32_e32 v201, 0x80000000, v15
	v_dual_mov_b32 v200, v14 :: v_dual_mov_b32 v202, v16
	ds_store_b128 v188, v[200:203]
.LBB86_222:                             ;   in Loop: Header=BB86_3 Depth=1
	s_or_b32 exec_lo, exec_lo, s17
	v_readlane_b32 s16, v208, 3
	s_wait_dscnt 0x0
	s_barrier_signal -1
	s_barrier_wait -1
	s_and_saveexec_b32 s17, s16
	s_cbranch_execz .LBB86_224
; %bb.223:                              ;   in Loop: Header=BB86_3 Depth=1
	ds_load_b128 v[200:203], v188
	ds_load_b128 v[204:207], v184 offset:7168
	s_wait_dscnt 0x0
	v_mul_f64_e32 v[4:5], v[202:203], v[206:207]
	v_mul_f64_e32 v[20:21], v[200:201], v[206:207]
	s_delay_alu instid0(VALU_DEP_2) | instskip(NEXT) | instid1(VALU_DEP_2)
	v_fma_f64 v[4:5], v[200:201], v[204:205], -v[4:5]
	v_fmac_f64_e32 v[20:21], v[202:203], v[204:205]
	s_delay_alu instid0(VALU_DEP_2) | instskip(NEXT) | instid1(VALU_DEP_2)
	v_add_f64_e64 v[14:15], v[14:15], -v[4:5]
	v_add_f64_e64 v[16:17], v[16:17], -v[20:21]
.LBB86_224:                             ;   in Loop: Header=BB86_3 Depth=1
	s_or_b32 exec_lo, exec_lo, s17
	v_readlane_b32 s16, v208, 4
	s_barrier_signal -1
	s_barrier_wait -1
	s_and_saveexec_b32 s17, s16
	s_cbranch_execz .LBB86_226
; %bb.225:                              ;   in Loop: Header=BB86_3 Depth=1
	v_xor_b32_e32 v203, 0x80000000, v17
	v_xor_b32_e32 v201, 0x80000000, v15
	v_dual_mov_b32 v200, v14 :: v_dual_mov_b32 v202, v16
	ds_store_b128 v188, v[200:203]
.LBB86_226:                             ;   in Loop: Header=BB86_3 Depth=1
	s_or_b32 exec_lo, exec_lo, s17
	v_readlane_b32 s16, v208, 5
	s_wait_dscnt 0x0
	;; [unrolled: 32-line block ×6, first 2 shown]
	s_barrier_signal -1
	s_barrier_wait -1
	s_and_saveexec_b32 s17, s16
	s_cbranch_execz .LBB86_244
; %bb.243:                              ;   in Loop: Header=BB86_3 Depth=1
	ds_load_b128 v[200:203], v188
	ds_load_b128 v[204:207], v184 offset:4608
	s_wait_dscnt 0x0
	v_mul_f64_e32 v[4:5], v[202:203], v[206:207]
	v_mul_f64_e32 v[20:21], v[200:201], v[206:207]
	s_delay_alu instid0(VALU_DEP_2) | instskip(NEXT) | instid1(VALU_DEP_2)
	v_fma_f64 v[4:5], v[200:201], v[204:205], -v[4:5]
	v_fmac_f64_e32 v[20:21], v[202:203], v[204:205]
	s_delay_alu instid0(VALU_DEP_2) | instskip(NEXT) | instid1(VALU_DEP_2)
	v_add_f64_e64 v[14:15], v[14:15], -v[4:5]
	v_add_f64_e64 v[16:17], v[16:17], -v[20:21]
.LBB86_244:                             ;   in Loop: Header=BB86_3 Depth=1
	s_or_b32 exec_lo, exec_lo, s17
	v_readlane_b32 s16, v208, 14
	s_barrier_signal -1
	s_barrier_wait -1
	s_and_saveexec_b32 s17, s16
	s_cbranch_execz .LBB86_246
; %bb.245:                              ;   in Loop: Header=BB86_3 Depth=1
	v_xor_b32_e32 v203, 0x80000000, v17
	v_xor_b32_e32 v201, 0x80000000, v15
	v_dual_mov_b32 v200, v14 :: v_dual_mov_b32 v202, v16
	ds_store_b128 v188, v[200:203]
.LBB86_246:                             ;   in Loop: Header=BB86_3 Depth=1
	s_or_b32 exec_lo, exec_lo, s17
	s_wait_dscnt 0x0
	s_barrier_signal -1
	s_barrier_wait -1
	s_and_saveexec_b32 s17, s20
	s_cbranch_execz .LBB86_248
; %bb.247:                              ;   in Loop: Header=BB86_3 Depth=1
	ds_load_b128 v[200:203], v188
	ds_load_b128 v[204:207], v184 offset:4096
	s_wait_dscnt 0x0
	v_mul_f64_e32 v[4:5], v[202:203], v[206:207]
	v_mul_f64_e32 v[20:21], v[200:201], v[206:207]
	s_delay_alu instid0(VALU_DEP_2) | instskip(NEXT) | instid1(VALU_DEP_2)
	v_fma_f64 v[4:5], v[200:201], v[204:205], -v[4:5]
	v_fmac_f64_e32 v[20:21], v[202:203], v[204:205]
	s_delay_alu instid0(VALU_DEP_2) | instskip(NEXT) | instid1(VALU_DEP_2)
	v_add_f64_e64 v[14:15], v[14:15], -v[4:5]
	v_add_f64_e64 v[16:17], v[16:17], -v[20:21]
.LBB86_248:                             ;   in Loop: Header=BB86_3 Depth=1
	s_or_b32 exec_lo, exec_lo, s17
	s_barrier_signal -1
	s_barrier_wait -1
	s_and_saveexec_b32 s17, s21
	s_cbranch_execz .LBB86_250
; %bb.249:                              ;   in Loop: Header=BB86_3 Depth=1
	s_delay_alu instid0(VALU_DEP_1) | instskip(NEXT) | instid1(VALU_DEP_3)
	v_xor_b32_e32 v203, 0x80000000, v17
	v_xor_b32_e32 v201, 0x80000000, v15
	s_delay_alu instid0(VALU_DEP_3)
	v_dual_mov_b32 v200, v14 :: v_dual_mov_b32 v202, v16
	ds_store_b128 v188, v[200:203]
.LBB86_250:                             ;   in Loop: Header=BB86_3 Depth=1
	s_or_b32 exec_lo, exec_lo, s17
	s_wait_dscnt 0x0
	s_barrier_signal -1
	s_barrier_wait -1
	s_and_saveexec_b32 s17, s22
	s_cbranch_execz .LBB86_252
; %bb.251:                              ;   in Loop: Header=BB86_3 Depth=1
	ds_load_b128 v[200:203], v188
	ds_load_b128 v[204:207], v184 offset:3584
	s_wait_dscnt 0x0
	v_mul_f64_e32 v[4:5], v[202:203], v[206:207]
	v_mul_f64_e32 v[20:21], v[200:201], v[206:207]
	s_delay_alu instid0(VALU_DEP_2) | instskip(NEXT) | instid1(VALU_DEP_2)
	v_fma_f64 v[4:5], v[200:201], v[204:205], -v[4:5]
	v_fmac_f64_e32 v[20:21], v[202:203], v[204:205]
	s_delay_alu instid0(VALU_DEP_2) | instskip(NEXT) | instid1(VALU_DEP_2)
	v_add_f64_e64 v[14:15], v[14:15], -v[4:5]
	v_add_f64_e64 v[16:17], v[16:17], -v[20:21]
.LBB86_252:                             ;   in Loop: Header=BB86_3 Depth=1
	s_or_b32 exec_lo, exec_lo, s17
	s_barrier_signal -1
	s_barrier_wait -1
	s_and_saveexec_b32 s17, s23
	s_cbranch_execz .LBB86_254
; %bb.253:                              ;   in Loop: Header=BB86_3 Depth=1
	s_delay_alu instid0(VALU_DEP_1) | instskip(NEXT) | instid1(VALU_DEP_3)
	v_xor_b32_e32 v203, 0x80000000, v17
	v_xor_b32_e32 v201, 0x80000000, v15
	s_delay_alu instid0(VALU_DEP_3)
	v_dual_mov_b32 v200, v14 :: v_dual_mov_b32 v202, v16
	ds_store_b128 v188, v[200:203]
.LBB86_254:                             ;   in Loop: Header=BB86_3 Depth=1
	;; [unrolled: 32-line block ×8, first 2 shown]
	s_or_b32 exec_lo, exec_lo, s17
	s_wait_dscnt 0x0
	s_barrier_signal -1
	s_barrier_wait -1
	s_barrier_signal -1
	s_barrier_wait -1
	s_and_saveexec_b32 s17, s6
; %bb.279:                              ;   in Loop: Header=BB86_3 Depth=1
	ds_store_b128 v189, v[14:17] offset:15872
; %bb.280:                              ;   in Loop: Header=BB86_3 Depth=1
	s_or_b32 exec_lo, exec_lo, s17
	s_wait_dscnt 0x0
	s_barrier_signal -1
	s_barrier_wait -1
	s_barrier_signal -1
	s_barrier_wait -1
	s_and_saveexec_b32 s33, s100
	s_cbranch_execz .LBB86_282
; %bb.281:                              ;   in Loop: Header=BB86_3 Depth=1
	ds_load_b128 v[14:17], v59
	s_wait_dscnt 0x0
	ds_store_b128 v138, v[14:17]
	ds_load_b128 v[14:17], v60
	s_wait_dscnt 0x0
	ds_store_b128 v139, v[14:17]
	;; [unrolled: 3-line block ×16, first 2 shown]
.LBB86_282:                             ;   in Loop: Header=BB86_3 Depth=1
	s_or_b32 exec_lo, exec_lo, s33
	s_wait_dscnt 0x0
	s_barrier_signal -1
	s_barrier_wait -1
	s_and_saveexec_b32 s33, s27
	s_cbranch_execz .LBB86_284
; %bb.283:                              ;   in Loop: Header=BB86_3 Depth=1
	s_mov_b32 s36, s35
	s_mov_b32 s38, s35
	;; [unrolled: 1-line block ×3, first 2 shown]
	v_mov_b64_e32 v[14:15], s[36:37]
	v_mov_b64_e32 v[16:17], s[38:39]
	ds_store_b128 v3, v[14:17] offset:7392
	ds_store_b128 v3, v[14:17] offset:7920
	ds_load_b128 v[14:17], v3 offset:7904
	s_wait_dscnt 0x0
	ds_store_b128 v3, v[14:17] offset:7408
.LBB86_284:                             ;   in Loop: Header=BB86_3 Depth=1
	s_or_b32 exec_lo, exec_lo, s33
	v_mov_b64_e32 v[14:15], 0
	v_mov_b64_e32 v[16:17], 0
	s_wait_dscnt 0x0
	s_barrier_signal -1
	s_barrier_wait -1
	global_wb scope:SCOPE_DEV
	s_wait_storecnt 0x0
	global_inv scope:SCOPE_DEV
	s_and_saveexec_b32 s33, s2
	s_cbranch_execz .LBB86_288
; %bb.285:                              ;   in Loop: Header=BB86_3 Depth=1
	ds_load_b128 v[14:17], v44 offset:7904
	ds_load_b128 v[200:203], v178 offset:7360
	s_wait_dscnt 0x0
	v_mul_f64_e32 v[4:5], v[16:17], v[202:203]
	v_mul_f64_e32 v[20:21], v[14:15], v[202:203]
	s_delay_alu instid0(VALU_DEP_2) | instskip(NEXT) | instid1(VALU_DEP_2)
	v_fma_f64 v[4:5], v[14:15], v[200:201], -v[4:5]
	v_fmac_f64_e32 v[20:21], v[16:17], v[200:201]
	s_delay_alu instid0(VALU_DEP_2) | instskip(NEXT) | instid1(VALU_DEP_2)
	v_add_f64_e32 v[14:15], 0, v[4:5]
	v_add_f64_e32 v[16:17], 0, v[20:21]
	s_and_saveexec_b32 s17, s8
	s_cbranch_execz .LBB86_287
; %bb.286:                              ;   in Loop: Header=BB86_3 Depth=1
	ds_load_b128 v[200:203], v3 offset:7920
	ds_load_b128 v[204:207], v27 offset:7872
	s_wait_dscnt 0x0
	v_mul_f64_e32 v[4:5], v[202:203], v[206:207]
	v_mul_f64_e32 v[20:21], v[200:201], v[206:207]
	s_delay_alu instid0(VALU_DEP_2) | instskip(NEXT) | instid1(VALU_DEP_2)
	v_fma_f64 v[4:5], v[200:201], v[204:205], -v[4:5]
	v_fmac_f64_e32 v[20:21], v[202:203], v[204:205]
	s_delay_alu instid0(VALU_DEP_2) | instskip(NEXT) | instid1(VALU_DEP_2)
	v_add_f64_e32 v[14:15], v[14:15], v[4:5]
	v_add_f64_e32 v[16:17], v[16:17], v[20:21]
.LBB86_287:                             ;   in Loop: Header=BB86_3 Depth=1
	s_or_b32 exec_lo, exec_lo, s17
.LBB86_288:                             ;   in Loop: Header=BB86_3 Depth=1
	s_delay_alu instid0(SALU_CYCLE_1)
	s_or_b32 exec_lo, exec_lo, s33
	s_and_saveexec_b32 s17, s66
	s_cbranch_execz .LBB86_290
; %bb.289:                              ;   in Loop: Header=BB86_3 Depth=1
	s_delay_alu instid0(VALU_DEP_2) | instskip(NEXT) | instid1(VALU_DEP_2)
	v_xor_b32_e32 v201, 0x80000000, v15
	v_xor_b32_e32 v203, 0x80000000, v17
	s_delay_alu instid0(VALU_DEP_3)
	v_dual_mov_b32 v200, v14 :: v_dual_mov_b32 v202, v16
	ds_store_b128 v179, v[200:203]
.LBB86_290:                             ;   in Loop: Header=BB86_3 Depth=1
	s_or_b32 exec_lo, exec_lo, s17
	s_wait_loadcnt_dscnt 0x0
	s_barrier_signal -1
	s_barrier_wait -1
	s_and_saveexec_b32 s17, s67
	s_cbranch_execz .LBB86_292
; %bb.291:                              ;   in Loop: Header=BB86_3 Depth=1
	ds_load_b128 v[200:203], v179
	ds_load_b128 v[204:207], v3 offset:6848
	s_wait_dscnt 0x0
	v_mul_f64_e32 v[4:5], v[200:201], v[204:205]
	v_mul_f64_e32 v[20:21], v[200:201], v[206:207]
	s_delay_alu instid0(VALU_DEP_2) | instskip(NEXT) | instid1(VALU_DEP_2)
	v_fma_f64 v[4:5], v[202:203], v[206:207], -v[4:5]
	v_fmac_f64_e32 v[20:21], v[202:203], v[204:205]
	s_delay_alu instid0(VALU_DEP_2) | instskip(NEXT) | instid1(VALU_DEP_2)
	v_add_f64_e32 v[14:15], v[14:15], v[4:5]
	v_add_f64_e64 v[16:17], v[16:17], -v[20:21]
.LBB86_292:                             ;   in Loop: Header=BB86_3 Depth=1
	s_or_b32 exec_lo, exec_lo, s17
	s_barrier_signal -1
	s_barrier_wait -1
	s_and_saveexec_b32 s17, s67
	s_cbranch_execz .LBB86_294
; %bb.293:                              ;   in Loop: Header=BB86_3 Depth=1
	s_delay_alu instid0(VALU_DEP_2) | instskip(NEXT) | instid1(VALU_DEP_2)
	v_xor_b32_e32 v201, 0x80000000, v15
	v_xor_b32_e32 v203, 0x80000000, v17
	s_delay_alu instid0(VALU_DEP_3)
	v_dual_mov_b32 v200, v14 :: v_dual_mov_b32 v202, v16
	ds_store_b128 v179, v[200:203]
.LBB86_294:                             ;   in Loop: Header=BB86_3 Depth=1
	s_or_b32 exec_lo, exec_lo, s17
	s_wait_dscnt 0x0
	s_barrier_signal -1
	s_barrier_wait -1
	s_barrier_signal -1
	s_barrier_wait -1
	s_and_saveexec_b32 s17, s2
; %bb.295:                              ;   in Loop: Header=BB86_3 Depth=1
	ds_store_b128 v181, v[14:17] offset:7872
; %bb.296:                              ;   in Loop: Header=BB86_3 Depth=1
	s_or_b32 exec_lo, exec_lo, s17
	s_wait_dscnt 0x0
	s_barrier_signal -1
	s_barrier_wait -1
	s_barrier_signal -1
	s_barrier_wait -1
	s_and_saveexec_b32 s17, s68
	s_cbranch_execz .LBB86_298
; %bb.297:                              ;   in Loop: Header=BB86_3 Depth=1
	ds_load_b128 v[14:17], v75
	s_wait_dscnt 0x0
	ds_store_b128 v154, v[14:17]
	ds_load_b128 v[14:17], v76
	s_wait_dscnt 0x0
	ds_store_b128 v155, v[14:17]
.LBB86_298:                             ;   in Loop: Header=BB86_3 Depth=1
	s_or_b32 exec_lo, exec_lo, s17
	s_wait_dscnt 0x0
	s_barrier_signal -1
	s_barrier_wait -1
	s_and_saveexec_b32 s33, s27
	s_cbranch_execz .LBB86_300
; %bb.299:                              ;   in Loop: Header=BB86_3 Depth=1
	s_mov_b32 s36, s35
	s_mov_b32 s38, s35
	;; [unrolled: 1-line block ×3, first 2 shown]
	v_mov_b64_e32 v[14:15], s[36:37]
	v_mov_b64_e32 v[16:17], s[38:39]
	ds_store_b128 v3, v[14:17] offset:6336
	ds_store_b128 v3, v[14:17] offset:6864
	ds_load_b128 v[14:17], v3 offset:6848
	s_wait_dscnt 0x0
	ds_store_b128 v3, v[14:17] offset:6352
.LBB86_300:                             ;   in Loop: Header=BB86_3 Depth=1
	s_or_b32 exec_lo, exec_lo, s33
	v_mov_b64_e32 v[16:17], 0
	v_mov_b64_e32 v[14:15], 0
	s_wait_dscnt 0x0
	s_barrier_signal -1
	s_barrier_wait -1
	global_wb scope:SCOPE_DEV
	s_wait_storecnt 0x0
	global_inv scope:SCOPE_DEV
	s_and_saveexec_b32 s33, s4
	s_cbranch_execz .LBB86_306
; %bb.301:                              ;   in Loop: Header=BB86_3 Depth=1
	ds_load_b128 v[14:17], v48 offset:7872
	ds_load_b128 v[200:203], v180 offset:6272
	s_wait_dscnt 0x0
	v_mul_f64_e32 v[4:5], v[16:17], v[202:203]
	v_mul_f64_e32 v[20:21], v[14:15], v[202:203]
	s_delay_alu instid0(VALU_DEP_2) | instskip(NEXT) | instid1(VALU_DEP_2)
	v_fma_f64 v[4:5], v[14:15], v[200:201], -v[4:5]
	v_fmac_f64_e32 v[20:21], v[16:17], v[200:201]
	s_delay_alu instid0(VALU_DEP_2) | instskip(NEXT) | instid1(VALU_DEP_2)
	v_add_f64_e32 v[14:15], 0, v[4:5]
	v_add_f64_e32 v[16:17], 0, v[20:21]
	s_and_saveexec_b32 s17, s9
	s_cbranch_execnz .LBB86_532
; %bb.302:                              ;   in Loop: Header=BB86_3 Depth=1
	s_or_b32 exec_lo, exec_lo, s17
	s_and_saveexec_b32 s17, s10
	s_cbranch_execnz .LBB86_533
.LBB86_303:                             ;   in Loop: Header=BB86_3 Depth=1
	s_or_b32 exec_lo, exec_lo, s17
	s_and_saveexec_b32 s17, s2
	s_cbranch_execz .LBB86_305
.LBB86_304:                             ;   in Loop: Header=BB86_3 Depth=1
	ds_load_b128 v[200:203], v3 offset:7920
	ds_load_b128 v[204:207], v47 offset:7808
	s_wait_dscnt 0x0
	v_mul_f64_e32 v[4:5], v[202:203], v[206:207]
	v_mul_f64_e32 v[20:21], v[200:201], v[206:207]
	s_delay_alu instid0(VALU_DEP_2) | instskip(NEXT) | instid1(VALU_DEP_2)
	v_fma_f64 v[4:5], v[200:201], v[204:205], -v[4:5]
	v_fmac_f64_e32 v[20:21], v[202:203], v[204:205]
	s_delay_alu instid0(VALU_DEP_2) | instskip(NEXT) | instid1(VALU_DEP_2)
	v_add_f64_e32 v[14:15], v[14:15], v[4:5]
	v_add_f64_e32 v[16:17], v[16:17], v[20:21]
.LBB86_305:                             ;   in Loop: Header=BB86_3 Depth=1
	s_or_b32 exec_lo, exec_lo, s17
.LBB86_306:                             ;   in Loop: Header=BB86_3 Depth=1
	s_delay_alu instid0(SALU_CYCLE_1)
	s_or_b32 exec_lo, exec_lo, s33
	s_and_saveexec_b32 s17, s69
	s_cbranch_execz .LBB86_308
; %bb.307:                              ;   in Loop: Header=BB86_3 Depth=1
	s_delay_alu instid0(VALU_DEP_1) | instskip(NEXT) | instid1(VALU_DEP_3)
	v_xor_b32_e32 v203, 0x80000000, v17
	v_xor_b32_e32 v201, 0x80000000, v15
	s_delay_alu instid0(VALU_DEP_3)
	v_dual_mov_b32 v200, v14 :: v_dual_mov_b32 v202, v16
	ds_store_b128 v183, v[200:203]
.LBB86_308:                             ;   in Loop: Header=BB86_3 Depth=1
	s_or_b32 exec_lo, exec_lo, s17
	s_wait_loadcnt_dscnt 0x0
	s_barrier_signal -1
	s_barrier_wait -1
	s_and_saveexec_b32 s17, s70
	s_cbranch_execz .LBB86_310
; %bb.309:                              ;   in Loop: Header=BB86_3 Depth=1
	ds_load_b128 v[200:203], v183
	ds_load_b128 v[204:207], v180 offset:5760
	s_wait_dscnt 0x0
	v_mul_f64_e32 v[4:5], v[202:203], v[206:207]
	v_mul_f64_e32 v[20:21], v[200:201], v[206:207]
	s_delay_alu instid0(VALU_DEP_2) | instskip(NEXT) | instid1(VALU_DEP_2)
	v_fma_f64 v[4:5], v[200:201], v[204:205], -v[4:5]
	v_fmac_f64_e32 v[20:21], v[202:203], v[204:205]
	s_delay_alu instid0(VALU_DEP_2) | instskip(NEXT) | instid1(VALU_DEP_2)
	v_add_f64_e64 v[14:15], v[14:15], -v[4:5]
	v_add_f64_e64 v[16:17], v[16:17], -v[20:21]
.LBB86_310:                             ;   in Loop: Header=BB86_3 Depth=1
	s_or_b32 exec_lo, exec_lo, s17
	s_barrier_signal -1
	s_barrier_wait -1
	s_and_saveexec_b32 s17, s71
	s_cbranch_execz .LBB86_312
; %bb.311:                              ;   in Loop: Header=BB86_3 Depth=1
	s_delay_alu instid0(VALU_DEP_1) | instskip(NEXT) | instid1(VALU_DEP_3)
	v_xor_b32_e32 v203, 0x80000000, v17
	v_xor_b32_e32 v201, 0x80000000, v15
	s_delay_alu instid0(VALU_DEP_3)
	v_dual_mov_b32 v200, v14 :: v_dual_mov_b32 v202, v16
	ds_store_b128 v183, v[200:203]
.LBB86_312:                             ;   in Loop: Header=BB86_3 Depth=1
	s_or_b32 exec_lo, exec_lo, s17
	s_wait_dscnt 0x0
	s_barrier_signal -1
	s_barrier_wait -1
	s_and_saveexec_b32 s17, s72
	s_cbranch_execz .LBB86_314
; %bb.313:                              ;   in Loop: Header=BB86_3 Depth=1
	ds_load_b128 v[200:203], v183
	ds_load_b128 v[204:207], v180 offset:5248
	s_wait_dscnt 0x0
	v_mul_f64_e32 v[4:5], v[202:203], v[206:207]
	v_mul_f64_e32 v[20:21], v[200:201], v[206:207]
	s_delay_alu instid0(VALU_DEP_2) | instskip(NEXT) | instid1(VALU_DEP_2)
	v_fma_f64 v[4:5], v[200:201], v[204:205], -v[4:5]
	v_fmac_f64_e32 v[20:21], v[202:203], v[204:205]
	s_delay_alu instid0(VALU_DEP_2) | instskip(NEXT) | instid1(VALU_DEP_2)
	v_add_f64_e64 v[14:15], v[14:15], -v[4:5]
	v_add_f64_e64 v[16:17], v[16:17], -v[20:21]
.LBB86_314:                             ;   in Loop: Header=BB86_3 Depth=1
	s_or_b32 exec_lo, exec_lo, s17
	s_barrier_signal -1
	s_barrier_wait -1
	s_and_saveexec_b32 s17, s73
	s_cbranch_execz .LBB86_316
; %bb.315:                              ;   in Loop: Header=BB86_3 Depth=1
	s_delay_alu instid0(VALU_DEP_1) | instskip(NEXT) | instid1(VALU_DEP_3)
	v_xor_b32_e32 v203, 0x80000000, v17
	v_xor_b32_e32 v201, 0x80000000, v15
	s_delay_alu instid0(VALU_DEP_3)
	v_dual_mov_b32 v200, v14 :: v_dual_mov_b32 v202, v16
	ds_store_b128 v183, v[200:203]
.LBB86_316:                             ;   in Loop: Header=BB86_3 Depth=1
	s_or_b32 exec_lo, exec_lo, s17
	s_wait_dscnt 0x0
	;; [unrolled: 32-line block ×3, first 2 shown]
	s_barrier_signal -1
	s_barrier_wait -1
	s_barrier_signal -1
	s_barrier_wait -1
	s_and_saveexec_b32 s17, s4
; %bb.321:                              ;   in Loop: Header=BB86_3 Depth=1
	ds_store_b128 v185, v[14:17] offset:7808
; %bb.322:                              ;   in Loop: Header=BB86_3 Depth=1
	s_or_b32 exec_lo, exec_lo, s17
	s_wait_dscnt 0x0
	s_barrier_signal -1
	s_barrier_wait -1
	s_barrier_signal -1
	s_barrier_wait -1
	s_and_saveexec_b32 s17, s75
	s_cbranch_execz .LBB86_324
; %bb.323:                              ;   in Loop: Header=BB86_3 Depth=1
	ds_load_b128 v[14:17], v91
	s_wait_dscnt 0x0
	ds_store_b128 v156, v[14:17]
	ds_load_b128 v[14:17], v94
	s_wait_dscnt 0x0
	ds_store_b128 v159, v[14:17]
	;; [unrolled: 3-line block ×4, first 2 shown]
.LBB86_324:                             ;   in Loop: Header=BB86_3 Depth=1
	s_or_b32 exec_lo, exec_lo, s17
	s_wait_dscnt 0x0
	s_barrier_signal -1
	s_barrier_wait -1
	s_and_saveexec_b32 s33, s27
	s_cbranch_execz .LBB86_326
; %bb.325:                              ;   in Loop: Header=BB86_3 Depth=1
	s_mov_b32 s36, s35
	s_mov_b32 s38, s35
	;; [unrolled: 1-line block ×3, first 2 shown]
	v_mov_b64_e32 v[14:15], s[36:37]
	v_mov_b64_e32 v[16:17], s[38:39]
	ds_store_b128 v3, v[14:17] offset:5280
	ds_store_b128 v3, v[14:17] offset:5808
	ds_load_b128 v[14:17], v3 offset:5792
	s_wait_dscnt 0x0
	ds_store_b128 v3, v[14:17] offset:5296
.LBB86_326:                             ;   in Loop: Header=BB86_3 Depth=1
	s_or_b32 exec_lo, exec_lo, s33
	v_mov_b64_e32 v[14:15], 0
	v_mov_b64_e32 v[16:17], 0
	s_wait_dscnt 0x0
	s_barrier_signal -1
	s_barrier_wait -1
	global_wb scope:SCOPE_DEV
	s_wait_storecnt 0x0
	global_inv scope:SCOPE_DEV
	s_and_saveexec_b32 s33, s2
	s_cbranch_execz .LBB86_330
; %bb.327:                              ;   in Loop: Header=BB86_3 Depth=1
	ds_load_b128 v[14:17], v44 offset:5792
	ds_load_b128 v[200:203], v178 offset:5248
	s_wait_dscnt 0x0
	v_mul_f64_e32 v[4:5], v[16:17], v[202:203]
	v_mul_f64_e32 v[20:21], v[14:15], v[202:203]
	s_delay_alu instid0(VALU_DEP_2) | instskip(NEXT) | instid1(VALU_DEP_2)
	v_fma_f64 v[4:5], v[14:15], v[200:201], -v[4:5]
	v_fmac_f64_e32 v[20:21], v[16:17], v[200:201]
	s_delay_alu instid0(VALU_DEP_2) | instskip(NEXT) | instid1(VALU_DEP_2)
	v_add_f64_e32 v[14:15], 0, v[4:5]
	v_add_f64_e32 v[16:17], 0, v[20:21]
	s_and_saveexec_b32 s17, s8
	s_cbranch_execz .LBB86_329
; %bb.328:                              ;   in Loop: Header=BB86_3 Depth=1
	ds_load_b128 v[200:203], v3 offset:5808
	ds_load_b128 v[204:207], v87 offset:5760
	s_wait_dscnt 0x0
	v_mul_f64_e32 v[4:5], v[202:203], v[206:207]
	v_mul_f64_e32 v[20:21], v[200:201], v[206:207]
	s_delay_alu instid0(VALU_DEP_2) | instskip(NEXT) | instid1(VALU_DEP_2)
	v_fma_f64 v[4:5], v[200:201], v[204:205], -v[4:5]
	v_fmac_f64_e32 v[20:21], v[202:203], v[204:205]
	s_delay_alu instid0(VALU_DEP_2) | instskip(NEXT) | instid1(VALU_DEP_2)
	v_add_f64_e32 v[14:15], v[14:15], v[4:5]
	v_add_f64_e32 v[16:17], v[16:17], v[20:21]
.LBB86_329:                             ;   in Loop: Header=BB86_3 Depth=1
	s_or_b32 exec_lo, exec_lo, s17
.LBB86_330:                             ;   in Loop: Header=BB86_3 Depth=1
	s_delay_alu instid0(SALU_CYCLE_1)
	s_or_b32 exec_lo, exec_lo, s33
	s_and_saveexec_b32 s17, s66
	s_cbranch_execz .LBB86_332
; %bb.331:                              ;   in Loop: Header=BB86_3 Depth=1
	s_delay_alu instid0(VALU_DEP_2) | instskip(NEXT) | instid1(VALU_DEP_2)
	v_xor_b32_e32 v201, 0x80000000, v15
	v_xor_b32_e32 v203, 0x80000000, v17
	s_delay_alu instid0(VALU_DEP_3)
	v_dual_mov_b32 v200, v14 :: v_dual_mov_b32 v202, v16
	ds_store_b128 v179, v[200:203]
.LBB86_332:                             ;   in Loop: Header=BB86_3 Depth=1
	s_or_b32 exec_lo, exec_lo, s17
	s_wait_loadcnt_dscnt 0x0
	s_barrier_signal -1
	s_barrier_wait -1
	s_and_saveexec_b32 s17, s67
	s_cbranch_execz .LBB86_334
; %bb.333:                              ;   in Loop: Header=BB86_3 Depth=1
	ds_load_b128 v[200:203], v179
	ds_load_b128 v[204:207], v3 offset:4736
	s_wait_dscnt 0x0
	v_mul_f64_e32 v[4:5], v[200:201], v[204:205]
	v_mul_f64_e32 v[20:21], v[200:201], v[206:207]
	s_delay_alu instid0(VALU_DEP_2) | instskip(NEXT) | instid1(VALU_DEP_2)
	v_fma_f64 v[4:5], v[202:203], v[206:207], -v[4:5]
	v_fmac_f64_e32 v[20:21], v[202:203], v[204:205]
	s_delay_alu instid0(VALU_DEP_2) | instskip(NEXT) | instid1(VALU_DEP_2)
	v_add_f64_e32 v[14:15], v[14:15], v[4:5]
	v_add_f64_e64 v[16:17], v[16:17], -v[20:21]
.LBB86_334:                             ;   in Loop: Header=BB86_3 Depth=1
	s_or_b32 exec_lo, exec_lo, s17
	s_barrier_signal -1
	s_barrier_wait -1
	s_and_saveexec_b32 s17, s67
	s_cbranch_execz .LBB86_336
; %bb.335:                              ;   in Loop: Header=BB86_3 Depth=1
	s_delay_alu instid0(VALU_DEP_2) | instskip(NEXT) | instid1(VALU_DEP_2)
	v_xor_b32_e32 v201, 0x80000000, v15
	v_xor_b32_e32 v203, 0x80000000, v17
	s_delay_alu instid0(VALU_DEP_3)
	v_dual_mov_b32 v200, v14 :: v_dual_mov_b32 v202, v16
	ds_store_b128 v179, v[200:203]
.LBB86_336:                             ;   in Loop: Header=BB86_3 Depth=1
	s_or_b32 exec_lo, exec_lo, s17
	s_wait_dscnt 0x0
	s_barrier_signal -1
	s_barrier_wait -1
	s_barrier_signal -1
	s_barrier_wait -1
	s_and_saveexec_b32 s17, s2
; %bb.337:                              ;   in Loop: Header=BB86_3 Depth=1
	ds_store_b128 v181, v[14:17] offset:5760
; %bb.338:                              ;   in Loop: Header=BB86_3 Depth=1
	s_or_b32 exec_lo, exec_lo, s17
	s_wait_dscnt 0x0
	s_barrier_signal -1
	s_barrier_wait -1
	s_barrier_signal -1
	s_barrier_wait -1
	s_and_saveexec_b32 s17, s68
	s_cbranch_execz .LBB86_340
; %bb.339:                              ;   in Loop: Header=BB86_3 Depth=1
	ds_load_b128 v[14:17], v103
	s_wait_dscnt 0x0
	ds_store_b128 v160, v[14:17]
	ds_load_b128 v[14:17], v104
	s_wait_dscnt 0x0
	ds_store_b128 v161, v[14:17]
.LBB86_340:                             ;   in Loop: Header=BB86_3 Depth=1
	s_or_b32 exec_lo, exec_lo, s17
	s_wait_dscnt 0x0
	s_barrier_signal -1
	s_barrier_wait -1
	s_and_saveexec_b32 s33, s27
	s_cbranch_execz .LBB86_342
; %bb.341:                              ;   in Loop: Header=BB86_3 Depth=1
	s_mov_b32 s36, s35
	s_mov_b32 s38, s35
	;; [unrolled: 1-line block ×3, first 2 shown]
	v_mov_b64_e32 v[14:15], s[36:37]
	v_mov_b64_e32 v[16:17], s[38:39]
	ds_store_b128 v3, v[14:17] offset:4224
	ds_store_b128 v3, v[14:17] offset:4752
	ds_load_b128 v[14:17], v3 offset:4736
	s_wait_dscnt 0x0
	ds_store_b128 v3, v[14:17] offset:4240
.LBB86_342:                             ;   in Loop: Header=BB86_3 Depth=1
	s_or_b32 exec_lo, exec_lo, s33
	v_mov_b64_e32 v[16:17], 0
	v_mov_b64_e32 v[14:15], 0
	s_wait_dscnt 0x0
	s_barrier_signal -1
	s_barrier_wait -1
	global_wb scope:SCOPE_DEV
	s_wait_storecnt 0x0
	global_inv scope:SCOPE_DEV
	s_and_saveexec_b32 s33, s5
	s_cbranch_execz .LBB86_352
; %bb.343:                              ;   in Loop: Header=BB86_3 Depth=1
	ds_load_b128 v[14:17], v49 offset:7808
	ds_load_b128 v[200:203], v182 offset:4096
	s_wait_dscnt 0x0
	v_mul_f64_e32 v[4:5], v[16:17], v[202:203]
	v_mul_f64_e32 v[20:21], v[14:15], v[202:203]
	s_delay_alu instid0(VALU_DEP_2) | instskip(NEXT) | instid1(VALU_DEP_2)
	v_fma_f64 v[4:5], v[14:15], v[200:201], -v[4:5]
	v_fmac_f64_e32 v[20:21], v[16:17], v[200:201]
	s_delay_alu instid0(VALU_DEP_2) | instskip(NEXT) | instid1(VALU_DEP_2)
	v_add_f64_e32 v[14:15], 0, v[4:5]
	v_add_f64_e32 v[16:17], 0, v[20:21]
	s_and_saveexec_b32 s17, s11
	s_cbranch_execnz .LBB86_534
; %bb.344:                              ;   in Loop: Header=BB86_3 Depth=1
	s_or_b32 exec_lo, exec_lo, s17
	s_and_saveexec_b32 s17, s12
	s_cbranch_execnz .LBB86_535
.LBB86_345:                             ;   in Loop: Header=BB86_3 Depth=1
	s_or_b32 exec_lo, exec_lo, s17
	s_and_saveexec_b32 s17, s13
	s_cbranch_execnz .LBB86_536
.LBB86_346:                             ;   in Loop: Header=BB86_3 Depth=1
	s_or_b32 exec_lo, exec_lo, s17
	s_and_saveexec_b32 s17, s14
	s_cbranch_execnz .LBB86_537
.LBB86_347:                             ;   in Loop: Header=BB86_3 Depth=1
	s_or_b32 exec_lo, exec_lo, s17
	s_and_saveexec_b32 s17, s15
	s_cbranch_execnz .LBB86_538
.LBB86_348:                             ;   in Loop: Header=BB86_3 Depth=1
	s_or_b32 exec_lo, exec_lo, s17
	s_and_saveexec_b32 s17, s4
	s_cbranch_execnz .LBB86_539
.LBB86_349:                             ;   in Loop: Header=BB86_3 Depth=1
	s_or_b32 exec_lo, exec_lo, s17
	s_and_saveexec_b32 s17, s10
	s_cbranch_execz .LBB86_351
.LBB86_350:                             ;   in Loop: Header=BB86_3 Depth=1
	ds_load_b128 v[200:203], v3 offset:7920
	ds_load_b128 v[204:207], v27 offset:7680
	s_wait_dscnt 0x0
	v_mul_f64_e32 v[4:5], v[202:203], v[206:207]
	v_mul_f64_e32 v[20:21], v[200:201], v[206:207]
	s_delay_alu instid0(VALU_DEP_2) | instskip(NEXT) | instid1(VALU_DEP_2)
	v_fma_f64 v[4:5], v[200:201], v[204:205], -v[4:5]
	v_fmac_f64_e32 v[20:21], v[202:203], v[204:205]
	s_delay_alu instid0(VALU_DEP_2) | instskip(NEXT) | instid1(VALU_DEP_2)
	v_add_f64_e32 v[14:15], v[14:15], v[4:5]
	v_add_f64_e32 v[16:17], v[16:17], v[20:21]
.LBB86_351:                             ;   in Loop: Header=BB86_3 Depth=1
	s_or_b32 exec_lo, exec_lo, s17
.LBB86_352:                             ;   in Loop: Header=BB86_3 Depth=1
	s_delay_alu instid0(SALU_CYCLE_1)
	s_or_b32 exec_lo, exec_lo, s33
	s_and_saveexec_b32 s17, s76
	s_cbranch_execz .LBB86_354
; %bb.353:                              ;   in Loop: Header=BB86_3 Depth=1
	s_delay_alu instid0(VALU_DEP_2) | instskip(NEXT) | instid1(VALU_DEP_2)
	v_xor_b32_e32 v201, 0x80000000, v15
	v_xor_b32_e32 v203, 0x80000000, v17
	s_delay_alu instid0(VALU_DEP_3)
	v_dual_mov_b32 v200, v14 :: v_dual_mov_b32 v202, v16
	ds_store_b128 v186, v[200:203]
.LBB86_354:                             ;   in Loop: Header=BB86_3 Depth=1
	s_or_b32 exec_lo, exec_lo, s17
	s_wait_loadcnt_dscnt 0x0
	s_barrier_signal -1
	s_barrier_wait -1
	s_and_saveexec_b32 s17, s77
	s_cbranch_execz .LBB86_356
; %bb.355:                              ;   in Loop: Header=BB86_3 Depth=1
	ds_load_b128 v[200:203], v186
	ds_load_b128 v[204:207], v182 offset:3584
	s_wait_dscnt 0x0
	v_mul_f64_e32 v[4:5], v[202:203], v[206:207]
	v_mul_f64_e32 v[20:21], v[200:201], v[206:207]
	s_delay_alu instid0(VALU_DEP_2) | instskip(NEXT) | instid1(VALU_DEP_2)
	v_fma_f64 v[4:5], v[200:201], v[204:205], -v[4:5]
	v_fmac_f64_e32 v[20:21], v[202:203], v[204:205]
	s_delay_alu instid0(VALU_DEP_2) | instskip(NEXT) | instid1(VALU_DEP_2)
	v_add_f64_e64 v[14:15], v[14:15], -v[4:5]
	v_add_f64_e64 v[16:17], v[16:17], -v[20:21]
.LBB86_356:                             ;   in Loop: Header=BB86_3 Depth=1
	s_or_b32 exec_lo, exec_lo, s17
	s_barrier_signal -1
	s_barrier_wait -1
	s_and_saveexec_b32 s17, s78
	s_cbranch_execz .LBB86_358
; %bb.357:                              ;   in Loop: Header=BB86_3 Depth=1
	s_delay_alu instid0(VALU_DEP_2) | instskip(NEXT) | instid1(VALU_DEP_2)
	v_xor_b32_e32 v201, 0x80000000, v15
	v_xor_b32_e32 v203, 0x80000000, v17
	s_delay_alu instid0(VALU_DEP_3)
	v_dual_mov_b32 v200, v14 :: v_dual_mov_b32 v202, v16
	ds_store_b128 v186, v[200:203]
.LBB86_358:                             ;   in Loop: Header=BB86_3 Depth=1
	s_or_b32 exec_lo, exec_lo, s17
	s_wait_dscnt 0x0
	s_barrier_signal -1
	s_barrier_wait -1
	s_and_saveexec_b32 s17, s79
	s_cbranch_execz .LBB86_360
; %bb.359:                              ;   in Loop: Header=BB86_3 Depth=1
	ds_load_b128 v[200:203], v186
	ds_load_b128 v[204:207], v182 offset:3072
	s_wait_dscnt 0x0
	v_mul_f64_e32 v[4:5], v[202:203], v[206:207]
	v_mul_f64_e32 v[20:21], v[200:201], v[206:207]
	s_delay_alu instid0(VALU_DEP_2) | instskip(NEXT) | instid1(VALU_DEP_2)
	v_fma_f64 v[4:5], v[200:201], v[204:205], -v[4:5]
	v_fmac_f64_e32 v[20:21], v[202:203], v[204:205]
	s_delay_alu instid0(VALU_DEP_2) | instskip(NEXT) | instid1(VALU_DEP_2)
	v_add_f64_e64 v[14:15], v[14:15], -v[4:5]
	v_add_f64_e64 v[16:17], v[16:17], -v[20:21]
.LBB86_360:                             ;   in Loop: Header=BB86_3 Depth=1
	s_or_b32 exec_lo, exec_lo, s17
	s_barrier_signal -1
	s_barrier_wait -1
	s_and_saveexec_b32 s17, s80
	s_cbranch_execz .LBB86_362
; %bb.361:                              ;   in Loop: Header=BB86_3 Depth=1
	s_delay_alu instid0(VALU_DEP_2) | instskip(NEXT) | instid1(VALU_DEP_2)
	v_xor_b32_e32 v201, 0x80000000, v15
	v_xor_b32_e32 v203, 0x80000000, v17
	s_delay_alu instid0(VALU_DEP_3)
	v_dual_mov_b32 v200, v14 :: v_dual_mov_b32 v202, v16
	ds_store_b128 v186, v[200:203]
.LBB86_362:                             ;   in Loop: Header=BB86_3 Depth=1
	s_or_b32 exec_lo, exec_lo, s17
	s_wait_dscnt 0x0
	;; [unrolled: 32-line block ×7, first 2 shown]
	s_barrier_signal -1
	s_barrier_wait -1
	s_barrier_signal -1
	s_barrier_wait -1
	s_and_saveexec_b32 s17, s5
; %bb.383:                              ;   in Loop: Header=BB86_3 Depth=1
	ds_store_b128 v187, v[14:17] offset:7680
; %bb.384:                              ;   in Loop: Header=BB86_3 Depth=1
	s_or_b32 exec_lo, exec_lo, s17
	s_wait_dscnt 0x0
	s_barrier_signal -1
	s_barrier_wait -1
	s_barrier_signal -1
	s_barrier_wait -1
	s_and_saveexec_b32 s17, s90
	s_cbranch_execz .LBB86_386
; %bb.385:                              ;   in Loop: Header=BB86_3 Depth=1
	ds_load_b128 v[14:17], v77
	s_wait_dscnt 0x0
	ds_store_b128 v162, v[14:17]
	ds_load_b128 v[14:17], v78
	s_wait_dscnt 0x0
	ds_store_b128 v163, v[14:17]
	;; [unrolled: 3-line block ×8, first 2 shown]
.LBB86_386:                             ;   in Loop: Header=BB86_3 Depth=1
	s_or_b32 exec_lo, exec_lo, s17
	s_wait_dscnt 0x0
	s_barrier_signal -1
	s_barrier_wait -1
	s_and_saveexec_b32 s33, s27
	s_cbranch_execz .LBB86_388
; %bb.387:                              ;   in Loop: Header=BB86_3 Depth=1
	s_mov_b32 s36, s35
	s_mov_b32 s38, s35
	;; [unrolled: 1-line block ×3, first 2 shown]
	v_mov_b64_e32 v[14:15], s[36:37]
	v_mov_b64_e32 v[16:17], s[38:39]
	ds_store_b128 v3, v[14:17] offset:3168
	ds_store_b128 v3, v[14:17] offset:3696
	ds_load_b128 v[14:17], v3 offset:3680
	s_wait_dscnt 0x0
	ds_store_b128 v3, v[14:17] offset:3184
.LBB86_388:                             ;   in Loop: Header=BB86_3 Depth=1
	s_or_b32 exec_lo, exec_lo, s33
	v_mov_b64_e32 v[14:15], 0
	v_mov_b64_e32 v[16:17], 0
	s_wait_dscnt 0x0
	s_barrier_signal -1
	s_barrier_wait -1
	global_wb scope:SCOPE_DEV
	s_wait_storecnt 0x0
	global_inv scope:SCOPE_DEV
	s_and_saveexec_b32 s33, s2
	s_cbranch_execz .LBB86_392
; %bb.389:                              ;   in Loop: Header=BB86_3 Depth=1
	ds_load_b128 v[14:17], v44 offset:3680
	ds_load_b128 v[200:203], v178 offset:3136
	s_wait_dscnt 0x0
	v_mul_f64_e32 v[4:5], v[16:17], v[202:203]
	v_mul_f64_e32 v[20:21], v[14:15], v[202:203]
	s_delay_alu instid0(VALU_DEP_2) | instskip(NEXT) | instid1(VALU_DEP_2)
	v_fma_f64 v[4:5], v[14:15], v[200:201], -v[4:5]
	v_fmac_f64_e32 v[20:21], v[16:17], v[200:201]
	s_delay_alu instid0(VALU_DEP_2) | instskip(NEXT) | instid1(VALU_DEP_2)
	v_add_f64_e32 v[14:15], 0, v[4:5]
	v_add_f64_e32 v[16:17], 0, v[20:21]
	s_and_saveexec_b32 s17, s8
	s_cbranch_execz .LBB86_391
; %bb.390:                              ;   in Loop: Header=BB86_3 Depth=1
	ds_load_b128 v[200:203], v3 offset:3696
	ds_load_b128 v[204:207], v47 offset:3648
	s_wait_dscnt 0x0
	v_mul_f64_e32 v[4:5], v[202:203], v[206:207]
	v_mul_f64_e32 v[20:21], v[200:201], v[206:207]
	s_delay_alu instid0(VALU_DEP_2) | instskip(NEXT) | instid1(VALU_DEP_2)
	v_fma_f64 v[4:5], v[200:201], v[204:205], -v[4:5]
	v_fmac_f64_e32 v[20:21], v[202:203], v[204:205]
	s_delay_alu instid0(VALU_DEP_2) | instskip(NEXT) | instid1(VALU_DEP_2)
	v_add_f64_e32 v[14:15], v[14:15], v[4:5]
	v_add_f64_e32 v[16:17], v[16:17], v[20:21]
.LBB86_391:                             ;   in Loop: Header=BB86_3 Depth=1
	s_or_b32 exec_lo, exec_lo, s17
.LBB86_392:                             ;   in Loop: Header=BB86_3 Depth=1
	s_delay_alu instid0(SALU_CYCLE_1)
	s_or_b32 exec_lo, exec_lo, s33
	s_and_saveexec_b32 s17, s66
	s_cbranch_execz .LBB86_394
; %bb.393:                              ;   in Loop: Header=BB86_3 Depth=1
	s_delay_alu instid0(VALU_DEP_2) | instskip(NEXT) | instid1(VALU_DEP_2)
	v_xor_b32_e32 v201, 0x80000000, v15
	v_xor_b32_e32 v203, 0x80000000, v17
	s_delay_alu instid0(VALU_DEP_3)
	v_dual_mov_b32 v200, v14 :: v_dual_mov_b32 v202, v16
	ds_store_b128 v179, v[200:203]
.LBB86_394:                             ;   in Loop: Header=BB86_3 Depth=1
	s_or_b32 exec_lo, exec_lo, s17
	s_wait_loadcnt_dscnt 0x0
	s_barrier_signal -1
	s_barrier_wait -1
	s_and_saveexec_b32 s17, s67
	s_cbranch_execz .LBB86_396
; %bb.395:                              ;   in Loop: Header=BB86_3 Depth=1
	ds_load_b128 v[200:203], v179
	ds_load_b128 v[204:207], v3 offset:2624
	s_wait_dscnt 0x0
	v_mul_f64_e32 v[4:5], v[200:201], v[204:205]
	v_mul_f64_e32 v[20:21], v[200:201], v[206:207]
	s_delay_alu instid0(VALU_DEP_2) | instskip(NEXT) | instid1(VALU_DEP_2)
	v_fma_f64 v[4:5], v[202:203], v[206:207], -v[4:5]
	v_fmac_f64_e32 v[20:21], v[202:203], v[204:205]
	s_delay_alu instid0(VALU_DEP_2) | instskip(NEXT) | instid1(VALU_DEP_2)
	v_add_f64_e32 v[14:15], v[14:15], v[4:5]
	v_add_f64_e64 v[16:17], v[16:17], -v[20:21]
.LBB86_396:                             ;   in Loop: Header=BB86_3 Depth=1
	s_or_b32 exec_lo, exec_lo, s17
	s_barrier_signal -1
	s_barrier_wait -1
	s_and_saveexec_b32 s17, s67
	s_cbranch_execz .LBB86_398
; %bb.397:                              ;   in Loop: Header=BB86_3 Depth=1
	s_delay_alu instid0(VALU_DEP_2) | instskip(NEXT) | instid1(VALU_DEP_2)
	v_xor_b32_e32 v201, 0x80000000, v15
	v_xor_b32_e32 v203, 0x80000000, v17
	s_delay_alu instid0(VALU_DEP_3)
	v_dual_mov_b32 v200, v14 :: v_dual_mov_b32 v202, v16
	ds_store_b128 v179, v[200:203]
.LBB86_398:                             ;   in Loop: Header=BB86_3 Depth=1
	s_or_b32 exec_lo, exec_lo, s17
	s_wait_dscnt 0x0
	s_barrier_signal -1
	s_barrier_wait -1
	s_barrier_signal -1
	s_barrier_wait -1
	s_and_saveexec_b32 s17, s2
; %bb.399:                              ;   in Loop: Header=BB86_3 Depth=1
	ds_store_b128 v181, v[14:17] offset:3648
; %bb.400:                              ;   in Loop: Header=BB86_3 Depth=1
	s_or_b32 exec_lo, exec_lo, s17
	s_wait_dscnt 0x0
	s_barrier_signal -1
	s_barrier_wait -1
	s_barrier_signal -1
	s_barrier_wait -1
	s_and_saveexec_b32 s17, s68
	s_cbranch_execz .LBB86_402
; %bb.401:                              ;   in Loop: Header=BB86_3 Depth=1
	ds_load_b128 v[14:17], v95
	s_wait_dscnt 0x0
	ds_store_b128 v170, v[14:17]
	ds_load_b128 v[14:17], v191
	s_wait_dscnt 0x0
	ds_store_b128 v171, v[14:17]
.LBB86_402:                             ;   in Loop: Header=BB86_3 Depth=1
	s_or_b32 exec_lo, exec_lo, s17
	s_wait_dscnt 0x0
	s_barrier_signal -1
	s_barrier_wait -1
	s_and_saveexec_b32 s33, s27
	s_cbranch_execz .LBB86_404
; %bb.403:                              ;   in Loop: Header=BB86_3 Depth=1
	s_mov_b32 s36, s35
	s_mov_b32 s38, s35
	s_mov_b32 s39, s35
	v_mov_b64_e32 v[14:15], s[36:37]
	v_mov_b64_e32 v[16:17], s[38:39]
	ds_store_b128 v3, v[14:17] offset:2112
	ds_store_b128 v3, v[14:17] offset:2640
	ds_load_b128 v[14:17], v3 offset:2624
	s_wait_dscnt 0x0
	ds_store_b128 v3, v[14:17] offset:2128
.LBB86_404:                             ;   in Loop: Header=BB86_3 Depth=1
	s_or_b32 exec_lo, exec_lo, s33
	v_mov_b64_e32 v[16:17], 0
	v_mov_b64_e32 v[14:15], 0
	s_wait_dscnt 0x0
	s_barrier_signal -1
	s_barrier_wait -1
	global_wb scope:SCOPE_DEV
	s_wait_storecnt 0x0
	global_inv scope:SCOPE_DEV
	s_and_saveexec_b32 s33, s4
	s_cbranch_execz .LBB86_410
; %bb.405:                              ;   in Loop: Header=BB86_3 Depth=1
	ds_load_b128 v[14:17], v48 offset:3648
	ds_load_b128 v[200:203], v180 offset:2048
	s_wait_dscnt 0x0
	v_mul_f64_e32 v[4:5], v[16:17], v[202:203]
	v_mul_f64_e32 v[20:21], v[14:15], v[202:203]
	s_delay_alu instid0(VALU_DEP_2) | instskip(NEXT) | instid1(VALU_DEP_2)
	v_fma_f64 v[4:5], v[14:15], v[200:201], -v[4:5]
	v_fmac_f64_e32 v[20:21], v[16:17], v[200:201]
	s_delay_alu instid0(VALU_DEP_2) | instskip(NEXT) | instid1(VALU_DEP_2)
	v_add_f64_e32 v[14:15], 0, v[4:5]
	v_add_f64_e32 v[16:17], 0, v[20:21]
	s_and_saveexec_b32 s17, s9
	s_cbranch_execnz .LBB86_540
; %bb.406:                              ;   in Loop: Header=BB86_3 Depth=1
	s_or_b32 exec_lo, exec_lo, s17
	s_and_saveexec_b32 s17, s10
	s_cbranch_execnz .LBB86_541
.LBB86_407:                             ;   in Loop: Header=BB86_3 Depth=1
	s_or_b32 exec_lo, exec_lo, s17
	s_and_saveexec_b32 s17, s2
	s_cbranch_execz .LBB86_409
.LBB86_408:                             ;   in Loop: Header=BB86_3 Depth=1
	ds_load_b128 v[200:203], v3 offset:3696
	ds_load_b128 v[204:207], v87 offset:3584
	s_wait_dscnt 0x0
	v_mul_f64_e32 v[4:5], v[202:203], v[206:207]
	v_mul_f64_e32 v[20:21], v[200:201], v[206:207]
	s_delay_alu instid0(VALU_DEP_2) | instskip(NEXT) | instid1(VALU_DEP_2)
	v_fma_f64 v[4:5], v[200:201], v[204:205], -v[4:5]
	v_fmac_f64_e32 v[20:21], v[202:203], v[204:205]
	s_delay_alu instid0(VALU_DEP_2) | instskip(NEXT) | instid1(VALU_DEP_2)
	v_add_f64_e32 v[14:15], v[14:15], v[4:5]
	v_add_f64_e32 v[16:17], v[16:17], v[20:21]
.LBB86_409:                             ;   in Loop: Header=BB86_3 Depth=1
	s_or_b32 exec_lo, exec_lo, s17
.LBB86_410:                             ;   in Loop: Header=BB86_3 Depth=1
	s_delay_alu instid0(SALU_CYCLE_1)
	s_or_b32 exec_lo, exec_lo, s33
	s_and_saveexec_b32 s17, s69
	s_cbranch_execz .LBB86_412
; %bb.411:                              ;   in Loop: Header=BB86_3 Depth=1
	s_delay_alu instid0(VALU_DEP_1) | instskip(NEXT) | instid1(VALU_DEP_3)
	v_xor_b32_e32 v203, 0x80000000, v17
	v_xor_b32_e32 v201, 0x80000000, v15
	s_delay_alu instid0(VALU_DEP_3)
	v_dual_mov_b32 v200, v14 :: v_dual_mov_b32 v202, v16
	ds_store_b128 v183, v[200:203]
.LBB86_412:                             ;   in Loop: Header=BB86_3 Depth=1
	s_or_b32 exec_lo, exec_lo, s17
	s_wait_loadcnt_dscnt 0x0
	s_barrier_signal -1
	s_barrier_wait -1
	s_and_saveexec_b32 s17, s70
	s_cbranch_execz .LBB86_414
; %bb.413:                              ;   in Loop: Header=BB86_3 Depth=1
	ds_load_b128 v[200:203], v183
	ds_load_b128 v[204:207], v180 offset:1536
	s_wait_dscnt 0x0
	v_mul_f64_e32 v[4:5], v[202:203], v[206:207]
	v_mul_f64_e32 v[20:21], v[200:201], v[206:207]
	s_delay_alu instid0(VALU_DEP_2) | instskip(NEXT) | instid1(VALU_DEP_2)
	v_fma_f64 v[4:5], v[200:201], v[204:205], -v[4:5]
	v_fmac_f64_e32 v[20:21], v[202:203], v[204:205]
	s_delay_alu instid0(VALU_DEP_2) | instskip(NEXT) | instid1(VALU_DEP_2)
	v_add_f64_e64 v[14:15], v[14:15], -v[4:5]
	v_add_f64_e64 v[16:17], v[16:17], -v[20:21]
.LBB86_414:                             ;   in Loop: Header=BB86_3 Depth=1
	s_or_b32 exec_lo, exec_lo, s17
	s_barrier_signal -1
	s_barrier_wait -1
	s_and_saveexec_b32 s17, s71
	s_cbranch_execz .LBB86_416
; %bb.415:                              ;   in Loop: Header=BB86_3 Depth=1
	s_delay_alu instid0(VALU_DEP_1) | instskip(NEXT) | instid1(VALU_DEP_3)
	v_xor_b32_e32 v203, 0x80000000, v17
	v_xor_b32_e32 v201, 0x80000000, v15
	s_delay_alu instid0(VALU_DEP_3)
	v_dual_mov_b32 v200, v14 :: v_dual_mov_b32 v202, v16
	ds_store_b128 v183, v[200:203]
.LBB86_416:                             ;   in Loop: Header=BB86_3 Depth=1
	s_or_b32 exec_lo, exec_lo, s17
	s_wait_dscnt 0x0
	s_barrier_signal -1
	s_barrier_wait -1
	s_and_saveexec_b32 s17, s72
	s_cbranch_execz .LBB86_418
; %bb.417:                              ;   in Loop: Header=BB86_3 Depth=1
	ds_load_b128 v[200:203], v183
	ds_load_b128 v[204:207], v180 offset:1024
	s_wait_dscnt 0x0
	v_mul_f64_e32 v[4:5], v[202:203], v[206:207]
	v_mul_f64_e32 v[20:21], v[200:201], v[206:207]
	s_delay_alu instid0(VALU_DEP_2) | instskip(NEXT) | instid1(VALU_DEP_2)
	v_fma_f64 v[4:5], v[200:201], v[204:205], -v[4:5]
	v_fmac_f64_e32 v[20:21], v[202:203], v[204:205]
	s_delay_alu instid0(VALU_DEP_2) | instskip(NEXT) | instid1(VALU_DEP_2)
	v_add_f64_e64 v[14:15], v[14:15], -v[4:5]
	v_add_f64_e64 v[16:17], v[16:17], -v[20:21]
.LBB86_418:                             ;   in Loop: Header=BB86_3 Depth=1
	s_or_b32 exec_lo, exec_lo, s17
	s_barrier_signal -1
	s_barrier_wait -1
	s_and_saveexec_b32 s17, s73
	s_cbranch_execz .LBB86_420
; %bb.419:                              ;   in Loop: Header=BB86_3 Depth=1
	s_delay_alu instid0(VALU_DEP_1) | instskip(NEXT) | instid1(VALU_DEP_3)
	v_xor_b32_e32 v203, 0x80000000, v17
	v_xor_b32_e32 v201, 0x80000000, v15
	s_delay_alu instid0(VALU_DEP_3)
	v_dual_mov_b32 v200, v14 :: v_dual_mov_b32 v202, v16
	ds_store_b128 v183, v[200:203]
.LBB86_420:                             ;   in Loop: Header=BB86_3 Depth=1
	s_or_b32 exec_lo, exec_lo, s17
	s_wait_dscnt 0x0
	;; [unrolled: 32-line block ×3, first 2 shown]
	s_barrier_signal -1
	s_barrier_wait -1
	s_barrier_signal -1
	s_barrier_wait -1
	s_and_saveexec_b32 s17, s4
; %bb.425:                              ;   in Loop: Header=BB86_3 Depth=1
	ds_store_b128 v185, v[14:17] offset:3584
; %bb.426:                              ;   in Loop: Header=BB86_3 Depth=1
	s_or_b32 exec_lo, exec_lo, s17
	s_wait_dscnt 0x0
	s_barrier_signal -1
	s_barrier_wait -1
	s_barrier_signal -1
	s_barrier_wait -1
	s_and_saveexec_b32 s17, s75
	s_cbranch_execz .LBB86_428
; %bb.427:                              ;   in Loop: Header=BB86_3 Depth=1
	ds_load_b128 v[14:17], v105
	s_wait_dscnt 0x0
	ds_store_b128 v172, v[14:17]
	ds_load_b128 v[14:17], v192
	s_wait_dscnt 0x0
	ds_store_b128 v175, v[14:17]
	;; [unrolled: 3-line block ×4, first 2 shown]
.LBB86_428:                             ;   in Loop: Header=BB86_3 Depth=1
	s_or_b32 exec_lo, exec_lo, s17
	s_wait_dscnt 0x0
	s_barrier_signal -1
	s_barrier_wait -1
	s_and_saveexec_b32 s33, s27
	s_cbranch_execz .LBB86_430
; %bb.429:                              ;   in Loop: Header=BB86_3 Depth=1
	s_mov_b32 s36, s35
	s_mov_b32 s38, s35
	;; [unrolled: 1-line block ×3, first 2 shown]
	v_mov_b64_e32 v[14:15], s[36:37]
	v_mov_b64_e32 v[16:17], s[38:39]
	ds_store_b128 v3, v[14:17] offset:1056
	ds_store_b128 v3, v[14:17] offset:1584
	ds_load_b128 v[14:17], v3 offset:1568
	s_wait_dscnt 0x0
	ds_store_b128 v3, v[14:17] offset:1072
.LBB86_430:                             ;   in Loop: Header=BB86_3 Depth=1
	s_or_b32 exec_lo, exec_lo, s33
	v_mov_b64_e32 v[14:15], 0
	v_mov_b64_e32 v[16:17], 0
	s_wait_dscnt 0x0
	s_barrier_signal -1
	s_barrier_wait -1
	global_wb scope:SCOPE_DEV
	s_wait_storecnt 0x0
	global_inv scope:SCOPE_DEV
	s_and_saveexec_b32 s33, s2
	s_cbranch_execz .LBB86_434
; %bb.431:                              ;   in Loop: Header=BB86_3 Depth=1
	ds_load_b128 v[14:17], v44 offset:1568
	ds_load_b128 v[200:203], v178 offset:1024
	s_wait_dscnt 0x0
	v_mul_f64_e32 v[4:5], v[16:17], v[202:203]
	v_mul_f64_e32 v[20:21], v[14:15], v[202:203]
	s_delay_alu instid0(VALU_DEP_2) | instskip(NEXT) | instid1(VALU_DEP_2)
	v_fma_f64 v[4:5], v[14:15], v[200:201], -v[4:5]
	v_fmac_f64_e32 v[20:21], v[16:17], v[200:201]
	s_delay_alu instid0(VALU_DEP_2) | instskip(NEXT) | instid1(VALU_DEP_2)
	v_add_f64_e32 v[14:15], 0, v[4:5]
	v_add_f64_e32 v[16:17], 0, v[20:21]
	s_and_saveexec_b32 s17, s8
	s_cbranch_execz .LBB86_433
; %bb.432:                              ;   in Loop: Header=BB86_3 Depth=1
	ds_load_b128 v[200:203], v3 offset:1584
	ds_load_b128 v[204:207], v98 offset:1536
	s_wait_dscnt 0x0
	v_mul_f64_e32 v[4:5], v[202:203], v[206:207]
	v_mul_f64_e32 v[20:21], v[200:201], v[206:207]
	s_delay_alu instid0(VALU_DEP_2) | instskip(NEXT) | instid1(VALU_DEP_2)
	v_fma_f64 v[4:5], v[200:201], v[204:205], -v[4:5]
	v_fmac_f64_e32 v[20:21], v[202:203], v[204:205]
	s_delay_alu instid0(VALU_DEP_2) | instskip(NEXT) | instid1(VALU_DEP_2)
	v_add_f64_e32 v[14:15], v[14:15], v[4:5]
	v_add_f64_e32 v[16:17], v[16:17], v[20:21]
.LBB86_433:                             ;   in Loop: Header=BB86_3 Depth=1
	s_or_b32 exec_lo, exec_lo, s17
.LBB86_434:                             ;   in Loop: Header=BB86_3 Depth=1
	s_delay_alu instid0(SALU_CYCLE_1)
	s_or_b32 exec_lo, exec_lo, s33
	s_and_saveexec_b32 s17, s66
	s_cbranch_execz .LBB86_436
; %bb.435:                              ;   in Loop: Header=BB86_3 Depth=1
	s_delay_alu instid0(VALU_DEP_2) | instskip(NEXT) | instid1(VALU_DEP_2)
	v_xor_b32_e32 v201, 0x80000000, v15
	v_xor_b32_e32 v203, 0x80000000, v17
	s_delay_alu instid0(VALU_DEP_3)
	v_dual_mov_b32 v200, v14 :: v_dual_mov_b32 v202, v16
	ds_store_b128 v179, v[200:203]
.LBB86_436:                             ;   in Loop: Header=BB86_3 Depth=1
	s_or_b32 exec_lo, exec_lo, s17
	s_wait_loadcnt_dscnt 0x0
	s_barrier_signal -1
	s_barrier_wait -1
	s_and_saveexec_b32 s17, s67
	s_cbranch_execz .LBB86_438
; %bb.437:                              ;   in Loop: Header=BB86_3 Depth=1
	ds_load_b128 v[200:203], v179
	ds_load_b128 v[204:207], v3 offset:512
	s_wait_dscnt 0x0
	v_mul_f64_e32 v[4:5], v[200:201], v[204:205]
	v_mul_f64_e32 v[20:21], v[200:201], v[206:207]
	s_delay_alu instid0(VALU_DEP_2) | instskip(NEXT) | instid1(VALU_DEP_2)
	v_fma_f64 v[4:5], v[202:203], v[206:207], -v[4:5]
	v_fmac_f64_e32 v[20:21], v[202:203], v[204:205]
	s_delay_alu instid0(VALU_DEP_2) | instskip(NEXT) | instid1(VALU_DEP_2)
	v_add_f64_e32 v[14:15], v[14:15], v[4:5]
	v_add_f64_e64 v[16:17], v[16:17], -v[20:21]
.LBB86_438:                             ;   in Loop: Header=BB86_3 Depth=1
	s_or_b32 exec_lo, exec_lo, s17
	s_barrier_signal -1
	s_barrier_wait -1
	s_and_saveexec_b32 s17, s67
	s_cbranch_execz .LBB86_440
; %bb.439:                              ;   in Loop: Header=BB86_3 Depth=1
	s_delay_alu instid0(VALU_DEP_2) | instskip(NEXT) | instid1(VALU_DEP_2)
	v_xor_b32_e32 v201, 0x80000000, v15
	v_xor_b32_e32 v203, 0x80000000, v17
	s_delay_alu instid0(VALU_DEP_3)
	v_dual_mov_b32 v200, v14 :: v_dual_mov_b32 v202, v16
	ds_store_b128 v179, v[200:203]
.LBB86_440:                             ;   in Loop: Header=BB86_3 Depth=1
	s_or_b32 exec_lo, exec_lo, s17
	s_wait_dscnt 0x0
	s_barrier_signal -1
	s_barrier_wait -1
	s_barrier_signal -1
	s_barrier_wait -1
	s_and_saveexec_b32 s17, s2
; %bb.441:                              ;   in Loop: Header=BB86_3 Depth=1
	ds_store_b128 v181, v[14:17] offset:1536
; %bb.442:                              ;   in Loop: Header=BB86_3 Depth=1
	s_or_b32 exec_lo, exec_lo, s17
	s_wait_dscnt 0x0
	s_barrier_signal -1
	s_barrier_wait -1
	s_barrier_signal -1
	s_barrier_wait -1
	s_and_saveexec_b32 s17, s68
	s_cbranch_execz .LBB86_444
; %bb.443:                              ;   in Loop: Header=BB86_3 Depth=1
	ds_load_b128 v[14:17], v110
	s_wait_dscnt 0x0
	ds_store_b128 v114, v[14:17]
	ds_load_b128 v[14:17], v111
	s_wait_dscnt 0x0
	ds_store_b128 v115, v[14:17]
.LBB86_444:                             ;   in Loop: Header=BB86_3 Depth=1
	s_or_b32 exec_lo, exec_lo, s17
	s_wait_dscnt 0x0
	s_barrier_signal -1
	s_barrier_wait -1
	s_and_saveexec_b32 s33, s27
	s_cbranch_execz .LBB86_446
; %bb.445:                              ;   in Loop: Header=BB86_3 Depth=1
	s_mov_b32 s36, s35
	s_mov_b32 s38, s35
	;; [unrolled: 1-line block ×3, first 2 shown]
	v_mov_b64_e32 v[14:15], s[36:37]
	v_mov_b64_e32 v[16:17], s[38:39]
	ds_store_b128 v3, v[14:17]
	ds_store_b128 v3, v[14:17] offset:528
	ds_load_b128 v[14:17], v3 offset:512
	s_wait_dscnt 0x0
	ds_store_b128 v3, v[14:17] offset:16
.LBB86_446:                             ;   in Loop: Header=BB86_3 Depth=1
	s_or_b32 exec_lo, exec_lo, s33
.LBB86_447:                             ;   in Loop: Header=BB86_3 Depth=1
	v_mov_b64_e32 v[14:15], 0
	s_mul_u64 s[38:39], s[54:55], s[34:35]
	s_wait_dscnt 0x0
	s_lshl_b64 s[38:39], s[38:39], 4
	s_barrier_signal -1
	s_add_nc_u64 s[38:39], s[48:49], s[38:39]
	s_barrier_wait -1
	v_mov_b64_e32 v[16:17], v[14:15]
	s_and_saveexec_b32 s17, s101
	s_cbranch_execz .LBB86_449
; %bb.448:                              ;   in Loop: Header=BB86_3 Depth=1
	v_lshl_add_u64 v[4:5], v[32:33], 4, s[38:39]
	global_load_b128 v[200:203], v[4:5], off
	s_wait_loadcnt 0x0
	v_mul_f64_e32 v[4:5], s[44:45], v[200:201]
	s_delay_alu instid0(VALU_DEP_1) | instskip(SKIP_1) | instid1(VALU_DEP_1)
	v_fma_f64 v[14:15], s[46:47], v[202:203], -v[4:5]
	v_mul_f64_e32 v[4:5], s[44:45], v[202:203]
	v_fma_f64 v[16:17], v[200:201], -s[46:47], -v[4:5]
.LBB86_449:                             ;   in Loop: Header=BB86_3 Depth=1
	s_or_b32 exec_lo, exec_lo, s17
	s_delay_alu instid0(SALU_CYCLE_1)
	s_and_not1_b32 vcc_lo, exec_lo, s19
	s_cbranch_vccnz .LBB86_472
; %bb.450:                              ;   in Loop: Header=BB86_3 Depth=1
	v_mov_b32_e32 v23, -1
	s_lshl_b64 s[58:59], s[34:35], 2
	s_mov_b32 s36, 0
	s_add_nc_u64 s[58:59], s[50:51], s[58:59]
	s_branch .LBB86_453
.LBB86_451:                             ;   in Loop: Header=BB86_453 Depth=2
	ds_load_b128 v[200:203], v194 offset:256
	s_wait_loadcnt_dscnt 0x0
	v_mul_f64_e32 v[4:5], v[42:43], v[202:203]
	s_delay_alu instid0(VALU_DEP_1) | instskip(SKIP_1) | instid1(VALU_DEP_2)
	v_fma_f64 v[4:5], v[20:21], v[200:201], -v[4:5]
	v_mul_f64_e32 v[20:21], v[20:21], v[202:203]
	v_add_f64_e32 v[14:15], v[14:15], v[4:5]
	s_delay_alu instid0(VALU_DEP_2) | instskip(NEXT) | instid1(VALU_DEP_1)
	v_fmac_f64_e32 v[20:21], v[42:43], v[200:201]
	v_add_f64_e32 v[16:17], v[16:17], v[20:21]
.LBB86_452:                             ;   in Loop: Header=BB86_453 Depth=2
	s_or_b32 exec_lo, exec_lo, s33
	s_add_co_i32 s36, s36, 1
	s_delay_alu instid0(SALU_CYCLE_1)
	s_cmp_eq_u32 s36, s62
	s_cbranch_scc1 .LBB86_472
.LBB86_453:                             ;   Parent Loop BB86_3 Depth=1
                                        ; =>  This Loop Header: Depth=2
                                        ;       Child Loop BB86_455 Depth 3
	v_cmp_gt_i32_e32 vcc_lo, s36, v23
	s_and_b32 s33, s30, vcc_lo
	s_delay_alu instid0(SALU_CYCLE_1)
	s_and_saveexec_b32 s17, s33
	s_cbranch_execz .LBB86_456
; %bb.454:                              ;   in Loop: Header=BB86_453 Depth=2
	global_load_b32 v23, v3, s[58:59]
	s_wait_loadcnt 0x0
	v_cmp_le_i32_e32 vcc_lo, s36, v23
	s_cbranch_vccnz .LBB86_456
.LBB86_455:                             ;   Parent Loop BB86_3 Depth=1
                                        ;     Parent Loop BB86_453 Depth=2
                                        ; =>    This Inner Loop Header: Depth=3
	global_wb scope:SCOPE_DEV
	s_wait_storecnt 0x0
	global_inv scope:SCOPE_DEV
	global_load_b32 v23, v3, s[58:59]
	s_wait_loadcnt 0x0
	v_cmp_gt_i32_e32 vcc_lo, s36, v23
	s_cbranch_vccnz .LBB86_455
.LBB86_456:                             ;   in Loop: Header=BB86_453 Depth=2
	s_or_b32 exec_lo, exec_lo, s17
	s_lshl_b32 s33, s36, 5
	global_wb scope:SCOPE_DEV
	s_wait_storecnt 0x0
	global_inv scope:SCOPE_DEV
	s_wait_loadcnt 0x0
	s_barrier_signal -1
	s_barrier_wait -1
	s_and_saveexec_b32 s17, s31
	s_cbranch_execz .LBB86_461
; %bb.457:                              ;   in Loop: Header=BB86_453 Depth=2
	v_or_b32_e32 v2, s33, v26
	s_delay_alu instid0(VALU_DEP_1) | instskip(SKIP_1) | instid1(SALU_CYCLE_1)
	v_cmp_le_i32_e32 vcc_lo, s61, v2
	s_and_saveexec_b32 s16, vcc_lo
	s_xor_b32 vcc_lo, exec_lo, s16
; %bb.458:                              ;   in Loop: Header=BB86_453 Depth=2
	v_dual_mov_b32 v2, v3 :: v_dual_mov_b32 v4, v3
	v_mov_b32_e32 v5, v3
	ds_store_b128 v176, v[2:5]
; %bb.459:                              ;   in Loop: Header=BB86_453 Depth=2
	s_and_not1_saveexec_b32 s16, vcc_lo
	s_cbranch_execz .LBB86_461
; %bb.460:                              ;   in Loop: Header=BB86_453 Depth=2
	v_mul_u64_e32 v[4:5], s[52:53], v[2:3]
	s_delay_alu instid0(VALU_DEP_1)
	v_lshl_add_u64 v[4:5], v[4:5], 4, s[38:39]
	global_load_b128 v[200:203], v[4:5], off
	s_wait_loadcnt 0x0
	ds_store_2addr_b64 v176, v[200:201], v[202:203] offset1:1
.LBB86_461:                             ;   in Loop: Header=BB86_453 Depth=2
	s_or_b32 exec_lo, exec_lo, s17
	v_add_nc_u32_e32 v2, s33, v22
	v_cmp_ne_u32_e32 vcc_lo, s36, v25
	s_wait_dscnt 0x0
	s_barrier_signal -1
	s_barrier_wait -1
	v_cmp_gt_i32_e64 s33, s61, v2
	v_lshl_add_u64 v[4:5], v[2:3], 4, v[18:19]
	v_cndmask_b32_e64 v200, 0, 1, vcc_lo
	s_and_b32 s16, s33, s0
	s_delay_alu instid0(SALU_CYCLE_1)
	s_and_saveexec_b32 s33, s16
	s_cbranch_execz .LBB86_467
; %bb.462:                              ;   in Loop: Header=BB86_453 Depth=2
	v_mov_b64_e32 v[20:21], v[6:7]
	s_and_not1_b32 vcc_lo, exec_lo, vcc_lo
	s_cbranch_vccnz .LBB86_464
; %bb.463:                              ;   in Loop: Header=BB86_453 Depth=2
	global_load_b64 v[20:21], v[4:5], off
.LBB86_464:                             ;   in Loop: Header=BB86_453 Depth=2
	v_cmp_ne_u32_e32 vcc_lo, 1, v200
	v_mov_b64_e32 v[42:43], v[8:9]
	s_cbranch_vccnz .LBB86_466
; %bb.465:                              ;   in Loop: Header=BB86_453 Depth=2
	global_load_b64 v[42:43], v[4:5], off offset:8
.LBB86_466:                             ;   in Loop: Header=BB86_453 Depth=2
	ds_load_b128 v[202:205], v194
	s_wait_loadcnt_dscnt 0x0
	v_mul_f64_e32 v[206:207], v[42:43], v[204:205]
	s_delay_alu instid0(VALU_DEP_1) | instskip(SKIP_1) | instid1(VALU_DEP_2)
	v_fma_f64 v[206:207], v[20:21], v[202:203], -v[206:207]
	v_mul_f64_e32 v[20:21], v[20:21], v[204:205]
	v_add_f64_e32 v[14:15], v[14:15], v[206:207]
	s_delay_alu instid0(VALU_DEP_2) | instskip(NEXT) | instid1(VALU_DEP_1)
	v_fmac_f64_e32 v[20:21], v[42:43], v[202:203]
	v_add_f64_e32 v[16:17], v[16:17], v[20:21]
.LBB86_467:                             ;   in Loop: Header=BB86_453 Depth=2
	s_or_b32 exec_lo, exec_lo, s33
	v_add_nc_u32_e32 v2, 16, v2
	s_delay_alu instid0(VALU_DEP_1) | instskip(SKIP_1) | instid1(SALU_CYCLE_1)
	v_cmp_gt_i32_e32 vcc_lo, s61, v2
	s_and_b32 s16, vcc_lo, s0
	s_and_saveexec_b32 s33, s16
	s_cbranch_execz .LBB86_452
; %bb.468:                              ;   in Loop: Header=BB86_453 Depth=2
	v_cmp_ne_u32_e32 vcc_lo, 1, v200
	v_mov_b64_e32 v[20:21], v[10:11]
	s_cbranch_vccnz .LBB86_470
; %bb.469:                              ;   in Loop: Header=BB86_453 Depth=2
	global_load_b64 v[20:21], v[4:5], off offset:256
.LBB86_470:                             ;   in Loop: Header=BB86_453 Depth=2
	v_cmp_ne_u32_e32 vcc_lo, 1, v200
	v_mov_b64_e32 v[42:43], v[12:13]
	s_cbranch_vccnz .LBB86_451
; %bb.471:                              ;   in Loop: Header=BB86_453 Depth=2
	global_load_b64 v[42:43], v[4:5], off offset:264
	s_branch .LBB86_451
.LBB86_472:                             ;   in Loop: Header=BB86_3 Depth=1
	ds_store_b128 v177, v[14:17]
	s_wait_dscnt 0x0
	s_barrier_signal -1
	s_barrier_wait -1
	s_and_saveexec_b32 s33, s3
	s_cbranch_execz .LBB86_474
; %bb.473:                              ;   in Loop: Header=BB86_3 Depth=1
	ds_load_b128 v[18:21], v198 offset:512
	s_wait_dscnt 0x0
	v_add_f64_e32 v[4:5], v[14:15], v[18:19]
	v_add_f64_e32 v[18:19], v[16:17], v[20:21]
	ds_load_b128 v[14:17], v198 offset:1024
	s_wait_dscnt 0x0
	v_add_f64_e32 v[4:5], v[4:5], v[14:15]
	v_add_f64_e32 v[18:19], v[18:19], v[16:17]
	;; [unrolled: 4-line block ×15, first 2 shown]
	s_delay_alu instid0(VALU_DEP_2) | instskip(NEXT) | instid1(VALU_DEP_2)
	v_xor_b32_e32 v2, 0x80000000, v5
	v_xor_b32_e32 v5, 0x80000000, v17
	s_delay_alu instid0(VALU_DEP_4) | instskip(NEXT) | instid1(VALU_DEP_4)
	v_cndmask_b32_e64 v14, v4, 0, s98
	v_cndmask_b32_e64 v16, v16, 0, s98
	s_delay_alu instid0(VALU_DEP_4) | instskip(NEXT) | instid1(VALU_DEP_4)
	v_cndmask_b32_e64 v15, v2, 0, s98
	v_cndmask_b32_e64 v17, v5, 0, s98
.LBB86_474:                             ;   in Loop: Header=BB86_3 Depth=1
	s_or_b32 exec_lo, exec_lo, s33
	s_delay_alu instid0(SALU_CYCLE_1)
	s_and_not1_b32 vcc_lo, exec_lo, s65
	s_cbranch_vccnz .LBB86_483
; %bb.475:                              ;   in Loop: Header=BB86_3 Depth=1
	s_and_saveexec_b32 s17, s3
; %bb.476:                              ;   in Loop: Header=BB86_3 Depth=1
	ds_store_b128 v199, v[14:17]
; %bb.477:                              ;   in Loop: Header=BB86_3 Depth=1
	s_or_b32 exec_lo, exec_lo, s17
	v_mov_b64_e32 v[18:19], 0
	v_mov_b64_e32 v[20:21], 0
	s_wait_dscnt 0x0
	s_barrier_signal -1
	s_barrier_wait -1
	s_and_saveexec_b32 s17, s1
	s_cbranch_execz .LBB86_479
; %bb.478:                              ;   in Loop: Header=BB86_3 Depth=1
	ds_load_b128 v[18:21], v194
	ds_load_b128 v[200:203], v195
	s_wait_dscnt 0x0
	v_mul_f64_e32 v[4:5], v[20:21], v[202:203]
	v_mul_f64_e32 v[42:43], v[18:19], v[202:203]
	s_delay_alu instid0(VALU_DEP_2) | instskip(NEXT) | instid1(VALU_DEP_2)
	v_fma_f64 v[4:5], v[18:19], v[200:201], -v[4:5]
	v_fmac_f64_e32 v[42:43], v[20:21], v[200:201]
	s_delay_alu instid0(VALU_DEP_2) | instskip(NEXT) | instid1(VALU_DEP_2)
	v_add_f64_e32 v[18:19], 0, v[4:5]
	v_add_f64_e32 v[20:21], 0, v[42:43]
.LBB86_479:                             ;   in Loop: Header=BB86_3 Depth=1
	s_or_b32 exec_lo, exec_lo, s17
	s_and_saveexec_b32 s17, s7
	s_cbranch_execz .LBB86_481
; %bb.480:                              ;   in Loop: Header=BB86_3 Depth=1
	ds_load_b128 v[200:203], v194 offset:256
	ds_load_b128 v[204:207], v195 offset:8192
	s_wait_dscnt 0x0
	v_mul_f64_e32 v[4:5], v[202:203], v[206:207]
	v_mul_f64_e32 v[42:43], v[200:201], v[206:207]
	s_delay_alu instid0(VALU_DEP_2) | instskip(NEXT) | instid1(VALU_DEP_2)
	v_fma_f64 v[4:5], v[200:201], v[204:205], -v[4:5]
	v_fmac_f64_e32 v[42:43], v[202:203], v[204:205]
	s_delay_alu instid0(VALU_DEP_2) | instskip(NEXT) | instid1(VALU_DEP_2)
	v_add_f64_e32 v[18:19], v[18:19], v[4:5]
	v_add_f64_e32 v[20:21], v[20:21], v[42:43]
.LBB86_481:                             ;   in Loop: Header=BB86_3 Depth=1
	s_or_b32 exec_lo, exec_lo, s17
	s_mov_b32 s36, 0
	s_mov_b32 s33, 0
	ds_store_b128 v177, v[18:21]
	s_wait_dscnt 0x0
	s_barrier_signal -1
	s_barrier_wait -1
                                        ; implicit-def: $vgpr4_vgpr5
                                        ; implicit-def: $vgpr42_vgpr43
	s_and_saveexec_b32 s58, s3
	s_cbranch_execz .LBB86_513
; %bb.482:                              ;   in Loop: Header=BB86_3 Depth=1
	ds_load_b128 v[200:203], v198 offset:512
	s_mov_b32 s33, exec_lo
	s_wait_dscnt 0x0
	v_add_f64_e32 v[4:5], v[18:19], v[200:201]
	v_add_f64_e32 v[42:43], v[20:21], v[202:203]
	ds_load_b128 v[18:21], v198 offset:1024
	s_wait_dscnt 0x0
	v_add_f64_e32 v[4:5], v[4:5], v[18:19]
	v_add_f64_e32 v[42:43], v[42:43], v[20:21]
	ds_load_b128 v[18:21], v198 offset:1536
	;; [unrolled: 4-line block ×14, first 2 shown]
	s_wait_dscnt 0x0
	v_add_f64_e32 v[42:43], v[4:5], v[18:19]
	v_add_f64_e32 v[4:5], v[200:201], v[20:21]
	s_or_b32 exec_lo, exec_lo, s58
	s_delay_alu instid0(SALU_CYCLE_1)
	s_and_b32 vcc_lo, exec_lo, s36
	s_cbranch_vccnz .LBB86_484
	s_branch .LBB86_514
.LBB86_483:                             ;   in Loop: Header=BB86_3 Depth=1
	s_mov_b32 s33, 0
                                        ; implicit-def: $vgpr4_vgpr5
                                        ; implicit-def: $vgpr42_vgpr43
	s_cbranch_execz .LBB86_514
.LBB86_484:                             ;   in Loop: Header=BB86_3 Depth=1
	v_dual_mov_b32 v2, v24 :: v_dual_mov_b32 v4, v27
	s_mov_b32 s36, 0
	s_branch .LBB86_486
.LBB86_485:                             ;   in Loop: Header=BB86_486 Depth=2
	s_or_b32 exec_lo, exec_lo, s17
	v_add_nc_u32_e32 v4, 0x400, v4
	v_add_nc_u32_e32 v2, -2, v2
	s_add_co_i32 s36, s36, 2
	s_delay_alu instid0(SALU_CYCLE_1)
	s_cmp_lg_u32 s36, 32
	s_barrier_signal -1
	s_barrier_wait -1
	s_cbranch_scc0 .LBB86_494
.LBB86_486:                             ;   Parent Loop BB86_3 Depth=1
                                        ; =>  This Inner Loop Header: Depth=2
	s_delay_alu instid0(VALU_DEP_1) | instskip(SKIP_1) | instid1(SALU_CYCLE_1)
	v_cmp_eq_u32_e32 vcc_lo, 0, v2
	s_and_b32 s16, s3, vcc_lo
	s_and_saveexec_b32 s17, s16
; %bb.487:                              ;   in Loop: Header=BB86_486 Depth=2
	ds_store_b128 v3, v[14:17] offset:25088
; %bb.488:                              ;   in Loop: Header=BB86_486 Depth=2
	s_or_b32 exec_lo, exec_lo, s17
	v_cmp_lt_u32_e32 vcc_lo, s36, v24
	s_wait_dscnt 0x0
	s_barrier_signal -1
	s_barrier_wait -1
	s_and_b32 s16, s3, vcc_lo
	s_delay_alu instid0(SALU_CYCLE_1)
	s_and_saveexec_b32 s17, s16
	s_cbranch_execz .LBB86_490
; %bb.489:                              ;   in Loop: Header=BB86_486 Depth=2
	ds_load_b128 v[18:21], v3 offset:25088
	ds_load_b128 v[200:203], v4
	s_wait_dscnt 0x0
	v_mul_f64_e32 v[42:43], v[20:21], v[202:203]
	s_delay_alu instid0(VALU_DEP_1) | instskip(SKIP_1) | instid1(VALU_DEP_2)
	v_fma_f64 v[42:43], v[18:19], v[200:201], -v[42:43]
	v_mul_f64_e32 v[18:19], v[18:19], v[202:203]
	v_add_f64_e32 v[14:15], v[14:15], v[42:43]
	s_delay_alu instid0(VALU_DEP_2) | instskip(NEXT) | instid1(VALU_DEP_1)
	v_fmac_f64_e32 v[18:19], v[20:21], v[200:201]
	v_add_f64_e32 v[16:17], v[16:17], v[18:19]
.LBB86_490:                             ;   in Loop: Header=BB86_486 Depth=2
	s_or_b32 exec_lo, exec_lo, s17
	s_or_b32 s17, s36, 1
	s_delay_alu instid0(SALU_CYCLE_1) | instskip(SKIP_3) | instid1(SALU_CYCLE_1)
	v_cmp_eq_u32_e32 vcc_lo, s17, v24
	s_barrier_signal -1
	s_barrier_wait -1
	s_and_b32 s16, s3, vcc_lo
	s_and_saveexec_b32 s58, s16
; %bb.491:                              ;   in Loop: Header=BB86_486 Depth=2
	ds_store_b128 v3, v[14:17] offset:25088
; %bb.492:                              ;   in Loop: Header=BB86_486 Depth=2
	s_or_b32 exec_lo, exec_lo, s58
	v_cmp_lt_u32_e32 vcc_lo, s17, v24
	s_wait_dscnt 0x0
	s_barrier_signal -1
	s_barrier_wait -1
	s_and_b32 s16, s3, vcc_lo
	s_delay_alu instid0(SALU_CYCLE_1)
	s_and_saveexec_b32 s17, s16
	s_cbranch_execz .LBB86_485
; %bb.493:                              ;   in Loop: Header=BB86_486 Depth=2
	ds_load_b128 v[18:21], v3 offset:25088
	ds_load_b128 v[200:203], v4 offset:512
	s_wait_dscnt 0x0
	v_mul_f64_e32 v[42:43], v[20:21], v[202:203]
	s_delay_alu instid0(VALU_DEP_1) | instskip(SKIP_1) | instid1(VALU_DEP_2)
	v_fma_f64 v[42:43], v[18:19], v[200:201], -v[42:43]
	v_mul_f64_e32 v[18:19], v[18:19], v[202:203]
	v_add_f64_e32 v[14:15], v[14:15], v[42:43]
	s_delay_alu instid0(VALU_DEP_2) | instskip(NEXT) | instid1(VALU_DEP_1)
	v_fmac_f64_e32 v[18:19], v[20:21], v[200:201]
	v_add_f64_e32 v[16:17], v[16:17], v[18:19]
	s_branch .LBB86_485
.LBB86_494:                             ;   in Loop: Header=BB86_3 Depth=1
	s_and_b32 vcc_lo, exec_lo, s64
	s_mov_b32 s17, -1
	s_cbranch_vccz .LBB86_496
; %bb.495:                              ;   in Loop: Header=BB86_3 Depth=1
	s_and_not1_b32 s16, s33, exec_lo
	s_and_b32 s33, s3, exec_lo
	s_mov_b32 s17, 0
	s_or_b32 s33, s16, s33
.LBB86_496:                             ;   in Loop: Header=BB86_3 Depth=1
	s_and_not1_b32 vcc_lo, exec_lo, s17
	s_cbranch_vccnz .LBB86_498
; %bb.497:                              ;   in Loop: Header=BB86_3 Depth=1
	v_readlane_b32 s17, v208, 15
	s_and_not1_b32 s16, s33, exec_lo
	s_and_b32 s17, s17, exec_lo
	s_delay_alu instid0(SALU_CYCLE_1)
	s_or_b32 s33, s16, s17
.LBB86_498:                             ;   in Loop: Header=BB86_3 Depth=1
	v_mov_b64_e32 v[4:5], v[0:1]
	s_and_saveexec_b32 s17, s33
	s_cbranch_execnz .LBB86_515
	s_branch .LBB86_516
.LBB86_499:                             ;   in Loop: Header=BB86_3 Depth=1
	s_and_saveexec_b32 s33, s28
; %bb.500:                              ;   in Loop: Header=BB86_3 Depth=1
	v_dual_mov_b32 v2, v3 :: v_dual_mov_b32 v4, v3
	v_mov_b32_e32 v5, v3
	ds_store_b128 v196, v[2:5]
; %bb.501:                              ;   in Loop: Header=BB86_3 Depth=1
	s_or_b32 exec_lo, exec_lo, s33
	s_and_not1_saveexec_b32 s17, s17
	s_cbranch_execz .LBB86_12
.LBB86_502:                             ;   in Loop: Header=BB86_3 Depth=1
	v_lshl_add_u64 v[4:5], v[40:41], 4, v[14:15]
	global_load_b128 v[200:203], v[4:5], off
	s_wait_loadcnt 0x0
	v_xor_b32_e32 v201, 0x80000000, v201
	v_xor_b32_e32 v203, 0x80000000, v203
	ds_store_b128 v196, v[200:203]
	s_or_b32 exec_lo, exec_lo, s17
	s_and_saveexec_b32 s17, s7
	s_delay_alu instid0(SALU_CYCLE_1)
	s_xor_b32 s17, exec_lo, s17
	s_cbranch_execz .LBB86_13
.LBB86_503:                             ;   in Loop: Header=BB86_3 Depth=1
	s_and_saveexec_b32 s33, s29
; %bb.504:                              ;   in Loop: Header=BB86_3 Depth=1
	v_dual_mov_b32 v2, v3 :: v_dual_mov_b32 v4, v3
	v_mov_b32_e32 v5, v3
	ds_store_b128 v197, v[2:5]
; %bb.505:                              ;   in Loop: Header=BB86_3 Depth=1
	s_or_b32 exec_lo, exec_lo, s33
	s_and_not1_saveexec_b32 s17, s17
	s_cbranch_execnz .LBB86_14
	s_branch .LBB86_15
.LBB86_506:                             ;   in Loop: Header=BB86_3 Depth=1
	s_and_saveexec_b32 s33, s28
; %bb.507:                              ;   in Loop: Header=BB86_3 Depth=1
	v_dual_mov_b32 v2, v3 :: v_dual_mov_b32 v4, v3
	v_mov_b32_e32 v5, v3
	ds_store_b128 v193, v[2:5]
; %bb.508:                              ;   in Loop: Header=BB86_3 Depth=1
	s_or_b32 exec_lo, exec_lo, s33
	s_and_not1_saveexec_b32 s17, s17
	s_cbranch_execz .LBB86_19
.LBB86_509:                             ;   in Loop: Header=BB86_3 Depth=1
	v_lshl_add_u64 v[4:5], v[40:41], 4, v[14:15]
	global_load_b128 v[200:203], v[4:5], off
	s_wait_loadcnt 0x0
	v_xor_b32_e32 v201, 0x80000000, v201
	v_xor_b32_e32 v203, 0x80000000, v203
	ds_store_b128 v193, v[200:203]
	s_or_b32 exec_lo, exec_lo, s17
	s_and_saveexec_b32 s17, s104
	s_delay_alu instid0(SALU_CYCLE_1)
	s_xor_b32 s17, exec_lo, s17
	s_cbranch_execz .LBB86_20
.LBB86_510:                             ;   in Loop: Header=BB86_3 Depth=1
	s_and_saveexec_b32 s33, s29
; %bb.511:                              ;   in Loop: Header=BB86_3 Depth=1
	v_dual_mov_b32 v2, v3 :: v_dual_mov_b32 v4, v3
	v_mov_b32_e32 v5, v3
	ds_store_b128 v197, v[2:5]
; %bb.512:                              ;   in Loop: Header=BB86_3 Depth=1
	s_or_b32 exec_lo, exec_lo, s33
                                        ; implicit-def: $vgpr14_vgpr15
	s_and_not1_saveexec_b32 s17, s17
	s_cbranch_execnz .LBB86_21
	s_branch .LBB86_22
.LBB86_513:                             ;   in Loop: Header=BB86_3 Depth=1
	s_or_b32 exec_lo, exec_lo, s58
	s_delay_alu instid0(SALU_CYCLE_1)
	s_and_b32 vcc_lo, exec_lo, s36
	s_cbranch_vccnz .LBB86_484
.LBB86_514:                             ;   in Loop: Header=BB86_3 Depth=1
	s_delay_alu instid0(VALU_DEP_1) | instskip(NEXT) | instid1(VALU_DEP_3)
	v_mov_b64_e32 v[16:17], v[4:5]
	v_mov_b64_e32 v[14:15], v[42:43]
	;; [unrolled: 1-line block ×3, first 2 shown]
	s_and_saveexec_b32 s17, s33
	s_cbranch_execz .LBB86_516
.LBB86_515:                             ;   in Loop: Header=BB86_3 Depth=1
	s_delay_alu instid0(VALU_DEP_1)
	v_lshl_add_u64 v[4:5], v[4:5], 4, s[38:39]
	global_store_b128 v[4:5], v[14:17], off
.LBB86_516:                             ;   in Loop: Header=BB86_3 Depth=1
	s_wait_xcnt 0x0
	s_or_b32 exec_lo, exec_lo, s17
	global_wb scope:SCOPE_DEV
	s_wait_storecnt 0x0
	global_inv scope:SCOPE_DEV
	s_wait_loadcnt 0x0
	s_barrier_signal -1
	s_barrier_wait -1
	s_and_saveexec_b32 s17, s30
	s_cbranch_execz .LBB86_2
; %bb.517:                              ;   in Loop: Header=BB86_3 Depth=1
	s_lshl_b64 s[38:39], s[34:35], 2
	s_delay_alu instid0(SALU_CYCLE_1)
	s_add_nc_u64 s[38:39], s[50:51], s[38:39]
	global_load_b32 v2, v3, s[38:39]
	s_wait_loadcnt 0x0
	v_add_nc_u32_e32 v2, 1, v2
	global_store_b32 v3, v2, s[38:39]
	s_branch .LBB86_2
.LBB86_518:                             ;   in Loop: Header=BB86_3 Depth=1
	ds_load_b128 v[200:203], v48 offset:16336
	ds_load_b128 v[204:207], v180 offset:15232
	s_wait_dscnt 0x0
	v_mul_f64_e32 v[4:5], v[202:203], v[206:207]
	v_mul_f64_e32 v[20:21], v[200:201], v[206:207]
	s_delay_alu instid0(VALU_DEP_2) | instskip(NEXT) | instid1(VALU_DEP_2)
	v_fma_f64 v[4:5], v[200:201], v[204:205], -v[4:5]
	v_fmac_f64_e32 v[20:21], v[202:203], v[204:205]
	s_delay_alu instid0(VALU_DEP_2) | instskip(NEXT) | instid1(VALU_DEP_2)
	v_add_f64_e32 v[14:15], v[14:15], v[4:5]
	v_add_f64_e32 v[16:17], v[16:17], v[20:21]
	s_or_b32 exec_lo, exec_lo, s17
	s_and_saveexec_b32 s17, s10
	s_cbranch_execz .LBB86_45
.LBB86_519:                             ;   in Loop: Header=BB86_3 Depth=1
	ds_load_b128 v[200:203], v48 offset:16352
	ds_load_b128 v[204:207], v180 offset:15744
	s_wait_dscnt 0x0
	v_mul_f64_e32 v[4:5], v[202:203], v[206:207]
	v_mul_f64_e32 v[20:21], v[200:201], v[206:207]
	s_delay_alu instid0(VALU_DEP_2) | instskip(NEXT) | instid1(VALU_DEP_2)
	v_fma_f64 v[4:5], v[200:201], v[204:205], -v[4:5]
	v_fmac_f64_e32 v[20:21], v[202:203], v[204:205]
	s_delay_alu instid0(VALU_DEP_2) | instskip(NEXT) | instid1(VALU_DEP_2)
	v_add_f64_e32 v[14:15], v[14:15], v[4:5]
	v_add_f64_e32 v[16:17], v[16:17], v[20:21]
	s_or_b32 exec_lo, exec_lo, s17
	s_and_saveexec_b32 s17, s2
	s_cbranch_execnz .LBB86_46
	s_branch .LBB86_47
.LBB86_520:                             ;   in Loop: Header=BB86_3 Depth=1
	ds_load_b128 v[200:203], v49 offset:16272
	ds_load_b128 v[204:207], v182 offset:13056
	s_wait_dscnt 0x0
	v_mul_f64_e32 v[4:5], v[202:203], v[206:207]
	v_mul_f64_e32 v[20:21], v[200:201], v[206:207]
	s_delay_alu instid0(VALU_DEP_2) | instskip(NEXT) | instid1(VALU_DEP_2)
	v_fma_f64 v[4:5], v[200:201], v[204:205], -v[4:5]
	v_fmac_f64_e32 v[20:21], v[202:203], v[204:205]
	s_delay_alu instid0(VALU_DEP_2) | instskip(NEXT) | instid1(VALU_DEP_2)
	v_add_f64_e32 v[14:15], v[14:15], v[4:5]
	v_add_f64_e32 v[16:17], v[16:17], v[20:21]
	s_or_b32 exec_lo, exec_lo, s17
	s_and_saveexec_b32 s17, s12
	s_cbranch_execz .LBB86_87
.LBB86_521:                             ;   in Loop: Header=BB86_3 Depth=1
	ds_load_b128 v[200:203], v49 offset:16288
	ds_load_b128 v[204:207], v182 offset:13568
	s_wait_dscnt 0x0
	v_mul_f64_e32 v[4:5], v[202:203], v[206:207]
	v_mul_f64_e32 v[20:21], v[200:201], v[206:207]
	s_delay_alu instid0(VALU_DEP_2) | instskip(NEXT) | instid1(VALU_DEP_2)
	v_fma_f64 v[4:5], v[200:201], v[204:205], -v[4:5]
	v_fmac_f64_e32 v[20:21], v[202:203], v[204:205]
	s_delay_alu instid0(VALU_DEP_2) | instskip(NEXT) | instid1(VALU_DEP_2)
	v_add_f64_e32 v[14:15], v[14:15], v[4:5]
	v_add_f64_e32 v[16:17], v[16:17], v[20:21]
	s_or_b32 exec_lo, exec_lo, s17
	s_and_saveexec_b32 s17, s13
	s_cbranch_execz .LBB86_88
.LBB86_522:                             ;   in Loop: Header=BB86_3 Depth=1
	ds_load_b128 v[200:203], v49 offset:16304
	ds_load_b128 v[204:207], v182 offset:14080
	s_wait_dscnt 0x0
	v_mul_f64_e32 v[4:5], v[202:203], v[206:207]
	v_mul_f64_e32 v[20:21], v[200:201], v[206:207]
	s_delay_alu instid0(VALU_DEP_2) | instskip(NEXT) | instid1(VALU_DEP_2)
	v_fma_f64 v[4:5], v[200:201], v[204:205], -v[4:5]
	v_fmac_f64_e32 v[20:21], v[202:203], v[204:205]
	s_delay_alu instid0(VALU_DEP_2) | instskip(NEXT) | instid1(VALU_DEP_2)
	v_add_f64_e32 v[14:15], v[14:15], v[4:5]
	v_add_f64_e32 v[16:17], v[16:17], v[20:21]
	s_or_b32 exec_lo, exec_lo, s17
	s_and_saveexec_b32 s17, s14
	s_cbranch_execz .LBB86_89
.LBB86_523:                             ;   in Loop: Header=BB86_3 Depth=1
	ds_load_b128 v[200:203], v49 offset:16320
	ds_load_b128 v[204:207], v182 offset:14592
	s_wait_dscnt 0x0
	v_mul_f64_e32 v[4:5], v[202:203], v[206:207]
	v_mul_f64_e32 v[20:21], v[200:201], v[206:207]
	s_delay_alu instid0(VALU_DEP_2) | instskip(NEXT) | instid1(VALU_DEP_2)
	v_fma_f64 v[4:5], v[200:201], v[204:205], -v[4:5]
	v_fmac_f64_e32 v[20:21], v[202:203], v[204:205]
	s_delay_alu instid0(VALU_DEP_2) | instskip(NEXT) | instid1(VALU_DEP_2)
	v_add_f64_e32 v[14:15], v[14:15], v[4:5]
	v_add_f64_e32 v[16:17], v[16:17], v[20:21]
	s_or_b32 exec_lo, exec_lo, s17
	s_and_saveexec_b32 s17, s15
	s_cbranch_execz .LBB86_90
.LBB86_524:                             ;   in Loop: Header=BB86_3 Depth=1
	ds_load_b128 v[200:203], v49 offset:16336
	ds_load_b128 v[204:207], v182 offset:15104
	s_wait_dscnt 0x0
	v_mul_f64_e32 v[4:5], v[202:203], v[206:207]
	v_mul_f64_e32 v[20:21], v[200:201], v[206:207]
	s_delay_alu instid0(VALU_DEP_2) | instskip(NEXT) | instid1(VALU_DEP_2)
	v_fma_f64 v[4:5], v[200:201], v[204:205], -v[4:5]
	v_fmac_f64_e32 v[20:21], v[202:203], v[204:205]
	s_delay_alu instid0(VALU_DEP_2) | instskip(NEXT) | instid1(VALU_DEP_2)
	v_add_f64_e32 v[14:15], v[14:15], v[4:5]
	v_add_f64_e32 v[16:17], v[16:17], v[20:21]
	s_or_b32 exec_lo, exec_lo, s17
	s_and_saveexec_b32 s17, s4
	s_cbranch_execz .LBB86_91
.LBB86_525:                             ;   in Loop: Header=BB86_3 Depth=1
	ds_load_b128 v[200:203], v49 offset:16352
	ds_load_b128 v[204:207], v182 offset:15616
	s_wait_dscnt 0x0
	v_mul_f64_e32 v[4:5], v[202:203], v[206:207]
	v_mul_f64_e32 v[20:21], v[200:201], v[206:207]
	s_delay_alu instid0(VALU_DEP_2) | instskip(NEXT) | instid1(VALU_DEP_2)
	v_fma_f64 v[4:5], v[200:201], v[204:205], -v[4:5]
	v_fmac_f64_e32 v[20:21], v[202:203], v[204:205]
	s_delay_alu instid0(VALU_DEP_2) | instskip(NEXT) | instid1(VALU_DEP_2)
	v_add_f64_e32 v[14:15], v[14:15], v[4:5]
	v_add_f64_e32 v[16:17], v[16:17], v[20:21]
	s_or_b32 exec_lo, exec_lo, s17
	s_and_saveexec_b32 s17, s10
	s_cbranch_execnz .LBB86_92
	s_branch .LBB86_93
.LBB86_526:                             ;   in Loop: Header=BB86_3 Depth=1
	ds_load_b128 v[200:203], v48 offset:12112
	ds_load_b128 v[204:207], v180 offset:11008
	s_wait_dscnt 0x0
	v_mul_f64_e32 v[4:5], v[202:203], v[206:207]
	v_mul_f64_e32 v[20:21], v[200:201], v[206:207]
	s_delay_alu instid0(VALU_DEP_2) | instskip(NEXT) | instid1(VALU_DEP_2)
	v_fma_f64 v[4:5], v[200:201], v[204:205], -v[4:5]
	v_fmac_f64_e32 v[20:21], v[202:203], v[204:205]
	s_delay_alu instid0(VALU_DEP_2) | instskip(NEXT) | instid1(VALU_DEP_2)
	v_add_f64_e32 v[14:15], v[14:15], v[4:5]
	v_add_f64_e32 v[16:17], v[16:17], v[20:21]
	s_or_b32 exec_lo, exec_lo, s17
	s_and_saveexec_b32 s17, s10
	s_cbranch_execz .LBB86_149
.LBB86_527:                             ;   in Loop: Header=BB86_3 Depth=1
	ds_load_b128 v[200:203], v48 offset:12128
	ds_load_b128 v[204:207], v180 offset:11520
	s_wait_dscnt 0x0
	v_mul_f64_e32 v[4:5], v[202:203], v[206:207]
	v_mul_f64_e32 v[20:21], v[200:201], v[206:207]
	s_delay_alu instid0(VALU_DEP_2) | instskip(NEXT) | instid1(VALU_DEP_2)
	v_fma_f64 v[4:5], v[200:201], v[204:205], -v[4:5]
	v_fmac_f64_e32 v[20:21], v[202:203], v[204:205]
	s_delay_alu instid0(VALU_DEP_2) | instskip(NEXT) | instid1(VALU_DEP_2)
	v_add_f64_e32 v[14:15], v[14:15], v[4:5]
	v_add_f64_e32 v[16:17], v[16:17], v[20:21]
	s_or_b32 exec_lo, exec_lo, s17
	s_and_saveexec_b32 s17, s2
	s_cbranch_execnz .LBB86_150
	s_branch .LBB86_151
.LBB86_528:                             ;   in Loop: Header=BB86_3 Depth=1
	ds_load_b128 v[200:203], v58 offset:16304
	ds_load_b128 v[204:207], v184 offset:13824
	s_wait_dscnt 0x0
	v_mul_f64_e32 v[4:5], v[202:203], v[206:207]
	v_mul_f64_e32 v[20:21], v[200:201], v[206:207]
	s_delay_alu instid0(VALU_DEP_2) | instskip(NEXT) | instid1(VALU_DEP_2)
	v_fma_f64 v[4:5], v[200:201], v[204:205], -v[4:5]
	v_fmac_f64_e32 v[20:21], v[202:203], v[204:205]
	s_delay_alu instid0(VALU_DEP_2) | instskip(NEXT) | instid1(VALU_DEP_2)
	v_add_f64_e32 v[14:15], v[14:15], v[4:5]
	v_add_f64_e32 v[16:17], v[16:17], v[20:21]
	s_or_b32 exec_lo, exec_lo, s17
	s_and_saveexec_b32 s17, s5
	s_cbranch_execz .LBB86_211
.LBB86_529:                             ;   in Loop: Header=BB86_3 Depth=1
	ds_load_b128 v[200:203], v58 offset:16320
	ds_load_b128 v[204:207], v184 offset:14336
	s_wait_dscnt 0x0
	v_mul_f64_e32 v[4:5], v[202:203], v[206:207]
	v_mul_f64_e32 v[20:21], v[200:201], v[206:207]
	s_delay_alu instid0(VALU_DEP_2) | instskip(NEXT) | instid1(VALU_DEP_2)
	v_fma_f64 v[4:5], v[200:201], v[204:205], -v[4:5]
	v_fmac_f64_e32 v[20:21], v[202:203], v[204:205]
	s_delay_alu instid0(VALU_DEP_2) | instskip(NEXT) | instid1(VALU_DEP_2)
	v_add_f64_e32 v[14:15], v[14:15], v[4:5]
	v_add_f64_e32 v[16:17], v[16:17], v[20:21]
	s_or_b32 exec_lo, exec_lo, s17
	s_and_saveexec_b32 s17, s12
	s_cbranch_execz .LBB86_212
.LBB86_530:                             ;   in Loop: Header=BB86_3 Depth=1
	ds_load_b128 v[200:203], v58 offset:16336
	ds_load_b128 v[204:207], v184 offset:14848
	s_wait_dscnt 0x0
	v_mul_f64_e32 v[4:5], v[202:203], v[206:207]
	v_mul_f64_e32 v[20:21], v[200:201], v[206:207]
	s_delay_alu instid0(VALU_DEP_2) | instskip(NEXT) | instid1(VALU_DEP_2)
	v_fma_f64 v[4:5], v[200:201], v[204:205], -v[4:5]
	v_fmac_f64_e32 v[20:21], v[202:203], v[204:205]
	s_delay_alu instid0(VALU_DEP_2) | instskip(NEXT) | instid1(VALU_DEP_2)
	v_add_f64_e32 v[14:15], v[14:15], v[4:5]
	v_add_f64_e32 v[16:17], v[16:17], v[20:21]
	s_or_b32 exec_lo, exec_lo, s17
	s_and_saveexec_b32 s17, s14
	s_cbranch_execz .LBB86_213
.LBB86_531:                             ;   in Loop: Header=BB86_3 Depth=1
	ds_load_b128 v[200:203], v58 offset:16352
	ds_load_b128 v[204:207], v184 offset:15360
	s_wait_dscnt 0x0
	v_mul_f64_e32 v[4:5], v[202:203], v[206:207]
	v_mul_f64_e32 v[20:21], v[200:201], v[206:207]
	s_delay_alu instid0(VALU_DEP_2) | instskip(NEXT) | instid1(VALU_DEP_2)
	v_fma_f64 v[4:5], v[200:201], v[204:205], -v[4:5]
	v_fmac_f64_e32 v[20:21], v[202:203], v[204:205]
	s_delay_alu instid0(VALU_DEP_2) | instskip(NEXT) | instid1(VALU_DEP_2)
	v_add_f64_e32 v[14:15], v[14:15], v[4:5]
	v_add_f64_e32 v[16:17], v[16:17], v[20:21]
	s_or_b32 exec_lo, exec_lo, s17
	s_and_saveexec_b32 s17, s4
	s_cbranch_execnz .LBB86_214
	s_branch .LBB86_215
.LBB86_532:                             ;   in Loop: Header=BB86_3 Depth=1
	ds_load_b128 v[200:203], v48 offset:7888
	ds_load_b128 v[204:207], v180 offset:6784
	s_wait_dscnt 0x0
	v_mul_f64_e32 v[4:5], v[202:203], v[206:207]
	v_mul_f64_e32 v[20:21], v[200:201], v[206:207]
	s_delay_alu instid0(VALU_DEP_2) | instskip(NEXT) | instid1(VALU_DEP_2)
	v_fma_f64 v[4:5], v[200:201], v[204:205], -v[4:5]
	v_fmac_f64_e32 v[20:21], v[202:203], v[204:205]
	s_delay_alu instid0(VALU_DEP_2) | instskip(NEXT) | instid1(VALU_DEP_2)
	v_add_f64_e32 v[14:15], v[14:15], v[4:5]
	v_add_f64_e32 v[16:17], v[16:17], v[20:21]
	s_or_b32 exec_lo, exec_lo, s17
	s_and_saveexec_b32 s17, s10
	s_cbranch_execz .LBB86_303
.LBB86_533:                             ;   in Loop: Header=BB86_3 Depth=1
	ds_load_b128 v[200:203], v48 offset:7904
	ds_load_b128 v[204:207], v180 offset:7296
	s_wait_dscnt 0x0
	v_mul_f64_e32 v[4:5], v[202:203], v[206:207]
	v_mul_f64_e32 v[20:21], v[200:201], v[206:207]
	s_delay_alu instid0(VALU_DEP_2) | instskip(NEXT) | instid1(VALU_DEP_2)
	v_fma_f64 v[4:5], v[200:201], v[204:205], -v[4:5]
	v_fmac_f64_e32 v[20:21], v[202:203], v[204:205]
	s_delay_alu instid0(VALU_DEP_2) | instskip(NEXT) | instid1(VALU_DEP_2)
	v_add_f64_e32 v[14:15], v[14:15], v[4:5]
	v_add_f64_e32 v[16:17], v[16:17], v[20:21]
	s_or_b32 exec_lo, exec_lo, s17
	s_and_saveexec_b32 s17, s2
	s_cbranch_execnz .LBB86_304
	s_branch .LBB86_305
.LBB86_534:                             ;   in Loop: Header=BB86_3 Depth=1
	ds_load_b128 v[200:203], v49 offset:7824
	ds_load_b128 v[204:207], v182 offset:4608
	s_wait_dscnt 0x0
	v_mul_f64_e32 v[4:5], v[202:203], v[206:207]
	v_mul_f64_e32 v[20:21], v[200:201], v[206:207]
	s_delay_alu instid0(VALU_DEP_2) | instskip(NEXT) | instid1(VALU_DEP_2)
	v_fma_f64 v[4:5], v[200:201], v[204:205], -v[4:5]
	v_fmac_f64_e32 v[20:21], v[202:203], v[204:205]
	s_delay_alu instid0(VALU_DEP_2) | instskip(NEXT) | instid1(VALU_DEP_2)
	v_add_f64_e32 v[14:15], v[14:15], v[4:5]
	v_add_f64_e32 v[16:17], v[16:17], v[20:21]
	s_or_b32 exec_lo, exec_lo, s17
	s_and_saveexec_b32 s17, s12
	s_cbranch_execz .LBB86_345
.LBB86_535:                             ;   in Loop: Header=BB86_3 Depth=1
	ds_load_b128 v[200:203], v49 offset:7840
	ds_load_b128 v[204:207], v182 offset:5120
	s_wait_dscnt 0x0
	v_mul_f64_e32 v[4:5], v[202:203], v[206:207]
	v_mul_f64_e32 v[20:21], v[200:201], v[206:207]
	s_delay_alu instid0(VALU_DEP_2) | instskip(NEXT) | instid1(VALU_DEP_2)
	v_fma_f64 v[4:5], v[200:201], v[204:205], -v[4:5]
	v_fmac_f64_e32 v[20:21], v[202:203], v[204:205]
	s_delay_alu instid0(VALU_DEP_2) | instskip(NEXT) | instid1(VALU_DEP_2)
	v_add_f64_e32 v[14:15], v[14:15], v[4:5]
	v_add_f64_e32 v[16:17], v[16:17], v[20:21]
	s_or_b32 exec_lo, exec_lo, s17
	s_and_saveexec_b32 s17, s13
	s_cbranch_execz .LBB86_346
.LBB86_536:                             ;   in Loop: Header=BB86_3 Depth=1
	ds_load_b128 v[200:203], v49 offset:7856
	ds_load_b128 v[204:207], v182 offset:5632
	s_wait_dscnt 0x0
	v_mul_f64_e32 v[4:5], v[202:203], v[206:207]
	v_mul_f64_e32 v[20:21], v[200:201], v[206:207]
	s_delay_alu instid0(VALU_DEP_2) | instskip(NEXT) | instid1(VALU_DEP_2)
	v_fma_f64 v[4:5], v[200:201], v[204:205], -v[4:5]
	v_fmac_f64_e32 v[20:21], v[202:203], v[204:205]
	s_delay_alu instid0(VALU_DEP_2) | instskip(NEXT) | instid1(VALU_DEP_2)
	v_add_f64_e32 v[14:15], v[14:15], v[4:5]
	v_add_f64_e32 v[16:17], v[16:17], v[20:21]
	s_or_b32 exec_lo, exec_lo, s17
	s_and_saveexec_b32 s17, s14
	s_cbranch_execz .LBB86_347
.LBB86_537:                             ;   in Loop: Header=BB86_3 Depth=1
	ds_load_b128 v[200:203], v49 offset:7872
	ds_load_b128 v[204:207], v182 offset:6144
	s_wait_dscnt 0x0
	v_mul_f64_e32 v[4:5], v[202:203], v[206:207]
	v_mul_f64_e32 v[20:21], v[200:201], v[206:207]
	s_delay_alu instid0(VALU_DEP_2) | instskip(NEXT) | instid1(VALU_DEP_2)
	v_fma_f64 v[4:5], v[200:201], v[204:205], -v[4:5]
	v_fmac_f64_e32 v[20:21], v[202:203], v[204:205]
	s_delay_alu instid0(VALU_DEP_2) | instskip(NEXT) | instid1(VALU_DEP_2)
	v_add_f64_e32 v[14:15], v[14:15], v[4:5]
	v_add_f64_e32 v[16:17], v[16:17], v[20:21]
	s_or_b32 exec_lo, exec_lo, s17
	s_and_saveexec_b32 s17, s15
	s_cbranch_execz .LBB86_348
.LBB86_538:                             ;   in Loop: Header=BB86_3 Depth=1
	ds_load_b128 v[200:203], v49 offset:7888
	ds_load_b128 v[204:207], v182 offset:6656
	s_wait_dscnt 0x0
	v_mul_f64_e32 v[4:5], v[202:203], v[206:207]
	v_mul_f64_e32 v[20:21], v[200:201], v[206:207]
	s_delay_alu instid0(VALU_DEP_2) | instskip(NEXT) | instid1(VALU_DEP_2)
	v_fma_f64 v[4:5], v[200:201], v[204:205], -v[4:5]
	v_fmac_f64_e32 v[20:21], v[202:203], v[204:205]
	s_delay_alu instid0(VALU_DEP_2) | instskip(NEXT) | instid1(VALU_DEP_2)
	v_add_f64_e32 v[14:15], v[14:15], v[4:5]
	v_add_f64_e32 v[16:17], v[16:17], v[20:21]
	s_or_b32 exec_lo, exec_lo, s17
	s_and_saveexec_b32 s17, s4
	s_cbranch_execz .LBB86_349
.LBB86_539:                             ;   in Loop: Header=BB86_3 Depth=1
	ds_load_b128 v[200:203], v49 offset:7904
	ds_load_b128 v[204:207], v182 offset:7168
	s_wait_dscnt 0x0
	v_mul_f64_e32 v[4:5], v[202:203], v[206:207]
	v_mul_f64_e32 v[20:21], v[200:201], v[206:207]
	s_delay_alu instid0(VALU_DEP_2) | instskip(NEXT) | instid1(VALU_DEP_2)
	v_fma_f64 v[4:5], v[200:201], v[204:205], -v[4:5]
	v_fmac_f64_e32 v[20:21], v[202:203], v[204:205]
	s_delay_alu instid0(VALU_DEP_2) | instskip(NEXT) | instid1(VALU_DEP_2)
	v_add_f64_e32 v[14:15], v[14:15], v[4:5]
	v_add_f64_e32 v[16:17], v[16:17], v[20:21]
	s_or_b32 exec_lo, exec_lo, s17
	s_and_saveexec_b32 s17, s10
	s_cbranch_execnz .LBB86_350
	s_branch .LBB86_351
.LBB86_540:                             ;   in Loop: Header=BB86_3 Depth=1
	ds_load_b128 v[200:203], v48 offset:3664
	ds_load_b128 v[204:207], v180 offset:2560
	s_wait_dscnt 0x0
	v_mul_f64_e32 v[4:5], v[202:203], v[206:207]
	v_mul_f64_e32 v[20:21], v[200:201], v[206:207]
	s_delay_alu instid0(VALU_DEP_2) | instskip(NEXT) | instid1(VALU_DEP_2)
	v_fma_f64 v[4:5], v[200:201], v[204:205], -v[4:5]
	v_fmac_f64_e32 v[20:21], v[202:203], v[204:205]
	s_delay_alu instid0(VALU_DEP_2) | instskip(NEXT) | instid1(VALU_DEP_2)
	v_add_f64_e32 v[14:15], v[14:15], v[4:5]
	v_add_f64_e32 v[16:17], v[16:17], v[20:21]
	s_or_b32 exec_lo, exec_lo, s17
	s_and_saveexec_b32 s17, s10
	s_cbranch_execz .LBB86_407
.LBB86_541:                             ;   in Loop: Header=BB86_3 Depth=1
	ds_load_b128 v[200:203], v48 offset:3680
	ds_load_b128 v[204:207], v180 offset:3072
	s_wait_dscnt 0x0
	v_mul_f64_e32 v[4:5], v[202:203], v[206:207]
	v_mul_f64_e32 v[20:21], v[200:201], v[206:207]
	s_delay_alu instid0(VALU_DEP_2) | instskip(NEXT) | instid1(VALU_DEP_2)
	v_fma_f64 v[4:5], v[200:201], v[204:205], -v[4:5]
	v_fmac_f64_e32 v[20:21], v[202:203], v[204:205]
	s_delay_alu instid0(VALU_DEP_2) | instskip(NEXT) | instid1(VALU_DEP_2)
	v_add_f64_e32 v[14:15], v[14:15], v[4:5]
	v_add_f64_e32 v[16:17], v[16:17], v[20:21]
	s_or_b32 exec_lo, exec_lo, s17
	s_and_saveexec_b32 s17, s2
	s_cbranch_execnz .LBB86_408
	s_branch .LBB86_409
.LBB86_542:
	s_endpgm
	.section	.rodata,"a",@progbits
	.p2align	6, 0x0
	.amdhsa_kernel _ZL19rocblas_trsv_deviceILi32ELi16ELb0ELb1ELb0ELb1E19rocblas_complex_numIdES1_PKS1_PS1_EviT7_lllT6_T8_lllPii
		.amdhsa_group_segment_fixed_size 25104
		.amdhsa_private_segment_fixed_size 0
		.amdhsa_kernarg_size 360
		.amdhsa_user_sgpr_count 2
		.amdhsa_user_sgpr_dispatch_ptr 0
		.amdhsa_user_sgpr_queue_ptr 0
		.amdhsa_user_sgpr_kernarg_segment_ptr 1
		.amdhsa_user_sgpr_dispatch_id 0
		.amdhsa_user_sgpr_kernarg_preload_length 0
		.amdhsa_user_sgpr_kernarg_preload_offset 0
		.amdhsa_user_sgpr_private_segment_size 0
		.amdhsa_wavefront_size32 1
		.amdhsa_uses_dynamic_stack 0
		.amdhsa_enable_private_segment 0
		.amdhsa_system_sgpr_workgroup_id_x 1
		.amdhsa_system_sgpr_workgroup_id_y 0
		.amdhsa_system_sgpr_workgroup_id_z 1
		.amdhsa_system_sgpr_workgroup_info 0
		.amdhsa_system_vgpr_workitem_id 1
		.amdhsa_next_free_vgpr 209
		.amdhsa_next_free_sgpr 105
		.amdhsa_named_barrier_count 0
		.amdhsa_reserve_vcc 1
		.amdhsa_float_round_mode_32 0
		.amdhsa_float_round_mode_16_64 0
		.amdhsa_float_denorm_mode_32 3
		.amdhsa_float_denorm_mode_16_64 3
		.amdhsa_fp16_overflow 0
		.amdhsa_memory_ordered 1
		.amdhsa_forward_progress 1
		.amdhsa_inst_pref_size 184
		.amdhsa_round_robin_scheduling 0
		.amdhsa_exception_fp_ieee_invalid_op 0
		.amdhsa_exception_fp_denorm_src 0
		.amdhsa_exception_fp_ieee_div_zero 0
		.amdhsa_exception_fp_ieee_overflow 0
		.amdhsa_exception_fp_ieee_underflow 0
		.amdhsa_exception_fp_ieee_inexact 0
		.amdhsa_exception_int_div_zero 0
	.end_amdhsa_kernel
	.section	.text._ZL19rocblas_trsv_deviceILi32ELi16ELb0ELb1ELb0ELb1E19rocblas_complex_numIdES1_PKS1_PS1_EviT7_lllT6_T8_lllPii,"axG",@progbits,_ZL19rocblas_trsv_deviceILi32ELi16ELb0ELb1ELb0ELb1E19rocblas_complex_numIdES1_PKS1_PS1_EviT7_lllT6_T8_lllPii,comdat
.Lfunc_end86:
	.size	_ZL19rocblas_trsv_deviceILi32ELi16ELb0ELb1ELb0ELb1E19rocblas_complex_numIdES1_PKS1_PS1_EviT7_lllT6_T8_lllPii, .Lfunc_end86-_ZL19rocblas_trsv_deviceILi32ELi16ELb0ELb1ELb0ELb1E19rocblas_complex_numIdES1_PKS1_PS1_EviT7_lllT6_T8_lllPii
                                        ; -- End function
	.set _ZL19rocblas_trsv_deviceILi32ELi16ELb0ELb1ELb0ELb1E19rocblas_complex_numIdES1_PKS1_PS1_EviT7_lllT6_T8_lllPii.num_vgpr, 209
	.set _ZL19rocblas_trsv_deviceILi32ELi16ELb0ELb1ELb0ELb1E19rocblas_complex_numIdES1_PKS1_PS1_EviT7_lllT6_T8_lllPii.num_agpr, 0
	.set _ZL19rocblas_trsv_deviceILi32ELi16ELb0ELb1ELb0ELb1E19rocblas_complex_numIdES1_PKS1_PS1_EviT7_lllT6_T8_lllPii.numbered_sgpr, 105
	.set _ZL19rocblas_trsv_deviceILi32ELi16ELb0ELb1ELb0ELb1E19rocblas_complex_numIdES1_PKS1_PS1_EviT7_lllT6_T8_lllPii.num_named_barrier, 0
	.set _ZL19rocblas_trsv_deviceILi32ELi16ELb0ELb1ELb0ELb1E19rocblas_complex_numIdES1_PKS1_PS1_EviT7_lllT6_T8_lllPii.private_seg_size, 0
	.set _ZL19rocblas_trsv_deviceILi32ELi16ELb0ELb1ELb0ELb1E19rocblas_complex_numIdES1_PKS1_PS1_EviT7_lllT6_T8_lllPii.uses_vcc, 1
	.set _ZL19rocblas_trsv_deviceILi32ELi16ELb0ELb1ELb0ELb1E19rocblas_complex_numIdES1_PKS1_PS1_EviT7_lllT6_T8_lllPii.uses_flat_scratch, 0
	.set _ZL19rocblas_trsv_deviceILi32ELi16ELb0ELb1ELb0ELb1E19rocblas_complex_numIdES1_PKS1_PS1_EviT7_lllT6_T8_lllPii.has_dyn_sized_stack, 0
	.set _ZL19rocblas_trsv_deviceILi32ELi16ELb0ELb1ELb0ELb1E19rocblas_complex_numIdES1_PKS1_PS1_EviT7_lllT6_T8_lllPii.has_recursion, 0
	.set _ZL19rocblas_trsv_deviceILi32ELi16ELb0ELb1ELb0ELb1E19rocblas_complex_numIdES1_PKS1_PS1_EviT7_lllT6_T8_lllPii.has_indirect_call, 0
	.section	.AMDGPU.csdata,"",@progbits
; Kernel info:
; codeLenInByte = 23468
; TotalNumSgprs: 107
; NumVgprs: 209
; ScratchSize: 0
; MemoryBound: 1
; FloatMode: 240
; IeeeMode: 1
; LDSByteSize: 25104 bytes/workgroup (compile time only)
; SGPRBlocks: 0
; VGPRBlocks: 13
; NumSGPRsForWavesPerEU: 107
; NumVGPRsForWavesPerEU: 209
; NamedBarCnt: 0
; Occupancy: 4
; WaveLimiterHint : 0
; COMPUTE_PGM_RSRC2:SCRATCH_EN: 0
; COMPUTE_PGM_RSRC2:USER_SGPR: 2
; COMPUTE_PGM_RSRC2:TRAP_HANDLER: 0
; COMPUTE_PGM_RSRC2:TGID_X_EN: 1
; COMPUTE_PGM_RSRC2:TGID_Y_EN: 0
; COMPUTE_PGM_RSRC2:TGID_Z_EN: 1
; COMPUTE_PGM_RSRC2:TIDIG_COMP_CNT: 1
	.section	.text._ZL19rocblas_trsv_deviceILi32ELi16ELb0ELb1ELb1ELb1E19rocblas_complex_numIdES1_PKS1_PS1_EviT7_lllT6_T8_lllPii,"axG",@progbits,_ZL19rocblas_trsv_deviceILi32ELi16ELb0ELb1ELb1ELb1E19rocblas_complex_numIdES1_PKS1_PS1_EviT7_lllT6_T8_lllPii,comdat
	.globl	_ZL19rocblas_trsv_deviceILi32ELi16ELb0ELb1ELb1ELb1E19rocblas_complex_numIdES1_PKS1_PS1_EviT7_lllT6_T8_lllPii ; -- Begin function _ZL19rocblas_trsv_deviceILi32ELi16ELb0ELb1ELb1ELb1E19rocblas_complex_numIdES1_PKS1_PS1_EviT7_lllT6_T8_lllPii
	.p2align	8
	.type	_ZL19rocblas_trsv_deviceILi32ELi16ELb0ELb1ELb1ELb1E19rocblas_complex_numIdES1_PKS1_PS1_EviT7_lllT6_T8_lllPii,@function
_ZL19rocblas_trsv_deviceILi32ELi16ELb0ELb1ELb1ELb1E19rocblas_complex_numIdES1_PKS1_PS1_EviT7_lllT6_T8_lllPii: ; @_ZL19rocblas_trsv_deviceILi32ELi16ELb0ELb1ELb1ELb1E19rocblas_complex_numIdES1_PKS1_PS1_EviT7_lllT6_T8_lllPii
; %bb.0:
	s_load_b32 s60, s[0:1], 0x60
	s_bfe_u32 s2, ttmp6, 0x40014
	s_lshr_b32 s3, ttmp7, 16
	s_add_co_i32 s2, s2, 1
	s_bfe_u32 s5, ttmp6, 0x40008
	s_mul_i32 s4, s3, s2
	s_getreg_b32 s2, hwreg(HW_REG_IB_STS2, 6, 4)
	s_add_co_i32 s5, s5, s4
	s_cmp_eq_u32 s2, 0
	s_mov_b32 s35, 0
	s_cselect_b32 s34, s3, s5
	s_wait_kmcnt 0x0
	s_cmp_ge_u32 s34, s60
	s_cbranch_scc1 .LBB87_542
; %bb.1:
	s_clause 0x2
	s_load_b512 s[36:51], s[0:1], 0x8
	s_load_b32 s3, s[0:1], 0x74
	s_load_b32 s61, s[0:1], 0x0
	s_bfe_u32 s4, ttmp6, 0x4000c
	v_and_b32_e32 v24, 0x3ff, v0
	s_add_co_i32 s5, s4, 1
	s_and_b32 s4, ttmp6, 15
	s_mul_i32 s5, ttmp9, s5
	v_bfe_u32 v22, v0, 10, 10
	s_add_co_i32 s4, s4, s5
	v_dual_mov_b32 v3, 0 :: v_dual_lshlrev_b32 v1, 5, v24
	v_cmp_gt_u32_e64 s6, 2, v24
	s_delay_alu instid0(VALU_DEP_3) | instskip(SKIP_1) | instid1(VALU_DEP_4)
	v_add_nc_u32_e32 v4, 16, v22
	v_lshl_add_u32 v12, v22, 5, v24
	v_dual_mov_b32 v27, v3 :: v_dual_add_nc_u32 v2, v22, v1
	v_dual_lshrrev_b32 v23, 10, v0 :: v_dual_bitop2_b32 v15, 7, v0 bitop3:0x40
	s_delay_alu instid0(VALU_DEP_4)
	v_add_nc_u32_e32 v1, v4, v1
	s_wait_kmcnt 0x0
	s_lshl_b64 s[12:13], s[38:39], 4
	s_lshl_b64 s[14:15], s[50:51], 4
	s_cmp_eq_u32 s2, 0
	v_lshl_add_u32 v5, v4, 5, v24
	s_cselect_b32 s62, ttmp9, s4
	s_and_b32 s2, s3, 0xffff
	s_add_co_i32 s3, s61, -1
	s_ashr_i32 s4, s61, 31
	s_ashr_i32 s5, s3, 31
	s_lshr_b32 s4, s4, 27
	s_lshr_b32 s5, s5, 27
	s_add_co_i32 s4, s61, s4
	s_add_co_i32 s3, s3, s5
	s_and_not1_b32 s4, s4, 31
	s_ashr_i32 s3, s3, 5
	s_sub_co_i32 s11, s61, s4
	s_cmp_eq_u32 s3, s62
	v_sub_co_u32 v25, s5, s62, 1
	s_cselect_b32 s3, -1, 0
	s_cmp_lg_u32 s11, 0
	v_mad_u32_u24 v26, v22, s2, v24
	s_cselect_b32 s4, -1, 0
	s_lshl_b32 s18, s62, 5
	s_and_b32 s27, s4, s3
	s_xor_b32 s63, s5, -1
	s_xor_b32 s64, s27, -1
	s_cmp_lt_i32 s62, 5
	s_add_nc_u64 s[2:3], s[40:41], 1
	s_cselect_b32 vcc_lo, -1, 0
	s_ashr_i32 s19, s18, 31
	v_cndmask_b32_e32 v11, v12, v2, vcc_lo
	s_or_b32 vcc_lo, vcc_lo, s27
	s_mul_u64 s[16:17], s[2:3], s[18:19]
	v_dual_cndmask_b32 v13, v5, v1, vcc_lo :: v_dual_bitop2_b32 v1, 1, v0 bitop3:0x40
	v_add_nc_u32_e32 v2, s18, v26
	s_xor_b32 s65, vcc_lo, -1
	v_cmp_gt_u32_e64 s2, 4, v12
	v_dual_lshrrev_b32 v17, 1, v12 :: v_dual_lshrrev_b32 v19, 2, v12
	v_cmp_eq_u32_e32 vcc_lo, 1, v1
	v_and_b32_e32 v14, 3, v0
	v_cmp_eq_u32_e64 s5, 0, v1
	v_cmp_gt_u32_e64 s4, 16, v12
	v_lshlrev_b32_e32 v18, 9, v17
	s_and_b32 s66, vcc_lo, s2
	v_cmp_eq_u32_e32 vcc_lo, 3, v14
	v_cmp_eq_u32_e64 s3, 0, v22
	s_and_b32 s67, s5, s2
	v_cmp_ne_u32_e64 s5, 3, v14
	v_cmp_eq_u32_e64 s7, 1, v14
	s_and_b32 s69, vcc_lo, s4
	v_cmp_gt_u32_e32 vcc_lo, 2, v14
	s_and_b32 s68, s3, s6
	v_cmp_eq_u32_e64 s6, 2, v14
	s_and_b32 s70, s5, s4
	v_cmp_eq_u32_e64 s5, 0, v14
	s_and_b32 s72, vcc_lo, s4
	v_cmp_gt_u32_e32 vcc_lo, 4, v24
	s_and_b32 s71, s6, s4
	v_cmp_eq_u32_e64 s6, 7, v15
	s_and_b32 s74, s5, s4
	v_cmp_gt_u32_e64 s5, 64, v12
	s_and_b32 s75, s3, vcc_lo
	v_cmp_ne_u32_e32 vcc_lo, 7, v15
	s_and_b32 s73, s7, s4
	v_cmp_eq_u32_e64 s7, 6, v15
	s_and_b32 s76, s6, s5
	v_cmp_eq_u32_e64 s6, 5, v15
	s_and_b32 s77, vcc_lo, s5
	v_cmp_gt_u32_e32 vcc_lo, 5, v15
	v_cmp_gt_u32_e64 s8, 6, v15
	s_and_b32 s78, s7, s5
	s_and_b32 s80, s6, s5
	v_cmp_eq_u32_e64 s6, 4, v15
	s_and_b32 s81, vcc_lo, s5
	v_cmp_gt_u32_e32 vcc_lo, 3, v15
	s_and_b32 s79, s8, s5
	v_cmp_gt_u32_e64 s7, 4, v15
	v_cmp_eq_u32_e64 s8, 3, v15
	s_and_b32 s82, s6, s5
	v_cmp_eq_u32_e64 s6, 2, v15
	s_and_b32 s85, vcc_lo, s5
	v_cmp_gt_u32_e32 vcc_lo, 2, v15
	v_dual_sub_nc_u32 v44, 0, v18 :: v_dual_bitop2_b32 v16, 15, v0 bitop3:0x40
	s_and_b32 s83, s7, s5
	s_and_b32 s84, s8, s5
	v_cmp_eq_u32_e64 s7, 1, v15
	v_cmp_eq_u32_e64 s8, 0, v15
	s_and_b32 s86, s6, s5
	s_and_b32 s87, vcc_lo, s5
	v_cmp_gt_u32_e64 s6, 0x100, v12
	v_cmp_eq_u32_e32 vcc_lo, 15, v16
	s_and_b32 s88, s7, s5
	s_and_b32 s89, s8, s5
	v_cmp_ne_u32_e64 s7, 15, v16
                                        ; implicit-def: $vgpr208 : SGPR spill to VGPR lane
	v_cmp_gt_u32_e64 s9, 8, v24
	s_and_b32 s8, vcc_lo, s6
	v_cmp_eq_u32_e32 vcc_lo, 14, v16
	v_writelane_b32 v208, s8, 0
	s_and_b32 s7, s7, s6
	v_cmp_gt_u32_e64 s8, 14, v16
	s_and_b32 s90, s3, s9
	s_and_b32 s10, vcc_lo, s6
	v_writelane_b32 v208, s7, 1
	v_cmp_eq_u32_e64 s9, 13, v16
	s_and_b32 s8, s8, s6
	v_cmp_gt_u32_e64 s7, 13, v16
	v_cmp_eq_u32_e32 vcc_lo, 12, v16
	v_writelane_b32 v208, s10, 2
	v_add_nc_u64_e32 v[6:7], s[18:19], v[26:27]
	v_dual_lshlrev_b32 v27, 4, v24 :: v_dual_lshlrev_b32 v37, 9, v19
	s_and_b32 s7, s7, s6
	v_writelane_b32 v208, s8, 3
	s_and_b32 s8, s9, s6
	s_and_b32 s10, vcc_lo, s6
	v_cmp_gt_u32_e64 s9, 11, v16
	v_cmp_eq_u32_e32 vcc_lo, 10, v16
	v_writelane_b32 v208, s8, 4
	v_cmp_eq_u32_e64 s8, 11, v16
	v_mad_u32_u24 v21, 0x1f0, v24, v27
	v_dual_lshlrev_b32 v5, 5, v12 :: v_dual_bitop2_b32 v40, -16, v12 bitop3:0x40
	v_writelane_b32 v208, s7, 5
	v_cmp_gt_u32_e64 s7, 12, v16
	v_dual_add_nc_u32 v10, s18, v22 :: v_dual_add_nc_u32 v8, s18, v24
	v_add_nc_u32_e32 v46, 0x3dd0, v21
	v_writelane_b32 v208, s10, 6
	s_and_b32 s7, s7, s6
	v_mad_i32_i24 v47, 0xfffffe10, v24, v21
	v_and_b32_e32 v39, 0xfffffe00, v5
	v_mov_b32_e32 v5, v3
	v_writelane_b32 v208, s7, 7
	s_and_b32 s7, s8, s6
	s_and_b32 s8, vcc_lo, s6
	v_cmp_eq_u32_e32 vcc_lo, 9, v16
	v_dual_ashrrev_i32 v9, 31, v8 :: v_dual_sub_nc_u32 v48, 0, v37
	v_writelane_b32 v208, s7, 8
	s_and_b32 s7, s9, s6
	s_and_b32 s10, vcc_lo, s6
	v_cmp_eq_u32_e32 vcc_lo, 7, v16
	v_cmp_eq_u32_e64 s9, 8, v16
	v_writelane_b32 v208, s7, 9
	v_cmp_gt_u32_e64 s7, 10, v16
	v_add_nc_u32_e32 v50, 0x3100, v21
	s_and_b32 s21, vcc_lo, s6
	v_cmp_eq_u32_e32 vcc_lo, 5, v16
	v_writelane_b32 v208, s8, 10
	s_and_b32 s7, s7, s6
	v_cmp_gt_u32_e64 s8, 9, v16
	v_mad_u32_u24 v41, 0x1f0, v24, v47
	s_and_b32 s25, vcc_lo, s6
	v_writelane_b32 v208, s7, 11
	v_cmp_gt_u32_e64 s7, 8, v16
	s_and_b32 s8, s8, s6
	v_cmp_eq_u32_e32 vcc_lo, 4, v16
	v_mul_u64_e32 v[34:35], s[40:41], v[4:5]
	v_writelane_b32 v208, s10, 12
	s_and_b32 s20, s7, s6
	v_cmp_gt_u32_e64 s7, 7, v16
	s_and_b32 s91, vcc_lo, s6
	v_cmp_eq_u32_e32 vcc_lo, 2, v16
	v_writelane_b32 v208, s8, 13
	s_and_b32 s8, s9, s6
	s_and_b32 s22, s7, s6
	v_cmp_gt_u32_e64 s7, 5, v16
	v_cmp_gt_u32_e64 s9, 6, v16
	v_writelane_b32 v208, s8, 14
	v_cmp_eq_u32_e64 s8, 6, v16
	s_and_b32 s95, vcc_lo, s6
	s_and_b32 s26, s7, s6
	v_cmp_gt_u32_e64 s7, 3, v16
	v_cmp_le_i32_e32 vcc_lo, s11, v24
	s_and_b32 s23, s8, s6
	v_cmp_gt_u32_e64 s8, 4, v16
	s_and_b32 s24, s9, s6
	v_cmp_eq_u32_e64 s9, 3, v16
	s_and_b32 s94, s7, s6
	v_cmp_gt_u32_e64 s7, 2, v16
	s_and_b32 s92, s8, s6
	v_cmp_eq_u32_e64 s8, 1, v16
	s_and_b32 s98, vcc_lo, s27
	s_and_b32 s93, s9, s6
	v_cmp_eq_u32_e64 s9, 0, v16
	v_cmp_gt_u32_e64 s10, 16, v24
	s_and_b32 s96, s7, s6
	s_xor_b32 s7, s98, -1
	s_and_b32 s97, s8, s6
	s_and_b32 s101, s3, s7
	v_cmp_le_i32_e64 s7, s11, v22
	v_cmp_le_i32_e64 s8, s11, v4
	s_and_b32 s99, s9, s6
	s_and_b32 s100, s3, s10
	s_cmp_gt_i32 s62, 0
	v_bitop3_b32 v5, v0, v23, 0x3ff bitop3:0xa8
	s_cselect_b32 s19, -1, 0
	s_or_b32 s7, s7, vcc_lo
	s_or_b32 s8, s8, vcc_lo
	v_cmp_gt_i32_e32 vcc_lo, s11, v24
	v_mov_b32_e32 v23, v3
	s_clause 0x1
	s_load_b128 s[52:55], s[0:1], 0x48
	s_load_b64 s[50:51], s[0:1], 0x58
	v_add_nc_u32_e32 v84, 0x3980, v41
	s_wait_xcnt 0x0
	s_and_b32 s0, s3, vcc_lo
	v_add_nc_u32_e32 v85, 0x39b0, v41
	v_add_nc_u32_e32 v86, 0x39a0, v41
	v_mad_i32_i24 v87, 0xfffffe10, v24, v41
	v_add_nc_u32_e32 v88, 0x3990, v41
	v_add_nc_u32_e32 v89, 0x2d40, v41
	;; [unrolled: 1-line block ×8, first 2 shown]
	v_mul_u64_e32 v[30:31], s[40:41], v[8:9]
	v_add_nc_u32_e32 v188, 0x4000, v40
	v_add_nc_u32_e32 v191, 0xc50, v41
	v_writelane_b32 v208, s0, 15
	v_mul_u64_e32 v[40:41], s[40:41], v[22:23]
	s_lshl_b64 s[40:41], s[16:17], 4
	v_cmp_gt_u32_e64 s16, 0xf0, v12
	v_subrev_nc_u32_e32 v28, 32, v10
	v_dual_lshrrev_b32 v20, 3, v12 :: v_dual_add_nc_u32 v172, 64, v87
	v_lshlrev_b32_e32 v178, 4, v1
	s_delay_alu instid0(VALU_DEP_4) | instskip(SKIP_1) | instid1(VALU_DEP_4)
	v_writelane_b32 v208, s16, 16
	v_cmp_gt_u32_e64 s16, 0xe0, v12
	v_dual_lshlrev_b32 v38, 9, v20 :: v_dual_sub_nc_u32 v58, 0, v39
	v_dual_ashrrev_i32 v29, 31, v28 :: v_dual_lshlrev_b32 v180, 4, v14
	s_delay_alu instid0(VALU_DEP_3) | instskip(SKIP_2) | instid1(VALU_DEP_4)
	v_writelane_b32 v208, s16, 17
	v_cmp_gt_u32_e64 s16, 0xd0, v12
	v_dual_sub_nc_u32 v181, v178, v18 :: v_dual_lshlrev_b32 v182, 4, v15
	v_dual_lshlrev_b32 v184, 4, v16 :: v_dual_sub_nc_u32 v185, v180, v37
	s_delay_alu instid0(VALU_DEP_3)
	v_writelane_b32 v208, s16, 18
	v_cmp_gt_u32_e64 s16, 0xc0, v12
	v_sub_nc_u32_e32 v49, 0, v38
	s_wait_kmcnt 0x0
	v_mul_u64_e32 v[32:33], s[52:53], v[8:9]
	v_dual_sub_nc_u32 v187, v182, v38 :: v_dual_sub_nc_u32 v189, v184, v39
	v_writelane_b32 v208, s16, 19
	v_cmp_gt_u32_e64 s16, 0xb0, v12
	v_mul_u64_e32 v[0:1], s[52:53], v[6:7]
	v_mul_u64_e32 v[38:39], s[52:53], v[2:3]
	v_mad_u32_u24 v42, 0x1f0, v24, v87
	v_cmp_ge_u32_e64 s1, v24, v22
	v_writelane_b32 v208, s16, 20
	v_cmp_gt_u32_e64 s16, 0xa0, v12
	v_dual_add_nc_u32 v10, -16, v10 :: v_dual_lshlrev_b32 v197, 4, v13
	v_mad_i32_i24 v98, 0xfffffe10, v24, v42
	v_cmp_gt_i32_e64 s0, s61, v8
	s_delay_alu instid0(VALU_DEP_4) | instskip(SKIP_4) | instid1(VALU_DEP_4)
	v_writelane_b32 v208, s16, 21
	v_cmp_gt_u32_e64 s16, 0x90, v12
	v_cmp_gt_i32_e32 vcc_lo, s61, v28
	v_mad_u32_u24 v43, 0x1f0, v24, v98
	v_dual_lshlrev_b32 v36, 4, v24 :: v_dual_bitop2_b32 v9, v4, v24 bitop3:0x54
	v_writelane_b32 v208, s16, 22
	v_cmp_gt_u32_e64 s16, 0x80, v12
	s_delay_alu instid0(VALU_DEP_4)
	v_mad_i32_i24 v195, 0xfffffe10, v24, v43
	v_lshlrev_b32_e32 v194, 4, v22
	s_or_b32 s103, s7, s1
	v_cmp_ge_u32_e64 s7, v24, v4
	v_writelane_b32 v208, s16, 23
	v_cmp_gt_u32_e64 s16, 0x70, v12
	v_dual_add_nc_u32 v114, 32, v195 :: v_dual_add_nc_u32 v193, v43, v194
	v_lshlrev_b32_e32 v196, 4, v11
	v_add_nc_u32_e32 v194, 0x6000, v194
	s_delay_alu instid0(VALU_DEP_4)
	v_writelane_b32 v208, s16, 24
	v_cmp_gt_u32_e64 s16, 0x60, v12
	s_and_b32 s18, vcc_lo, s0
	v_cmp_gt_i32_e32 vcc_lo, s61, v10
	v_add_nc_u32_e32 v45, 0x3dc0, v21
	v_add_nc_u32_e32 v51, 0x3110, v21
	v_dual_mov_b32 v37, v3 :: v_dual_add_nc_u32 v52, 0x3120, v21
	v_add_nc_u32_e32 v53, 0x3130, v21
	v_add_nc_u32_e32 v54, 0x3140, v21
	;; [unrolled: 1-line block ×107, first 2 shown]
	v_lshl_add_u32 v176, v26, 4, 0x6000
	v_lshl_add_u32 v177, v12, 4, 0x4000
	s_add_nc_u64 s[56:57], s[36:37], s[12:13]
	s_add_nc_u64 s[48:49], s[48:49], s[14:15]
	v_lshl_add_u32 v179, v17, 4, 0x4000
	v_lshl_add_u32 v183, v19, 4, 0x4000
	;; [unrolled: 1-line block ×3, first 2 shown]
	v_add_nc_u32_e32 v190, 0x1070, v21
	v_add_nc_u32_e32 v192, 0x810, v42
	v_lshl_add_u32 v195, v22, 9, v195
	v_add_nc_u32_e32 v198, 0x4000, v27
	v_add_nc_u32_e32 v199, v194, v27
	s_or_b32 s104, s8, s7
	v_cmp_gt_u32_e64 s8, 2, v12
	v_cmp_gt_u32_e64 s9, 12, v12
	;; [unrolled: 1-line block ×8, first 2 shown]
	v_writelane_b32 v208, s16, 25
	v_cmp_gt_u32_e64 s16, 0x50, v12
	v_cmp_eq_u32_e64 s27, 0, v5
	v_cmp_gt_u32_e64 s28, 32, v5
	v_cmp_gt_u32_e64 s29, 32, v9
	v_cmp_eq_u32_e64 s30, 0, v26
	v_cmp_gt_u32_e64 s31, 32, v26
	s_and_b32 s102, vcc_lo, s0
	s_mov_b32 s37, 0x3ff00000
                                        ; implicit-def: $vgpr6_vgpr7
                                        ; implicit-def: $vgpr10_vgpr11
	v_writelane_b32 v208, s16, 26
	s_branch .LBB87_3
.LBB87_2:                               ;   in Loop: Header=BB87_3 Depth=1
	s_wait_xcnt 0x0
	s_or_b32 exec_lo, exec_lo, s17
	s_add_co_i32 s34, s34, 0x10000
	global_wb scope:SCOPE_DEV
	s_wait_storecnt 0x0
	global_inv scope:SCOPE_DEV
	s_cmp_lt_u32 s34, s60
	s_cbranch_scc0 .LBB87_542
.LBB87_3:                               ; =>This Loop Header: Depth=1
                                        ;     Child Loop BB87_453 Depth 2
                                        ;       Child Loop BB87_455 Depth 3
                                        ;     Child Loop BB87_486 Depth 2
	s_mul_u64 s[38:39], s[42:43], s[34:35]
	s_and_not1_b32 vcc_lo, exec_lo, s63
	s_lshl_b64 s[38:39], s[38:39], 4
	s_delay_alu instid0(SALU_CYCLE_1) | instskip(NEXT) | instid1(SALU_CYCLE_1)
	s_add_nc_u64 s[38:39], s[56:57], s[38:39]
	v_lshl_add_u64 v[18:19], v[30:31], 4, s[38:39]
	s_cbranch_vccnz .LBB87_9
; %bb.4:                                ;   in Loop: Header=BB87_3 Depth=1
	v_mov_b64_e32 v[12:13], 0
	v_mov_b64_e32 v[6:7], 0
	v_mov_b64_e32 v[8:9], 0
	v_lshl_add_u64 v[4:5], v[28:29], 4, v[18:19]
	s_barrier_signal -1
	s_barrier_wait -1
	s_and_saveexec_b32 s17, s18
	s_cbranch_execz .LBB87_6
; %bb.5:                                ;   in Loop: Header=BB87_3 Depth=1
	global_load_b128 v[6:9], v[4:5], off
.LBB87_6:                               ;   in Loop: Header=BB87_3 Depth=1
	s_wait_xcnt 0x0
	s_or_b32 exec_lo, exec_lo, s17
	v_mov_b64_e32 v[10:11], 0
	s_wait_loadcnt 0x0
	s_barrier_signal -1
	s_barrier_wait -1
	s_and_saveexec_b32 s17, s102
	s_cbranch_execz .LBB87_8
; %bb.7:                                ;   in Loop: Header=BB87_3 Depth=1
	global_load_b128 v[10:13], v[4:5], off offset:256
.LBB87_8:                               ;   in Loop: Header=BB87_3 Depth=1
	s_wait_xcnt 0x0
	s_or_b32 exec_lo, exec_lo, s17
.LBB87_9:                               ;   in Loop: Header=BB87_3 Depth=1
	s_add_nc_u64 s[38:39], s[38:39], s[40:41]
	s_and_not1_b32 vcc_lo, exec_lo, s64
	v_add_nc_u64_e32 v[14:15], s[38:39], v[36:37]
	s_mov_b32 s17, -1
	s_cbranch_vccnz .LBB87_16
; %bb.10:                               ;   in Loop: Header=BB87_3 Depth=1
	s_and_saveexec_b32 s17, s1
	s_delay_alu instid0(SALU_CYCLE_1)
	s_xor_b32 s17, exec_lo, s17
	s_cbranch_execnz .LBB87_499
; %bb.11:                               ;   in Loop: Header=BB87_3 Depth=1
	s_and_not1_saveexec_b32 s17, s17
	s_cbranch_execnz .LBB87_502
.LBB87_12:                              ;   in Loop: Header=BB87_3 Depth=1
	s_or_b32 exec_lo, exec_lo, s17
	s_and_saveexec_b32 s17, s7
	s_delay_alu instid0(SALU_CYCLE_1)
	s_xor_b32 s17, exec_lo, s17
	s_cbranch_execnz .LBB87_503
.LBB87_13:                              ;   in Loop: Header=BB87_3 Depth=1
	s_and_not1_saveexec_b32 s17, s17
	s_cbranch_execz .LBB87_15
.LBB87_14:                              ;   in Loop: Header=BB87_3 Depth=1
	v_lshl_add_u64 v[4:5], v[34:35], 4, v[14:15]
	global_load_b128 v[200:203], v[4:5], off
	s_wait_loadcnt 0x0
	v_xor_b32_e32 v201, 0x80000000, v201
	ds_store_b128 v197, v[200:203]
.LBB87_15:                              ;   in Loop: Header=BB87_3 Depth=1
	s_or_b32 exec_lo, exec_lo, s17
	s_mov_b32 s17, 0
.LBB87_16:                              ;   in Loop: Header=BB87_3 Depth=1
	s_delay_alu instid0(SALU_CYCLE_1)
	s_and_b32 vcc_lo, exec_lo, s17
	s_cbranch_vccz .LBB87_23
; %bb.17:                               ;   in Loop: Header=BB87_3 Depth=1
	s_and_saveexec_b32 s17, s103
	s_delay_alu instid0(SALU_CYCLE_1)
	s_xor_b32 s17, exec_lo, s17
	s_cbranch_execnz .LBB87_506
; %bb.18:                               ;   in Loop: Header=BB87_3 Depth=1
	s_and_not1_saveexec_b32 s17, s17
	s_cbranch_execnz .LBB87_509
.LBB87_19:                              ;   in Loop: Header=BB87_3 Depth=1
	s_or_b32 exec_lo, exec_lo, s17
	s_and_saveexec_b32 s17, s104
	s_delay_alu instid0(SALU_CYCLE_1)
	s_xor_b32 s17, exec_lo, s17
	s_cbranch_execnz .LBB87_510
.LBB87_20:                              ;   in Loop: Header=BB87_3 Depth=1
	s_and_not1_saveexec_b32 s17, s17
	s_cbranch_execz .LBB87_22
.LBB87_21:                              ;   in Loop: Header=BB87_3 Depth=1
	v_lshl_add_u64 v[4:5], v[34:35], 4, v[14:15]
	global_load_b128 v[14:17], v[4:5], off
	s_wait_loadcnt 0x0
	v_xor_b32_e32 v15, 0x80000000, v15
	ds_store_b128 v197, v[14:17]
.LBB87_22:                              ;   in Loop: Header=BB87_3 Depth=1
	s_or_b32 exec_lo, exec_lo, s17
.LBB87_23:                              ;   in Loop: Header=BB87_3 Depth=1
	s_delay_alu instid0(SALU_CYCLE_1)
	s_and_not1_b32 vcc_lo, exec_lo, s65
	s_wait_loadcnt_dscnt 0x0
	s_barrier_signal -1
	s_barrier_wait -1
	s_cbranch_vccnz .LBB87_447
; %bb.24:                               ;   in Loop: Header=BB87_3 Depth=1
	s_and_saveexec_b32 s33, s27
	s_cbranch_execz .LBB87_26
; %bb.25:                               ;   in Loop: Header=BB87_3 Depth=1
	s_mov_b32 s36, s35
	s_mov_b32 s38, s35
	;; [unrolled: 1-line block ×3, first 2 shown]
	v_mov_b64_e32 v[14:15], s[36:37]
	v_mov_b64_e32 v[16:17], s[38:39]
	ds_store_b128 v3, v[14:17] offset:15840
	ds_store_b128 v3, v[14:17] offset:16368
	ds_load_b128 v[14:17], v3 offset:16352
	s_wait_dscnt 0x0
	ds_store_b128 v3, v[14:17] offset:15856
.LBB87_26:                              ;   in Loop: Header=BB87_3 Depth=1
	s_or_b32 exec_lo, exec_lo, s33
	v_mov_b64_e32 v[14:15], 0
	v_mov_b64_e32 v[16:17], 0
	s_wait_dscnt 0x0
	s_barrier_signal -1
	s_barrier_wait -1
	global_wb scope:SCOPE_DEV
	s_wait_storecnt 0x0
	global_inv scope:SCOPE_DEV
	s_and_saveexec_b32 s33, s2
	s_cbranch_execz .LBB87_30
; %bb.27:                               ;   in Loop: Header=BB87_3 Depth=1
	ds_load_b128 v[14:17], v44 offset:16352
	ds_load_b128 v[200:203], v178 offset:15808
	s_wait_dscnt 0x0
	v_mul_f64_e32 v[4:5], v[16:17], v[202:203]
	v_mul_f64_e32 v[20:21], v[14:15], v[202:203]
	s_delay_alu instid0(VALU_DEP_2) | instskip(NEXT) | instid1(VALU_DEP_2)
	v_fma_f64 v[4:5], v[14:15], v[200:201], -v[4:5]
	v_fmac_f64_e32 v[20:21], v[16:17], v[200:201]
	s_delay_alu instid0(VALU_DEP_2) | instskip(NEXT) | instid1(VALU_DEP_2)
	v_add_f64_e32 v[14:15], 0, v[4:5]
	v_add_f64_e32 v[16:17], 0, v[20:21]
	s_and_saveexec_b32 s17, s8
	s_cbranch_execz .LBB87_29
; %bb.28:                               ;   in Loop: Header=BB87_3 Depth=1
	ds_load_b128 v[200:203], v3 offset:16368
	ds_load_b128 v[204:207], v27 offset:16320
	s_wait_dscnt 0x0
	v_mul_f64_e32 v[4:5], v[202:203], v[206:207]
	v_mul_f64_e32 v[20:21], v[200:201], v[206:207]
	s_delay_alu instid0(VALU_DEP_2) | instskip(NEXT) | instid1(VALU_DEP_2)
	v_fma_f64 v[4:5], v[200:201], v[204:205], -v[4:5]
	v_fmac_f64_e32 v[20:21], v[202:203], v[204:205]
	s_delay_alu instid0(VALU_DEP_2) | instskip(NEXT) | instid1(VALU_DEP_2)
	v_add_f64_e32 v[14:15], v[14:15], v[4:5]
	v_add_f64_e32 v[16:17], v[16:17], v[20:21]
.LBB87_29:                              ;   in Loop: Header=BB87_3 Depth=1
	s_or_b32 exec_lo, exec_lo, s17
.LBB87_30:                              ;   in Loop: Header=BB87_3 Depth=1
	s_delay_alu instid0(SALU_CYCLE_1)
	s_or_b32 exec_lo, exec_lo, s33
	s_and_saveexec_b32 s17, s66
	s_cbranch_execz .LBB87_32
; %bb.31:                               ;   in Loop: Header=BB87_3 Depth=1
	s_delay_alu instid0(VALU_DEP_2) | instskip(NEXT) | instid1(VALU_DEP_2)
	v_xor_b32_e32 v201, 0x80000000, v15
	v_xor_b32_e32 v203, 0x80000000, v17
	s_delay_alu instid0(VALU_DEP_3)
	v_dual_mov_b32 v200, v14 :: v_dual_mov_b32 v202, v16
	ds_store_b128 v179, v[200:203]
.LBB87_32:                              ;   in Loop: Header=BB87_3 Depth=1
	s_or_b32 exec_lo, exec_lo, s17
	s_wait_loadcnt_dscnt 0x0
	s_barrier_signal -1
	s_barrier_wait -1
	s_and_saveexec_b32 s17, s67
	s_cbranch_execz .LBB87_34
; %bb.33:                               ;   in Loop: Header=BB87_3 Depth=1
	ds_load_b128 v[200:203], v179
	ds_load_b128 v[204:207], v3 offset:15296
	s_wait_dscnt 0x0
	v_mul_f64_e32 v[4:5], v[200:201], v[204:205]
	v_mul_f64_e32 v[20:21], v[200:201], v[206:207]
	s_delay_alu instid0(VALU_DEP_2) | instskip(NEXT) | instid1(VALU_DEP_2)
	v_fma_f64 v[4:5], v[202:203], v[206:207], -v[4:5]
	v_fmac_f64_e32 v[20:21], v[202:203], v[204:205]
	s_delay_alu instid0(VALU_DEP_2) | instskip(NEXT) | instid1(VALU_DEP_2)
	v_add_f64_e32 v[14:15], v[14:15], v[4:5]
	v_add_f64_e64 v[16:17], v[16:17], -v[20:21]
.LBB87_34:                              ;   in Loop: Header=BB87_3 Depth=1
	s_or_b32 exec_lo, exec_lo, s17
	s_barrier_signal -1
	s_barrier_wait -1
	s_and_saveexec_b32 s17, s67
	s_cbranch_execz .LBB87_36
; %bb.35:                               ;   in Loop: Header=BB87_3 Depth=1
	s_delay_alu instid0(VALU_DEP_2) | instskip(NEXT) | instid1(VALU_DEP_2)
	v_xor_b32_e32 v201, 0x80000000, v15
	v_xor_b32_e32 v203, 0x80000000, v17
	s_delay_alu instid0(VALU_DEP_3)
	v_dual_mov_b32 v200, v14 :: v_dual_mov_b32 v202, v16
	ds_store_b128 v179, v[200:203]
.LBB87_36:                              ;   in Loop: Header=BB87_3 Depth=1
	s_or_b32 exec_lo, exec_lo, s17
	s_wait_dscnt 0x0
	s_barrier_signal -1
	s_barrier_wait -1
	s_barrier_signal -1
	s_barrier_wait -1
	s_and_saveexec_b32 s17, s2
; %bb.37:                               ;   in Loop: Header=BB87_3 Depth=1
	ds_store_b128 v181, v[14:17] offset:16320
; %bb.38:                               ;   in Loop: Header=BB87_3 Depth=1
	s_or_b32 exec_lo, exec_lo, s17
	s_wait_dscnt 0x0
	s_barrier_signal -1
	s_barrier_wait -1
	s_barrier_signal -1
	s_barrier_wait -1
	s_and_saveexec_b32 s17, s68
	s_cbranch_execz .LBB87_40
; %bb.39:                               ;   in Loop: Header=BB87_3 Depth=1
	ds_load_b128 v[14:17], v45
	s_wait_dscnt 0x0
	ds_store_b128 v116, v[14:17]
	ds_load_b128 v[14:17], v46
	s_wait_dscnt 0x0
	ds_store_b128 v117, v[14:17]
.LBB87_40:                              ;   in Loop: Header=BB87_3 Depth=1
	s_or_b32 exec_lo, exec_lo, s17
	s_wait_dscnt 0x0
	s_barrier_signal -1
	s_barrier_wait -1
	s_and_saveexec_b32 s33, s27
	s_cbranch_execz .LBB87_42
; %bb.41:                               ;   in Loop: Header=BB87_3 Depth=1
	s_mov_b32 s36, s35
	s_mov_b32 s38, s35
	s_mov_b32 s39, s35
	v_mov_b64_e32 v[14:15], s[36:37]
	v_mov_b64_e32 v[16:17], s[38:39]
	ds_store_b128 v3, v[14:17] offset:14784
	ds_store_b128 v3, v[14:17] offset:15312
	ds_load_b128 v[14:17], v3 offset:15296
	s_wait_dscnt 0x0
	ds_store_b128 v3, v[14:17] offset:14800
.LBB87_42:                              ;   in Loop: Header=BB87_3 Depth=1
	s_or_b32 exec_lo, exec_lo, s33
	v_mov_b64_e32 v[16:17], 0
	v_mov_b64_e32 v[14:15], 0
	s_wait_dscnt 0x0
	s_barrier_signal -1
	s_barrier_wait -1
	global_wb scope:SCOPE_DEV
	s_wait_storecnt 0x0
	global_inv scope:SCOPE_DEV
	s_and_saveexec_b32 s33, s4
	s_cbranch_execz .LBB87_48
; %bb.43:                               ;   in Loop: Header=BB87_3 Depth=1
	ds_load_b128 v[14:17], v48 offset:16320
	ds_load_b128 v[200:203], v180 offset:14720
	s_wait_dscnt 0x0
	v_mul_f64_e32 v[4:5], v[16:17], v[202:203]
	v_mul_f64_e32 v[20:21], v[14:15], v[202:203]
	s_delay_alu instid0(VALU_DEP_2) | instskip(NEXT) | instid1(VALU_DEP_2)
	v_fma_f64 v[4:5], v[14:15], v[200:201], -v[4:5]
	v_fmac_f64_e32 v[20:21], v[16:17], v[200:201]
	s_delay_alu instid0(VALU_DEP_2) | instskip(NEXT) | instid1(VALU_DEP_2)
	v_add_f64_e32 v[14:15], 0, v[4:5]
	v_add_f64_e32 v[16:17], 0, v[20:21]
	s_and_saveexec_b32 s17, s9
	s_cbranch_execnz .LBB87_518
; %bb.44:                               ;   in Loop: Header=BB87_3 Depth=1
	s_or_b32 exec_lo, exec_lo, s17
	s_and_saveexec_b32 s17, s10
	s_cbranch_execnz .LBB87_519
.LBB87_45:                              ;   in Loop: Header=BB87_3 Depth=1
	s_or_b32 exec_lo, exec_lo, s17
	s_and_saveexec_b32 s17, s2
	s_cbranch_execz .LBB87_47
.LBB87_46:                              ;   in Loop: Header=BB87_3 Depth=1
	ds_load_b128 v[200:203], v3 offset:16368
	ds_load_b128 v[204:207], v47 offset:16256
	s_wait_dscnt 0x0
	v_mul_f64_e32 v[4:5], v[202:203], v[206:207]
	v_mul_f64_e32 v[20:21], v[200:201], v[206:207]
	s_delay_alu instid0(VALU_DEP_2) | instskip(NEXT) | instid1(VALU_DEP_2)
	v_fma_f64 v[4:5], v[200:201], v[204:205], -v[4:5]
	v_fmac_f64_e32 v[20:21], v[202:203], v[204:205]
	s_delay_alu instid0(VALU_DEP_2) | instskip(NEXT) | instid1(VALU_DEP_2)
	v_add_f64_e32 v[14:15], v[14:15], v[4:5]
	v_add_f64_e32 v[16:17], v[16:17], v[20:21]
.LBB87_47:                              ;   in Loop: Header=BB87_3 Depth=1
	s_or_b32 exec_lo, exec_lo, s17
.LBB87_48:                              ;   in Loop: Header=BB87_3 Depth=1
	s_delay_alu instid0(SALU_CYCLE_1)
	s_or_b32 exec_lo, exec_lo, s33
	s_and_saveexec_b32 s17, s69
	s_cbranch_execz .LBB87_50
; %bb.49:                               ;   in Loop: Header=BB87_3 Depth=1
	s_delay_alu instid0(VALU_DEP_1) | instskip(NEXT) | instid1(VALU_DEP_3)
	v_xor_b32_e32 v203, 0x80000000, v17
	v_xor_b32_e32 v201, 0x80000000, v15
	s_delay_alu instid0(VALU_DEP_3)
	v_dual_mov_b32 v200, v14 :: v_dual_mov_b32 v202, v16
	ds_store_b128 v183, v[200:203]
.LBB87_50:                              ;   in Loop: Header=BB87_3 Depth=1
	s_or_b32 exec_lo, exec_lo, s17
	s_wait_loadcnt_dscnt 0x0
	s_barrier_signal -1
	s_barrier_wait -1
	s_and_saveexec_b32 s17, s70
	s_cbranch_execz .LBB87_52
; %bb.51:                               ;   in Loop: Header=BB87_3 Depth=1
	ds_load_b128 v[200:203], v183
	ds_load_b128 v[204:207], v180 offset:14208
	s_wait_dscnt 0x0
	v_mul_f64_e32 v[4:5], v[202:203], v[206:207]
	v_mul_f64_e32 v[20:21], v[200:201], v[206:207]
	s_delay_alu instid0(VALU_DEP_2) | instskip(NEXT) | instid1(VALU_DEP_2)
	v_fma_f64 v[4:5], v[200:201], v[204:205], -v[4:5]
	v_fmac_f64_e32 v[20:21], v[202:203], v[204:205]
	s_delay_alu instid0(VALU_DEP_2) | instskip(NEXT) | instid1(VALU_DEP_2)
	v_add_f64_e64 v[14:15], v[14:15], -v[4:5]
	v_add_f64_e64 v[16:17], v[16:17], -v[20:21]
.LBB87_52:                              ;   in Loop: Header=BB87_3 Depth=1
	s_or_b32 exec_lo, exec_lo, s17
	s_barrier_signal -1
	s_barrier_wait -1
	s_and_saveexec_b32 s17, s71
	s_cbranch_execz .LBB87_54
; %bb.53:                               ;   in Loop: Header=BB87_3 Depth=1
	s_delay_alu instid0(VALU_DEP_1) | instskip(NEXT) | instid1(VALU_DEP_3)
	v_xor_b32_e32 v203, 0x80000000, v17
	v_xor_b32_e32 v201, 0x80000000, v15
	s_delay_alu instid0(VALU_DEP_3)
	v_dual_mov_b32 v200, v14 :: v_dual_mov_b32 v202, v16
	ds_store_b128 v183, v[200:203]
.LBB87_54:                              ;   in Loop: Header=BB87_3 Depth=1
	s_or_b32 exec_lo, exec_lo, s17
	s_wait_dscnt 0x0
	s_barrier_signal -1
	s_barrier_wait -1
	s_and_saveexec_b32 s17, s72
	s_cbranch_execz .LBB87_56
; %bb.55:                               ;   in Loop: Header=BB87_3 Depth=1
	ds_load_b128 v[200:203], v183
	ds_load_b128 v[204:207], v180 offset:13696
	s_wait_dscnt 0x0
	v_mul_f64_e32 v[4:5], v[202:203], v[206:207]
	v_mul_f64_e32 v[20:21], v[200:201], v[206:207]
	s_delay_alu instid0(VALU_DEP_2) | instskip(NEXT) | instid1(VALU_DEP_2)
	v_fma_f64 v[4:5], v[200:201], v[204:205], -v[4:5]
	v_fmac_f64_e32 v[20:21], v[202:203], v[204:205]
	s_delay_alu instid0(VALU_DEP_2) | instskip(NEXT) | instid1(VALU_DEP_2)
	v_add_f64_e64 v[14:15], v[14:15], -v[4:5]
	v_add_f64_e64 v[16:17], v[16:17], -v[20:21]
.LBB87_56:                              ;   in Loop: Header=BB87_3 Depth=1
	s_or_b32 exec_lo, exec_lo, s17
	s_barrier_signal -1
	s_barrier_wait -1
	s_and_saveexec_b32 s17, s73
	s_cbranch_execz .LBB87_58
; %bb.57:                               ;   in Loop: Header=BB87_3 Depth=1
	s_delay_alu instid0(VALU_DEP_1) | instskip(NEXT) | instid1(VALU_DEP_3)
	v_xor_b32_e32 v203, 0x80000000, v17
	v_xor_b32_e32 v201, 0x80000000, v15
	s_delay_alu instid0(VALU_DEP_3)
	v_dual_mov_b32 v200, v14 :: v_dual_mov_b32 v202, v16
	ds_store_b128 v183, v[200:203]
.LBB87_58:                              ;   in Loop: Header=BB87_3 Depth=1
	s_or_b32 exec_lo, exec_lo, s17
	s_wait_dscnt 0x0
	;; [unrolled: 32-line block ×3, first 2 shown]
	s_barrier_signal -1
	s_barrier_wait -1
	s_barrier_signal -1
	s_barrier_wait -1
	s_and_saveexec_b32 s17, s4
; %bb.63:                               ;   in Loop: Header=BB87_3 Depth=1
	ds_store_b128 v185, v[14:17] offset:16256
; %bb.64:                               ;   in Loop: Header=BB87_3 Depth=1
	s_or_b32 exec_lo, exec_lo, s17
	s_wait_dscnt 0x0
	s_barrier_signal -1
	s_barrier_wait -1
	s_barrier_signal -1
	s_barrier_wait -1
	s_and_saveexec_b32 s17, s75
	s_cbranch_execz .LBB87_66
; %bb.65:                               ;   in Loop: Header=BB87_3 Depth=1
	ds_load_b128 v[14:17], v84
	s_wait_dscnt 0x0
	ds_store_b128 v118, v[14:17]
	ds_load_b128 v[14:17], v88
	s_wait_dscnt 0x0
	ds_store_b128 v121, v[14:17]
	ds_load_b128 v[14:17], v86
	s_wait_dscnt 0x0
	ds_store_b128 v120, v[14:17]
	ds_load_b128 v[14:17], v85
	s_wait_dscnt 0x0
	ds_store_b128 v119, v[14:17]
.LBB87_66:                              ;   in Loop: Header=BB87_3 Depth=1
	s_or_b32 exec_lo, exec_lo, s17
	s_wait_dscnt 0x0
	s_barrier_signal -1
	s_barrier_wait -1
	s_and_saveexec_b32 s33, s27
	s_cbranch_execz .LBB87_68
; %bb.67:                               ;   in Loop: Header=BB87_3 Depth=1
	s_mov_b32 s36, s35
	s_mov_b32 s38, s35
	;; [unrolled: 1-line block ×3, first 2 shown]
	v_mov_b64_e32 v[14:15], s[36:37]
	v_mov_b64_e32 v[16:17], s[38:39]
	ds_store_b128 v3, v[14:17] offset:13728
	ds_store_b128 v3, v[14:17] offset:14256
	ds_load_b128 v[14:17], v3 offset:14240
	s_wait_dscnt 0x0
	ds_store_b128 v3, v[14:17] offset:13744
.LBB87_68:                              ;   in Loop: Header=BB87_3 Depth=1
	s_or_b32 exec_lo, exec_lo, s33
	v_mov_b64_e32 v[14:15], 0
	v_mov_b64_e32 v[16:17], 0
	s_wait_dscnt 0x0
	s_barrier_signal -1
	s_barrier_wait -1
	global_wb scope:SCOPE_DEV
	s_wait_storecnt 0x0
	global_inv scope:SCOPE_DEV
	s_and_saveexec_b32 s33, s2
	s_cbranch_execz .LBB87_72
; %bb.69:                               ;   in Loop: Header=BB87_3 Depth=1
	ds_load_b128 v[14:17], v44 offset:14240
	ds_load_b128 v[200:203], v178 offset:13696
	s_wait_dscnt 0x0
	v_mul_f64_e32 v[4:5], v[16:17], v[202:203]
	v_mul_f64_e32 v[20:21], v[14:15], v[202:203]
	s_delay_alu instid0(VALU_DEP_2) | instskip(NEXT) | instid1(VALU_DEP_2)
	v_fma_f64 v[4:5], v[14:15], v[200:201], -v[4:5]
	v_fmac_f64_e32 v[20:21], v[16:17], v[200:201]
	s_delay_alu instid0(VALU_DEP_2) | instskip(NEXT) | instid1(VALU_DEP_2)
	v_add_f64_e32 v[14:15], 0, v[4:5]
	v_add_f64_e32 v[16:17], 0, v[20:21]
	s_and_saveexec_b32 s17, s8
	s_cbranch_execz .LBB87_71
; %bb.70:                               ;   in Loop: Header=BB87_3 Depth=1
	ds_load_b128 v[200:203], v3 offset:14256
	ds_load_b128 v[204:207], v87 offset:14208
	s_wait_dscnt 0x0
	v_mul_f64_e32 v[4:5], v[202:203], v[206:207]
	v_mul_f64_e32 v[20:21], v[200:201], v[206:207]
	s_delay_alu instid0(VALU_DEP_2) | instskip(NEXT) | instid1(VALU_DEP_2)
	v_fma_f64 v[4:5], v[200:201], v[204:205], -v[4:5]
	v_fmac_f64_e32 v[20:21], v[202:203], v[204:205]
	s_delay_alu instid0(VALU_DEP_2) | instskip(NEXT) | instid1(VALU_DEP_2)
	v_add_f64_e32 v[14:15], v[14:15], v[4:5]
	v_add_f64_e32 v[16:17], v[16:17], v[20:21]
.LBB87_71:                              ;   in Loop: Header=BB87_3 Depth=1
	s_or_b32 exec_lo, exec_lo, s17
.LBB87_72:                              ;   in Loop: Header=BB87_3 Depth=1
	s_delay_alu instid0(SALU_CYCLE_1)
	s_or_b32 exec_lo, exec_lo, s33
	s_and_saveexec_b32 s17, s66
	s_cbranch_execz .LBB87_74
; %bb.73:                               ;   in Loop: Header=BB87_3 Depth=1
	s_delay_alu instid0(VALU_DEP_2) | instskip(NEXT) | instid1(VALU_DEP_2)
	v_xor_b32_e32 v201, 0x80000000, v15
	v_xor_b32_e32 v203, 0x80000000, v17
	s_delay_alu instid0(VALU_DEP_3)
	v_dual_mov_b32 v200, v14 :: v_dual_mov_b32 v202, v16
	ds_store_b128 v179, v[200:203]
.LBB87_74:                              ;   in Loop: Header=BB87_3 Depth=1
	s_or_b32 exec_lo, exec_lo, s17
	s_wait_loadcnt_dscnt 0x0
	s_barrier_signal -1
	s_barrier_wait -1
	s_and_saveexec_b32 s17, s67
	s_cbranch_execz .LBB87_76
; %bb.75:                               ;   in Loop: Header=BB87_3 Depth=1
	ds_load_b128 v[200:203], v179
	ds_load_b128 v[204:207], v3 offset:13184
	s_wait_dscnt 0x0
	v_mul_f64_e32 v[4:5], v[200:201], v[204:205]
	v_mul_f64_e32 v[20:21], v[200:201], v[206:207]
	s_delay_alu instid0(VALU_DEP_2) | instskip(NEXT) | instid1(VALU_DEP_2)
	v_fma_f64 v[4:5], v[202:203], v[206:207], -v[4:5]
	v_fmac_f64_e32 v[20:21], v[202:203], v[204:205]
	s_delay_alu instid0(VALU_DEP_2) | instskip(NEXT) | instid1(VALU_DEP_2)
	v_add_f64_e32 v[14:15], v[14:15], v[4:5]
	v_add_f64_e64 v[16:17], v[16:17], -v[20:21]
.LBB87_76:                              ;   in Loop: Header=BB87_3 Depth=1
	s_or_b32 exec_lo, exec_lo, s17
	s_barrier_signal -1
	s_barrier_wait -1
	s_and_saveexec_b32 s17, s67
	s_cbranch_execz .LBB87_78
; %bb.77:                               ;   in Loop: Header=BB87_3 Depth=1
	s_delay_alu instid0(VALU_DEP_2) | instskip(NEXT) | instid1(VALU_DEP_2)
	v_xor_b32_e32 v201, 0x80000000, v15
	v_xor_b32_e32 v203, 0x80000000, v17
	s_delay_alu instid0(VALU_DEP_3)
	v_dual_mov_b32 v200, v14 :: v_dual_mov_b32 v202, v16
	ds_store_b128 v179, v[200:203]
.LBB87_78:                              ;   in Loop: Header=BB87_3 Depth=1
	s_or_b32 exec_lo, exec_lo, s17
	s_wait_dscnt 0x0
	s_barrier_signal -1
	s_barrier_wait -1
	s_barrier_signal -1
	s_barrier_wait -1
	s_and_saveexec_b32 s17, s2
; %bb.79:                               ;   in Loop: Header=BB87_3 Depth=1
	ds_store_b128 v181, v[14:17] offset:14208
; %bb.80:                               ;   in Loop: Header=BB87_3 Depth=1
	s_or_b32 exec_lo, exec_lo, s17
	s_wait_dscnt 0x0
	s_barrier_signal -1
	s_barrier_wait -1
	s_barrier_signal -1
	s_barrier_wait -1
	s_and_saveexec_b32 s17, s68
	s_cbranch_execz .LBB87_82
; %bb.81:                               ;   in Loop: Header=BB87_3 Depth=1
	ds_load_b128 v[14:17], v96
	s_wait_dscnt 0x0
	ds_store_b128 v122, v[14:17]
	ds_load_b128 v[14:17], v97
	s_wait_dscnt 0x0
	ds_store_b128 v123, v[14:17]
.LBB87_82:                              ;   in Loop: Header=BB87_3 Depth=1
	s_or_b32 exec_lo, exec_lo, s17
	s_wait_dscnt 0x0
	s_barrier_signal -1
	s_barrier_wait -1
	s_and_saveexec_b32 s33, s27
	s_cbranch_execz .LBB87_84
; %bb.83:                               ;   in Loop: Header=BB87_3 Depth=1
	s_mov_b32 s36, s35
	s_mov_b32 s38, s35
	s_mov_b32 s39, s35
	v_mov_b64_e32 v[14:15], s[36:37]
	v_mov_b64_e32 v[16:17], s[38:39]
	ds_store_b128 v3, v[14:17] offset:12672
	ds_store_b128 v3, v[14:17] offset:13200
	ds_load_b128 v[14:17], v3 offset:13184
	s_wait_dscnt 0x0
	ds_store_b128 v3, v[14:17] offset:12688
.LBB87_84:                              ;   in Loop: Header=BB87_3 Depth=1
	s_or_b32 exec_lo, exec_lo, s33
	v_mov_b64_e32 v[16:17], 0
	v_mov_b64_e32 v[14:15], 0
	s_wait_dscnt 0x0
	s_barrier_signal -1
	s_barrier_wait -1
	global_wb scope:SCOPE_DEV
	s_wait_storecnt 0x0
	global_inv scope:SCOPE_DEV
	s_and_saveexec_b32 s33, s5
	s_cbranch_execz .LBB87_94
; %bb.85:                               ;   in Loop: Header=BB87_3 Depth=1
	ds_load_b128 v[14:17], v49 offset:16256
	ds_load_b128 v[200:203], v182 offset:12544
	s_wait_dscnt 0x0
	v_mul_f64_e32 v[4:5], v[16:17], v[202:203]
	v_mul_f64_e32 v[20:21], v[14:15], v[202:203]
	s_delay_alu instid0(VALU_DEP_2) | instskip(NEXT) | instid1(VALU_DEP_2)
	v_fma_f64 v[4:5], v[14:15], v[200:201], -v[4:5]
	v_fmac_f64_e32 v[20:21], v[16:17], v[200:201]
	s_delay_alu instid0(VALU_DEP_2) | instskip(NEXT) | instid1(VALU_DEP_2)
	v_add_f64_e32 v[14:15], 0, v[4:5]
	v_add_f64_e32 v[16:17], 0, v[20:21]
	s_and_saveexec_b32 s17, s11
	s_cbranch_execnz .LBB87_520
; %bb.86:                               ;   in Loop: Header=BB87_3 Depth=1
	s_or_b32 exec_lo, exec_lo, s17
	s_and_saveexec_b32 s17, s12
	s_cbranch_execnz .LBB87_521
.LBB87_87:                              ;   in Loop: Header=BB87_3 Depth=1
	s_or_b32 exec_lo, exec_lo, s17
	s_and_saveexec_b32 s17, s13
	s_cbranch_execnz .LBB87_522
.LBB87_88:                              ;   in Loop: Header=BB87_3 Depth=1
	s_or_b32 exec_lo, exec_lo, s17
	s_and_saveexec_b32 s17, s14
	s_cbranch_execnz .LBB87_523
.LBB87_89:                              ;   in Loop: Header=BB87_3 Depth=1
	s_or_b32 exec_lo, exec_lo, s17
	s_and_saveexec_b32 s17, s15
	s_cbranch_execnz .LBB87_524
.LBB87_90:                              ;   in Loop: Header=BB87_3 Depth=1
	s_or_b32 exec_lo, exec_lo, s17
	s_and_saveexec_b32 s17, s4
	s_cbranch_execnz .LBB87_525
.LBB87_91:                              ;   in Loop: Header=BB87_3 Depth=1
	s_or_b32 exec_lo, exec_lo, s17
	s_and_saveexec_b32 s17, s10
	s_cbranch_execz .LBB87_93
.LBB87_92:                              ;   in Loop: Header=BB87_3 Depth=1
	ds_load_b128 v[200:203], v3 offset:16368
	ds_load_b128 v[204:207], v27 offset:16128
	s_wait_dscnt 0x0
	v_mul_f64_e32 v[4:5], v[202:203], v[206:207]
	v_mul_f64_e32 v[20:21], v[200:201], v[206:207]
	s_delay_alu instid0(VALU_DEP_2) | instskip(NEXT) | instid1(VALU_DEP_2)
	v_fma_f64 v[4:5], v[200:201], v[204:205], -v[4:5]
	v_fmac_f64_e32 v[20:21], v[202:203], v[204:205]
	s_delay_alu instid0(VALU_DEP_2) | instskip(NEXT) | instid1(VALU_DEP_2)
	v_add_f64_e32 v[14:15], v[14:15], v[4:5]
	v_add_f64_e32 v[16:17], v[16:17], v[20:21]
.LBB87_93:                              ;   in Loop: Header=BB87_3 Depth=1
	s_or_b32 exec_lo, exec_lo, s17
.LBB87_94:                              ;   in Loop: Header=BB87_3 Depth=1
	s_delay_alu instid0(SALU_CYCLE_1)
	s_or_b32 exec_lo, exec_lo, s33
	s_and_saveexec_b32 s17, s76
	s_cbranch_execz .LBB87_96
; %bb.95:                               ;   in Loop: Header=BB87_3 Depth=1
	s_delay_alu instid0(VALU_DEP_2) | instskip(NEXT) | instid1(VALU_DEP_2)
	v_xor_b32_e32 v201, 0x80000000, v15
	v_xor_b32_e32 v203, 0x80000000, v17
	s_delay_alu instid0(VALU_DEP_3)
	v_dual_mov_b32 v200, v14 :: v_dual_mov_b32 v202, v16
	ds_store_b128 v186, v[200:203]
.LBB87_96:                              ;   in Loop: Header=BB87_3 Depth=1
	s_or_b32 exec_lo, exec_lo, s17
	s_wait_loadcnt_dscnt 0x0
	s_barrier_signal -1
	s_barrier_wait -1
	s_and_saveexec_b32 s17, s77
	s_cbranch_execz .LBB87_98
; %bb.97:                               ;   in Loop: Header=BB87_3 Depth=1
	ds_load_b128 v[200:203], v186
	ds_load_b128 v[204:207], v182 offset:12032
	s_wait_dscnt 0x0
	v_mul_f64_e32 v[4:5], v[202:203], v[206:207]
	v_mul_f64_e32 v[20:21], v[200:201], v[206:207]
	s_delay_alu instid0(VALU_DEP_2) | instskip(NEXT) | instid1(VALU_DEP_2)
	v_fma_f64 v[4:5], v[200:201], v[204:205], -v[4:5]
	v_fmac_f64_e32 v[20:21], v[202:203], v[204:205]
	s_delay_alu instid0(VALU_DEP_2) | instskip(NEXT) | instid1(VALU_DEP_2)
	v_add_f64_e64 v[14:15], v[14:15], -v[4:5]
	v_add_f64_e64 v[16:17], v[16:17], -v[20:21]
.LBB87_98:                              ;   in Loop: Header=BB87_3 Depth=1
	s_or_b32 exec_lo, exec_lo, s17
	s_barrier_signal -1
	s_barrier_wait -1
	s_and_saveexec_b32 s17, s78
	s_cbranch_execz .LBB87_100
; %bb.99:                               ;   in Loop: Header=BB87_3 Depth=1
	s_delay_alu instid0(VALU_DEP_2) | instskip(NEXT) | instid1(VALU_DEP_2)
	v_xor_b32_e32 v201, 0x80000000, v15
	v_xor_b32_e32 v203, 0x80000000, v17
	s_delay_alu instid0(VALU_DEP_3)
	v_dual_mov_b32 v200, v14 :: v_dual_mov_b32 v202, v16
	ds_store_b128 v186, v[200:203]
.LBB87_100:                             ;   in Loop: Header=BB87_3 Depth=1
	s_or_b32 exec_lo, exec_lo, s17
	s_wait_dscnt 0x0
	s_barrier_signal -1
	s_barrier_wait -1
	s_and_saveexec_b32 s17, s79
	s_cbranch_execz .LBB87_102
; %bb.101:                              ;   in Loop: Header=BB87_3 Depth=1
	ds_load_b128 v[200:203], v186
	ds_load_b128 v[204:207], v182 offset:11520
	s_wait_dscnt 0x0
	v_mul_f64_e32 v[4:5], v[202:203], v[206:207]
	v_mul_f64_e32 v[20:21], v[200:201], v[206:207]
	s_delay_alu instid0(VALU_DEP_2) | instskip(NEXT) | instid1(VALU_DEP_2)
	v_fma_f64 v[4:5], v[200:201], v[204:205], -v[4:5]
	v_fmac_f64_e32 v[20:21], v[202:203], v[204:205]
	s_delay_alu instid0(VALU_DEP_2) | instskip(NEXT) | instid1(VALU_DEP_2)
	v_add_f64_e64 v[14:15], v[14:15], -v[4:5]
	v_add_f64_e64 v[16:17], v[16:17], -v[20:21]
.LBB87_102:                             ;   in Loop: Header=BB87_3 Depth=1
	s_or_b32 exec_lo, exec_lo, s17
	s_barrier_signal -1
	s_barrier_wait -1
	s_and_saveexec_b32 s17, s80
	s_cbranch_execz .LBB87_104
; %bb.103:                              ;   in Loop: Header=BB87_3 Depth=1
	s_delay_alu instid0(VALU_DEP_2) | instskip(NEXT) | instid1(VALU_DEP_2)
	v_xor_b32_e32 v201, 0x80000000, v15
	v_xor_b32_e32 v203, 0x80000000, v17
	s_delay_alu instid0(VALU_DEP_3)
	v_dual_mov_b32 v200, v14 :: v_dual_mov_b32 v202, v16
	ds_store_b128 v186, v[200:203]
.LBB87_104:                             ;   in Loop: Header=BB87_3 Depth=1
	s_or_b32 exec_lo, exec_lo, s17
	s_wait_dscnt 0x0
	s_barrier_signal -1
	s_barrier_wait -1
	s_and_saveexec_b32 s17, s81
	s_cbranch_execz .LBB87_106
; %bb.105:                              ;   in Loop: Header=BB87_3 Depth=1
	ds_load_b128 v[200:203], v186
	ds_load_b128 v[204:207], v182 offset:11008
	s_wait_dscnt 0x0
	v_mul_f64_e32 v[4:5], v[202:203], v[206:207]
	v_mul_f64_e32 v[20:21], v[200:201], v[206:207]
	s_delay_alu instid0(VALU_DEP_2) | instskip(NEXT) | instid1(VALU_DEP_2)
	v_fma_f64 v[4:5], v[200:201], v[204:205], -v[4:5]
	v_fmac_f64_e32 v[20:21], v[202:203], v[204:205]
	s_delay_alu instid0(VALU_DEP_2) | instskip(NEXT) | instid1(VALU_DEP_2)
	v_add_f64_e64 v[14:15], v[14:15], -v[4:5]
	v_add_f64_e64 v[16:17], v[16:17], -v[20:21]
.LBB87_106:                             ;   in Loop: Header=BB87_3 Depth=1
	s_or_b32 exec_lo, exec_lo, s17
	s_barrier_signal -1
	s_barrier_wait -1
	s_and_saveexec_b32 s17, s82
	s_cbranch_execz .LBB87_108
; %bb.107:                              ;   in Loop: Header=BB87_3 Depth=1
	s_delay_alu instid0(VALU_DEP_2) | instskip(NEXT) | instid1(VALU_DEP_2)
	v_xor_b32_e32 v201, 0x80000000, v15
	v_xor_b32_e32 v203, 0x80000000, v17
	s_delay_alu instid0(VALU_DEP_3)
	v_dual_mov_b32 v200, v14 :: v_dual_mov_b32 v202, v16
	ds_store_b128 v186, v[200:203]
.LBB87_108:                             ;   in Loop: Header=BB87_3 Depth=1
	;; [unrolled: 32-line block ×6, first 2 shown]
	s_or_b32 exec_lo, exec_lo, s17
	s_wait_dscnt 0x0
	s_barrier_signal -1
	s_barrier_wait -1
	s_barrier_signal -1
	s_barrier_wait -1
	s_and_saveexec_b32 s17, s5
; %bb.125:                              ;   in Loop: Header=BB87_3 Depth=1
	ds_store_b128 v187, v[14:17] offset:16128
; %bb.126:                              ;   in Loop: Header=BB87_3 Depth=1
	s_or_b32 exec_lo, exec_lo, s17
	s_wait_dscnt 0x0
	s_barrier_signal -1
	s_barrier_wait -1
	s_barrier_signal -1
	s_barrier_wait -1
	s_and_saveexec_b32 s17, s90
	s_cbranch_execz .LBB87_128
; %bb.127:                              ;   in Loop: Header=BB87_3 Depth=1
	ds_load_b128 v[14:17], v50
	s_wait_dscnt 0x0
	ds_store_b128 v124, v[14:17]
	ds_load_b128 v[14:17], v51
	s_wait_dscnt 0x0
	ds_store_b128 v125, v[14:17]
	;; [unrolled: 3-line block ×8, first 2 shown]
.LBB87_128:                             ;   in Loop: Header=BB87_3 Depth=1
	s_or_b32 exec_lo, exec_lo, s17
	s_wait_dscnt 0x0
	s_barrier_signal -1
	s_barrier_wait -1
	s_and_saveexec_b32 s33, s27
	s_cbranch_execz .LBB87_130
; %bb.129:                              ;   in Loop: Header=BB87_3 Depth=1
	s_mov_b32 s36, s35
	s_mov_b32 s38, s35
	s_mov_b32 s39, s35
	v_mov_b64_e32 v[14:15], s[36:37]
	v_mov_b64_e32 v[16:17], s[38:39]
	ds_store_b128 v3, v[14:17] offset:11616
	ds_store_b128 v3, v[14:17] offset:12144
	ds_load_b128 v[14:17], v3 offset:12128
	s_wait_dscnt 0x0
	ds_store_b128 v3, v[14:17] offset:11632
.LBB87_130:                             ;   in Loop: Header=BB87_3 Depth=1
	s_or_b32 exec_lo, exec_lo, s33
	v_mov_b64_e32 v[14:15], 0
	v_mov_b64_e32 v[16:17], 0
	s_wait_dscnt 0x0
	s_barrier_signal -1
	s_barrier_wait -1
	global_wb scope:SCOPE_DEV
	s_wait_storecnt 0x0
	global_inv scope:SCOPE_DEV
	s_and_saveexec_b32 s33, s2
	s_cbranch_execz .LBB87_134
; %bb.131:                              ;   in Loop: Header=BB87_3 Depth=1
	ds_load_b128 v[14:17], v44 offset:12128
	ds_load_b128 v[200:203], v178 offset:11584
	s_wait_dscnt 0x0
	v_mul_f64_e32 v[4:5], v[16:17], v[202:203]
	v_mul_f64_e32 v[20:21], v[14:15], v[202:203]
	s_delay_alu instid0(VALU_DEP_2) | instskip(NEXT) | instid1(VALU_DEP_2)
	v_fma_f64 v[4:5], v[14:15], v[200:201], -v[4:5]
	v_fmac_f64_e32 v[20:21], v[16:17], v[200:201]
	s_delay_alu instid0(VALU_DEP_2) | instskip(NEXT) | instid1(VALU_DEP_2)
	v_add_f64_e32 v[14:15], 0, v[4:5]
	v_add_f64_e32 v[16:17], 0, v[20:21]
	s_and_saveexec_b32 s17, s8
	s_cbranch_execz .LBB87_133
; %bb.132:                              ;   in Loop: Header=BB87_3 Depth=1
	ds_load_b128 v[200:203], v3 offset:12144
	ds_load_b128 v[204:207], v47 offset:12096
	s_wait_dscnt 0x0
	v_mul_f64_e32 v[4:5], v[202:203], v[206:207]
	v_mul_f64_e32 v[20:21], v[200:201], v[206:207]
	s_delay_alu instid0(VALU_DEP_2) | instskip(NEXT) | instid1(VALU_DEP_2)
	v_fma_f64 v[4:5], v[200:201], v[204:205], -v[4:5]
	v_fmac_f64_e32 v[20:21], v[202:203], v[204:205]
	s_delay_alu instid0(VALU_DEP_2) | instskip(NEXT) | instid1(VALU_DEP_2)
	v_add_f64_e32 v[14:15], v[14:15], v[4:5]
	v_add_f64_e32 v[16:17], v[16:17], v[20:21]
.LBB87_133:                             ;   in Loop: Header=BB87_3 Depth=1
	s_or_b32 exec_lo, exec_lo, s17
.LBB87_134:                             ;   in Loop: Header=BB87_3 Depth=1
	s_delay_alu instid0(SALU_CYCLE_1)
	s_or_b32 exec_lo, exec_lo, s33
	s_and_saveexec_b32 s17, s66
	s_cbranch_execz .LBB87_136
; %bb.135:                              ;   in Loop: Header=BB87_3 Depth=1
	s_delay_alu instid0(VALU_DEP_2) | instskip(NEXT) | instid1(VALU_DEP_2)
	v_xor_b32_e32 v201, 0x80000000, v15
	v_xor_b32_e32 v203, 0x80000000, v17
	s_delay_alu instid0(VALU_DEP_3)
	v_dual_mov_b32 v200, v14 :: v_dual_mov_b32 v202, v16
	ds_store_b128 v179, v[200:203]
.LBB87_136:                             ;   in Loop: Header=BB87_3 Depth=1
	s_or_b32 exec_lo, exec_lo, s17
	s_wait_loadcnt_dscnt 0x0
	s_barrier_signal -1
	s_barrier_wait -1
	s_and_saveexec_b32 s17, s67
	s_cbranch_execz .LBB87_138
; %bb.137:                              ;   in Loop: Header=BB87_3 Depth=1
	ds_load_b128 v[200:203], v179
	ds_load_b128 v[204:207], v3 offset:11072
	s_wait_dscnt 0x0
	v_mul_f64_e32 v[4:5], v[200:201], v[204:205]
	v_mul_f64_e32 v[20:21], v[200:201], v[206:207]
	s_delay_alu instid0(VALU_DEP_2) | instskip(NEXT) | instid1(VALU_DEP_2)
	v_fma_f64 v[4:5], v[202:203], v[206:207], -v[4:5]
	v_fmac_f64_e32 v[20:21], v[202:203], v[204:205]
	s_delay_alu instid0(VALU_DEP_2) | instskip(NEXT) | instid1(VALU_DEP_2)
	v_add_f64_e32 v[14:15], v[14:15], v[4:5]
	v_add_f64_e64 v[16:17], v[16:17], -v[20:21]
.LBB87_138:                             ;   in Loop: Header=BB87_3 Depth=1
	s_or_b32 exec_lo, exec_lo, s17
	s_barrier_signal -1
	s_barrier_wait -1
	s_and_saveexec_b32 s17, s67
	s_cbranch_execz .LBB87_140
; %bb.139:                              ;   in Loop: Header=BB87_3 Depth=1
	s_delay_alu instid0(VALU_DEP_2) | instskip(NEXT) | instid1(VALU_DEP_2)
	v_xor_b32_e32 v201, 0x80000000, v15
	v_xor_b32_e32 v203, 0x80000000, v17
	s_delay_alu instid0(VALU_DEP_3)
	v_dual_mov_b32 v200, v14 :: v_dual_mov_b32 v202, v16
	ds_store_b128 v179, v[200:203]
.LBB87_140:                             ;   in Loop: Header=BB87_3 Depth=1
	s_or_b32 exec_lo, exec_lo, s17
	s_wait_dscnt 0x0
	s_barrier_signal -1
	s_barrier_wait -1
	s_barrier_signal -1
	s_barrier_wait -1
	s_and_saveexec_b32 s17, s2
; %bb.141:                              ;   in Loop: Header=BB87_3 Depth=1
	ds_store_b128 v181, v[14:17] offset:12096
; %bb.142:                              ;   in Loop: Header=BB87_3 Depth=1
	s_or_b32 exec_lo, exec_lo, s17
	s_wait_dscnt 0x0
	s_barrier_signal -1
	s_barrier_wait -1
	s_barrier_signal -1
	s_barrier_wait -1
	s_and_saveexec_b32 s17, s68
	s_cbranch_execz .LBB87_144
; %bb.143:                              ;   in Loop: Header=BB87_3 Depth=1
	ds_load_b128 v[14:17], v89
	s_wait_dscnt 0x0
	ds_store_b128 v132, v[14:17]
	ds_load_b128 v[14:17], v90
	s_wait_dscnt 0x0
	ds_store_b128 v133, v[14:17]
.LBB87_144:                             ;   in Loop: Header=BB87_3 Depth=1
	s_or_b32 exec_lo, exec_lo, s17
	s_wait_dscnt 0x0
	s_barrier_signal -1
	s_barrier_wait -1
	s_and_saveexec_b32 s33, s27
	s_cbranch_execz .LBB87_146
; %bb.145:                              ;   in Loop: Header=BB87_3 Depth=1
	s_mov_b32 s36, s35
	s_mov_b32 s38, s35
	;; [unrolled: 1-line block ×3, first 2 shown]
	v_mov_b64_e32 v[14:15], s[36:37]
	v_mov_b64_e32 v[16:17], s[38:39]
	ds_store_b128 v3, v[14:17] offset:10560
	ds_store_b128 v3, v[14:17] offset:11088
	ds_load_b128 v[14:17], v3 offset:11072
	s_wait_dscnt 0x0
	ds_store_b128 v3, v[14:17] offset:10576
.LBB87_146:                             ;   in Loop: Header=BB87_3 Depth=1
	s_or_b32 exec_lo, exec_lo, s33
	v_mov_b64_e32 v[16:17], 0
	v_mov_b64_e32 v[14:15], 0
	s_wait_dscnt 0x0
	s_barrier_signal -1
	s_barrier_wait -1
	global_wb scope:SCOPE_DEV
	s_wait_storecnt 0x0
	global_inv scope:SCOPE_DEV
	s_and_saveexec_b32 s33, s4
	s_cbranch_execz .LBB87_152
; %bb.147:                              ;   in Loop: Header=BB87_3 Depth=1
	ds_load_b128 v[14:17], v48 offset:12096
	ds_load_b128 v[200:203], v180 offset:10496
	s_wait_dscnt 0x0
	v_mul_f64_e32 v[4:5], v[16:17], v[202:203]
	v_mul_f64_e32 v[20:21], v[14:15], v[202:203]
	s_delay_alu instid0(VALU_DEP_2) | instskip(NEXT) | instid1(VALU_DEP_2)
	v_fma_f64 v[4:5], v[14:15], v[200:201], -v[4:5]
	v_fmac_f64_e32 v[20:21], v[16:17], v[200:201]
	s_delay_alu instid0(VALU_DEP_2) | instskip(NEXT) | instid1(VALU_DEP_2)
	v_add_f64_e32 v[14:15], 0, v[4:5]
	v_add_f64_e32 v[16:17], 0, v[20:21]
	s_and_saveexec_b32 s17, s9
	s_cbranch_execnz .LBB87_526
; %bb.148:                              ;   in Loop: Header=BB87_3 Depth=1
	s_or_b32 exec_lo, exec_lo, s17
	s_and_saveexec_b32 s17, s10
	s_cbranch_execnz .LBB87_527
.LBB87_149:                             ;   in Loop: Header=BB87_3 Depth=1
	s_or_b32 exec_lo, exec_lo, s17
	s_and_saveexec_b32 s17, s2
	s_cbranch_execz .LBB87_151
.LBB87_150:                             ;   in Loop: Header=BB87_3 Depth=1
	ds_load_b128 v[200:203], v3 offset:12144
	ds_load_b128 v[204:207], v87 offset:12032
	s_wait_dscnt 0x0
	v_mul_f64_e32 v[4:5], v[202:203], v[206:207]
	v_mul_f64_e32 v[20:21], v[200:201], v[206:207]
	s_delay_alu instid0(VALU_DEP_2) | instskip(NEXT) | instid1(VALU_DEP_2)
	v_fma_f64 v[4:5], v[200:201], v[204:205], -v[4:5]
	v_fmac_f64_e32 v[20:21], v[202:203], v[204:205]
	s_delay_alu instid0(VALU_DEP_2) | instskip(NEXT) | instid1(VALU_DEP_2)
	v_add_f64_e32 v[14:15], v[14:15], v[4:5]
	v_add_f64_e32 v[16:17], v[16:17], v[20:21]
.LBB87_151:                             ;   in Loop: Header=BB87_3 Depth=1
	s_or_b32 exec_lo, exec_lo, s17
.LBB87_152:                             ;   in Loop: Header=BB87_3 Depth=1
	s_delay_alu instid0(SALU_CYCLE_1)
	s_or_b32 exec_lo, exec_lo, s33
	s_and_saveexec_b32 s17, s69
	s_cbranch_execz .LBB87_154
; %bb.153:                              ;   in Loop: Header=BB87_3 Depth=1
	s_delay_alu instid0(VALU_DEP_1) | instskip(NEXT) | instid1(VALU_DEP_3)
	v_xor_b32_e32 v203, 0x80000000, v17
	v_xor_b32_e32 v201, 0x80000000, v15
	s_delay_alu instid0(VALU_DEP_3)
	v_dual_mov_b32 v200, v14 :: v_dual_mov_b32 v202, v16
	ds_store_b128 v183, v[200:203]
.LBB87_154:                             ;   in Loop: Header=BB87_3 Depth=1
	s_or_b32 exec_lo, exec_lo, s17
	s_wait_loadcnt_dscnt 0x0
	s_barrier_signal -1
	s_barrier_wait -1
	s_and_saveexec_b32 s17, s70
	s_cbranch_execz .LBB87_156
; %bb.155:                              ;   in Loop: Header=BB87_3 Depth=1
	ds_load_b128 v[200:203], v183
	ds_load_b128 v[204:207], v180 offset:9984
	s_wait_dscnt 0x0
	v_mul_f64_e32 v[4:5], v[202:203], v[206:207]
	v_mul_f64_e32 v[20:21], v[200:201], v[206:207]
	s_delay_alu instid0(VALU_DEP_2) | instskip(NEXT) | instid1(VALU_DEP_2)
	v_fma_f64 v[4:5], v[200:201], v[204:205], -v[4:5]
	v_fmac_f64_e32 v[20:21], v[202:203], v[204:205]
	s_delay_alu instid0(VALU_DEP_2) | instskip(NEXT) | instid1(VALU_DEP_2)
	v_add_f64_e64 v[14:15], v[14:15], -v[4:5]
	v_add_f64_e64 v[16:17], v[16:17], -v[20:21]
.LBB87_156:                             ;   in Loop: Header=BB87_3 Depth=1
	s_or_b32 exec_lo, exec_lo, s17
	s_barrier_signal -1
	s_barrier_wait -1
	s_and_saveexec_b32 s17, s71
	s_cbranch_execz .LBB87_158
; %bb.157:                              ;   in Loop: Header=BB87_3 Depth=1
	s_delay_alu instid0(VALU_DEP_1) | instskip(NEXT) | instid1(VALU_DEP_3)
	v_xor_b32_e32 v203, 0x80000000, v17
	v_xor_b32_e32 v201, 0x80000000, v15
	s_delay_alu instid0(VALU_DEP_3)
	v_dual_mov_b32 v200, v14 :: v_dual_mov_b32 v202, v16
	ds_store_b128 v183, v[200:203]
.LBB87_158:                             ;   in Loop: Header=BB87_3 Depth=1
	s_or_b32 exec_lo, exec_lo, s17
	s_wait_dscnt 0x0
	s_barrier_signal -1
	s_barrier_wait -1
	s_and_saveexec_b32 s17, s72
	s_cbranch_execz .LBB87_160
; %bb.159:                              ;   in Loop: Header=BB87_3 Depth=1
	ds_load_b128 v[200:203], v183
	ds_load_b128 v[204:207], v180 offset:9472
	s_wait_dscnt 0x0
	v_mul_f64_e32 v[4:5], v[202:203], v[206:207]
	v_mul_f64_e32 v[20:21], v[200:201], v[206:207]
	s_delay_alu instid0(VALU_DEP_2) | instskip(NEXT) | instid1(VALU_DEP_2)
	v_fma_f64 v[4:5], v[200:201], v[204:205], -v[4:5]
	v_fmac_f64_e32 v[20:21], v[202:203], v[204:205]
	s_delay_alu instid0(VALU_DEP_2) | instskip(NEXT) | instid1(VALU_DEP_2)
	v_add_f64_e64 v[14:15], v[14:15], -v[4:5]
	v_add_f64_e64 v[16:17], v[16:17], -v[20:21]
.LBB87_160:                             ;   in Loop: Header=BB87_3 Depth=1
	s_or_b32 exec_lo, exec_lo, s17
	s_barrier_signal -1
	s_barrier_wait -1
	s_and_saveexec_b32 s17, s73
	s_cbranch_execz .LBB87_162
; %bb.161:                              ;   in Loop: Header=BB87_3 Depth=1
	s_delay_alu instid0(VALU_DEP_1) | instskip(NEXT) | instid1(VALU_DEP_3)
	v_xor_b32_e32 v203, 0x80000000, v17
	v_xor_b32_e32 v201, 0x80000000, v15
	s_delay_alu instid0(VALU_DEP_3)
	v_dual_mov_b32 v200, v14 :: v_dual_mov_b32 v202, v16
	ds_store_b128 v183, v[200:203]
.LBB87_162:                             ;   in Loop: Header=BB87_3 Depth=1
	s_or_b32 exec_lo, exec_lo, s17
	s_wait_dscnt 0x0
	;; [unrolled: 32-line block ×3, first 2 shown]
	s_barrier_signal -1
	s_barrier_wait -1
	s_barrier_signal -1
	s_barrier_wait -1
	s_and_saveexec_b32 s17, s4
; %bb.167:                              ;   in Loop: Header=BB87_3 Depth=1
	ds_store_b128 v185, v[14:17] offset:12032
; %bb.168:                              ;   in Loop: Header=BB87_3 Depth=1
	s_or_b32 exec_lo, exec_lo, s17
	s_wait_dscnt 0x0
	s_barrier_signal -1
	s_barrier_wait -1
	s_barrier_signal -1
	s_barrier_wait -1
	s_and_saveexec_b32 s17, s75
	s_cbranch_execz .LBB87_170
; %bb.169:                              ;   in Loop: Header=BB87_3 Depth=1
	ds_load_b128 v[14:17], v99
	s_wait_dscnt 0x0
	ds_store_b128 v134, v[14:17]
	ds_load_b128 v[14:17], v102
	s_wait_dscnt 0x0
	ds_store_b128 v137, v[14:17]
	;; [unrolled: 3-line block ×4, first 2 shown]
.LBB87_170:                             ;   in Loop: Header=BB87_3 Depth=1
	s_or_b32 exec_lo, exec_lo, s17
	s_wait_dscnt 0x0
	s_barrier_signal -1
	s_barrier_wait -1
	s_and_saveexec_b32 s33, s27
	s_cbranch_execz .LBB87_172
; %bb.171:                              ;   in Loop: Header=BB87_3 Depth=1
	s_mov_b32 s36, s35
	s_mov_b32 s38, s35
	;; [unrolled: 1-line block ×3, first 2 shown]
	v_mov_b64_e32 v[14:15], s[36:37]
	v_mov_b64_e32 v[16:17], s[38:39]
	ds_store_b128 v3, v[14:17] offset:9504
	ds_store_b128 v3, v[14:17] offset:10032
	ds_load_b128 v[14:17], v3 offset:10016
	s_wait_dscnt 0x0
	ds_store_b128 v3, v[14:17] offset:9520
.LBB87_172:                             ;   in Loop: Header=BB87_3 Depth=1
	s_or_b32 exec_lo, exec_lo, s33
	v_mov_b64_e32 v[14:15], 0
	v_mov_b64_e32 v[16:17], 0
	s_wait_dscnt 0x0
	s_barrier_signal -1
	s_barrier_wait -1
	global_wb scope:SCOPE_DEV
	s_wait_storecnt 0x0
	global_inv scope:SCOPE_DEV
	s_and_saveexec_b32 s33, s2
	s_cbranch_execz .LBB87_176
; %bb.173:                              ;   in Loop: Header=BB87_3 Depth=1
	ds_load_b128 v[14:17], v44 offset:10016
	ds_load_b128 v[200:203], v178 offset:9472
	s_wait_dscnt 0x0
	v_mul_f64_e32 v[4:5], v[16:17], v[202:203]
	v_mul_f64_e32 v[20:21], v[14:15], v[202:203]
	s_delay_alu instid0(VALU_DEP_2) | instskip(NEXT) | instid1(VALU_DEP_2)
	v_fma_f64 v[4:5], v[14:15], v[200:201], -v[4:5]
	v_fmac_f64_e32 v[20:21], v[16:17], v[200:201]
	s_delay_alu instid0(VALU_DEP_2) | instskip(NEXT) | instid1(VALU_DEP_2)
	v_add_f64_e32 v[14:15], 0, v[4:5]
	v_add_f64_e32 v[16:17], 0, v[20:21]
	s_and_saveexec_b32 s17, s8
	s_cbranch_execz .LBB87_175
; %bb.174:                              ;   in Loop: Header=BB87_3 Depth=1
	ds_load_b128 v[200:203], v3 offset:10032
	ds_load_b128 v[204:207], v98 offset:9984
	s_wait_dscnt 0x0
	v_mul_f64_e32 v[4:5], v[202:203], v[206:207]
	v_mul_f64_e32 v[20:21], v[200:201], v[206:207]
	s_delay_alu instid0(VALU_DEP_2) | instskip(NEXT) | instid1(VALU_DEP_2)
	v_fma_f64 v[4:5], v[200:201], v[204:205], -v[4:5]
	v_fmac_f64_e32 v[20:21], v[202:203], v[204:205]
	s_delay_alu instid0(VALU_DEP_2) | instskip(NEXT) | instid1(VALU_DEP_2)
	v_add_f64_e32 v[14:15], v[14:15], v[4:5]
	v_add_f64_e32 v[16:17], v[16:17], v[20:21]
.LBB87_175:                             ;   in Loop: Header=BB87_3 Depth=1
	s_or_b32 exec_lo, exec_lo, s17
.LBB87_176:                             ;   in Loop: Header=BB87_3 Depth=1
	s_delay_alu instid0(SALU_CYCLE_1)
	s_or_b32 exec_lo, exec_lo, s33
	s_and_saveexec_b32 s17, s66
	s_cbranch_execz .LBB87_178
; %bb.177:                              ;   in Loop: Header=BB87_3 Depth=1
	s_delay_alu instid0(VALU_DEP_2) | instskip(NEXT) | instid1(VALU_DEP_2)
	v_xor_b32_e32 v201, 0x80000000, v15
	v_xor_b32_e32 v203, 0x80000000, v17
	s_delay_alu instid0(VALU_DEP_3)
	v_dual_mov_b32 v200, v14 :: v_dual_mov_b32 v202, v16
	ds_store_b128 v179, v[200:203]
.LBB87_178:                             ;   in Loop: Header=BB87_3 Depth=1
	s_or_b32 exec_lo, exec_lo, s17
	s_wait_loadcnt_dscnt 0x0
	s_barrier_signal -1
	s_barrier_wait -1
	s_and_saveexec_b32 s17, s67
	s_cbranch_execz .LBB87_180
; %bb.179:                              ;   in Loop: Header=BB87_3 Depth=1
	ds_load_b128 v[200:203], v179
	ds_load_b128 v[204:207], v3 offset:8960
	s_wait_dscnt 0x0
	v_mul_f64_e32 v[4:5], v[200:201], v[204:205]
	v_mul_f64_e32 v[20:21], v[200:201], v[206:207]
	s_delay_alu instid0(VALU_DEP_2) | instskip(NEXT) | instid1(VALU_DEP_2)
	v_fma_f64 v[4:5], v[202:203], v[206:207], -v[4:5]
	v_fmac_f64_e32 v[20:21], v[202:203], v[204:205]
	s_delay_alu instid0(VALU_DEP_2) | instskip(NEXT) | instid1(VALU_DEP_2)
	v_add_f64_e32 v[14:15], v[14:15], v[4:5]
	v_add_f64_e64 v[16:17], v[16:17], -v[20:21]
.LBB87_180:                             ;   in Loop: Header=BB87_3 Depth=1
	s_or_b32 exec_lo, exec_lo, s17
	s_barrier_signal -1
	s_barrier_wait -1
	s_and_saveexec_b32 s17, s67
	s_cbranch_execz .LBB87_182
; %bb.181:                              ;   in Loop: Header=BB87_3 Depth=1
	s_delay_alu instid0(VALU_DEP_2) | instskip(NEXT) | instid1(VALU_DEP_2)
	v_xor_b32_e32 v201, 0x80000000, v15
	v_xor_b32_e32 v203, 0x80000000, v17
	s_delay_alu instid0(VALU_DEP_3)
	v_dual_mov_b32 v200, v14 :: v_dual_mov_b32 v202, v16
	ds_store_b128 v179, v[200:203]
.LBB87_182:                             ;   in Loop: Header=BB87_3 Depth=1
	s_or_b32 exec_lo, exec_lo, s17
	s_wait_dscnt 0x0
	s_barrier_signal -1
	s_barrier_wait -1
	s_barrier_signal -1
	s_barrier_wait -1
	s_and_saveexec_b32 s17, s2
; %bb.183:                              ;   in Loop: Header=BB87_3 Depth=1
	ds_store_b128 v181, v[14:17] offset:9984
; %bb.184:                              ;   in Loop: Header=BB87_3 Depth=1
	s_or_b32 exec_lo, exec_lo, s17
	s_wait_dscnt 0x0
	s_barrier_signal -1
	s_barrier_wait -1
	s_barrier_signal -1
	s_barrier_wait -1
	s_and_saveexec_b32 s17, s68
	s_cbranch_execz .LBB87_186
; %bb.185:                              ;   in Loop: Header=BB87_3 Depth=1
	ds_load_b128 v[14:17], v108
	s_wait_dscnt 0x0
	ds_store_b128 v112, v[14:17]
	ds_load_b128 v[14:17], v109
	s_wait_dscnt 0x0
	ds_store_b128 v113, v[14:17]
.LBB87_186:                             ;   in Loop: Header=BB87_3 Depth=1
	s_or_b32 exec_lo, exec_lo, s17
	s_wait_dscnt 0x0
	s_barrier_signal -1
	s_barrier_wait -1
	s_and_saveexec_b32 s33, s27
	s_cbranch_execz .LBB87_188
; %bb.187:                              ;   in Loop: Header=BB87_3 Depth=1
	s_mov_b32 s36, s35
	s_mov_b32 s38, s35
	;; [unrolled: 1-line block ×3, first 2 shown]
	v_mov_b64_e32 v[14:15], s[36:37]
	v_mov_b64_e32 v[16:17], s[38:39]
	ds_store_b128 v3, v[14:17] offset:8448
	ds_store_b128 v3, v[14:17] offset:8976
	ds_load_b128 v[14:17], v3 offset:8960
	s_wait_dscnt 0x0
	ds_store_b128 v3, v[14:17] offset:8464
.LBB87_188:                             ;   in Loop: Header=BB87_3 Depth=1
	s_or_b32 exec_lo, exec_lo, s33
	v_mov_b64_e32 v[16:17], 0
	v_mov_b64_e32 v[14:15], 0
	s_wait_dscnt 0x0
	s_barrier_signal -1
	s_barrier_wait -1
	global_wb scope:SCOPE_DEV
	s_wait_storecnt 0x0
	global_inv scope:SCOPE_DEV
	s_and_saveexec_b32 s33, s6
	s_cbranch_execz .LBB87_216
; %bb.189:                              ;   in Loop: Header=BB87_3 Depth=1
	ds_load_b128 v[14:17], v58 offset:16128
	ds_load_b128 v[200:203], v184 offset:8192
	v_readlane_b32 s16, v208, 16
	s_wait_dscnt 0x0
	v_mul_f64_e32 v[4:5], v[16:17], v[202:203]
	v_mul_f64_e32 v[20:21], v[14:15], v[202:203]
	s_delay_alu instid0(VALU_DEP_2) | instskip(NEXT) | instid1(VALU_DEP_2)
	v_fma_f64 v[4:5], v[14:15], v[200:201], -v[4:5]
	v_fmac_f64_e32 v[20:21], v[16:17], v[200:201]
	s_delay_alu instid0(VALU_DEP_2) | instskip(NEXT) | instid1(VALU_DEP_2)
	v_add_f64_e32 v[14:15], 0, v[4:5]
	v_add_f64_e32 v[16:17], 0, v[20:21]
	s_and_saveexec_b32 s17, s16
	s_cbranch_execz .LBB87_191
; %bb.190:                              ;   in Loop: Header=BB87_3 Depth=1
	ds_load_b128 v[200:203], v58 offset:16144
	ds_load_b128 v[204:207], v184 offset:8704
	s_wait_dscnt 0x0
	v_mul_f64_e32 v[4:5], v[202:203], v[206:207]
	v_mul_f64_e32 v[20:21], v[200:201], v[206:207]
	s_delay_alu instid0(VALU_DEP_2) | instskip(NEXT) | instid1(VALU_DEP_2)
	v_fma_f64 v[4:5], v[200:201], v[204:205], -v[4:5]
	v_fmac_f64_e32 v[20:21], v[202:203], v[204:205]
	s_delay_alu instid0(VALU_DEP_2) | instskip(NEXT) | instid1(VALU_DEP_2)
	v_add_f64_e32 v[14:15], v[14:15], v[4:5]
	v_add_f64_e32 v[16:17], v[16:17], v[20:21]
.LBB87_191:                             ;   in Loop: Header=BB87_3 Depth=1
	s_or_b32 exec_lo, exec_lo, s17
	v_readlane_b32 s16, v208, 17
	s_and_saveexec_b32 s17, s16
	s_cbranch_execz .LBB87_193
; %bb.192:                              ;   in Loop: Header=BB87_3 Depth=1
	ds_load_b128 v[200:203], v58 offset:16160
	ds_load_b128 v[204:207], v184 offset:9216
	s_wait_dscnt 0x0
	v_mul_f64_e32 v[4:5], v[202:203], v[206:207]
	v_mul_f64_e32 v[20:21], v[200:201], v[206:207]
	s_delay_alu instid0(VALU_DEP_2) | instskip(NEXT) | instid1(VALU_DEP_2)
	v_fma_f64 v[4:5], v[200:201], v[204:205], -v[4:5]
	v_fmac_f64_e32 v[20:21], v[202:203], v[204:205]
	s_delay_alu instid0(VALU_DEP_2) | instskip(NEXT) | instid1(VALU_DEP_2)
	v_add_f64_e32 v[14:15], v[14:15], v[4:5]
	v_add_f64_e32 v[16:17], v[16:17], v[20:21]
.LBB87_193:                             ;   in Loop: Header=BB87_3 Depth=1
	s_or_b32 exec_lo, exec_lo, s17
	v_readlane_b32 s16, v208, 18
	;; [unrolled: 17-line block ×10, first 2 shown]
	s_and_saveexec_b32 s17, s16
	s_cbranch_execnz .LBB87_528
; %bb.210:                              ;   in Loop: Header=BB87_3 Depth=1
	s_or_b32 exec_lo, exec_lo, s17
	s_and_saveexec_b32 s17, s5
	s_cbranch_execnz .LBB87_529
.LBB87_211:                             ;   in Loop: Header=BB87_3 Depth=1
	s_or_b32 exec_lo, exec_lo, s17
	s_and_saveexec_b32 s17, s12
	s_cbranch_execnz .LBB87_530
.LBB87_212:                             ;   in Loop: Header=BB87_3 Depth=1
	s_or_b32 exec_lo, exec_lo, s17
	s_and_saveexec_b32 s17, s14
	s_cbranch_execnz .LBB87_531
.LBB87_213:                             ;   in Loop: Header=BB87_3 Depth=1
	s_or_b32 exec_lo, exec_lo, s17
	s_and_saveexec_b32 s17, s4
	s_cbranch_execz .LBB87_215
.LBB87_214:                             ;   in Loop: Header=BB87_3 Depth=1
	ds_load_b128 v[200:203], v3 offset:16368
	ds_load_b128 v[204:207], v27 offset:15872
	s_wait_dscnt 0x0
	v_mul_f64_e32 v[4:5], v[202:203], v[206:207]
	v_mul_f64_e32 v[20:21], v[200:201], v[206:207]
	s_delay_alu instid0(VALU_DEP_2) | instskip(NEXT) | instid1(VALU_DEP_2)
	v_fma_f64 v[4:5], v[200:201], v[204:205], -v[4:5]
	v_fmac_f64_e32 v[20:21], v[202:203], v[204:205]
	s_delay_alu instid0(VALU_DEP_2) | instskip(NEXT) | instid1(VALU_DEP_2)
	v_add_f64_e32 v[14:15], v[14:15], v[4:5]
	v_add_f64_e32 v[16:17], v[16:17], v[20:21]
.LBB87_215:                             ;   in Loop: Header=BB87_3 Depth=1
	s_or_b32 exec_lo, exec_lo, s17
.LBB87_216:                             ;   in Loop: Header=BB87_3 Depth=1
	s_delay_alu instid0(SALU_CYCLE_1)
	s_or_b32 exec_lo, exec_lo, s33
	v_readlane_b32 s16, v208, 0
	s_and_saveexec_b32 s17, s16
	s_cbranch_execz .LBB87_218
; %bb.217:                              ;   in Loop: Header=BB87_3 Depth=1
	v_xor_b32_e32 v203, 0x80000000, v17
	v_xor_b32_e32 v201, 0x80000000, v15
	v_dual_mov_b32 v200, v14 :: v_dual_mov_b32 v202, v16
	ds_store_b128 v188, v[200:203]
.LBB87_218:                             ;   in Loop: Header=BB87_3 Depth=1
	s_or_b32 exec_lo, exec_lo, s17
	v_readlane_b32 s16, v208, 1
	s_wait_loadcnt_dscnt 0x0
	s_barrier_signal -1
	s_barrier_wait -1
	s_and_saveexec_b32 s17, s16
	s_cbranch_execz .LBB87_220
; %bb.219:                              ;   in Loop: Header=BB87_3 Depth=1
	ds_load_b128 v[200:203], v188
	ds_load_b128 v[204:207], v184 offset:7680
	s_wait_dscnt 0x0
	v_mul_f64_e32 v[4:5], v[202:203], v[206:207]
	v_mul_f64_e32 v[20:21], v[200:201], v[206:207]
	s_delay_alu instid0(VALU_DEP_2) | instskip(NEXT) | instid1(VALU_DEP_2)
	v_fma_f64 v[4:5], v[200:201], v[204:205], -v[4:5]
	v_fmac_f64_e32 v[20:21], v[202:203], v[204:205]
	s_delay_alu instid0(VALU_DEP_2) | instskip(NEXT) | instid1(VALU_DEP_2)
	v_add_f64_e64 v[14:15], v[14:15], -v[4:5]
	v_add_f64_e64 v[16:17], v[16:17], -v[20:21]
.LBB87_220:                             ;   in Loop: Header=BB87_3 Depth=1
	s_or_b32 exec_lo, exec_lo, s17
	v_readlane_b32 s16, v208, 2
	s_barrier_signal -1
	s_barrier_wait -1
	s_and_saveexec_b32 s17, s16
	s_cbranch_execz .LBB87_222
; %bb.221:                              ;   in Loop: Header=BB87_3 Depth=1
	v_xor_b32_e32 v203, 0x80000000, v17
	v_xor_b32_e32 v201, 0x80000000, v15
	v_dual_mov_b32 v200, v14 :: v_dual_mov_b32 v202, v16
	ds_store_b128 v188, v[200:203]
.LBB87_222:                             ;   in Loop: Header=BB87_3 Depth=1
	s_or_b32 exec_lo, exec_lo, s17
	v_readlane_b32 s16, v208, 3
	s_wait_dscnt 0x0
	s_barrier_signal -1
	s_barrier_wait -1
	s_and_saveexec_b32 s17, s16
	s_cbranch_execz .LBB87_224
; %bb.223:                              ;   in Loop: Header=BB87_3 Depth=1
	ds_load_b128 v[200:203], v188
	ds_load_b128 v[204:207], v184 offset:7168
	s_wait_dscnt 0x0
	v_mul_f64_e32 v[4:5], v[202:203], v[206:207]
	v_mul_f64_e32 v[20:21], v[200:201], v[206:207]
	s_delay_alu instid0(VALU_DEP_2) | instskip(NEXT) | instid1(VALU_DEP_2)
	v_fma_f64 v[4:5], v[200:201], v[204:205], -v[4:5]
	v_fmac_f64_e32 v[20:21], v[202:203], v[204:205]
	s_delay_alu instid0(VALU_DEP_2) | instskip(NEXT) | instid1(VALU_DEP_2)
	v_add_f64_e64 v[14:15], v[14:15], -v[4:5]
	v_add_f64_e64 v[16:17], v[16:17], -v[20:21]
.LBB87_224:                             ;   in Loop: Header=BB87_3 Depth=1
	s_or_b32 exec_lo, exec_lo, s17
	v_readlane_b32 s16, v208, 4
	s_barrier_signal -1
	s_barrier_wait -1
	s_and_saveexec_b32 s17, s16
	s_cbranch_execz .LBB87_226
; %bb.225:                              ;   in Loop: Header=BB87_3 Depth=1
	v_xor_b32_e32 v203, 0x80000000, v17
	v_xor_b32_e32 v201, 0x80000000, v15
	v_dual_mov_b32 v200, v14 :: v_dual_mov_b32 v202, v16
	ds_store_b128 v188, v[200:203]
.LBB87_226:                             ;   in Loop: Header=BB87_3 Depth=1
	s_or_b32 exec_lo, exec_lo, s17
	v_readlane_b32 s16, v208, 5
	s_wait_dscnt 0x0
	;; [unrolled: 32-line block ×6, first 2 shown]
	s_barrier_signal -1
	s_barrier_wait -1
	s_and_saveexec_b32 s17, s16
	s_cbranch_execz .LBB87_244
; %bb.243:                              ;   in Loop: Header=BB87_3 Depth=1
	ds_load_b128 v[200:203], v188
	ds_load_b128 v[204:207], v184 offset:4608
	s_wait_dscnt 0x0
	v_mul_f64_e32 v[4:5], v[202:203], v[206:207]
	v_mul_f64_e32 v[20:21], v[200:201], v[206:207]
	s_delay_alu instid0(VALU_DEP_2) | instskip(NEXT) | instid1(VALU_DEP_2)
	v_fma_f64 v[4:5], v[200:201], v[204:205], -v[4:5]
	v_fmac_f64_e32 v[20:21], v[202:203], v[204:205]
	s_delay_alu instid0(VALU_DEP_2) | instskip(NEXT) | instid1(VALU_DEP_2)
	v_add_f64_e64 v[14:15], v[14:15], -v[4:5]
	v_add_f64_e64 v[16:17], v[16:17], -v[20:21]
.LBB87_244:                             ;   in Loop: Header=BB87_3 Depth=1
	s_or_b32 exec_lo, exec_lo, s17
	v_readlane_b32 s16, v208, 14
	s_barrier_signal -1
	s_barrier_wait -1
	s_and_saveexec_b32 s17, s16
	s_cbranch_execz .LBB87_246
; %bb.245:                              ;   in Loop: Header=BB87_3 Depth=1
	v_xor_b32_e32 v203, 0x80000000, v17
	v_xor_b32_e32 v201, 0x80000000, v15
	v_dual_mov_b32 v200, v14 :: v_dual_mov_b32 v202, v16
	ds_store_b128 v188, v[200:203]
.LBB87_246:                             ;   in Loop: Header=BB87_3 Depth=1
	s_or_b32 exec_lo, exec_lo, s17
	s_wait_dscnt 0x0
	s_barrier_signal -1
	s_barrier_wait -1
	s_and_saveexec_b32 s17, s20
	s_cbranch_execz .LBB87_248
; %bb.247:                              ;   in Loop: Header=BB87_3 Depth=1
	ds_load_b128 v[200:203], v188
	ds_load_b128 v[204:207], v184 offset:4096
	s_wait_dscnt 0x0
	v_mul_f64_e32 v[4:5], v[202:203], v[206:207]
	v_mul_f64_e32 v[20:21], v[200:201], v[206:207]
	s_delay_alu instid0(VALU_DEP_2) | instskip(NEXT) | instid1(VALU_DEP_2)
	v_fma_f64 v[4:5], v[200:201], v[204:205], -v[4:5]
	v_fmac_f64_e32 v[20:21], v[202:203], v[204:205]
	s_delay_alu instid0(VALU_DEP_2) | instskip(NEXT) | instid1(VALU_DEP_2)
	v_add_f64_e64 v[14:15], v[14:15], -v[4:5]
	v_add_f64_e64 v[16:17], v[16:17], -v[20:21]
.LBB87_248:                             ;   in Loop: Header=BB87_3 Depth=1
	s_or_b32 exec_lo, exec_lo, s17
	s_barrier_signal -1
	s_barrier_wait -1
	s_and_saveexec_b32 s17, s21
	s_cbranch_execz .LBB87_250
; %bb.249:                              ;   in Loop: Header=BB87_3 Depth=1
	s_delay_alu instid0(VALU_DEP_1) | instskip(NEXT) | instid1(VALU_DEP_3)
	v_xor_b32_e32 v203, 0x80000000, v17
	v_xor_b32_e32 v201, 0x80000000, v15
	s_delay_alu instid0(VALU_DEP_3)
	v_dual_mov_b32 v200, v14 :: v_dual_mov_b32 v202, v16
	ds_store_b128 v188, v[200:203]
.LBB87_250:                             ;   in Loop: Header=BB87_3 Depth=1
	s_or_b32 exec_lo, exec_lo, s17
	s_wait_dscnt 0x0
	s_barrier_signal -1
	s_barrier_wait -1
	s_and_saveexec_b32 s17, s22
	s_cbranch_execz .LBB87_252
; %bb.251:                              ;   in Loop: Header=BB87_3 Depth=1
	ds_load_b128 v[200:203], v188
	ds_load_b128 v[204:207], v184 offset:3584
	s_wait_dscnt 0x0
	v_mul_f64_e32 v[4:5], v[202:203], v[206:207]
	v_mul_f64_e32 v[20:21], v[200:201], v[206:207]
	s_delay_alu instid0(VALU_DEP_2) | instskip(NEXT) | instid1(VALU_DEP_2)
	v_fma_f64 v[4:5], v[200:201], v[204:205], -v[4:5]
	v_fmac_f64_e32 v[20:21], v[202:203], v[204:205]
	s_delay_alu instid0(VALU_DEP_2) | instskip(NEXT) | instid1(VALU_DEP_2)
	v_add_f64_e64 v[14:15], v[14:15], -v[4:5]
	v_add_f64_e64 v[16:17], v[16:17], -v[20:21]
.LBB87_252:                             ;   in Loop: Header=BB87_3 Depth=1
	s_or_b32 exec_lo, exec_lo, s17
	s_barrier_signal -1
	s_barrier_wait -1
	s_and_saveexec_b32 s17, s23
	s_cbranch_execz .LBB87_254
; %bb.253:                              ;   in Loop: Header=BB87_3 Depth=1
	s_delay_alu instid0(VALU_DEP_1) | instskip(NEXT) | instid1(VALU_DEP_3)
	v_xor_b32_e32 v203, 0x80000000, v17
	v_xor_b32_e32 v201, 0x80000000, v15
	s_delay_alu instid0(VALU_DEP_3)
	v_dual_mov_b32 v200, v14 :: v_dual_mov_b32 v202, v16
	ds_store_b128 v188, v[200:203]
.LBB87_254:                             ;   in Loop: Header=BB87_3 Depth=1
	;; [unrolled: 32-line block ×8, first 2 shown]
	s_or_b32 exec_lo, exec_lo, s17
	s_wait_dscnt 0x0
	s_barrier_signal -1
	s_barrier_wait -1
	s_barrier_signal -1
	s_barrier_wait -1
	s_and_saveexec_b32 s17, s6
; %bb.279:                              ;   in Loop: Header=BB87_3 Depth=1
	ds_store_b128 v189, v[14:17] offset:15872
; %bb.280:                              ;   in Loop: Header=BB87_3 Depth=1
	s_or_b32 exec_lo, exec_lo, s17
	s_wait_dscnt 0x0
	s_barrier_signal -1
	s_barrier_wait -1
	s_barrier_signal -1
	s_barrier_wait -1
	s_and_saveexec_b32 s33, s100
	s_cbranch_execz .LBB87_282
; %bb.281:                              ;   in Loop: Header=BB87_3 Depth=1
	ds_load_b128 v[14:17], v59
	s_wait_dscnt 0x0
	ds_store_b128 v138, v[14:17]
	ds_load_b128 v[14:17], v60
	s_wait_dscnt 0x0
	ds_store_b128 v139, v[14:17]
	;; [unrolled: 3-line block ×16, first 2 shown]
.LBB87_282:                             ;   in Loop: Header=BB87_3 Depth=1
	s_or_b32 exec_lo, exec_lo, s33
	s_wait_dscnt 0x0
	s_barrier_signal -1
	s_barrier_wait -1
	s_and_saveexec_b32 s33, s27
	s_cbranch_execz .LBB87_284
; %bb.283:                              ;   in Loop: Header=BB87_3 Depth=1
	s_mov_b32 s36, s35
	s_mov_b32 s38, s35
	;; [unrolled: 1-line block ×3, first 2 shown]
	v_mov_b64_e32 v[14:15], s[36:37]
	v_mov_b64_e32 v[16:17], s[38:39]
	ds_store_b128 v3, v[14:17] offset:7392
	ds_store_b128 v3, v[14:17] offset:7920
	ds_load_b128 v[14:17], v3 offset:7904
	s_wait_dscnt 0x0
	ds_store_b128 v3, v[14:17] offset:7408
.LBB87_284:                             ;   in Loop: Header=BB87_3 Depth=1
	s_or_b32 exec_lo, exec_lo, s33
	v_mov_b64_e32 v[14:15], 0
	v_mov_b64_e32 v[16:17], 0
	s_wait_dscnt 0x0
	s_barrier_signal -1
	s_barrier_wait -1
	global_wb scope:SCOPE_DEV
	s_wait_storecnt 0x0
	global_inv scope:SCOPE_DEV
	s_and_saveexec_b32 s33, s2
	s_cbranch_execz .LBB87_288
; %bb.285:                              ;   in Loop: Header=BB87_3 Depth=1
	ds_load_b128 v[14:17], v44 offset:7904
	ds_load_b128 v[200:203], v178 offset:7360
	s_wait_dscnt 0x0
	v_mul_f64_e32 v[4:5], v[16:17], v[202:203]
	v_mul_f64_e32 v[20:21], v[14:15], v[202:203]
	s_delay_alu instid0(VALU_DEP_2) | instskip(NEXT) | instid1(VALU_DEP_2)
	v_fma_f64 v[4:5], v[14:15], v[200:201], -v[4:5]
	v_fmac_f64_e32 v[20:21], v[16:17], v[200:201]
	s_delay_alu instid0(VALU_DEP_2) | instskip(NEXT) | instid1(VALU_DEP_2)
	v_add_f64_e32 v[14:15], 0, v[4:5]
	v_add_f64_e32 v[16:17], 0, v[20:21]
	s_and_saveexec_b32 s17, s8
	s_cbranch_execz .LBB87_287
; %bb.286:                              ;   in Loop: Header=BB87_3 Depth=1
	ds_load_b128 v[200:203], v3 offset:7920
	ds_load_b128 v[204:207], v27 offset:7872
	s_wait_dscnt 0x0
	v_mul_f64_e32 v[4:5], v[202:203], v[206:207]
	v_mul_f64_e32 v[20:21], v[200:201], v[206:207]
	s_delay_alu instid0(VALU_DEP_2) | instskip(NEXT) | instid1(VALU_DEP_2)
	v_fma_f64 v[4:5], v[200:201], v[204:205], -v[4:5]
	v_fmac_f64_e32 v[20:21], v[202:203], v[204:205]
	s_delay_alu instid0(VALU_DEP_2) | instskip(NEXT) | instid1(VALU_DEP_2)
	v_add_f64_e32 v[14:15], v[14:15], v[4:5]
	v_add_f64_e32 v[16:17], v[16:17], v[20:21]
.LBB87_287:                             ;   in Loop: Header=BB87_3 Depth=1
	s_or_b32 exec_lo, exec_lo, s17
.LBB87_288:                             ;   in Loop: Header=BB87_3 Depth=1
	s_delay_alu instid0(SALU_CYCLE_1)
	s_or_b32 exec_lo, exec_lo, s33
	s_and_saveexec_b32 s17, s66
	s_cbranch_execz .LBB87_290
; %bb.289:                              ;   in Loop: Header=BB87_3 Depth=1
	s_delay_alu instid0(VALU_DEP_2) | instskip(NEXT) | instid1(VALU_DEP_2)
	v_xor_b32_e32 v201, 0x80000000, v15
	v_xor_b32_e32 v203, 0x80000000, v17
	s_delay_alu instid0(VALU_DEP_3)
	v_dual_mov_b32 v200, v14 :: v_dual_mov_b32 v202, v16
	ds_store_b128 v179, v[200:203]
.LBB87_290:                             ;   in Loop: Header=BB87_3 Depth=1
	s_or_b32 exec_lo, exec_lo, s17
	s_wait_loadcnt_dscnt 0x0
	s_barrier_signal -1
	s_barrier_wait -1
	s_and_saveexec_b32 s17, s67
	s_cbranch_execz .LBB87_292
; %bb.291:                              ;   in Loop: Header=BB87_3 Depth=1
	ds_load_b128 v[200:203], v179
	ds_load_b128 v[204:207], v3 offset:6848
	s_wait_dscnt 0x0
	v_mul_f64_e32 v[4:5], v[200:201], v[204:205]
	v_mul_f64_e32 v[20:21], v[200:201], v[206:207]
	s_delay_alu instid0(VALU_DEP_2) | instskip(NEXT) | instid1(VALU_DEP_2)
	v_fma_f64 v[4:5], v[202:203], v[206:207], -v[4:5]
	v_fmac_f64_e32 v[20:21], v[202:203], v[204:205]
	s_delay_alu instid0(VALU_DEP_2) | instskip(NEXT) | instid1(VALU_DEP_2)
	v_add_f64_e32 v[14:15], v[14:15], v[4:5]
	v_add_f64_e64 v[16:17], v[16:17], -v[20:21]
.LBB87_292:                             ;   in Loop: Header=BB87_3 Depth=1
	s_or_b32 exec_lo, exec_lo, s17
	s_barrier_signal -1
	s_barrier_wait -1
	s_and_saveexec_b32 s17, s67
	s_cbranch_execz .LBB87_294
; %bb.293:                              ;   in Loop: Header=BB87_3 Depth=1
	s_delay_alu instid0(VALU_DEP_2) | instskip(NEXT) | instid1(VALU_DEP_2)
	v_xor_b32_e32 v201, 0x80000000, v15
	v_xor_b32_e32 v203, 0x80000000, v17
	s_delay_alu instid0(VALU_DEP_3)
	v_dual_mov_b32 v200, v14 :: v_dual_mov_b32 v202, v16
	ds_store_b128 v179, v[200:203]
.LBB87_294:                             ;   in Loop: Header=BB87_3 Depth=1
	s_or_b32 exec_lo, exec_lo, s17
	s_wait_dscnt 0x0
	s_barrier_signal -1
	s_barrier_wait -1
	s_barrier_signal -1
	s_barrier_wait -1
	s_and_saveexec_b32 s17, s2
; %bb.295:                              ;   in Loop: Header=BB87_3 Depth=1
	ds_store_b128 v181, v[14:17] offset:7872
; %bb.296:                              ;   in Loop: Header=BB87_3 Depth=1
	s_or_b32 exec_lo, exec_lo, s17
	s_wait_dscnt 0x0
	s_barrier_signal -1
	s_barrier_wait -1
	s_barrier_signal -1
	s_barrier_wait -1
	s_and_saveexec_b32 s17, s68
	s_cbranch_execz .LBB87_298
; %bb.297:                              ;   in Loop: Header=BB87_3 Depth=1
	ds_load_b128 v[14:17], v75
	s_wait_dscnt 0x0
	ds_store_b128 v154, v[14:17]
	ds_load_b128 v[14:17], v76
	s_wait_dscnt 0x0
	ds_store_b128 v155, v[14:17]
.LBB87_298:                             ;   in Loop: Header=BB87_3 Depth=1
	s_or_b32 exec_lo, exec_lo, s17
	s_wait_dscnt 0x0
	s_barrier_signal -1
	s_barrier_wait -1
	s_and_saveexec_b32 s33, s27
	s_cbranch_execz .LBB87_300
; %bb.299:                              ;   in Loop: Header=BB87_3 Depth=1
	s_mov_b32 s36, s35
	s_mov_b32 s38, s35
	;; [unrolled: 1-line block ×3, first 2 shown]
	v_mov_b64_e32 v[14:15], s[36:37]
	v_mov_b64_e32 v[16:17], s[38:39]
	ds_store_b128 v3, v[14:17] offset:6336
	ds_store_b128 v3, v[14:17] offset:6864
	ds_load_b128 v[14:17], v3 offset:6848
	s_wait_dscnt 0x0
	ds_store_b128 v3, v[14:17] offset:6352
.LBB87_300:                             ;   in Loop: Header=BB87_3 Depth=1
	s_or_b32 exec_lo, exec_lo, s33
	v_mov_b64_e32 v[16:17], 0
	v_mov_b64_e32 v[14:15], 0
	s_wait_dscnt 0x0
	s_barrier_signal -1
	s_barrier_wait -1
	global_wb scope:SCOPE_DEV
	s_wait_storecnt 0x0
	global_inv scope:SCOPE_DEV
	s_and_saveexec_b32 s33, s4
	s_cbranch_execz .LBB87_306
; %bb.301:                              ;   in Loop: Header=BB87_3 Depth=1
	ds_load_b128 v[14:17], v48 offset:7872
	ds_load_b128 v[200:203], v180 offset:6272
	s_wait_dscnt 0x0
	v_mul_f64_e32 v[4:5], v[16:17], v[202:203]
	v_mul_f64_e32 v[20:21], v[14:15], v[202:203]
	s_delay_alu instid0(VALU_DEP_2) | instskip(NEXT) | instid1(VALU_DEP_2)
	v_fma_f64 v[4:5], v[14:15], v[200:201], -v[4:5]
	v_fmac_f64_e32 v[20:21], v[16:17], v[200:201]
	s_delay_alu instid0(VALU_DEP_2) | instskip(NEXT) | instid1(VALU_DEP_2)
	v_add_f64_e32 v[14:15], 0, v[4:5]
	v_add_f64_e32 v[16:17], 0, v[20:21]
	s_and_saveexec_b32 s17, s9
	s_cbranch_execnz .LBB87_532
; %bb.302:                              ;   in Loop: Header=BB87_3 Depth=1
	s_or_b32 exec_lo, exec_lo, s17
	s_and_saveexec_b32 s17, s10
	s_cbranch_execnz .LBB87_533
.LBB87_303:                             ;   in Loop: Header=BB87_3 Depth=1
	s_or_b32 exec_lo, exec_lo, s17
	s_and_saveexec_b32 s17, s2
	s_cbranch_execz .LBB87_305
.LBB87_304:                             ;   in Loop: Header=BB87_3 Depth=1
	ds_load_b128 v[200:203], v3 offset:7920
	ds_load_b128 v[204:207], v47 offset:7808
	s_wait_dscnt 0x0
	v_mul_f64_e32 v[4:5], v[202:203], v[206:207]
	v_mul_f64_e32 v[20:21], v[200:201], v[206:207]
	s_delay_alu instid0(VALU_DEP_2) | instskip(NEXT) | instid1(VALU_DEP_2)
	v_fma_f64 v[4:5], v[200:201], v[204:205], -v[4:5]
	v_fmac_f64_e32 v[20:21], v[202:203], v[204:205]
	s_delay_alu instid0(VALU_DEP_2) | instskip(NEXT) | instid1(VALU_DEP_2)
	v_add_f64_e32 v[14:15], v[14:15], v[4:5]
	v_add_f64_e32 v[16:17], v[16:17], v[20:21]
.LBB87_305:                             ;   in Loop: Header=BB87_3 Depth=1
	s_or_b32 exec_lo, exec_lo, s17
.LBB87_306:                             ;   in Loop: Header=BB87_3 Depth=1
	s_delay_alu instid0(SALU_CYCLE_1)
	s_or_b32 exec_lo, exec_lo, s33
	s_and_saveexec_b32 s17, s69
	s_cbranch_execz .LBB87_308
; %bb.307:                              ;   in Loop: Header=BB87_3 Depth=1
	s_delay_alu instid0(VALU_DEP_1) | instskip(NEXT) | instid1(VALU_DEP_3)
	v_xor_b32_e32 v203, 0x80000000, v17
	v_xor_b32_e32 v201, 0x80000000, v15
	s_delay_alu instid0(VALU_DEP_3)
	v_dual_mov_b32 v200, v14 :: v_dual_mov_b32 v202, v16
	ds_store_b128 v183, v[200:203]
.LBB87_308:                             ;   in Loop: Header=BB87_3 Depth=1
	s_or_b32 exec_lo, exec_lo, s17
	s_wait_loadcnt_dscnt 0x0
	s_barrier_signal -1
	s_barrier_wait -1
	s_and_saveexec_b32 s17, s70
	s_cbranch_execz .LBB87_310
; %bb.309:                              ;   in Loop: Header=BB87_3 Depth=1
	ds_load_b128 v[200:203], v183
	ds_load_b128 v[204:207], v180 offset:5760
	s_wait_dscnt 0x0
	v_mul_f64_e32 v[4:5], v[202:203], v[206:207]
	v_mul_f64_e32 v[20:21], v[200:201], v[206:207]
	s_delay_alu instid0(VALU_DEP_2) | instskip(NEXT) | instid1(VALU_DEP_2)
	v_fma_f64 v[4:5], v[200:201], v[204:205], -v[4:5]
	v_fmac_f64_e32 v[20:21], v[202:203], v[204:205]
	s_delay_alu instid0(VALU_DEP_2) | instskip(NEXT) | instid1(VALU_DEP_2)
	v_add_f64_e64 v[14:15], v[14:15], -v[4:5]
	v_add_f64_e64 v[16:17], v[16:17], -v[20:21]
.LBB87_310:                             ;   in Loop: Header=BB87_3 Depth=1
	s_or_b32 exec_lo, exec_lo, s17
	s_barrier_signal -1
	s_barrier_wait -1
	s_and_saveexec_b32 s17, s71
	s_cbranch_execz .LBB87_312
; %bb.311:                              ;   in Loop: Header=BB87_3 Depth=1
	s_delay_alu instid0(VALU_DEP_1) | instskip(NEXT) | instid1(VALU_DEP_3)
	v_xor_b32_e32 v203, 0x80000000, v17
	v_xor_b32_e32 v201, 0x80000000, v15
	s_delay_alu instid0(VALU_DEP_3)
	v_dual_mov_b32 v200, v14 :: v_dual_mov_b32 v202, v16
	ds_store_b128 v183, v[200:203]
.LBB87_312:                             ;   in Loop: Header=BB87_3 Depth=1
	s_or_b32 exec_lo, exec_lo, s17
	s_wait_dscnt 0x0
	s_barrier_signal -1
	s_barrier_wait -1
	s_and_saveexec_b32 s17, s72
	s_cbranch_execz .LBB87_314
; %bb.313:                              ;   in Loop: Header=BB87_3 Depth=1
	ds_load_b128 v[200:203], v183
	ds_load_b128 v[204:207], v180 offset:5248
	s_wait_dscnt 0x0
	v_mul_f64_e32 v[4:5], v[202:203], v[206:207]
	v_mul_f64_e32 v[20:21], v[200:201], v[206:207]
	s_delay_alu instid0(VALU_DEP_2) | instskip(NEXT) | instid1(VALU_DEP_2)
	v_fma_f64 v[4:5], v[200:201], v[204:205], -v[4:5]
	v_fmac_f64_e32 v[20:21], v[202:203], v[204:205]
	s_delay_alu instid0(VALU_DEP_2) | instskip(NEXT) | instid1(VALU_DEP_2)
	v_add_f64_e64 v[14:15], v[14:15], -v[4:5]
	v_add_f64_e64 v[16:17], v[16:17], -v[20:21]
.LBB87_314:                             ;   in Loop: Header=BB87_3 Depth=1
	s_or_b32 exec_lo, exec_lo, s17
	s_barrier_signal -1
	s_barrier_wait -1
	s_and_saveexec_b32 s17, s73
	s_cbranch_execz .LBB87_316
; %bb.315:                              ;   in Loop: Header=BB87_3 Depth=1
	s_delay_alu instid0(VALU_DEP_1) | instskip(NEXT) | instid1(VALU_DEP_3)
	v_xor_b32_e32 v203, 0x80000000, v17
	v_xor_b32_e32 v201, 0x80000000, v15
	s_delay_alu instid0(VALU_DEP_3)
	v_dual_mov_b32 v200, v14 :: v_dual_mov_b32 v202, v16
	ds_store_b128 v183, v[200:203]
.LBB87_316:                             ;   in Loop: Header=BB87_3 Depth=1
	s_or_b32 exec_lo, exec_lo, s17
	s_wait_dscnt 0x0
	;; [unrolled: 32-line block ×3, first 2 shown]
	s_barrier_signal -1
	s_barrier_wait -1
	s_barrier_signal -1
	s_barrier_wait -1
	s_and_saveexec_b32 s17, s4
; %bb.321:                              ;   in Loop: Header=BB87_3 Depth=1
	ds_store_b128 v185, v[14:17] offset:7808
; %bb.322:                              ;   in Loop: Header=BB87_3 Depth=1
	s_or_b32 exec_lo, exec_lo, s17
	s_wait_dscnt 0x0
	s_barrier_signal -1
	s_barrier_wait -1
	s_barrier_signal -1
	s_barrier_wait -1
	s_and_saveexec_b32 s17, s75
	s_cbranch_execz .LBB87_324
; %bb.323:                              ;   in Loop: Header=BB87_3 Depth=1
	ds_load_b128 v[14:17], v91
	s_wait_dscnt 0x0
	ds_store_b128 v156, v[14:17]
	ds_load_b128 v[14:17], v94
	s_wait_dscnt 0x0
	ds_store_b128 v159, v[14:17]
	;; [unrolled: 3-line block ×4, first 2 shown]
.LBB87_324:                             ;   in Loop: Header=BB87_3 Depth=1
	s_or_b32 exec_lo, exec_lo, s17
	s_wait_dscnt 0x0
	s_barrier_signal -1
	s_barrier_wait -1
	s_and_saveexec_b32 s33, s27
	s_cbranch_execz .LBB87_326
; %bb.325:                              ;   in Loop: Header=BB87_3 Depth=1
	s_mov_b32 s36, s35
	s_mov_b32 s38, s35
	;; [unrolled: 1-line block ×3, first 2 shown]
	v_mov_b64_e32 v[14:15], s[36:37]
	v_mov_b64_e32 v[16:17], s[38:39]
	ds_store_b128 v3, v[14:17] offset:5280
	ds_store_b128 v3, v[14:17] offset:5808
	ds_load_b128 v[14:17], v3 offset:5792
	s_wait_dscnt 0x0
	ds_store_b128 v3, v[14:17] offset:5296
.LBB87_326:                             ;   in Loop: Header=BB87_3 Depth=1
	s_or_b32 exec_lo, exec_lo, s33
	v_mov_b64_e32 v[14:15], 0
	v_mov_b64_e32 v[16:17], 0
	s_wait_dscnt 0x0
	s_barrier_signal -1
	s_barrier_wait -1
	global_wb scope:SCOPE_DEV
	s_wait_storecnt 0x0
	global_inv scope:SCOPE_DEV
	s_and_saveexec_b32 s33, s2
	s_cbranch_execz .LBB87_330
; %bb.327:                              ;   in Loop: Header=BB87_3 Depth=1
	ds_load_b128 v[14:17], v44 offset:5792
	ds_load_b128 v[200:203], v178 offset:5248
	s_wait_dscnt 0x0
	v_mul_f64_e32 v[4:5], v[16:17], v[202:203]
	v_mul_f64_e32 v[20:21], v[14:15], v[202:203]
	s_delay_alu instid0(VALU_DEP_2) | instskip(NEXT) | instid1(VALU_DEP_2)
	v_fma_f64 v[4:5], v[14:15], v[200:201], -v[4:5]
	v_fmac_f64_e32 v[20:21], v[16:17], v[200:201]
	s_delay_alu instid0(VALU_DEP_2) | instskip(NEXT) | instid1(VALU_DEP_2)
	v_add_f64_e32 v[14:15], 0, v[4:5]
	v_add_f64_e32 v[16:17], 0, v[20:21]
	s_and_saveexec_b32 s17, s8
	s_cbranch_execz .LBB87_329
; %bb.328:                              ;   in Loop: Header=BB87_3 Depth=1
	ds_load_b128 v[200:203], v3 offset:5808
	ds_load_b128 v[204:207], v87 offset:5760
	s_wait_dscnt 0x0
	v_mul_f64_e32 v[4:5], v[202:203], v[206:207]
	v_mul_f64_e32 v[20:21], v[200:201], v[206:207]
	s_delay_alu instid0(VALU_DEP_2) | instskip(NEXT) | instid1(VALU_DEP_2)
	v_fma_f64 v[4:5], v[200:201], v[204:205], -v[4:5]
	v_fmac_f64_e32 v[20:21], v[202:203], v[204:205]
	s_delay_alu instid0(VALU_DEP_2) | instskip(NEXT) | instid1(VALU_DEP_2)
	v_add_f64_e32 v[14:15], v[14:15], v[4:5]
	v_add_f64_e32 v[16:17], v[16:17], v[20:21]
.LBB87_329:                             ;   in Loop: Header=BB87_3 Depth=1
	s_or_b32 exec_lo, exec_lo, s17
.LBB87_330:                             ;   in Loop: Header=BB87_3 Depth=1
	s_delay_alu instid0(SALU_CYCLE_1)
	s_or_b32 exec_lo, exec_lo, s33
	s_and_saveexec_b32 s17, s66
	s_cbranch_execz .LBB87_332
; %bb.331:                              ;   in Loop: Header=BB87_3 Depth=1
	s_delay_alu instid0(VALU_DEP_2) | instskip(NEXT) | instid1(VALU_DEP_2)
	v_xor_b32_e32 v201, 0x80000000, v15
	v_xor_b32_e32 v203, 0x80000000, v17
	s_delay_alu instid0(VALU_DEP_3)
	v_dual_mov_b32 v200, v14 :: v_dual_mov_b32 v202, v16
	ds_store_b128 v179, v[200:203]
.LBB87_332:                             ;   in Loop: Header=BB87_3 Depth=1
	s_or_b32 exec_lo, exec_lo, s17
	s_wait_loadcnt_dscnt 0x0
	s_barrier_signal -1
	s_barrier_wait -1
	s_and_saveexec_b32 s17, s67
	s_cbranch_execz .LBB87_334
; %bb.333:                              ;   in Loop: Header=BB87_3 Depth=1
	ds_load_b128 v[200:203], v179
	ds_load_b128 v[204:207], v3 offset:4736
	s_wait_dscnt 0x0
	v_mul_f64_e32 v[4:5], v[200:201], v[204:205]
	v_mul_f64_e32 v[20:21], v[200:201], v[206:207]
	s_delay_alu instid0(VALU_DEP_2) | instskip(NEXT) | instid1(VALU_DEP_2)
	v_fma_f64 v[4:5], v[202:203], v[206:207], -v[4:5]
	v_fmac_f64_e32 v[20:21], v[202:203], v[204:205]
	s_delay_alu instid0(VALU_DEP_2) | instskip(NEXT) | instid1(VALU_DEP_2)
	v_add_f64_e32 v[14:15], v[14:15], v[4:5]
	v_add_f64_e64 v[16:17], v[16:17], -v[20:21]
.LBB87_334:                             ;   in Loop: Header=BB87_3 Depth=1
	s_or_b32 exec_lo, exec_lo, s17
	s_barrier_signal -1
	s_barrier_wait -1
	s_and_saveexec_b32 s17, s67
	s_cbranch_execz .LBB87_336
; %bb.335:                              ;   in Loop: Header=BB87_3 Depth=1
	s_delay_alu instid0(VALU_DEP_2) | instskip(NEXT) | instid1(VALU_DEP_2)
	v_xor_b32_e32 v201, 0x80000000, v15
	v_xor_b32_e32 v203, 0x80000000, v17
	s_delay_alu instid0(VALU_DEP_3)
	v_dual_mov_b32 v200, v14 :: v_dual_mov_b32 v202, v16
	ds_store_b128 v179, v[200:203]
.LBB87_336:                             ;   in Loop: Header=BB87_3 Depth=1
	s_or_b32 exec_lo, exec_lo, s17
	s_wait_dscnt 0x0
	s_barrier_signal -1
	s_barrier_wait -1
	s_barrier_signal -1
	s_barrier_wait -1
	s_and_saveexec_b32 s17, s2
; %bb.337:                              ;   in Loop: Header=BB87_3 Depth=1
	ds_store_b128 v181, v[14:17] offset:5760
; %bb.338:                              ;   in Loop: Header=BB87_3 Depth=1
	s_or_b32 exec_lo, exec_lo, s17
	s_wait_dscnt 0x0
	s_barrier_signal -1
	s_barrier_wait -1
	s_barrier_signal -1
	s_barrier_wait -1
	s_and_saveexec_b32 s17, s68
	s_cbranch_execz .LBB87_340
; %bb.339:                              ;   in Loop: Header=BB87_3 Depth=1
	ds_load_b128 v[14:17], v103
	s_wait_dscnt 0x0
	ds_store_b128 v160, v[14:17]
	ds_load_b128 v[14:17], v104
	s_wait_dscnt 0x0
	ds_store_b128 v161, v[14:17]
.LBB87_340:                             ;   in Loop: Header=BB87_3 Depth=1
	s_or_b32 exec_lo, exec_lo, s17
	s_wait_dscnt 0x0
	s_barrier_signal -1
	s_barrier_wait -1
	s_and_saveexec_b32 s33, s27
	s_cbranch_execz .LBB87_342
; %bb.341:                              ;   in Loop: Header=BB87_3 Depth=1
	s_mov_b32 s36, s35
	s_mov_b32 s38, s35
	;; [unrolled: 1-line block ×3, first 2 shown]
	v_mov_b64_e32 v[14:15], s[36:37]
	v_mov_b64_e32 v[16:17], s[38:39]
	ds_store_b128 v3, v[14:17] offset:4224
	ds_store_b128 v3, v[14:17] offset:4752
	ds_load_b128 v[14:17], v3 offset:4736
	s_wait_dscnt 0x0
	ds_store_b128 v3, v[14:17] offset:4240
.LBB87_342:                             ;   in Loop: Header=BB87_3 Depth=1
	s_or_b32 exec_lo, exec_lo, s33
	v_mov_b64_e32 v[16:17], 0
	v_mov_b64_e32 v[14:15], 0
	s_wait_dscnt 0x0
	s_barrier_signal -1
	s_barrier_wait -1
	global_wb scope:SCOPE_DEV
	s_wait_storecnt 0x0
	global_inv scope:SCOPE_DEV
	s_and_saveexec_b32 s33, s5
	s_cbranch_execz .LBB87_352
; %bb.343:                              ;   in Loop: Header=BB87_3 Depth=1
	ds_load_b128 v[14:17], v49 offset:7808
	ds_load_b128 v[200:203], v182 offset:4096
	s_wait_dscnt 0x0
	v_mul_f64_e32 v[4:5], v[16:17], v[202:203]
	v_mul_f64_e32 v[20:21], v[14:15], v[202:203]
	s_delay_alu instid0(VALU_DEP_2) | instskip(NEXT) | instid1(VALU_DEP_2)
	v_fma_f64 v[4:5], v[14:15], v[200:201], -v[4:5]
	v_fmac_f64_e32 v[20:21], v[16:17], v[200:201]
	s_delay_alu instid0(VALU_DEP_2) | instskip(NEXT) | instid1(VALU_DEP_2)
	v_add_f64_e32 v[14:15], 0, v[4:5]
	v_add_f64_e32 v[16:17], 0, v[20:21]
	s_and_saveexec_b32 s17, s11
	s_cbranch_execnz .LBB87_534
; %bb.344:                              ;   in Loop: Header=BB87_3 Depth=1
	s_or_b32 exec_lo, exec_lo, s17
	s_and_saveexec_b32 s17, s12
	s_cbranch_execnz .LBB87_535
.LBB87_345:                             ;   in Loop: Header=BB87_3 Depth=1
	s_or_b32 exec_lo, exec_lo, s17
	s_and_saveexec_b32 s17, s13
	s_cbranch_execnz .LBB87_536
.LBB87_346:                             ;   in Loop: Header=BB87_3 Depth=1
	s_or_b32 exec_lo, exec_lo, s17
	s_and_saveexec_b32 s17, s14
	s_cbranch_execnz .LBB87_537
.LBB87_347:                             ;   in Loop: Header=BB87_3 Depth=1
	s_or_b32 exec_lo, exec_lo, s17
	s_and_saveexec_b32 s17, s15
	s_cbranch_execnz .LBB87_538
.LBB87_348:                             ;   in Loop: Header=BB87_3 Depth=1
	s_or_b32 exec_lo, exec_lo, s17
	s_and_saveexec_b32 s17, s4
	s_cbranch_execnz .LBB87_539
.LBB87_349:                             ;   in Loop: Header=BB87_3 Depth=1
	s_or_b32 exec_lo, exec_lo, s17
	s_and_saveexec_b32 s17, s10
	s_cbranch_execz .LBB87_351
.LBB87_350:                             ;   in Loop: Header=BB87_3 Depth=1
	ds_load_b128 v[200:203], v3 offset:7920
	ds_load_b128 v[204:207], v27 offset:7680
	s_wait_dscnt 0x0
	v_mul_f64_e32 v[4:5], v[202:203], v[206:207]
	v_mul_f64_e32 v[20:21], v[200:201], v[206:207]
	s_delay_alu instid0(VALU_DEP_2) | instskip(NEXT) | instid1(VALU_DEP_2)
	v_fma_f64 v[4:5], v[200:201], v[204:205], -v[4:5]
	v_fmac_f64_e32 v[20:21], v[202:203], v[204:205]
	s_delay_alu instid0(VALU_DEP_2) | instskip(NEXT) | instid1(VALU_DEP_2)
	v_add_f64_e32 v[14:15], v[14:15], v[4:5]
	v_add_f64_e32 v[16:17], v[16:17], v[20:21]
.LBB87_351:                             ;   in Loop: Header=BB87_3 Depth=1
	s_or_b32 exec_lo, exec_lo, s17
.LBB87_352:                             ;   in Loop: Header=BB87_3 Depth=1
	s_delay_alu instid0(SALU_CYCLE_1)
	s_or_b32 exec_lo, exec_lo, s33
	s_and_saveexec_b32 s17, s76
	s_cbranch_execz .LBB87_354
; %bb.353:                              ;   in Loop: Header=BB87_3 Depth=1
	s_delay_alu instid0(VALU_DEP_2) | instskip(NEXT) | instid1(VALU_DEP_2)
	v_xor_b32_e32 v201, 0x80000000, v15
	v_xor_b32_e32 v203, 0x80000000, v17
	s_delay_alu instid0(VALU_DEP_3)
	v_dual_mov_b32 v200, v14 :: v_dual_mov_b32 v202, v16
	ds_store_b128 v186, v[200:203]
.LBB87_354:                             ;   in Loop: Header=BB87_3 Depth=1
	s_or_b32 exec_lo, exec_lo, s17
	s_wait_loadcnt_dscnt 0x0
	s_barrier_signal -1
	s_barrier_wait -1
	s_and_saveexec_b32 s17, s77
	s_cbranch_execz .LBB87_356
; %bb.355:                              ;   in Loop: Header=BB87_3 Depth=1
	ds_load_b128 v[200:203], v186
	ds_load_b128 v[204:207], v182 offset:3584
	s_wait_dscnt 0x0
	v_mul_f64_e32 v[4:5], v[202:203], v[206:207]
	v_mul_f64_e32 v[20:21], v[200:201], v[206:207]
	s_delay_alu instid0(VALU_DEP_2) | instskip(NEXT) | instid1(VALU_DEP_2)
	v_fma_f64 v[4:5], v[200:201], v[204:205], -v[4:5]
	v_fmac_f64_e32 v[20:21], v[202:203], v[204:205]
	s_delay_alu instid0(VALU_DEP_2) | instskip(NEXT) | instid1(VALU_DEP_2)
	v_add_f64_e64 v[14:15], v[14:15], -v[4:5]
	v_add_f64_e64 v[16:17], v[16:17], -v[20:21]
.LBB87_356:                             ;   in Loop: Header=BB87_3 Depth=1
	s_or_b32 exec_lo, exec_lo, s17
	s_barrier_signal -1
	s_barrier_wait -1
	s_and_saveexec_b32 s17, s78
	s_cbranch_execz .LBB87_358
; %bb.357:                              ;   in Loop: Header=BB87_3 Depth=1
	s_delay_alu instid0(VALU_DEP_2) | instskip(NEXT) | instid1(VALU_DEP_2)
	v_xor_b32_e32 v201, 0x80000000, v15
	v_xor_b32_e32 v203, 0x80000000, v17
	s_delay_alu instid0(VALU_DEP_3)
	v_dual_mov_b32 v200, v14 :: v_dual_mov_b32 v202, v16
	ds_store_b128 v186, v[200:203]
.LBB87_358:                             ;   in Loop: Header=BB87_3 Depth=1
	s_or_b32 exec_lo, exec_lo, s17
	s_wait_dscnt 0x0
	s_barrier_signal -1
	s_barrier_wait -1
	s_and_saveexec_b32 s17, s79
	s_cbranch_execz .LBB87_360
; %bb.359:                              ;   in Loop: Header=BB87_3 Depth=1
	ds_load_b128 v[200:203], v186
	ds_load_b128 v[204:207], v182 offset:3072
	s_wait_dscnt 0x0
	v_mul_f64_e32 v[4:5], v[202:203], v[206:207]
	v_mul_f64_e32 v[20:21], v[200:201], v[206:207]
	s_delay_alu instid0(VALU_DEP_2) | instskip(NEXT) | instid1(VALU_DEP_2)
	v_fma_f64 v[4:5], v[200:201], v[204:205], -v[4:5]
	v_fmac_f64_e32 v[20:21], v[202:203], v[204:205]
	s_delay_alu instid0(VALU_DEP_2) | instskip(NEXT) | instid1(VALU_DEP_2)
	v_add_f64_e64 v[14:15], v[14:15], -v[4:5]
	v_add_f64_e64 v[16:17], v[16:17], -v[20:21]
.LBB87_360:                             ;   in Loop: Header=BB87_3 Depth=1
	s_or_b32 exec_lo, exec_lo, s17
	s_barrier_signal -1
	s_barrier_wait -1
	s_and_saveexec_b32 s17, s80
	s_cbranch_execz .LBB87_362
; %bb.361:                              ;   in Loop: Header=BB87_3 Depth=1
	s_delay_alu instid0(VALU_DEP_2) | instskip(NEXT) | instid1(VALU_DEP_2)
	v_xor_b32_e32 v201, 0x80000000, v15
	v_xor_b32_e32 v203, 0x80000000, v17
	s_delay_alu instid0(VALU_DEP_3)
	v_dual_mov_b32 v200, v14 :: v_dual_mov_b32 v202, v16
	ds_store_b128 v186, v[200:203]
.LBB87_362:                             ;   in Loop: Header=BB87_3 Depth=1
	s_or_b32 exec_lo, exec_lo, s17
	s_wait_dscnt 0x0
	;; [unrolled: 32-line block ×7, first 2 shown]
	s_barrier_signal -1
	s_barrier_wait -1
	s_barrier_signal -1
	s_barrier_wait -1
	s_and_saveexec_b32 s17, s5
; %bb.383:                              ;   in Loop: Header=BB87_3 Depth=1
	ds_store_b128 v187, v[14:17] offset:7680
; %bb.384:                              ;   in Loop: Header=BB87_3 Depth=1
	s_or_b32 exec_lo, exec_lo, s17
	s_wait_dscnt 0x0
	s_barrier_signal -1
	s_barrier_wait -1
	s_barrier_signal -1
	s_barrier_wait -1
	s_and_saveexec_b32 s17, s90
	s_cbranch_execz .LBB87_386
; %bb.385:                              ;   in Loop: Header=BB87_3 Depth=1
	ds_load_b128 v[14:17], v77
	s_wait_dscnt 0x0
	ds_store_b128 v162, v[14:17]
	ds_load_b128 v[14:17], v78
	s_wait_dscnt 0x0
	ds_store_b128 v163, v[14:17]
	;; [unrolled: 3-line block ×8, first 2 shown]
.LBB87_386:                             ;   in Loop: Header=BB87_3 Depth=1
	s_or_b32 exec_lo, exec_lo, s17
	s_wait_dscnt 0x0
	s_barrier_signal -1
	s_barrier_wait -1
	s_and_saveexec_b32 s33, s27
	s_cbranch_execz .LBB87_388
; %bb.387:                              ;   in Loop: Header=BB87_3 Depth=1
	s_mov_b32 s36, s35
	s_mov_b32 s38, s35
	;; [unrolled: 1-line block ×3, first 2 shown]
	v_mov_b64_e32 v[14:15], s[36:37]
	v_mov_b64_e32 v[16:17], s[38:39]
	ds_store_b128 v3, v[14:17] offset:3168
	ds_store_b128 v3, v[14:17] offset:3696
	ds_load_b128 v[14:17], v3 offset:3680
	s_wait_dscnt 0x0
	ds_store_b128 v3, v[14:17] offset:3184
.LBB87_388:                             ;   in Loop: Header=BB87_3 Depth=1
	s_or_b32 exec_lo, exec_lo, s33
	v_mov_b64_e32 v[14:15], 0
	v_mov_b64_e32 v[16:17], 0
	s_wait_dscnt 0x0
	s_barrier_signal -1
	s_barrier_wait -1
	global_wb scope:SCOPE_DEV
	s_wait_storecnt 0x0
	global_inv scope:SCOPE_DEV
	s_and_saveexec_b32 s33, s2
	s_cbranch_execz .LBB87_392
; %bb.389:                              ;   in Loop: Header=BB87_3 Depth=1
	ds_load_b128 v[14:17], v44 offset:3680
	ds_load_b128 v[200:203], v178 offset:3136
	s_wait_dscnt 0x0
	v_mul_f64_e32 v[4:5], v[16:17], v[202:203]
	v_mul_f64_e32 v[20:21], v[14:15], v[202:203]
	s_delay_alu instid0(VALU_DEP_2) | instskip(NEXT) | instid1(VALU_DEP_2)
	v_fma_f64 v[4:5], v[14:15], v[200:201], -v[4:5]
	v_fmac_f64_e32 v[20:21], v[16:17], v[200:201]
	s_delay_alu instid0(VALU_DEP_2) | instskip(NEXT) | instid1(VALU_DEP_2)
	v_add_f64_e32 v[14:15], 0, v[4:5]
	v_add_f64_e32 v[16:17], 0, v[20:21]
	s_and_saveexec_b32 s17, s8
	s_cbranch_execz .LBB87_391
; %bb.390:                              ;   in Loop: Header=BB87_3 Depth=1
	ds_load_b128 v[200:203], v3 offset:3696
	ds_load_b128 v[204:207], v47 offset:3648
	s_wait_dscnt 0x0
	v_mul_f64_e32 v[4:5], v[202:203], v[206:207]
	v_mul_f64_e32 v[20:21], v[200:201], v[206:207]
	s_delay_alu instid0(VALU_DEP_2) | instskip(NEXT) | instid1(VALU_DEP_2)
	v_fma_f64 v[4:5], v[200:201], v[204:205], -v[4:5]
	v_fmac_f64_e32 v[20:21], v[202:203], v[204:205]
	s_delay_alu instid0(VALU_DEP_2) | instskip(NEXT) | instid1(VALU_DEP_2)
	v_add_f64_e32 v[14:15], v[14:15], v[4:5]
	v_add_f64_e32 v[16:17], v[16:17], v[20:21]
.LBB87_391:                             ;   in Loop: Header=BB87_3 Depth=1
	s_or_b32 exec_lo, exec_lo, s17
.LBB87_392:                             ;   in Loop: Header=BB87_3 Depth=1
	s_delay_alu instid0(SALU_CYCLE_1)
	s_or_b32 exec_lo, exec_lo, s33
	s_and_saveexec_b32 s17, s66
	s_cbranch_execz .LBB87_394
; %bb.393:                              ;   in Loop: Header=BB87_3 Depth=1
	s_delay_alu instid0(VALU_DEP_2) | instskip(NEXT) | instid1(VALU_DEP_2)
	v_xor_b32_e32 v201, 0x80000000, v15
	v_xor_b32_e32 v203, 0x80000000, v17
	s_delay_alu instid0(VALU_DEP_3)
	v_dual_mov_b32 v200, v14 :: v_dual_mov_b32 v202, v16
	ds_store_b128 v179, v[200:203]
.LBB87_394:                             ;   in Loop: Header=BB87_3 Depth=1
	s_or_b32 exec_lo, exec_lo, s17
	s_wait_loadcnt_dscnt 0x0
	s_barrier_signal -1
	s_barrier_wait -1
	s_and_saveexec_b32 s17, s67
	s_cbranch_execz .LBB87_396
; %bb.395:                              ;   in Loop: Header=BB87_3 Depth=1
	ds_load_b128 v[200:203], v179
	ds_load_b128 v[204:207], v3 offset:2624
	s_wait_dscnt 0x0
	v_mul_f64_e32 v[4:5], v[200:201], v[204:205]
	v_mul_f64_e32 v[20:21], v[200:201], v[206:207]
	s_delay_alu instid0(VALU_DEP_2) | instskip(NEXT) | instid1(VALU_DEP_2)
	v_fma_f64 v[4:5], v[202:203], v[206:207], -v[4:5]
	v_fmac_f64_e32 v[20:21], v[202:203], v[204:205]
	s_delay_alu instid0(VALU_DEP_2) | instskip(NEXT) | instid1(VALU_DEP_2)
	v_add_f64_e32 v[14:15], v[14:15], v[4:5]
	v_add_f64_e64 v[16:17], v[16:17], -v[20:21]
.LBB87_396:                             ;   in Loop: Header=BB87_3 Depth=1
	s_or_b32 exec_lo, exec_lo, s17
	s_barrier_signal -1
	s_barrier_wait -1
	s_and_saveexec_b32 s17, s67
	s_cbranch_execz .LBB87_398
; %bb.397:                              ;   in Loop: Header=BB87_3 Depth=1
	s_delay_alu instid0(VALU_DEP_2) | instskip(NEXT) | instid1(VALU_DEP_2)
	v_xor_b32_e32 v201, 0x80000000, v15
	v_xor_b32_e32 v203, 0x80000000, v17
	s_delay_alu instid0(VALU_DEP_3)
	v_dual_mov_b32 v200, v14 :: v_dual_mov_b32 v202, v16
	ds_store_b128 v179, v[200:203]
.LBB87_398:                             ;   in Loop: Header=BB87_3 Depth=1
	s_or_b32 exec_lo, exec_lo, s17
	s_wait_dscnt 0x0
	s_barrier_signal -1
	s_barrier_wait -1
	s_barrier_signal -1
	s_barrier_wait -1
	s_and_saveexec_b32 s17, s2
; %bb.399:                              ;   in Loop: Header=BB87_3 Depth=1
	ds_store_b128 v181, v[14:17] offset:3648
; %bb.400:                              ;   in Loop: Header=BB87_3 Depth=1
	s_or_b32 exec_lo, exec_lo, s17
	s_wait_dscnt 0x0
	s_barrier_signal -1
	s_barrier_wait -1
	s_barrier_signal -1
	s_barrier_wait -1
	s_and_saveexec_b32 s17, s68
	s_cbranch_execz .LBB87_402
; %bb.401:                              ;   in Loop: Header=BB87_3 Depth=1
	ds_load_b128 v[14:17], v95
	s_wait_dscnt 0x0
	ds_store_b128 v170, v[14:17]
	ds_load_b128 v[14:17], v191
	s_wait_dscnt 0x0
	ds_store_b128 v171, v[14:17]
.LBB87_402:                             ;   in Loop: Header=BB87_3 Depth=1
	s_or_b32 exec_lo, exec_lo, s17
	s_wait_dscnt 0x0
	s_barrier_signal -1
	s_barrier_wait -1
	s_and_saveexec_b32 s33, s27
	s_cbranch_execz .LBB87_404
; %bb.403:                              ;   in Loop: Header=BB87_3 Depth=1
	s_mov_b32 s36, s35
	s_mov_b32 s38, s35
	;; [unrolled: 1-line block ×3, first 2 shown]
	v_mov_b64_e32 v[14:15], s[36:37]
	v_mov_b64_e32 v[16:17], s[38:39]
	ds_store_b128 v3, v[14:17] offset:2112
	ds_store_b128 v3, v[14:17] offset:2640
	ds_load_b128 v[14:17], v3 offset:2624
	s_wait_dscnt 0x0
	ds_store_b128 v3, v[14:17] offset:2128
.LBB87_404:                             ;   in Loop: Header=BB87_3 Depth=1
	s_or_b32 exec_lo, exec_lo, s33
	v_mov_b64_e32 v[16:17], 0
	v_mov_b64_e32 v[14:15], 0
	s_wait_dscnt 0x0
	s_barrier_signal -1
	s_barrier_wait -1
	global_wb scope:SCOPE_DEV
	s_wait_storecnt 0x0
	global_inv scope:SCOPE_DEV
	s_and_saveexec_b32 s33, s4
	s_cbranch_execz .LBB87_410
; %bb.405:                              ;   in Loop: Header=BB87_3 Depth=1
	ds_load_b128 v[14:17], v48 offset:3648
	ds_load_b128 v[200:203], v180 offset:2048
	s_wait_dscnt 0x0
	v_mul_f64_e32 v[4:5], v[16:17], v[202:203]
	v_mul_f64_e32 v[20:21], v[14:15], v[202:203]
	s_delay_alu instid0(VALU_DEP_2) | instskip(NEXT) | instid1(VALU_DEP_2)
	v_fma_f64 v[4:5], v[14:15], v[200:201], -v[4:5]
	v_fmac_f64_e32 v[20:21], v[16:17], v[200:201]
	s_delay_alu instid0(VALU_DEP_2) | instskip(NEXT) | instid1(VALU_DEP_2)
	v_add_f64_e32 v[14:15], 0, v[4:5]
	v_add_f64_e32 v[16:17], 0, v[20:21]
	s_and_saveexec_b32 s17, s9
	s_cbranch_execnz .LBB87_540
; %bb.406:                              ;   in Loop: Header=BB87_3 Depth=1
	s_or_b32 exec_lo, exec_lo, s17
	s_and_saveexec_b32 s17, s10
	s_cbranch_execnz .LBB87_541
.LBB87_407:                             ;   in Loop: Header=BB87_3 Depth=1
	s_or_b32 exec_lo, exec_lo, s17
	s_and_saveexec_b32 s17, s2
	s_cbranch_execz .LBB87_409
.LBB87_408:                             ;   in Loop: Header=BB87_3 Depth=1
	ds_load_b128 v[200:203], v3 offset:3696
	ds_load_b128 v[204:207], v87 offset:3584
	s_wait_dscnt 0x0
	v_mul_f64_e32 v[4:5], v[202:203], v[206:207]
	v_mul_f64_e32 v[20:21], v[200:201], v[206:207]
	s_delay_alu instid0(VALU_DEP_2) | instskip(NEXT) | instid1(VALU_DEP_2)
	v_fma_f64 v[4:5], v[200:201], v[204:205], -v[4:5]
	v_fmac_f64_e32 v[20:21], v[202:203], v[204:205]
	s_delay_alu instid0(VALU_DEP_2) | instskip(NEXT) | instid1(VALU_DEP_2)
	v_add_f64_e32 v[14:15], v[14:15], v[4:5]
	v_add_f64_e32 v[16:17], v[16:17], v[20:21]
.LBB87_409:                             ;   in Loop: Header=BB87_3 Depth=1
	s_or_b32 exec_lo, exec_lo, s17
.LBB87_410:                             ;   in Loop: Header=BB87_3 Depth=1
	s_delay_alu instid0(SALU_CYCLE_1)
	s_or_b32 exec_lo, exec_lo, s33
	s_and_saveexec_b32 s17, s69
	s_cbranch_execz .LBB87_412
; %bb.411:                              ;   in Loop: Header=BB87_3 Depth=1
	s_delay_alu instid0(VALU_DEP_1) | instskip(NEXT) | instid1(VALU_DEP_3)
	v_xor_b32_e32 v203, 0x80000000, v17
	v_xor_b32_e32 v201, 0x80000000, v15
	s_delay_alu instid0(VALU_DEP_3)
	v_dual_mov_b32 v200, v14 :: v_dual_mov_b32 v202, v16
	ds_store_b128 v183, v[200:203]
.LBB87_412:                             ;   in Loop: Header=BB87_3 Depth=1
	s_or_b32 exec_lo, exec_lo, s17
	s_wait_loadcnt_dscnt 0x0
	s_barrier_signal -1
	s_barrier_wait -1
	s_and_saveexec_b32 s17, s70
	s_cbranch_execz .LBB87_414
; %bb.413:                              ;   in Loop: Header=BB87_3 Depth=1
	ds_load_b128 v[200:203], v183
	ds_load_b128 v[204:207], v180 offset:1536
	s_wait_dscnt 0x0
	v_mul_f64_e32 v[4:5], v[202:203], v[206:207]
	v_mul_f64_e32 v[20:21], v[200:201], v[206:207]
	s_delay_alu instid0(VALU_DEP_2) | instskip(NEXT) | instid1(VALU_DEP_2)
	v_fma_f64 v[4:5], v[200:201], v[204:205], -v[4:5]
	v_fmac_f64_e32 v[20:21], v[202:203], v[204:205]
	s_delay_alu instid0(VALU_DEP_2) | instskip(NEXT) | instid1(VALU_DEP_2)
	v_add_f64_e64 v[14:15], v[14:15], -v[4:5]
	v_add_f64_e64 v[16:17], v[16:17], -v[20:21]
.LBB87_414:                             ;   in Loop: Header=BB87_3 Depth=1
	s_or_b32 exec_lo, exec_lo, s17
	s_barrier_signal -1
	s_barrier_wait -1
	s_and_saveexec_b32 s17, s71
	s_cbranch_execz .LBB87_416
; %bb.415:                              ;   in Loop: Header=BB87_3 Depth=1
	s_delay_alu instid0(VALU_DEP_1) | instskip(NEXT) | instid1(VALU_DEP_3)
	v_xor_b32_e32 v203, 0x80000000, v17
	v_xor_b32_e32 v201, 0x80000000, v15
	s_delay_alu instid0(VALU_DEP_3)
	v_dual_mov_b32 v200, v14 :: v_dual_mov_b32 v202, v16
	ds_store_b128 v183, v[200:203]
.LBB87_416:                             ;   in Loop: Header=BB87_3 Depth=1
	s_or_b32 exec_lo, exec_lo, s17
	s_wait_dscnt 0x0
	s_barrier_signal -1
	s_barrier_wait -1
	s_and_saveexec_b32 s17, s72
	s_cbranch_execz .LBB87_418
; %bb.417:                              ;   in Loop: Header=BB87_3 Depth=1
	ds_load_b128 v[200:203], v183
	ds_load_b128 v[204:207], v180 offset:1024
	s_wait_dscnt 0x0
	v_mul_f64_e32 v[4:5], v[202:203], v[206:207]
	v_mul_f64_e32 v[20:21], v[200:201], v[206:207]
	s_delay_alu instid0(VALU_DEP_2) | instskip(NEXT) | instid1(VALU_DEP_2)
	v_fma_f64 v[4:5], v[200:201], v[204:205], -v[4:5]
	v_fmac_f64_e32 v[20:21], v[202:203], v[204:205]
	s_delay_alu instid0(VALU_DEP_2) | instskip(NEXT) | instid1(VALU_DEP_2)
	v_add_f64_e64 v[14:15], v[14:15], -v[4:5]
	v_add_f64_e64 v[16:17], v[16:17], -v[20:21]
.LBB87_418:                             ;   in Loop: Header=BB87_3 Depth=1
	s_or_b32 exec_lo, exec_lo, s17
	s_barrier_signal -1
	s_barrier_wait -1
	s_and_saveexec_b32 s17, s73
	s_cbranch_execz .LBB87_420
; %bb.419:                              ;   in Loop: Header=BB87_3 Depth=1
	s_delay_alu instid0(VALU_DEP_1) | instskip(NEXT) | instid1(VALU_DEP_3)
	v_xor_b32_e32 v203, 0x80000000, v17
	v_xor_b32_e32 v201, 0x80000000, v15
	s_delay_alu instid0(VALU_DEP_3)
	v_dual_mov_b32 v200, v14 :: v_dual_mov_b32 v202, v16
	ds_store_b128 v183, v[200:203]
.LBB87_420:                             ;   in Loop: Header=BB87_3 Depth=1
	s_or_b32 exec_lo, exec_lo, s17
	s_wait_dscnt 0x0
	;; [unrolled: 32-line block ×3, first 2 shown]
	s_barrier_signal -1
	s_barrier_wait -1
	s_barrier_signal -1
	s_barrier_wait -1
	s_and_saveexec_b32 s17, s4
; %bb.425:                              ;   in Loop: Header=BB87_3 Depth=1
	ds_store_b128 v185, v[14:17] offset:3584
; %bb.426:                              ;   in Loop: Header=BB87_3 Depth=1
	s_or_b32 exec_lo, exec_lo, s17
	s_wait_dscnt 0x0
	s_barrier_signal -1
	s_barrier_wait -1
	s_barrier_signal -1
	s_barrier_wait -1
	s_and_saveexec_b32 s17, s75
	s_cbranch_execz .LBB87_428
; %bb.427:                              ;   in Loop: Header=BB87_3 Depth=1
	ds_load_b128 v[14:17], v105
	s_wait_dscnt 0x0
	ds_store_b128 v172, v[14:17]
	ds_load_b128 v[14:17], v192
	s_wait_dscnt 0x0
	ds_store_b128 v175, v[14:17]
	;; [unrolled: 3-line block ×4, first 2 shown]
.LBB87_428:                             ;   in Loop: Header=BB87_3 Depth=1
	s_or_b32 exec_lo, exec_lo, s17
	s_wait_dscnt 0x0
	s_barrier_signal -1
	s_barrier_wait -1
	s_and_saveexec_b32 s33, s27
	s_cbranch_execz .LBB87_430
; %bb.429:                              ;   in Loop: Header=BB87_3 Depth=1
	s_mov_b32 s36, s35
	s_mov_b32 s38, s35
	;; [unrolled: 1-line block ×3, first 2 shown]
	v_mov_b64_e32 v[14:15], s[36:37]
	v_mov_b64_e32 v[16:17], s[38:39]
	ds_store_b128 v3, v[14:17] offset:1056
	ds_store_b128 v3, v[14:17] offset:1584
	ds_load_b128 v[14:17], v3 offset:1568
	s_wait_dscnt 0x0
	ds_store_b128 v3, v[14:17] offset:1072
.LBB87_430:                             ;   in Loop: Header=BB87_3 Depth=1
	s_or_b32 exec_lo, exec_lo, s33
	v_mov_b64_e32 v[14:15], 0
	v_mov_b64_e32 v[16:17], 0
	s_wait_dscnt 0x0
	s_barrier_signal -1
	s_barrier_wait -1
	global_wb scope:SCOPE_DEV
	s_wait_storecnt 0x0
	global_inv scope:SCOPE_DEV
	s_and_saveexec_b32 s33, s2
	s_cbranch_execz .LBB87_434
; %bb.431:                              ;   in Loop: Header=BB87_3 Depth=1
	ds_load_b128 v[14:17], v44 offset:1568
	ds_load_b128 v[200:203], v178 offset:1024
	s_wait_dscnt 0x0
	v_mul_f64_e32 v[4:5], v[16:17], v[202:203]
	v_mul_f64_e32 v[20:21], v[14:15], v[202:203]
	s_delay_alu instid0(VALU_DEP_2) | instskip(NEXT) | instid1(VALU_DEP_2)
	v_fma_f64 v[4:5], v[14:15], v[200:201], -v[4:5]
	v_fmac_f64_e32 v[20:21], v[16:17], v[200:201]
	s_delay_alu instid0(VALU_DEP_2) | instskip(NEXT) | instid1(VALU_DEP_2)
	v_add_f64_e32 v[14:15], 0, v[4:5]
	v_add_f64_e32 v[16:17], 0, v[20:21]
	s_and_saveexec_b32 s17, s8
	s_cbranch_execz .LBB87_433
; %bb.432:                              ;   in Loop: Header=BB87_3 Depth=1
	ds_load_b128 v[200:203], v3 offset:1584
	ds_load_b128 v[204:207], v98 offset:1536
	s_wait_dscnt 0x0
	v_mul_f64_e32 v[4:5], v[202:203], v[206:207]
	v_mul_f64_e32 v[20:21], v[200:201], v[206:207]
	s_delay_alu instid0(VALU_DEP_2) | instskip(NEXT) | instid1(VALU_DEP_2)
	v_fma_f64 v[4:5], v[200:201], v[204:205], -v[4:5]
	v_fmac_f64_e32 v[20:21], v[202:203], v[204:205]
	s_delay_alu instid0(VALU_DEP_2) | instskip(NEXT) | instid1(VALU_DEP_2)
	v_add_f64_e32 v[14:15], v[14:15], v[4:5]
	v_add_f64_e32 v[16:17], v[16:17], v[20:21]
.LBB87_433:                             ;   in Loop: Header=BB87_3 Depth=1
	s_or_b32 exec_lo, exec_lo, s17
.LBB87_434:                             ;   in Loop: Header=BB87_3 Depth=1
	s_delay_alu instid0(SALU_CYCLE_1)
	s_or_b32 exec_lo, exec_lo, s33
	s_and_saveexec_b32 s17, s66
	s_cbranch_execz .LBB87_436
; %bb.435:                              ;   in Loop: Header=BB87_3 Depth=1
	s_delay_alu instid0(VALU_DEP_2) | instskip(NEXT) | instid1(VALU_DEP_2)
	v_xor_b32_e32 v201, 0x80000000, v15
	v_xor_b32_e32 v203, 0x80000000, v17
	s_delay_alu instid0(VALU_DEP_3)
	v_dual_mov_b32 v200, v14 :: v_dual_mov_b32 v202, v16
	ds_store_b128 v179, v[200:203]
.LBB87_436:                             ;   in Loop: Header=BB87_3 Depth=1
	s_or_b32 exec_lo, exec_lo, s17
	s_wait_loadcnt_dscnt 0x0
	s_barrier_signal -1
	s_barrier_wait -1
	s_and_saveexec_b32 s17, s67
	s_cbranch_execz .LBB87_438
; %bb.437:                              ;   in Loop: Header=BB87_3 Depth=1
	ds_load_b128 v[200:203], v179
	ds_load_b128 v[204:207], v3 offset:512
	s_wait_dscnt 0x0
	v_mul_f64_e32 v[4:5], v[200:201], v[204:205]
	v_mul_f64_e32 v[20:21], v[200:201], v[206:207]
	s_delay_alu instid0(VALU_DEP_2) | instskip(NEXT) | instid1(VALU_DEP_2)
	v_fma_f64 v[4:5], v[202:203], v[206:207], -v[4:5]
	v_fmac_f64_e32 v[20:21], v[202:203], v[204:205]
	s_delay_alu instid0(VALU_DEP_2) | instskip(NEXT) | instid1(VALU_DEP_2)
	v_add_f64_e32 v[14:15], v[14:15], v[4:5]
	v_add_f64_e64 v[16:17], v[16:17], -v[20:21]
.LBB87_438:                             ;   in Loop: Header=BB87_3 Depth=1
	s_or_b32 exec_lo, exec_lo, s17
	s_barrier_signal -1
	s_barrier_wait -1
	s_and_saveexec_b32 s17, s67
	s_cbranch_execz .LBB87_440
; %bb.439:                              ;   in Loop: Header=BB87_3 Depth=1
	s_delay_alu instid0(VALU_DEP_2) | instskip(NEXT) | instid1(VALU_DEP_2)
	v_xor_b32_e32 v201, 0x80000000, v15
	v_xor_b32_e32 v203, 0x80000000, v17
	s_delay_alu instid0(VALU_DEP_3)
	v_dual_mov_b32 v200, v14 :: v_dual_mov_b32 v202, v16
	ds_store_b128 v179, v[200:203]
.LBB87_440:                             ;   in Loop: Header=BB87_3 Depth=1
	s_or_b32 exec_lo, exec_lo, s17
	s_wait_dscnt 0x0
	s_barrier_signal -1
	s_barrier_wait -1
	s_barrier_signal -1
	s_barrier_wait -1
	s_and_saveexec_b32 s17, s2
; %bb.441:                              ;   in Loop: Header=BB87_3 Depth=1
	ds_store_b128 v181, v[14:17] offset:1536
; %bb.442:                              ;   in Loop: Header=BB87_3 Depth=1
	s_or_b32 exec_lo, exec_lo, s17
	s_wait_dscnt 0x0
	s_barrier_signal -1
	s_barrier_wait -1
	s_barrier_signal -1
	s_barrier_wait -1
	s_and_saveexec_b32 s17, s68
	s_cbranch_execz .LBB87_444
; %bb.443:                              ;   in Loop: Header=BB87_3 Depth=1
	ds_load_b128 v[14:17], v110
	s_wait_dscnt 0x0
	ds_store_b128 v114, v[14:17]
	ds_load_b128 v[14:17], v111
	s_wait_dscnt 0x0
	ds_store_b128 v115, v[14:17]
.LBB87_444:                             ;   in Loop: Header=BB87_3 Depth=1
	s_or_b32 exec_lo, exec_lo, s17
	s_wait_dscnt 0x0
	s_barrier_signal -1
	s_barrier_wait -1
	s_and_saveexec_b32 s33, s27
	s_cbranch_execz .LBB87_446
; %bb.445:                              ;   in Loop: Header=BB87_3 Depth=1
	s_mov_b32 s36, s35
	s_mov_b32 s38, s35
	;; [unrolled: 1-line block ×3, first 2 shown]
	v_mov_b64_e32 v[14:15], s[36:37]
	v_mov_b64_e32 v[16:17], s[38:39]
	ds_store_b128 v3, v[14:17]
	ds_store_b128 v3, v[14:17] offset:528
	ds_load_b128 v[14:17], v3 offset:512
	s_wait_dscnt 0x0
	ds_store_b128 v3, v[14:17] offset:16
.LBB87_446:                             ;   in Loop: Header=BB87_3 Depth=1
	s_or_b32 exec_lo, exec_lo, s33
.LBB87_447:                             ;   in Loop: Header=BB87_3 Depth=1
	v_mov_b64_e32 v[14:15], 0
	s_mul_u64 s[38:39], s[54:55], s[34:35]
	s_wait_dscnt 0x0
	s_lshl_b64 s[38:39], s[38:39], 4
	s_barrier_signal -1
	s_add_nc_u64 s[38:39], s[48:49], s[38:39]
	s_barrier_wait -1
	v_mov_b64_e32 v[16:17], v[14:15]
	s_and_saveexec_b32 s17, s101
	s_cbranch_execz .LBB87_449
; %bb.448:                              ;   in Loop: Header=BB87_3 Depth=1
	v_lshl_add_u64 v[4:5], v[32:33], 4, s[38:39]
	global_load_b128 v[200:203], v[4:5], off
	s_wait_loadcnt 0x0
	v_mul_f64_e32 v[4:5], s[44:45], v[200:201]
	s_delay_alu instid0(VALU_DEP_1) | instskip(SKIP_1) | instid1(VALU_DEP_1)
	v_fma_f64 v[14:15], s[46:47], v[202:203], -v[4:5]
	v_mul_f64_e32 v[4:5], s[44:45], v[202:203]
	v_fma_f64 v[16:17], v[200:201], -s[46:47], -v[4:5]
.LBB87_449:                             ;   in Loop: Header=BB87_3 Depth=1
	s_or_b32 exec_lo, exec_lo, s17
	s_delay_alu instid0(SALU_CYCLE_1)
	s_and_not1_b32 vcc_lo, exec_lo, s19
	s_cbranch_vccnz .LBB87_472
; %bb.450:                              ;   in Loop: Header=BB87_3 Depth=1
	v_mov_b32_e32 v23, -1
	s_lshl_b64 s[58:59], s[34:35], 2
	s_mov_b32 s36, 0
	s_add_nc_u64 s[58:59], s[50:51], s[58:59]
	s_branch .LBB87_453
.LBB87_451:                             ;   in Loop: Header=BB87_453 Depth=2
	ds_load_b128 v[200:203], v194 offset:256
	s_wait_loadcnt_dscnt 0x0
	v_mul_f64_e32 v[4:5], v[42:43], v[202:203]
	v_mul_f64_e32 v[42:43], v[42:43], v[200:201]
	s_delay_alu instid0(VALU_DEP_2) | instskip(NEXT) | instid1(VALU_DEP_2)
	v_fmac_f64_e32 v[4:5], v[20:21], v[200:201]
	v_fma_f64 v[20:21], v[20:21], v[202:203], -v[42:43]
	s_delay_alu instid0(VALU_DEP_2) | instskip(NEXT) | instid1(VALU_DEP_2)
	v_add_f64_e32 v[14:15], v[14:15], v[4:5]
	v_add_f64_e32 v[16:17], v[16:17], v[20:21]
.LBB87_452:                             ;   in Loop: Header=BB87_453 Depth=2
	s_or_b32 exec_lo, exec_lo, s33
	s_add_co_i32 s36, s36, 1
	s_delay_alu instid0(SALU_CYCLE_1)
	s_cmp_eq_u32 s36, s62
	s_cbranch_scc1 .LBB87_472
.LBB87_453:                             ;   Parent Loop BB87_3 Depth=1
                                        ; =>  This Loop Header: Depth=2
                                        ;       Child Loop BB87_455 Depth 3
	v_cmp_gt_i32_e32 vcc_lo, s36, v23
	s_and_b32 s33, s30, vcc_lo
	s_delay_alu instid0(SALU_CYCLE_1)
	s_and_saveexec_b32 s17, s33
	s_cbranch_execz .LBB87_456
; %bb.454:                              ;   in Loop: Header=BB87_453 Depth=2
	global_load_b32 v23, v3, s[58:59]
	s_wait_loadcnt 0x0
	v_cmp_le_i32_e32 vcc_lo, s36, v23
	s_cbranch_vccnz .LBB87_456
.LBB87_455:                             ;   Parent Loop BB87_3 Depth=1
                                        ;     Parent Loop BB87_453 Depth=2
                                        ; =>    This Inner Loop Header: Depth=3
	global_wb scope:SCOPE_DEV
	s_wait_storecnt 0x0
	global_inv scope:SCOPE_DEV
	global_load_b32 v23, v3, s[58:59]
	s_wait_loadcnt 0x0
	v_cmp_gt_i32_e32 vcc_lo, s36, v23
	s_cbranch_vccnz .LBB87_455
.LBB87_456:                             ;   in Loop: Header=BB87_453 Depth=2
	s_or_b32 exec_lo, exec_lo, s17
	s_lshl_b32 s33, s36, 5
	global_wb scope:SCOPE_DEV
	s_wait_storecnt 0x0
	global_inv scope:SCOPE_DEV
	s_wait_loadcnt 0x0
	s_barrier_signal -1
	s_barrier_wait -1
	s_and_saveexec_b32 s17, s31
	s_cbranch_execz .LBB87_461
; %bb.457:                              ;   in Loop: Header=BB87_453 Depth=2
	v_or_b32_e32 v2, s33, v26
	s_delay_alu instid0(VALU_DEP_1) | instskip(SKIP_1) | instid1(SALU_CYCLE_1)
	v_cmp_le_i32_e32 vcc_lo, s61, v2
	s_and_saveexec_b32 s16, vcc_lo
	s_xor_b32 vcc_lo, exec_lo, s16
; %bb.458:                              ;   in Loop: Header=BB87_453 Depth=2
	v_dual_mov_b32 v2, v3 :: v_dual_mov_b32 v4, v3
	v_mov_b32_e32 v5, v3
	ds_store_b128 v176, v[2:5]
; %bb.459:                              ;   in Loop: Header=BB87_453 Depth=2
	s_and_not1_saveexec_b32 s16, vcc_lo
	s_cbranch_execz .LBB87_461
; %bb.460:                              ;   in Loop: Header=BB87_453 Depth=2
	v_mul_u64_e32 v[4:5], s[52:53], v[2:3]
	s_delay_alu instid0(VALU_DEP_1)
	v_lshl_add_u64 v[4:5], v[4:5], 4, s[38:39]
	global_load_b128 v[200:203], v[4:5], off
	s_wait_loadcnt 0x0
	ds_store_2addr_b64 v176, v[200:201], v[202:203] offset1:1
.LBB87_461:                             ;   in Loop: Header=BB87_453 Depth=2
	s_or_b32 exec_lo, exec_lo, s17
	v_add_nc_u32_e32 v2, s33, v22
	v_cmp_ne_u32_e32 vcc_lo, s36, v25
	s_wait_dscnt 0x0
	s_barrier_signal -1
	s_barrier_wait -1
	v_cmp_gt_i32_e64 s33, s61, v2
	v_lshl_add_u64 v[4:5], v[2:3], 4, v[18:19]
	v_cndmask_b32_e64 v200, 0, 1, vcc_lo
	s_and_b32 s16, s33, s0
	s_delay_alu instid0(SALU_CYCLE_1)
	s_and_saveexec_b32 s33, s16
	s_cbranch_execz .LBB87_467
; %bb.462:                              ;   in Loop: Header=BB87_453 Depth=2
	v_mov_b64_e32 v[20:21], v[6:7]
	s_and_not1_b32 vcc_lo, exec_lo, vcc_lo
	s_cbranch_vccnz .LBB87_464
; %bb.463:                              ;   in Loop: Header=BB87_453 Depth=2
	global_load_b64 v[20:21], v[4:5], off
.LBB87_464:                             ;   in Loop: Header=BB87_453 Depth=2
	v_cmp_ne_u32_e32 vcc_lo, 1, v200
	v_mov_b64_e32 v[42:43], v[8:9]
	s_cbranch_vccnz .LBB87_466
; %bb.465:                              ;   in Loop: Header=BB87_453 Depth=2
	global_load_b64 v[42:43], v[4:5], off offset:8
.LBB87_466:                             ;   in Loop: Header=BB87_453 Depth=2
	ds_load_b128 v[202:205], v194
	s_wait_loadcnt_dscnt 0x0
	v_mul_f64_e32 v[206:207], v[42:43], v[204:205]
	v_mul_f64_e32 v[42:43], v[42:43], v[202:203]
	s_delay_alu instid0(VALU_DEP_2) | instskip(NEXT) | instid1(VALU_DEP_2)
	v_fmac_f64_e32 v[206:207], v[20:21], v[202:203]
	v_fma_f64 v[20:21], v[20:21], v[204:205], -v[42:43]
	s_delay_alu instid0(VALU_DEP_2) | instskip(NEXT) | instid1(VALU_DEP_2)
	v_add_f64_e32 v[14:15], v[14:15], v[206:207]
	v_add_f64_e32 v[16:17], v[16:17], v[20:21]
.LBB87_467:                             ;   in Loop: Header=BB87_453 Depth=2
	s_or_b32 exec_lo, exec_lo, s33
	v_add_nc_u32_e32 v2, 16, v2
	s_delay_alu instid0(VALU_DEP_1) | instskip(SKIP_1) | instid1(SALU_CYCLE_1)
	v_cmp_gt_i32_e32 vcc_lo, s61, v2
	s_and_b32 s16, vcc_lo, s0
	s_and_saveexec_b32 s33, s16
	s_cbranch_execz .LBB87_452
; %bb.468:                              ;   in Loop: Header=BB87_453 Depth=2
	v_cmp_ne_u32_e32 vcc_lo, 1, v200
	v_mov_b64_e32 v[20:21], v[10:11]
	s_cbranch_vccnz .LBB87_470
; %bb.469:                              ;   in Loop: Header=BB87_453 Depth=2
	global_load_b64 v[20:21], v[4:5], off offset:256
.LBB87_470:                             ;   in Loop: Header=BB87_453 Depth=2
	v_cmp_ne_u32_e32 vcc_lo, 1, v200
	v_mov_b64_e32 v[42:43], v[12:13]
	s_cbranch_vccnz .LBB87_451
; %bb.471:                              ;   in Loop: Header=BB87_453 Depth=2
	global_load_b64 v[42:43], v[4:5], off offset:264
	s_branch .LBB87_451
.LBB87_472:                             ;   in Loop: Header=BB87_3 Depth=1
	ds_store_b128 v177, v[14:17]
	s_wait_dscnt 0x0
	s_barrier_signal -1
	s_barrier_wait -1
	s_and_saveexec_b32 s33, s3
	s_cbranch_execz .LBB87_474
; %bb.473:                              ;   in Loop: Header=BB87_3 Depth=1
	ds_load_b128 v[18:21], v198 offset:512
	s_wait_dscnt 0x0
	v_add_f64_e32 v[4:5], v[14:15], v[18:19]
	v_add_f64_e32 v[18:19], v[16:17], v[20:21]
	ds_load_b128 v[14:17], v198 offset:1024
	s_wait_dscnt 0x0
	v_add_f64_e32 v[4:5], v[4:5], v[14:15]
	v_add_f64_e32 v[18:19], v[18:19], v[16:17]
	ds_load_b128 v[14:17], v198 offset:1536
	s_wait_dscnt 0x0
	v_add_f64_e32 v[4:5], v[4:5], v[14:15]
	v_add_f64_e32 v[18:19], v[18:19], v[16:17]
	ds_load_b128 v[14:17], v198 offset:2048
	s_wait_dscnt 0x0
	v_add_f64_e32 v[4:5], v[4:5], v[14:15]
	v_add_f64_e32 v[18:19], v[18:19], v[16:17]
	ds_load_b128 v[14:17], v198 offset:2560
	s_wait_dscnt 0x0
	v_add_f64_e32 v[4:5], v[4:5], v[14:15]
	v_add_f64_e32 v[18:19], v[18:19], v[16:17]
	ds_load_b128 v[14:17], v198 offset:3072
	s_wait_dscnt 0x0
	v_add_f64_e32 v[4:5], v[4:5], v[14:15]
	v_add_f64_e32 v[18:19], v[18:19], v[16:17]
	ds_load_b128 v[14:17], v198 offset:3584
	s_wait_dscnt 0x0
	v_add_f64_e32 v[4:5], v[4:5], v[14:15]
	v_add_f64_e32 v[18:19], v[18:19], v[16:17]
	ds_load_b128 v[14:17], v198 offset:4096
	s_wait_dscnt 0x0
	v_add_f64_e32 v[4:5], v[4:5], v[14:15]
	v_add_f64_e32 v[18:19], v[18:19], v[16:17]
	ds_load_b128 v[14:17], v198 offset:4608
	s_wait_dscnt 0x0
	v_add_f64_e32 v[4:5], v[4:5], v[14:15]
	v_add_f64_e32 v[18:19], v[18:19], v[16:17]
	ds_load_b128 v[14:17], v198 offset:5120
	s_wait_dscnt 0x0
	v_add_f64_e32 v[4:5], v[4:5], v[14:15]
	v_add_f64_e32 v[18:19], v[18:19], v[16:17]
	ds_load_b128 v[14:17], v198 offset:5632
	s_wait_dscnt 0x0
	v_add_f64_e32 v[4:5], v[4:5], v[14:15]
	v_add_f64_e32 v[18:19], v[18:19], v[16:17]
	ds_load_b128 v[14:17], v198 offset:6144
	s_wait_dscnt 0x0
	v_add_f64_e32 v[4:5], v[4:5], v[14:15]
	v_add_f64_e32 v[18:19], v[18:19], v[16:17]
	ds_load_b128 v[14:17], v198 offset:6656
	s_wait_dscnt 0x0
	v_add_f64_e32 v[4:5], v[4:5], v[14:15]
	v_add_f64_e32 v[18:19], v[18:19], v[16:17]
	ds_load_b128 v[14:17], v198 offset:7168
	s_wait_dscnt 0x0
	v_add_f64_e32 v[4:5], v[4:5], v[14:15]
	v_add_f64_e32 v[18:19], v[18:19], v[16:17]
	ds_load_b128 v[14:17], v198 offset:7680
	s_wait_dscnt 0x0
	v_add_f64_e32 v[4:5], v[4:5], v[14:15]
	v_add_f64_e32 v[16:17], v[18:19], v[16:17]
	s_delay_alu instid0(VALU_DEP_2) | instskip(NEXT) | instid1(VALU_DEP_2)
	v_xor_b32_e32 v2, 0x80000000, v5
	v_xor_b32_e32 v5, 0x80000000, v17
	s_delay_alu instid0(VALU_DEP_4) | instskip(NEXT) | instid1(VALU_DEP_4)
	v_cndmask_b32_e64 v14, v4, 0, s98
	v_cndmask_b32_e64 v16, v16, 0, s98
	s_delay_alu instid0(VALU_DEP_4) | instskip(NEXT) | instid1(VALU_DEP_4)
	v_cndmask_b32_e64 v15, v2, 0, s98
	v_cndmask_b32_e64 v17, v5, 0, s98
.LBB87_474:                             ;   in Loop: Header=BB87_3 Depth=1
	s_or_b32 exec_lo, exec_lo, s33
	s_delay_alu instid0(SALU_CYCLE_1)
	s_and_not1_b32 vcc_lo, exec_lo, s65
	s_cbranch_vccnz .LBB87_483
; %bb.475:                              ;   in Loop: Header=BB87_3 Depth=1
	s_and_saveexec_b32 s17, s3
; %bb.476:                              ;   in Loop: Header=BB87_3 Depth=1
	ds_store_b128 v199, v[14:17]
; %bb.477:                              ;   in Loop: Header=BB87_3 Depth=1
	s_or_b32 exec_lo, exec_lo, s17
	v_mov_b64_e32 v[18:19], 0
	v_mov_b64_e32 v[20:21], 0
	s_wait_dscnt 0x0
	s_barrier_signal -1
	s_barrier_wait -1
	s_and_saveexec_b32 s17, s1
	s_cbranch_execz .LBB87_479
; %bb.478:                              ;   in Loop: Header=BB87_3 Depth=1
	ds_load_b128 v[18:21], v194
	ds_load_b128 v[200:203], v195
	s_wait_dscnt 0x0
	v_mul_f64_e32 v[4:5], v[20:21], v[202:203]
	v_mul_f64_e32 v[42:43], v[18:19], v[202:203]
	s_delay_alu instid0(VALU_DEP_2) | instskip(NEXT) | instid1(VALU_DEP_2)
	v_fma_f64 v[4:5], v[18:19], v[200:201], -v[4:5]
	v_fmac_f64_e32 v[42:43], v[20:21], v[200:201]
	s_delay_alu instid0(VALU_DEP_2) | instskip(NEXT) | instid1(VALU_DEP_2)
	v_add_f64_e32 v[18:19], 0, v[4:5]
	v_add_f64_e32 v[20:21], 0, v[42:43]
.LBB87_479:                             ;   in Loop: Header=BB87_3 Depth=1
	s_or_b32 exec_lo, exec_lo, s17
	s_and_saveexec_b32 s17, s7
	s_cbranch_execz .LBB87_481
; %bb.480:                              ;   in Loop: Header=BB87_3 Depth=1
	ds_load_b128 v[200:203], v194 offset:256
	ds_load_b128 v[204:207], v195 offset:8192
	s_wait_dscnt 0x0
	v_mul_f64_e32 v[4:5], v[202:203], v[206:207]
	v_mul_f64_e32 v[42:43], v[200:201], v[206:207]
	s_delay_alu instid0(VALU_DEP_2) | instskip(NEXT) | instid1(VALU_DEP_2)
	v_fma_f64 v[4:5], v[200:201], v[204:205], -v[4:5]
	v_fmac_f64_e32 v[42:43], v[202:203], v[204:205]
	s_delay_alu instid0(VALU_DEP_2) | instskip(NEXT) | instid1(VALU_DEP_2)
	v_add_f64_e32 v[18:19], v[18:19], v[4:5]
	v_add_f64_e32 v[20:21], v[20:21], v[42:43]
.LBB87_481:                             ;   in Loop: Header=BB87_3 Depth=1
	s_or_b32 exec_lo, exec_lo, s17
	s_mov_b32 s36, 0
	s_mov_b32 s33, 0
	ds_store_b128 v177, v[18:21]
	s_wait_dscnt 0x0
	s_barrier_signal -1
	s_barrier_wait -1
                                        ; implicit-def: $vgpr4_vgpr5
                                        ; implicit-def: $vgpr42_vgpr43
	s_and_saveexec_b32 s58, s3
	s_cbranch_execz .LBB87_513
; %bb.482:                              ;   in Loop: Header=BB87_3 Depth=1
	ds_load_b128 v[200:203], v198 offset:512
	s_mov_b32 s33, exec_lo
	s_wait_dscnt 0x0
	v_add_f64_e32 v[4:5], v[18:19], v[200:201]
	v_add_f64_e32 v[42:43], v[20:21], v[202:203]
	ds_load_b128 v[18:21], v198 offset:1024
	s_wait_dscnt 0x0
	v_add_f64_e32 v[4:5], v[4:5], v[18:19]
	v_add_f64_e32 v[42:43], v[42:43], v[20:21]
	ds_load_b128 v[18:21], v198 offset:1536
	;; [unrolled: 4-line block ×14, first 2 shown]
	s_wait_dscnt 0x0
	v_add_f64_e32 v[42:43], v[4:5], v[18:19]
	v_add_f64_e32 v[4:5], v[200:201], v[20:21]
	s_or_b32 exec_lo, exec_lo, s58
	s_delay_alu instid0(SALU_CYCLE_1)
	s_and_b32 vcc_lo, exec_lo, s36
	s_cbranch_vccnz .LBB87_484
	s_branch .LBB87_514
.LBB87_483:                             ;   in Loop: Header=BB87_3 Depth=1
	s_mov_b32 s33, 0
                                        ; implicit-def: $vgpr4_vgpr5
                                        ; implicit-def: $vgpr42_vgpr43
	s_cbranch_execz .LBB87_514
.LBB87_484:                             ;   in Loop: Header=BB87_3 Depth=1
	v_dual_mov_b32 v2, v24 :: v_dual_mov_b32 v4, v27
	s_mov_b32 s36, 0
	s_branch .LBB87_486
.LBB87_485:                             ;   in Loop: Header=BB87_486 Depth=2
	s_or_b32 exec_lo, exec_lo, s17
	v_add_nc_u32_e32 v4, 0x400, v4
	v_add_nc_u32_e32 v2, -2, v2
	s_add_co_i32 s36, s36, 2
	s_delay_alu instid0(SALU_CYCLE_1)
	s_cmp_lg_u32 s36, 32
	s_barrier_signal -1
	s_barrier_wait -1
	s_cbranch_scc0 .LBB87_494
.LBB87_486:                             ;   Parent Loop BB87_3 Depth=1
                                        ; =>  This Inner Loop Header: Depth=2
	s_delay_alu instid0(VALU_DEP_1) | instskip(SKIP_1) | instid1(SALU_CYCLE_1)
	v_cmp_eq_u32_e32 vcc_lo, 0, v2
	s_and_b32 s16, s3, vcc_lo
	s_and_saveexec_b32 s17, s16
; %bb.487:                              ;   in Loop: Header=BB87_486 Depth=2
	ds_store_b128 v3, v[14:17] offset:25088
; %bb.488:                              ;   in Loop: Header=BB87_486 Depth=2
	s_or_b32 exec_lo, exec_lo, s17
	v_cmp_lt_u32_e32 vcc_lo, s36, v24
	s_wait_dscnt 0x0
	s_barrier_signal -1
	s_barrier_wait -1
	s_and_b32 s16, s3, vcc_lo
	s_delay_alu instid0(SALU_CYCLE_1)
	s_and_saveexec_b32 s17, s16
	s_cbranch_execz .LBB87_490
; %bb.489:                              ;   in Loop: Header=BB87_486 Depth=2
	ds_load_b128 v[18:21], v3 offset:25088
	ds_load_b128 v[200:203], v4
	s_wait_dscnt 0x0
	v_mul_f64_e32 v[42:43], v[20:21], v[202:203]
	s_delay_alu instid0(VALU_DEP_1) | instskip(SKIP_1) | instid1(VALU_DEP_2)
	v_fma_f64 v[42:43], v[18:19], v[200:201], -v[42:43]
	v_mul_f64_e32 v[18:19], v[18:19], v[202:203]
	v_add_f64_e32 v[14:15], v[14:15], v[42:43]
	s_delay_alu instid0(VALU_DEP_2) | instskip(NEXT) | instid1(VALU_DEP_1)
	v_fmac_f64_e32 v[18:19], v[20:21], v[200:201]
	v_add_f64_e32 v[16:17], v[16:17], v[18:19]
.LBB87_490:                             ;   in Loop: Header=BB87_486 Depth=2
	s_or_b32 exec_lo, exec_lo, s17
	s_or_b32 s17, s36, 1
	s_delay_alu instid0(SALU_CYCLE_1) | instskip(SKIP_3) | instid1(SALU_CYCLE_1)
	v_cmp_eq_u32_e32 vcc_lo, s17, v24
	s_barrier_signal -1
	s_barrier_wait -1
	s_and_b32 s16, s3, vcc_lo
	s_and_saveexec_b32 s58, s16
; %bb.491:                              ;   in Loop: Header=BB87_486 Depth=2
	ds_store_b128 v3, v[14:17] offset:25088
; %bb.492:                              ;   in Loop: Header=BB87_486 Depth=2
	s_or_b32 exec_lo, exec_lo, s58
	v_cmp_lt_u32_e32 vcc_lo, s17, v24
	s_wait_dscnt 0x0
	s_barrier_signal -1
	s_barrier_wait -1
	s_and_b32 s16, s3, vcc_lo
	s_delay_alu instid0(SALU_CYCLE_1)
	s_and_saveexec_b32 s17, s16
	s_cbranch_execz .LBB87_485
; %bb.493:                              ;   in Loop: Header=BB87_486 Depth=2
	ds_load_b128 v[18:21], v3 offset:25088
	ds_load_b128 v[200:203], v4 offset:512
	s_wait_dscnt 0x0
	v_mul_f64_e32 v[42:43], v[20:21], v[202:203]
	s_delay_alu instid0(VALU_DEP_1) | instskip(SKIP_1) | instid1(VALU_DEP_2)
	v_fma_f64 v[42:43], v[18:19], v[200:201], -v[42:43]
	v_mul_f64_e32 v[18:19], v[18:19], v[202:203]
	v_add_f64_e32 v[14:15], v[14:15], v[42:43]
	s_delay_alu instid0(VALU_DEP_2) | instskip(NEXT) | instid1(VALU_DEP_1)
	v_fmac_f64_e32 v[18:19], v[20:21], v[200:201]
	v_add_f64_e32 v[16:17], v[16:17], v[18:19]
	s_branch .LBB87_485
.LBB87_494:                             ;   in Loop: Header=BB87_3 Depth=1
	s_and_b32 vcc_lo, exec_lo, s64
	s_mov_b32 s17, -1
	s_cbranch_vccz .LBB87_496
; %bb.495:                              ;   in Loop: Header=BB87_3 Depth=1
	s_and_not1_b32 s16, s33, exec_lo
	s_and_b32 s33, s3, exec_lo
	s_mov_b32 s17, 0
	s_or_b32 s33, s16, s33
.LBB87_496:                             ;   in Loop: Header=BB87_3 Depth=1
	s_and_not1_b32 vcc_lo, exec_lo, s17
	s_cbranch_vccnz .LBB87_498
; %bb.497:                              ;   in Loop: Header=BB87_3 Depth=1
	v_readlane_b32 s17, v208, 15
	s_and_not1_b32 s16, s33, exec_lo
	s_and_b32 s17, s17, exec_lo
	s_delay_alu instid0(SALU_CYCLE_1)
	s_or_b32 s33, s16, s17
.LBB87_498:                             ;   in Loop: Header=BB87_3 Depth=1
	v_mov_b64_e32 v[4:5], v[0:1]
	s_and_saveexec_b32 s17, s33
	s_cbranch_execnz .LBB87_515
	s_branch .LBB87_516
.LBB87_499:                             ;   in Loop: Header=BB87_3 Depth=1
	s_and_saveexec_b32 s33, s28
; %bb.500:                              ;   in Loop: Header=BB87_3 Depth=1
	v_dual_mov_b32 v2, v3 :: v_dual_mov_b32 v4, v3
	v_mov_b32_e32 v5, v3
	ds_store_b128 v196, v[2:5]
; %bb.501:                              ;   in Loop: Header=BB87_3 Depth=1
	s_or_b32 exec_lo, exec_lo, s33
	s_and_not1_saveexec_b32 s17, s17
	s_cbranch_execz .LBB87_12
.LBB87_502:                             ;   in Loop: Header=BB87_3 Depth=1
	v_lshl_add_u64 v[4:5], v[40:41], 4, v[14:15]
	global_load_b128 v[200:203], v[4:5], off
	s_wait_loadcnt 0x0
	v_xor_b32_e32 v201, 0x80000000, v201
	ds_store_b128 v196, v[200:203]
	s_or_b32 exec_lo, exec_lo, s17
	s_and_saveexec_b32 s17, s7
	s_delay_alu instid0(SALU_CYCLE_1)
	s_xor_b32 s17, exec_lo, s17
	s_cbranch_execz .LBB87_13
.LBB87_503:                             ;   in Loop: Header=BB87_3 Depth=1
	s_and_saveexec_b32 s33, s29
; %bb.504:                              ;   in Loop: Header=BB87_3 Depth=1
	v_dual_mov_b32 v2, v3 :: v_dual_mov_b32 v4, v3
	v_mov_b32_e32 v5, v3
	ds_store_b128 v197, v[2:5]
; %bb.505:                              ;   in Loop: Header=BB87_3 Depth=1
	s_or_b32 exec_lo, exec_lo, s33
	s_and_not1_saveexec_b32 s17, s17
	s_cbranch_execnz .LBB87_14
	s_branch .LBB87_15
.LBB87_506:                             ;   in Loop: Header=BB87_3 Depth=1
	s_and_saveexec_b32 s33, s28
; %bb.507:                              ;   in Loop: Header=BB87_3 Depth=1
	v_dual_mov_b32 v2, v3 :: v_dual_mov_b32 v4, v3
	v_mov_b32_e32 v5, v3
	ds_store_b128 v193, v[2:5]
; %bb.508:                              ;   in Loop: Header=BB87_3 Depth=1
	s_or_b32 exec_lo, exec_lo, s33
	s_and_not1_saveexec_b32 s17, s17
	s_cbranch_execz .LBB87_19
.LBB87_509:                             ;   in Loop: Header=BB87_3 Depth=1
	v_lshl_add_u64 v[4:5], v[40:41], 4, v[14:15]
	global_load_b128 v[200:203], v[4:5], off
	s_wait_loadcnt 0x0
	v_xor_b32_e32 v201, 0x80000000, v201
	ds_store_b128 v193, v[200:203]
	s_or_b32 exec_lo, exec_lo, s17
	s_and_saveexec_b32 s17, s104
	s_delay_alu instid0(SALU_CYCLE_1)
	s_xor_b32 s17, exec_lo, s17
	s_cbranch_execz .LBB87_20
.LBB87_510:                             ;   in Loop: Header=BB87_3 Depth=1
	s_and_saveexec_b32 s33, s29
; %bb.511:                              ;   in Loop: Header=BB87_3 Depth=1
	v_dual_mov_b32 v2, v3 :: v_dual_mov_b32 v4, v3
	v_mov_b32_e32 v5, v3
	ds_store_b128 v197, v[2:5]
; %bb.512:                              ;   in Loop: Header=BB87_3 Depth=1
	s_or_b32 exec_lo, exec_lo, s33
                                        ; implicit-def: $vgpr14_vgpr15
	s_and_not1_saveexec_b32 s17, s17
	s_cbranch_execnz .LBB87_21
	s_branch .LBB87_22
.LBB87_513:                             ;   in Loop: Header=BB87_3 Depth=1
	s_or_b32 exec_lo, exec_lo, s58
	s_delay_alu instid0(SALU_CYCLE_1)
	s_and_b32 vcc_lo, exec_lo, s36
	s_cbranch_vccnz .LBB87_484
.LBB87_514:                             ;   in Loop: Header=BB87_3 Depth=1
	s_delay_alu instid0(VALU_DEP_1) | instskip(NEXT) | instid1(VALU_DEP_3)
	v_mov_b64_e32 v[16:17], v[4:5]
	v_mov_b64_e32 v[14:15], v[42:43]
	v_mov_b64_e32 v[4:5], v[38:39]
	s_and_saveexec_b32 s17, s33
	s_cbranch_execz .LBB87_516
.LBB87_515:                             ;   in Loop: Header=BB87_3 Depth=1
	s_delay_alu instid0(VALU_DEP_1)
	v_lshl_add_u64 v[4:5], v[4:5], 4, s[38:39]
	global_store_b128 v[4:5], v[14:17], off
.LBB87_516:                             ;   in Loop: Header=BB87_3 Depth=1
	s_wait_xcnt 0x0
	s_or_b32 exec_lo, exec_lo, s17
	global_wb scope:SCOPE_DEV
	s_wait_storecnt 0x0
	global_inv scope:SCOPE_DEV
	s_wait_loadcnt 0x0
	s_barrier_signal -1
	s_barrier_wait -1
	s_and_saveexec_b32 s17, s30
	s_cbranch_execz .LBB87_2
; %bb.517:                              ;   in Loop: Header=BB87_3 Depth=1
	s_lshl_b64 s[38:39], s[34:35], 2
	s_delay_alu instid0(SALU_CYCLE_1)
	s_add_nc_u64 s[38:39], s[50:51], s[38:39]
	global_load_b32 v2, v3, s[38:39]
	s_wait_loadcnt 0x0
	v_add_nc_u32_e32 v2, 1, v2
	global_store_b32 v3, v2, s[38:39]
	s_branch .LBB87_2
.LBB87_518:                             ;   in Loop: Header=BB87_3 Depth=1
	ds_load_b128 v[200:203], v48 offset:16336
	ds_load_b128 v[204:207], v180 offset:15232
	s_wait_dscnt 0x0
	v_mul_f64_e32 v[4:5], v[202:203], v[206:207]
	v_mul_f64_e32 v[20:21], v[200:201], v[206:207]
	s_delay_alu instid0(VALU_DEP_2) | instskip(NEXT) | instid1(VALU_DEP_2)
	v_fma_f64 v[4:5], v[200:201], v[204:205], -v[4:5]
	v_fmac_f64_e32 v[20:21], v[202:203], v[204:205]
	s_delay_alu instid0(VALU_DEP_2) | instskip(NEXT) | instid1(VALU_DEP_2)
	v_add_f64_e32 v[14:15], v[14:15], v[4:5]
	v_add_f64_e32 v[16:17], v[16:17], v[20:21]
	s_or_b32 exec_lo, exec_lo, s17
	s_and_saveexec_b32 s17, s10
	s_cbranch_execz .LBB87_45
.LBB87_519:                             ;   in Loop: Header=BB87_3 Depth=1
	ds_load_b128 v[200:203], v48 offset:16352
	ds_load_b128 v[204:207], v180 offset:15744
	s_wait_dscnt 0x0
	v_mul_f64_e32 v[4:5], v[202:203], v[206:207]
	v_mul_f64_e32 v[20:21], v[200:201], v[206:207]
	s_delay_alu instid0(VALU_DEP_2) | instskip(NEXT) | instid1(VALU_DEP_2)
	v_fma_f64 v[4:5], v[200:201], v[204:205], -v[4:5]
	v_fmac_f64_e32 v[20:21], v[202:203], v[204:205]
	s_delay_alu instid0(VALU_DEP_2) | instskip(NEXT) | instid1(VALU_DEP_2)
	v_add_f64_e32 v[14:15], v[14:15], v[4:5]
	v_add_f64_e32 v[16:17], v[16:17], v[20:21]
	s_or_b32 exec_lo, exec_lo, s17
	s_and_saveexec_b32 s17, s2
	s_cbranch_execnz .LBB87_46
	s_branch .LBB87_47
.LBB87_520:                             ;   in Loop: Header=BB87_3 Depth=1
	ds_load_b128 v[200:203], v49 offset:16272
	ds_load_b128 v[204:207], v182 offset:13056
	s_wait_dscnt 0x0
	v_mul_f64_e32 v[4:5], v[202:203], v[206:207]
	v_mul_f64_e32 v[20:21], v[200:201], v[206:207]
	s_delay_alu instid0(VALU_DEP_2) | instskip(NEXT) | instid1(VALU_DEP_2)
	v_fma_f64 v[4:5], v[200:201], v[204:205], -v[4:5]
	v_fmac_f64_e32 v[20:21], v[202:203], v[204:205]
	s_delay_alu instid0(VALU_DEP_2) | instskip(NEXT) | instid1(VALU_DEP_2)
	v_add_f64_e32 v[14:15], v[14:15], v[4:5]
	v_add_f64_e32 v[16:17], v[16:17], v[20:21]
	s_or_b32 exec_lo, exec_lo, s17
	s_and_saveexec_b32 s17, s12
	s_cbranch_execz .LBB87_87
.LBB87_521:                             ;   in Loop: Header=BB87_3 Depth=1
	ds_load_b128 v[200:203], v49 offset:16288
	ds_load_b128 v[204:207], v182 offset:13568
	s_wait_dscnt 0x0
	v_mul_f64_e32 v[4:5], v[202:203], v[206:207]
	v_mul_f64_e32 v[20:21], v[200:201], v[206:207]
	s_delay_alu instid0(VALU_DEP_2) | instskip(NEXT) | instid1(VALU_DEP_2)
	v_fma_f64 v[4:5], v[200:201], v[204:205], -v[4:5]
	v_fmac_f64_e32 v[20:21], v[202:203], v[204:205]
	s_delay_alu instid0(VALU_DEP_2) | instskip(NEXT) | instid1(VALU_DEP_2)
	v_add_f64_e32 v[14:15], v[14:15], v[4:5]
	v_add_f64_e32 v[16:17], v[16:17], v[20:21]
	s_or_b32 exec_lo, exec_lo, s17
	s_and_saveexec_b32 s17, s13
	s_cbranch_execz .LBB87_88
.LBB87_522:                             ;   in Loop: Header=BB87_3 Depth=1
	ds_load_b128 v[200:203], v49 offset:16304
	ds_load_b128 v[204:207], v182 offset:14080
	s_wait_dscnt 0x0
	v_mul_f64_e32 v[4:5], v[202:203], v[206:207]
	v_mul_f64_e32 v[20:21], v[200:201], v[206:207]
	s_delay_alu instid0(VALU_DEP_2) | instskip(NEXT) | instid1(VALU_DEP_2)
	v_fma_f64 v[4:5], v[200:201], v[204:205], -v[4:5]
	v_fmac_f64_e32 v[20:21], v[202:203], v[204:205]
	s_delay_alu instid0(VALU_DEP_2) | instskip(NEXT) | instid1(VALU_DEP_2)
	v_add_f64_e32 v[14:15], v[14:15], v[4:5]
	v_add_f64_e32 v[16:17], v[16:17], v[20:21]
	s_or_b32 exec_lo, exec_lo, s17
	s_and_saveexec_b32 s17, s14
	s_cbranch_execz .LBB87_89
.LBB87_523:                             ;   in Loop: Header=BB87_3 Depth=1
	ds_load_b128 v[200:203], v49 offset:16320
	ds_load_b128 v[204:207], v182 offset:14592
	s_wait_dscnt 0x0
	v_mul_f64_e32 v[4:5], v[202:203], v[206:207]
	v_mul_f64_e32 v[20:21], v[200:201], v[206:207]
	s_delay_alu instid0(VALU_DEP_2) | instskip(NEXT) | instid1(VALU_DEP_2)
	v_fma_f64 v[4:5], v[200:201], v[204:205], -v[4:5]
	v_fmac_f64_e32 v[20:21], v[202:203], v[204:205]
	s_delay_alu instid0(VALU_DEP_2) | instskip(NEXT) | instid1(VALU_DEP_2)
	v_add_f64_e32 v[14:15], v[14:15], v[4:5]
	v_add_f64_e32 v[16:17], v[16:17], v[20:21]
	s_or_b32 exec_lo, exec_lo, s17
	s_and_saveexec_b32 s17, s15
	s_cbranch_execz .LBB87_90
.LBB87_524:                             ;   in Loop: Header=BB87_3 Depth=1
	ds_load_b128 v[200:203], v49 offset:16336
	ds_load_b128 v[204:207], v182 offset:15104
	s_wait_dscnt 0x0
	v_mul_f64_e32 v[4:5], v[202:203], v[206:207]
	v_mul_f64_e32 v[20:21], v[200:201], v[206:207]
	s_delay_alu instid0(VALU_DEP_2) | instskip(NEXT) | instid1(VALU_DEP_2)
	v_fma_f64 v[4:5], v[200:201], v[204:205], -v[4:5]
	v_fmac_f64_e32 v[20:21], v[202:203], v[204:205]
	s_delay_alu instid0(VALU_DEP_2) | instskip(NEXT) | instid1(VALU_DEP_2)
	v_add_f64_e32 v[14:15], v[14:15], v[4:5]
	v_add_f64_e32 v[16:17], v[16:17], v[20:21]
	s_or_b32 exec_lo, exec_lo, s17
	s_and_saveexec_b32 s17, s4
	s_cbranch_execz .LBB87_91
.LBB87_525:                             ;   in Loop: Header=BB87_3 Depth=1
	ds_load_b128 v[200:203], v49 offset:16352
	ds_load_b128 v[204:207], v182 offset:15616
	s_wait_dscnt 0x0
	v_mul_f64_e32 v[4:5], v[202:203], v[206:207]
	v_mul_f64_e32 v[20:21], v[200:201], v[206:207]
	s_delay_alu instid0(VALU_DEP_2) | instskip(NEXT) | instid1(VALU_DEP_2)
	v_fma_f64 v[4:5], v[200:201], v[204:205], -v[4:5]
	v_fmac_f64_e32 v[20:21], v[202:203], v[204:205]
	s_delay_alu instid0(VALU_DEP_2) | instskip(NEXT) | instid1(VALU_DEP_2)
	v_add_f64_e32 v[14:15], v[14:15], v[4:5]
	v_add_f64_e32 v[16:17], v[16:17], v[20:21]
	s_or_b32 exec_lo, exec_lo, s17
	s_and_saveexec_b32 s17, s10
	s_cbranch_execnz .LBB87_92
	s_branch .LBB87_93
.LBB87_526:                             ;   in Loop: Header=BB87_3 Depth=1
	ds_load_b128 v[200:203], v48 offset:12112
	ds_load_b128 v[204:207], v180 offset:11008
	s_wait_dscnt 0x0
	v_mul_f64_e32 v[4:5], v[202:203], v[206:207]
	v_mul_f64_e32 v[20:21], v[200:201], v[206:207]
	s_delay_alu instid0(VALU_DEP_2) | instskip(NEXT) | instid1(VALU_DEP_2)
	v_fma_f64 v[4:5], v[200:201], v[204:205], -v[4:5]
	v_fmac_f64_e32 v[20:21], v[202:203], v[204:205]
	s_delay_alu instid0(VALU_DEP_2) | instskip(NEXT) | instid1(VALU_DEP_2)
	v_add_f64_e32 v[14:15], v[14:15], v[4:5]
	v_add_f64_e32 v[16:17], v[16:17], v[20:21]
	s_or_b32 exec_lo, exec_lo, s17
	s_and_saveexec_b32 s17, s10
	s_cbranch_execz .LBB87_149
.LBB87_527:                             ;   in Loop: Header=BB87_3 Depth=1
	ds_load_b128 v[200:203], v48 offset:12128
	ds_load_b128 v[204:207], v180 offset:11520
	s_wait_dscnt 0x0
	v_mul_f64_e32 v[4:5], v[202:203], v[206:207]
	v_mul_f64_e32 v[20:21], v[200:201], v[206:207]
	s_delay_alu instid0(VALU_DEP_2) | instskip(NEXT) | instid1(VALU_DEP_2)
	v_fma_f64 v[4:5], v[200:201], v[204:205], -v[4:5]
	v_fmac_f64_e32 v[20:21], v[202:203], v[204:205]
	s_delay_alu instid0(VALU_DEP_2) | instskip(NEXT) | instid1(VALU_DEP_2)
	v_add_f64_e32 v[14:15], v[14:15], v[4:5]
	v_add_f64_e32 v[16:17], v[16:17], v[20:21]
	s_or_b32 exec_lo, exec_lo, s17
	s_and_saveexec_b32 s17, s2
	s_cbranch_execnz .LBB87_150
	s_branch .LBB87_151
.LBB87_528:                             ;   in Loop: Header=BB87_3 Depth=1
	ds_load_b128 v[200:203], v58 offset:16304
	ds_load_b128 v[204:207], v184 offset:13824
	s_wait_dscnt 0x0
	v_mul_f64_e32 v[4:5], v[202:203], v[206:207]
	v_mul_f64_e32 v[20:21], v[200:201], v[206:207]
	s_delay_alu instid0(VALU_DEP_2) | instskip(NEXT) | instid1(VALU_DEP_2)
	v_fma_f64 v[4:5], v[200:201], v[204:205], -v[4:5]
	v_fmac_f64_e32 v[20:21], v[202:203], v[204:205]
	s_delay_alu instid0(VALU_DEP_2) | instskip(NEXT) | instid1(VALU_DEP_2)
	v_add_f64_e32 v[14:15], v[14:15], v[4:5]
	v_add_f64_e32 v[16:17], v[16:17], v[20:21]
	s_or_b32 exec_lo, exec_lo, s17
	s_and_saveexec_b32 s17, s5
	s_cbranch_execz .LBB87_211
.LBB87_529:                             ;   in Loop: Header=BB87_3 Depth=1
	ds_load_b128 v[200:203], v58 offset:16320
	ds_load_b128 v[204:207], v184 offset:14336
	s_wait_dscnt 0x0
	v_mul_f64_e32 v[4:5], v[202:203], v[206:207]
	v_mul_f64_e32 v[20:21], v[200:201], v[206:207]
	s_delay_alu instid0(VALU_DEP_2) | instskip(NEXT) | instid1(VALU_DEP_2)
	v_fma_f64 v[4:5], v[200:201], v[204:205], -v[4:5]
	v_fmac_f64_e32 v[20:21], v[202:203], v[204:205]
	s_delay_alu instid0(VALU_DEP_2) | instskip(NEXT) | instid1(VALU_DEP_2)
	v_add_f64_e32 v[14:15], v[14:15], v[4:5]
	v_add_f64_e32 v[16:17], v[16:17], v[20:21]
	s_or_b32 exec_lo, exec_lo, s17
	s_and_saveexec_b32 s17, s12
	s_cbranch_execz .LBB87_212
.LBB87_530:                             ;   in Loop: Header=BB87_3 Depth=1
	ds_load_b128 v[200:203], v58 offset:16336
	ds_load_b128 v[204:207], v184 offset:14848
	s_wait_dscnt 0x0
	v_mul_f64_e32 v[4:5], v[202:203], v[206:207]
	v_mul_f64_e32 v[20:21], v[200:201], v[206:207]
	s_delay_alu instid0(VALU_DEP_2) | instskip(NEXT) | instid1(VALU_DEP_2)
	v_fma_f64 v[4:5], v[200:201], v[204:205], -v[4:5]
	v_fmac_f64_e32 v[20:21], v[202:203], v[204:205]
	s_delay_alu instid0(VALU_DEP_2) | instskip(NEXT) | instid1(VALU_DEP_2)
	v_add_f64_e32 v[14:15], v[14:15], v[4:5]
	v_add_f64_e32 v[16:17], v[16:17], v[20:21]
	s_or_b32 exec_lo, exec_lo, s17
	s_and_saveexec_b32 s17, s14
	s_cbranch_execz .LBB87_213
.LBB87_531:                             ;   in Loop: Header=BB87_3 Depth=1
	ds_load_b128 v[200:203], v58 offset:16352
	ds_load_b128 v[204:207], v184 offset:15360
	s_wait_dscnt 0x0
	v_mul_f64_e32 v[4:5], v[202:203], v[206:207]
	v_mul_f64_e32 v[20:21], v[200:201], v[206:207]
	s_delay_alu instid0(VALU_DEP_2) | instskip(NEXT) | instid1(VALU_DEP_2)
	v_fma_f64 v[4:5], v[200:201], v[204:205], -v[4:5]
	v_fmac_f64_e32 v[20:21], v[202:203], v[204:205]
	s_delay_alu instid0(VALU_DEP_2) | instskip(NEXT) | instid1(VALU_DEP_2)
	v_add_f64_e32 v[14:15], v[14:15], v[4:5]
	v_add_f64_e32 v[16:17], v[16:17], v[20:21]
	s_or_b32 exec_lo, exec_lo, s17
	s_and_saveexec_b32 s17, s4
	s_cbranch_execnz .LBB87_214
	s_branch .LBB87_215
.LBB87_532:                             ;   in Loop: Header=BB87_3 Depth=1
	ds_load_b128 v[200:203], v48 offset:7888
	ds_load_b128 v[204:207], v180 offset:6784
	s_wait_dscnt 0x0
	v_mul_f64_e32 v[4:5], v[202:203], v[206:207]
	v_mul_f64_e32 v[20:21], v[200:201], v[206:207]
	s_delay_alu instid0(VALU_DEP_2) | instskip(NEXT) | instid1(VALU_DEP_2)
	v_fma_f64 v[4:5], v[200:201], v[204:205], -v[4:5]
	v_fmac_f64_e32 v[20:21], v[202:203], v[204:205]
	s_delay_alu instid0(VALU_DEP_2) | instskip(NEXT) | instid1(VALU_DEP_2)
	v_add_f64_e32 v[14:15], v[14:15], v[4:5]
	v_add_f64_e32 v[16:17], v[16:17], v[20:21]
	s_or_b32 exec_lo, exec_lo, s17
	s_and_saveexec_b32 s17, s10
	s_cbranch_execz .LBB87_303
.LBB87_533:                             ;   in Loop: Header=BB87_3 Depth=1
	ds_load_b128 v[200:203], v48 offset:7904
	ds_load_b128 v[204:207], v180 offset:7296
	s_wait_dscnt 0x0
	v_mul_f64_e32 v[4:5], v[202:203], v[206:207]
	v_mul_f64_e32 v[20:21], v[200:201], v[206:207]
	s_delay_alu instid0(VALU_DEP_2) | instskip(NEXT) | instid1(VALU_DEP_2)
	v_fma_f64 v[4:5], v[200:201], v[204:205], -v[4:5]
	v_fmac_f64_e32 v[20:21], v[202:203], v[204:205]
	s_delay_alu instid0(VALU_DEP_2) | instskip(NEXT) | instid1(VALU_DEP_2)
	v_add_f64_e32 v[14:15], v[14:15], v[4:5]
	v_add_f64_e32 v[16:17], v[16:17], v[20:21]
	s_or_b32 exec_lo, exec_lo, s17
	s_and_saveexec_b32 s17, s2
	s_cbranch_execnz .LBB87_304
	s_branch .LBB87_305
.LBB87_534:                             ;   in Loop: Header=BB87_3 Depth=1
	ds_load_b128 v[200:203], v49 offset:7824
	ds_load_b128 v[204:207], v182 offset:4608
	s_wait_dscnt 0x0
	v_mul_f64_e32 v[4:5], v[202:203], v[206:207]
	v_mul_f64_e32 v[20:21], v[200:201], v[206:207]
	s_delay_alu instid0(VALU_DEP_2) | instskip(NEXT) | instid1(VALU_DEP_2)
	v_fma_f64 v[4:5], v[200:201], v[204:205], -v[4:5]
	v_fmac_f64_e32 v[20:21], v[202:203], v[204:205]
	s_delay_alu instid0(VALU_DEP_2) | instskip(NEXT) | instid1(VALU_DEP_2)
	v_add_f64_e32 v[14:15], v[14:15], v[4:5]
	v_add_f64_e32 v[16:17], v[16:17], v[20:21]
	s_or_b32 exec_lo, exec_lo, s17
	s_and_saveexec_b32 s17, s12
	s_cbranch_execz .LBB87_345
.LBB87_535:                             ;   in Loop: Header=BB87_3 Depth=1
	ds_load_b128 v[200:203], v49 offset:7840
	ds_load_b128 v[204:207], v182 offset:5120
	s_wait_dscnt 0x0
	v_mul_f64_e32 v[4:5], v[202:203], v[206:207]
	v_mul_f64_e32 v[20:21], v[200:201], v[206:207]
	s_delay_alu instid0(VALU_DEP_2) | instskip(NEXT) | instid1(VALU_DEP_2)
	v_fma_f64 v[4:5], v[200:201], v[204:205], -v[4:5]
	v_fmac_f64_e32 v[20:21], v[202:203], v[204:205]
	s_delay_alu instid0(VALU_DEP_2) | instskip(NEXT) | instid1(VALU_DEP_2)
	v_add_f64_e32 v[14:15], v[14:15], v[4:5]
	v_add_f64_e32 v[16:17], v[16:17], v[20:21]
	s_or_b32 exec_lo, exec_lo, s17
	s_and_saveexec_b32 s17, s13
	s_cbranch_execz .LBB87_346
.LBB87_536:                             ;   in Loop: Header=BB87_3 Depth=1
	ds_load_b128 v[200:203], v49 offset:7856
	ds_load_b128 v[204:207], v182 offset:5632
	s_wait_dscnt 0x0
	v_mul_f64_e32 v[4:5], v[202:203], v[206:207]
	v_mul_f64_e32 v[20:21], v[200:201], v[206:207]
	s_delay_alu instid0(VALU_DEP_2) | instskip(NEXT) | instid1(VALU_DEP_2)
	v_fma_f64 v[4:5], v[200:201], v[204:205], -v[4:5]
	v_fmac_f64_e32 v[20:21], v[202:203], v[204:205]
	s_delay_alu instid0(VALU_DEP_2) | instskip(NEXT) | instid1(VALU_DEP_2)
	v_add_f64_e32 v[14:15], v[14:15], v[4:5]
	v_add_f64_e32 v[16:17], v[16:17], v[20:21]
	s_or_b32 exec_lo, exec_lo, s17
	s_and_saveexec_b32 s17, s14
	s_cbranch_execz .LBB87_347
.LBB87_537:                             ;   in Loop: Header=BB87_3 Depth=1
	ds_load_b128 v[200:203], v49 offset:7872
	ds_load_b128 v[204:207], v182 offset:6144
	s_wait_dscnt 0x0
	v_mul_f64_e32 v[4:5], v[202:203], v[206:207]
	v_mul_f64_e32 v[20:21], v[200:201], v[206:207]
	s_delay_alu instid0(VALU_DEP_2) | instskip(NEXT) | instid1(VALU_DEP_2)
	v_fma_f64 v[4:5], v[200:201], v[204:205], -v[4:5]
	v_fmac_f64_e32 v[20:21], v[202:203], v[204:205]
	s_delay_alu instid0(VALU_DEP_2) | instskip(NEXT) | instid1(VALU_DEP_2)
	v_add_f64_e32 v[14:15], v[14:15], v[4:5]
	v_add_f64_e32 v[16:17], v[16:17], v[20:21]
	s_or_b32 exec_lo, exec_lo, s17
	s_and_saveexec_b32 s17, s15
	s_cbranch_execz .LBB87_348
.LBB87_538:                             ;   in Loop: Header=BB87_3 Depth=1
	ds_load_b128 v[200:203], v49 offset:7888
	ds_load_b128 v[204:207], v182 offset:6656
	s_wait_dscnt 0x0
	v_mul_f64_e32 v[4:5], v[202:203], v[206:207]
	v_mul_f64_e32 v[20:21], v[200:201], v[206:207]
	s_delay_alu instid0(VALU_DEP_2) | instskip(NEXT) | instid1(VALU_DEP_2)
	v_fma_f64 v[4:5], v[200:201], v[204:205], -v[4:5]
	v_fmac_f64_e32 v[20:21], v[202:203], v[204:205]
	s_delay_alu instid0(VALU_DEP_2) | instskip(NEXT) | instid1(VALU_DEP_2)
	v_add_f64_e32 v[14:15], v[14:15], v[4:5]
	v_add_f64_e32 v[16:17], v[16:17], v[20:21]
	s_or_b32 exec_lo, exec_lo, s17
	s_and_saveexec_b32 s17, s4
	s_cbranch_execz .LBB87_349
.LBB87_539:                             ;   in Loop: Header=BB87_3 Depth=1
	ds_load_b128 v[200:203], v49 offset:7904
	ds_load_b128 v[204:207], v182 offset:7168
	s_wait_dscnt 0x0
	v_mul_f64_e32 v[4:5], v[202:203], v[206:207]
	v_mul_f64_e32 v[20:21], v[200:201], v[206:207]
	s_delay_alu instid0(VALU_DEP_2) | instskip(NEXT) | instid1(VALU_DEP_2)
	v_fma_f64 v[4:5], v[200:201], v[204:205], -v[4:5]
	v_fmac_f64_e32 v[20:21], v[202:203], v[204:205]
	s_delay_alu instid0(VALU_DEP_2) | instskip(NEXT) | instid1(VALU_DEP_2)
	v_add_f64_e32 v[14:15], v[14:15], v[4:5]
	v_add_f64_e32 v[16:17], v[16:17], v[20:21]
	s_or_b32 exec_lo, exec_lo, s17
	s_and_saveexec_b32 s17, s10
	s_cbranch_execnz .LBB87_350
	s_branch .LBB87_351
.LBB87_540:                             ;   in Loop: Header=BB87_3 Depth=1
	ds_load_b128 v[200:203], v48 offset:3664
	ds_load_b128 v[204:207], v180 offset:2560
	s_wait_dscnt 0x0
	v_mul_f64_e32 v[4:5], v[202:203], v[206:207]
	v_mul_f64_e32 v[20:21], v[200:201], v[206:207]
	s_delay_alu instid0(VALU_DEP_2) | instskip(NEXT) | instid1(VALU_DEP_2)
	v_fma_f64 v[4:5], v[200:201], v[204:205], -v[4:5]
	v_fmac_f64_e32 v[20:21], v[202:203], v[204:205]
	s_delay_alu instid0(VALU_DEP_2) | instskip(NEXT) | instid1(VALU_DEP_2)
	v_add_f64_e32 v[14:15], v[14:15], v[4:5]
	v_add_f64_e32 v[16:17], v[16:17], v[20:21]
	s_or_b32 exec_lo, exec_lo, s17
	s_and_saveexec_b32 s17, s10
	s_cbranch_execz .LBB87_407
.LBB87_541:                             ;   in Loop: Header=BB87_3 Depth=1
	ds_load_b128 v[200:203], v48 offset:3680
	ds_load_b128 v[204:207], v180 offset:3072
	s_wait_dscnt 0x0
	v_mul_f64_e32 v[4:5], v[202:203], v[206:207]
	v_mul_f64_e32 v[20:21], v[200:201], v[206:207]
	s_delay_alu instid0(VALU_DEP_2) | instskip(NEXT) | instid1(VALU_DEP_2)
	v_fma_f64 v[4:5], v[200:201], v[204:205], -v[4:5]
	v_fmac_f64_e32 v[20:21], v[202:203], v[204:205]
	s_delay_alu instid0(VALU_DEP_2) | instskip(NEXT) | instid1(VALU_DEP_2)
	v_add_f64_e32 v[14:15], v[14:15], v[4:5]
	v_add_f64_e32 v[16:17], v[16:17], v[20:21]
	s_or_b32 exec_lo, exec_lo, s17
	s_and_saveexec_b32 s17, s2
	s_cbranch_execnz .LBB87_408
	s_branch .LBB87_409
.LBB87_542:
	s_endpgm
	.section	.rodata,"a",@progbits
	.p2align	6, 0x0
	.amdhsa_kernel _ZL19rocblas_trsv_deviceILi32ELi16ELb0ELb1ELb1ELb1E19rocblas_complex_numIdES1_PKS1_PS1_EviT7_lllT6_T8_lllPii
		.amdhsa_group_segment_fixed_size 25104
		.amdhsa_private_segment_fixed_size 0
		.amdhsa_kernarg_size 360
		.amdhsa_user_sgpr_count 2
		.amdhsa_user_sgpr_dispatch_ptr 0
		.amdhsa_user_sgpr_queue_ptr 0
		.amdhsa_user_sgpr_kernarg_segment_ptr 1
		.amdhsa_user_sgpr_dispatch_id 0
		.amdhsa_user_sgpr_kernarg_preload_length 0
		.amdhsa_user_sgpr_kernarg_preload_offset 0
		.amdhsa_user_sgpr_private_segment_size 0
		.amdhsa_wavefront_size32 1
		.amdhsa_uses_dynamic_stack 0
		.amdhsa_enable_private_segment 0
		.amdhsa_system_sgpr_workgroup_id_x 1
		.amdhsa_system_sgpr_workgroup_id_y 0
		.amdhsa_system_sgpr_workgroup_id_z 1
		.amdhsa_system_sgpr_workgroup_info 0
		.amdhsa_system_vgpr_workitem_id 1
		.amdhsa_next_free_vgpr 209
		.amdhsa_next_free_sgpr 105
		.amdhsa_named_barrier_count 0
		.amdhsa_reserve_vcc 1
		.amdhsa_float_round_mode_32 0
		.amdhsa_float_round_mode_16_64 0
		.amdhsa_float_denorm_mode_32 3
		.amdhsa_float_denorm_mode_16_64 3
		.amdhsa_fp16_overflow 0
		.amdhsa_memory_ordered 1
		.amdhsa_forward_progress 1
		.amdhsa_inst_pref_size 184
		.amdhsa_round_robin_scheduling 0
		.amdhsa_exception_fp_ieee_invalid_op 0
		.amdhsa_exception_fp_denorm_src 0
		.amdhsa_exception_fp_ieee_div_zero 0
		.amdhsa_exception_fp_ieee_overflow 0
		.amdhsa_exception_fp_ieee_underflow 0
		.amdhsa_exception_fp_ieee_inexact 0
		.amdhsa_exception_int_div_zero 0
	.end_amdhsa_kernel
	.section	.text._ZL19rocblas_trsv_deviceILi32ELi16ELb0ELb1ELb1ELb1E19rocblas_complex_numIdES1_PKS1_PS1_EviT7_lllT6_T8_lllPii,"axG",@progbits,_ZL19rocblas_trsv_deviceILi32ELi16ELb0ELb1ELb1ELb1E19rocblas_complex_numIdES1_PKS1_PS1_EviT7_lllT6_T8_lllPii,comdat
.Lfunc_end87:
	.size	_ZL19rocblas_trsv_deviceILi32ELi16ELb0ELb1ELb1ELb1E19rocblas_complex_numIdES1_PKS1_PS1_EviT7_lllT6_T8_lllPii, .Lfunc_end87-_ZL19rocblas_trsv_deviceILi32ELi16ELb0ELb1ELb1ELb1E19rocblas_complex_numIdES1_PKS1_PS1_EviT7_lllT6_T8_lllPii
                                        ; -- End function
	.set _ZL19rocblas_trsv_deviceILi32ELi16ELb0ELb1ELb1ELb1E19rocblas_complex_numIdES1_PKS1_PS1_EviT7_lllT6_T8_lllPii.num_vgpr, 209
	.set _ZL19rocblas_trsv_deviceILi32ELi16ELb0ELb1ELb1ELb1E19rocblas_complex_numIdES1_PKS1_PS1_EviT7_lllT6_T8_lllPii.num_agpr, 0
	.set _ZL19rocblas_trsv_deviceILi32ELi16ELb0ELb1ELb1ELb1E19rocblas_complex_numIdES1_PKS1_PS1_EviT7_lllT6_T8_lllPii.numbered_sgpr, 105
	.set _ZL19rocblas_trsv_deviceILi32ELi16ELb0ELb1ELb1ELb1E19rocblas_complex_numIdES1_PKS1_PS1_EviT7_lllT6_T8_lllPii.num_named_barrier, 0
	.set _ZL19rocblas_trsv_deviceILi32ELi16ELb0ELb1ELb1ELb1E19rocblas_complex_numIdES1_PKS1_PS1_EviT7_lllT6_T8_lllPii.private_seg_size, 0
	.set _ZL19rocblas_trsv_deviceILi32ELi16ELb0ELb1ELb1ELb1E19rocblas_complex_numIdES1_PKS1_PS1_EviT7_lllT6_T8_lllPii.uses_vcc, 1
	.set _ZL19rocblas_trsv_deviceILi32ELi16ELb0ELb1ELb1ELb1E19rocblas_complex_numIdES1_PKS1_PS1_EviT7_lllT6_T8_lllPii.uses_flat_scratch, 0
	.set _ZL19rocblas_trsv_deviceILi32ELi16ELb0ELb1ELb1ELb1E19rocblas_complex_numIdES1_PKS1_PS1_EviT7_lllT6_T8_lllPii.has_dyn_sized_stack, 0
	.set _ZL19rocblas_trsv_deviceILi32ELi16ELb0ELb1ELb1ELb1E19rocblas_complex_numIdES1_PKS1_PS1_EviT7_lllT6_T8_lllPii.has_recursion, 0
	.set _ZL19rocblas_trsv_deviceILi32ELi16ELb0ELb1ELb1ELb1E19rocblas_complex_numIdES1_PKS1_PS1_EviT7_lllT6_T8_lllPii.has_indirect_call, 0
	.section	.AMDGPU.csdata,"",@progbits
; Kernel info:
; codeLenInByte = 23436
; TotalNumSgprs: 107
; NumVgprs: 209
; ScratchSize: 0
; MemoryBound: 1
; FloatMode: 240
; IeeeMode: 1
; LDSByteSize: 25104 bytes/workgroup (compile time only)
; SGPRBlocks: 0
; VGPRBlocks: 13
; NumSGPRsForWavesPerEU: 107
; NumVGPRsForWavesPerEU: 209
; NamedBarCnt: 0
; Occupancy: 4
; WaveLimiterHint : 0
; COMPUTE_PGM_RSRC2:SCRATCH_EN: 0
; COMPUTE_PGM_RSRC2:USER_SGPR: 2
; COMPUTE_PGM_RSRC2:TRAP_HANDLER: 0
; COMPUTE_PGM_RSRC2:TGID_X_EN: 1
; COMPUTE_PGM_RSRC2:TGID_Y_EN: 0
; COMPUTE_PGM_RSRC2:TGID_Z_EN: 1
; COMPUTE_PGM_RSRC2:TIDIG_COMP_CNT: 1
	.section	.text._ZL19rocblas_trsv_deviceILi32ELi16ELb0ELb0ELb0ELb0E19rocblas_complex_numIdES1_PKS1_PS1_EviT7_lllT6_T8_lllPii,"axG",@progbits,_ZL19rocblas_trsv_deviceILi32ELi16ELb0ELb0ELb0ELb0E19rocblas_complex_numIdES1_PKS1_PS1_EviT7_lllT6_T8_lllPii,comdat
	.globl	_ZL19rocblas_trsv_deviceILi32ELi16ELb0ELb0ELb0ELb0E19rocblas_complex_numIdES1_PKS1_PS1_EviT7_lllT6_T8_lllPii ; -- Begin function _ZL19rocblas_trsv_deviceILi32ELi16ELb0ELb0ELb0ELb0E19rocblas_complex_numIdES1_PKS1_PS1_EviT7_lllT6_T8_lllPii
	.p2align	8
	.type	_ZL19rocblas_trsv_deviceILi32ELi16ELb0ELb0ELb0ELb0E19rocblas_complex_numIdES1_PKS1_PS1_EviT7_lllT6_T8_lllPii,@function
_ZL19rocblas_trsv_deviceILi32ELi16ELb0ELb0ELb0ELb0E19rocblas_complex_numIdES1_PKS1_PS1_EviT7_lllT6_T8_lllPii: ; @_ZL19rocblas_trsv_deviceILi32ELi16ELb0ELb0ELb0ELb0E19rocblas_complex_numIdES1_PKS1_PS1_EviT7_lllT6_T8_lllPii
; %bb.0:
	s_load_b32 s66, s[0:1], 0x60
	s_bfe_u32 s2, ttmp6, 0x40014
	s_lshr_b32 s3, ttmp7, 16
	s_add_co_i32 s2, s2, 1
	s_bfe_u32 s5, ttmp6, 0x40008
	s_mul_i32 s2, s3, s2
	s_getreg_b32 s4, hwreg(HW_REG_IB_STS2, 6, 4)
	s_add_co_i32 s5, s5, s2
	s_cmp_eq_u32 s4, 0
	s_mov_b32 s57, 0
	s_cselect_b32 s56, s3, s5
	s_wait_kmcnt 0x0
	s_cmp_ge_u32 s56, s66
	s_cbranch_scc1 .LBB88_544
; %bb.1:
	s_clause 0x5
	s_load_b512 s[36:51], s[0:1], 0x8
	s_load_b32 s5, s[0:1], 0x74
	s_load_b32 s68, s[0:1], 0x68
	;; [unrolled: 1-line block ×3, first 2 shown]
	s_load_b64 s[60:61], s[0:1], 0x58
	s_load_b128 s[52:55], s[0:1], 0x48
	s_wait_xcnt 0x0
	s_bfe_u32 s0, ttmp6, 0x4000c
	s_and_b32 s1, ttmp6, 15
	s_add_co_i32 s0, s0, 1
	v_bfe_u32 v40, v0, 10, 10
	s_mul_i32 s0, ttmp9, s0
	v_and_b32_e32 v22, 0x3ff, v0
	s_add_co_i32 s6, s1, s0
	v_dual_mov_b32 v2, 0 :: v_dual_lshrrev_b32 v1, 10, v0
                                        ; implicit-def: $vgpr75 : SGPR spill to VGPR lane
	v_lshl_add_u32 v58, v40, 4, 0x6000
	s_delay_alu instid0(VALU_DEP_3) | instskip(SKIP_1) | instid1(VALU_DEP_4)
	v_lshl_add_u32 v3, v40, 5, v22
	v_mul_u32_u24_e32 v62, 0x210, v22
	v_dual_mov_b32 v25, v2 :: v_dual_mov_b32 v23, v2
	s_wait_kmcnt 0x0
	s_lshl_b64 s[0:1], s[38:39], 4
	s_lshl_b64 s[2:3], s[50:51], 4
	s_cmp_eq_u32 s4, 0
	s_add_nc_u64 s[38:39], s[36:37], s[0:1]
	s_cselect_b32 s67, ttmp9, s6
	s_add_co_i32 s4, s58, -1
	s_ashr_i32 s59, s58, 31
	s_and_b32 s6, s5, 0xffff
	s_ashr_i32 s5, s4, 31
	s_lshr_b32 s7, s59, 27
	s_lshr_b32 s5, s5, 27
	s_add_co_i32 s7, s58, s7
	s_add_co_i32 s68, s68, -1
	s_add_co_i32 s4, s4, s5
	s_and_not1_b32 s7, s7, 31
	s_sub_co_i32 s99, s68, s67
	s_ashr_i32 s4, s4, 5
	s_sub_co_i32 s10, s58, s7
	s_cmp_eq_u32 s4, s99
	s_add_nc_u64 s[48:49], s[48:49], s[2:3]
	s_cselect_b32 s4, -1, 0
	s_cmp_lg_u32 s10, 0
	v_bitop3_b32 v12, v0, v1, 0x3ff bitop3:0xa8
	s_cselect_b32 s5, -1, 0
	v_mad_u32_u24 v24, v40, s6, v22
	s_and_b32 s7, s5, s4
	s_add_nc_u64 s[4:5], s[40:41], 1
	s_xor_b32 s69, s7, -1
	s_cmp_lg_u32 s67, 0
	v_cmp_gt_u32_e64 s19, 0xf0, v3
	s_cselect_b32 s70, -1, 0
	s_lshl_b32 s8, s99, 5
	s_delay_alu instid0(SALU_CYCLE_1)
	v_dual_lshrrev_b32 v8, 1, v3 :: v_dual_add_nc_u32 v10, s8, v40
	v_mad_nc_u64_u32 v[6:7], s4, s8, v[22:23]
	s_ashr_i32 s9, s8, 31
	s_cmp_gt_i32 s67, 4
	s_mul_i32 s1, s5, s8
	v_add_nc_u32_e32 v4, 32, v10
	v_add_nc_u32_e32 v26, s8, v22
	s_mul_i32 s2, s4, s9
	s_cselect_b32 s0, -1, 0
	v_lshl_add_u32 v23, v8, 4, 0x4000
	s_delay_alu instid0(VALU_DEP_2) | instskip(SKIP_3) | instid1(VALU_DEP_3)
	v_dual_ashrrev_i32 v5, 31, v4 :: v_dual_ashrrev_i32 v27, 31, v26
	v_lshlrev_b32_e32 v1, 9, v8
	v_add3_u32 v7, s2, s1, v7
	s_and_b32 s37, s0, s69
	v_mul_u64_e32 v[28:29], s[40:41], v[4:5]
	v_and_b32_e32 v5, 1, v0
	v_cmp_gt_u32_e64 s0, 4, v3
	v_dual_lshlrev_b32 v43, 4, v22 :: v_dual_sub_nc_u32 v42, 0, v1
	v_mad_nc_u64_u32 v[30:31], s40, v40, v[6:7]
	s_delay_alu instid0(VALU_DEP_4) | instskip(SKIP_3) | instid1(VALU_DEP_4)
	v_lshlrev_b32_e32 v41, 4, v5
	v_cmp_eq_u32_e32 vcc_lo, 1, v5
	v_cmp_eq_u32_e64 s1, 0, v5
	v_dual_lshrrev_b32 v5, 2, v3 :: v_dual_bitop2_b32 v8, 3, v0 bitop3:0x40
	v_sub_nc_u32_e32 v44, v41, v1
	s_and_b32 s71, vcc_lo, s0
	s_and_b32 s72, s1, s0
	v_cmp_gt_u32_e64 s1, 16, v3
	v_cmp_eq_u32_e32 vcc_lo, 3, v8
	v_cmp_ne_u32_e64 s2, 3, v8
	v_cmp_eq_u32_e64 s3, 2, v8
	v_dual_lshlrev_b32 v1, 9, v5 :: v_dual_lshlrev_b32 v46, 4, v8
	s_and_b32 s73, vcc_lo, s1
	v_cmp_gt_u32_e32 vcc_lo, 2, v8
	s_and_b32 s74, s2, s1
	v_cmp_eq_u32_e64 s2, 1, v8
	s_and_b32 s75, s3, s1
	v_cmp_eq_u32_e64 s3, 0, v8
	v_dual_sub_nc_u32 v48, v46, v1 :: v_dual_bitop2_b32 v8, 7, v0 bitop3:0x40
	s_and_b32 s76, vcc_lo, s1
	s_and_b32 s77, s2, s1
	s_and_b32 s78, s3, s1
	v_cmp_gt_u32_e64 s2, 64, v3
	v_cmp_eq_u32_e32 vcc_lo, 7, v8
	v_cmp_ne_u32_e64 s3, 7, v8
	v_lshl_add_u32 v45, v5, 4, 0x4000
	v_dual_sub_nc_u32 v47, 0, v1 :: v_dual_lshrrev_b32 v5, 3, v3
	v_cmp_eq_u32_e64 s4, 6, v8
	v_cmp_gt_u32_e64 s5, 6, v8
	s_and_b32 s79, vcc_lo, s2
	s_and_b32 s80, s3, s2
	v_cmp_eq_u32_e32 vcc_lo, 5, v8
	v_cmp_gt_u32_e64 s3, 5, v8
	v_dual_lshlrev_b32 v50, 4, v8 :: v_dual_lshlrev_b32 v1, 9, v5
	s_and_b32 s81, s4, s2
	s_and_b32 s82, s5, s2
	v_cmp_eq_u32_e64 s4, 4, v8
	v_cmp_gt_u32_e64 s5, 4, v8
	s_and_b32 s83, vcc_lo, s2
	s_and_b32 s84, s3, s2
	v_cmp_gt_u32_e32 vcc_lo, 3, v8
	v_cmp_eq_u32_e64 s3, 2, v8
	v_dual_sub_nc_u32 v52, v50, v1 :: v_dual_bitop2_b32 v0, 15, v0 bitop3:0x40
	s_and_b32 s85, s4, s2
	s_and_b32 s86, s5, s2
	v_cmp_gt_u32_e64 s4, 2, v8
	v_cmp_eq_u32_e64 s5, 1, v8
	s_and_b32 s88, vcc_lo, s2
	s_and_b32 s89, s3, s2
	v_cmp_gt_u32_e64 s3, 0x100, v3
	v_cmp_eq_u32_e32 vcc_lo, 15, v0
	s_and_b32 s90, s4, s2
	s_and_b32 s91, s5, s2
	v_cmp_ne_u32_e64 s4, 15, v0
	v_cmp_eq_u32_e64 s6, 3, v8
	s_and_b32 s5, vcc_lo, s3
	v_cmp_eq_u32_e32 vcc_lo, 14, v0
	v_writelane_b32 v75, s5, 0
	s_and_b32 s4, s4, s3
	v_cmp_gt_u32_e64 s5, 14, v0
	s_and_b32 s87, s6, s2
	s_and_b32 s11, vcc_lo, s3
	v_writelane_b32 v75, s4, 1
	v_cmp_eq_u32_e64 s6, 0, v8
	v_cmp_eq_u32_e64 s4, 13, v0
	s_and_b32 s5, s5, s3
	v_cmp_eq_u32_e32 vcc_lo, 12, v0
	v_writelane_b32 v75, s11, 2
	s_and_b32 s92, s6, s2
	v_cmp_gt_u32_e64 s6, 13, v0
	s_and_b32 s4, s4, s3
	v_lshl_add_u32 v49, v5, 4, 0x4000
	v_writelane_b32 v75, s5, 3
	v_cmp_eq_u32_e64 s5, 11, v0
	v_dual_sub_nc_u32 v51, 0, v1 :: v_dual_lshlrev_b32 v5, 5, v3
	v_and_b32_e32 v8, 0x7ff0, v3
	v_writelane_b32 v75, s4, 4
	s_and_b32 s4, s6, s3
	s_and_b32 s6, vcc_lo, s3
	v_cmp_gt_u32_e32 vcc_lo, 11, v0
	v_and_b32_e32 v1, 0xfffffe00, v5
	v_writelane_b32 v75, s4, 5
	v_cmp_gt_u32_e64 s4, 12, v0
	v_add_nc_u32_e32 v53, 0x4000, v8
	s_delay_alu instid0(VALU_DEP_4)
	v_dual_lshlrev_b32 v54, 4, v0 :: v_dual_sub_nc_u32 v55, 0, v1
	v_writelane_b32 v75, s6, 6
	s_and_b32 s4, s4, s3
	v_cmp_eq_u32_e64 s6, 10, v0
	v_add_nc_u64_e32 v[8:9], s[8:9], v[24:25]
	v_dual_sub_nc_u32 v56, v54, v1 :: v_dual_add_nc_u32 v5, 16, v40
	v_writelane_b32 v75, s4, 7
	s_and_b32 s4, s5, s3
	s_and_b32 s5, vcc_lo, s3
	v_cmp_eq_u32_e32 vcc_lo, 9, v0
	s_delay_alu instid0(VALU_DEP_4)
	v_mul_u64_e32 v[32:33], s[52:53], v[8:9]
	v_writelane_b32 v75, s4, 8
	v_cmp_gt_u32_e64 s4, 10, v0
	v_mad_nc_u64_u32 v[34:35], s40, v5, v[6:7]
	s_and_b32 s11, vcc_lo, s3
	v_cmp_eq_u32_e32 vcc_lo, 7, v0
	v_writelane_b32 v75, s5, 9
	s_and_b32 s5, s6, s3
	s_and_b32 s4, s4, s3
	v_cmp_gt_u32_e64 s6, 8, v0
	s_and_b32 s22, vcc_lo, s3
	v_writelane_b32 v75, s5, 10
	v_cmp_gt_u32_e64 s5, 9, v0
	v_cmp_gt_u32_e32 vcc_lo, 6, v0
	v_dual_lshlrev_b32 v11, 9, v22 :: v_dual_add_nc_u32 v64, v58, v43
	v_writelane_b32 v75, s4, 11
	v_cmp_eq_u32_e64 s4, 8, v0
	s_and_b32 s5, s5, s3
	s_and_b32 s25, vcc_lo, s3
	v_cmp_eq_u32_e32 vcc_lo, 4, v0
	v_writelane_b32 v75, s11, 12
	s_and_b32 s4, s4, s3
	v_dual_sub_nc_u32 v63, 0, v11 :: v_dual_add_nc_u32 v8, 48, v10
	s_and_b32 s28, vcc_lo, s3
	v_writelane_b32 v75, s5, 13
	v_cmp_eq_u32_e64 s5, 6, v0
	v_cmp_eq_u32_e32 vcc_lo, 2, v0
	v_mad_u32 v31, s41, v40, v31
	v_mad_u32 v35, s41, v5, v35
	v_writelane_b32 v75, s4, 14
	s_and_b32 s4, s6, s3
	v_cmp_eq_u32_e64 s6, 5, v0
	s_and_b32 s24, s5, s3
	v_cmp_gt_u32_e64 s5, 4, v0
	v_writelane_b32 v75, s4, 15
	v_cmp_gt_u32_e64 s4, 7, v0
	s_and_b32 s26, s6, s3
	v_cmp_gt_u32_e64 s6, 3, v0
	s_and_b32 s93, vcc_lo, s3
	v_cmp_le_i32_e32 vcc_lo, s10, v22
	s_and_b32 s23, s4, s3
	v_cmp_gt_u32_e64 s4, 5, v0
	s_and_b32 s29, s5, s3
	v_cmp_eq_u32_e64 s5, 1, v0
	s_and_b32 s36, s6, s3
	s_movk_i32 s6, 0x3c00
	s_and_b32 s27, s4, s3
	v_cmp_eq_u32_e64 s4, 3, v0
	s_and_b32 s95, vcc_lo, s7
	v_mad_u32_u24 v25, 0x210, v22, s6
	v_cmp_eq_u32_e64 s6, 0, v0
	s_and_b32 s94, s5, s3
	s_and_b32 s35, s4, s3
	v_cmp_gt_u32_e64 s4, 2, v0
	s_xor_b32 s5, s95, -1
	v_cmp_gt_i32_e64 s7, s58, v4
	s_and_b32 s96, s6, s3
	v_cmp_gt_i32_e64 s6, s10, v22
	s_and_b32 s9, s4, s3
	v_cmp_eq_u32_e64 s4, 0, v40
	v_mul_u64_e32 v[0:1], s[52:53], v[26:27]
	v_cmp_gt_i32_e64 s8, s58, v8
	v_dual_sub_nc_u32 v4, v62, v11 :: v_dual_bitop2_b32 v8, v5, v22 bitop3:0x54
	s_and_b32 s97, s4, s5
	v_cmp_gt_i32_e64 s5, s58, v26
	s_cmp_gt_i32 s67, 0
                                        ; implicit-def: $vgpr74 : SGPR spill to VGPR lane
	v_lshl_add_u32 v57, v24, 4, 0x6000
	s_cselect_b32 s98, -1, 0
	s_and_b32 s6, s4, s6
	s_and_b32 s100, s5, s7
	v_cmp_le_i32_e64 s7, s10, v5
	v_writelane_b32 v75, s6, 16
	v_cmp_le_i32_e64 s6, s10, v40
	v_lshl_add_u32 v59, v3, 4, 0x4000
	v_add_nc_u32_e32 v60, 0x4000, v43
	s_or_b32 s10, s7, vcc_lo
	v_cmp_le_u32_e64 s7, v5, v22
	s_or_b32 s11, s6, vcc_lo
	v_cmp_le_u32_e64 s6, v40, v22
	v_lshl_add_u32 v61, v40, 9, v43
	v_lshl_add_u32 v65, v5, 9, v4
	s_or_b32 s102, s10, s7
	v_cmp_ne_u32_e64 s10, v22, v40
	s_or_b32 s101, s11, s6
	v_cmp_ne_u32_e64 s11, v22, v5
	v_cmp_gt_u32_e64 s12, 12, v3
	v_cmp_gt_u32_e64 s13, 8, v3
	v_writelane_b32 v75, s10, 17
	s_or_b32 s10, vcc_lo, s10
	v_cmp_gt_u32_e64 s14, 56, v3
	v_cmp_gt_u32_e64 s15, 48, v3
	;; [unrolled: 1-line block ×3, first 2 shown]
	v_writelane_b32 v75, s10, 18
	s_or_b32 s10, vcc_lo, s11
	v_cmp_gt_u32_e64 s17, 32, v3
	v_cmp_gt_u32_e64 s18, 24, v3
	v_cmp_eq_u32_e64 s30, 0, v24
	v_writelane_b32 v75, s11, 19
	v_cmp_gt_u32_e64 s11, 2, v3
	v_cmp_gt_u32_e64 s31, 32, v24
	v_cmp_le_u32_e64 s33, v22, v40
	v_cmp_le_u32_e64 s34, v22, v5
	v_writelane_b32 v75, s10, 20
	v_cmp_eq_u32_e64 s10, 0, v12
	s_add_co_i32 s99, s99, 1
	s_and_b32 s8, s5, s8
	s_lshl_b64 s[50:51], s[40:41], 8
	v_writelane_b32 v75, s19, 21
	v_cmp_gt_u32_e64 s19, 0xe0, v3
                                        ; implicit-def: $vgpr6_vgpr7
                                        ; implicit-def: $vgpr10_vgpr11
	s_delay_alu instid0(VALU_DEP_1) | instskip(SKIP_1) | instid1(VALU_DEP_1)
	v_writelane_b32 v75, s19, 22
	v_cmp_gt_u32_e64 s19, 0xd0, v3
	v_writelane_b32 v75, s19, 23
	v_cmp_gt_u32_e64 s19, 0xc0, v3
	s_delay_alu instid0(VALU_DEP_1) | instskip(SKIP_1) | instid1(VALU_DEP_1)
	v_writelane_b32 v75, s19, 24
	v_cmp_gt_u32_e64 s19, 0xb0, v3
	v_writelane_b32 v75, s19, 25
	v_cmp_gt_u32_e64 s19, 0xa0, v3
	;; [unrolled: 5-line block ×5, first 2 shown]
	s_delay_alu instid0(VALU_DEP_1) | instskip(SKIP_1) | instid1(VALU_DEP_1)
	v_writelane_b32 v74, s19, 0
	v_cmp_gt_u32_e64 s19, 32, v8
	v_writelane_b32 v74, s19, 1
	s_branch .LBB88_3
.LBB88_2:                               ;   in Loop: Header=BB88_3 Depth=1
	s_wait_xcnt 0x0
	s_or_b32 exec_lo, exec_lo, s19
	s_add_co_i32 s56, s56, 0x10000
	global_wb scope:SCOPE_DEV
	s_wait_storecnt 0x0
	global_inv scope:SCOPE_DEV
	s_cmp_lt_u32 s56, s66
	s_cbranch_scc0 .LBB88_544
.LBB88_3:                               ; =>This Loop Header: Depth=1
                                        ;     Child Loop BB88_425 Depth 2
                                        ;       Child Loop BB88_427 Depth 3
                                        ;     Child Loop BB88_458 Depth 2
	s_mul_u64 s[62:63], s[42:43], s[56:57]
	s_and_not1_b32 vcc_lo, exec_lo, s70
	s_lshl_b64 s[62:63], s[62:63], 4
	s_delay_alu instid0(SALU_CYCLE_1)
	s_add_nc_u64 s[62:63], s[38:39], s[62:63]
	s_cbranch_vccnz .LBB88_9
; %bb.4:                                ;   in Loop: Header=BB88_3 Depth=1
	v_lshl_add_u64 v[4:5], v[28:29], 4, s[62:63]
	v_mov_b64_e32 v[12:13], 0
	v_mov_b64_e32 v[6:7], 0
	;; [unrolled: 1-line block ×3, first 2 shown]
	s_delay_alu instid0(VALU_DEP_4)
	v_lshl_add_u64 v[4:5], v[26:27], 4, v[4:5]
	s_barrier_signal -1
	s_barrier_wait -1
	s_and_saveexec_b32 s19, s100
	s_cbranch_execz .LBB88_6
; %bb.5:                                ;   in Loop: Header=BB88_3 Depth=1
	global_load_b128 v[6:9], v[4:5], off
.LBB88_6:                               ;   in Loop: Header=BB88_3 Depth=1
	s_wait_xcnt 0x0
	s_or_b32 exec_lo, exec_lo, s19
	v_mov_b64_e32 v[10:11], 0
	s_wait_loadcnt 0x0
	s_barrier_signal -1
	s_barrier_wait -1
	s_and_saveexec_b32 s19, s8
	s_cbranch_execz .LBB88_8
; %bb.7:                                ;   in Loop: Header=BB88_3 Depth=1
	v_add_nc_u64_e32 v[4:5], s[50:51], v[4:5]
	global_load_b128 v[10:13], v[4:5], off
.LBB88_8:                               ;   in Loop: Header=BB88_3 Depth=1
	s_wait_xcnt 0x0
	s_or_b32 exec_lo, exec_lo, s19
.LBB88_9:                               ;   in Loop: Header=BB88_3 Depth=1
	s_delay_alu instid0(SALU_CYCLE_1)
	s_and_not1_b32 vcc_lo, exec_lo, s69
	s_mov_b32 s19, -1
	s_cbranch_vccnz .LBB88_17
; %bb.10:                               ;   in Loop: Header=BB88_3 Depth=1
	s_mov_b32 s65, 0
                                        ; implicit-def: $vgpr16_vgpr17
	s_and_saveexec_b32 s19, s6
	s_delay_alu instid0(SALU_CYCLE_1)
	s_xor_b32 s64, exec_lo, s19
	s_cbranch_execnz .LBB88_472
; %bb.11:                               ;   in Loop: Header=BB88_3 Depth=1
	s_and_not1_saveexec_b32 s19, s64
	s_cbranch_execnz .LBB88_481
.LBB88_12:                              ;   in Loop: Header=BB88_3 Depth=1
	s_or_b32 exec_lo, exec_lo, s19
	s_and_saveexec_b32 s19, s65
	s_cbranch_execnz .LBB88_482
.LBB88_13:                              ;   in Loop: Header=BB88_3 Depth=1
	s_or_b32 exec_lo, exec_lo, s19
	s_and_saveexec_b32 s19, s7
	s_delay_alu instid0(SALU_CYCLE_1)
	s_xor_b32 s64, exec_lo, s19
	s_cbranch_execnz .LBB88_483
.LBB88_14:                              ;   in Loop: Header=BB88_3 Depth=1
	s_and_not1_saveexec_b32 s19, s64
	s_cbranch_execz .LBB88_16
.LBB88_15:                              ;   in Loop: Header=BB88_3 Depth=1
	v_lshl_add_u64 v[4:5], v[34:35], 4, s[62:63]
	global_load_b128 v[14:17], v[4:5], off
	s_wait_loadcnt 0x0
	v_xor_b32_e32 v15, 0x80000000, v15
	v_xor_b32_e32 v17, 0x80000000, v17
	ds_store_b128 v65, v[14:17]
.LBB88_16:                              ;   in Loop: Header=BB88_3 Depth=1
	s_or_b32 exec_lo, exec_lo, s19
	s_mov_b32 s19, 0
.LBB88_17:                              ;   in Loop: Header=BB88_3 Depth=1
	s_delay_alu instid0(SALU_CYCLE_1)
	s_and_b32 vcc_lo, exec_lo, s19
	s_cbranch_vccz .LBB88_25
; %bb.18:                               ;   in Loop: Header=BB88_3 Depth=1
	s_mov_b32 s65, 0
                                        ; implicit-def: $vgpr16_vgpr17
	s_and_saveexec_b32 s19, s101
	s_delay_alu instid0(SALU_CYCLE_1)
	s_xor_b32 s64, exec_lo, s19
	s_cbranch_execnz .LBB88_494
; %bb.19:                               ;   in Loop: Header=BB88_3 Depth=1
	s_and_not1_saveexec_b32 s19, s64
	s_cbranch_execnz .LBB88_503
.LBB88_20:                              ;   in Loop: Header=BB88_3 Depth=1
	s_or_b32 exec_lo, exec_lo, s19
	s_and_saveexec_b32 s19, s65
	s_cbranch_execnz .LBB88_504
.LBB88_21:                              ;   in Loop: Header=BB88_3 Depth=1
	s_or_b32 exec_lo, exec_lo, s19
	s_and_saveexec_b32 s19, s102
	s_delay_alu instid0(SALU_CYCLE_1)
	s_xor_b32 s64, exec_lo, s19
	s_cbranch_execnz .LBB88_505
.LBB88_22:                              ;   in Loop: Header=BB88_3 Depth=1
	s_and_not1_saveexec_b32 s19, s64
	s_cbranch_execz .LBB88_24
.LBB88_23:                              ;   in Loop: Header=BB88_3 Depth=1
	v_lshl_add_u64 v[4:5], v[34:35], 4, s[62:63]
	global_load_b128 v[14:17], v[4:5], off
	s_wait_loadcnt 0x0
	v_xor_b32_e32 v15, 0x80000000, v15
	v_xor_b32_e32 v17, 0x80000000, v17
	ds_store_b128 v65, v[14:17]
.LBB88_24:                              ;   in Loop: Header=BB88_3 Depth=1
	s_or_b32 exec_lo, exec_lo, s19
.LBB88_25:                              ;   in Loop: Header=BB88_3 Depth=1
	s_delay_alu instid0(SALU_CYCLE_1)
	s_and_not1_b32 vcc_lo, exec_lo, s37
	s_wait_loadcnt_dscnt 0x0
	s_barrier_signal -1
	s_barrier_wait -1
	s_cbranch_vccnz .LBB88_419
; %bb.26:                               ;   in Loop: Header=BB88_3 Depth=1
	s_and_saveexec_b32 s64, s10
	s_cbranch_execz .LBB88_28
; %bb.27:                               ;   in Loop: Header=BB88_3 Depth=1
	ds_load_b128 v[14:17], v2 offset:16368
	ds_load_b128 v[18:21], v2 offset:15840
	;; [unrolled: 1-line block ×3, first 2 shown]
	s_wait_dscnt 0x1
	v_mul_f64_e32 v[4:5], v[14:15], v[20:21]
	v_mul_f64_e32 v[20:21], v[16:17], v[20:21]
	s_delay_alu instid0(VALU_DEP_2) | instskip(NEXT) | instid1(VALU_DEP_2)
	v_fmac_f64_e32 v[4:5], v[16:17], v[18:19]
	v_fma_f64 v[14:15], v[14:15], v[18:19], -v[20:21]
	s_wait_dscnt 0x0
	s_delay_alu instid0(VALU_DEP_2) | instskip(NEXT) | instid1(VALU_DEP_2)
	v_mul_f64_e32 v[18:19], v[4:5], v[38:39]
	v_mul_f64_e32 v[16:17], v[14:15], v[38:39]
	s_delay_alu instid0(VALU_DEP_2) | instskip(NEXT) | instid1(VALU_DEP_2)
	v_fma_f64 v[14:15], v[36:37], v[14:15], -v[18:19]
	v_fmac_f64_e32 v[16:17], v[36:37], v[4:5]
	ds_store_b128 v2, v[14:17] offset:16352
.LBB88_28:                              ;   in Loop: Header=BB88_3 Depth=1
	s_or_b32 exec_lo, exec_lo, s64
	v_mov_b64_e32 v[14:15], 0
	v_mov_b64_e32 v[16:17], 0
	s_wait_dscnt 0x0
	s_barrier_signal -1
	s_barrier_wait -1
	global_wb scope:SCOPE_DEV
	s_wait_storecnt 0x0
	global_inv scope:SCOPE_DEV
	s_and_saveexec_b32 s64, s0
	s_cbranch_execz .LBB88_32
; %bb.29:                               ;   in Loop: Header=BB88_3 Depth=1
	ds_load_b128 v[14:17], v42 offset:16352
	ds_load_b128 v[18:21], v41 offset:15808
	s_wait_dscnt 0x0
	v_mul_f64_e32 v[4:5], v[16:17], v[20:21]
	v_mul_f64_e32 v[20:21], v[14:15], v[20:21]
	s_delay_alu instid0(VALU_DEP_2) | instskip(NEXT) | instid1(VALU_DEP_2)
	v_fma_f64 v[4:5], v[14:15], v[18:19], -v[4:5]
	v_fmac_f64_e32 v[20:21], v[16:17], v[18:19]
	s_delay_alu instid0(VALU_DEP_2) | instskip(NEXT) | instid1(VALU_DEP_2)
	v_add_f64_e32 v[14:15], 0, v[4:5]
	v_add_f64_e32 v[16:17], 0, v[20:21]
	s_and_saveexec_b32 s19, s11
	s_cbranch_execz .LBB88_31
; %bb.30:                               ;   in Loop: Header=BB88_3 Depth=1
	ds_load_b128 v[18:21], v2 offset:16368
	ds_load_b128 v[36:39], v43 offset:16320
	s_wait_dscnt 0x0
	v_mul_f64_e32 v[4:5], v[20:21], v[38:39]
	v_mul_f64_e32 v[38:39], v[18:19], v[38:39]
	s_delay_alu instid0(VALU_DEP_2) | instskip(NEXT) | instid1(VALU_DEP_2)
	v_fma_f64 v[4:5], v[18:19], v[36:37], -v[4:5]
	v_fmac_f64_e32 v[38:39], v[20:21], v[36:37]
	s_delay_alu instid0(VALU_DEP_2) | instskip(NEXT) | instid1(VALU_DEP_2)
	v_add_f64_e32 v[14:15], v[14:15], v[4:5]
	v_add_f64_e32 v[16:17], v[16:17], v[38:39]
.LBB88_31:                              ;   in Loop: Header=BB88_3 Depth=1
	s_or_b32 exec_lo, exec_lo, s19
.LBB88_32:                              ;   in Loop: Header=BB88_3 Depth=1
	s_delay_alu instid0(SALU_CYCLE_1)
	s_or_b32 exec_lo, exec_lo, s64
	s_and_saveexec_b32 s19, s71
	s_cbranch_execz .LBB88_34
; %bb.33:                               ;   in Loop: Header=BB88_3 Depth=1
	ds_load_b128 v[18:21], v2 offset:15312
	s_wait_dscnt 0x0
	v_mul_f64_e32 v[4:5], v[16:17], v[20:21]
	s_delay_alu instid0(VALU_DEP_1) | instskip(SKIP_1) | instid1(VALU_DEP_1)
	v_fma_f64 v[4:5], v[14:15], v[18:19], -v[4:5]
	v_mul_f64_e32 v[36:37], v[14:15], v[20:21]
	v_fmac_f64_e32 v[36:37], v[16:17], v[18:19]
	s_delay_alu instid0(VALU_DEP_1) | instskip(NEXT) | instid1(VALU_DEP_4)
	v_mov_b32_e32 v20, v36
	v_mov_b64_e32 v[14:15], v[4:5]
	s_delay_alu instid0(VALU_DEP_3)
	v_mov_b64_e32 v[16:17], v[36:37]
	v_xor_b32_e32 v19, 0x80000000, v5
	v_xor_b32_e32 v21, 0x80000000, v37
	v_mov_b32_e32 v18, v4
	ds_store_b128 v23, v[18:21]
.LBB88_34:                              ;   in Loop: Header=BB88_3 Depth=1
	s_or_b32 exec_lo, exec_lo, s19
	s_wait_loadcnt_dscnt 0x0
	s_barrier_signal -1
	s_barrier_wait -1
	s_and_saveexec_b32 s19, s72
	s_cbranch_execz .LBB88_36
; %bb.35:                               ;   in Loop: Header=BB88_3 Depth=1
	ds_load_b128 v[18:21], v23
	ds_load_b128 v[36:39], v2 offset:15296
	s_wait_dscnt 0x0
	v_mul_f64_e32 v[4:5], v[20:21], v[38:39]
	v_mul_f64_e32 v[38:39], v[18:19], v[38:39]
	s_delay_alu instid0(VALU_DEP_2) | instskip(NEXT) | instid1(VALU_DEP_2)
	v_fma_f64 v[4:5], v[18:19], v[36:37], -v[4:5]
	v_fmac_f64_e32 v[38:39], v[20:21], v[36:37]
	s_delay_alu instid0(VALU_DEP_2) | instskip(NEXT) | instid1(VALU_DEP_2)
	v_add_f64_e64 v[14:15], v[14:15], -v[4:5]
	v_add_f64_e64 v[16:17], v[16:17], -v[38:39]
.LBB88_36:                              ;   in Loop: Header=BB88_3 Depth=1
	s_or_b32 exec_lo, exec_lo, s19
	s_barrier_signal -1
	s_barrier_wait -1
	s_and_saveexec_b32 s19, s72
	s_cbranch_execz .LBB88_38
; %bb.37:                               ;   in Loop: Header=BB88_3 Depth=1
	ds_load_b128 v[18:21], v2 offset:14784
	s_wait_dscnt 0x0
	v_mul_f64_e32 v[4:5], v[16:17], v[20:21]
	s_delay_alu instid0(VALU_DEP_1) | instskip(SKIP_1) | instid1(VALU_DEP_1)
	v_fma_f64 v[4:5], v[14:15], v[18:19], -v[4:5]
	v_mul_f64_e32 v[36:37], v[14:15], v[20:21]
	v_fmac_f64_e32 v[36:37], v[16:17], v[18:19]
	s_delay_alu instid0(VALU_DEP_1) | instskip(NEXT) | instid1(VALU_DEP_4)
	v_mov_b32_e32 v20, v36
	v_mov_b64_e32 v[14:15], v[4:5]
	s_delay_alu instid0(VALU_DEP_3)
	v_mov_b64_e32 v[16:17], v[36:37]
	v_xor_b32_e32 v19, 0x80000000, v5
	v_xor_b32_e32 v21, 0x80000000, v37
	v_mov_b32_e32 v18, v4
	ds_store_b128 v23, v[18:21]
.LBB88_38:                              ;   in Loop: Header=BB88_3 Depth=1
	s_or_b32 exec_lo, exec_lo, s19
	s_wait_dscnt 0x0
	s_barrier_signal -1
	s_barrier_wait -1
	s_barrier_signal -1
	s_barrier_wait -1
	s_and_saveexec_b32 s19, s0
; %bb.39:                               ;   in Loop: Header=BB88_3 Depth=1
	ds_store_b128 v44, v[14:17] offset:16320
; %bb.40:                               ;   in Loop: Header=BB88_3 Depth=1
	s_or_b32 exec_lo, exec_lo, s19
	s_wait_dscnt 0x0
	s_barrier_signal -1
	s_barrier_wait -1
	s_barrier_signal -1
	s_barrier_wait -1
	s_and_saveexec_b32 s64, s10
	s_cbranch_execz .LBB88_42
; %bb.41:                               ;   in Loop: Header=BB88_3 Depth=1
	ds_load_b128 v[14:17], v2 offset:15312
	ds_load_b128 v[18:21], v2 offset:14784
	ds_load_b128 v[36:39], v2 offset:15296
	s_wait_dscnt 0x1
	v_mul_f64_e32 v[4:5], v[14:15], v[20:21]
	v_mul_f64_e32 v[20:21], v[16:17], v[20:21]
	s_delay_alu instid0(VALU_DEP_2) | instskip(NEXT) | instid1(VALU_DEP_2)
	v_fmac_f64_e32 v[4:5], v[16:17], v[18:19]
	v_fma_f64 v[14:15], v[14:15], v[18:19], -v[20:21]
	s_wait_dscnt 0x0
	s_delay_alu instid0(VALU_DEP_2) | instskip(NEXT) | instid1(VALU_DEP_2)
	v_mul_f64_e32 v[18:19], v[4:5], v[38:39]
	v_mul_f64_e32 v[16:17], v[14:15], v[38:39]
	s_delay_alu instid0(VALU_DEP_2) | instskip(NEXT) | instid1(VALU_DEP_2)
	v_fma_f64 v[14:15], v[36:37], v[14:15], -v[18:19]
	v_fmac_f64_e32 v[16:17], v[36:37], v[4:5]
	ds_store_b128 v2, v[14:17] offset:15296
.LBB88_42:                              ;   in Loop: Header=BB88_3 Depth=1
	s_or_b32 exec_lo, exec_lo, s64
	v_mov_b64_e32 v[16:17], 0
	v_mov_b64_e32 v[14:15], 0
	s_wait_dscnt 0x0
	s_barrier_signal -1
	s_barrier_wait -1
	global_wb scope:SCOPE_DEV
	s_wait_storecnt 0x0
	global_inv scope:SCOPE_DEV
	s_and_saveexec_b32 s64, s1
	s_cbranch_execz .LBB88_48
; %bb.43:                               ;   in Loop: Header=BB88_3 Depth=1
	ds_load_b128 v[14:17], v47 offset:16320
	ds_load_b128 v[18:21], v46 offset:14720
	s_wait_dscnt 0x0
	v_mul_f64_e32 v[4:5], v[16:17], v[20:21]
	v_mul_f64_e32 v[20:21], v[14:15], v[20:21]
	s_delay_alu instid0(VALU_DEP_2) | instskip(NEXT) | instid1(VALU_DEP_2)
	v_fma_f64 v[4:5], v[14:15], v[18:19], -v[4:5]
	v_fmac_f64_e32 v[20:21], v[16:17], v[18:19]
	s_delay_alu instid0(VALU_DEP_2) | instskip(NEXT) | instid1(VALU_DEP_2)
	v_add_f64_e32 v[14:15], 0, v[4:5]
	v_add_f64_e32 v[16:17], 0, v[20:21]
	s_and_saveexec_b32 s19, s12
	s_cbranch_execnz .LBB88_520
; %bb.44:                               ;   in Loop: Header=BB88_3 Depth=1
	s_or_b32 exec_lo, exec_lo, s19
	s_and_saveexec_b32 s19, s13
	s_cbranch_execnz .LBB88_521
.LBB88_45:                              ;   in Loop: Header=BB88_3 Depth=1
	s_or_b32 exec_lo, exec_lo, s19
	s_and_saveexec_b32 s19, s0
	s_cbranch_execz .LBB88_47
.LBB88_46:                              ;   in Loop: Header=BB88_3 Depth=1
	ds_load_b128 v[18:21], v2 offset:16368
	ds_load_b128 v[36:39], v43 offset:16256
	s_wait_dscnt 0x0
	v_mul_f64_e32 v[4:5], v[20:21], v[38:39]
	v_mul_f64_e32 v[38:39], v[18:19], v[38:39]
	s_delay_alu instid0(VALU_DEP_2) | instskip(NEXT) | instid1(VALU_DEP_2)
	v_fma_f64 v[4:5], v[18:19], v[36:37], -v[4:5]
	v_fmac_f64_e32 v[38:39], v[20:21], v[36:37]
	s_delay_alu instid0(VALU_DEP_2) | instskip(NEXT) | instid1(VALU_DEP_2)
	v_add_f64_e32 v[14:15], v[14:15], v[4:5]
	v_add_f64_e32 v[16:17], v[16:17], v[38:39]
.LBB88_47:                              ;   in Loop: Header=BB88_3 Depth=1
	s_or_b32 exec_lo, exec_lo, s19
.LBB88_48:                              ;   in Loop: Header=BB88_3 Depth=1
	s_delay_alu instid0(SALU_CYCLE_1)
	s_or_b32 exec_lo, exec_lo, s64
	s_and_saveexec_b32 s19, s73
	s_cbranch_execz .LBB88_50
; %bb.49:                               ;   in Loop: Header=BB88_3 Depth=1
	ds_load_b128 v[18:21], v2 offset:14256
	s_wait_dscnt 0x0
	v_mul_f64_e32 v[4:5], v[16:17], v[20:21]
	s_delay_alu instid0(VALU_DEP_1) | instskip(SKIP_1) | instid1(VALU_DEP_1)
	v_fma_f64 v[4:5], v[14:15], v[18:19], -v[4:5]
	v_mul_f64_e32 v[36:37], v[14:15], v[20:21]
	v_fmac_f64_e32 v[36:37], v[16:17], v[18:19]
	s_delay_alu instid0(VALU_DEP_1) | instskip(NEXT) | instid1(VALU_DEP_4)
	v_mov_b32_e32 v20, v36
	v_mov_b64_e32 v[14:15], v[4:5]
	s_delay_alu instid0(VALU_DEP_3)
	v_mov_b64_e32 v[16:17], v[36:37]
	v_xor_b32_e32 v19, 0x80000000, v5
	v_xor_b32_e32 v21, 0x80000000, v37
	v_mov_b32_e32 v18, v4
	ds_store_b128 v45, v[18:21]
.LBB88_50:                              ;   in Loop: Header=BB88_3 Depth=1
	s_or_b32 exec_lo, exec_lo, s19
	s_wait_loadcnt_dscnt 0x0
	s_barrier_signal -1
	s_barrier_wait -1
	s_and_saveexec_b32 s19, s74
	s_cbranch_execz .LBB88_52
; %bb.51:                               ;   in Loop: Header=BB88_3 Depth=1
	ds_load_b128 v[18:21], v45
	ds_load_b128 v[36:39], v46 offset:14208
	s_wait_dscnt 0x0
	v_mul_f64_e32 v[4:5], v[20:21], v[38:39]
	v_mul_f64_e32 v[38:39], v[18:19], v[38:39]
	s_delay_alu instid0(VALU_DEP_2) | instskip(NEXT) | instid1(VALU_DEP_2)
	v_fma_f64 v[4:5], v[18:19], v[36:37], -v[4:5]
	v_fmac_f64_e32 v[38:39], v[20:21], v[36:37]
	s_delay_alu instid0(VALU_DEP_2) | instskip(NEXT) | instid1(VALU_DEP_2)
	v_add_f64_e64 v[14:15], v[14:15], -v[4:5]
	v_add_f64_e64 v[16:17], v[16:17], -v[38:39]
.LBB88_52:                              ;   in Loop: Header=BB88_3 Depth=1
	s_or_b32 exec_lo, exec_lo, s19
	s_barrier_signal -1
	s_barrier_wait -1
	s_and_saveexec_b32 s19, s75
	s_cbranch_execz .LBB88_54
; %bb.53:                               ;   in Loop: Header=BB88_3 Depth=1
	ds_load_b128 v[18:21], v2 offset:13728
	s_wait_dscnt 0x0
	v_mul_f64_e32 v[4:5], v[16:17], v[20:21]
	s_delay_alu instid0(VALU_DEP_1) | instskip(SKIP_1) | instid1(VALU_DEP_1)
	v_fma_f64 v[4:5], v[14:15], v[18:19], -v[4:5]
	v_mul_f64_e32 v[36:37], v[14:15], v[20:21]
	v_fmac_f64_e32 v[36:37], v[16:17], v[18:19]
	s_delay_alu instid0(VALU_DEP_1) | instskip(NEXT) | instid1(VALU_DEP_4)
	v_mov_b32_e32 v20, v36
	v_mov_b64_e32 v[14:15], v[4:5]
	s_delay_alu instid0(VALU_DEP_3)
	v_mov_b64_e32 v[16:17], v[36:37]
	v_xor_b32_e32 v19, 0x80000000, v5
	v_xor_b32_e32 v21, 0x80000000, v37
	v_mov_b32_e32 v18, v4
	ds_store_b128 v45, v[18:21]
.LBB88_54:                              ;   in Loop: Header=BB88_3 Depth=1
	s_or_b32 exec_lo, exec_lo, s19
	s_wait_dscnt 0x0
	s_barrier_signal -1
	s_barrier_wait -1
	s_and_saveexec_b32 s19, s76
	s_cbranch_execz .LBB88_56
; %bb.55:                               ;   in Loop: Header=BB88_3 Depth=1
	ds_load_b128 v[18:21], v45
	ds_load_b128 v[36:39], v46 offset:13696
	s_wait_dscnt 0x0
	v_mul_f64_e32 v[4:5], v[20:21], v[38:39]
	v_mul_f64_e32 v[38:39], v[18:19], v[38:39]
	s_delay_alu instid0(VALU_DEP_2) | instskip(NEXT) | instid1(VALU_DEP_2)
	v_fma_f64 v[4:5], v[18:19], v[36:37], -v[4:5]
	v_fmac_f64_e32 v[38:39], v[20:21], v[36:37]
	s_delay_alu instid0(VALU_DEP_2) | instskip(NEXT) | instid1(VALU_DEP_2)
	v_add_f64_e64 v[14:15], v[14:15], -v[4:5]
	v_add_f64_e64 v[16:17], v[16:17], -v[38:39]
.LBB88_56:                              ;   in Loop: Header=BB88_3 Depth=1
	s_or_b32 exec_lo, exec_lo, s19
	s_barrier_signal -1
	s_barrier_wait -1
	s_and_saveexec_b32 s19, s77
	s_cbranch_execz .LBB88_58
; %bb.57:                               ;   in Loop: Header=BB88_3 Depth=1
	ds_load_b128 v[18:21], v2 offset:13200
	s_wait_dscnt 0x0
	v_mul_f64_e32 v[4:5], v[16:17], v[20:21]
	s_delay_alu instid0(VALU_DEP_1) | instskip(SKIP_1) | instid1(VALU_DEP_1)
	v_fma_f64 v[4:5], v[14:15], v[18:19], -v[4:5]
	v_mul_f64_e32 v[36:37], v[14:15], v[20:21]
	v_fmac_f64_e32 v[36:37], v[16:17], v[18:19]
	s_delay_alu instid0(VALU_DEP_1) | instskip(NEXT) | instid1(VALU_DEP_4)
	v_mov_b32_e32 v20, v36
	v_mov_b64_e32 v[14:15], v[4:5]
	s_delay_alu instid0(VALU_DEP_3)
	v_mov_b64_e32 v[16:17], v[36:37]
	v_xor_b32_e32 v19, 0x80000000, v5
	v_xor_b32_e32 v21, 0x80000000, v37
	v_mov_b32_e32 v18, v4
	ds_store_b128 v45, v[18:21]
.LBB88_58:                              ;   in Loop: Header=BB88_3 Depth=1
	s_or_b32 exec_lo, exec_lo, s19
	s_wait_dscnt 0x0
	;; [unrolled: 42-line block ×3, first 2 shown]
	s_barrier_signal -1
	s_barrier_wait -1
	s_barrier_signal -1
	s_barrier_wait -1
	s_and_saveexec_b32 s19, s1
; %bb.63:                               ;   in Loop: Header=BB88_3 Depth=1
	ds_store_b128 v48, v[14:17] offset:16256
; %bb.64:                               ;   in Loop: Header=BB88_3 Depth=1
	s_or_b32 exec_lo, exec_lo, s19
	s_wait_dscnt 0x0
	s_barrier_signal -1
	s_barrier_wait -1
	s_barrier_signal -1
	s_barrier_wait -1
	s_and_saveexec_b32 s64, s10
	s_cbranch_execz .LBB88_66
; %bb.65:                               ;   in Loop: Header=BB88_3 Depth=1
	ds_load_b128 v[14:17], v2 offset:14256
	ds_load_b128 v[18:21], v2 offset:13728
	;; [unrolled: 1-line block ×3, first 2 shown]
	s_wait_dscnt 0x1
	v_mul_f64_e32 v[4:5], v[14:15], v[20:21]
	v_mul_f64_e32 v[20:21], v[16:17], v[20:21]
	s_delay_alu instid0(VALU_DEP_2) | instskip(NEXT) | instid1(VALU_DEP_2)
	v_fmac_f64_e32 v[4:5], v[16:17], v[18:19]
	v_fma_f64 v[14:15], v[14:15], v[18:19], -v[20:21]
	s_wait_dscnt 0x0
	s_delay_alu instid0(VALU_DEP_2) | instskip(NEXT) | instid1(VALU_DEP_2)
	v_mul_f64_e32 v[18:19], v[4:5], v[38:39]
	v_mul_f64_e32 v[16:17], v[14:15], v[38:39]
	s_delay_alu instid0(VALU_DEP_2) | instskip(NEXT) | instid1(VALU_DEP_2)
	v_fma_f64 v[14:15], v[36:37], v[14:15], -v[18:19]
	v_fmac_f64_e32 v[16:17], v[36:37], v[4:5]
	ds_store_b128 v2, v[14:17] offset:14240
.LBB88_66:                              ;   in Loop: Header=BB88_3 Depth=1
	s_or_b32 exec_lo, exec_lo, s64
	v_mov_b64_e32 v[14:15], 0
	v_mov_b64_e32 v[16:17], 0
	s_wait_dscnt 0x0
	s_barrier_signal -1
	s_barrier_wait -1
	global_wb scope:SCOPE_DEV
	s_wait_storecnt 0x0
	global_inv scope:SCOPE_DEV
	s_and_saveexec_b32 s64, s0
	s_cbranch_execz .LBB88_70
; %bb.67:                               ;   in Loop: Header=BB88_3 Depth=1
	ds_load_b128 v[14:17], v42 offset:14240
	ds_load_b128 v[18:21], v41 offset:13696
	s_wait_dscnt 0x0
	v_mul_f64_e32 v[4:5], v[16:17], v[20:21]
	v_mul_f64_e32 v[20:21], v[14:15], v[20:21]
	s_delay_alu instid0(VALU_DEP_2) | instskip(NEXT) | instid1(VALU_DEP_2)
	v_fma_f64 v[4:5], v[14:15], v[18:19], -v[4:5]
	v_fmac_f64_e32 v[20:21], v[16:17], v[18:19]
	s_delay_alu instid0(VALU_DEP_2) | instskip(NEXT) | instid1(VALU_DEP_2)
	v_add_f64_e32 v[14:15], 0, v[4:5]
	v_add_f64_e32 v[16:17], 0, v[20:21]
	s_and_saveexec_b32 s19, s11
	s_cbranch_execz .LBB88_69
; %bb.68:                               ;   in Loop: Header=BB88_3 Depth=1
	ds_load_b128 v[18:21], v2 offset:14256
	ds_load_b128 v[36:39], v43 offset:14208
	s_wait_dscnt 0x0
	v_mul_f64_e32 v[4:5], v[20:21], v[38:39]
	v_mul_f64_e32 v[38:39], v[18:19], v[38:39]
	s_delay_alu instid0(VALU_DEP_2) | instskip(NEXT) | instid1(VALU_DEP_2)
	v_fma_f64 v[4:5], v[18:19], v[36:37], -v[4:5]
	v_fmac_f64_e32 v[38:39], v[20:21], v[36:37]
	s_delay_alu instid0(VALU_DEP_2) | instskip(NEXT) | instid1(VALU_DEP_2)
	v_add_f64_e32 v[14:15], v[14:15], v[4:5]
	v_add_f64_e32 v[16:17], v[16:17], v[38:39]
.LBB88_69:                              ;   in Loop: Header=BB88_3 Depth=1
	s_or_b32 exec_lo, exec_lo, s19
.LBB88_70:                              ;   in Loop: Header=BB88_3 Depth=1
	s_delay_alu instid0(SALU_CYCLE_1)
	s_or_b32 exec_lo, exec_lo, s64
	s_and_saveexec_b32 s19, s71
	s_cbranch_execz .LBB88_72
; %bb.71:                               ;   in Loop: Header=BB88_3 Depth=1
	ds_load_b128 v[18:21], v2 offset:13200
	s_wait_dscnt 0x0
	v_mul_f64_e32 v[4:5], v[16:17], v[20:21]
	s_delay_alu instid0(VALU_DEP_1) | instskip(SKIP_1) | instid1(VALU_DEP_1)
	v_fma_f64 v[4:5], v[14:15], v[18:19], -v[4:5]
	v_mul_f64_e32 v[36:37], v[14:15], v[20:21]
	v_fmac_f64_e32 v[36:37], v[16:17], v[18:19]
	s_delay_alu instid0(VALU_DEP_1) | instskip(NEXT) | instid1(VALU_DEP_4)
	v_mov_b32_e32 v20, v36
	v_mov_b64_e32 v[14:15], v[4:5]
	s_delay_alu instid0(VALU_DEP_3)
	v_mov_b64_e32 v[16:17], v[36:37]
	v_xor_b32_e32 v19, 0x80000000, v5
	v_xor_b32_e32 v21, 0x80000000, v37
	v_mov_b32_e32 v18, v4
	ds_store_b128 v23, v[18:21]
.LBB88_72:                              ;   in Loop: Header=BB88_3 Depth=1
	s_or_b32 exec_lo, exec_lo, s19
	s_wait_loadcnt_dscnt 0x0
	s_barrier_signal -1
	s_barrier_wait -1
	s_and_saveexec_b32 s19, s72
	s_cbranch_execz .LBB88_74
; %bb.73:                               ;   in Loop: Header=BB88_3 Depth=1
	ds_load_b128 v[18:21], v23
	ds_load_b128 v[36:39], v2 offset:13184
	s_wait_dscnt 0x0
	v_mul_f64_e32 v[4:5], v[20:21], v[38:39]
	v_mul_f64_e32 v[38:39], v[18:19], v[38:39]
	s_delay_alu instid0(VALU_DEP_2) | instskip(NEXT) | instid1(VALU_DEP_2)
	v_fma_f64 v[4:5], v[18:19], v[36:37], -v[4:5]
	v_fmac_f64_e32 v[38:39], v[20:21], v[36:37]
	s_delay_alu instid0(VALU_DEP_2) | instskip(NEXT) | instid1(VALU_DEP_2)
	v_add_f64_e64 v[14:15], v[14:15], -v[4:5]
	v_add_f64_e64 v[16:17], v[16:17], -v[38:39]
.LBB88_74:                              ;   in Loop: Header=BB88_3 Depth=1
	s_or_b32 exec_lo, exec_lo, s19
	s_barrier_signal -1
	s_barrier_wait -1
	s_and_saveexec_b32 s19, s72
	s_cbranch_execz .LBB88_76
; %bb.75:                               ;   in Loop: Header=BB88_3 Depth=1
	ds_load_b128 v[18:21], v2 offset:12672
	s_wait_dscnt 0x0
	v_mul_f64_e32 v[4:5], v[16:17], v[20:21]
	s_delay_alu instid0(VALU_DEP_1) | instskip(SKIP_1) | instid1(VALU_DEP_1)
	v_fma_f64 v[4:5], v[14:15], v[18:19], -v[4:5]
	v_mul_f64_e32 v[36:37], v[14:15], v[20:21]
	v_fmac_f64_e32 v[36:37], v[16:17], v[18:19]
	s_delay_alu instid0(VALU_DEP_1) | instskip(NEXT) | instid1(VALU_DEP_4)
	v_mov_b32_e32 v20, v36
	v_mov_b64_e32 v[14:15], v[4:5]
	s_delay_alu instid0(VALU_DEP_3)
	v_mov_b64_e32 v[16:17], v[36:37]
	v_xor_b32_e32 v19, 0x80000000, v5
	v_xor_b32_e32 v21, 0x80000000, v37
	v_mov_b32_e32 v18, v4
	ds_store_b128 v23, v[18:21]
.LBB88_76:                              ;   in Loop: Header=BB88_3 Depth=1
	s_or_b32 exec_lo, exec_lo, s19
	s_wait_dscnt 0x0
	s_barrier_signal -1
	s_barrier_wait -1
	s_barrier_signal -1
	s_barrier_wait -1
	s_and_saveexec_b32 s19, s0
; %bb.77:                               ;   in Loop: Header=BB88_3 Depth=1
	ds_store_b128 v44, v[14:17] offset:14208
; %bb.78:                               ;   in Loop: Header=BB88_3 Depth=1
	s_or_b32 exec_lo, exec_lo, s19
	s_wait_dscnt 0x0
	s_barrier_signal -1
	s_barrier_wait -1
	s_barrier_signal -1
	s_barrier_wait -1
	s_and_saveexec_b32 s64, s10
	s_cbranch_execz .LBB88_80
; %bb.79:                               ;   in Loop: Header=BB88_3 Depth=1
	ds_load_b128 v[14:17], v2 offset:13200
	ds_load_b128 v[18:21], v2 offset:12672
	;; [unrolled: 1-line block ×3, first 2 shown]
	s_wait_dscnt 0x1
	v_mul_f64_e32 v[4:5], v[14:15], v[20:21]
	v_mul_f64_e32 v[20:21], v[16:17], v[20:21]
	s_delay_alu instid0(VALU_DEP_2) | instskip(NEXT) | instid1(VALU_DEP_2)
	v_fmac_f64_e32 v[4:5], v[16:17], v[18:19]
	v_fma_f64 v[14:15], v[14:15], v[18:19], -v[20:21]
	s_wait_dscnt 0x0
	s_delay_alu instid0(VALU_DEP_2) | instskip(NEXT) | instid1(VALU_DEP_2)
	v_mul_f64_e32 v[18:19], v[4:5], v[38:39]
	v_mul_f64_e32 v[16:17], v[14:15], v[38:39]
	s_delay_alu instid0(VALU_DEP_2) | instskip(NEXT) | instid1(VALU_DEP_2)
	v_fma_f64 v[14:15], v[36:37], v[14:15], -v[18:19]
	v_fmac_f64_e32 v[16:17], v[36:37], v[4:5]
	ds_store_b128 v2, v[14:17] offset:13184
.LBB88_80:                              ;   in Loop: Header=BB88_3 Depth=1
	s_or_b32 exec_lo, exec_lo, s64
	v_mov_b64_e32 v[16:17], 0
	v_mov_b64_e32 v[14:15], 0
	s_wait_dscnt 0x0
	s_barrier_signal -1
	s_barrier_wait -1
	global_wb scope:SCOPE_DEV
	s_wait_storecnt 0x0
	global_inv scope:SCOPE_DEV
	s_and_saveexec_b32 s64, s2
	s_cbranch_execz .LBB88_90
; %bb.81:                               ;   in Loop: Header=BB88_3 Depth=1
	ds_load_b128 v[14:17], v51 offset:16256
	ds_load_b128 v[18:21], v50 offset:12544
	s_wait_dscnt 0x0
	v_mul_f64_e32 v[4:5], v[16:17], v[20:21]
	v_mul_f64_e32 v[20:21], v[14:15], v[20:21]
	s_delay_alu instid0(VALU_DEP_2) | instskip(NEXT) | instid1(VALU_DEP_2)
	v_fma_f64 v[4:5], v[14:15], v[18:19], -v[4:5]
	v_fmac_f64_e32 v[20:21], v[16:17], v[18:19]
	s_delay_alu instid0(VALU_DEP_2) | instskip(NEXT) | instid1(VALU_DEP_2)
	v_add_f64_e32 v[14:15], 0, v[4:5]
	v_add_f64_e32 v[16:17], 0, v[20:21]
	s_and_saveexec_b32 s19, s14
	s_cbranch_execnz .LBB88_522
; %bb.82:                               ;   in Loop: Header=BB88_3 Depth=1
	s_or_b32 exec_lo, exec_lo, s19
	s_and_saveexec_b32 s19, s15
	s_cbranch_execnz .LBB88_523
.LBB88_83:                              ;   in Loop: Header=BB88_3 Depth=1
	s_or_b32 exec_lo, exec_lo, s19
	s_and_saveexec_b32 s19, s16
	s_cbranch_execnz .LBB88_524
.LBB88_84:                              ;   in Loop: Header=BB88_3 Depth=1
	s_or_b32 exec_lo, exec_lo, s19
	s_and_saveexec_b32 s19, s17
	s_cbranch_execnz .LBB88_525
.LBB88_85:                              ;   in Loop: Header=BB88_3 Depth=1
	s_or_b32 exec_lo, exec_lo, s19
	s_and_saveexec_b32 s19, s18
	s_cbranch_execnz .LBB88_526
.LBB88_86:                              ;   in Loop: Header=BB88_3 Depth=1
	s_or_b32 exec_lo, exec_lo, s19
	s_and_saveexec_b32 s19, s1
	s_cbranch_execnz .LBB88_527
.LBB88_87:                              ;   in Loop: Header=BB88_3 Depth=1
	s_or_b32 exec_lo, exec_lo, s19
	s_and_saveexec_b32 s19, s13
	s_cbranch_execz .LBB88_89
.LBB88_88:                              ;   in Loop: Header=BB88_3 Depth=1
	ds_load_b128 v[18:21], v2 offset:16368
	ds_load_b128 v[36:39], v43 offset:16128
	s_wait_dscnt 0x0
	v_mul_f64_e32 v[4:5], v[20:21], v[38:39]
	v_mul_f64_e32 v[38:39], v[18:19], v[38:39]
	s_delay_alu instid0(VALU_DEP_2) | instskip(NEXT) | instid1(VALU_DEP_2)
	v_fma_f64 v[4:5], v[18:19], v[36:37], -v[4:5]
	v_fmac_f64_e32 v[38:39], v[20:21], v[36:37]
	s_delay_alu instid0(VALU_DEP_2) | instskip(NEXT) | instid1(VALU_DEP_2)
	v_add_f64_e32 v[14:15], v[14:15], v[4:5]
	v_add_f64_e32 v[16:17], v[16:17], v[38:39]
.LBB88_89:                              ;   in Loop: Header=BB88_3 Depth=1
	s_or_b32 exec_lo, exec_lo, s19
.LBB88_90:                              ;   in Loop: Header=BB88_3 Depth=1
	s_delay_alu instid0(SALU_CYCLE_1)
	s_or_b32 exec_lo, exec_lo, s64
	s_and_saveexec_b32 s19, s79
	s_cbranch_execz .LBB88_92
; %bb.91:                               ;   in Loop: Header=BB88_3 Depth=1
	ds_load_b128 v[18:21], v2 offset:12144
	s_wait_dscnt 0x0
	v_mul_f64_e32 v[4:5], v[16:17], v[20:21]
	s_delay_alu instid0(VALU_DEP_1) | instskip(SKIP_1) | instid1(VALU_DEP_1)
	v_fma_f64 v[4:5], v[14:15], v[18:19], -v[4:5]
	v_mul_f64_e32 v[36:37], v[14:15], v[20:21]
	v_fmac_f64_e32 v[36:37], v[16:17], v[18:19]
	s_delay_alu instid0(VALU_DEP_1) | instskip(NEXT) | instid1(VALU_DEP_4)
	v_mov_b32_e32 v20, v36
	v_mov_b64_e32 v[14:15], v[4:5]
	s_delay_alu instid0(VALU_DEP_3)
	v_mov_b64_e32 v[16:17], v[36:37]
	v_xor_b32_e32 v19, 0x80000000, v5
	v_xor_b32_e32 v21, 0x80000000, v37
	v_mov_b32_e32 v18, v4
	ds_store_b128 v49, v[18:21]
.LBB88_92:                              ;   in Loop: Header=BB88_3 Depth=1
	s_or_b32 exec_lo, exec_lo, s19
	s_wait_loadcnt_dscnt 0x0
	s_barrier_signal -1
	s_barrier_wait -1
	s_and_saveexec_b32 s19, s80
	s_cbranch_execz .LBB88_94
; %bb.93:                               ;   in Loop: Header=BB88_3 Depth=1
	ds_load_b128 v[18:21], v49
	ds_load_b128 v[36:39], v50 offset:12032
	s_wait_dscnt 0x0
	v_mul_f64_e32 v[4:5], v[20:21], v[38:39]
	v_mul_f64_e32 v[38:39], v[18:19], v[38:39]
	s_delay_alu instid0(VALU_DEP_2) | instskip(NEXT) | instid1(VALU_DEP_2)
	v_fma_f64 v[4:5], v[18:19], v[36:37], -v[4:5]
	v_fmac_f64_e32 v[38:39], v[20:21], v[36:37]
	s_delay_alu instid0(VALU_DEP_2) | instskip(NEXT) | instid1(VALU_DEP_2)
	v_add_f64_e64 v[14:15], v[14:15], -v[4:5]
	v_add_f64_e64 v[16:17], v[16:17], -v[38:39]
.LBB88_94:                              ;   in Loop: Header=BB88_3 Depth=1
	s_or_b32 exec_lo, exec_lo, s19
	s_barrier_signal -1
	s_barrier_wait -1
	s_and_saveexec_b32 s19, s81
	s_cbranch_execz .LBB88_96
; %bb.95:                               ;   in Loop: Header=BB88_3 Depth=1
	ds_load_b128 v[18:21], v2 offset:11616
	s_wait_dscnt 0x0
	v_mul_f64_e32 v[4:5], v[16:17], v[20:21]
	s_delay_alu instid0(VALU_DEP_1) | instskip(SKIP_1) | instid1(VALU_DEP_1)
	v_fma_f64 v[4:5], v[14:15], v[18:19], -v[4:5]
	v_mul_f64_e32 v[36:37], v[14:15], v[20:21]
	v_fmac_f64_e32 v[36:37], v[16:17], v[18:19]
	s_delay_alu instid0(VALU_DEP_1) | instskip(NEXT) | instid1(VALU_DEP_4)
	v_mov_b32_e32 v20, v36
	v_mov_b64_e32 v[14:15], v[4:5]
	s_delay_alu instid0(VALU_DEP_3)
	v_mov_b64_e32 v[16:17], v[36:37]
	v_xor_b32_e32 v19, 0x80000000, v5
	v_xor_b32_e32 v21, 0x80000000, v37
	v_mov_b32_e32 v18, v4
	ds_store_b128 v49, v[18:21]
.LBB88_96:                              ;   in Loop: Header=BB88_3 Depth=1
	s_or_b32 exec_lo, exec_lo, s19
	s_wait_dscnt 0x0
	s_barrier_signal -1
	s_barrier_wait -1
	s_and_saveexec_b32 s19, s82
	s_cbranch_execz .LBB88_98
; %bb.97:                               ;   in Loop: Header=BB88_3 Depth=1
	ds_load_b128 v[18:21], v49
	ds_load_b128 v[36:39], v50 offset:11520
	s_wait_dscnt 0x0
	v_mul_f64_e32 v[4:5], v[20:21], v[38:39]
	v_mul_f64_e32 v[38:39], v[18:19], v[38:39]
	s_delay_alu instid0(VALU_DEP_2) | instskip(NEXT) | instid1(VALU_DEP_2)
	v_fma_f64 v[4:5], v[18:19], v[36:37], -v[4:5]
	v_fmac_f64_e32 v[38:39], v[20:21], v[36:37]
	s_delay_alu instid0(VALU_DEP_2) | instskip(NEXT) | instid1(VALU_DEP_2)
	v_add_f64_e64 v[14:15], v[14:15], -v[4:5]
	v_add_f64_e64 v[16:17], v[16:17], -v[38:39]
.LBB88_98:                              ;   in Loop: Header=BB88_3 Depth=1
	s_or_b32 exec_lo, exec_lo, s19
	s_barrier_signal -1
	s_barrier_wait -1
	s_and_saveexec_b32 s19, s83
	s_cbranch_execz .LBB88_100
; %bb.99:                               ;   in Loop: Header=BB88_3 Depth=1
	ds_load_b128 v[18:21], v2 offset:11088
	s_wait_dscnt 0x0
	v_mul_f64_e32 v[4:5], v[16:17], v[20:21]
	s_delay_alu instid0(VALU_DEP_1) | instskip(SKIP_1) | instid1(VALU_DEP_1)
	v_fma_f64 v[4:5], v[14:15], v[18:19], -v[4:5]
	v_mul_f64_e32 v[36:37], v[14:15], v[20:21]
	v_fmac_f64_e32 v[36:37], v[16:17], v[18:19]
	s_delay_alu instid0(VALU_DEP_1) | instskip(NEXT) | instid1(VALU_DEP_4)
	v_mov_b32_e32 v20, v36
	v_mov_b64_e32 v[14:15], v[4:5]
	s_delay_alu instid0(VALU_DEP_3)
	v_mov_b64_e32 v[16:17], v[36:37]
	v_xor_b32_e32 v19, 0x80000000, v5
	v_xor_b32_e32 v21, 0x80000000, v37
	v_mov_b32_e32 v18, v4
	ds_store_b128 v49, v[18:21]
.LBB88_100:                             ;   in Loop: Header=BB88_3 Depth=1
	s_or_b32 exec_lo, exec_lo, s19
	s_wait_dscnt 0x0
	s_barrier_signal -1
	s_barrier_wait -1
	s_and_saveexec_b32 s19, s84
	s_cbranch_execz .LBB88_102
; %bb.101:                              ;   in Loop: Header=BB88_3 Depth=1
	ds_load_b128 v[18:21], v49
	ds_load_b128 v[36:39], v50 offset:11008
	s_wait_dscnt 0x0
	v_mul_f64_e32 v[4:5], v[20:21], v[38:39]
	v_mul_f64_e32 v[38:39], v[18:19], v[38:39]
	s_delay_alu instid0(VALU_DEP_2) | instskip(NEXT) | instid1(VALU_DEP_2)
	v_fma_f64 v[4:5], v[18:19], v[36:37], -v[4:5]
	v_fmac_f64_e32 v[38:39], v[20:21], v[36:37]
	s_delay_alu instid0(VALU_DEP_2) | instskip(NEXT) | instid1(VALU_DEP_2)
	v_add_f64_e64 v[14:15], v[14:15], -v[4:5]
	v_add_f64_e64 v[16:17], v[16:17], -v[38:39]
.LBB88_102:                             ;   in Loop: Header=BB88_3 Depth=1
	s_or_b32 exec_lo, exec_lo, s19
	s_barrier_signal -1
	s_barrier_wait -1
	s_and_saveexec_b32 s19, s85
	s_cbranch_execz .LBB88_104
; %bb.103:                              ;   in Loop: Header=BB88_3 Depth=1
	ds_load_b128 v[18:21], v2 offset:10560
	s_wait_dscnt 0x0
	v_mul_f64_e32 v[4:5], v[16:17], v[20:21]
	s_delay_alu instid0(VALU_DEP_1) | instskip(SKIP_1) | instid1(VALU_DEP_1)
	v_fma_f64 v[4:5], v[14:15], v[18:19], -v[4:5]
	v_mul_f64_e32 v[36:37], v[14:15], v[20:21]
	v_fmac_f64_e32 v[36:37], v[16:17], v[18:19]
	s_delay_alu instid0(VALU_DEP_1) | instskip(NEXT) | instid1(VALU_DEP_4)
	v_mov_b32_e32 v20, v36
	v_mov_b64_e32 v[14:15], v[4:5]
	s_delay_alu instid0(VALU_DEP_3)
	v_mov_b64_e32 v[16:17], v[36:37]
	v_xor_b32_e32 v19, 0x80000000, v5
	v_xor_b32_e32 v21, 0x80000000, v37
	v_mov_b32_e32 v18, v4
	ds_store_b128 v49, v[18:21]
.LBB88_104:                             ;   in Loop: Header=BB88_3 Depth=1
	s_or_b32 exec_lo, exec_lo, s19
	s_wait_dscnt 0x0
	s_barrier_signal -1
	s_barrier_wait -1
	s_and_saveexec_b32 s19, s86
	s_cbranch_execz .LBB88_106
; %bb.105:                              ;   in Loop: Header=BB88_3 Depth=1
	ds_load_b128 v[18:21], v49
	ds_load_b128 v[36:39], v50 offset:10496
	s_wait_dscnt 0x0
	v_mul_f64_e32 v[4:5], v[20:21], v[38:39]
	v_mul_f64_e32 v[38:39], v[18:19], v[38:39]
	s_delay_alu instid0(VALU_DEP_2) | instskip(NEXT) | instid1(VALU_DEP_2)
	v_fma_f64 v[4:5], v[18:19], v[36:37], -v[4:5]
	v_fmac_f64_e32 v[38:39], v[20:21], v[36:37]
	s_delay_alu instid0(VALU_DEP_2) | instskip(NEXT) | instid1(VALU_DEP_2)
	v_add_f64_e64 v[14:15], v[14:15], -v[4:5]
	v_add_f64_e64 v[16:17], v[16:17], -v[38:39]
.LBB88_106:                             ;   in Loop: Header=BB88_3 Depth=1
	s_or_b32 exec_lo, exec_lo, s19
	s_barrier_signal -1
	s_barrier_wait -1
	s_and_saveexec_b32 s19, s87
	s_cbranch_execz .LBB88_108
; %bb.107:                              ;   in Loop: Header=BB88_3 Depth=1
	ds_load_b128 v[18:21], v2 offset:10032
	s_wait_dscnt 0x0
	v_mul_f64_e32 v[4:5], v[16:17], v[20:21]
	s_delay_alu instid0(VALU_DEP_1) | instskip(SKIP_1) | instid1(VALU_DEP_1)
	v_fma_f64 v[4:5], v[14:15], v[18:19], -v[4:5]
	v_mul_f64_e32 v[36:37], v[14:15], v[20:21]
	v_fmac_f64_e32 v[36:37], v[16:17], v[18:19]
	s_delay_alu instid0(VALU_DEP_1) | instskip(NEXT) | instid1(VALU_DEP_4)
	v_mov_b32_e32 v20, v36
	v_mov_b64_e32 v[14:15], v[4:5]
	s_delay_alu instid0(VALU_DEP_3)
	v_mov_b64_e32 v[16:17], v[36:37]
	v_xor_b32_e32 v19, 0x80000000, v5
	v_xor_b32_e32 v21, 0x80000000, v37
	v_mov_b32_e32 v18, v4
	ds_store_b128 v49, v[18:21]
.LBB88_108:                             ;   in Loop: Header=BB88_3 Depth=1
	;; [unrolled: 42-line block ×5, first 2 shown]
	s_or_b32 exec_lo, exec_lo, s19
	s_wait_dscnt 0x0
	s_barrier_signal -1
	s_barrier_wait -1
	s_barrier_signal -1
	s_barrier_wait -1
	s_and_saveexec_b32 s19, s2
; %bb.121:                              ;   in Loop: Header=BB88_3 Depth=1
	ds_store_b128 v52, v[14:17] offset:16128
; %bb.122:                              ;   in Loop: Header=BB88_3 Depth=1
	s_or_b32 exec_lo, exec_lo, s19
	s_wait_dscnt 0x0
	s_barrier_signal -1
	s_barrier_wait -1
	s_barrier_signal -1
	s_barrier_wait -1
	s_and_saveexec_b32 s64, s10
	s_cbranch_execz .LBB88_124
; %bb.123:                              ;   in Loop: Header=BB88_3 Depth=1
	ds_load_b128 v[14:17], v2 offset:12144
	ds_load_b128 v[18:21], v2 offset:11616
	;; [unrolled: 1-line block ×3, first 2 shown]
	s_wait_dscnt 0x1
	v_mul_f64_e32 v[4:5], v[14:15], v[20:21]
	v_mul_f64_e32 v[20:21], v[16:17], v[20:21]
	s_delay_alu instid0(VALU_DEP_2) | instskip(NEXT) | instid1(VALU_DEP_2)
	v_fmac_f64_e32 v[4:5], v[16:17], v[18:19]
	v_fma_f64 v[14:15], v[14:15], v[18:19], -v[20:21]
	s_wait_dscnt 0x0
	s_delay_alu instid0(VALU_DEP_2) | instskip(NEXT) | instid1(VALU_DEP_2)
	v_mul_f64_e32 v[18:19], v[4:5], v[38:39]
	v_mul_f64_e32 v[16:17], v[14:15], v[38:39]
	s_delay_alu instid0(VALU_DEP_2) | instskip(NEXT) | instid1(VALU_DEP_2)
	v_fma_f64 v[14:15], v[36:37], v[14:15], -v[18:19]
	v_fmac_f64_e32 v[16:17], v[36:37], v[4:5]
	ds_store_b128 v2, v[14:17] offset:12128
.LBB88_124:                             ;   in Loop: Header=BB88_3 Depth=1
	s_or_b32 exec_lo, exec_lo, s64
	v_mov_b64_e32 v[14:15], 0
	v_mov_b64_e32 v[16:17], 0
	s_wait_dscnt 0x0
	s_barrier_signal -1
	s_barrier_wait -1
	global_wb scope:SCOPE_DEV
	s_wait_storecnt 0x0
	global_inv scope:SCOPE_DEV
	s_and_saveexec_b32 s64, s0
	s_cbranch_execz .LBB88_128
; %bb.125:                              ;   in Loop: Header=BB88_3 Depth=1
	ds_load_b128 v[14:17], v42 offset:12128
	ds_load_b128 v[18:21], v41 offset:11584
	s_wait_dscnt 0x0
	v_mul_f64_e32 v[4:5], v[16:17], v[20:21]
	v_mul_f64_e32 v[20:21], v[14:15], v[20:21]
	s_delay_alu instid0(VALU_DEP_2) | instskip(NEXT) | instid1(VALU_DEP_2)
	v_fma_f64 v[4:5], v[14:15], v[18:19], -v[4:5]
	v_fmac_f64_e32 v[20:21], v[16:17], v[18:19]
	s_delay_alu instid0(VALU_DEP_2) | instskip(NEXT) | instid1(VALU_DEP_2)
	v_add_f64_e32 v[14:15], 0, v[4:5]
	v_add_f64_e32 v[16:17], 0, v[20:21]
	s_and_saveexec_b32 s19, s11
	s_cbranch_execz .LBB88_127
; %bb.126:                              ;   in Loop: Header=BB88_3 Depth=1
	ds_load_b128 v[18:21], v2 offset:12144
	ds_load_b128 v[36:39], v43 offset:12096
	s_wait_dscnt 0x0
	v_mul_f64_e32 v[4:5], v[20:21], v[38:39]
	v_mul_f64_e32 v[38:39], v[18:19], v[38:39]
	s_delay_alu instid0(VALU_DEP_2) | instskip(NEXT) | instid1(VALU_DEP_2)
	v_fma_f64 v[4:5], v[18:19], v[36:37], -v[4:5]
	v_fmac_f64_e32 v[38:39], v[20:21], v[36:37]
	s_delay_alu instid0(VALU_DEP_2) | instskip(NEXT) | instid1(VALU_DEP_2)
	v_add_f64_e32 v[14:15], v[14:15], v[4:5]
	v_add_f64_e32 v[16:17], v[16:17], v[38:39]
.LBB88_127:                             ;   in Loop: Header=BB88_3 Depth=1
	s_or_b32 exec_lo, exec_lo, s19
.LBB88_128:                             ;   in Loop: Header=BB88_3 Depth=1
	s_delay_alu instid0(SALU_CYCLE_1)
	s_or_b32 exec_lo, exec_lo, s64
	s_and_saveexec_b32 s19, s71
	s_cbranch_execz .LBB88_130
; %bb.129:                              ;   in Loop: Header=BB88_3 Depth=1
	ds_load_b128 v[18:21], v2 offset:11088
	s_wait_dscnt 0x0
	v_mul_f64_e32 v[4:5], v[16:17], v[20:21]
	s_delay_alu instid0(VALU_DEP_1) | instskip(SKIP_1) | instid1(VALU_DEP_1)
	v_fma_f64 v[4:5], v[14:15], v[18:19], -v[4:5]
	v_mul_f64_e32 v[36:37], v[14:15], v[20:21]
	v_fmac_f64_e32 v[36:37], v[16:17], v[18:19]
	s_delay_alu instid0(VALU_DEP_1) | instskip(NEXT) | instid1(VALU_DEP_4)
	v_mov_b32_e32 v20, v36
	v_mov_b64_e32 v[14:15], v[4:5]
	s_delay_alu instid0(VALU_DEP_3)
	v_mov_b64_e32 v[16:17], v[36:37]
	v_xor_b32_e32 v19, 0x80000000, v5
	v_xor_b32_e32 v21, 0x80000000, v37
	v_mov_b32_e32 v18, v4
	ds_store_b128 v23, v[18:21]
.LBB88_130:                             ;   in Loop: Header=BB88_3 Depth=1
	s_or_b32 exec_lo, exec_lo, s19
	s_wait_loadcnt_dscnt 0x0
	s_barrier_signal -1
	s_barrier_wait -1
	s_and_saveexec_b32 s19, s72
	s_cbranch_execz .LBB88_132
; %bb.131:                              ;   in Loop: Header=BB88_3 Depth=1
	ds_load_b128 v[18:21], v23
	ds_load_b128 v[36:39], v2 offset:11072
	s_wait_dscnt 0x0
	v_mul_f64_e32 v[4:5], v[20:21], v[38:39]
	v_mul_f64_e32 v[38:39], v[18:19], v[38:39]
	s_delay_alu instid0(VALU_DEP_2) | instskip(NEXT) | instid1(VALU_DEP_2)
	v_fma_f64 v[4:5], v[18:19], v[36:37], -v[4:5]
	v_fmac_f64_e32 v[38:39], v[20:21], v[36:37]
	s_delay_alu instid0(VALU_DEP_2) | instskip(NEXT) | instid1(VALU_DEP_2)
	v_add_f64_e64 v[14:15], v[14:15], -v[4:5]
	v_add_f64_e64 v[16:17], v[16:17], -v[38:39]
.LBB88_132:                             ;   in Loop: Header=BB88_3 Depth=1
	s_or_b32 exec_lo, exec_lo, s19
	s_barrier_signal -1
	s_barrier_wait -1
	s_and_saveexec_b32 s19, s72
	s_cbranch_execz .LBB88_134
; %bb.133:                              ;   in Loop: Header=BB88_3 Depth=1
	ds_load_b128 v[18:21], v2 offset:10560
	s_wait_dscnt 0x0
	v_mul_f64_e32 v[4:5], v[16:17], v[20:21]
	s_delay_alu instid0(VALU_DEP_1) | instskip(SKIP_1) | instid1(VALU_DEP_1)
	v_fma_f64 v[4:5], v[14:15], v[18:19], -v[4:5]
	v_mul_f64_e32 v[36:37], v[14:15], v[20:21]
	v_fmac_f64_e32 v[36:37], v[16:17], v[18:19]
	s_delay_alu instid0(VALU_DEP_1) | instskip(NEXT) | instid1(VALU_DEP_4)
	v_mov_b32_e32 v20, v36
	v_mov_b64_e32 v[14:15], v[4:5]
	s_delay_alu instid0(VALU_DEP_3)
	v_mov_b64_e32 v[16:17], v[36:37]
	v_xor_b32_e32 v19, 0x80000000, v5
	v_xor_b32_e32 v21, 0x80000000, v37
	v_mov_b32_e32 v18, v4
	ds_store_b128 v23, v[18:21]
.LBB88_134:                             ;   in Loop: Header=BB88_3 Depth=1
	s_or_b32 exec_lo, exec_lo, s19
	s_wait_dscnt 0x0
	s_barrier_signal -1
	s_barrier_wait -1
	s_barrier_signal -1
	s_barrier_wait -1
	s_and_saveexec_b32 s19, s0
; %bb.135:                              ;   in Loop: Header=BB88_3 Depth=1
	ds_store_b128 v44, v[14:17] offset:12096
; %bb.136:                              ;   in Loop: Header=BB88_3 Depth=1
	s_or_b32 exec_lo, exec_lo, s19
	s_wait_dscnt 0x0
	s_barrier_signal -1
	s_barrier_wait -1
	s_barrier_signal -1
	s_barrier_wait -1
	s_and_saveexec_b32 s64, s10
	s_cbranch_execz .LBB88_138
; %bb.137:                              ;   in Loop: Header=BB88_3 Depth=1
	ds_load_b128 v[14:17], v2 offset:11088
	ds_load_b128 v[18:21], v2 offset:10560
	ds_load_b128 v[36:39], v2 offset:11072
	s_wait_dscnt 0x1
	v_mul_f64_e32 v[4:5], v[14:15], v[20:21]
	v_mul_f64_e32 v[20:21], v[16:17], v[20:21]
	s_delay_alu instid0(VALU_DEP_2) | instskip(NEXT) | instid1(VALU_DEP_2)
	v_fmac_f64_e32 v[4:5], v[16:17], v[18:19]
	v_fma_f64 v[14:15], v[14:15], v[18:19], -v[20:21]
	s_wait_dscnt 0x0
	s_delay_alu instid0(VALU_DEP_2) | instskip(NEXT) | instid1(VALU_DEP_2)
	v_mul_f64_e32 v[18:19], v[4:5], v[38:39]
	v_mul_f64_e32 v[16:17], v[14:15], v[38:39]
	s_delay_alu instid0(VALU_DEP_2) | instskip(NEXT) | instid1(VALU_DEP_2)
	v_fma_f64 v[14:15], v[36:37], v[14:15], -v[18:19]
	v_fmac_f64_e32 v[16:17], v[36:37], v[4:5]
	ds_store_b128 v2, v[14:17] offset:11072
.LBB88_138:                             ;   in Loop: Header=BB88_3 Depth=1
	s_or_b32 exec_lo, exec_lo, s64
	v_mov_b64_e32 v[16:17], 0
	v_mov_b64_e32 v[14:15], 0
	s_wait_dscnt 0x0
	s_barrier_signal -1
	s_barrier_wait -1
	global_wb scope:SCOPE_DEV
	s_wait_storecnt 0x0
	global_inv scope:SCOPE_DEV
	s_and_saveexec_b32 s64, s1
	s_cbranch_execz .LBB88_144
; %bb.139:                              ;   in Loop: Header=BB88_3 Depth=1
	ds_load_b128 v[14:17], v47 offset:12096
	ds_load_b128 v[18:21], v46 offset:10496
	s_wait_dscnt 0x0
	v_mul_f64_e32 v[4:5], v[16:17], v[20:21]
	v_mul_f64_e32 v[20:21], v[14:15], v[20:21]
	s_delay_alu instid0(VALU_DEP_2) | instskip(NEXT) | instid1(VALU_DEP_2)
	v_fma_f64 v[4:5], v[14:15], v[18:19], -v[4:5]
	v_fmac_f64_e32 v[20:21], v[16:17], v[18:19]
	s_delay_alu instid0(VALU_DEP_2) | instskip(NEXT) | instid1(VALU_DEP_2)
	v_add_f64_e32 v[14:15], 0, v[4:5]
	v_add_f64_e32 v[16:17], 0, v[20:21]
	s_and_saveexec_b32 s19, s12
	s_cbranch_execnz .LBB88_528
; %bb.140:                              ;   in Loop: Header=BB88_3 Depth=1
	s_or_b32 exec_lo, exec_lo, s19
	s_and_saveexec_b32 s19, s13
	s_cbranch_execnz .LBB88_529
.LBB88_141:                             ;   in Loop: Header=BB88_3 Depth=1
	s_or_b32 exec_lo, exec_lo, s19
	s_and_saveexec_b32 s19, s0
	s_cbranch_execz .LBB88_143
.LBB88_142:                             ;   in Loop: Header=BB88_3 Depth=1
	ds_load_b128 v[18:21], v2 offset:12144
	ds_load_b128 v[36:39], v43 offset:12032
	s_wait_dscnt 0x0
	v_mul_f64_e32 v[4:5], v[20:21], v[38:39]
	v_mul_f64_e32 v[38:39], v[18:19], v[38:39]
	s_delay_alu instid0(VALU_DEP_2) | instskip(NEXT) | instid1(VALU_DEP_2)
	v_fma_f64 v[4:5], v[18:19], v[36:37], -v[4:5]
	v_fmac_f64_e32 v[38:39], v[20:21], v[36:37]
	s_delay_alu instid0(VALU_DEP_2) | instskip(NEXT) | instid1(VALU_DEP_2)
	v_add_f64_e32 v[14:15], v[14:15], v[4:5]
	v_add_f64_e32 v[16:17], v[16:17], v[38:39]
.LBB88_143:                             ;   in Loop: Header=BB88_3 Depth=1
	s_or_b32 exec_lo, exec_lo, s19
.LBB88_144:                             ;   in Loop: Header=BB88_3 Depth=1
	s_delay_alu instid0(SALU_CYCLE_1)
	s_or_b32 exec_lo, exec_lo, s64
	s_and_saveexec_b32 s19, s73
	s_cbranch_execz .LBB88_146
; %bb.145:                              ;   in Loop: Header=BB88_3 Depth=1
	ds_load_b128 v[18:21], v2 offset:10032
	s_wait_dscnt 0x0
	v_mul_f64_e32 v[4:5], v[16:17], v[20:21]
	s_delay_alu instid0(VALU_DEP_1) | instskip(SKIP_1) | instid1(VALU_DEP_1)
	v_fma_f64 v[4:5], v[14:15], v[18:19], -v[4:5]
	v_mul_f64_e32 v[36:37], v[14:15], v[20:21]
	v_fmac_f64_e32 v[36:37], v[16:17], v[18:19]
	s_delay_alu instid0(VALU_DEP_1) | instskip(NEXT) | instid1(VALU_DEP_4)
	v_mov_b32_e32 v20, v36
	v_mov_b64_e32 v[14:15], v[4:5]
	s_delay_alu instid0(VALU_DEP_3)
	v_mov_b64_e32 v[16:17], v[36:37]
	v_xor_b32_e32 v19, 0x80000000, v5
	v_xor_b32_e32 v21, 0x80000000, v37
	v_mov_b32_e32 v18, v4
	ds_store_b128 v45, v[18:21]
.LBB88_146:                             ;   in Loop: Header=BB88_3 Depth=1
	s_or_b32 exec_lo, exec_lo, s19
	s_wait_loadcnt_dscnt 0x0
	s_barrier_signal -1
	s_barrier_wait -1
	s_and_saveexec_b32 s19, s74
	s_cbranch_execz .LBB88_148
; %bb.147:                              ;   in Loop: Header=BB88_3 Depth=1
	ds_load_b128 v[18:21], v45
	ds_load_b128 v[36:39], v46 offset:9984
	s_wait_dscnt 0x0
	v_mul_f64_e32 v[4:5], v[20:21], v[38:39]
	v_mul_f64_e32 v[38:39], v[18:19], v[38:39]
	s_delay_alu instid0(VALU_DEP_2) | instskip(NEXT) | instid1(VALU_DEP_2)
	v_fma_f64 v[4:5], v[18:19], v[36:37], -v[4:5]
	v_fmac_f64_e32 v[38:39], v[20:21], v[36:37]
	s_delay_alu instid0(VALU_DEP_2) | instskip(NEXT) | instid1(VALU_DEP_2)
	v_add_f64_e64 v[14:15], v[14:15], -v[4:5]
	v_add_f64_e64 v[16:17], v[16:17], -v[38:39]
.LBB88_148:                             ;   in Loop: Header=BB88_3 Depth=1
	s_or_b32 exec_lo, exec_lo, s19
	s_barrier_signal -1
	s_barrier_wait -1
	s_and_saveexec_b32 s19, s75
	s_cbranch_execz .LBB88_150
; %bb.149:                              ;   in Loop: Header=BB88_3 Depth=1
	ds_load_b128 v[18:21], v2 offset:9504
	s_wait_dscnt 0x0
	v_mul_f64_e32 v[4:5], v[16:17], v[20:21]
	s_delay_alu instid0(VALU_DEP_1) | instskip(SKIP_1) | instid1(VALU_DEP_1)
	v_fma_f64 v[4:5], v[14:15], v[18:19], -v[4:5]
	v_mul_f64_e32 v[36:37], v[14:15], v[20:21]
	v_fmac_f64_e32 v[36:37], v[16:17], v[18:19]
	s_delay_alu instid0(VALU_DEP_1) | instskip(NEXT) | instid1(VALU_DEP_4)
	v_mov_b32_e32 v20, v36
	v_mov_b64_e32 v[14:15], v[4:5]
	s_delay_alu instid0(VALU_DEP_3)
	v_mov_b64_e32 v[16:17], v[36:37]
	v_xor_b32_e32 v19, 0x80000000, v5
	v_xor_b32_e32 v21, 0x80000000, v37
	v_mov_b32_e32 v18, v4
	ds_store_b128 v45, v[18:21]
.LBB88_150:                             ;   in Loop: Header=BB88_3 Depth=1
	s_or_b32 exec_lo, exec_lo, s19
	s_wait_dscnt 0x0
	s_barrier_signal -1
	s_barrier_wait -1
	s_and_saveexec_b32 s19, s76
	s_cbranch_execz .LBB88_152
; %bb.151:                              ;   in Loop: Header=BB88_3 Depth=1
	ds_load_b128 v[18:21], v45
	ds_load_b128 v[36:39], v46 offset:9472
	s_wait_dscnt 0x0
	v_mul_f64_e32 v[4:5], v[20:21], v[38:39]
	v_mul_f64_e32 v[38:39], v[18:19], v[38:39]
	s_delay_alu instid0(VALU_DEP_2) | instskip(NEXT) | instid1(VALU_DEP_2)
	v_fma_f64 v[4:5], v[18:19], v[36:37], -v[4:5]
	v_fmac_f64_e32 v[38:39], v[20:21], v[36:37]
	s_delay_alu instid0(VALU_DEP_2) | instskip(NEXT) | instid1(VALU_DEP_2)
	v_add_f64_e64 v[14:15], v[14:15], -v[4:5]
	v_add_f64_e64 v[16:17], v[16:17], -v[38:39]
.LBB88_152:                             ;   in Loop: Header=BB88_3 Depth=1
	s_or_b32 exec_lo, exec_lo, s19
	s_barrier_signal -1
	s_barrier_wait -1
	s_and_saveexec_b32 s19, s77
	s_cbranch_execz .LBB88_154
; %bb.153:                              ;   in Loop: Header=BB88_3 Depth=1
	ds_load_b128 v[18:21], v2 offset:8976
	s_wait_dscnt 0x0
	v_mul_f64_e32 v[4:5], v[16:17], v[20:21]
	s_delay_alu instid0(VALU_DEP_1) | instskip(SKIP_1) | instid1(VALU_DEP_1)
	v_fma_f64 v[4:5], v[14:15], v[18:19], -v[4:5]
	v_mul_f64_e32 v[36:37], v[14:15], v[20:21]
	v_fmac_f64_e32 v[36:37], v[16:17], v[18:19]
	s_delay_alu instid0(VALU_DEP_1) | instskip(NEXT) | instid1(VALU_DEP_4)
	v_mov_b32_e32 v20, v36
	v_mov_b64_e32 v[14:15], v[4:5]
	s_delay_alu instid0(VALU_DEP_3)
	v_mov_b64_e32 v[16:17], v[36:37]
	v_xor_b32_e32 v19, 0x80000000, v5
	v_xor_b32_e32 v21, 0x80000000, v37
	v_mov_b32_e32 v18, v4
	ds_store_b128 v45, v[18:21]
.LBB88_154:                             ;   in Loop: Header=BB88_3 Depth=1
	s_or_b32 exec_lo, exec_lo, s19
	s_wait_dscnt 0x0
	;; [unrolled: 42-line block ×3, first 2 shown]
	s_barrier_signal -1
	s_barrier_wait -1
	s_barrier_signal -1
	s_barrier_wait -1
	s_and_saveexec_b32 s19, s1
; %bb.159:                              ;   in Loop: Header=BB88_3 Depth=1
	ds_store_b128 v48, v[14:17] offset:12032
; %bb.160:                              ;   in Loop: Header=BB88_3 Depth=1
	s_or_b32 exec_lo, exec_lo, s19
	s_wait_dscnt 0x0
	s_barrier_signal -1
	s_barrier_wait -1
	s_barrier_signal -1
	s_barrier_wait -1
	s_and_saveexec_b32 s64, s10
	s_cbranch_execz .LBB88_162
; %bb.161:                              ;   in Loop: Header=BB88_3 Depth=1
	ds_load_b128 v[14:17], v2 offset:10032
	ds_load_b128 v[18:21], v2 offset:9504
	;; [unrolled: 1-line block ×3, first 2 shown]
	s_wait_dscnt 0x1
	v_mul_f64_e32 v[4:5], v[14:15], v[20:21]
	v_mul_f64_e32 v[20:21], v[16:17], v[20:21]
	s_delay_alu instid0(VALU_DEP_2) | instskip(NEXT) | instid1(VALU_DEP_2)
	v_fmac_f64_e32 v[4:5], v[16:17], v[18:19]
	v_fma_f64 v[14:15], v[14:15], v[18:19], -v[20:21]
	s_wait_dscnt 0x0
	s_delay_alu instid0(VALU_DEP_2) | instskip(NEXT) | instid1(VALU_DEP_2)
	v_mul_f64_e32 v[18:19], v[4:5], v[38:39]
	v_mul_f64_e32 v[16:17], v[14:15], v[38:39]
	s_delay_alu instid0(VALU_DEP_2) | instskip(NEXT) | instid1(VALU_DEP_2)
	v_fma_f64 v[14:15], v[36:37], v[14:15], -v[18:19]
	v_fmac_f64_e32 v[16:17], v[36:37], v[4:5]
	ds_store_b128 v2, v[14:17] offset:10016
.LBB88_162:                             ;   in Loop: Header=BB88_3 Depth=1
	s_or_b32 exec_lo, exec_lo, s64
	v_mov_b64_e32 v[14:15], 0
	v_mov_b64_e32 v[16:17], 0
	s_wait_dscnt 0x0
	s_barrier_signal -1
	s_barrier_wait -1
	global_wb scope:SCOPE_DEV
	s_wait_storecnt 0x0
	global_inv scope:SCOPE_DEV
	s_and_saveexec_b32 s64, s0
	s_cbranch_execz .LBB88_166
; %bb.163:                              ;   in Loop: Header=BB88_3 Depth=1
	ds_load_b128 v[14:17], v42 offset:10016
	ds_load_b128 v[18:21], v41 offset:9472
	s_wait_dscnt 0x0
	v_mul_f64_e32 v[4:5], v[16:17], v[20:21]
	v_mul_f64_e32 v[20:21], v[14:15], v[20:21]
	s_delay_alu instid0(VALU_DEP_2) | instskip(NEXT) | instid1(VALU_DEP_2)
	v_fma_f64 v[4:5], v[14:15], v[18:19], -v[4:5]
	v_fmac_f64_e32 v[20:21], v[16:17], v[18:19]
	s_delay_alu instid0(VALU_DEP_2) | instskip(NEXT) | instid1(VALU_DEP_2)
	v_add_f64_e32 v[14:15], 0, v[4:5]
	v_add_f64_e32 v[16:17], 0, v[20:21]
	s_and_saveexec_b32 s19, s11
	s_cbranch_execz .LBB88_165
; %bb.164:                              ;   in Loop: Header=BB88_3 Depth=1
	ds_load_b128 v[18:21], v2 offset:10032
	ds_load_b128 v[36:39], v43 offset:9984
	s_wait_dscnt 0x0
	v_mul_f64_e32 v[4:5], v[20:21], v[38:39]
	v_mul_f64_e32 v[38:39], v[18:19], v[38:39]
	s_delay_alu instid0(VALU_DEP_2) | instskip(NEXT) | instid1(VALU_DEP_2)
	v_fma_f64 v[4:5], v[18:19], v[36:37], -v[4:5]
	v_fmac_f64_e32 v[38:39], v[20:21], v[36:37]
	s_delay_alu instid0(VALU_DEP_2) | instskip(NEXT) | instid1(VALU_DEP_2)
	v_add_f64_e32 v[14:15], v[14:15], v[4:5]
	v_add_f64_e32 v[16:17], v[16:17], v[38:39]
.LBB88_165:                             ;   in Loop: Header=BB88_3 Depth=1
	s_or_b32 exec_lo, exec_lo, s19
.LBB88_166:                             ;   in Loop: Header=BB88_3 Depth=1
	s_delay_alu instid0(SALU_CYCLE_1)
	s_or_b32 exec_lo, exec_lo, s64
	s_and_saveexec_b32 s19, s71
	s_cbranch_execz .LBB88_168
; %bb.167:                              ;   in Loop: Header=BB88_3 Depth=1
	ds_load_b128 v[18:21], v2 offset:8976
	s_wait_dscnt 0x0
	v_mul_f64_e32 v[4:5], v[16:17], v[20:21]
	s_delay_alu instid0(VALU_DEP_1) | instskip(SKIP_1) | instid1(VALU_DEP_1)
	v_fma_f64 v[4:5], v[14:15], v[18:19], -v[4:5]
	v_mul_f64_e32 v[36:37], v[14:15], v[20:21]
	v_fmac_f64_e32 v[36:37], v[16:17], v[18:19]
	s_delay_alu instid0(VALU_DEP_1) | instskip(NEXT) | instid1(VALU_DEP_4)
	v_mov_b32_e32 v20, v36
	v_mov_b64_e32 v[14:15], v[4:5]
	s_delay_alu instid0(VALU_DEP_3)
	v_mov_b64_e32 v[16:17], v[36:37]
	v_xor_b32_e32 v19, 0x80000000, v5
	v_xor_b32_e32 v21, 0x80000000, v37
	v_mov_b32_e32 v18, v4
	ds_store_b128 v23, v[18:21]
.LBB88_168:                             ;   in Loop: Header=BB88_3 Depth=1
	s_or_b32 exec_lo, exec_lo, s19
	s_wait_loadcnt_dscnt 0x0
	s_barrier_signal -1
	s_barrier_wait -1
	s_and_saveexec_b32 s19, s72
	s_cbranch_execz .LBB88_170
; %bb.169:                              ;   in Loop: Header=BB88_3 Depth=1
	ds_load_b128 v[18:21], v23
	ds_load_b128 v[36:39], v2 offset:8960
	s_wait_dscnt 0x0
	v_mul_f64_e32 v[4:5], v[20:21], v[38:39]
	v_mul_f64_e32 v[38:39], v[18:19], v[38:39]
	s_delay_alu instid0(VALU_DEP_2) | instskip(NEXT) | instid1(VALU_DEP_2)
	v_fma_f64 v[4:5], v[18:19], v[36:37], -v[4:5]
	v_fmac_f64_e32 v[38:39], v[20:21], v[36:37]
	s_delay_alu instid0(VALU_DEP_2) | instskip(NEXT) | instid1(VALU_DEP_2)
	v_add_f64_e64 v[14:15], v[14:15], -v[4:5]
	v_add_f64_e64 v[16:17], v[16:17], -v[38:39]
.LBB88_170:                             ;   in Loop: Header=BB88_3 Depth=1
	s_or_b32 exec_lo, exec_lo, s19
	s_barrier_signal -1
	s_barrier_wait -1
	s_and_saveexec_b32 s19, s72
	s_cbranch_execz .LBB88_172
; %bb.171:                              ;   in Loop: Header=BB88_3 Depth=1
	ds_load_b128 v[18:21], v2 offset:8448
	s_wait_dscnt 0x0
	v_mul_f64_e32 v[4:5], v[16:17], v[20:21]
	s_delay_alu instid0(VALU_DEP_1) | instskip(SKIP_1) | instid1(VALU_DEP_1)
	v_fma_f64 v[4:5], v[14:15], v[18:19], -v[4:5]
	v_mul_f64_e32 v[36:37], v[14:15], v[20:21]
	v_fmac_f64_e32 v[36:37], v[16:17], v[18:19]
	s_delay_alu instid0(VALU_DEP_1) | instskip(NEXT) | instid1(VALU_DEP_4)
	v_mov_b32_e32 v20, v36
	v_mov_b64_e32 v[14:15], v[4:5]
	s_delay_alu instid0(VALU_DEP_3)
	v_mov_b64_e32 v[16:17], v[36:37]
	v_xor_b32_e32 v19, 0x80000000, v5
	v_xor_b32_e32 v21, 0x80000000, v37
	v_mov_b32_e32 v18, v4
	ds_store_b128 v23, v[18:21]
.LBB88_172:                             ;   in Loop: Header=BB88_3 Depth=1
	s_or_b32 exec_lo, exec_lo, s19
	s_wait_dscnt 0x0
	s_barrier_signal -1
	s_barrier_wait -1
	s_barrier_signal -1
	s_barrier_wait -1
	s_and_saveexec_b32 s19, s0
; %bb.173:                              ;   in Loop: Header=BB88_3 Depth=1
	ds_store_b128 v44, v[14:17] offset:9984
; %bb.174:                              ;   in Loop: Header=BB88_3 Depth=1
	s_or_b32 exec_lo, exec_lo, s19
	s_wait_dscnt 0x0
	s_barrier_signal -1
	s_barrier_wait -1
	s_barrier_signal -1
	s_barrier_wait -1
	s_and_saveexec_b32 s64, s10
	s_cbranch_execz .LBB88_176
; %bb.175:                              ;   in Loop: Header=BB88_3 Depth=1
	ds_load_b128 v[14:17], v2 offset:8976
	ds_load_b128 v[18:21], v2 offset:8448
	;; [unrolled: 1-line block ×3, first 2 shown]
	s_wait_dscnt 0x1
	v_mul_f64_e32 v[4:5], v[14:15], v[20:21]
	v_mul_f64_e32 v[20:21], v[16:17], v[20:21]
	s_delay_alu instid0(VALU_DEP_2) | instskip(NEXT) | instid1(VALU_DEP_2)
	v_fmac_f64_e32 v[4:5], v[16:17], v[18:19]
	v_fma_f64 v[14:15], v[14:15], v[18:19], -v[20:21]
	s_wait_dscnt 0x0
	s_delay_alu instid0(VALU_DEP_2) | instskip(NEXT) | instid1(VALU_DEP_2)
	v_mul_f64_e32 v[18:19], v[4:5], v[38:39]
	v_mul_f64_e32 v[16:17], v[14:15], v[38:39]
	s_delay_alu instid0(VALU_DEP_2) | instskip(NEXT) | instid1(VALU_DEP_2)
	v_fma_f64 v[14:15], v[36:37], v[14:15], -v[18:19]
	v_fmac_f64_e32 v[16:17], v[36:37], v[4:5]
	ds_store_b128 v2, v[14:17] offset:8960
.LBB88_176:                             ;   in Loop: Header=BB88_3 Depth=1
	s_or_b32 exec_lo, exec_lo, s64
	v_mov_b64_e32 v[16:17], 0
	v_mov_b64_e32 v[14:15], 0
	s_wait_dscnt 0x0
	s_barrier_signal -1
	s_barrier_wait -1
	global_wb scope:SCOPE_DEV
	s_wait_storecnt 0x0
	global_inv scope:SCOPE_DEV
	s_and_saveexec_b32 s64, s3
	s_cbranch_execz .LBB88_204
; %bb.177:                              ;   in Loop: Header=BB88_3 Depth=1
	ds_load_b128 v[14:17], v55 offset:16128
	ds_load_b128 v[18:21], v54 offset:8192
	v_readlane_b32 s20, v75, 21
	s_wait_dscnt 0x0
	v_mul_f64_e32 v[4:5], v[16:17], v[20:21]
	v_mul_f64_e32 v[20:21], v[14:15], v[20:21]
	s_delay_alu instid0(VALU_DEP_2) | instskip(NEXT) | instid1(VALU_DEP_2)
	v_fma_f64 v[4:5], v[14:15], v[18:19], -v[4:5]
	v_fmac_f64_e32 v[20:21], v[16:17], v[18:19]
	s_delay_alu instid0(VALU_DEP_2) | instskip(NEXT) | instid1(VALU_DEP_2)
	v_add_f64_e32 v[14:15], 0, v[4:5]
	v_add_f64_e32 v[16:17], 0, v[20:21]
	s_and_saveexec_b32 s19, s20
	s_cbranch_execz .LBB88_179
; %bb.178:                              ;   in Loop: Header=BB88_3 Depth=1
	ds_load_b128 v[18:21], v55 offset:16144
	ds_load_b128 v[36:39], v54 offset:8704
	s_wait_dscnt 0x0
	v_mul_f64_e32 v[4:5], v[20:21], v[38:39]
	v_mul_f64_e32 v[38:39], v[18:19], v[38:39]
	s_delay_alu instid0(VALU_DEP_2) | instskip(NEXT) | instid1(VALU_DEP_2)
	v_fma_f64 v[4:5], v[18:19], v[36:37], -v[4:5]
	v_fmac_f64_e32 v[38:39], v[20:21], v[36:37]
	s_delay_alu instid0(VALU_DEP_2) | instskip(NEXT) | instid1(VALU_DEP_2)
	v_add_f64_e32 v[14:15], v[14:15], v[4:5]
	v_add_f64_e32 v[16:17], v[16:17], v[38:39]
.LBB88_179:                             ;   in Loop: Header=BB88_3 Depth=1
	s_or_b32 exec_lo, exec_lo, s19
	v_readlane_b32 s20, v75, 22
	s_and_saveexec_b32 s19, s20
	s_cbranch_execz .LBB88_181
; %bb.180:                              ;   in Loop: Header=BB88_3 Depth=1
	ds_load_b128 v[18:21], v55 offset:16160
	ds_load_b128 v[36:39], v54 offset:9216
	s_wait_dscnt 0x0
	v_mul_f64_e32 v[4:5], v[20:21], v[38:39]
	v_mul_f64_e32 v[38:39], v[18:19], v[38:39]
	s_delay_alu instid0(VALU_DEP_2) | instskip(NEXT) | instid1(VALU_DEP_2)
	v_fma_f64 v[4:5], v[18:19], v[36:37], -v[4:5]
	v_fmac_f64_e32 v[38:39], v[20:21], v[36:37]
	s_delay_alu instid0(VALU_DEP_2) | instskip(NEXT) | instid1(VALU_DEP_2)
	v_add_f64_e32 v[14:15], v[14:15], v[4:5]
	v_add_f64_e32 v[16:17], v[16:17], v[38:39]
.LBB88_181:                             ;   in Loop: Header=BB88_3 Depth=1
	s_or_b32 exec_lo, exec_lo, s19
	v_readlane_b32 s20, v75, 23
	;; [unrolled: 17-line block ×10, first 2 shown]
	s_and_saveexec_b32 s19, s20
	s_cbranch_execnz .LBB88_530
; %bb.198:                              ;   in Loop: Header=BB88_3 Depth=1
	s_or_b32 exec_lo, exec_lo, s19
	s_and_saveexec_b32 s19, s2
	s_cbranch_execnz .LBB88_531
.LBB88_199:                             ;   in Loop: Header=BB88_3 Depth=1
	s_or_b32 exec_lo, exec_lo, s19
	s_and_saveexec_b32 s19, s15
	s_cbranch_execnz .LBB88_532
.LBB88_200:                             ;   in Loop: Header=BB88_3 Depth=1
	s_or_b32 exec_lo, exec_lo, s19
	s_and_saveexec_b32 s19, s17
	s_cbranch_execnz .LBB88_533
.LBB88_201:                             ;   in Loop: Header=BB88_3 Depth=1
	s_or_b32 exec_lo, exec_lo, s19
	s_and_saveexec_b32 s19, s1
	s_cbranch_execz .LBB88_203
.LBB88_202:                             ;   in Loop: Header=BB88_3 Depth=1
	ds_load_b128 v[18:21], v2 offset:16368
	ds_load_b128 v[36:39], v43 offset:15872
	s_wait_dscnt 0x0
	v_mul_f64_e32 v[4:5], v[20:21], v[38:39]
	v_mul_f64_e32 v[38:39], v[18:19], v[38:39]
	s_delay_alu instid0(VALU_DEP_2) | instskip(NEXT) | instid1(VALU_DEP_2)
	v_fma_f64 v[4:5], v[18:19], v[36:37], -v[4:5]
	v_fmac_f64_e32 v[38:39], v[20:21], v[36:37]
	s_delay_alu instid0(VALU_DEP_2) | instskip(NEXT) | instid1(VALU_DEP_2)
	v_add_f64_e32 v[14:15], v[14:15], v[4:5]
	v_add_f64_e32 v[16:17], v[16:17], v[38:39]
.LBB88_203:                             ;   in Loop: Header=BB88_3 Depth=1
	s_or_b32 exec_lo, exec_lo, s19
.LBB88_204:                             ;   in Loop: Header=BB88_3 Depth=1
	s_delay_alu instid0(SALU_CYCLE_1)
	s_or_b32 exec_lo, exec_lo, s64
	v_readlane_b32 s20, v75, 0
	s_and_saveexec_b32 s19, s20
	s_cbranch_execz .LBB88_206
; %bb.205:                              ;   in Loop: Header=BB88_3 Depth=1
	ds_load_b128 v[18:21], v2 offset:7920
	s_wait_dscnt 0x0
	v_mul_f64_e32 v[4:5], v[16:17], v[20:21]
	s_delay_alu instid0(VALU_DEP_1) | instskip(SKIP_1) | instid1(VALU_DEP_1)
	v_fma_f64 v[4:5], v[14:15], v[18:19], -v[4:5]
	v_mul_f64_e32 v[36:37], v[14:15], v[20:21]
	v_fmac_f64_e32 v[36:37], v[16:17], v[18:19]
	s_delay_alu instid0(VALU_DEP_1) | instskip(NEXT) | instid1(VALU_DEP_4)
	v_mov_b32_e32 v20, v36
	v_mov_b64_e32 v[14:15], v[4:5]
	s_delay_alu instid0(VALU_DEP_3)
	v_mov_b64_e32 v[16:17], v[36:37]
	v_xor_b32_e32 v19, 0x80000000, v5
	v_xor_b32_e32 v21, 0x80000000, v37
	v_mov_b32_e32 v18, v4
	ds_store_b128 v53, v[18:21]
.LBB88_206:                             ;   in Loop: Header=BB88_3 Depth=1
	s_or_b32 exec_lo, exec_lo, s19
	v_readlane_b32 s20, v75, 1
	s_wait_loadcnt_dscnt 0x0
	s_barrier_signal -1
	s_barrier_wait -1
	s_and_saveexec_b32 s19, s20
	s_cbranch_execz .LBB88_208
; %bb.207:                              ;   in Loop: Header=BB88_3 Depth=1
	ds_load_b128 v[18:21], v53
	ds_load_b128 v[36:39], v54 offset:7680
	s_wait_dscnt 0x0
	v_mul_f64_e32 v[4:5], v[20:21], v[38:39]
	v_mul_f64_e32 v[38:39], v[18:19], v[38:39]
	s_delay_alu instid0(VALU_DEP_2) | instskip(NEXT) | instid1(VALU_DEP_2)
	v_fma_f64 v[4:5], v[18:19], v[36:37], -v[4:5]
	v_fmac_f64_e32 v[38:39], v[20:21], v[36:37]
	s_delay_alu instid0(VALU_DEP_2) | instskip(NEXT) | instid1(VALU_DEP_2)
	v_add_f64_e64 v[14:15], v[14:15], -v[4:5]
	v_add_f64_e64 v[16:17], v[16:17], -v[38:39]
.LBB88_208:                             ;   in Loop: Header=BB88_3 Depth=1
	s_or_b32 exec_lo, exec_lo, s19
	v_readlane_b32 s20, v75, 2
	s_barrier_signal -1
	s_barrier_wait -1
	s_and_saveexec_b32 s19, s20
	s_cbranch_execz .LBB88_210
; %bb.209:                              ;   in Loop: Header=BB88_3 Depth=1
	ds_load_b128 v[18:21], v2 offset:7392
	s_wait_dscnt 0x0
	v_mul_f64_e32 v[4:5], v[16:17], v[20:21]
	s_delay_alu instid0(VALU_DEP_1) | instskip(SKIP_1) | instid1(VALU_DEP_1)
	v_fma_f64 v[4:5], v[14:15], v[18:19], -v[4:5]
	v_mul_f64_e32 v[36:37], v[14:15], v[20:21]
	v_fmac_f64_e32 v[36:37], v[16:17], v[18:19]
	s_delay_alu instid0(VALU_DEP_1) | instskip(NEXT) | instid1(VALU_DEP_4)
	v_mov_b32_e32 v20, v36
	v_mov_b64_e32 v[14:15], v[4:5]
	s_delay_alu instid0(VALU_DEP_3)
	v_mov_b64_e32 v[16:17], v[36:37]
	v_xor_b32_e32 v19, 0x80000000, v5
	v_xor_b32_e32 v21, 0x80000000, v37
	v_mov_b32_e32 v18, v4
	ds_store_b128 v53, v[18:21]
.LBB88_210:                             ;   in Loop: Header=BB88_3 Depth=1
	s_or_b32 exec_lo, exec_lo, s19
	v_readlane_b32 s20, v75, 3
	s_wait_dscnt 0x0
	s_barrier_signal -1
	s_barrier_wait -1
	s_and_saveexec_b32 s19, s20
	s_cbranch_execz .LBB88_212
; %bb.211:                              ;   in Loop: Header=BB88_3 Depth=1
	ds_load_b128 v[18:21], v53
	ds_load_b128 v[36:39], v54 offset:7168
	s_wait_dscnt 0x0
	v_mul_f64_e32 v[4:5], v[20:21], v[38:39]
	v_mul_f64_e32 v[38:39], v[18:19], v[38:39]
	s_delay_alu instid0(VALU_DEP_2) | instskip(NEXT) | instid1(VALU_DEP_2)
	v_fma_f64 v[4:5], v[18:19], v[36:37], -v[4:5]
	v_fmac_f64_e32 v[38:39], v[20:21], v[36:37]
	s_delay_alu instid0(VALU_DEP_2) | instskip(NEXT) | instid1(VALU_DEP_2)
	v_add_f64_e64 v[14:15], v[14:15], -v[4:5]
	v_add_f64_e64 v[16:17], v[16:17], -v[38:39]
.LBB88_212:                             ;   in Loop: Header=BB88_3 Depth=1
	s_or_b32 exec_lo, exec_lo, s19
	v_readlane_b32 s20, v75, 4
	s_barrier_signal -1
	s_barrier_wait -1
	s_and_saveexec_b32 s19, s20
	s_cbranch_execz .LBB88_214
; %bb.213:                              ;   in Loop: Header=BB88_3 Depth=1
	ds_load_b128 v[18:21], v2 offset:6864
	s_wait_dscnt 0x0
	v_mul_f64_e32 v[4:5], v[16:17], v[20:21]
	s_delay_alu instid0(VALU_DEP_1) | instskip(SKIP_1) | instid1(VALU_DEP_1)
	v_fma_f64 v[4:5], v[14:15], v[18:19], -v[4:5]
	v_mul_f64_e32 v[36:37], v[14:15], v[20:21]
	v_fmac_f64_e32 v[36:37], v[16:17], v[18:19]
	s_delay_alu instid0(VALU_DEP_1) | instskip(NEXT) | instid1(VALU_DEP_4)
	v_mov_b32_e32 v20, v36
	v_mov_b64_e32 v[14:15], v[4:5]
	s_delay_alu instid0(VALU_DEP_3)
	v_mov_b64_e32 v[16:17], v[36:37]
	v_xor_b32_e32 v19, 0x80000000, v5
	v_xor_b32_e32 v21, 0x80000000, v37
	v_mov_b32_e32 v18, v4
	ds_store_b128 v53, v[18:21]
.LBB88_214:                             ;   in Loop: Header=BB88_3 Depth=1
	s_or_b32 exec_lo, exec_lo, s19
	v_readlane_b32 s20, v75, 5
	s_wait_dscnt 0x0
	;; [unrolled: 44-line block ×7, first 2 shown]
	s_barrier_signal -1
	s_barrier_wait -1
	s_and_saveexec_b32 s19, s20
	s_cbranch_execz .LBB88_236
; %bb.235:                              ;   in Loop: Header=BB88_3 Depth=1
	ds_load_b128 v[18:21], v53
	ds_load_b128 v[36:39], v54 offset:4096
	s_wait_dscnt 0x0
	v_mul_f64_e32 v[4:5], v[20:21], v[38:39]
	v_mul_f64_e32 v[38:39], v[18:19], v[38:39]
	s_delay_alu instid0(VALU_DEP_2) | instskip(NEXT) | instid1(VALU_DEP_2)
	v_fma_f64 v[4:5], v[18:19], v[36:37], -v[4:5]
	v_fmac_f64_e32 v[38:39], v[20:21], v[36:37]
	s_delay_alu instid0(VALU_DEP_2) | instskip(NEXT) | instid1(VALU_DEP_2)
	v_add_f64_e64 v[14:15], v[14:15], -v[4:5]
	v_add_f64_e64 v[16:17], v[16:17], -v[38:39]
.LBB88_236:                             ;   in Loop: Header=BB88_3 Depth=1
	s_or_b32 exec_lo, exec_lo, s19
	s_barrier_signal -1
	s_barrier_wait -1
	s_and_saveexec_b32 s19, s22
	s_cbranch_execz .LBB88_238
; %bb.237:                              ;   in Loop: Header=BB88_3 Depth=1
	ds_load_b128 v[18:21], v2 offset:3696
	s_wait_dscnt 0x0
	v_mul_f64_e32 v[4:5], v[16:17], v[20:21]
	s_delay_alu instid0(VALU_DEP_1) | instskip(SKIP_1) | instid1(VALU_DEP_1)
	v_fma_f64 v[4:5], v[14:15], v[18:19], -v[4:5]
	v_mul_f64_e32 v[36:37], v[14:15], v[20:21]
	v_fmac_f64_e32 v[36:37], v[16:17], v[18:19]
	s_delay_alu instid0(VALU_DEP_1) | instskip(NEXT) | instid1(VALU_DEP_4)
	v_mov_b32_e32 v20, v36
	v_mov_b64_e32 v[14:15], v[4:5]
	s_delay_alu instid0(VALU_DEP_3)
	v_mov_b64_e32 v[16:17], v[36:37]
	v_xor_b32_e32 v19, 0x80000000, v5
	v_xor_b32_e32 v21, 0x80000000, v37
	v_mov_b32_e32 v18, v4
	ds_store_b128 v53, v[18:21]
.LBB88_238:                             ;   in Loop: Header=BB88_3 Depth=1
	s_or_b32 exec_lo, exec_lo, s19
	s_wait_dscnt 0x0
	s_barrier_signal -1
	s_barrier_wait -1
	s_and_saveexec_b32 s19, s23
	s_cbranch_execz .LBB88_240
; %bb.239:                              ;   in Loop: Header=BB88_3 Depth=1
	ds_load_b128 v[18:21], v53
	ds_load_b128 v[36:39], v54 offset:3584
	s_wait_dscnt 0x0
	v_mul_f64_e32 v[4:5], v[20:21], v[38:39]
	v_mul_f64_e32 v[38:39], v[18:19], v[38:39]
	s_delay_alu instid0(VALU_DEP_2) | instskip(NEXT) | instid1(VALU_DEP_2)
	v_fma_f64 v[4:5], v[18:19], v[36:37], -v[4:5]
	v_fmac_f64_e32 v[38:39], v[20:21], v[36:37]
	s_delay_alu instid0(VALU_DEP_2) | instskip(NEXT) | instid1(VALU_DEP_2)
	v_add_f64_e64 v[14:15], v[14:15], -v[4:5]
	v_add_f64_e64 v[16:17], v[16:17], -v[38:39]
.LBB88_240:                             ;   in Loop: Header=BB88_3 Depth=1
	s_or_b32 exec_lo, exec_lo, s19
	s_barrier_signal -1
	s_barrier_wait -1
	s_and_saveexec_b32 s19, s24
	s_cbranch_execz .LBB88_242
; %bb.241:                              ;   in Loop: Header=BB88_3 Depth=1
	ds_load_b128 v[18:21], v2 offset:3168
	s_wait_dscnt 0x0
	v_mul_f64_e32 v[4:5], v[16:17], v[20:21]
	s_delay_alu instid0(VALU_DEP_1) | instskip(SKIP_1) | instid1(VALU_DEP_1)
	v_fma_f64 v[4:5], v[14:15], v[18:19], -v[4:5]
	v_mul_f64_e32 v[36:37], v[14:15], v[20:21]
	v_fmac_f64_e32 v[36:37], v[16:17], v[18:19]
	s_delay_alu instid0(VALU_DEP_1) | instskip(NEXT) | instid1(VALU_DEP_4)
	v_mov_b32_e32 v20, v36
	v_mov_b64_e32 v[14:15], v[4:5]
	s_delay_alu instid0(VALU_DEP_3)
	v_mov_b64_e32 v[16:17], v[36:37]
	v_xor_b32_e32 v19, 0x80000000, v5
	v_xor_b32_e32 v21, 0x80000000, v37
	v_mov_b32_e32 v18, v4
	ds_store_b128 v53, v[18:21]
.LBB88_242:                             ;   in Loop: Header=BB88_3 Depth=1
	s_or_b32 exec_lo, exec_lo, s19
	s_wait_dscnt 0x0
	;; [unrolled: 42-line block ×7, first 2 shown]
	s_barrier_signal -1
	s_barrier_wait -1
	s_and_saveexec_b32 s19, s96
	s_cbranch_execz .LBB88_264
; %bb.263:                              ;   in Loop: Header=BB88_3 Depth=1
	ds_load_b128 v[18:21], v53
	ds_load_b128 v[36:39], v2 offset:512
	s_wait_dscnt 0x0
	v_mul_f64_e32 v[4:5], v[20:21], v[38:39]
	v_mul_f64_e32 v[38:39], v[18:19], v[38:39]
	s_delay_alu instid0(VALU_DEP_2) | instskip(NEXT) | instid1(VALU_DEP_2)
	v_fma_f64 v[4:5], v[18:19], v[36:37], -v[4:5]
	v_fmac_f64_e32 v[38:39], v[20:21], v[36:37]
	s_delay_alu instid0(VALU_DEP_2) | instskip(NEXT) | instid1(VALU_DEP_2)
	v_add_f64_e64 v[14:15], v[14:15], -v[4:5]
	v_add_f64_e64 v[16:17], v[16:17], -v[38:39]
.LBB88_264:                             ;   in Loop: Header=BB88_3 Depth=1
	s_or_b32 exec_lo, exec_lo, s19
	s_barrier_signal -1
	s_barrier_wait -1
	s_and_saveexec_b32 s19, s96
	s_cbranch_execz .LBB88_266
; %bb.265:                              ;   in Loop: Header=BB88_3 Depth=1
	ds_load_b128 v[18:21], v2
	s_wait_dscnt 0x0
	v_mul_f64_e32 v[4:5], v[16:17], v[20:21]
	s_delay_alu instid0(VALU_DEP_1) | instskip(SKIP_1) | instid1(VALU_DEP_1)
	v_fma_f64 v[4:5], v[14:15], v[18:19], -v[4:5]
	v_mul_f64_e32 v[36:37], v[14:15], v[20:21]
	v_fmac_f64_e32 v[36:37], v[16:17], v[18:19]
	s_delay_alu instid0(VALU_DEP_1) | instskip(NEXT) | instid1(VALU_DEP_4)
	v_mov_b32_e32 v20, v36
	v_mov_b64_e32 v[14:15], v[4:5]
	s_delay_alu instid0(VALU_DEP_3)
	v_mov_b64_e32 v[16:17], v[36:37]
	v_xor_b32_e32 v19, 0x80000000, v5
	v_xor_b32_e32 v21, 0x80000000, v37
	v_mov_b32_e32 v18, v4
	ds_store_b128 v53, v[18:21]
.LBB88_266:                             ;   in Loop: Header=BB88_3 Depth=1
	s_or_b32 exec_lo, exec_lo, s19
	s_wait_dscnt 0x0
	s_barrier_signal -1
	s_barrier_wait -1
	s_barrier_signal -1
	s_barrier_wait -1
	s_and_saveexec_b32 s19, s3
; %bb.267:                              ;   in Loop: Header=BB88_3 Depth=1
	ds_store_b128 v56, v[14:17] offset:15872
; %bb.268:                              ;   in Loop: Header=BB88_3 Depth=1
	s_or_b32 exec_lo, exec_lo, s19
	s_wait_dscnt 0x0
	s_barrier_signal -1
	s_barrier_wait -1
	s_barrier_signal -1
	s_barrier_wait -1
	s_and_saveexec_b32 s64, s10
	s_cbranch_execz .LBB88_270
; %bb.269:                              ;   in Loop: Header=BB88_3 Depth=1
	ds_load_b128 v[14:17], v2 offset:7920
	ds_load_b128 v[18:21], v2 offset:7392
	;; [unrolled: 1-line block ×3, first 2 shown]
	s_wait_dscnt 0x1
	v_mul_f64_e32 v[4:5], v[14:15], v[20:21]
	v_mul_f64_e32 v[20:21], v[16:17], v[20:21]
	s_delay_alu instid0(VALU_DEP_2) | instskip(NEXT) | instid1(VALU_DEP_2)
	v_fmac_f64_e32 v[4:5], v[16:17], v[18:19]
	v_fma_f64 v[14:15], v[14:15], v[18:19], -v[20:21]
	s_wait_dscnt 0x0
	s_delay_alu instid0(VALU_DEP_2) | instskip(NEXT) | instid1(VALU_DEP_2)
	v_mul_f64_e32 v[18:19], v[4:5], v[38:39]
	v_mul_f64_e32 v[16:17], v[14:15], v[38:39]
	s_delay_alu instid0(VALU_DEP_2) | instskip(NEXT) | instid1(VALU_DEP_2)
	v_fma_f64 v[14:15], v[36:37], v[14:15], -v[18:19]
	v_fmac_f64_e32 v[16:17], v[36:37], v[4:5]
	ds_store_b128 v2, v[14:17] offset:7904
.LBB88_270:                             ;   in Loop: Header=BB88_3 Depth=1
	s_or_b32 exec_lo, exec_lo, s64
	v_mov_b64_e32 v[14:15], 0
	v_mov_b64_e32 v[16:17], 0
	s_wait_dscnt 0x0
	s_barrier_signal -1
	s_barrier_wait -1
	global_wb scope:SCOPE_DEV
	s_wait_storecnt 0x0
	global_inv scope:SCOPE_DEV
	s_and_saveexec_b32 s64, s0
	s_cbranch_execz .LBB88_274
; %bb.271:                              ;   in Loop: Header=BB88_3 Depth=1
	ds_load_b128 v[14:17], v42 offset:7904
	ds_load_b128 v[18:21], v41 offset:7360
	s_wait_dscnt 0x0
	v_mul_f64_e32 v[4:5], v[16:17], v[20:21]
	v_mul_f64_e32 v[20:21], v[14:15], v[20:21]
	s_delay_alu instid0(VALU_DEP_2) | instskip(NEXT) | instid1(VALU_DEP_2)
	v_fma_f64 v[4:5], v[14:15], v[18:19], -v[4:5]
	v_fmac_f64_e32 v[20:21], v[16:17], v[18:19]
	s_delay_alu instid0(VALU_DEP_2) | instskip(NEXT) | instid1(VALU_DEP_2)
	v_add_f64_e32 v[14:15], 0, v[4:5]
	v_add_f64_e32 v[16:17], 0, v[20:21]
	s_and_saveexec_b32 s19, s11
	s_cbranch_execz .LBB88_273
; %bb.272:                              ;   in Loop: Header=BB88_3 Depth=1
	ds_load_b128 v[18:21], v2 offset:7920
	ds_load_b128 v[36:39], v43 offset:7872
	s_wait_dscnt 0x0
	v_mul_f64_e32 v[4:5], v[20:21], v[38:39]
	v_mul_f64_e32 v[38:39], v[18:19], v[38:39]
	s_delay_alu instid0(VALU_DEP_2) | instskip(NEXT) | instid1(VALU_DEP_2)
	v_fma_f64 v[4:5], v[18:19], v[36:37], -v[4:5]
	v_fmac_f64_e32 v[38:39], v[20:21], v[36:37]
	s_delay_alu instid0(VALU_DEP_2) | instskip(NEXT) | instid1(VALU_DEP_2)
	v_add_f64_e32 v[14:15], v[14:15], v[4:5]
	v_add_f64_e32 v[16:17], v[16:17], v[38:39]
.LBB88_273:                             ;   in Loop: Header=BB88_3 Depth=1
	s_or_b32 exec_lo, exec_lo, s19
.LBB88_274:                             ;   in Loop: Header=BB88_3 Depth=1
	s_delay_alu instid0(SALU_CYCLE_1)
	s_or_b32 exec_lo, exec_lo, s64
	s_and_saveexec_b32 s19, s71
	s_cbranch_execz .LBB88_276
; %bb.275:                              ;   in Loop: Header=BB88_3 Depth=1
	ds_load_b128 v[18:21], v2 offset:6864
	s_wait_dscnt 0x0
	v_mul_f64_e32 v[4:5], v[16:17], v[20:21]
	s_delay_alu instid0(VALU_DEP_1) | instskip(SKIP_1) | instid1(VALU_DEP_1)
	v_fma_f64 v[4:5], v[14:15], v[18:19], -v[4:5]
	v_mul_f64_e32 v[36:37], v[14:15], v[20:21]
	v_fmac_f64_e32 v[36:37], v[16:17], v[18:19]
	s_delay_alu instid0(VALU_DEP_1) | instskip(NEXT) | instid1(VALU_DEP_4)
	v_mov_b32_e32 v20, v36
	v_mov_b64_e32 v[14:15], v[4:5]
	s_delay_alu instid0(VALU_DEP_3)
	v_mov_b64_e32 v[16:17], v[36:37]
	v_xor_b32_e32 v19, 0x80000000, v5
	v_xor_b32_e32 v21, 0x80000000, v37
	v_mov_b32_e32 v18, v4
	ds_store_b128 v23, v[18:21]
.LBB88_276:                             ;   in Loop: Header=BB88_3 Depth=1
	s_or_b32 exec_lo, exec_lo, s19
	s_wait_loadcnt_dscnt 0x0
	s_barrier_signal -1
	s_barrier_wait -1
	s_and_saveexec_b32 s19, s72
	s_cbranch_execz .LBB88_278
; %bb.277:                              ;   in Loop: Header=BB88_3 Depth=1
	ds_load_b128 v[18:21], v23
	ds_load_b128 v[36:39], v2 offset:6848
	s_wait_dscnt 0x0
	v_mul_f64_e32 v[4:5], v[20:21], v[38:39]
	v_mul_f64_e32 v[38:39], v[18:19], v[38:39]
	s_delay_alu instid0(VALU_DEP_2) | instskip(NEXT) | instid1(VALU_DEP_2)
	v_fma_f64 v[4:5], v[18:19], v[36:37], -v[4:5]
	v_fmac_f64_e32 v[38:39], v[20:21], v[36:37]
	s_delay_alu instid0(VALU_DEP_2) | instskip(NEXT) | instid1(VALU_DEP_2)
	v_add_f64_e64 v[14:15], v[14:15], -v[4:5]
	v_add_f64_e64 v[16:17], v[16:17], -v[38:39]
.LBB88_278:                             ;   in Loop: Header=BB88_3 Depth=1
	s_or_b32 exec_lo, exec_lo, s19
	s_barrier_signal -1
	s_barrier_wait -1
	s_and_saveexec_b32 s19, s72
	s_cbranch_execz .LBB88_280
; %bb.279:                              ;   in Loop: Header=BB88_3 Depth=1
	ds_load_b128 v[18:21], v2 offset:6336
	s_wait_dscnt 0x0
	v_mul_f64_e32 v[4:5], v[16:17], v[20:21]
	s_delay_alu instid0(VALU_DEP_1) | instskip(SKIP_1) | instid1(VALU_DEP_1)
	v_fma_f64 v[4:5], v[14:15], v[18:19], -v[4:5]
	v_mul_f64_e32 v[36:37], v[14:15], v[20:21]
	v_fmac_f64_e32 v[36:37], v[16:17], v[18:19]
	s_delay_alu instid0(VALU_DEP_1) | instskip(NEXT) | instid1(VALU_DEP_4)
	v_mov_b32_e32 v20, v36
	v_mov_b64_e32 v[14:15], v[4:5]
	s_delay_alu instid0(VALU_DEP_3)
	v_mov_b64_e32 v[16:17], v[36:37]
	v_xor_b32_e32 v19, 0x80000000, v5
	v_xor_b32_e32 v21, 0x80000000, v37
	v_mov_b32_e32 v18, v4
	ds_store_b128 v23, v[18:21]
.LBB88_280:                             ;   in Loop: Header=BB88_3 Depth=1
	s_or_b32 exec_lo, exec_lo, s19
	s_wait_dscnt 0x0
	s_barrier_signal -1
	s_barrier_wait -1
	s_barrier_signal -1
	s_barrier_wait -1
	s_and_saveexec_b32 s19, s0
; %bb.281:                              ;   in Loop: Header=BB88_3 Depth=1
	ds_store_b128 v44, v[14:17] offset:7872
; %bb.282:                              ;   in Loop: Header=BB88_3 Depth=1
	s_or_b32 exec_lo, exec_lo, s19
	s_wait_dscnt 0x0
	s_barrier_signal -1
	s_barrier_wait -1
	s_barrier_signal -1
	s_barrier_wait -1
	s_and_saveexec_b32 s64, s10
	s_cbranch_execz .LBB88_284
; %bb.283:                              ;   in Loop: Header=BB88_3 Depth=1
	ds_load_b128 v[14:17], v2 offset:6864
	ds_load_b128 v[18:21], v2 offset:6336
	;; [unrolled: 1-line block ×3, first 2 shown]
	s_wait_dscnt 0x1
	v_mul_f64_e32 v[4:5], v[14:15], v[20:21]
	v_mul_f64_e32 v[20:21], v[16:17], v[20:21]
	s_delay_alu instid0(VALU_DEP_2) | instskip(NEXT) | instid1(VALU_DEP_2)
	v_fmac_f64_e32 v[4:5], v[16:17], v[18:19]
	v_fma_f64 v[14:15], v[14:15], v[18:19], -v[20:21]
	s_wait_dscnt 0x0
	s_delay_alu instid0(VALU_DEP_2) | instskip(NEXT) | instid1(VALU_DEP_2)
	v_mul_f64_e32 v[18:19], v[4:5], v[38:39]
	v_mul_f64_e32 v[16:17], v[14:15], v[38:39]
	s_delay_alu instid0(VALU_DEP_2) | instskip(NEXT) | instid1(VALU_DEP_2)
	v_fma_f64 v[14:15], v[36:37], v[14:15], -v[18:19]
	v_fmac_f64_e32 v[16:17], v[36:37], v[4:5]
	ds_store_b128 v2, v[14:17] offset:6848
.LBB88_284:                             ;   in Loop: Header=BB88_3 Depth=1
	s_or_b32 exec_lo, exec_lo, s64
	v_mov_b64_e32 v[16:17], 0
	v_mov_b64_e32 v[14:15], 0
	s_wait_dscnt 0x0
	s_barrier_signal -1
	s_barrier_wait -1
	global_wb scope:SCOPE_DEV
	s_wait_storecnt 0x0
	global_inv scope:SCOPE_DEV
	s_and_saveexec_b32 s64, s1
	s_cbranch_execz .LBB88_290
; %bb.285:                              ;   in Loop: Header=BB88_3 Depth=1
	ds_load_b128 v[14:17], v47 offset:7872
	ds_load_b128 v[18:21], v46 offset:6272
	s_wait_dscnt 0x0
	v_mul_f64_e32 v[4:5], v[16:17], v[20:21]
	v_mul_f64_e32 v[20:21], v[14:15], v[20:21]
	s_delay_alu instid0(VALU_DEP_2) | instskip(NEXT) | instid1(VALU_DEP_2)
	v_fma_f64 v[4:5], v[14:15], v[18:19], -v[4:5]
	v_fmac_f64_e32 v[20:21], v[16:17], v[18:19]
	s_delay_alu instid0(VALU_DEP_2) | instskip(NEXT) | instid1(VALU_DEP_2)
	v_add_f64_e32 v[14:15], 0, v[4:5]
	v_add_f64_e32 v[16:17], 0, v[20:21]
	s_and_saveexec_b32 s19, s12
	s_cbranch_execnz .LBB88_534
; %bb.286:                              ;   in Loop: Header=BB88_3 Depth=1
	s_or_b32 exec_lo, exec_lo, s19
	s_and_saveexec_b32 s19, s13
	s_cbranch_execnz .LBB88_535
.LBB88_287:                             ;   in Loop: Header=BB88_3 Depth=1
	s_or_b32 exec_lo, exec_lo, s19
	s_and_saveexec_b32 s19, s0
	s_cbranch_execz .LBB88_289
.LBB88_288:                             ;   in Loop: Header=BB88_3 Depth=1
	ds_load_b128 v[18:21], v2 offset:7920
	ds_load_b128 v[36:39], v43 offset:7808
	s_wait_dscnt 0x0
	v_mul_f64_e32 v[4:5], v[20:21], v[38:39]
	v_mul_f64_e32 v[38:39], v[18:19], v[38:39]
	s_delay_alu instid0(VALU_DEP_2) | instskip(NEXT) | instid1(VALU_DEP_2)
	v_fma_f64 v[4:5], v[18:19], v[36:37], -v[4:5]
	v_fmac_f64_e32 v[38:39], v[20:21], v[36:37]
	s_delay_alu instid0(VALU_DEP_2) | instskip(NEXT) | instid1(VALU_DEP_2)
	v_add_f64_e32 v[14:15], v[14:15], v[4:5]
	v_add_f64_e32 v[16:17], v[16:17], v[38:39]
.LBB88_289:                             ;   in Loop: Header=BB88_3 Depth=1
	s_or_b32 exec_lo, exec_lo, s19
.LBB88_290:                             ;   in Loop: Header=BB88_3 Depth=1
	s_delay_alu instid0(SALU_CYCLE_1)
	s_or_b32 exec_lo, exec_lo, s64
	s_and_saveexec_b32 s19, s73
	s_cbranch_execz .LBB88_292
; %bb.291:                              ;   in Loop: Header=BB88_3 Depth=1
	ds_load_b128 v[18:21], v2 offset:5808
	s_wait_dscnt 0x0
	v_mul_f64_e32 v[4:5], v[16:17], v[20:21]
	s_delay_alu instid0(VALU_DEP_1) | instskip(SKIP_1) | instid1(VALU_DEP_1)
	v_fma_f64 v[4:5], v[14:15], v[18:19], -v[4:5]
	v_mul_f64_e32 v[36:37], v[14:15], v[20:21]
	v_fmac_f64_e32 v[36:37], v[16:17], v[18:19]
	s_delay_alu instid0(VALU_DEP_1) | instskip(NEXT) | instid1(VALU_DEP_4)
	v_mov_b32_e32 v20, v36
	v_mov_b64_e32 v[14:15], v[4:5]
	s_delay_alu instid0(VALU_DEP_3)
	v_mov_b64_e32 v[16:17], v[36:37]
	v_xor_b32_e32 v19, 0x80000000, v5
	v_xor_b32_e32 v21, 0x80000000, v37
	v_mov_b32_e32 v18, v4
	ds_store_b128 v45, v[18:21]
.LBB88_292:                             ;   in Loop: Header=BB88_3 Depth=1
	s_or_b32 exec_lo, exec_lo, s19
	s_wait_loadcnt_dscnt 0x0
	s_barrier_signal -1
	s_barrier_wait -1
	s_and_saveexec_b32 s19, s74
	s_cbranch_execz .LBB88_294
; %bb.293:                              ;   in Loop: Header=BB88_3 Depth=1
	ds_load_b128 v[18:21], v45
	ds_load_b128 v[36:39], v46 offset:5760
	s_wait_dscnt 0x0
	v_mul_f64_e32 v[4:5], v[20:21], v[38:39]
	v_mul_f64_e32 v[38:39], v[18:19], v[38:39]
	s_delay_alu instid0(VALU_DEP_2) | instskip(NEXT) | instid1(VALU_DEP_2)
	v_fma_f64 v[4:5], v[18:19], v[36:37], -v[4:5]
	v_fmac_f64_e32 v[38:39], v[20:21], v[36:37]
	s_delay_alu instid0(VALU_DEP_2) | instskip(NEXT) | instid1(VALU_DEP_2)
	v_add_f64_e64 v[14:15], v[14:15], -v[4:5]
	v_add_f64_e64 v[16:17], v[16:17], -v[38:39]
.LBB88_294:                             ;   in Loop: Header=BB88_3 Depth=1
	s_or_b32 exec_lo, exec_lo, s19
	s_barrier_signal -1
	s_barrier_wait -1
	s_and_saveexec_b32 s19, s75
	s_cbranch_execz .LBB88_296
; %bb.295:                              ;   in Loop: Header=BB88_3 Depth=1
	ds_load_b128 v[18:21], v2 offset:5280
	s_wait_dscnt 0x0
	v_mul_f64_e32 v[4:5], v[16:17], v[20:21]
	s_delay_alu instid0(VALU_DEP_1) | instskip(SKIP_1) | instid1(VALU_DEP_1)
	v_fma_f64 v[4:5], v[14:15], v[18:19], -v[4:5]
	v_mul_f64_e32 v[36:37], v[14:15], v[20:21]
	v_fmac_f64_e32 v[36:37], v[16:17], v[18:19]
	s_delay_alu instid0(VALU_DEP_1) | instskip(NEXT) | instid1(VALU_DEP_4)
	v_mov_b32_e32 v20, v36
	v_mov_b64_e32 v[14:15], v[4:5]
	s_delay_alu instid0(VALU_DEP_3)
	v_mov_b64_e32 v[16:17], v[36:37]
	v_xor_b32_e32 v19, 0x80000000, v5
	v_xor_b32_e32 v21, 0x80000000, v37
	v_mov_b32_e32 v18, v4
	ds_store_b128 v45, v[18:21]
.LBB88_296:                             ;   in Loop: Header=BB88_3 Depth=1
	s_or_b32 exec_lo, exec_lo, s19
	s_wait_dscnt 0x0
	s_barrier_signal -1
	s_barrier_wait -1
	s_and_saveexec_b32 s19, s76
	s_cbranch_execz .LBB88_298
; %bb.297:                              ;   in Loop: Header=BB88_3 Depth=1
	ds_load_b128 v[18:21], v45
	ds_load_b128 v[36:39], v46 offset:5248
	s_wait_dscnt 0x0
	v_mul_f64_e32 v[4:5], v[20:21], v[38:39]
	v_mul_f64_e32 v[38:39], v[18:19], v[38:39]
	s_delay_alu instid0(VALU_DEP_2) | instskip(NEXT) | instid1(VALU_DEP_2)
	v_fma_f64 v[4:5], v[18:19], v[36:37], -v[4:5]
	v_fmac_f64_e32 v[38:39], v[20:21], v[36:37]
	s_delay_alu instid0(VALU_DEP_2) | instskip(NEXT) | instid1(VALU_DEP_2)
	v_add_f64_e64 v[14:15], v[14:15], -v[4:5]
	v_add_f64_e64 v[16:17], v[16:17], -v[38:39]
.LBB88_298:                             ;   in Loop: Header=BB88_3 Depth=1
	s_or_b32 exec_lo, exec_lo, s19
	s_barrier_signal -1
	s_barrier_wait -1
	s_and_saveexec_b32 s19, s77
	s_cbranch_execz .LBB88_300
; %bb.299:                              ;   in Loop: Header=BB88_3 Depth=1
	ds_load_b128 v[18:21], v2 offset:4752
	s_wait_dscnt 0x0
	v_mul_f64_e32 v[4:5], v[16:17], v[20:21]
	s_delay_alu instid0(VALU_DEP_1) | instskip(SKIP_1) | instid1(VALU_DEP_1)
	v_fma_f64 v[4:5], v[14:15], v[18:19], -v[4:5]
	v_mul_f64_e32 v[36:37], v[14:15], v[20:21]
	v_fmac_f64_e32 v[36:37], v[16:17], v[18:19]
	s_delay_alu instid0(VALU_DEP_1) | instskip(NEXT) | instid1(VALU_DEP_4)
	v_mov_b32_e32 v20, v36
	v_mov_b64_e32 v[14:15], v[4:5]
	s_delay_alu instid0(VALU_DEP_3)
	v_mov_b64_e32 v[16:17], v[36:37]
	v_xor_b32_e32 v19, 0x80000000, v5
	v_xor_b32_e32 v21, 0x80000000, v37
	v_mov_b32_e32 v18, v4
	ds_store_b128 v45, v[18:21]
.LBB88_300:                             ;   in Loop: Header=BB88_3 Depth=1
	s_or_b32 exec_lo, exec_lo, s19
	s_wait_dscnt 0x0
	;; [unrolled: 42-line block ×3, first 2 shown]
	s_barrier_signal -1
	s_barrier_wait -1
	s_barrier_signal -1
	s_barrier_wait -1
	s_and_saveexec_b32 s19, s1
; %bb.305:                              ;   in Loop: Header=BB88_3 Depth=1
	ds_store_b128 v48, v[14:17] offset:7808
; %bb.306:                              ;   in Loop: Header=BB88_3 Depth=1
	s_or_b32 exec_lo, exec_lo, s19
	s_wait_dscnt 0x0
	s_barrier_signal -1
	s_barrier_wait -1
	s_barrier_signal -1
	s_barrier_wait -1
	s_and_saveexec_b32 s64, s10
	s_cbranch_execz .LBB88_308
; %bb.307:                              ;   in Loop: Header=BB88_3 Depth=1
	ds_load_b128 v[14:17], v2 offset:5808
	ds_load_b128 v[18:21], v2 offset:5280
	;; [unrolled: 1-line block ×3, first 2 shown]
	s_wait_dscnt 0x1
	v_mul_f64_e32 v[4:5], v[14:15], v[20:21]
	v_mul_f64_e32 v[20:21], v[16:17], v[20:21]
	s_delay_alu instid0(VALU_DEP_2) | instskip(NEXT) | instid1(VALU_DEP_2)
	v_fmac_f64_e32 v[4:5], v[16:17], v[18:19]
	v_fma_f64 v[14:15], v[14:15], v[18:19], -v[20:21]
	s_wait_dscnt 0x0
	s_delay_alu instid0(VALU_DEP_2) | instskip(NEXT) | instid1(VALU_DEP_2)
	v_mul_f64_e32 v[18:19], v[4:5], v[38:39]
	v_mul_f64_e32 v[16:17], v[14:15], v[38:39]
	s_delay_alu instid0(VALU_DEP_2) | instskip(NEXT) | instid1(VALU_DEP_2)
	v_fma_f64 v[14:15], v[36:37], v[14:15], -v[18:19]
	v_fmac_f64_e32 v[16:17], v[36:37], v[4:5]
	ds_store_b128 v2, v[14:17] offset:5792
.LBB88_308:                             ;   in Loop: Header=BB88_3 Depth=1
	s_or_b32 exec_lo, exec_lo, s64
	v_mov_b64_e32 v[14:15], 0
	v_mov_b64_e32 v[16:17], 0
	s_wait_dscnt 0x0
	s_barrier_signal -1
	s_barrier_wait -1
	global_wb scope:SCOPE_DEV
	s_wait_storecnt 0x0
	global_inv scope:SCOPE_DEV
	s_and_saveexec_b32 s64, s0
	s_cbranch_execz .LBB88_312
; %bb.309:                              ;   in Loop: Header=BB88_3 Depth=1
	ds_load_b128 v[14:17], v42 offset:5792
	ds_load_b128 v[18:21], v41 offset:5248
	s_wait_dscnt 0x0
	v_mul_f64_e32 v[4:5], v[16:17], v[20:21]
	v_mul_f64_e32 v[20:21], v[14:15], v[20:21]
	s_delay_alu instid0(VALU_DEP_2) | instskip(NEXT) | instid1(VALU_DEP_2)
	v_fma_f64 v[4:5], v[14:15], v[18:19], -v[4:5]
	v_fmac_f64_e32 v[20:21], v[16:17], v[18:19]
	s_delay_alu instid0(VALU_DEP_2) | instskip(NEXT) | instid1(VALU_DEP_2)
	v_add_f64_e32 v[14:15], 0, v[4:5]
	v_add_f64_e32 v[16:17], 0, v[20:21]
	s_and_saveexec_b32 s19, s11
	s_cbranch_execz .LBB88_311
; %bb.310:                              ;   in Loop: Header=BB88_3 Depth=1
	ds_load_b128 v[18:21], v2 offset:5808
	ds_load_b128 v[36:39], v43 offset:5760
	s_wait_dscnt 0x0
	v_mul_f64_e32 v[4:5], v[20:21], v[38:39]
	v_mul_f64_e32 v[38:39], v[18:19], v[38:39]
	s_delay_alu instid0(VALU_DEP_2) | instskip(NEXT) | instid1(VALU_DEP_2)
	v_fma_f64 v[4:5], v[18:19], v[36:37], -v[4:5]
	v_fmac_f64_e32 v[38:39], v[20:21], v[36:37]
	s_delay_alu instid0(VALU_DEP_2) | instskip(NEXT) | instid1(VALU_DEP_2)
	v_add_f64_e32 v[14:15], v[14:15], v[4:5]
	v_add_f64_e32 v[16:17], v[16:17], v[38:39]
.LBB88_311:                             ;   in Loop: Header=BB88_3 Depth=1
	s_or_b32 exec_lo, exec_lo, s19
.LBB88_312:                             ;   in Loop: Header=BB88_3 Depth=1
	s_delay_alu instid0(SALU_CYCLE_1)
	s_or_b32 exec_lo, exec_lo, s64
	s_and_saveexec_b32 s19, s71
	s_cbranch_execz .LBB88_314
; %bb.313:                              ;   in Loop: Header=BB88_3 Depth=1
	ds_load_b128 v[18:21], v2 offset:4752
	s_wait_dscnt 0x0
	v_mul_f64_e32 v[4:5], v[16:17], v[20:21]
	s_delay_alu instid0(VALU_DEP_1) | instskip(SKIP_1) | instid1(VALU_DEP_1)
	v_fma_f64 v[4:5], v[14:15], v[18:19], -v[4:5]
	v_mul_f64_e32 v[36:37], v[14:15], v[20:21]
	v_fmac_f64_e32 v[36:37], v[16:17], v[18:19]
	s_delay_alu instid0(VALU_DEP_1) | instskip(NEXT) | instid1(VALU_DEP_4)
	v_mov_b32_e32 v20, v36
	v_mov_b64_e32 v[14:15], v[4:5]
	s_delay_alu instid0(VALU_DEP_3)
	v_mov_b64_e32 v[16:17], v[36:37]
	v_xor_b32_e32 v19, 0x80000000, v5
	v_xor_b32_e32 v21, 0x80000000, v37
	v_mov_b32_e32 v18, v4
	ds_store_b128 v23, v[18:21]
.LBB88_314:                             ;   in Loop: Header=BB88_3 Depth=1
	s_or_b32 exec_lo, exec_lo, s19
	s_wait_loadcnt_dscnt 0x0
	s_barrier_signal -1
	s_barrier_wait -1
	s_and_saveexec_b32 s19, s72
	s_cbranch_execz .LBB88_316
; %bb.315:                              ;   in Loop: Header=BB88_3 Depth=1
	ds_load_b128 v[18:21], v23
	ds_load_b128 v[36:39], v2 offset:4736
	s_wait_dscnt 0x0
	v_mul_f64_e32 v[4:5], v[20:21], v[38:39]
	v_mul_f64_e32 v[38:39], v[18:19], v[38:39]
	s_delay_alu instid0(VALU_DEP_2) | instskip(NEXT) | instid1(VALU_DEP_2)
	v_fma_f64 v[4:5], v[18:19], v[36:37], -v[4:5]
	v_fmac_f64_e32 v[38:39], v[20:21], v[36:37]
	s_delay_alu instid0(VALU_DEP_2) | instskip(NEXT) | instid1(VALU_DEP_2)
	v_add_f64_e64 v[14:15], v[14:15], -v[4:5]
	v_add_f64_e64 v[16:17], v[16:17], -v[38:39]
.LBB88_316:                             ;   in Loop: Header=BB88_3 Depth=1
	s_or_b32 exec_lo, exec_lo, s19
	s_barrier_signal -1
	s_barrier_wait -1
	s_and_saveexec_b32 s19, s72
	s_cbranch_execz .LBB88_318
; %bb.317:                              ;   in Loop: Header=BB88_3 Depth=1
	ds_load_b128 v[18:21], v2 offset:4224
	s_wait_dscnt 0x0
	v_mul_f64_e32 v[4:5], v[16:17], v[20:21]
	s_delay_alu instid0(VALU_DEP_1) | instskip(SKIP_1) | instid1(VALU_DEP_1)
	v_fma_f64 v[4:5], v[14:15], v[18:19], -v[4:5]
	v_mul_f64_e32 v[36:37], v[14:15], v[20:21]
	v_fmac_f64_e32 v[36:37], v[16:17], v[18:19]
	s_delay_alu instid0(VALU_DEP_1) | instskip(NEXT) | instid1(VALU_DEP_4)
	v_mov_b32_e32 v20, v36
	v_mov_b64_e32 v[14:15], v[4:5]
	s_delay_alu instid0(VALU_DEP_3)
	v_mov_b64_e32 v[16:17], v[36:37]
	v_xor_b32_e32 v19, 0x80000000, v5
	v_xor_b32_e32 v21, 0x80000000, v37
	v_mov_b32_e32 v18, v4
	ds_store_b128 v23, v[18:21]
.LBB88_318:                             ;   in Loop: Header=BB88_3 Depth=1
	s_or_b32 exec_lo, exec_lo, s19
	s_wait_dscnt 0x0
	s_barrier_signal -1
	s_barrier_wait -1
	s_barrier_signal -1
	s_barrier_wait -1
	s_and_saveexec_b32 s19, s0
; %bb.319:                              ;   in Loop: Header=BB88_3 Depth=1
	ds_store_b128 v44, v[14:17] offset:5760
; %bb.320:                              ;   in Loop: Header=BB88_3 Depth=1
	s_or_b32 exec_lo, exec_lo, s19
	s_wait_dscnt 0x0
	s_barrier_signal -1
	s_barrier_wait -1
	s_barrier_signal -1
	s_barrier_wait -1
	s_and_saveexec_b32 s64, s10
	s_cbranch_execz .LBB88_322
; %bb.321:                              ;   in Loop: Header=BB88_3 Depth=1
	ds_load_b128 v[14:17], v2 offset:4752
	ds_load_b128 v[18:21], v2 offset:4224
	;; [unrolled: 1-line block ×3, first 2 shown]
	s_wait_dscnt 0x1
	v_mul_f64_e32 v[4:5], v[14:15], v[20:21]
	v_mul_f64_e32 v[20:21], v[16:17], v[20:21]
	s_delay_alu instid0(VALU_DEP_2) | instskip(NEXT) | instid1(VALU_DEP_2)
	v_fmac_f64_e32 v[4:5], v[16:17], v[18:19]
	v_fma_f64 v[14:15], v[14:15], v[18:19], -v[20:21]
	s_wait_dscnt 0x0
	s_delay_alu instid0(VALU_DEP_2) | instskip(NEXT) | instid1(VALU_DEP_2)
	v_mul_f64_e32 v[18:19], v[4:5], v[38:39]
	v_mul_f64_e32 v[16:17], v[14:15], v[38:39]
	s_delay_alu instid0(VALU_DEP_2) | instskip(NEXT) | instid1(VALU_DEP_2)
	v_fma_f64 v[14:15], v[36:37], v[14:15], -v[18:19]
	v_fmac_f64_e32 v[16:17], v[36:37], v[4:5]
	ds_store_b128 v2, v[14:17] offset:4736
.LBB88_322:                             ;   in Loop: Header=BB88_3 Depth=1
	s_or_b32 exec_lo, exec_lo, s64
	v_mov_b64_e32 v[16:17], 0
	v_mov_b64_e32 v[14:15], 0
	s_wait_dscnt 0x0
	s_barrier_signal -1
	s_barrier_wait -1
	global_wb scope:SCOPE_DEV
	s_wait_storecnt 0x0
	global_inv scope:SCOPE_DEV
	s_and_saveexec_b32 s64, s2
	s_cbranch_execz .LBB88_332
; %bb.323:                              ;   in Loop: Header=BB88_3 Depth=1
	ds_load_b128 v[14:17], v51 offset:7808
	ds_load_b128 v[18:21], v50 offset:4096
	s_wait_dscnt 0x0
	v_mul_f64_e32 v[4:5], v[16:17], v[20:21]
	v_mul_f64_e32 v[20:21], v[14:15], v[20:21]
	s_delay_alu instid0(VALU_DEP_2) | instskip(NEXT) | instid1(VALU_DEP_2)
	v_fma_f64 v[4:5], v[14:15], v[18:19], -v[4:5]
	v_fmac_f64_e32 v[20:21], v[16:17], v[18:19]
	s_delay_alu instid0(VALU_DEP_2) | instskip(NEXT) | instid1(VALU_DEP_2)
	v_add_f64_e32 v[14:15], 0, v[4:5]
	v_add_f64_e32 v[16:17], 0, v[20:21]
	s_and_saveexec_b32 s19, s14
	s_cbranch_execnz .LBB88_536
; %bb.324:                              ;   in Loop: Header=BB88_3 Depth=1
	s_or_b32 exec_lo, exec_lo, s19
	s_and_saveexec_b32 s19, s15
	s_cbranch_execnz .LBB88_537
.LBB88_325:                             ;   in Loop: Header=BB88_3 Depth=1
	s_or_b32 exec_lo, exec_lo, s19
	s_and_saveexec_b32 s19, s16
	s_cbranch_execnz .LBB88_538
.LBB88_326:                             ;   in Loop: Header=BB88_3 Depth=1
	s_or_b32 exec_lo, exec_lo, s19
	s_and_saveexec_b32 s19, s17
	s_cbranch_execnz .LBB88_539
.LBB88_327:                             ;   in Loop: Header=BB88_3 Depth=1
	s_or_b32 exec_lo, exec_lo, s19
	s_and_saveexec_b32 s19, s18
	s_cbranch_execnz .LBB88_540
.LBB88_328:                             ;   in Loop: Header=BB88_3 Depth=1
	s_or_b32 exec_lo, exec_lo, s19
	s_and_saveexec_b32 s19, s1
	s_cbranch_execnz .LBB88_541
.LBB88_329:                             ;   in Loop: Header=BB88_3 Depth=1
	s_or_b32 exec_lo, exec_lo, s19
	s_and_saveexec_b32 s19, s13
	s_cbranch_execz .LBB88_331
.LBB88_330:                             ;   in Loop: Header=BB88_3 Depth=1
	ds_load_b128 v[18:21], v2 offset:7920
	ds_load_b128 v[36:39], v43 offset:7680
	s_wait_dscnt 0x0
	v_mul_f64_e32 v[4:5], v[20:21], v[38:39]
	v_mul_f64_e32 v[38:39], v[18:19], v[38:39]
	s_delay_alu instid0(VALU_DEP_2) | instskip(NEXT) | instid1(VALU_DEP_2)
	v_fma_f64 v[4:5], v[18:19], v[36:37], -v[4:5]
	v_fmac_f64_e32 v[38:39], v[20:21], v[36:37]
	s_delay_alu instid0(VALU_DEP_2) | instskip(NEXT) | instid1(VALU_DEP_2)
	v_add_f64_e32 v[14:15], v[14:15], v[4:5]
	v_add_f64_e32 v[16:17], v[16:17], v[38:39]
.LBB88_331:                             ;   in Loop: Header=BB88_3 Depth=1
	s_or_b32 exec_lo, exec_lo, s19
.LBB88_332:                             ;   in Loop: Header=BB88_3 Depth=1
	s_delay_alu instid0(SALU_CYCLE_1)
	s_or_b32 exec_lo, exec_lo, s64
	s_and_saveexec_b32 s19, s79
	s_cbranch_execz .LBB88_334
; %bb.333:                              ;   in Loop: Header=BB88_3 Depth=1
	ds_load_b128 v[18:21], v2 offset:3696
	s_wait_dscnt 0x0
	v_mul_f64_e32 v[4:5], v[16:17], v[20:21]
	s_delay_alu instid0(VALU_DEP_1) | instskip(SKIP_1) | instid1(VALU_DEP_1)
	v_fma_f64 v[4:5], v[14:15], v[18:19], -v[4:5]
	v_mul_f64_e32 v[36:37], v[14:15], v[20:21]
	v_fmac_f64_e32 v[36:37], v[16:17], v[18:19]
	s_delay_alu instid0(VALU_DEP_1) | instskip(NEXT) | instid1(VALU_DEP_4)
	v_mov_b32_e32 v20, v36
	v_mov_b64_e32 v[14:15], v[4:5]
	s_delay_alu instid0(VALU_DEP_3)
	v_mov_b64_e32 v[16:17], v[36:37]
	v_xor_b32_e32 v19, 0x80000000, v5
	v_xor_b32_e32 v21, 0x80000000, v37
	v_mov_b32_e32 v18, v4
	ds_store_b128 v49, v[18:21]
.LBB88_334:                             ;   in Loop: Header=BB88_3 Depth=1
	s_or_b32 exec_lo, exec_lo, s19
	s_wait_loadcnt_dscnt 0x0
	s_barrier_signal -1
	s_barrier_wait -1
	s_and_saveexec_b32 s19, s80
	s_cbranch_execz .LBB88_336
; %bb.335:                              ;   in Loop: Header=BB88_3 Depth=1
	ds_load_b128 v[18:21], v49
	ds_load_b128 v[36:39], v50 offset:3584
	s_wait_dscnt 0x0
	v_mul_f64_e32 v[4:5], v[20:21], v[38:39]
	v_mul_f64_e32 v[38:39], v[18:19], v[38:39]
	s_delay_alu instid0(VALU_DEP_2) | instskip(NEXT) | instid1(VALU_DEP_2)
	v_fma_f64 v[4:5], v[18:19], v[36:37], -v[4:5]
	v_fmac_f64_e32 v[38:39], v[20:21], v[36:37]
	s_delay_alu instid0(VALU_DEP_2) | instskip(NEXT) | instid1(VALU_DEP_2)
	v_add_f64_e64 v[14:15], v[14:15], -v[4:5]
	v_add_f64_e64 v[16:17], v[16:17], -v[38:39]
.LBB88_336:                             ;   in Loop: Header=BB88_3 Depth=1
	s_or_b32 exec_lo, exec_lo, s19
	s_barrier_signal -1
	s_barrier_wait -1
	s_and_saveexec_b32 s19, s81
	s_cbranch_execz .LBB88_338
; %bb.337:                              ;   in Loop: Header=BB88_3 Depth=1
	ds_load_b128 v[18:21], v2 offset:3168
	s_wait_dscnt 0x0
	v_mul_f64_e32 v[4:5], v[16:17], v[20:21]
	s_delay_alu instid0(VALU_DEP_1) | instskip(SKIP_1) | instid1(VALU_DEP_1)
	v_fma_f64 v[4:5], v[14:15], v[18:19], -v[4:5]
	v_mul_f64_e32 v[36:37], v[14:15], v[20:21]
	v_fmac_f64_e32 v[36:37], v[16:17], v[18:19]
	s_delay_alu instid0(VALU_DEP_1) | instskip(NEXT) | instid1(VALU_DEP_4)
	v_mov_b32_e32 v20, v36
	v_mov_b64_e32 v[14:15], v[4:5]
	s_delay_alu instid0(VALU_DEP_3)
	v_mov_b64_e32 v[16:17], v[36:37]
	v_xor_b32_e32 v19, 0x80000000, v5
	v_xor_b32_e32 v21, 0x80000000, v37
	v_mov_b32_e32 v18, v4
	ds_store_b128 v49, v[18:21]
.LBB88_338:                             ;   in Loop: Header=BB88_3 Depth=1
	s_or_b32 exec_lo, exec_lo, s19
	s_wait_dscnt 0x0
	s_barrier_signal -1
	s_barrier_wait -1
	s_and_saveexec_b32 s19, s82
	s_cbranch_execz .LBB88_340
; %bb.339:                              ;   in Loop: Header=BB88_3 Depth=1
	ds_load_b128 v[18:21], v49
	ds_load_b128 v[36:39], v50 offset:3072
	s_wait_dscnt 0x0
	v_mul_f64_e32 v[4:5], v[20:21], v[38:39]
	v_mul_f64_e32 v[38:39], v[18:19], v[38:39]
	s_delay_alu instid0(VALU_DEP_2) | instskip(NEXT) | instid1(VALU_DEP_2)
	v_fma_f64 v[4:5], v[18:19], v[36:37], -v[4:5]
	v_fmac_f64_e32 v[38:39], v[20:21], v[36:37]
	s_delay_alu instid0(VALU_DEP_2) | instskip(NEXT) | instid1(VALU_DEP_2)
	v_add_f64_e64 v[14:15], v[14:15], -v[4:5]
	v_add_f64_e64 v[16:17], v[16:17], -v[38:39]
.LBB88_340:                             ;   in Loop: Header=BB88_3 Depth=1
	s_or_b32 exec_lo, exec_lo, s19
	s_barrier_signal -1
	s_barrier_wait -1
	s_and_saveexec_b32 s19, s83
	s_cbranch_execz .LBB88_342
; %bb.341:                              ;   in Loop: Header=BB88_3 Depth=1
	ds_load_b128 v[18:21], v2 offset:2640
	s_wait_dscnt 0x0
	v_mul_f64_e32 v[4:5], v[16:17], v[20:21]
	s_delay_alu instid0(VALU_DEP_1) | instskip(SKIP_1) | instid1(VALU_DEP_1)
	v_fma_f64 v[4:5], v[14:15], v[18:19], -v[4:5]
	v_mul_f64_e32 v[36:37], v[14:15], v[20:21]
	v_fmac_f64_e32 v[36:37], v[16:17], v[18:19]
	s_delay_alu instid0(VALU_DEP_1) | instskip(NEXT) | instid1(VALU_DEP_4)
	v_mov_b32_e32 v20, v36
	v_mov_b64_e32 v[14:15], v[4:5]
	s_delay_alu instid0(VALU_DEP_3)
	v_mov_b64_e32 v[16:17], v[36:37]
	v_xor_b32_e32 v19, 0x80000000, v5
	v_xor_b32_e32 v21, 0x80000000, v37
	v_mov_b32_e32 v18, v4
	ds_store_b128 v49, v[18:21]
.LBB88_342:                             ;   in Loop: Header=BB88_3 Depth=1
	s_or_b32 exec_lo, exec_lo, s19
	s_wait_dscnt 0x0
	;; [unrolled: 42-line block ×6, first 2 shown]
	s_barrier_signal -1
	s_barrier_wait -1
	s_and_saveexec_b32 s19, s92
	s_cbranch_execz .LBB88_360
; %bb.359:                              ;   in Loop: Header=BB88_3 Depth=1
	ds_load_b128 v[18:21], v49
	ds_load_b128 v[36:39], v2 offset:512
	s_wait_dscnt 0x0
	v_mul_f64_e32 v[4:5], v[20:21], v[38:39]
	v_mul_f64_e32 v[38:39], v[18:19], v[38:39]
	s_delay_alu instid0(VALU_DEP_2) | instskip(NEXT) | instid1(VALU_DEP_2)
	v_fma_f64 v[4:5], v[18:19], v[36:37], -v[4:5]
	v_fmac_f64_e32 v[38:39], v[20:21], v[36:37]
	s_delay_alu instid0(VALU_DEP_2) | instskip(NEXT) | instid1(VALU_DEP_2)
	v_add_f64_e64 v[14:15], v[14:15], -v[4:5]
	v_add_f64_e64 v[16:17], v[16:17], -v[38:39]
.LBB88_360:                             ;   in Loop: Header=BB88_3 Depth=1
	s_or_b32 exec_lo, exec_lo, s19
	s_barrier_signal -1
	s_barrier_wait -1
	s_and_saveexec_b32 s19, s92
	s_cbranch_execz .LBB88_362
; %bb.361:                              ;   in Loop: Header=BB88_3 Depth=1
	ds_load_b128 v[18:21], v2
	s_wait_dscnt 0x0
	v_mul_f64_e32 v[4:5], v[16:17], v[20:21]
	s_delay_alu instid0(VALU_DEP_1) | instskip(SKIP_1) | instid1(VALU_DEP_1)
	v_fma_f64 v[4:5], v[14:15], v[18:19], -v[4:5]
	v_mul_f64_e32 v[36:37], v[14:15], v[20:21]
	v_fmac_f64_e32 v[36:37], v[16:17], v[18:19]
	s_delay_alu instid0(VALU_DEP_1) | instskip(NEXT) | instid1(VALU_DEP_4)
	v_mov_b32_e32 v20, v36
	v_mov_b64_e32 v[14:15], v[4:5]
	s_delay_alu instid0(VALU_DEP_3)
	v_mov_b64_e32 v[16:17], v[36:37]
	v_xor_b32_e32 v19, 0x80000000, v5
	v_xor_b32_e32 v21, 0x80000000, v37
	v_mov_b32_e32 v18, v4
	ds_store_b128 v49, v[18:21]
.LBB88_362:                             ;   in Loop: Header=BB88_3 Depth=1
	s_or_b32 exec_lo, exec_lo, s19
	s_wait_dscnt 0x0
	s_barrier_signal -1
	s_barrier_wait -1
	s_barrier_signal -1
	s_barrier_wait -1
	s_and_saveexec_b32 s19, s2
; %bb.363:                              ;   in Loop: Header=BB88_3 Depth=1
	ds_store_b128 v52, v[14:17] offset:7680
; %bb.364:                              ;   in Loop: Header=BB88_3 Depth=1
	s_or_b32 exec_lo, exec_lo, s19
	s_wait_dscnt 0x0
	s_barrier_signal -1
	s_barrier_wait -1
	s_barrier_signal -1
	s_barrier_wait -1
	s_and_saveexec_b32 s64, s10
	s_cbranch_execz .LBB88_366
; %bb.365:                              ;   in Loop: Header=BB88_3 Depth=1
	ds_load_b128 v[14:17], v2 offset:3696
	ds_load_b128 v[18:21], v2 offset:3168
	;; [unrolled: 1-line block ×3, first 2 shown]
	s_wait_dscnt 0x1
	v_mul_f64_e32 v[4:5], v[14:15], v[20:21]
	v_mul_f64_e32 v[20:21], v[16:17], v[20:21]
	s_delay_alu instid0(VALU_DEP_2) | instskip(NEXT) | instid1(VALU_DEP_2)
	v_fmac_f64_e32 v[4:5], v[16:17], v[18:19]
	v_fma_f64 v[14:15], v[14:15], v[18:19], -v[20:21]
	s_wait_dscnt 0x0
	s_delay_alu instid0(VALU_DEP_2) | instskip(NEXT) | instid1(VALU_DEP_2)
	v_mul_f64_e32 v[18:19], v[4:5], v[38:39]
	v_mul_f64_e32 v[16:17], v[14:15], v[38:39]
	s_delay_alu instid0(VALU_DEP_2) | instskip(NEXT) | instid1(VALU_DEP_2)
	v_fma_f64 v[14:15], v[36:37], v[14:15], -v[18:19]
	v_fmac_f64_e32 v[16:17], v[36:37], v[4:5]
	ds_store_b128 v2, v[14:17] offset:3680
.LBB88_366:                             ;   in Loop: Header=BB88_3 Depth=1
	s_or_b32 exec_lo, exec_lo, s64
	v_mov_b64_e32 v[14:15], 0
	v_mov_b64_e32 v[16:17], 0
	s_wait_dscnt 0x0
	s_barrier_signal -1
	s_barrier_wait -1
	global_wb scope:SCOPE_DEV
	s_wait_storecnt 0x0
	global_inv scope:SCOPE_DEV
	s_and_saveexec_b32 s64, s0
	s_cbranch_execz .LBB88_370
; %bb.367:                              ;   in Loop: Header=BB88_3 Depth=1
	ds_load_b128 v[14:17], v42 offset:3680
	ds_load_b128 v[18:21], v41 offset:3136
	s_wait_dscnt 0x0
	v_mul_f64_e32 v[4:5], v[16:17], v[20:21]
	v_mul_f64_e32 v[20:21], v[14:15], v[20:21]
	s_delay_alu instid0(VALU_DEP_2) | instskip(NEXT) | instid1(VALU_DEP_2)
	v_fma_f64 v[4:5], v[14:15], v[18:19], -v[4:5]
	v_fmac_f64_e32 v[20:21], v[16:17], v[18:19]
	s_delay_alu instid0(VALU_DEP_2) | instskip(NEXT) | instid1(VALU_DEP_2)
	v_add_f64_e32 v[14:15], 0, v[4:5]
	v_add_f64_e32 v[16:17], 0, v[20:21]
	s_and_saveexec_b32 s19, s11
	s_cbranch_execz .LBB88_369
; %bb.368:                              ;   in Loop: Header=BB88_3 Depth=1
	ds_load_b128 v[18:21], v2 offset:3696
	ds_load_b128 v[36:39], v43 offset:3648
	s_wait_dscnt 0x0
	v_mul_f64_e32 v[4:5], v[20:21], v[38:39]
	v_mul_f64_e32 v[38:39], v[18:19], v[38:39]
	s_delay_alu instid0(VALU_DEP_2) | instskip(NEXT) | instid1(VALU_DEP_2)
	v_fma_f64 v[4:5], v[18:19], v[36:37], -v[4:5]
	v_fmac_f64_e32 v[38:39], v[20:21], v[36:37]
	s_delay_alu instid0(VALU_DEP_2) | instskip(NEXT) | instid1(VALU_DEP_2)
	v_add_f64_e32 v[14:15], v[14:15], v[4:5]
	v_add_f64_e32 v[16:17], v[16:17], v[38:39]
.LBB88_369:                             ;   in Loop: Header=BB88_3 Depth=1
	s_or_b32 exec_lo, exec_lo, s19
.LBB88_370:                             ;   in Loop: Header=BB88_3 Depth=1
	s_delay_alu instid0(SALU_CYCLE_1)
	s_or_b32 exec_lo, exec_lo, s64
	s_and_saveexec_b32 s19, s71
	s_cbranch_execz .LBB88_372
; %bb.371:                              ;   in Loop: Header=BB88_3 Depth=1
	ds_load_b128 v[18:21], v2 offset:2640
	s_wait_dscnt 0x0
	v_mul_f64_e32 v[4:5], v[16:17], v[20:21]
	s_delay_alu instid0(VALU_DEP_1) | instskip(SKIP_1) | instid1(VALU_DEP_1)
	v_fma_f64 v[4:5], v[14:15], v[18:19], -v[4:5]
	v_mul_f64_e32 v[36:37], v[14:15], v[20:21]
	v_fmac_f64_e32 v[36:37], v[16:17], v[18:19]
	s_delay_alu instid0(VALU_DEP_1) | instskip(NEXT) | instid1(VALU_DEP_4)
	v_mov_b32_e32 v20, v36
	v_mov_b64_e32 v[14:15], v[4:5]
	s_delay_alu instid0(VALU_DEP_3)
	v_mov_b64_e32 v[16:17], v[36:37]
	v_xor_b32_e32 v19, 0x80000000, v5
	v_xor_b32_e32 v21, 0x80000000, v37
	v_mov_b32_e32 v18, v4
	ds_store_b128 v23, v[18:21]
.LBB88_372:                             ;   in Loop: Header=BB88_3 Depth=1
	s_or_b32 exec_lo, exec_lo, s19
	s_wait_loadcnt_dscnt 0x0
	s_barrier_signal -1
	s_barrier_wait -1
	s_and_saveexec_b32 s19, s72
	s_cbranch_execz .LBB88_374
; %bb.373:                              ;   in Loop: Header=BB88_3 Depth=1
	ds_load_b128 v[18:21], v23
	ds_load_b128 v[36:39], v2 offset:2624
	s_wait_dscnt 0x0
	v_mul_f64_e32 v[4:5], v[20:21], v[38:39]
	v_mul_f64_e32 v[38:39], v[18:19], v[38:39]
	s_delay_alu instid0(VALU_DEP_2) | instskip(NEXT) | instid1(VALU_DEP_2)
	v_fma_f64 v[4:5], v[18:19], v[36:37], -v[4:5]
	v_fmac_f64_e32 v[38:39], v[20:21], v[36:37]
	s_delay_alu instid0(VALU_DEP_2) | instskip(NEXT) | instid1(VALU_DEP_2)
	v_add_f64_e64 v[14:15], v[14:15], -v[4:5]
	v_add_f64_e64 v[16:17], v[16:17], -v[38:39]
.LBB88_374:                             ;   in Loop: Header=BB88_3 Depth=1
	s_or_b32 exec_lo, exec_lo, s19
	s_barrier_signal -1
	s_barrier_wait -1
	s_and_saveexec_b32 s19, s72
	s_cbranch_execz .LBB88_376
; %bb.375:                              ;   in Loop: Header=BB88_3 Depth=1
	ds_load_b128 v[18:21], v2 offset:2112
	s_wait_dscnt 0x0
	v_mul_f64_e32 v[4:5], v[16:17], v[20:21]
	s_delay_alu instid0(VALU_DEP_1) | instskip(SKIP_1) | instid1(VALU_DEP_1)
	v_fma_f64 v[4:5], v[14:15], v[18:19], -v[4:5]
	v_mul_f64_e32 v[36:37], v[14:15], v[20:21]
	v_fmac_f64_e32 v[36:37], v[16:17], v[18:19]
	s_delay_alu instid0(VALU_DEP_1) | instskip(NEXT) | instid1(VALU_DEP_4)
	v_mov_b32_e32 v20, v36
	v_mov_b64_e32 v[14:15], v[4:5]
	s_delay_alu instid0(VALU_DEP_3)
	v_mov_b64_e32 v[16:17], v[36:37]
	v_xor_b32_e32 v19, 0x80000000, v5
	v_xor_b32_e32 v21, 0x80000000, v37
	v_mov_b32_e32 v18, v4
	ds_store_b128 v23, v[18:21]
.LBB88_376:                             ;   in Loop: Header=BB88_3 Depth=1
	s_or_b32 exec_lo, exec_lo, s19
	s_wait_dscnt 0x0
	s_barrier_signal -1
	s_barrier_wait -1
	s_barrier_signal -1
	s_barrier_wait -1
	s_and_saveexec_b32 s19, s0
; %bb.377:                              ;   in Loop: Header=BB88_3 Depth=1
	ds_store_b128 v44, v[14:17] offset:3648
; %bb.378:                              ;   in Loop: Header=BB88_3 Depth=1
	s_or_b32 exec_lo, exec_lo, s19
	s_wait_dscnt 0x0
	s_barrier_signal -1
	s_barrier_wait -1
	s_barrier_signal -1
	s_barrier_wait -1
	s_and_saveexec_b32 s64, s10
	s_cbranch_execz .LBB88_380
; %bb.379:                              ;   in Loop: Header=BB88_3 Depth=1
	ds_load_b128 v[14:17], v2 offset:2640
	ds_load_b128 v[18:21], v2 offset:2112
	;; [unrolled: 1-line block ×3, first 2 shown]
	s_wait_dscnt 0x1
	v_mul_f64_e32 v[4:5], v[14:15], v[20:21]
	v_mul_f64_e32 v[20:21], v[16:17], v[20:21]
	s_delay_alu instid0(VALU_DEP_2) | instskip(NEXT) | instid1(VALU_DEP_2)
	v_fmac_f64_e32 v[4:5], v[16:17], v[18:19]
	v_fma_f64 v[14:15], v[14:15], v[18:19], -v[20:21]
	s_wait_dscnt 0x0
	s_delay_alu instid0(VALU_DEP_2) | instskip(NEXT) | instid1(VALU_DEP_2)
	v_mul_f64_e32 v[18:19], v[4:5], v[38:39]
	v_mul_f64_e32 v[16:17], v[14:15], v[38:39]
	s_delay_alu instid0(VALU_DEP_2) | instskip(NEXT) | instid1(VALU_DEP_2)
	v_fma_f64 v[14:15], v[36:37], v[14:15], -v[18:19]
	v_fmac_f64_e32 v[16:17], v[36:37], v[4:5]
	ds_store_b128 v2, v[14:17] offset:2624
.LBB88_380:                             ;   in Loop: Header=BB88_3 Depth=1
	s_or_b32 exec_lo, exec_lo, s64
	v_mov_b64_e32 v[16:17], 0
	v_mov_b64_e32 v[14:15], 0
	s_wait_dscnt 0x0
	s_barrier_signal -1
	s_barrier_wait -1
	global_wb scope:SCOPE_DEV
	s_wait_storecnt 0x0
	global_inv scope:SCOPE_DEV
	s_and_saveexec_b32 s64, s1
	s_cbranch_execz .LBB88_386
; %bb.381:                              ;   in Loop: Header=BB88_3 Depth=1
	ds_load_b128 v[14:17], v47 offset:3648
	ds_load_b128 v[18:21], v46 offset:2048
	s_wait_dscnt 0x0
	v_mul_f64_e32 v[4:5], v[16:17], v[20:21]
	v_mul_f64_e32 v[20:21], v[14:15], v[20:21]
	s_delay_alu instid0(VALU_DEP_2) | instskip(NEXT) | instid1(VALU_DEP_2)
	v_fma_f64 v[4:5], v[14:15], v[18:19], -v[4:5]
	v_fmac_f64_e32 v[20:21], v[16:17], v[18:19]
	s_delay_alu instid0(VALU_DEP_2) | instskip(NEXT) | instid1(VALU_DEP_2)
	v_add_f64_e32 v[14:15], 0, v[4:5]
	v_add_f64_e32 v[16:17], 0, v[20:21]
	s_and_saveexec_b32 s19, s12
	s_cbranch_execnz .LBB88_542
; %bb.382:                              ;   in Loop: Header=BB88_3 Depth=1
	s_or_b32 exec_lo, exec_lo, s19
	s_and_saveexec_b32 s19, s13
	s_cbranch_execnz .LBB88_543
.LBB88_383:                             ;   in Loop: Header=BB88_3 Depth=1
	s_or_b32 exec_lo, exec_lo, s19
	s_and_saveexec_b32 s19, s0
	s_cbranch_execz .LBB88_385
.LBB88_384:                             ;   in Loop: Header=BB88_3 Depth=1
	ds_load_b128 v[18:21], v2 offset:3696
	ds_load_b128 v[36:39], v43 offset:3584
	s_wait_dscnt 0x0
	v_mul_f64_e32 v[4:5], v[20:21], v[38:39]
	v_mul_f64_e32 v[38:39], v[18:19], v[38:39]
	s_delay_alu instid0(VALU_DEP_2) | instskip(NEXT) | instid1(VALU_DEP_2)
	v_fma_f64 v[4:5], v[18:19], v[36:37], -v[4:5]
	v_fmac_f64_e32 v[38:39], v[20:21], v[36:37]
	s_delay_alu instid0(VALU_DEP_2) | instskip(NEXT) | instid1(VALU_DEP_2)
	v_add_f64_e32 v[14:15], v[14:15], v[4:5]
	v_add_f64_e32 v[16:17], v[16:17], v[38:39]
.LBB88_385:                             ;   in Loop: Header=BB88_3 Depth=1
	s_or_b32 exec_lo, exec_lo, s19
.LBB88_386:                             ;   in Loop: Header=BB88_3 Depth=1
	s_delay_alu instid0(SALU_CYCLE_1)
	s_or_b32 exec_lo, exec_lo, s64
	s_and_saveexec_b32 s19, s73
	s_cbranch_execz .LBB88_388
; %bb.387:                              ;   in Loop: Header=BB88_3 Depth=1
	ds_load_b128 v[18:21], v2 offset:1584
	s_wait_dscnt 0x0
	v_mul_f64_e32 v[4:5], v[16:17], v[20:21]
	s_delay_alu instid0(VALU_DEP_1) | instskip(SKIP_1) | instid1(VALU_DEP_1)
	v_fma_f64 v[4:5], v[14:15], v[18:19], -v[4:5]
	v_mul_f64_e32 v[36:37], v[14:15], v[20:21]
	v_fmac_f64_e32 v[36:37], v[16:17], v[18:19]
	s_delay_alu instid0(VALU_DEP_1) | instskip(NEXT) | instid1(VALU_DEP_4)
	v_mov_b32_e32 v20, v36
	v_mov_b64_e32 v[14:15], v[4:5]
	s_delay_alu instid0(VALU_DEP_3)
	v_mov_b64_e32 v[16:17], v[36:37]
	v_xor_b32_e32 v19, 0x80000000, v5
	v_xor_b32_e32 v21, 0x80000000, v37
	v_mov_b32_e32 v18, v4
	ds_store_b128 v45, v[18:21]
.LBB88_388:                             ;   in Loop: Header=BB88_3 Depth=1
	s_or_b32 exec_lo, exec_lo, s19
	s_wait_loadcnt_dscnt 0x0
	s_barrier_signal -1
	s_barrier_wait -1
	s_and_saveexec_b32 s19, s74
	s_cbranch_execz .LBB88_390
; %bb.389:                              ;   in Loop: Header=BB88_3 Depth=1
	ds_load_b128 v[18:21], v45
	ds_load_b128 v[36:39], v46 offset:1536
	s_wait_dscnt 0x0
	v_mul_f64_e32 v[4:5], v[20:21], v[38:39]
	v_mul_f64_e32 v[38:39], v[18:19], v[38:39]
	s_delay_alu instid0(VALU_DEP_2) | instskip(NEXT) | instid1(VALU_DEP_2)
	v_fma_f64 v[4:5], v[18:19], v[36:37], -v[4:5]
	v_fmac_f64_e32 v[38:39], v[20:21], v[36:37]
	s_delay_alu instid0(VALU_DEP_2) | instskip(NEXT) | instid1(VALU_DEP_2)
	v_add_f64_e64 v[14:15], v[14:15], -v[4:5]
	v_add_f64_e64 v[16:17], v[16:17], -v[38:39]
.LBB88_390:                             ;   in Loop: Header=BB88_3 Depth=1
	s_or_b32 exec_lo, exec_lo, s19
	s_barrier_signal -1
	s_barrier_wait -1
	s_and_saveexec_b32 s19, s75
	s_cbranch_execz .LBB88_392
; %bb.391:                              ;   in Loop: Header=BB88_3 Depth=1
	ds_load_b128 v[18:21], v2 offset:1056
	s_wait_dscnt 0x0
	v_mul_f64_e32 v[4:5], v[16:17], v[20:21]
	s_delay_alu instid0(VALU_DEP_1) | instskip(SKIP_1) | instid1(VALU_DEP_1)
	v_fma_f64 v[4:5], v[14:15], v[18:19], -v[4:5]
	v_mul_f64_e32 v[36:37], v[14:15], v[20:21]
	v_fmac_f64_e32 v[36:37], v[16:17], v[18:19]
	s_delay_alu instid0(VALU_DEP_1) | instskip(NEXT) | instid1(VALU_DEP_4)
	v_mov_b32_e32 v20, v36
	v_mov_b64_e32 v[14:15], v[4:5]
	s_delay_alu instid0(VALU_DEP_3)
	v_mov_b64_e32 v[16:17], v[36:37]
	v_xor_b32_e32 v19, 0x80000000, v5
	v_xor_b32_e32 v21, 0x80000000, v37
	v_mov_b32_e32 v18, v4
	ds_store_b128 v45, v[18:21]
.LBB88_392:                             ;   in Loop: Header=BB88_3 Depth=1
	s_or_b32 exec_lo, exec_lo, s19
	s_wait_dscnt 0x0
	s_barrier_signal -1
	s_barrier_wait -1
	s_and_saveexec_b32 s19, s76
	s_cbranch_execz .LBB88_394
; %bb.393:                              ;   in Loop: Header=BB88_3 Depth=1
	ds_load_b128 v[18:21], v45
	ds_load_b128 v[36:39], v46 offset:1024
	s_wait_dscnt 0x0
	v_mul_f64_e32 v[4:5], v[20:21], v[38:39]
	v_mul_f64_e32 v[38:39], v[18:19], v[38:39]
	s_delay_alu instid0(VALU_DEP_2) | instskip(NEXT) | instid1(VALU_DEP_2)
	v_fma_f64 v[4:5], v[18:19], v[36:37], -v[4:5]
	v_fmac_f64_e32 v[38:39], v[20:21], v[36:37]
	s_delay_alu instid0(VALU_DEP_2) | instskip(NEXT) | instid1(VALU_DEP_2)
	v_add_f64_e64 v[14:15], v[14:15], -v[4:5]
	v_add_f64_e64 v[16:17], v[16:17], -v[38:39]
.LBB88_394:                             ;   in Loop: Header=BB88_3 Depth=1
	s_or_b32 exec_lo, exec_lo, s19
	s_barrier_signal -1
	s_barrier_wait -1
	s_and_saveexec_b32 s19, s77
	s_cbranch_execz .LBB88_396
; %bb.395:                              ;   in Loop: Header=BB88_3 Depth=1
	ds_load_b128 v[18:21], v2 offset:528
	s_wait_dscnt 0x0
	v_mul_f64_e32 v[4:5], v[16:17], v[20:21]
	s_delay_alu instid0(VALU_DEP_1) | instskip(SKIP_1) | instid1(VALU_DEP_1)
	v_fma_f64 v[4:5], v[14:15], v[18:19], -v[4:5]
	v_mul_f64_e32 v[36:37], v[14:15], v[20:21]
	v_fmac_f64_e32 v[36:37], v[16:17], v[18:19]
	s_delay_alu instid0(VALU_DEP_1) | instskip(NEXT) | instid1(VALU_DEP_4)
	v_mov_b32_e32 v20, v36
	v_mov_b64_e32 v[14:15], v[4:5]
	s_delay_alu instid0(VALU_DEP_3)
	v_mov_b64_e32 v[16:17], v[36:37]
	v_xor_b32_e32 v19, 0x80000000, v5
	v_xor_b32_e32 v21, 0x80000000, v37
	v_mov_b32_e32 v18, v4
	ds_store_b128 v45, v[18:21]
.LBB88_396:                             ;   in Loop: Header=BB88_3 Depth=1
	s_or_b32 exec_lo, exec_lo, s19
	s_wait_dscnt 0x0
	s_barrier_signal -1
	s_barrier_wait -1
	s_and_saveexec_b32 s19, s78
	s_cbranch_execz .LBB88_398
; %bb.397:                              ;   in Loop: Header=BB88_3 Depth=1
	ds_load_b128 v[18:21], v45
	ds_load_b128 v[36:39], v2 offset:512
	s_wait_dscnt 0x0
	v_mul_f64_e32 v[4:5], v[20:21], v[38:39]
	v_mul_f64_e32 v[38:39], v[18:19], v[38:39]
	s_delay_alu instid0(VALU_DEP_2) | instskip(NEXT) | instid1(VALU_DEP_2)
	v_fma_f64 v[4:5], v[18:19], v[36:37], -v[4:5]
	v_fmac_f64_e32 v[38:39], v[20:21], v[36:37]
	s_delay_alu instid0(VALU_DEP_2) | instskip(NEXT) | instid1(VALU_DEP_2)
	v_add_f64_e64 v[14:15], v[14:15], -v[4:5]
	v_add_f64_e64 v[16:17], v[16:17], -v[38:39]
.LBB88_398:                             ;   in Loop: Header=BB88_3 Depth=1
	s_or_b32 exec_lo, exec_lo, s19
	s_barrier_signal -1
	s_barrier_wait -1
	s_and_saveexec_b32 s19, s78
	s_cbranch_execz .LBB88_400
; %bb.399:                              ;   in Loop: Header=BB88_3 Depth=1
	ds_load_b128 v[18:21], v2
	s_wait_dscnt 0x0
	v_mul_f64_e32 v[4:5], v[16:17], v[20:21]
	s_delay_alu instid0(VALU_DEP_1) | instskip(SKIP_1) | instid1(VALU_DEP_1)
	v_fma_f64 v[4:5], v[14:15], v[18:19], -v[4:5]
	v_mul_f64_e32 v[36:37], v[14:15], v[20:21]
	v_fmac_f64_e32 v[36:37], v[16:17], v[18:19]
	s_delay_alu instid0(VALU_DEP_1) | instskip(NEXT) | instid1(VALU_DEP_4)
	v_mov_b32_e32 v20, v36
	v_mov_b64_e32 v[14:15], v[4:5]
	s_delay_alu instid0(VALU_DEP_3)
	v_mov_b64_e32 v[16:17], v[36:37]
	v_xor_b32_e32 v19, 0x80000000, v5
	v_xor_b32_e32 v21, 0x80000000, v37
	v_mov_b32_e32 v18, v4
	ds_store_b128 v45, v[18:21]
.LBB88_400:                             ;   in Loop: Header=BB88_3 Depth=1
	s_or_b32 exec_lo, exec_lo, s19
	s_wait_dscnt 0x0
	s_barrier_signal -1
	s_barrier_wait -1
	s_barrier_signal -1
	s_barrier_wait -1
	s_and_saveexec_b32 s19, s1
; %bb.401:                              ;   in Loop: Header=BB88_3 Depth=1
	ds_store_b128 v48, v[14:17] offset:3584
; %bb.402:                              ;   in Loop: Header=BB88_3 Depth=1
	s_or_b32 exec_lo, exec_lo, s19
	s_wait_dscnt 0x0
	s_barrier_signal -1
	s_barrier_wait -1
	s_barrier_signal -1
	s_barrier_wait -1
	s_and_saveexec_b32 s64, s10
	s_cbranch_execz .LBB88_404
; %bb.403:                              ;   in Loop: Header=BB88_3 Depth=1
	ds_load_b128 v[14:17], v2 offset:1584
	ds_load_b128 v[18:21], v2 offset:1056
	ds_load_b128 v[36:39], v2 offset:1568
	s_wait_dscnt 0x1
	v_mul_f64_e32 v[4:5], v[14:15], v[20:21]
	v_mul_f64_e32 v[20:21], v[16:17], v[20:21]
	s_delay_alu instid0(VALU_DEP_2) | instskip(NEXT) | instid1(VALU_DEP_2)
	v_fmac_f64_e32 v[4:5], v[16:17], v[18:19]
	v_fma_f64 v[14:15], v[14:15], v[18:19], -v[20:21]
	s_wait_dscnt 0x0
	s_delay_alu instid0(VALU_DEP_2) | instskip(NEXT) | instid1(VALU_DEP_2)
	v_mul_f64_e32 v[18:19], v[4:5], v[38:39]
	v_mul_f64_e32 v[16:17], v[14:15], v[38:39]
	s_delay_alu instid0(VALU_DEP_2) | instskip(NEXT) | instid1(VALU_DEP_2)
	v_fma_f64 v[14:15], v[36:37], v[14:15], -v[18:19]
	v_fmac_f64_e32 v[16:17], v[36:37], v[4:5]
	ds_store_b128 v2, v[14:17] offset:1568
.LBB88_404:                             ;   in Loop: Header=BB88_3 Depth=1
	s_or_b32 exec_lo, exec_lo, s64
	v_mov_b64_e32 v[14:15], 0
	v_mov_b64_e32 v[16:17], 0
	s_wait_dscnt 0x0
	s_barrier_signal -1
	s_barrier_wait -1
	global_wb scope:SCOPE_DEV
	s_wait_storecnt 0x0
	global_inv scope:SCOPE_DEV
	s_and_saveexec_b32 s64, s0
	s_cbranch_execz .LBB88_408
; %bb.405:                              ;   in Loop: Header=BB88_3 Depth=1
	ds_load_b128 v[14:17], v42 offset:1568
	ds_load_b128 v[18:21], v41 offset:1024
	s_wait_dscnt 0x0
	v_mul_f64_e32 v[4:5], v[16:17], v[20:21]
	v_mul_f64_e32 v[20:21], v[14:15], v[20:21]
	s_delay_alu instid0(VALU_DEP_2) | instskip(NEXT) | instid1(VALU_DEP_2)
	v_fma_f64 v[4:5], v[14:15], v[18:19], -v[4:5]
	v_fmac_f64_e32 v[20:21], v[16:17], v[18:19]
	s_delay_alu instid0(VALU_DEP_2) | instskip(NEXT) | instid1(VALU_DEP_2)
	v_add_f64_e32 v[14:15], 0, v[4:5]
	v_add_f64_e32 v[16:17], 0, v[20:21]
	s_and_saveexec_b32 s19, s11
	s_cbranch_execz .LBB88_407
; %bb.406:                              ;   in Loop: Header=BB88_3 Depth=1
	ds_load_b128 v[18:21], v2 offset:1584
	ds_load_b128 v[36:39], v43 offset:1536
	s_wait_dscnt 0x0
	v_mul_f64_e32 v[4:5], v[20:21], v[38:39]
	v_mul_f64_e32 v[38:39], v[18:19], v[38:39]
	s_delay_alu instid0(VALU_DEP_2) | instskip(NEXT) | instid1(VALU_DEP_2)
	v_fma_f64 v[4:5], v[18:19], v[36:37], -v[4:5]
	v_fmac_f64_e32 v[38:39], v[20:21], v[36:37]
	s_delay_alu instid0(VALU_DEP_2) | instskip(NEXT) | instid1(VALU_DEP_2)
	v_add_f64_e32 v[14:15], v[14:15], v[4:5]
	v_add_f64_e32 v[16:17], v[16:17], v[38:39]
.LBB88_407:                             ;   in Loop: Header=BB88_3 Depth=1
	s_or_b32 exec_lo, exec_lo, s19
.LBB88_408:                             ;   in Loop: Header=BB88_3 Depth=1
	s_delay_alu instid0(SALU_CYCLE_1)
	s_or_b32 exec_lo, exec_lo, s64
	s_and_saveexec_b32 s19, s71
	s_cbranch_execz .LBB88_410
; %bb.409:                              ;   in Loop: Header=BB88_3 Depth=1
	ds_load_b128 v[18:21], v2 offset:528
	s_wait_dscnt 0x0
	v_mul_f64_e32 v[4:5], v[16:17], v[20:21]
	s_delay_alu instid0(VALU_DEP_1) | instskip(SKIP_1) | instid1(VALU_DEP_1)
	v_fma_f64 v[4:5], v[14:15], v[18:19], -v[4:5]
	v_mul_f64_e32 v[36:37], v[14:15], v[20:21]
	v_fmac_f64_e32 v[36:37], v[16:17], v[18:19]
	s_delay_alu instid0(VALU_DEP_1) | instskip(NEXT) | instid1(VALU_DEP_4)
	v_mov_b32_e32 v20, v36
	v_mov_b64_e32 v[14:15], v[4:5]
	s_delay_alu instid0(VALU_DEP_3)
	v_mov_b64_e32 v[16:17], v[36:37]
	v_xor_b32_e32 v19, 0x80000000, v5
	v_xor_b32_e32 v21, 0x80000000, v37
	v_mov_b32_e32 v18, v4
	ds_store_b128 v23, v[18:21]
.LBB88_410:                             ;   in Loop: Header=BB88_3 Depth=1
	s_or_b32 exec_lo, exec_lo, s19
	s_wait_loadcnt_dscnt 0x0
	s_barrier_signal -1
	s_barrier_wait -1
	s_and_saveexec_b32 s19, s72
	s_cbranch_execz .LBB88_412
; %bb.411:                              ;   in Loop: Header=BB88_3 Depth=1
	ds_load_b128 v[18:21], v23
	ds_load_b128 v[36:39], v2 offset:512
	s_wait_dscnt 0x0
	v_mul_f64_e32 v[4:5], v[20:21], v[38:39]
	v_mul_f64_e32 v[38:39], v[18:19], v[38:39]
	s_delay_alu instid0(VALU_DEP_2) | instskip(NEXT) | instid1(VALU_DEP_2)
	v_fma_f64 v[4:5], v[18:19], v[36:37], -v[4:5]
	v_fmac_f64_e32 v[38:39], v[20:21], v[36:37]
	s_delay_alu instid0(VALU_DEP_2) | instskip(NEXT) | instid1(VALU_DEP_2)
	v_add_f64_e64 v[14:15], v[14:15], -v[4:5]
	v_add_f64_e64 v[16:17], v[16:17], -v[38:39]
.LBB88_412:                             ;   in Loop: Header=BB88_3 Depth=1
	s_or_b32 exec_lo, exec_lo, s19
	s_barrier_signal -1
	s_barrier_wait -1
	s_and_saveexec_b32 s19, s72
	s_cbranch_execz .LBB88_414
; %bb.413:                              ;   in Loop: Header=BB88_3 Depth=1
	ds_load_b128 v[18:21], v2
	s_wait_dscnt 0x0
	v_mul_f64_e32 v[4:5], v[16:17], v[20:21]
	s_delay_alu instid0(VALU_DEP_1) | instskip(SKIP_1) | instid1(VALU_DEP_1)
	v_fma_f64 v[4:5], v[14:15], v[18:19], -v[4:5]
	v_mul_f64_e32 v[36:37], v[14:15], v[20:21]
	v_fmac_f64_e32 v[36:37], v[16:17], v[18:19]
	s_delay_alu instid0(VALU_DEP_1) | instskip(NEXT) | instid1(VALU_DEP_4)
	v_mov_b32_e32 v20, v36
	v_mov_b64_e32 v[14:15], v[4:5]
	s_delay_alu instid0(VALU_DEP_3)
	v_mov_b64_e32 v[16:17], v[36:37]
	v_xor_b32_e32 v19, 0x80000000, v5
	v_xor_b32_e32 v21, 0x80000000, v37
	v_mov_b32_e32 v18, v4
	ds_store_b128 v23, v[18:21]
.LBB88_414:                             ;   in Loop: Header=BB88_3 Depth=1
	s_or_b32 exec_lo, exec_lo, s19
	s_wait_dscnt 0x0
	s_barrier_signal -1
	s_barrier_wait -1
	s_barrier_signal -1
	s_barrier_wait -1
	s_and_saveexec_b32 s19, s0
; %bb.415:                              ;   in Loop: Header=BB88_3 Depth=1
	ds_store_b128 v44, v[14:17] offset:1536
; %bb.416:                              ;   in Loop: Header=BB88_3 Depth=1
	s_or_b32 exec_lo, exec_lo, s19
	s_wait_dscnt 0x0
	s_barrier_signal -1
	s_barrier_wait -1
	s_barrier_signal -1
	s_barrier_wait -1
	s_and_saveexec_b32 s64, s10
	s_cbranch_execz .LBB88_418
; %bb.417:                              ;   in Loop: Header=BB88_3 Depth=1
	ds_load_b128 v[14:17], v2 offset:528
	ds_load_b128 v[18:21], v2
	ds_load_b128 v[36:39], v2 offset:512
	s_wait_dscnt 0x1
	v_mul_f64_e32 v[4:5], v[14:15], v[20:21]
	v_mul_f64_e32 v[20:21], v[16:17], v[20:21]
	s_delay_alu instid0(VALU_DEP_2) | instskip(NEXT) | instid1(VALU_DEP_2)
	v_fmac_f64_e32 v[4:5], v[16:17], v[18:19]
	v_fma_f64 v[14:15], v[14:15], v[18:19], -v[20:21]
	s_wait_dscnt 0x0
	s_delay_alu instid0(VALU_DEP_2) | instskip(NEXT) | instid1(VALU_DEP_2)
	v_mul_f64_e32 v[18:19], v[4:5], v[38:39]
	v_mul_f64_e32 v[16:17], v[14:15], v[38:39]
	s_delay_alu instid0(VALU_DEP_2) | instskip(NEXT) | instid1(VALU_DEP_2)
	v_fma_f64 v[14:15], v[36:37], v[14:15], -v[18:19]
	v_fmac_f64_e32 v[16:17], v[36:37], v[4:5]
	ds_store_b128 v2, v[14:17] offset:512
.LBB88_418:                             ;   in Loop: Header=BB88_3 Depth=1
	s_or_b32 exec_lo, exec_lo, s64
.LBB88_419:                             ;   in Loop: Header=BB88_3 Depth=1
	v_mov_b64_e32 v[14:15], 0
	v_mov_b64_e32 v[16:17], 0
	s_mul_u64 s[64:65], s[54:55], s[56:57]
	s_wait_dscnt 0x0
	s_lshl_b64 s[64:65], s[64:65], 4
	s_barrier_signal -1
	s_add_nc_u64 s[64:65], s[48:49], s[64:65]
	s_barrier_wait -1
	s_and_saveexec_b32 s19, s97
	s_cbranch_execz .LBB88_421
; %bb.420:                              ;   in Loop: Header=BB88_3 Depth=1
	v_lshl_add_u64 v[4:5], v[0:1], 4, s[64:65]
	global_load_b128 v[16:19], v[4:5], off
	s_wait_loadcnt 0x0
	v_mul_f64_e32 v[4:5], s[44:45], v[16:17]
	v_mul_f64_e32 v[20:21], s[44:45], v[18:19]
	s_delay_alu instid0(VALU_DEP_2) | instskip(NEXT) | instid1(VALU_DEP_2)
	v_fma_f64 v[14:15], s[46:47], v[18:19], -v[4:5]
	v_fma_f64 v[16:17], v[16:17], -s[46:47], -v[20:21]
.LBB88_421:                             ;   in Loop: Header=BB88_3 Depth=1
	s_or_b32 exec_lo, exec_lo, s19
	s_delay_alu instid0(SALU_CYCLE_1)
	s_and_not1_b32 vcc_lo, exec_lo, s98
	s_cbranch_vccnz .LBB88_444
; %bb.422:                              ;   in Loop: Header=BB88_3 Depth=1
	v_lshl_add_u64 v[18:19], v[26:27], 4, s[62:63]
	v_mov_b32_e32 v66, -1
	s_lshl_b64 vcc, s[56:57], 2
	s_mov_b32 s103, 0
	s_add_nc_u64 s[62:63], s[60:61], vcc
	s_branch .LBB88_425
.LBB88_423:                             ;   in Loop: Header=BB88_425 Depth=2
	ds_load_b128 v[68:71], v58 offset:256
	s_wait_loadcnt_dscnt 0x0
	v_mul_f64_e32 v[20:21], v[36:37], v[70:71]
	v_mul_f64_e32 v[38:39], v[4:5], v[70:71]
	s_delay_alu instid0(VALU_DEP_2) | instskip(NEXT) | instid1(VALU_DEP_2)
	v_fma_f64 v[4:5], v[4:5], v[68:69], -v[20:21]
	v_fmac_f64_e32 v[38:39], v[36:37], v[68:69]
	s_delay_alu instid0(VALU_DEP_2) | instskip(NEXT) | instid1(VALU_DEP_2)
	v_add_f64_e32 v[14:15], v[14:15], v[4:5]
	v_add_f64_e32 v[16:17], v[16:17], v[38:39]
.LBB88_424:                             ;   in Loop: Header=BB88_425 Depth=2
	s_or_b32 exec_lo, exec_lo, s104
	s_add_co_i32 s103, s103, 1
	s_delay_alu instid0(SALU_CYCLE_1)
	s_cmp_eq_u32 s103, s67
	s_cbranch_scc1 .LBB88_444
.LBB88_425:                             ;   Parent Loop BB88_3 Depth=1
                                        ; =>  This Loop Header: Depth=2
                                        ;       Child Loop BB88_427 Depth 3
	v_cmp_gt_i32_e32 vcc_lo, s103, v66
	s_and_b32 s104, s30, vcc_lo
	s_delay_alu instid0(SALU_CYCLE_1)
	s_and_saveexec_b32 s19, s104
	s_cbranch_execz .LBB88_428
; %bb.426:                              ;   in Loop: Header=BB88_425 Depth=2
	global_load_b32 v66, v2, s[62:63]
	s_wait_loadcnt 0x0
	v_cmp_le_i32_e32 vcc_lo, s103, v66
	s_cbranch_vccnz .LBB88_428
.LBB88_427:                             ;   Parent Loop BB88_3 Depth=1
                                        ;     Parent Loop BB88_425 Depth=2
                                        ; =>    This Inner Loop Header: Depth=3
	global_wb scope:SCOPE_DEV
	s_wait_storecnt 0x0
	global_inv scope:SCOPE_DEV
	global_load_b32 v66, v2, s[62:63]
	s_wait_loadcnt 0x0
	v_cmp_gt_i32_e32 vcc_lo, s103, v66
	s_cbranch_vccnz .LBB88_427
.LBB88_428:                             ;   in Loop: Header=BB88_425 Depth=2
	s_or_b32 exec_lo, exec_lo, s19
	s_sub_co_i32 s104, s68, s103
	global_wb scope:SCOPE_DEV
	s_wait_storecnt 0x0
	global_inv scope:SCOPE_DEV
	s_lshl_b32 vcc_hi, s104, 5
	s_wait_loadcnt 0x0
	s_barrier_signal -1
	s_barrier_wait -1
	s_and_saveexec_b32 s19, s31
	s_cbranch_execz .LBB88_433
; %bb.429:                              ;   in Loop: Header=BB88_425 Depth=2
	s_ashr_i32 vcc_lo, vcc_hi, 31
	s_delay_alu instid0(SALU_CYCLE_1) | instskip(NEXT) | instid1(VALU_DEP_1)
	v_dual_mov_b32 v5, vcc_lo :: v_dual_bitop2_b32 v4, vcc_hi, v24 bitop3:0x54
	v_cmp_le_i64_e32 vcc_lo, s[58:59], v[4:5]
	s_and_saveexec_b32 s20, vcc_lo
	s_delay_alu instid0(SALU_CYCLE_1)
	s_xor_b32 vcc_lo, exec_lo, s20
; %bb.430:                              ;   in Loop: Header=BB88_425 Depth=2
	v_dual_mov_b32 v3, v2 :: v_dual_mov_b32 v4, v2
	v_mov_b32_e32 v5, v2
	ds_store_b128 v57, v[2:5]
                                        ; implicit-def: $vgpr4_vgpr5
; %bb.431:                              ;   in Loop: Header=BB88_425 Depth=2
	s_and_not1_saveexec_b32 s20, vcc_lo
	s_cbranch_execz .LBB88_433
; %bb.432:                              ;   in Loop: Header=BB88_425 Depth=2
	v_mul_u64_e32 v[4:5], s[52:53], v[4:5]
	s_delay_alu instid0(VALU_DEP_1)
	v_lshl_add_u64 v[4:5], v[4:5], 4, s[64:65]
	global_load_b128 v[36:39], v[4:5], off
	s_wait_loadcnt 0x0
	ds_store_2addr_b64 v57, v[36:37], v[38:39] offset1:1
.LBB88_433:                             ;   in Loop: Header=BB88_425 Depth=2
	s_or_b32 exec_lo, exec_lo, s19
	v_add_nc_u32_e32 v4, vcc_hi, v40
	s_cmp_lg_u32 s104, s99
	s_wait_dscnt 0x0
	s_cselect_b32 s19, -1, 0
	s_barrier_signal -1
	v_ashrrev_i32_e32 v5, 31, v4
	v_cmp_gt_i32_e32 vcc_lo, s58, v4
	v_cndmask_b32_e64 v3, 0, 1, s19
	s_barrier_wait -1
	s_delay_alu instid0(VALU_DEP_3) | instskip(SKIP_1) | instid1(VALU_DEP_1)
	v_mul_u64_e32 v[20:21], s[40:41], v[4:5]
	s_and_b32 s20, s5, vcc_lo
	v_lshl_add_u64 v[20:21], v[20:21], 4, v[18:19]
	s_and_saveexec_b32 s104, s20
	s_cbranch_execz .LBB88_439
; %bb.434:                              ;   in Loop: Header=BB88_425 Depth=2
	v_mov_b64_e32 v[36:37], v[6:7]
	s_and_not1_b32 vcc_lo, exec_lo, s19
	s_cbranch_vccnz .LBB88_436
; %bb.435:                              ;   in Loop: Header=BB88_425 Depth=2
	global_load_b64 v[36:37], v[20:21], off
.LBB88_436:                             ;   in Loop: Header=BB88_425 Depth=2
	v_cmp_ne_u32_e32 vcc_lo, 1, v3
	v_mov_b64_e32 v[38:39], v[8:9]
	s_cbranch_vccnz .LBB88_438
; %bb.437:                              ;   in Loop: Header=BB88_425 Depth=2
	global_load_b64 v[38:39], v[20:21], off offset:8
.LBB88_438:                             ;   in Loop: Header=BB88_425 Depth=2
	ds_load_b128 v[68:71], v58
	s_wait_loadcnt_dscnt 0x0
	v_mul_f64_e32 v[72:73], v[38:39], v[70:71]
	v_mul_f64_e32 v[70:71], v[36:37], v[70:71]
	s_delay_alu instid0(VALU_DEP_2) | instskip(NEXT) | instid1(VALU_DEP_2)
	v_fma_f64 v[36:37], v[36:37], v[68:69], -v[72:73]
	v_fmac_f64_e32 v[70:71], v[38:39], v[68:69]
	s_delay_alu instid0(VALU_DEP_2) | instskip(NEXT) | instid1(VALU_DEP_2)
	v_add_f64_e32 v[14:15], v[14:15], v[36:37]
	v_add_f64_e32 v[16:17], v[16:17], v[70:71]
.LBB88_439:                             ;   in Loop: Header=BB88_425 Depth=2
	s_or_b32 exec_lo, exec_lo, s104
	v_add_nc_u32_e32 v4, 16, v4
	s_delay_alu instid0(VALU_DEP_1) | instskip(SKIP_1) | instid1(SALU_CYCLE_1)
	v_cmp_gt_i32_e32 vcc_lo, s58, v4
	s_and_b32 s19, s5, vcc_lo
	s_and_saveexec_b32 s104, s19
	s_cbranch_execz .LBB88_424
; %bb.440:                              ;   in Loop: Header=BB88_425 Depth=2
	v_cmp_ne_u32_e32 vcc_lo, 1, v3
	v_add_nc_u64_e32 v[20:21], s[50:51], v[20:21]
	v_mov_b64_e32 v[4:5], v[10:11]
	s_cbranch_vccnz .LBB88_442
; %bb.441:                              ;   in Loop: Header=BB88_425 Depth=2
	global_load_b64 v[4:5], v[20:21], off
.LBB88_442:                             ;   in Loop: Header=BB88_425 Depth=2
	v_cmp_ne_u32_e32 vcc_lo, 1, v3
	v_mov_b64_e32 v[36:37], v[12:13]
	s_cbranch_vccnz .LBB88_423
; %bb.443:                              ;   in Loop: Header=BB88_425 Depth=2
	global_load_b64 v[36:37], v[20:21], off offset:8
	s_branch .LBB88_423
.LBB88_444:                             ;   in Loop: Header=BB88_3 Depth=1
	ds_store_b128 v59, v[14:17]
	s_wait_dscnt 0x0
	s_barrier_signal -1
	s_barrier_wait -1
	s_and_saveexec_b32 s62, s4
	s_cbranch_execz .LBB88_446
; %bb.445:                              ;   in Loop: Header=BB88_3 Depth=1
	ds_load_b128 v[18:21], v60 offset:512
	ds_load_b128 v[36:39], v60 offset:1024
	s_wait_dscnt 0x1
	v_add_f64_e32 v[4:5], v[14:15], v[18:19]
	v_add_f64_e32 v[14:15], v[16:17], v[20:21]
	s_wait_dscnt 0x0
	s_delay_alu instid0(VALU_DEP_2) | instskip(NEXT) | instid1(VALU_DEP_2)
	v_add_f64_e32 v[4:5], v[4:5], v[36:37]
	v_add_f64_e32 v[36:37], v[14:15], v[38:39]
	ds_load_b128 v[14:17], v60 offset:1536
	ds_load_b128 v[18:21], v60 offset:2048
	s_wait_dscnt 0x1
	v_add_f64_e32 v[4:5], v[4:5], v[14:15]
	v_add_f64_e32 v[14:15], v[36:37], v[16:17]
	s_wait_dscnt 0x0
	s_delay_alu instid0(VALU_DEP_2) | instskip(NEXT) | instid1(VALU_DEP_2)
	v_add_f64_e32 v[4:5], v[4:5], v[18:19]
	v_add_f64_e32 v[36:37], v[14:15], v[20:21]
	;; [unrolled: 9-line block ×7, first 2 shown]
	ds_load_b128 v[14:17], v60 offset:7680
	s_wait_dscnt 0x0
	v_add_f64_e32 v[4:5], v[4:5], v[14:15]
	v_add_f64_e32 v[16:17], v[18:19], v[16:17]
	s_delay_alu instid0(VALU_DEP_2) | instskip(NEXT) | instid1(VALU_DEP_2)
	v_xor_b32_e32 v3, 0x80000000, v5
	v_xor_b32_e32 v5, 0x80000000, v17
	s_delay_alu instid0(VALU_DEP_4) | instskip(NEXT) | instid1(VALU_DEP_4)
	v_cndmask_b32_e64 v14, v4, 0, s95
	v_cndmask_b32_e64 v16, v16, 0, s95
	s_delay_alu instid0(VALU_DEP_4) | instskip(NEXT) | instid1(VALU_DEP_4)
	v_cndmask_b32_e64 v15, v3, 0, s95
	v_cndmask_b32_e64 v17, v5, 0, s95
.LBB88_446:                             ;   in Loop: Header=BB88_3 Depth=1
	s_or_b32 exec_lo, exec_lo, s62
	s_delay_alu instid0(SALU_CYCLE_1)
	s_and_not1_b32 vcc_lo, exec_lo, s37
	s_cbranch_vccnz .LBB88_455
; %bb.447:                              ;   in Loop: Header=BB88_3 Depth=1
	s_and_saveexec_b32 s19, s4
; %bb.448:                              ;   in Loop: Header=BB88_3 Depth=1
	ds_store_b128 v64, v[14:17]
; %bb.449:                              ;   in Loop: Header=BB88_3 Depth=1
	s_or_b32 exec_lo, exec_lo, s19
	v_mov_b64_e32 v[18:19], 0
	v_mov_b64_e32 v[20:21], 0
	s_wait_dscnt 0x0
	s_barrier_signal -1
	s_barrier_wait -1
	s_and_saveexec_b32 s19, s33
	s_cbranch_execz .LBB88_451
; %bb.450:                              ;   in Loop: Header=BB88_3 Depth=1
	ds_load_b128 v[18:21], v58
	ds_load_b128 v[36:39], v61
	s_wait_dscnt 0x0
	v_mul_f64_e32 v[4:5], v[20:21], v[38:39]
	v_mul_f64_e32 v[38:39], v[18:19], v[38:39]
	s_delay_alu instid0(VALU_DEP_2) | instskip(NEXT) | instid1(VALU_DEP_2)
	v_fma_f64 v[4:5], v[18:19], v[36:37], -v[4:5]
	v_fmac_f64_e32 v[38:39], v[20:21], v[36:37]
	s_delay_alu instid0(VALU_DEP_2) | instskip(NEXT) | instid1(VALU_DEP_2)
	v_add_f64_e32 v[18:19], 0, v[4:5]
	v_add_f64_e32 v[20:21], 0, v[38:39]
.LBB88_451:                             ;   in Loop: Header=BB88_3 Depth=1
	s_or_b32 exec_lo, exec_lo, s19
	s_and_saveexec_b32 s19, s34
	s_cbranch_execz .LBB88_453
; %bb.452:                              ;   in Loop: Header=BB88_3 Depth=1
	ds_load_b128 v[36:39], v58 offset:256
	ds_load_b128 v[66:69], v61 offset:8192
	s_wait_dscnt 0x0
	v_mul_f64_e32 v[4:5], v[38:39], v[68:69]
	v_mul_f64_e32 v[68:69], v[36:37], v[68:69]
	s_delay_alu instid0(VALU_DEP_2) | instskip(NEXT) | instid1(VALU_DEP_2)
	v_fma_f64 v[4:5], v[36:37], v[66:67], -v[4:5]
	v_fmac_f64_e32 v[68:69], v[38:39], v[66:67]
	s_delay_alu instid0(VALU_DEP_2) | instskip(NEXT) | instid1(VALU_DEP_2)
	v_add_f64_e32 v[18:19], v[18:19], v[4:5]
	v_add_f64_e32 v[20:21], v[20:21], v[68:69]
.LBB88_453:                             ;   in Loop: Header=BB88_3 Depth=1
	s_or_b32 exec_lo, exec_lo, s19
	s_mov_b32 s63, 0
	s_mov_b32 s62, 0
	ds_store_b128 v59, v[18:21]
	s_wait_dscnt 0x0
	s_barrier_signal -1
	s_barrier_wait -1
                                        ; implicit-def: $vgpr4_vgpr5
                                        ; implicit-def: $vgpr36_vgpr37
	s_and_saveexec_b32 s103, s4
	s_cbranch_execz .LBB88_516
; %bb.454:                              ;   in Loop: Header=BB88_3 Depth=1
	ds_load_b128 v[36:39], v60 offset:512
	ds_load_b128 v[66:69], v60 offset:1024
	s_mov_b32 s62, exec_lo
	s_wait_dscnt 0x1
	v_add_f64_e32 v[4:5], v[18:19], v[36:37]
	v_add_f64_e32 v[18:19], v[20:21], v[38:39]
	s_wait_dscnt 0x0
	s_delay_alu instid0(VALU_DEP_2) | instskip(NEXT) | instid1(VALU_DEP_2)
	v_add_f64_e32 v[4:5], v[4:5], v[66:67]
	v_add_f64_e32 v[66:67], v[18:19], v[68:69]
	ds_load_b128 v[18:21], v60 offset:1536
	ds_load_b128 v[36:39], v60 offset:2048
	s_wait_dscnt 0x1
	v_add_f64_e32 v[4:5], v[4:5], v[18:19]
	v_add_f64_e32 v[18:19], v[66:67], v[20:21]
	s_wait_dscnt 0x0
	s_delay_alu instid0(VALU_DEP_2) | instskip(NEXT) | instid1(VALU_DEP_2)
	v_add_f64_e32 v[4:5], v[4:5], v[36:37]
	v_add_f64_e32 v[66:67], v[18:19], v[38:39]
	ds_load_b128 v[18:21], v60 offset:2560
	ds_load_b128 v[36:39], v60 offset:3072
	;; [unrolled: 9-line block ×6, first 2 shown]
	s_wait_dscnt 0x1
	v_add_f64_e32 v[4:5], v[4:5], v[18:19]
	v_add_f64_e32 v[18:19], v[66:67], v[20:21]
	s_wait_dscnt 0x0
	s_delay_alu instid0(VALU_DEP_2) | instskip(NEXT) | instid1(VALU_DEP_2)
	v_add_f64_e32 v[4:5], v[4:5], v[36:37]
	v_add_f64_e32 v[38:39], v[18:19], v[38:39]
	ds_load_b128 v[18:21], v60 offset:7680
	s_wait_dscnt 0x0
	v_add_f64_e32 v[36:37], v[4:5], v[18:19]
	v_add_f64_e32 v[4:5], v[38:39], v[20:21]
	s_or_b32 exec_lo, exec_lo, s103
	s_delay_alu instid0(SALU_CYCLE_1)
	s_and_b32 vcc_lo, exec_lo, s63
	s_cbranch_vccnz .LBB88_456
	s_branch .LBB88_517
.LBB88_455:                             ;   in Loop: Header=BB88_3 Depth=1
	s_mov_b32 s62, 0
                                        ; implicit-def: $vgpr4_vgpr5
                                        ; implicit-def: $vgpr36_vgpr37
	s_cbranch_execz .LBB88_517
.LBB88_456:                             ;   in Loop: Header=BB88_3 Depth=1
	v_mov_b32_e32 v3, v63
	s_mov_b32 s63, 31
	s_branch .LBB88_458
.LBB88_457:                             ;   in Loop: Header=BB88_458 Depth=2
	s_or_b32 exec_lo, exec_lo, s19
	v_add_nc_u32_e32 v3, 0xfffffc00, v3
	s_add_co_i32 s63, s63, -2
	s_cmp_lg_u32 s103, 0
	s_barrier_signal -1
	s_barrier_wait -1
	s_cbranch_scc0 .LBB88_466
.LBB88_458:                             ;   Parent Loop BB88_3 Depth=1
                                        ; =>  This Inner Loop Header: Depth=2
	s_delay_alu instid0(VALU_DEP_1) | instskip(SKIP_1) | instid1(SALU_CYCLE_1)
	v_cmp_eq_u32_e32 vcc_lo, 0xffffc200, v3
	s_and_b32 s20, s4, vcc_lo
	s_and_saveexec_b32 s19, s20
	s_cbranch_execz .LBB88_460
; %bb.459:                              ;   in Loop: Header=BB88_458 Depth=2
	ds_load_b128 v[18:21], v62
	s_wait_dscnt 0x0
	v_mul_f64_e32 v[4:5], v[16:17], v[20:21]
	v_mul_f64_e32 v[38:39], v[14:15], v[20:21]
	s_delay_alu instid0(VALU_DEP_2) | instskip(NEXT) | instid1(VALU_DEP_2)
	v_fma_f64 v[36:37], v[14:15], v[18:19], -v[4:5]
	v_fmac_f64_e32 v[38:39], v[16:17], v[18:19]
	s_delay_alu instid0(VALU_DEP_2) | instskip(NEXT) | instid1(VALU_DEP_2)
	v_mov_b64_e32 v[14:15], v[36:37]
	v_mov_b64_e32 v[16:17], v[38:39]
	ds_store_b128 v2, v[36:39] offset:25088
.LBB88_460:                             ;   in Loop: Header=BB88_458 Depth=2
	s_or_b32 exec_lo, exec_lo, s19
	v_cmp_gt_u32_e32 vcc_lo, s63, v22
	v_add_nc_u32_e32 v4, v25, v3
	s_wait_dscnt 0x0
	s_barrier_signal -1
	s_barrier_wait -1
	s_and_b32 s20, s4, vcc_lo
	s_delay_alu instid0(SALU_CYCLE_1)
	s_and_saveexec_b32 s19, s20
	s_cbranch_execz .LBB88_462
; %bb.461:                              ;   in Loop: Header=BB88_458 Depth=2
	ds_load_b128 v[18:21], v2 offset:25088
	ds_load_b128 v[36:39], v4 offset:512
	s_wait_dscnt 0x0
	v_mul_f64_e32 v[66:67], v[20:21], v[38:39]
	v_mul_f64_e32 v[38:39], v[18:19], v[38:39]
	s_delay_alu instid0(VALU_DEP_2) | instskip(NEXT) | instid1(VALU_DEP_2)
	v_fma_f64 v[18:19], v[18:19], v[36:37], -v[66:67]
	v_fmac_f64_e32 v[38:39], v[20:21], v[36:37]
	s_delay_alu instid0(VALU_DEP_2) | instskip(NEXT) | instid1(VALU_DEP_2)
	v_add_f64_e32 v[14:15], v[14:15], v[18:19]
	v_add_f64_e32 v[16:17], v[16:17], v[38:39]
.LBB88_462:                             ;   in Loop: Header=BB88_458 Depth=2
	s_or_b32 exec_lo, exec_lo, s19
	s_add_co_i32 s103, s63, -1
	s_delay_alu instid0(SALU_CYCLE_1) | instskip(SKIP_3) | instid1(SALU_CYCLE_1)
	v_cmp_eq_u32_e32 vcc_lo, s103, v22
	s_barrier_signal -1
	s_barrier_wait -1
	s_and_b32 s20, s4, vcc_lo
	s_and_saveexec_b32 s19, s20
	s_cbranch_execz .LBB88_464
; %bb.463:                              ;   in Loop: Header=BB88_458 Depth=2
	ds_load_b128 v[18:21], v62
	s_wait_dscnt 0x0
	v_mul_f64_e32 v[36:37], v[16:17], v[20:21]
	v_mul_f64_e32 v[38:39], v[14:15], v[20:21]
	s_delay_alu instid0(VALU_DEP_2) | instskip(NEXT) | instid1(VALU_DEP_2)
	v_fma_f64 v[36:37], v[14:15], v[18:19], -v[36:37]
	v_fmac_f64_e32 v[38:39], v[16:17], v[18:19]
	s_delay_alu instid0(VALU_DEP_2) | instskip(NEXT) | instid1(VALU_DEP_2)
	v_mov_b64_e32 v[14:15], v[36:37]
	v_mov_b64_e32 v[16:17], v[38:39]
	ds_store_b128 v2, v[36:39] offset:25088
.LBB88_464:                             ;   in Loop: Header=BB88_458 Depth=2
	s_or_b32 exec_lo, exec_lo, s19
	v_cmp_gt_u32_e32 vcc_lo, s103, v22
	s_wait_dscnt 0x0
	s_barrier_signal -1
	s_barrier_wait -1
	s_and_b32 s20, s4, vcc_lo
	s_delay_alu instid0(SALU_CYCLE_1)
	s_and_saveexec_b32 s19, s20
	s_cbranch_execz .LBB88_457
; %bb.465:                              ;   in Loop: Header=BB88_458 Depth=2
	ds_load_b128 v[18:21], v2 offset:25088
	ds_load_b128 v[36:39], v4
	s_wait_dscnt 0x0
	v_mul_f64_e32 v[4:5], v[20:21], v[38:39]
	v_mul_f64_e32 v[38:39], v[18:19], v[38:39]
	s_delay_alu instid0(VALU_DEP_2) | instskip(NEXT) | instid1(VALU_DEP_2)
	v_fma_f64 v[4:5], v[18:19], v[36:37], -v[4:5]
	v_fmac_f64_e32 v[38:39], v[20:21], v[36:37]
	s_delay_alu instid0(VALU_DEP_2) | instskip(NEXT) | instid1(VALU_DEP_2)
	v_add_f64_e32 v[14:15], v[14:15], v[4:5]
	v_add_f64_e32 v[16:17], v[16:17], v[38:39]
	s_branch .LBB88_457
.LBB88_466:                             ;   in Loop: Header=BB88_3 Depth=1
	s_and_b32 vcc_lo, exec_lo, s69
	s_mov_b32 s19, -1
	s_cbranch_vccnz .LBB88_518
; %bb.467:                              ;   in Loop: Header=BB88_3 Depth=1
	s_and_not1_b32 vcc_lo, exec_lo, s19
	s_cbranch_vccz .LBB88_519
.LBB88_468:                             ;   in Loop: Header=BB88_3 Depth=1
	s_and_saveexec_b32 s19, s62
	s_cbranch_execz .LBB88_470
.LBB88_469:                             ;   in Loop: Header=BB88_3 Depth=1
	v_lshl_add_u64 v[4:5], v[32:33], 4, s[64:65]
	global_store_b128 v[4:5], v[14:17], off
.LBB88_470:                             ;   in Loop: Header=BB88_3 Depth=1
	s_wait_xcnt 0x0
	s_or_b32 exec_lo, exec_lo, s19
	global_wb scope:SCOPE_DEV
	s_wait_storecnt 0x0
	global_inv scope:SCOPE_DEV
	s_wait_loadcnt 0x0
	s_barrier_signal -1
	s_barrier_wait -1
	s_and_saveexec_b32 s19, s30
	s_cbranch_execz .LBB88_2
; %bb.471:                              ;   in Loop: Header=BB88_3 Depth=1
	s_lshl_b64 s[62:63], s[56:57], 2
	s_delay_alu instid0(SALU_CYCLE_1)
	s_add_nc_u64 s[62:63], s[60:61], s[62:63]
	global_load_b32 v3, v2, s[62:63]
	s_wait_loadcnt 0x0
	v_add_nc_u32_e32 v3, 1, v3
	global_store_b32 v2, v3, s[62:63]
	s_branch .LBB88_2
.LBB88_472:                             ;   in Loop: Header=BB88_3 Depth=1
	v_readlane_b32 s20, v75, 17
	s_and_saveexec_b32 s19, s20
	s_delay_alu instid0(SALU_CYCLE_1)
	s_xor_b32 s19, exec_lo, s19
	s_cbranch_execz .LBB88_474
; %bb.473:                              ;   in Loop: Header=BB88_3 Depth=1
	v_readlane_b32 s20, v74, 0
	s_and_b32 s65, s20, exec_lo
.LBB88_474:                             ;   in Loop: Header=BB88_3 Depth=1
	s_or_saveexec_b32 s103, s19
	v_mov_b64_e32 v[16:17], 0
	v_mov_b64_e32 v[14:15], 0
	s_xor_b32 exec_lo, exec_lo, s103
	s_cbranch_execz .LBB88_480
; %bb.475:                              ;   in Loop: Header=BB88_3 Depth=1
	v_lshl_add_u64 v[4:5], v[30:31], 4, s[62:63]
	s_mov_b32 s104, exec_lo
                                        ; implicit-def: $vgpr16_vgpr17
	global_load_b128 v[18:21], v[4:5], off
	s_wait_loadcnt 0x0
	v_cmpx_ngt_f64_e64 |v[18:19]|, |v[20:21]|
	s_xor_b32 s104, exec_lo, s104
	s_cbranch_execz .LBB88_477
; %bb.476:                              ;   in Loop: Header=BB88_3 Depth=1
	v_div_scale_f64 v[4:5], null, v[20:21], v[20:21], v[18:19]
	v_div_scale_f64 v[36:37], vcc_lo, v[18:19], v[20:21], v[18:19]
	s_delay_alu instid0(VALU_DEP_2) | instskip(SKIP_1) | instid1(TRANS32_DEP_1)
	v_rcp_f64_e32 v[14:15], v[4:5]
	v_nop
	v_fma_f64 v[16:17], -v[4:5], v[14:15], 1.0
	s_delay_alu instid0(VALU_DEP_1) | instskip(NEXT) | instid1(VALU_DEP_1)
	v_fmac_f64_e32 v[14:15], v[14:15], v[16:17]
	v_fma_f64 v[16:17], -v[4:5], v[14:15], 1.0
	s_delay_alu instid0(VALU_DEP_1) | instskip(NEXT) | instid1(VALU_DEP_1)
	v_fmac_f64_e32 v[14:15], v[14:15], v[16:17]
	v_mul_f64_e32 v[16:17], v[36:37], v[14:15]
	s_delay_alu instid0(VALU_DEP_1) | instskip(NEXT) | instid1(VALU_DEP_1)
	v_fma_f64 v[4:5], -v[4:5], v[16:17], v[36:37]
	v_div_fmas_f64 v[4:5], v[4:5], v[14:15], v[16:17]
	s_delay_alu instid0(VALU_DEP_1) | instskip(NEXT) | instid1(VALU_DEP_1)
	v_div_fixup_f64 v[4:5], v[4:5], v[20:21], v[18:19]
	v_fmac_f64_e32 v[20:21], v[18:19], v[4:5]
	s_delay_alu instid0(VALU_DEP_1) | instskip(NEXT) | instid1(VALU_DEP_1)
	v_div_scale_f64 v[14:15], null, v[20:21], v[20:21], 1.0
	v_rcp_f64_e32 v[16:17], v[14:15]
	v_nop
	s_delay_alu instid0(TRANS32_DEP_1) | instskip(NEXT) | instid1(VALU_DEP_1)
	v_fma_f64 v[18:19], -v[14:15], v[16:17], 1.0
	v_fmac_f64_e32 v[16:17], v[16:17], v[18:19]
	s_delay_alu instid0(VALU_DEP_1) | instskip(NEXT) | instid1(VALU_DEP_1)
	v_fma_f64 v[18:19], -v[14:15], v[16:17], 1.0
	v_fmac_f64_e32 v[16:17], v[16:17], v[18:19]
	v_div_scale_f64 v[18:19], vcc_lo, 1.0, v[20:21], 1.0
	s_delay_alu instid0(VALU_DEP_1) | instskip(NEXT) | instid1(VALU_DEP_1)
	v_mul_f64_e32 v[36:37], v[18:19], v[16:17]
	v_fma_f64 v[14:15], -v[14:15], v[36:37], v[18:19]
	s_delay_alu instid0(VALU_DEP_1) | instskip(NEXT) | instid1(VALU_DEP_1)
	v_div_fmas_f64 v[14:15], v[14:15], v[16:17], v[36:37]
	v_div_fixup_f64 v[16:17], v[14:15], v[20:21], 1.0
                                        ; implicit-def: $vgpr18_vgpr19
	s_delay_alu instid0(VALU_DEP_1)
	v_mul_f64_e32 v[14:15], v[4:5], v[16:17]
	v_xor_b32_e32 v17, 0x80000000, v17
.LBB88_477:                             ;   in Loop: Header=BB88_3 Depth=1
	s_and_not1_saveexec_b32 s104, s104
	s_cbranch_execz .LBB88_479
; %bb.478:                              ;   in Loop: Header=BB88_3 Depth=1
	v_div_scale_f64 v[4:5], null, v[18:19], v[18:19], v[20:21]
	v_div_scale_f64 v[36:37], vcc_lo, v[20:21], v[18:19], v[20:21]
	s_delay_alu instid0(VALU_DEP_2) | instskip(SKIP_1) | instid1(TRANS32_DEP_1)
	v_rcp_f64_e32 v[14:15], v[4:5]
	v_nop
	v_fma_f64 v[16:17], -v[4:5], v[14:15], 1.0
	s_delay_alu instid0(VALU_DEP_1) | instskip(NEXT) | instid1(VALU_DEP_1)
	v_fmac_f64_e32 v[14:15], v[14:15], v[16:17]
	v_fma_f64 v[16:17], -v[4:5], v[14:15], 1.0
	s_delay_alu instid0(VALU_DEP_1) | instskip(NEXT) | instid1(VALU_DEP_1)
	v_fmac_f64_e32 v[14:15], v[14:15], v[16:17]
	v_mul_f64_e32 v[16:17], v[36:37], v[14:15]
	s_delay_alu instid0(VALU_DEP_1) | instskip(NEXT) | instid1(VALU_DEP_1)
	v_fma_f64 v[4:5], -v[4:5], v[16:17], v[36:37]
	v_div_fmas_f64 v[4:5], v[4:5], v[14:15], v[16:17]
	s_delay_alu instid0(VALU_DEP_1) | instskip(NEXT) | instid1(VALU_DEP_1)
	v_div_fixup_f64 v[4:5], v[4:5], v[18:19], v[20:21]
	v_fmac_f64_e32 v[18:19], v[20:21], v[4:5]
	s_delay_alu instid0(VALU_DEP_1) | instskip(NEXT) | instid1(VALU_DEP_1)
	v_div_scale_f64 v[14:15], null, v[18:19], v[18:19], 1.0
	v_rcp_f64_e32 v[16:17], v[14:15]
	v_nop
	s_delay_alu instid0(TRANS32_DEP_1) | instskip(NEXT) | instid1(VALU_DEP_1)
	v_fma_f64 v[20:21], -v[14:15], v[16:17], 1.0
	v_fmac_f64_e32 v[16:17], v[16:17], v[20:21]
	s_delay_alu instid0(VALU_DEP_1) | instskip(NEXT) | instid1(VALU_DEP_1)
	v_fma_f64 v[20:21], -v[14:15], v[16:17], 1.0
	v_fmac_f64_e32 v[16:17], v[16:17], v[20:21]
	v_div_scale_f64 v[20:21], vcc_lo, 1.0, v[18:19], 1.0
	s_delay_alu instid0(VALU_DEP_1) | instskip(NEXT) | instid1(VALU_DEP_1)
	v_mul_f64_e32 v[36:37], v[20:21], v[16:17]
	v_fma_f64 v[14:15], -v[14:15], v[36:37], v[20:21]
	s_delay_alu instid0(VALU_DEP_1) | instskip(NEXT) | instid1(VALU_DEP_1)
	v_div_fmas_f64 v[14:15], v[14:15], v[16:17], v[36:37]
	v_div_fixup_f64 v[14:15], v[14:15], v[18:19], 1.0
	s_delay_alu instid0(VALU_DEP_1)
	v_mul_f64_e64 v[16:17], v[4:5], -v[14:15]
.LBB88_479:                             ;   in Loop: Header=BB88_3 Depth=1
	s_or_b32 exec_lo, exec_lo, s104
	s_delay_alu instid0(SALU_CYCLE_1)
	s_or_b32 s65, s65, exec_lo
.LBB88_480:                             ;   in Loop: Header=BB88_3 Depth=1
	s_or_b32 exec_lo, exec_lo, s103
	s_delay_alu instid0(SALU_CYCLE_1)
	s_and_b32 s65, s65, exec_lo
	s_and_not1_saveexec_b32 s19, s64
	s_cbranch_execz .LBB88_12
.LBB88_481:                             ;   in Loop: Header=BB88_3 Depth=1
	v_lshl_add_u64 v[4:5], v[30:31], 4, s[62:63]
	s_or_b32 s65, s65, exec_lo
	global_load_b128 v[14:17], v[4:5], off
	s_wait_loadcnt 0x0
	v_xor_b32_e32 v15, 0x80000000, v15
	v_xor_b32_e32 v17, 0x80000000, v17
	s_or_b32 exec_lo, exec_lo, s19
	s_and_saveexec_b32 s19, s65
	s_cbranch_execz .LBB88_13
.LBB88_482:                             ;   in Loop: Header=BB88_3 Depth=1
	ds_store_b128 v61, v[14:17]
	s_or_b32 exec_lo, exec_lo, s19
	s_and_saveexec_b32 s19, s7
	s_delay_alu instid0(SALU_CYCLE_1)
	s_xor_b32 s64, exec_lo, s19
	s_cbranch_execz .LBB88_14
.LBB88_483:                             ;   in Loop: Header=BB88_3 Depth=1
	v_readlane_b32 s20, v75, 19
	s_and_saveexec_b32 s19, s20
	s_delay_alu instid0(SALU_CYCLE_1)
	s_xor_b32 s19, exec_lo, s19
	s_cbranch_execz .LBB88_487
; %bb.484:                              ;   in Loop: Header=BB88_3 Depth=1
	v_readlane_b32 s20, v74, 1
	s_and_saveexec_b32 s65, s20
; %bb.485:                              ;   in Loop: Header=BB88_3 Depth=1
	v_dual_mov_b32 v3, v2 :: v_dual_mov_b32 v4, v2
	v_mov_b32_e32 v5, v2
	ds_store_b128 v65, v[2:5]
; %bb.486:                              ;   in Loop: Header=BB88_3 Depth=1
	s_or_b32 exec_lo, exec_lo, s65
.LBB88_487:                             ;   in Loop: Header=BB88_3 Depth=1
	s_and_not1_saveexec_b32 s65, s19
	s_cbranch_execz .LBB88_493
; %bb.488:                              ;   in Loop: Header=BB88_3 Depth=1
	v_lshl_add_u64 v[4:5], v[34:35], 4, s[62:63]
	s_mov_b32 s103, exec_lo
                                        ; implicit-def: $vgpr18_vgpr19
	global_load_b128 v[14:17], v[4:5], off
	s_wait_loadcnt 0x0
	v_cmpx_ngt_f64_e64 |v[14:15]|, |v[16:17]|
	s_xor_b32 s103, exec_lo, s103
	s_cbranch_execz .LBB88_490
; %bb.489:                              ;   in Loop: Header=BB88_3 Depth=1
	v_div_scale_f64 v[4:5], null, v[16:17], v[16:17], v[14:15]
	v_div_scale_f64 v[36:37], vcc_lo, v[14:15], v[16:17], v[14:15]
	s_delay_alu instid0(VALU_DEP_2) | instskip(SKIP_1) | instid1(TRANS32_DEP_1)
	v_rcp_f64_e32 v[18:19], v[4:5]
	v_nop
	v_fma_f64 v[20:21], -v[4:5], v[18:19], 1.0
	s_delay_alu instid0(VALU_DEP_1) | instskip(NEXT) | instid1(VALU_DEP_1)
	v_fmac_f64_e32 v[18:19], v[18:19], v[20:21]
	v_fma_f64 v[20:21], -v[4:5], v[18:19], 1.0
	s_delay_alu instid0(VALU_DEP_1) | instskip(NEXT) | instid1(VALU_DEP_1)
	v_fmac_f64_e32 v[18:19], v[18:19], v[20:21]
	v_mul_f64_e32 v[20:21], v[36:37], v[18:19]
	s_delay_alu instid0(VALU_DEP_1) | instskip(NEXT) | instid1(VALU_DEP_1)
	v_fma_f64 v[4:5], -v[4:5], v[20:21], v[36:37]
	v_div_fmas_f64 v[4:5], v[4:5], v[18:19], v[20:21]
	s_delay_alu instid0(VALU_DEP_1) | instskip(NEXT) | instid1(VALU_DEP_1)
	v_div_fixup_f64 v[4:5], v[4:5], v[16:17], v[14:15]
	v_fmac_f64_e32 v[16:17], v[14:15], v[4:5]
	s_delay_alu instid0(VALU_DEP_1) | instskip(NEXT) | instid1(VALU_DEP_1)
	v_div_scale_f64 v[14:15], null, v[16:17], v[16:17], 1.0
	v_rcp_f64_e32 v[18:19], v[14:15]
	v_nop
	s_delay_alu instid0(TRANS32_DEP_1) | instskip(NEXT) | instid1(VALU_DEP_1)
	v_fma_f64 v[20:21], -v[14:15], v[18:19], 1.0
	v_fmac_f64_e32 v[18:19], v[18:19], v[20:21]
	s_delay_alu instid0(VALU_DEP_1) | instskip(NEXT) | instid1(VALU_DEP_1)
	v_fma_f64 v[20:21], -v[14:15], v[18:19], 1.0
	v_fmac_f64_e32 v[18:19], v[18:19], v[20:21]
	v_div_scale_f64 v[20:21], vcc_lo, 1.0, v[16:17], 1.0
	s_delay_alu instid0(VALU_DEP_1) | instskip(NEXT) | instid1(VALU_DEP_1)
	v_mul_f64_e32 v[36:37], v[20:21], v[18:19]
	v_fma_f64 v[14:15], -v[14:15], v[36:37], v[20:21]
	s_delay_alu instid0(VALU_DEP_1) | instskip(NEXT) | instid1(VALU_DEP_1)
	v_div_fmas_f64 v[14:15], v[14:15], v[18:19], v[36:37]
	v_div_fixup_f64 v[20:21], v[14:15], v[16:17], 1.0
                                        ; implicit-def: $vgpr14_vgpr15
	s_delay_alu instid0(VALU_DEP_1)
	v_mul_f64_e32 v[18:19], v[4:5], v[20:21]
	v_xor_b32_e32 v21, 0x80000000, v21
.LBB88_490:                             ;   in Loop: Header=BB88_3 Depth=1
	s_and_not1_saveexec_b32 s103, s103
	s_cbranch_execz .LBB88_492
; %bb.491:                              ;   in Loop: Header=BB88_3 Depth=1
	v_div_scale_f64 v[4:5], null, v[14:15], v[14:15], v[16:17]
	v_div_scale_f64 v[36:37], vcc_lo, v[16:17], v[14:15], v[16:17]
	s_delay_alu instid0(VALU_DEP_2) | instskip(SKIP_1) | instid1(TRANS32_DEP_1)
	v_rcp_f64_e32 v[18:19], v[4:5]
	v_nop
	v_fma_f64 v[20:21], -v[4:5], v[18:19], 1.0
	s_delay_alu instid0(VALU_DEP_1) | instskip(NEXT) | instid1(VALU_DEP_1)
	v_fmac_f64_e32 v[18:19], v[18:19], v[20:21]
	v_fma_f64 v[20:21], -v[4:5], v[18:19], 1.0
	s_delay_alu instid0(VALU_DEP_1) | instskip(NEXT) | instid1(VALU_DEP_1)
	v_fmac_f64_e32 v[18:19], v[18:19], v[20:21]
	v_mul_f64_e32 v[20:21], v[36:37], v[18:19]
	s_delay_alu instid0(VALU_DEP_1) | instskip(NEXT) | instid1(VALU_DEP_1)
	v_fma_f64 v[4:5], -v[4:5], v[20:21], v[36:37]
	v_div_fmas_f64 v[4:5], v[4:5], v[18:19], v[20:21]
	s_delay_alu instid0(VALU_DEP_1) | instskip(NEXT) | instid1(VALU_DEP_1)
	v_div_fixup_f64 v[4:5], v[4:5], v[14:15], v[16:17]
	v_fmac_f64_e32 v[14:15], v[16:17], v[4:5]
	s_delay_alu instid0(VALU_DEP_1) | instskip(NEXT) | instid1(VALU_DEP_1)
	v_div_scale_f64 v[16:17], null, v[14:15], v[14:15], 1.0
	v_rcp_f64_e32 v[18:19], v[16:17]
	v_nop
	s_delay_alu instid0(TRANS32_DEP_1) | instskip(NEXT) | instid1(VALU_DEP_1)
	v_fma_f64 v[20:21], -v[16:17], v[18:19], 1.0
	v_fmac_f64_e32 v[18:19], v[18:19], v[20:21]
	s_delay_alu instid0(VALU_DEP_1) | instskip(NEXT) | instid1(VALU_DEP_1)
	v_fma_f64 v[20:21], -v[16:17], v[18:19], 1.0
	v_fmac_f64_e32 v[18:19], v[18:19], v[20:21]
	v_div_scale_f64 v[20:21], vcc_lo, 1.0, v[14:15], 1.0
	s_delay_alu instid0(VALU_DEP_1) | instskip(NEXT) | instid1(VALU_DEP_1)
	v_mul_f64_e32 v[36:37], v[20:21], v[18:19]
	v_fma_f64 v[16:17], -v[16:17], v[36:37], v[20:21]
	s_delay_alu instid0(VALU_DEP_1) | instskip(NEXT) | instid1(VALU_DEP_1)
	v_div_fmas_f64 v[16:17], v[16:17], v[18:19], v[36:37]
	v_div_fixup_f64 v[18:19], v[16:17], v[14:15], 1.0
	s_delay_alu instid0(VALU_DEP_1)
	v_mul_f64_e64 v[20:21], v[4:5], -v[18:19]
.LBB88_492:                             ;   in Loop: Header=BB88_3 Depth=1
	s_or_b32 exec_lo, exec_lo, s103
	ds_store_b128 v65, v[18:21]
.LBB88_493:                             ;   in Loop: Header=BB88_3 Depth=1
	s_or_b32 exec_lo, exec_lo, s65
	s_and_not1_saveexec_b32 s19, s64
	s_cbranch_execnz .LBB88_15
	s_branch .LBB88_16
.LBB88_494:                             ;   in Loop: Header=BB88_3 Depth=1
	v_readlane_b32 s20, v75, 18
	s_and_saveexec_b32 s19, s20
	s_delay_alu instid0(SALU_CYCLE_1)
	s_xor_b32 s19, exec_lo, s19
	s_cbranch_execz .LBB88_496
; %bb.495:                              ;   in Loop: Header=BB88_3 Depth=1
	v_readlane_b32 s20, v74, 0
	s_and_b32 s65, s20, exec_lo
.LBB88_496:                             ;   in Loop: Header=BB88_3 Depth=1
	s_or_saveexec_b32 s103, s19
	v_mov_b64_e32 v[16:17], 0
	v_mov_b64_e32 v[14:15], 0
	s_xor_b32 exec_lo, exec_lo, s103
	s_cbranch_execz .LBB88_502
; %bb.497:                              ;   in Loop: Header=BB88_3 Depth=1
	v_lshl_add_u64 v[4:5], v[30:31], 4, s[62:63]
	s_mov_b32 s104, exec_lo
                                        ; implicit-def: $vgpr16_vgpr17
	global_load_b128 v[18:21], v[4:5], off
	s_wait_loadcnt 0x0
	v_cmpx_ngt_f64_e64 |v[18:19]|, |v[20:21]|
	s_xor_b32 s104, exec_lo, s104
	s_cbranch_execz .LBB88_499
; %bb.498:                              ;   in Loop: Header=BB88_3 Depth=1
	v_div_scale_f64 v[4:5], null, v[20:21], v[20:21], v[18:19]
	v_div_scale_f64 v[36:37], vcc_lo, v[18:19], v[20:21], v[18:19]
	s_delay_alu instid0(VALU_DEP_2) | instskip(SKIP_1) | instid1(TRANS32_DEP_1)
	v_rcp_f64_e32 v[14:15], v[4:5]
	v_nop
	v_fma_f64 v[16:17], -v[4:5], v[14:15], 1.0
	s_delay_alu instid0(VALU_DEP_1) | instskip(NEXT) | instid1(VALU_DEP_1)
	v_fmac_f64_e32 v[14:15], v[14:15], v[16:17]
	v_fma_f64 v[16:17], -v[4:5], v[14:15], 1.0
	s_delay_alu instid0(VALU_DEP_1) | instskip(NEXT) | instid1(VALU_DEP_1)
	v_fmac_f64_e32 v[14:15], v[14:15], v[16:17]
	v_mul_f64_e32 v[16:17], v[36:37], v[14:15]
	s_delay_alu instid0(VALU_DEP_1) | instskip(NEXT) | instid1(VALU_DEP_1)
	v_fma_f64 v[4:5], -v[4:5], v[16:17], v[36:37]
	v_div_fmas_f64 v[4:5], v[4:5], v[14:15], v[16:17]
	s_delay_alu instid0(VALU_DEP_1) | instskip(NEXT) | instid1(VALU_DEP_1)
	v_div_fixup_f64 v[4:5], v[4:5], v[20:21], v[18:19]
	v_fmac_f64_e32 v[20:21], v[18:19], v[4:5]
	s_delay_alu instid0(VALU_DEP_1) | instskip(NEXT) | instid1(VALU_DEP_1)
	v_div_scale_f64 v[14:15], null, v[20:21], v[20:21], 1.0
	v_rcp_f64_e32 v[16:17], v[14:15]
	v_nop
	s_delay_alu instid0(TRANS32_DEP_1) | instskip(NEXT) | instid1(VALU_DEP_1)
	v_fma_f64 v[18:19], -v[14:15], v[16:17], 1.0
	v_fmac_f64_e32 v[16:17], v[16:17], v[18:19]
	s_delay_alu instid0(VALU_DEP_1) | instskip(NEXT) | instid1(VALU_DEP_1)
	v_fma_f64 v[18:19], -v[14:15], v[16:17], 1.0
	v_fmac_f64_e32 v[16:17], v[16:17], v[18:19]
	v_div_scale_f64 v[18:19], vcc_lo, 1.0, v[20:21], 1.0
	s_delay_alu instid0(VALU_DEP_1) | instskip(NEXT) | instid1(VALU_DEP_1)
	v_mul_f64_e32 v[36:37], v[18:19], v[16:17]
	v_fma_f64 v[14:15], -v[14:15], v[36:37], v[18:19]
	s_delay_alu instid0(VALU_DEP_1) | instskip(NEXT) | instid1(VALU_DEP_1)
	v_div_fmas_f64 v[14:15], v[14:15], v[16:17], v[36:37]
	v_div_fixup_f64 v[16:17], v[14:15], v[20:21], 1.0
                                        ; implicit-def: $vgpr18_vgpr19
	s_delay_alu instid0(VALU_DEP_1)
	v_mul_f64_e32 v[14:15], v[4:5], v[16:17]
	v_xor_b32_e32 v17, 0x80000000, v17
.LBB88_499:                             ;   in Loop: Header=BB88_3 Depth=1
	s_and_not1_saveexec_b32 s104, s104
	s_cbranch_execz .LBB88_501
; %bb.500:                              ;   in Loop: Header=BB88_3 Depth=1
	v_div_scale_f64 v[4:5], null, v[18:19], v[18:19], v[20:21]
	v_div_scale_f64 v[36:37], vcc_lo, v[20:21], v[18:19], v[20:21]
	s_delay_alu instid0(VALU_DEP_2) | instskip(SKIP_1) | instid1(TRANS32_DEP_1)
	v_rcp_f64_e32 v[14:15], v[4:5]
	v_nop
	v_fma_f64 v[16:17], -v[4:5], v[14:15], 1.0
	s_delay_alu instid0(VALU_DEP_1) | instskip(NEXT) | instid1(VALU_DEP_1)
	v_fmac_f64_e32 v[14:15], v[14:15], v[16:17]
	v_fma_f64 v[16:17], -v[4:5], v[14:15], 1.0
	s_delay_alu instid0(VALU_DEP_1) | instskip(NEXT) | instid1(VALU_DEP_1)
	v_fmac_f64_e32 v[14:15], v[14:15], v[16:17]
	v_mul_f64_e32 v[16:17], v[36:37], v[14:15]
	s_delay_alu instid0(VALU_DEP_1) | instskip(NEXT) | instid1(VALU_DEP_1)
	v_fma_f64 v[4:5], -v[4:5], v[16:17], v[36:37]
	v_div_fmas_f64 v[4:5], v[4:5], v[14:15], v[16:17]
	s_delay_alu instid0(VALU_DEP_1) | instskip(NEXT) | instid1(VALU_DEP_1)
	v_div_fixup_f64 v[4:5], v[4:5], v[18:19], v[20:21]
	v_fmac_f64_e32 v[18:19], v[20:21], v[4:5]
	s_delay_alu instid0(VALU_DEP_1) | instskip(NEXT) | instid1(VALU_DEP_1)
	v_div_scale_f64 v[14:15], null, v[18:19], v[18:19], 1.0
	v_rcp_f64_e32 v[16:17], v[14:15]
	v_nop
	s_delay_alu instid0(TRANS32_DEP_1) | instskip(NEXT) | instid1(VALU_DEP_1)
	v_fma_f64 v[20:21], -v[14:15], v[16:17], 1.0
	v_fmac_f64_e32 v[16:17], v[16:17], v[20:21]
	s_delay_alu instid0(VALU_DEP_1) | instskip(NEXT) | instid1(VALU_DEP_1)
	v_fma_f64 v[20:21], -v[14:15], v[16:17], 1.0
	v_fmac_f64_e32 v[16:17], v[16:17], v[20:21]
	v_div_scale_f64 v[20:21], vcc_lo, 1.0, v[18:19], 1.0
	s_delay_alu instid0(VALU_DEP_1) | instskip(NEXT) | instid1(VALU_DEP_1)
	v_mul_f64_e32 v[36:37], v[20:21], v[16:17]
	v_fma_f64 v[14:15], -v[14:15], v[36:37], v[20:21]
	s_delay_alu instid0(VALU_DEP_1) | instskip(NEXT) | instid1(VALU_DEP_1)
	v_div_fmas_f64 v[14:15], v[14:15], v[16:17], v[36:37]
	v_div_fixup_f64 v[14:15], v[14:15], v[18:19], 1.0
	s_delay_alu instid0(VALU_DEP_1)
	v_mul_f64_e64 v[16:17], v[4:5], -v[14:15]
.LBB88_501:                             ;   in Loop: Header=BB88_3 Depth=1
	s_or_b32 exec_lo, exec_lo, s104
	s_delay_alu instid0(SALU_CYCLE_1)
	s_or_b32 s65, s65, exec_lo
.LBB88_502:                             ;   in Loop: Header=BB88_3 Depth=1
	s_or_b32 exec_lo, exec_lo, s103
	s_delay_alu instid0(SALU_CYCLE_1)
	s_and_b32 s65, s65, exec_lo
	s_and_not1_saveexec_b32 s19, s64
	s_cbranch_execz .LBB88_20
.LBB88_503:                             ;   in Loop: Header=BB88_3 Depth=1
	v_lshl_add_u64 v[4:5], v[30:31], 4, s[62:63]
	s_or_b32 s65, s65, exec_lo
	global_load_b128 v[14:17], v[4:5], off
	s_wait_loadcnt 0x0
	v_xor_b32_e32 v15, 0x80000000, v15
	v_xor_b32_e32 v17, 0x80000000, v17
	s_or_b32 exec_lo, exec_lo, s19
	s_and_saveexec_b32 s19, s65
	s_cbranch_execz .LBB88_21
.LBB88_504:                             ;   in Loop: Header=BB88_3 Depth=1
	ds_store_b128 v61, v[14:17]
	s_or_b32 exec_lo, exec_lo, s19
	s_and_saveexec_b32 s19, s102
	s_delay_alu instid0(SALU_CYCLE_1)
	s_xor_b32 s64, exec_lo, s19
	s_cbranch_execz .LBB88_22
.LBB88_505:                             ;   in Loop: Header=BB88_3 Depth=1
	v_readlane_b32 s20, v75, 20
	s_and_saveexec_b32 s19, s20
	s_delay_alu instid0(SALU_CYCLE_1)
	s_xor_b32 s19, exec_lo, s19
	s_cbranch_execz .LBB88_509
; %bb.506:                              ;   in Loop: Header=BB88_3 Depth=1
	v_readlane_b32 s20, v74, 1
	s_and_saveexec_b32 s65, s20
; %bb.507:                              ;   in Loop: Header=BB88_3 Depth=1
	v_dual_mov_b32 v3, v2 :: v_dual_mov_b32 v4, v2
	v_mov_b32_e32 v5, v2
	ds_store_b128 v65, v[2:5]
; %bb.508:                              ;   in Loop: Header=BB88_3 Depth=1
	s_or_b32 exec_lo, exec_lo, s65
.LBB88_509:                             ;   in Loop: Header=BB88_3 Depth=1
	s_and_not1_saveexec_b32 s65, s19
	s_cbranch_execz .LBB88_515
; %bb.510:                              ;   in Loop: Header=BB88_3 Depth=1
	v_lshl_add_u64 v[4:5], v[34:35], 4, s[62:63]
	s_mov_b32 s103, exec_lo
                                        ; implicit-def: $vgpr18_vgpr19
	global_load_b128 v[14:17], v[4:5], off
	s_wait_loadcnt 0x0
	v_cmpx_ngt_f64_e64 |v[14:15]|, |v[16:17]|
	s_xor_b32 s103, exec_lo, s103
	s_cbranch_execz .LBB88_512
; %bb.511:                              ;   in Loop: Header=BB88_3 Depth=1
	v_div_scale_f64 v[4:5], null, v[16:17], v[16:17], v[14:15]
	v_div_scale_f64 v[36:37], vcc_lo, v[14:15], v[16:17], v[14:15]
	s_delay_alu instid0(VALU_DEP_2) | instskip(SKIP_1) | instid1(TRANS32_DEP_1)
	v_rcp_f64_e32 v[18:19], v[4:5]
	v_nop
	v_fma_f64 v[20:21], -v[4:5], v[18:19], 1.0
	s_delay_alu instid0(VALU_DEP_1) | instskip(NEXT) | instid1(VALU_DEP_1)
	v_fmac_f64_e32 v[18:19], v[18:19], v[20:21]
	v_fma_f64 v[20:21], -v[4:5], v[18:19], 1.0
	s_delay_alu instid0(VALU_DEP_1) | instskip(NEXT) | instid1(VALU_DEP_1)
	v_fmac_f64_e32 v[18:19], v[18:19], v[20:21]
	v_mul_f64_e32 v[20:21], v[36:37], v[18:19]
	s_delay_alu instid0(VALU_DEP_1) | instskip(NEXT) | instid1(VALU_DEP_1)
	v_fma_f64 v[4:5], -v[4:5], v[20:21], v[36:37]
	v_div_fmas_f64 v[4:5], v[4:5], v[18:19], v[20:21]
	s_delay_alu instid0(VALU_DEP_1) | instskip(NEXT) | instid1(VALU_DEP_1)
	v_div_fixup_f64 v[4:5], v[4:5], v[16:17], v[14:15]
	v_fmac_f64_e32 v[16:17], v[14:15], v[4:5]
	s_delay_alu instid0(VALU_DEP_1) | instskip(NEXT) | instid1(VALU_DEP_1)
	v_div_scale_f64 v[14:15], null, v[16:17], v[16:17], 1.0
	v_rcp_f64_e32 v[18:19], v[14:15]
	v_nop
	s_delay_alu instid0(TRANS32_DEP_1) | instskip(NEXT) | instid1(VALU_DEP_1)
	v_fma_f64 v[20:21], -v[14:15], v[18:19], 1.0
	v_fmac_f64_e32 v[18:19], v[18:19], v[20:21]
	s_delay_alu instid0(VALU_DEP_1) | instskip(NEXT) | instid1(VALU_DEP_1)
	v_fma_f64 v[20:21], -v[14:15], v[18:19], 1.0
	v_fmac_f64_e32 v[18:19], v[18:19], v[20:21]
	v_div_scale_f64 v[20:21], vcc_lo, 1.0, v[16:17], 1.0
	s_delay_alu instid0(VALU_DEP_1) | instskip(NEXT) | instid1(VALU_DEP_1)
	v_mul_f64_e32 v[36:37], v[20:21], v[18:19]
	v_fma_f64 v[14:15], -v[14:15], v[36:37], v[20:21]
	s_delay_alu instid0(VALU_DEP_1) | instskip(NEXT) | instid1(VALU_DEP_1)
	v_div_fmas_f64 v[14:15], v[14:15], v[18:19], v[36:37]
	v_div_fixup_f64 v[20:21], v[14:15], v[16:17], 1.0
                                        ; implicit-def: $vgpr14_vgpr15
	s_delay_alu instid0(VALU_DEP_1)
	v_mul_f64_e32 v[18:19], v[4:5], v[20:21]
	v_xor_b32_e32 v21, 0x80000000, v21
.LBB88_512:                             ;   in Loop: Header=BB88_3 Depth=1
	s_and_not1_saveexec_b32 s103, s103
	s_cbranch_execz .LBB88_514
; %bb.513:                              ;   in Loop: Header=BB88_3 Depth=1
	v_div_scale_f64 v[4:5], null, v[14:15], v[14:15], v[16:17]
	v_div_scale_f64 v[36:37], vcc_lo, v[16:17], v[14:15], v[16:17]
	s_delay_alu instid0(VALU_DEP_2) | instskip(SKIP_1) | instid1(TRANS32_DEP_1)
	v_rcp_f64_e32 v[18:19], v[4:5]
	v_nop
	v_fma_f64 v[20:21], -v[4:5], v[18:19], 1.0
	s_delay_alu instid0(VALU_DEP_1) | instskip(NEXT) | instid1(VALU_DEP_1)
	v_fmac_f64_e32 v[18:19], v[18:19], v[20:21]
	v_fma_f64 v[20:21], -v[4:5], v[18:19], 1.0
	s_delay_alu instid0(VALU_DEP_1) | instskip(NEXT) | instid1(VALU_DEP_1)
	v_fmac_f64_e32 v[18:19], v[18:19], v[20:21]
	v_mul_f64_e32 v[20:21], v[36:37], v[18:19]
	s_delay_alu instid0(VALU_DEP_1) | instskip(NEXT) | instid1(VALU_DEP_1)
	v_fma_f64 v[4:5], -v[4:5], v[20:21], v[36:37]
	v_div_fmas_f64 v[4:5], v[4:5], v[18:19], v[20:21]
	s_delay_alu instid0(VALU_DEP_1) | instskip(NEXT) | instid1(VALU_DEP_1)
	v_div_fixup_f64 v[4:5], v[4:5], v[14:15], v[16:17]
	v_fmac_f64_e32 v[14:15], v[16:17], v[4:5]
	s_delay_alu instid0(VALU_DEP_1) | instskip(NEXT) | instid1(VALU_DEP_1)
	v_div_scale_f64 v[16:17], null, v[14:15], v[14:15], 1.0
	v_rcp_f64_e32 v[18:19], v[16:17]
	v_nop
	s_delay_alu instid0(TRANS32_DEP_1) | instskip(NEXT) | instid1(VALU_DEP_1)
	v_fma_f64 v[20:21], -v[16:17], v[18:19], 1.0
	v_fmac_f64_e32 v[18:19], v[18:19], v[20:21]
	s_delay_alu instid0(VALU_DEP_1) | instskip(NEXT) | instid1(VALU_DEP_1)
	v_fma_f64 v[20:21], -v[16:17], v[18:19], 1.0
	v_fmac_f64_e32 v[18:19], v[18:19], v[20:21]
	v_div_scale_f64 v[20:21], vcc_lo, 1.0, v[14:15], 1.0
	s_delay_alu instid0(VALU_DEP_1) | instskip(NEXT) | instid1(VALU_DEP_1)
	v_mul_f64_e32 v[36:37], v[20:21], v[18:19]
	v_fma_f64 v[16:17], -v[16:17], v[36:37], v[20:21]
	s_delay_alu instid0(VALU_DEP_1) | instskip(NEXT) | instid1(VALU_DEP_1)
	v_div_fmas_f64 v[16:17], v[16:17], v[18:19], v[36:37]
	v_div_fixup_f64 v[18:19], v[16:17], v[14:15], 1.0
	s_delay_alu instid0(VALU_DEP_1)
	v_mul_f64_e64 v[20:21], v[4:5], -v[18:19]
.LBB88_514:                             ;   in Loop: Header=BB88_3 Depth=1
	s_or_b32 exec_lo, exec_lo, s103
	ds_store_b128 v65, v[18:21]
.LBB88_515:                             ;   in Loop: Header=BB88_3 Depth=1
	s_or_b32 exec_lo, exec_lo, s65
	s_and_not1_saveexec_b32 s19, s64
	s_cbranch_execnz .LBB88_23
	s_branch .LBB88_24
.LBB88_516:                             ;   in Loop: Header=BB88_3 Depth=1
	s_or_b32 exec_lo, exec_lo, s103
	s_delay_alu instid0(SALU_CYCLE_1)
	s_and_b32 vcc_lo, exec_lo, s63
	s_cbranch_vccnz .LBB88_456
.LBB88_517:                             ;   in Loop: Header=BB88_3 Depth=1
	s_delay_alu instid0(VALU_DEP_1) | instskip(NEXT) | instid1(VALU_DEP_3)
	v_mov_b64_e32 v[16:17], v[4:5]
	v_mov_b64_e32 v[14:15], v[36:37]
	s_and_saveexec_b32 s19, s62
	s_cbranch_execnz .LBB88_469
	s_branch .LBB88_470
.LBB88_518:                             ;   in Loop: Header=BB88_3 Depth=1
	s_and_not1_b32 s20, s62, exec_lo
	s_and_b32 s21, s4, exec_lo
	s_delay_alu instid0(SALU_CYCLE_1)
	s_or_b32 s62, s20, s21
	s_cbranch_execnz .LBB88_468
.LBB88_519:                             ;   in Loop: Header=BB88_3 Depth=1
	v_readlane_b32 s20, v75, 16
	s_and_not1_b32 s19, s62, exec_lo
	s_and_b32 s20, s20, exec_lo
	s_delay_alu instid0(SALU_CYCLE_1) | instskip(NEXT) | instid1(SALU_CYCLE_1)
	s_or_b32 s62, s19, s20
	s_and_saveexec_b32 s19, s62
	s_cbranch_execnz .LBB88_469
	s_branch .LBB88_470
.LBB88_520:                             ;   in Loop: Header=BB88_3 Depth=1
	ds_load_b128 v[18:21], v47 offset:16336
	ds_load_b128 v[36:39], v46 offset:15232
	s_wait_dscnt 0x0
	v_mul_f64_e32 v[4:5], v[20:21], v[38:39]
	v_mul_f64_e32 v[38:39], v[18:19], v[38:39]
	s_delay_alu instid0(VALU_DEP_2) | instskip(NEXT) | instid1(VALU_DEP_2)
	v_fma_f64 v[4:5], v[18:19], v[36:37], -v[4:5]
	v_fmac_f64_e32 v[38:39], v[20:21], v[36:37]
	s_delay_alu instid0(VALU_DEP_2) | instskip(NEXT) | instid1(VALU_DEP_2)
	v_add_f64_e32 v[14:15], v[14:15], v[4:5]
	v_add_f64_e32 v[16:17], v[16:17], v[38:39]
	s_or_b32 exec_lo, exec_lo, s19
	s_and_saveexec_b32 s19, s13
	s_cbranch_execz .LBB88_45
.LBB88_521:                             ;   in Loop: Header=BB88_3 Depth=1
	ds_load_b128 v[18:21], v47 offset:16352
	ds_load_b128 v[36:39], v46 offset:15744
	s_wait_dscnt 0x0
	v_mul_f64_e32 v[4:5], v[20:21], v[38:39]
	v_mul_f64_e32 v[38:39], v[18:19], v[38:39]
	s_delay_alu instid0(VALU_DEP_2) | instskip(NEXT) | instid1(VALU_DEP_2)
	v_fma_f64 v[4:5], v[18:19], v[36:37], -v[4:5]
	v_fmac_f64_e32 v[38:39], v[20:21], v[36:37]
	s_delay_alu instid0(VALU_DEP_2) | instskip(NEXT) | instid1(VALU_DEP_2)
	v_add_f64_e32 v[14:15], v[14:15], v[4:5]
	v_add_f64_e32 v[16:17], v[16:17], v[38:39]
	s_or_b32 exec_lo, exec_lo, s19
	s_and_saveexec_b32 s19, s0
	s_cbranch_execnz .LBB88_46
	s_branch .LBB88_47
.LBB88_522:                             ;   in Loop: Header=BB88_3 Depth=1
	ds_load_b128 v[18:21], v51 offset:16272
	ds_load_b128 v[36:39], v50 offset:13056
	s_wait_dscnt 0x0
	v_mul_f64_e32 v[4:5], v[20:21], v[38:39]
	v_mul_f64_e32 v[38:39], v[18:19], v[38:39]
	s_delay_alu instid0(VALU_DEP_2) | instskip(NEXT) | instid1(VALU_DEP_2)
	v_fma_f64 v[4:5], v[18:19], v[36:37], -v[4:5]
	v_fmac_f64_e32 v[38:39], v[20:21], v[36:37]
	s_delay_alu instid0(VALU_DEP_2) | instskip(NEXT) | instid1(VALU_DEP_2)
	v_add_f64_e32 v[14:15], v[14:15], v[4:5]
	v_add_f64_e32 v[16:17], v[16:17], v[38:39]
	s_or_b32 exec_lo, exec_lo, s19
	s_and_saveexec_b32 s19, s15
	s_cbranch_execz .LBB88_83
.LBB88_523:                             ;   in Loop: Header=BB88_3 Depth=1
	ds_load_b128 v[18:21], v51 offset:16288
	ds_load_b128 v[36:39], v50 offset:13568
	s_wait_dscnt 0x0
	v_mul_f64_e32 v[4:5], v[20:21], v[38:39]
	v_mul_f64_e32 v[38:39], v[18:19], v[38:39]
	s_delay_alu instid0(VALU_DEP_2) | instskip(NEXT) | instid1(VALU_DEP_2)
	v_fma_f64 v[4:5], v[18:19], v[36:37], -v[4:5]
	v_fmac_f64_e32 v[38:39], v[20:21], v[36:37]
	s_delay_alu instid0(VALU_DEP_2) | instskip(NEXT) | instid1(VALU_DEP_2)
	v_add_f64_e32 v[14:15], v[14:15], v[4:5]
	v_add_f64_e32 v[16:17], v[16:17], v[38:39]
	s_or_b32 exec_lo, exec_lo, s19
	s_and_saveexec_b32 s19, s16
	s_cbranch_execz .LBB88_84
.LBB88_524:                             ;   in Loop: Header=BB88_3 Depth=1
	ds_load_b128 v[18:21], v51 offset:16304
	ds_load_b128 v[36:39], v50 offset:14080
	s_wait_dscnt 0x0
	v_mul_f64_e32 v[4:5], v[20:21], v[38:39]
	v_mul_f64_e32 v[38:39], v[18:19], v[38:39]
	s_delay_alu instid0(VALU_DEP_2) | instskip(NEXT) | instid1(VALU_DEP_2)
	v_fma_f64 v[4:5], v[18:19], v[36:37], -v[4:5]
	v_fmac_f64_e32 v[38:39], v[20:21], v[36:37]
	s_delay_alu instid0(VALU_DEP_2) | instskip(NEXT) | instid1(VALU_DEP_2)
	v_add_f64_e32 v[14:15], v[14:15], v[4:5]
	v_add_f64_e32 v[16:17], v[16:17], v[38:39]
	s_or_b32 exec_lo, exec_lo, s19
	s_and_saveexec_b32 s19, s17
	s_cbranch_execz .LBB88_85
.LBB88_525:                             ;   in Loop: Header=BB88_3 Depth=1
	ds_load_b128 v[18:21], v51 offset:16320
	ds_load_b128 v[36:39], v50 offset:14592
	s_wait_dscnt 0x0
	v_mul_f64_e32 v[4:5], v[20:21], v[38:39]
	v_mul_f64_e32 v[38:39], v[18:19], v[38:39]
	s_delay_alu instid0(VALU_DEP_2) | instskip(NEXT) | instid1(VALU_DEP_2)
	v_fma_f64 v[4:5], v[18:19], v[36:37], -v[4:5]
	v_fmac_f64_e32 v[38:39], v[20:21], v[36:37]
	s_delay_alu instid0(VALU_DEP_2) | instskip(NEXT) | instid1(VALU_DEP_2)
	v_add_f64_e32 v[14:15], v[14:15], v[4:5]
	v_add_f64_e32 v[16:17], v[16:17], v[38:39]
	s_or_b32 exec_lo, exec_lo, s19
	s_and_saveexec_b32 s19, s18
	s_cbranch_execz .LBB88_86
.LBB88_526:                             ;   in Loop: Header=BB88_3 Depth=1
	ds_load_b128 v[18:21], v51 offset:16336
	ds_load_b128 v[36:39], v50 offset:15104
	s_wait_dscnt 0x0
	v_mul_f64_e32 v[4:5], v[20:21], v[38:39]
	v_mul_f64_e32 v[38:39], v[18:19], v[38:39]
	s_delay_alu instid0(VALU_DEP_2) | instskip(NEXT) | instid1(VALU_DEP_2)
	v_fma_f64 v[4:5], v[18:19], v[36:37], -v[4:5]
	v_fmac_f64_e32 v[38:39], v[20:21], v[36:37]
	s_delay_alu instid0(VALU_DEP_2) | instskip(NEXT) | instid1(VALU_DEP_2)
	v_add_f64_e32 v[14:15], v[14:15], v[4:5]
	v_add_f64_e32 v[16:17], v[16:17], v[38:39]
	s_or_b32 exec_lo, exec_lo, s19
	s_and_saveexec_b32 s19, s1
	s_cbranch_execz .LBB88_87
.LBB88_527:                             ;   in Loop: Header=BB88_3 Depth=1
	ds_load_b128 v[18:21], v51 offset:16352
	ds_load_b128 v[36:39], v50 offset:15616
	s_wait_dscnt 0x0
	v_mul_f64_e32 v[4:5], v[20:21], v[38:39]
	v_mul_f64_e32 v[38:39], v[18:19], v[38:39]
	s_delay_alu instid0(VALU_DEP_2) | instskip(NEXT) | instid1(VALU_DEP_2)
	v_fma_f64 v[4:5], v[18:19], v[36:37], -v[4:5]
	v_fmac_f64_e32 v[38:39], v[20:21], v[36:37]
	s_delay_alu instid0(VALU_DEP_2) | instskip(NEXT) | instid1(VALU_DEP_2)
	v_add_f64_e32 v[14:15], v[14:15], v[4:5]
	v_add_f64_e32 v[16:17], v[16:17], v[38:39]
	s_or_b32 exec_lo, exec_lo, s19
	s_and_saveexec_b32 s19, s13
	s_cbranch_execnz .LBB88_88
	s_branch .LBB88_89
.LBB88_528:                             ;   in Loop: Header=BB88_3 Depth=1
	ds_load_b128 v[18:21], v47 offset:12112
	ds_load_b128 v[36:39], v46 offset:11008
	s_wait_dscnt 0x0
	v_mul_f64_e32 v[4:5], v[20:21], v[38:39]
	v_mul_f64_e32 v[38:39], v[18:19], v[38:39]
	s_delay_alu instid0(VALU_DEP_2) | instskip(NEXT) | instid1(VALU_DEP_2)
	v_fma_f64 v[4:5], v[18:19], v[36:37], -v[4:5]
	v_fmac_f64_e32 v[38:39], v[20:21], v[36:37]
	s_delay_alu instid0(VALU_DEP_2) | instskip(NEXT) | instid1(VALU_DEP_2)
	v_add_f64_e32 v[14:15], v[14:15], v[4:5]
	v_add_f64_e32 v[16:17], v[16:17], v[38:39]
	s_or_b32 exec_lo, exec_lo, s19
	s_and_saveexec_b32 s19, s13
	s_cbranch_execz .LBB88_141
.LBB88_529:                             ;   in Loop: Header=BB88_3 Depth=1
	ds_load_b128 v[18:21], v47 offset:12128
	ds_load_b128 v[36:39], v46 offset:11520
	s_wait_dscnt 0x0
	v_mul_f64_e32 v[4:5], v[20:21], v[38:39]
	v_mul_f64_e32 v[38:39], v[18:19], v[38:39]
	s_delay_alu instid0(VALU_DEP_2) | instskip(NEXT) | instid1(VALU_DEP_2)
	v_fma_f64 v[4:5], v[18:19], v[36:37], -v[4:5]
	v_fmac_f64_e32 v[38:39], v[20:21], v[36:37]
	s_delay_alu instid0(VALU_DEP_2) | instskip(NEXT) | instid1(VALU_DEP_2)
	v_add_f64_e32 v[14:15], v[14:15], v[4:5]
	v_add_f64_e32 v[16:17], v[16:17], v[38:39]
	s_or_b32 exec_lo, exec_lo, s19
	s_and_saveexec_b32 s19, s0
	s_cbranch_execnz .LBB88_142
	s_branch .LBB88_143
.LBB88_530:                             ;   in Loop: Header=BB88_3 Depth=1
	ds_load_b128 v[18:21], v55 offset:16304
	ds_load_b128 v[36:39], v54 offset:13824
	s_wait_dscnt 0x0
	v_mul_f64_e32 v[4:5], v[20:21], v[38:39]
	v_mul_f64_e32 v[38:39], v[18:19], v[38:39]
	s_delay_alu instid0(VALU_DEP_2) | instskip(NEXT) | instid1(VALU_DEP_2)
	v_fma_f64 v[4:5], v[18:19], v[36:37], -v[4:5]
	v_fmac_f64_e32 v[38:39], v[20:21], v[36:37]
	s_delay_alu instid0(VALU_DEP_2) | instskip(NEXT) | instid1(VALU_DEP_2)
	v_add_f64_e32 v[14:15], v[14:15], v[4:5]
	v_add_f64_e32 v[16:17], v[16:17], v[38:39]
	s_or_b32 exec_lo, exec_lo, s19
	s_and_saveexec_b32 s19, s2
	s_cbranch_execz .LBB88_199
.LBB88_531:                             ;   in Loop: Header=BB88_3 Depth=1
	ds_load_b128 v[18:21], v55 offset:16320
	ds_load_b128 v[36:39], v54 offset:14336
	s_wait_dscnt 0x0
	v_mul_f64_e32 v[4:5], v[20:21], v[38:39]
	v_mul_f64_e32 v[38:39], v[18:19], v[38:39]
	s_delay_alu instid0(VALU_DEP_2) | instskip(NEXT) | instid1(VALU_DEP_2)
	v_fma_f64 v[4:5], v[18:19], v[36:37], -v[4:5]
	v_fmac_f64_e32 v[38:39], v[20:21], v[36:37]
	s_delay_alu instid0(VALU_DEP_2) | instskip(NEXT) | instid1(VALU_DEP_2)
	v_add_f64_e32 v[14:15], v[14:15], v[4:5]
	v_add_f64_e32 v[16:17], v[16:17], v[38:39]
	s_or_b32 exec_lo, exec_lo, s19
	s_and_saveexec_b32 s19, s15
	s_cbranch_execz .LBB88_200
.LBB88_532:                             ;   in Loop: Header=BB88_3 Depth=1
	ds_load_b128 v[18:21], v55 offset:16336
	ds_load_b128 v[36:39], v54 offset:14848
	s_wait_dscnt 0x0
	v_mul_f64_e32 v[4:5], v[20:21], v[38:39]
	v_mul_f64_e32 v[38:39], v[18:19], v[38:39]
	s_delay_alu instid0(VALU_DEP_2) | instskip(NEXT) | instid1(VALU_DEP_2)
	v_fma_f64 v[4:5], v[18:19], v[36:37], -v[4:5]
	v_fmac_f64_e32 v[38:39], v[20:21], v[36:37]
	s_delay_alu instid0(VALU_DEP_2) | instskip(NEXT) | instid1(VALU_DEP_2)
	v_add_f64_e32 v[14:15], v[14:15], v[4:5]
	v_add_f64_e32 v[16:17], v[16:17], v[38:39]
	s_or_b32 exec_lo, exec_lo, s19
	s_and_saveexec_b32 s19, s17
	s_cbranch_execz .LBB88_201
.LBB88_533:                             ;   in Loop: Header=BB88_3 Depth=1
	ds_load_b128 v[18:21], v55 offset:16352
	ds_load_b128 v[36:39], v54 offset:15360
	s_wait_dscnt 0x0
	v_mul_f64_e32 v[4:5], v[20:21], v[38:39]
	v_mul_f64_e32 v[38:39], v[18:19], v[38:39]
	s_delay_alu instid0(VALU_DEP_2) | instskip(NEXT) | instid1(VALU_DEP_2)
	v_fma_f64 v[4:5], v[18:19], v[36:37], -v[4:5]
	v_fmac_f64_e32 v[38:39], v[20:21], v[36:37]
	s_delay_alu instid0(VALU_DEP_2) | instskip(NEXT) | instid1(VALU_DEP_2)
	v_add_f64_e32 v[14:15], v[14:15], v[4:5]
	v_add_f64_e32 v[16:17], v[16:17], v[38:39]
	s_or_b32 exec_lo, exec_lo, s19
	s_and_saveexec_b32 s19, s1
	s_cbranch_execnz .LBB88_202
	s_branch .LBB88_203
.LBB88_534:                             ;   in Loop: Header=BB88_3 Depth=1
	ds_load_b128 v[18:21], v47 offset:7888
	ds_load_b128 v[36:39], v46 offset:6784
	s_wait_dscnt 0x0
	v_mul_f64_e32 v[4:5], v[20:21], v[38:39]
	v_mul_f64_e32 v[38:39], v[18:19], v[38:39]
	s_delay_alu instid0(VALU_DEP_2) | instskip(NEXT) | instid1(VALU_DEP_2)
	v_fma_f64 v[4:5], v[18:19], v[36:37], -v[4:5]
	v_fmac_f64_e32 v[38:39], v[20:21], v[36:37]
	s_delay_alu instid0(VALU_DEP_2) | instskip(NEXT) | instid1(VALU_DEP_2)
	v_add_f64_e32 v[14:15], v[14:15], v[4:5]
	v_add_f64_e32 v[16:17], v[16:17], v[38:39]
	s_or_b32 exec_lo, exec_lo, s19
	s_and_saveexec_b32 s19, s13
	s_cbranch_execz .LBB88_287
.LBB88_535:                             ;   in Loop: Header=BB88_3 Depth=1
	ds_load_b128 v[18:21], v47 offset:7904
	ds_load_b128 v[36:39], v46 offset:7296
	s_wait_dscnt 0x0
	v_mul_f64_e32 v[4:5], v[20:21], v[38:39]
	v_mul_f64_e32 v[38:39], v[18:19], v[38:39]
	s_delay_alu instid0(VALU_DEP_2) | instskip(NEXT) | instid1(VALU_DEP_2)
	v_fma_f64 v[4:5], v[18:19], v[36:37], -v[4:5]
	v_fmac_f64_e32 v[38:39], v[20:21], v[36:37]
	s_delay_alu instid0(VALU_DEP_2) | instskip(NEXT) | instid1(VALU_DEP_2)
	v_add_f64_e32 v[14:15], v[14:15], v[4:5]
	v_add_f64_e32 v[16:17], v[16:17], v[38:39]
	s_or_b32 exec_lo, exec_lo, s19
	s_and_saveexec_b32 s19, s0
	s_cbranch_execnz .LBB88_288
	s_branch .LBB88_289
.LBB88_536:                             ;   in Loop: Header=BB88_3 Depth=1
	ds_load_b128 v[18:21], v51 offset:7824
	ds_load_b128 v[36:39], v50 offset:4608
	s_wait_dscnt 0x0
	v_mul_f64_e32 v[4:5], v[20:21], v[38:39]
	v_mul_f64_e32 v[38:39], v[18:19], v[38:39]
	s_delay_alu instid0(VALU_DEP_2) | instskip(NEXT) | instid1(VALU_DEP_2)
	v_fma_f64 v[4:5], v[18:19], v[36:37], -v[4:5]
	v_fmac_f64_e32 v[38:39], v[20:21], v[36:37]
	s_delay_alu instid0(VALU_DEP_2) | instskip(NEXT) | instid1(VALU_DEP_2)
	v_add_f64_e32 v[14:15], v[14:15], v[4:5]
	v_add_f64_e32 v[16:17], v[16:17], v[38:39]
	s_or_b32 exec_lo, exec_lo, s19
	s_and_saveexec_b32 s19, s15
	s_cbranch_execz .LBB88_325
.LBB88_537:                             ;   in Loop: Header=BB88_3 Depth=1
	ds_load_b128 v[18:21], v51 offset:7840
	ds_load_b128 v[36:39], v50 offset:5120
	s_wait_dscnt 0x0
	v_mul_f64_e32 v[4:5], v[20:21], v[38:39]
	v_mul_f64_e32 v[38:39], v[18:19], v[38:39]
	s_delay_alu instid0(VALU_DEP_2) | instskip(NEXT) | instid1(VALU_DEP_2)
	v_fma_f64 v[4:5], v[18:19], v[36:37], -v[4:5]
	v_fmac_f64_e32 v[38:39], v[20:21], v[36:37]
	s_delay_alu instid0(VALU_DEP_2) | instskip(NEXT) | instid1(VALU_DEP_2)
	v_add_f64_e32 v[14:15], v[14:15], v[4:5]
	v_add_f64_e32 v[16:17], v[16:17], v[38:39]
	s_or_b32 exec_lo, exec_lo, s19
	s_and_saveexec_b32 s19, s16
	s_cbranch_execz .LBB88_326
.LBB88_538:                             ;   in Loop: Header=BB88_3 Depth=1
	ds_load_b128 v[18:21], v51 offset:7856
	ds_load_b128 v[36:39], v50 offset:5632
	s_wait_dscnt 0x0
	v_mul_f64_e32 v[4:5], v[20:21], v[38:39]
	v_mul_f64_e32 v[38:39], v[18:19], v[38:39]
	s_delay_alu instid0(VALU_DEP_2) | instskip(NEXT) | instid1(VALU_DEP_2)
	v_fma_f64 v[4:5], v[18:19], v[36:37], -v[4:5]
	v_fmac_f64_e32 v[38:39], v[20:21], v[36:37]
	s_delay_alu instid0(VALU_DEP_2) | instskip(NEXT) | instid1(VALU_DEP_2)
	v_add_f64_e32 v[14:15], v[14:15], v[4:5]
	v_add_f64_e32 v[16:17], v[16:17], v[38:39]
	s_or_b32 exec_lo, exec_lo, s19
	s_and_saveexec_b32 s19, s17
	s_cbranch_execz .LBB88_327
.LBB88_539:                             ;   in Loop: Header=BB88_3 Depth=1
	ds_load_b128 v[18:21], v51 offset:7872
	ds_load_b128 v[36:39], v50 offset:6144
	s_wait_dscnt 0x0
	v_mul_f64_e32 v[4:5], v[20:21], v[38:39]
	v_mul_f64_e32 v[38:39], v[18:19], v[38:39]
	s_delay_alu instid0(VALU_DEP_2) | instskip(NEXT) | instid1(VALU_DEP_2)
	v_fma_f64 v[4:5], v[18:19], v[36:37], -v[4:5]
	v_fmac_f64_e32 v[38:39], v[20:21], v[36:37]
	s_delay_alu instid0(VALU_DEP_2) | instskip(NEXT) | instid1(VALU_DEP_2)
	v_add_f64_e32 v[14:15], v[14:15], v[4:5]
	v_add_f64_e32 v[16:17], v[16:17], v[38:39]
	s_or_b32 exec_lo, exec_lo, s19
	s_and_saveexec_b32 s19, s18
	s_cbranch_execz .LBB88_328
.LBB88_540:                             ;   in Loop: Header=BB88_3 Depth=1
	ds_load_b128 v[18:21], v51 offset:7888
	ds_load_b128 v[36:39], v50 offset:6656
	s_wait_dscnt 0x0
	v_mul_f64_e32 v[4:5], v[20:21], v[38:39]
	v_mul_f64_e32 v[38:39], v[18:19], v[38:39]
	s_delay_alu instid0(VALU_DEP_2) | instskip(NEXT) | instid1(VALU_DEP_2)
	v_fma_f64 v[4:5], v[18:19], v[36:37], -v[4:5]
	v_fmac_f64_e32 v[38:39], v[20:21], v[36:37]
	s_delay_alu instid0(VALU_DEP_2) | instskip(NEXT) | instid1(VALU_DEP_2)
	v_add_f64_e32 v[14:15], v[14:15], v[4:5]
	v_add_f64_e32 v[16:17], v[16:17], v[38:39]
	s_or_b32 exec_lo, exec_lo, s19
	s_and_saveexec_b32 s19, s1
	s_cbranch_execz .LBB88_329
.LBB88_541:                             ;   in Loop: Header=BB88_3 Depth=1
	ds_load_b128 v[18:21], v51 offset:7904
	ds_load_b128 v[36:39], v50 offset:7168
	s_wait_dscnt 0x0
	v_mul_f64_e32 v[4:5], v[20:21], v[38:39]
	v_mul_f64_e32 v[38:39], v[18:19], v[38:39]
	s_delay_alu instid0(VALU_DEP_2) | instskip(NEXT) | instid1(VALU_DEP_2)
	v_fma_f64 v[4:5], v[18:19], v[36:37], -v[4:5]
	v_fmac_f64_e32 v[38:39], v[20:21], v[36:37]
	s_delay_alu instid0(VALU_DEP_2) | instskip(NEXT) | instid1(VALU_DEP_2)
	v_add_f64_e32 v[14:15], v[14:15], v[4:5]
	v_add_f64_e32 v[16:17], v[16:17], v[38:39]
	s_or_b32 exec_lo, exec_lo, s19
	s_and_saveexec_b32 s19, s13
	s_cbranch_execnz .LBB88_330
	s_branch .LBB88_331
.LBB88_542:                             ;   in Loop: Header=BB88_3 Depth=1
	ds_load_b128 v[18:21], v47 offset:3664
	ds_load_b128 v[36:39], v46 offset:2560
	s_wait_dscnt 0x0
	v_mul_f64_e32 v[4:5], v[20:21], v[38:39]
	v_mul_f64_e32 v[38:39], v[18:19], v[38:39]
	s_delay_alu instid0(VALU_DEP_2) | instskip(NEXT) | instid1(VALU_DEP_2)
	v_fma_f64 v[4:5], v[18:19], v[36:37], -v[4:5]
	v_fmac_f64_e32 v[38:39], v[20:21], v[36:37]
	s_delay_alu instid0(VALU_DEP_2) | instskip(NEXT) | instid1(VALU_DEP_2)
	v_add_f64_e32 v[14:15], v[14:15], v[4:5]
	v_add_f64_e32 v[16:17], v[16:17], v[38:39]
	s_or_b32 exec_lo, exec_lo, s19
	s_and_saveexec_b32 s19, s13
	s_cbranch_execz .LBB88_383
.LBB88_543:                             ;   in Loop: Header=BB88_3 Depth=1
	ds_load_b128 v[18:21], v47 offset:3680
	ds_load_b128 v[36:39], v46 offset:3072
	s_wait_dscnt 0x0
	v_mul_f64_e32 v[4:5], v[20:21], v[38:39]
	v_mul_f64_e32 v[38:39], v[18:19], v[38:39]
	s_delay_alu instid0(VALU_DEP_2) | instskip(NEXT) | instid1(VALU_DEP_2)
	v_fma_f64 v[4:5], v[18:19], v[36:37], -v[4:5]
	v_fmac_f64_e32 v[38:39], v[20:21], v[36:37]
	s_delay_alu instid0(VALU_DEP_2) | instskip(NEXT) | instid1(VALU_DEP_2)
	v_add_f64_e32 v[14:15], v[14:15], v[4:5]
	v_add_f64_e32 v[16:17], v[16:17], v[38:39]
	s_or_b32 exec_lo, exec_lo, s19
	s_and_saveexec_b32 s19, s0
	s_cbranch_execnz .LBB88_384
	s_branch .LBB88_385
.LBB88_544:
	s_endpgm
	.section	.rodata,"a",@progbits
	.p2align	6, 0x0
	.amdhsa_kernel _ZL19rocblas_trsv_deviceILi32ELi16ELb0ELb0ELb0ELb0E19rocblas_complex_numIdES1_PKS1_PS1_EviT7_lllT6_T8_lllPii
		.amdhsa_group_segment_fixed_size 25104
		.amdhsa_private_segment_fixed_size 0
		.amdhsa_kernarg_size 360
		.amdhsa_user_sgpr_count 2
		.amdhsa_user_sgpr_dispatch_ptr 0
		.amdhsa_user_sgpr_queue_ptr 0
		.amdhsa_user_sgpr_kernarg_segment_ptr 1
		.amdhsa_user_sgpr_dispatch_id 0
		.amdhsa_user_sgpr_kernarg_preload_length 0
		.amdhsa_user_sgpr_kernarg_preload_offset 0
		.amdhsa_user_sgpr_private_segment_size 0
		.amdhsa_wavefront_size32 1
		.amdhsa_uses_dynamic_stack 0
		.amdhsa_enable_private_segment 0
		.amdhsa_system_sgpr_workgroup_id_x 1
		.amdhsa_system_sgpr_workgroup_id_y 0
		.amdhsa_system_sgpr_workgroup_id_z 1
		.amdhsa_system_sgpr_workgroup_info 0
		.amdhsa_system_vgpr_workitem_id 1
		.amdhsa_next_free_vgpr 76
		.amdhsa_next_free_sgpr 105
		.amdhsa_named_barrier_count 0
		.amdhsa_reserve_vcc 1
		.amdhsa_float_round_mode_32 0
		.amdhsa_float_round_mode_16_64 0
		.amdhsa_float_denorm_mode_32 3
		.amdhsa_float_denorm_mode_16_64 3
		.amdhsa_fp16_overflow 0
		.amdhsa_memory_ordered 1
		.amdhsa_forward_progress 1
		.amdhsa_inst_pref_size 207
		.amdhsa_round_robin_scheduling 0
		.amdhsa_exception_fp_ieee_invalid_op 0
		.amdhsa_exception_fp_denorm_src 0
		.amdhsa_exception_fp_ieee_div_zero 0
		.amdhsa_exception_fp_ieee_overflow 0
		.amdhsa_exception_fp_ieee_underflow 0
		.amdhsa_exception_fp_ieee_inexact 0
		.amdhsa_exception_int_div_zero 0
	.end_amdhsa_kernel
	.section	.text._ZL19rocblas_trsv_deviceILi32ELi16ELb0ELb0ELb0ELb0E19rocblas_complex_numIdES1_PKS1_PS1_EviT7_lllT6_T8_lllPii,"axG",@progbits,_ZL19rocblas_trsv_deviceILi32ELi16ELb0ELb0ELb0ELb0E19rocblas_complex_numIdES1_PKS1_PS1_EviT7_lllT6_T8_lllPii,comdat
.Lfunc_end88:
	.size	_ZL19rocblas_trsv_deviceILi32ELi16ELb0ELb0ELb0ELb0E19rocblas_complex_numIdES1_PKS1_PS1_EviT7_lllT6_T8_lllPii, .Lfunc_end88-_ZL19rocblas_trsv_deviceILi32ELi16ELb0ELb0ELb0ELb0E19rocblas_complex_numIdES1_PKS1_PS1_EviT7_lllT6_T8_lllPii
                                        ; -- End function
	.set _ZL19rocblas_trsv_deviceILi32ELi16ELb0ELb0ELb0ELb0E19rocblas_complex_numIdES1_PKS1_PS1_EviT7_lllT6_T8_lllPii.num_vgpr, 76
	.set _ZL19rocblas_trsv_deviceILi32ELi16ELb0ELb0ELb0ELb0E19rocblas_complex_numIdES1_PKS1_PS1_EviT7_lllT6_T8_lllPii.num_agpr, 0
	.set _ZL19rocblas_trsv_deviceILi32ELi16ELb0ELb0ELb0ELb0E19rocblas_complex_numIdES1_PKS1_PS1_EviT7_lllT6_T8_lllPii.numbered_sgpr, 105
	.set _ZL19rocblas_trsv_deviceILi32ELi16ELb0ELb0ELb0ELb0E19rocblas_complex_numIdES1_PKS1_PS1_EviT7_lllT6_T8_lllPii.num_named_barrier, 0
	.set _ZL19rocblas_trsv_deviceILi32ELi16ELb0ELb0ELb0ELb0E19rocblas_complex_numIdES1_PKS1_PS1_EviT7_lllT6_T8_lllPii.private_seg_size, 0
	.set _ZL19rocblas_trsv_deviceILi32ELi16ELb0ELb0ELb0ELb0E19rocblas_complex_numIdES1_PKS1_PS1_EviT7_lllT6_T8_lllPii.uses_vcc, 1
	.set _ZL19rocblas_trsv_deviceILi32ELi16ELb0ELb0ELb0ELb0E19rocblas_complex_numIdES1_PKS1_PS1_EviT7_lllT6_T8_lllPii.uses_flat_scratch, 0
	.set _ZL19rocblas_trsv_deviceILi32ELi16ELb0ELb0ELb0ELb0E19rocblas_complex_numIdES1_PKS1_PS1_EviT7_lllT6_T8_lllPii.has_dyn_sized_stack, 0
	.set _ZL19rocblas_trsv_deviceILi32ELi16ELb0ELb0ELb0ELb0E19rocblas_complex_numIdES1_PKS1_PS1_EviT7_lllT6_T8_lllPii.has_recursion, 0
	.set _ZL19rocblas_trsv_deviceILi32ELi16ELb0ELb0ELb0ELb0E19rocblas_complex_numIdES1_PKS1_PS1_EviT7_lllT6_T8_lllPii.has_indirect_call, 0
	.section	.AMDGPU.csdata,"",@progbits
; Kernel info:
; codeLenInByte = 26408
; TotalNumSgprs: 107
; NumVgprs: 76
; ScratchSize: 0
; MemoryBound: 1
; FloatMode: 240
; IeeeMode: 1
; LDSByteSize: 25104 bytes/workgroup (compile time only)
; SGPRBlocks: 0
; VGPRBlocks: 4
; NumSGPRsForWavesPerEU: 107
; NumVGPRsForWavesPerEU: 76
; NamedBarCnt: 0
; Occupancy: 12
; WaveLimiterHint : 0
; COMPUTE_PGM_RSRC2:SCRATCH_EN: 0
; COMPUTE_PGM_RSRC2:USER_SGPR: 2
; COMPUTE_PGM_RSRC2:TRAP_HANDLER: 0
; COMPUTE_PGM_RSRC2:TGID_X_EN: 1
; COMPUTE_PGM_RSRC2:TGID_Y_EN: 0
; COMPUTE_PGM_RSRC2:TGID_Z_EN: 1
; COMPUTE_PGM_RSRC2:TIDIG_COMP_CNT: 1
	.section	.text._ZL19rocblas_trsv_deviceILi32ELi16ELb0ELb1ELb0ELb0E19rocblas_complex_numIdES1_PKS1_PS1_EviT7_lllT6_T8_lllPii,"axG",@progbits,_ZL19rocblas_trsv_deviceILi32ELi16ELb0ELb1ELb0ELb0E19rocblas_complex_numIdES1_PKS1_PS1_EviT7_lllT6_T8_lllPii,comdat
	.globl	_ZL19rocblas_trsv_deviceILi32ELi16ELb0ELb1ELb0ELb0E19rocblas_complex_numIdES1_PKS1_PS1_EviT7_lllT6_T8_lllPii ; -- Begin function _ZL19rocblas_trsv_deviceILi32ELi16ELb0ELb1ELb0ELb0E19rocblas_complex_numIdES1_PKS1_PS1_EviT7_lllT6_T8_lllPii
	.p2align	8
	.type	_ZL19rocblas_trsv_deviceILi32ELi16ELb0ELb1ELb0ELb0E19rocblas_complex_numIdES1_PKS1_PS1_EviT7_lllT6_T8_lllPii,@function
_ZL19rocblas_trsv_deviceILi32ELi16ELb0ELb1ELb0ELb0E19rocblas_complex_numIdES1_PKS1_PS1_EviT7_lllT6_T8_lllPii: ; @_ZL19rocblas_trsv_deviceILi32ELi16ELb0ELb1ELb0ELb0E19rocblas_complex_numIdES1_PKS1_PS1_EviT7_lllT6_T8_lllPii
; %bb.0:
	s_load_b32 s58, s[0:1], 0x60
	s_bfe_u32 s2, ttmp6, 0x40014
	s_lshr_b32 s3, ttmp7, 16
	s_add_co_i32 s2, s2, 1
	s_bfe_u32 s5, ttmp6, 0x40008
	s_mul_i32 s4, s3, s2
	s_getreg_b32 s2, hwreg(HW_REG_IB_STS2, 6, 4)
	s_add_co_i32 s5, s5, s4
	s_cmp_eq_u32 s2, 0
	s_mov_b32 s53, 0
	s_cselect_b32 s52, s3, s5
	s_wait_kmcnt 0x0
	s_cmp_ge_u32 s52, s58
	s_cbranch_scc1 .LBB89_574
; %bb.1:
	s_clause 0x2
	s_load_b512 s[36:51], s[0:1], 0x8
	s_load_b32 s3, s[0:1], 0x74
	s_load_b32 s59, s[0:1], 0x0
	s_bfe_u32 s5, ttmp6, 0x4000c
	s_and_b32 s4, ttmp6, 15
	s_add_co_i32 s5, s5, 1
	v_and_b32_e32 v20, 0x3ff, v0
	s_mul_i32 s5, ttmp9, s5
	v_bfe_u32 v40, v0, 10, 10
	s_add_co_i32 s10, s4, s5
	s_delay_alu instid0(VALU_DEP_2) | instskip(SKIP_1) | instid1(VALU_DEP_3)
	v_dual_mov_b32 v1, 0 :: v_dual_lshlrev_b32 v9, 5, v20
                                        ; implicit-def: $vgpr208 : SGPR spill to VGPR lane
	v_mul_u32_u24_e32 v127, 0x210, v20
	v_lshl_add_u32 v7, v40, 5, v20
	s_delay_alu instid0(VALU_DEP_3) | instskip(NEXT) | instid1(VALU_DEP_4)
	v_dual_mov_b32 v23, v1 :: v_dual_bitop2_b32 v12, 1, v0 bitop3:0x40
	v_dual_mov_b32 v21, v1 :: v_dual_add_nc_u32 v10, v40, v9
	s_delay_alu instid0(VALU_DEP_3)
	v_cmp_gt_u32_e64 s29, 0xf0, v7
	v_lshl_add_u32 v196, v7, 4, 0x4000
	s_wait_kmcnt 0x0
	s_lshl_b64 s[4:5], s[38:39], 4
	s_lshl_b64 s[6:7], s[50:51], 4
	s_cmp_eq_u32 s2, 0
	s_add_nc_u64 s[50:51], s[36:37], s[4:5]
	s_cselect_b32 s60, ttmp9, s10
	s_and_b32 s2, s3, 0xffff
	s_add_co_i32 s3, s59, -1
	s_ashr_i32 s10, s59, 31
	s_ashr_i32 s11, s3, 31
	s_lshr_b32 s10, s10, 27
	s_lshr_b32 s11, s11, 27
	s_add_co_i32 s10, s59, s10
	s_add_co_i32 s3, s3, s11
	s_and_not1_b32 s10, s10, 31
	s_ashr_i32 s3, s3, 5
	s_sub_co_i32 s12, s59, s10
	s_cmp_eq_u32 s3, s60
	v_mad_u32_u24 v22, v40, s2, v20
	s_cselect_b32 s3, -1, 0
	s_cmp_lg_u32 s12, 0
	v_sub_co_u32 v41, s2, s60, 1
	s_cselect_b32 s4, -1, 0
	s_lshl_b32 s10, s60, 5
	s_delay_alu instid0(SALU_CYCLE_1)
	v_dual_add_nc_u32 v6, 16, v40 :: v_dual_add_nc_u32 v8, s10, v40
	s_and_b32 s13, s4, s3
	s_xor_b32 s61, s2, -1
	s_xor_b32 s62, s13, -1
	v_add_nc_u32_e32 v2, s10, v20
	s_cmp_lt_i32 s60, 5
	v_lshl_add_u32 v11, v6, 5, v20
	s_cselect_b32 vcc_lo, -1, 0
	v_dual_cndmask_b32 v14, v7, v10 :: v_dual_add_nc_u32 v9, v6, v9
	s_or_b32 vcc_lo, vcc_lo, s13
	v_lshrrev_b32_e32 v10, 10, v0
	s_add_nc_u64 s[8:9], s[40:41], 1
	s_delay_alu instid0(VALU_DEP_2)
	v_dual_cndmask_b32 v9, v11, v9, vcc_lo :: v_dual_lshrrev_b32 v11, 1, v7
	v_mad_nc_u64_u32 v[4:5], s8, s10, v[20:21]
	v_lshlrev_b32_e32 v42, 4, v12
	s_xor_b32 s63, vcc_lo, -1
	v_cmp_eq_u32_e32 vcc_lo, 1, v12
	v_lshlrev_b32_e32 v13, 9, v11
	v_cmp_eq_u32_e64 s4, 0, v12
	v_lshrrev_b32_e32 v12, 2, v7
	s_ashr_i32 s11, s10, 31
	s_mul_i32 s3, s9, s10
	v_sub_nc_u32_e32 v45, v42, v13
	s_mul_i32 s2, s8, s11
	v_dual_sub_nc_u32 v43, 0, v13 :: v_dual_lshlrev_b32 v44, 4, v20
	v_add3_u32 v5, s2, s3, v5
	v_cmp_gt_u32_e64 s2, 4, v7
	v_lshlrev_b32_e32 v15, 9, v12
	v_and_b32_e32 v13, 3, v0
	v_cmp_eq_u32_e64 s3, 0, v40
	v_cmp_gt_u32_e64 s5, 2, v20
	s_and_b32 s64, vcc_lo, s2
	s_and_b32 s65, s4, s2
	v_cmp_gt_u32_e64 s4, 16, v7
	v_sub_nc_u32_e32 v51, 0, v15
	v_cmp_eq_u32_e32 vcc_lo, 3, v13
	s_and_b32 s66, s3, s5
	v_cmp_ne_u32_e64 s5, 3, v13
	s_add_nc_u64 s[48:49], s[48:49], s[6:7]
	v_lshl_add_u32 v49, v12, 4, 0x4000
	s_and_b32 s67, vcc_lo, s4
	v_cmp_gt_u32_e32 vcc_lo, 2, v13
	v_lshlrev_b32_e32 v50, 4, v13
	v_cmp_eq_u32_e64 s6, 2, v13
	v_cmp_eq_u32_e64 s7, 1, v13
	s_and_b32 s68, s5, s4
	v_cmp_eq_u32_e64 s5, 0, v13
	s_and_b32 s70, vcc_lo, s4
	v_cmp_gt_u32_e32 vcc_lo, 4, v20
	v_dual_lshrrev_b32 v12, 3, v7 :: v_dual_bitop2_b32 v13, 7, v0 bitop3:0x40
	s_and_b32 s72, s5, s4
	v_cmp_gt_u32_e64 s5, 64, v7
	s_and_b32 s73, s3, vcc_lo
	s_and_b32 s69, s6, s4
	v_cmp_eq_u32_e32 vcc_lo, 7, v13
	v_cmp_ne_u32_e64 s6, 7, v13
	s_and_b32 s71, s7, s4
	v_dual_sub_nc_u32 v52, v50, v15 :: v_dual_lshlrev_b32 v15, 9, v12
	s_and_b32 s74, vcc_lo, s5
	v_cmp_eq_u32_e32 vcc_lo, 5, v13
	s_and_b32 s75, s6, s5
	v_cmp_gt_u32_e64 s6, 5, v13
	v_dual_lshlrev_b32 v54, 4, v13 :: v_dual_sub_nc_u32 v55, 0, v15
	s_and_b32 s78, vcc_lo, s5
	v_cmp_eq_u32_e32 vcc_lo, 4, v13
	v_cmp_eq_u32_e64 s7, 6, v13
	v_cmp_gt_u32_e64 s8, 6, v13
	s_and_b32 s79, s6, s5
	v_cmp_gt_u32_e64 s6, 3, v13
	s_and_b32 s80, vcc_lo, s5
	v_cmp_eq_u32_e32 vcc_lo, 2, v13
	v_bitop3_b32 v10, v0, v10, 0x3ff bitop3:0xa8
	s_and_b32 s76, s7, s5
	s_and_b32 s77, s8, s5
	v_cmp_gt_u32_e64 s7, 4, v13
	v_cmp_eq_u32_e64 s8, 3, v13
	s_and_b32 s83, s6, s5
	v_cmp_gt_u32_e64 s6, 2, v13
	s_and_b32 s84, vcc_lo, s5
	v_cmp_gt_u32_e32 vcc_lo, 8, v20
	v_dual_sub_nc_u32 v56, v54, v15 :: v_dual_bitop2_b32 v0, 15, v0 bitop3:0x40
	s_and_b32 s81, s7, s5
	s_and_b32 s82, s8, s5
	v_cmp_eq_u32_e64 s7, 1, v13
	v_cmp_eq_u32_e64 s8, 0, v13
	s_and_b32 s85, s6, s5
	s_and_b32 s88, s3, vcc_lo
	v_cmp_gt_u32_e64 s6, 0x100, v7
	v_cmp_eq_u32_e32 vcc_lo, 15, v0
	s_and_b32 s86, s7, s5
	s_and_b32 s87, s8, s5
	v_cmp_ne_u32_e64 s7, 15, v0
	v_cmp_eq_u32_e64 s9, 13, v0
	s_and_b32 s8, vcc_lo, s6
	v_cmp_eq_u32_e32 vcc_lo, 14, v0
	v_writelane_b32 v208, s8, 0
	s_and_b32 s7, s7, s6
	v_cmp_gt_u32_e64 s8, 14, v0
	s_clause 0x1
	s_load_b64 s[54:55], s[0:1], 0x58
	s_load_b128 s[36:39], s[0:1], 0x48
	s_and_b32 s14, vcc_lo, s6
	v_writelane_b32 v208, s7, 1
	v_cmp_gt_u32_e64 s7, 13, v0
	s_and_b32 s8, s8, s6
	v_cmp_eq_u32_e32 vcc_lo, 12, v0
	s_wait_xcnt 0x0
	v_cmp_gt_i32_e64 s1, s12, v20
	v_writelane_b32 v208, s14, 2
	s_and_b32 s7, s7, s6
	v_subrev_nc_u32_e32 v24, 32, v8
	s_and_b32 s14, vcc_lo, s6
	v_cmp_eq_u32_e32 vcc_lo, 10, v0
	v_writelane_b32 v208, s8, 3
	s_and_b32 s8, s9, s6
	v_cmp_gt_u32_e64 s9, 11, v0
	v_lshl_add_u32 v53, v12, 4, 0x4000
	s_and_b32 s99, vcc_lo, s6
	v_writelane_b32 v208, s8, 4
	v_cmp_eq_u32_e64 s8, 11, v0
	v_cmp_eq_u32_e32 vcc_lo, 9, v0
	v_dual_lshlrev_b32 v12, 5, v7 :: v_dual_bitop2_b32 v13, -16, v7 bitop3:0x40
	v_writelane_b32 v208, s7, 5
	v_cmp_gt_u32_e64 s7, 12, v0
	s_and_b32 s101, vcc_lo, s6
	v_cmp_eq_u32_e32 vcc_lo, 7, v0
	v_and_b32_e32 v15, 0xfffffe00, v12
	v_writelane_b32 v208, s14, 6
	s_and_b32 s7, s7, s6
	v_cmp_gt_i32_e64 s0, s59, v2
	s_and_b32 vcc_hi, vcc_lo, s6
	v_cmp_eq_u32_e32 vcc_lo, 5, v0
	v_writelane_b32 v208, s7, 7
	s_and_b32 s7, s8, s6
	v_cmp_gt_u32_e64 s8, 9, v0
	v_add_nc_u32_e32 v65, 0x4000, v13
	s_and_b32 s21, vcc_lo, s6
	v_writelane_b32 v208, s7, 8
	s_and_b32 s7, s9, s6
	v_cmp_eq_u32_e64 s9, 8, v0
	v_cmp_eq_u32_e32 vcc_lo, 4, v0
	s_and_b32 s102, s8, s6
	v_writelane_b32 v208, s7, 9
	v_cmp_gt_u32_e64 s7, 10, v0
	s_and_b32 s103, s9, s6
	v_cmp_gt_u32_e64 s9, 6, v0
	s_and_b32 s23, vcc_lo, s6
	v_cmp_eq_u32_e32 vcc_lo, 2, v0
	s_and_b32 s100, s7, s6
	v_cmp_gt_u32_e64 s7, 8, v0
	s_and_b32 s20, s9, s6
	v_cmp_eq_u32_e64 s9, 3, v0
	v_cmp_eq_u32_e64 s8, 6, v0
	s_and_b32 s27, vcc_lo, s6
	s_and_b32 s104, s7, s6
	v_cmp_gt_u32_e64 s7, 7, v0
	s_and_b32 s25, s9, s6
	v_cmp_eq_u32_e64 s9, 0, v0
	v_cmp_gt_u32_e32 vcc_lo, 16, v20
	s_and_b32 s19, s8, s6
	s_and_b32 s18, s7, s6
	v_cmp_gt_u32_e64 s7, 5, v0
	v_cmp_gt_u32_e64 s8, 4, v0
	s_and_b32 s31, s9, s6
	s_and_b32 s9, s3, vcc_lo
	v_cmp_le_i32_e32 vcc_lo, s12, v20
	s_and_b32 s22, s7, s6
	v_cmp_gt_u32_e64 s7, 3, v0
	s_and_b32 s24, s8, s6
	v_cmp_eq_u32_e64 s8, 1, v0
	s_and_b32 s89, vcc_lo, s13
	v_dual_lshlrev_b32 v66, 4, v0 :: v_dual_sub_nc_u32 v67, 0, v15
	s_and_b32 s26, s7, s6
	v_cmp_gt_u32_e64 s7, 2, v0
	s_and_b32 s30, s8, s6
	v_add_nc_u32_e32 v0, s10, v22
	v_add_nc_u64_e32 v[12:13], s[10:11], v[22:23]
	v_cmp_ne_u32_e64 s11, v20, v6
	s_and_b32 s28, s7, s6
	s_xor_b32 s7, s89, -1
	v_lshl_add_u32 v21, v11, 4, 0x4000
	s_and_b32 s90, s3, s7
	s_cmp_gt_i32 s60, 0
	v_cmp_gt_i32_e64 s7, s59, v24
	s_cselect_b32 s91, -1, 0
	s_and_b32 s1, s3, s1
	v_mad_u32_u24 v11, 0x1f0, v20, v44
	v_writelane_b32 v208, s1, 10
	v_cmp_le_i32_e64 s1, s12, v40
	s_and_b32 s92, s7, s0
	v_cmp_le_i32_e64 s7, s12, v6
	v_mad_i32_i24 v48, 0xfffffe10, v20, v11
	v_sub_nc_u32_e32 v23, v66, v15
	s_or_b32 s10, s1, vcc_lo
	v_cmp_ge_u32_e64 s1, v20, v40
	v_dual_ashrrev_i32 v3, 31, v2 :: v_dual_ashrrev_i32 v25, 31, v24
	v_mad_u32_u24 v15, 0x1f0, v20, v48
	v_add_nc_u32_e32 v46, 0x3dc0, v11
	s_or_b32 s93, s10, s1
	s_or_b32 s10, s7, vcc_lo
	v_cmp_ge_u32_e64 s7, v20, v6
	v_mad_i32_i24 v98, 0xfffffe10, v20, v15
	v_add_nc_u32_e32 v47, 0x3dd0, v11
	v_add_nc_u32_e32 v57, 0x3100, v11
	;; [unrolled: 1-line block ×3, first 2 shown]
	s_or_b32 s94, s10, s7
	v_cmp_ne_u32_e64 s10, v20, v40
	v_add_nc_u32_e32 v59, 0x3120, v11
	v_add_nc_u32_e32 v60, 0x3130, v11
	;; [unrolled: 1-line block ×4, first 2 shown]
	v_writelane_b32 v208, s10, 11
	s_or_b32 s10, vcc_lo, s10
	v_add_nc_u32_e32 v63, 0x3160, v11
	v_add_nc_u32_e32 v64, 0x3170, v11
	;; [unrolled: 1-line block ×3, first 2 shown]
	v_writelane_b32 v208, s10, 12
	s_or_b32 s10, vcc_lo, s11
	v_add_nc_u32_e32 v69, 0x2010, v11
	v_add_nc_u32_e32 v70, 0x2020, v11
	;; [unrolled: 1-line block ×3, first 2 shown]
	v_writelane_b32 v208, s11, 13
	v_add_nc_u32_e32 v72, 0x2040, v11
	v_add_nc_u32_e32 v73, 0x2050, v11
	;; [unrolled: 1-line block ×4, first 2 shown]
	v_writelane_b32 v208, s10, 14
	v_add_nc_u32_e32 v76, 0x2080, v11
	v_add_nc_u32_e32 v77, 0x2090, v11
	v_add_nc_u32_e32 v78, 0x20a0, v11
	v_add_nc_u32_e32 v79, 0x20b0, v11
	v_writelane_b32 v208, s29, 15
	v_cmp_gt_u32_e64 s29, 0xe0, v7
	v_add_nc_u32_e32 v80, 0x20c0, v11
	v_add_nc_u32_e32 v81, 0x20d0, v11
	v_add_nc_u32_e32 v82, 0x20e0, v11
	v_add_nc_u32_e32 v83, 0x20f0, v11
	v_writelane_b32 v208, s29, 16
	v_cmp_gt_u32_e64 s29, 0xd0, v7
	;; [unrolled: 6-line block ×4, first 2 shown]
	v_add_nc_u32_e32 v92, 0x1060, v11
	v_add_nc_u32_e32 v93, 0x1070, v11
	v_mad_u32_u24 v11, 0x1f0, v20, v98
	v_mul_u64_e32 v[28:29], s[40:41], v[2:3]
	v_writelane_b32 v208, s29, 19
	v_cmp_gt_u32_e64 s29, 0xa0, v7
	s_wait_kmcnt 0x0
	v_mul_u64_e32 v[30:31], s[36:37], v[2:3]
	v_mul_u64_e32 v[34:35], s[36:37], v[12:13]
	;; [unrolled: 1-line block ×3, first 2 shown]
	v_mad_i32_i24 v109, 0xfffffe10, v20, v11
	v_writelane_b32 v208, s29, 20
	v_cmp_gt_u32_e64 s29, 0x90, v7
	v_add_nc_u32_e32 v94, 0x3980, v15
	v_add_nc_u32_e32 v95, 0x39b0, v15
	v_add_nc_u32_e32 v96, 0x39a0, v15
	v_add_nc_u32_e32 v97, 0x3990, v15
	v_writelane_b32 v208, s29, 21
	v_cmp_gt_u32_e64 s29, 0x80, v7
	v_add_nc_u32_e32 v99, 0x2d40, v15
	v_add_nc_u32_e32 v100, 0x2d50, v15
	v_add_nc_u32_e32 v101, 0x1880, v15
	v_add_nc_u32_e32 v102, 0x18b0, v15
	v_writelane_b32 v208, s29, 22
	v_cmp_gt_u32_e64 s29, 0x70, v7
	v_add_nc_u32_e32 v103, 0x18a0, v15
	v_add_nc_u32_e32 v104, 0x1890, v15
	v_add_nc_u32_e32 v105, 0xc40, v15
	v_add_nc_u32_e32 v106, 0xc50, v15
	v_add_nc_u32_e32 v107, 0x3580, v11
	v_add_nc_u32_e32 v108, 0x3590, v11
	;; [unrolled: 1-line block ×8, first 2 shown]
	v_mad_u32_u24 v15, 0x1f0, v20, v109
	v_add_nc_u32_e32 v116, 0x800, v11
	v_add_nc_u32_e32 v117, 0x830, v11
	;; [unrolled: 1-line block ×4, first 2 shown]
	v_dual_lshlrev_b32 v11, 4, v40 :: v_dual_add_nc_u32 v189, 64, v98
	v_writelane_b32 v208, s29, 23
	v_cmp_gt_u32_e64 s29, 0x60, v7
	v_mad_nc_u64_u32 v[26:27], s40, v40, v[4:5]
	v_mad_nc_u64_u32 v[32:33], s40, v6, v[4:5]
	v_mad_i32_i24 v16, 0xfffffe10, v20, v15
	v_add_nc_u32_e32 v124, v15, v11
	v_add_nc_u32_e32 v125, 0x6000, v11
	v_lshlrev_b32_e32 v11, 9, v20
	v_writelane_b32 v208, s29, 24
	v_cmp_gt_u32_e64 s29, 0x50, v7
	v_add_nc_u32_e32 v129, 32, v16
	v_cmp_gt_u32_e64 s33, 32, v10
	v_dual_sub_nc_u32 v132, v127, v11 :: v_dual_bitop2_b32 v11, v6, v20 bitop3:0x54
	v_lshlrev_b32_e32 v193, 4, v14
	v_writelane_b32 v208, s29, 25
	v_dual_add_nc_u32 v3, -16, v8 :: v_dual_lshlrev_b32 v194, 4, v9
	v_mad_u32 v27, s41, v40, v27
	v_mad_u32 v33, s41, v6, v33
	v_writelane_b32 v208, s33, 26
	v_cmp_gt_u32_e64 s33, 32, v11
	v_cmp_gt_i32_e64 s8, s59, v3
	v_add_nc_u32_e32 v120, 0x2500, v15
	v_add_nc_u32_e32 v121, 0x2510, v15
	;; [unrolled: 1-line block ×7, first 2 shown]
	v_lshl_add_u32 v131, v40, 9, v16
	v_add_nc_u32_e32 v133, 0x39e0, v48
	v_add_nc_u32_e32 v134, 0x3be0, v48
	;; [unrolled: 1-line block ×59, first 2 shown]
	v_lshl_add_u32 v195, v22, 4, 0x6000
	v_add_nc_u32_e32 v197, 0x4000, v44
	v_add_nc_u32_e32 v198, v125, v44
	v_cmp_gt_u32_e64 s10, 2, v7
	v_cmp_gt_u32_e64 s11, 12, v7
	;; [unrolled: 1-line block ×8, first 2 shown]
	v_cmp_eq_u32_e64 s29, 0, v10
	v_writelane_b32 v208, s33, 27
	v_cmp_eq_u32_e64 s33, 0, v22
	v_cmp_gt_u32_e64 s34, 32, v22
	s_and_b32 s8, s8, s0
                                        ; implicit-def: $vgpr4_vgpr5
                                        ; implicit-def: $vgpr8_vgpr9
	s_branch .LBB89_3
.LBB89_2:                               ;   in Loop: Header=BB89_3 Depth=1
	s_wait_xcnt 0x0
	s_or_b32 exec_lo, exec_lo, s35
	s_add_co_i32 s52, s52, 0x10000
	global_wb scope:SCOPE_DEV
	s_wait_storecnt 0x0
	global_inv scope:SCOPE_DEV
	s_cmp_lt_u32 s52, s58
	s_cbranch_scc0 .LBB89_574
.LBB89_3:                               ; =>This Loop Header: Depth=1
                                        ;     Child Loop BB89_453 Depth 2
                                        ;       Child Loop BB89_455 Depth 3
                                        ;     Child Loop BB89_486 Depth 2
	s_mul_u64 s[40:41], s[42:43], s[52:53]
	s_and_not1_b32 vcc_lo, exec_lo, s61
	s_lshl_b64 s[40:41], s[40:41], 4
	s_delay_alu instid0(SALU_CYCLE_1) | instskip(NEXT) | instid1(SALU_CYCLE_1)
	s_add_nc_u64 s[40:41], s[50:51], s[40:41]
	v_lshl_add_u64 v[38:39], v[28:29], 4, s[40:41]
	s_cbranch_vccz .LBB89_6
; %bb.4:                                ;   in Loop: Header=BB89_3 Depth=1
	s_and_not1_b32 vcc_lo, exec_lo, s62
	s_mov_b32 s35, -1
	s_cbranch_vccz .LBB89_11
.LBB89_5:                               ;   in Loop: Header=BB89_3 Depth=1
	s_and_b32 vcc_lo, exec_lo, s35
	s_cbranch_vccnz .LBB89_17
	s_branch .LBB89_23
.LBB89_6:                               ;   in Loop: Header=BB89_3 Depth=1
	v_mov_b64_e32 v[10:11], 0
	v_mov_b64_e32 v[4:5], 0
	v_mov_b64_e32 v[6:7], 0
	v_lshl_add_u64 v[2:3], v[24:25], 4, v[38:39]
	s_barrier_signal -1
	s_barrier_wait -1
	s_and_saveexec_b32 s35, s92
	s_cbranch_execz .LBB89_8
; %bb.7:                                ;   in Loop: Header=BB89_3 Depth=1
	global_load_b128 v[4:7], v[2:3], off
.LBB89_8:                               ;   in Loop: Header=BB89_3 Depth=1
	s_wait_xcnt 0x0
	s_or_b32 exec_lo, exec_lo, s35
	v_mov_b64_e32 v[8:9], 0
	s_wait_loadcnt 0x0
	s_barrier_signal -1
	s_barrier_wait -1
	s_and_saveexec_b32 s35, s8
	s_cbranch_execz .LBB89_10
; %bb.9:                                ;   in Loop: Header=BB89_3 Depth=1
	global_load_b128 v[8:11], v[2:3], off offset:256
.LBB89_10:                              ;   in Loop: Header=BB89_3 Depth=1
	s_wait_xcnt 0x0
	s_or_b32 exec_lo, exec_lo, s35
	s_delay_alu instid0(SALU_CYCLE_1)
	s_and_not1_b32 vcc_lo, exec_lo, s62
	s_mov_b32 s35, -1
	s_cbranch_vccnz .LBB89_5
.LBB89_11:                              ;   in Loop: Header=BB89_3 Depth=1
	s_and_saveexec_b32 s35, s1
	s_delay_alu instid0(SALU_CYCLE_1)
	s_xor_b32 s35, exec_lo, s35
	s_cbranch_execnz .LBB89_499
; %bb.12:                               ;   in Loop: Header=BB89_3 Depth=1
	s_and_not1_saveexec_b32 s35, s35
	s_cbranch_execnz .LBB89_510
.LBB89_13:                              ;   in Loop: Header=BB89_3 Depth=1
	s_or_b32 exec_lo, exec_lo, s35
	s_and_saveexec_b32 s35, s7
	s_delay_alu instid0(SALU_CYCLE_1)
	s_xor_b32 s35, exec_lo, s35
	s_cbranch_execnz .LBB89_511
.LBB89_14:                              ;   in Loop: Header=BB89_3 Depth=1
	s_and_not1_saveexec_b32 s35, s35
	s_cbranch_execz .LBB89_16
.LBB89_15:                              ;   in Loop: Header=BB89_3 Depth=1
	v_lshl_add_u64 v[2:3], v[32:33], 4, s[40:41]
	global_load_b128 v[12:15], v[2:3], off
	s_wait_loadcnt 0x0
	v_xor_b32_e32 v13, 0x80000000, v13
	v_xor_b32_e32 v15, 0x80000000, v15
	ds_store_b128 v194, v[12:15]
.LBB89_16:                              ;   in Loop: Header=BB89_3 Depth=1
	s_or_b32 exec_lo, exec_lo, s35
	s_branch .LBB89_23
.LBB89_17:                              ;   in Loop: Header=BB89_3 Depth=1
	s_and_saveexec_b32 s35, s93
	s_delay_alu instid0(SALU_CYCLE_1)
	s_xor_b32 s35, exec_lo, s35
	s_cbranch_execnz .LBB89_522
; %bb.18:                               ;   in Loop: Header=BB89_3 Depth=1
	s_and_not1_saveexec_b32 s35, s35
	s_cbranch_execnz .LBB89_533
.LBB89_19:                              ;   in Loop: Header=BB89_3 Depth=1
	s_or_b32 exec_lo, exec_lo, s35
	s_and_saveexec_b32 s35, s94
	s_delay_alu instid0(SALU_CYCLE_1)
	s_xor_b32 s35, exec_lo, s35
	s_cbranch_execnz .LBB89_534
.LBB89_20:                              ;   in Loop: Header=BB89_3 Depth=1
	s_and_not1_saveexec_b32 s35, s35
	s_cbranch_execz .LBB89_22
.LBB89_21:                              ;   in Loop: Header=BB89_3 Depth=1
	v_lshl_add_u64 v[2:3], v[32:33], 4, s[40:41]
	global_load_b128 v[12:15], v[2:3], off
	s_wait_loadcnt 0x0
	v_xor_b32_e32 v13, 0x80000000, v13
	v_xor_b32_e32 v15, 0x80000000, v15
	ds_store_b128 v194, v[12:15]
.LBB89_22:                              ;   in Loop: Header=BB89_3 Depth=1
	s_or_b32 exec_lo, exec_lo, s35
.LBB89_23:                              ;   in Loop: Header=BB89_3 Depth=1
	s_delay_alu instid0(SALU_CYCLE_1)
	s_and_not1_b32 vcc_lo, exec_lo, s63
	s_wait_loadcnt_dscnt 0x0
	s_barrier_signal -1
	s_barrier_wait -1
	s_cbranch_vccnz .LBB89_447
; %bb.24:                               ;   in Loop: Header=BB89_3 Depth=1
	s_and_saveexec_b32 s35, s29
	s_cbranch_execz .LBB89_26
; %bb.25:                               ;   in Loop: Header=BB89_3 Depth=1
	ds_load_b128 v[12:15], v1 offset:16368
	ds_load_b128 v[16:19], v1 offset:15840
	s_wait_dscnt 0x0
	v_mul_f64_e32 v[2:3], v[14:15], v[18:19]
	v_mul_f64_e32 v[200:201], v[12:13], v[18:19]
	s_delay_alu instid0(VALU_DEP_2) | instskip(NEXT) | instid1(VALU_DEP_2)
	v_fma_f64 v[2:3], v[12:13], v[16:17], -v[2:3]
	v_fmac_f64_e32 v[200:201], v[14:15], v[16:17]
	ds_load_b128 v[12:15], v1 offset:16352
	s_wait_dscnt 0x0
	v_mul_f64_e32 v[18:19], v[2:3], v[14:15]
	v_mul_f64_e32 v[16:17], v[200:201], v[14:15]
	s_delay_alu instid0(VALU_DEP_2) | instskip(NEXT) | instid1(VALU_DEP_2)
	v_fmac_f64_e32 v[18:19], v[12:13], v[200:201]
	v_fma_f64 v[16:17], v[12:13], v[2:3], -v[16:17]
	ds_store_b128 v1, v[16:19] offset:16352
	ds_store_b128 v1, v[16:19] offset:15856
.LBB89_26:                              ;   in Loop: Header=BB89_3 Depth=1
	s_or_b32 exec_lo, exec_lo, s35
	v_mov_b64_e32 v[12:13], 0
	v_mov_b64_e32 v[14:15], 0
	s_wait_dscnt 0x0
	s_barrier_signal -1
	s_barrier_wait -1
	global_wb scope:SCOPE_DEV
	s_wait_storecnt 0x0
	global_inv scope:SCOPE_DEV
	s_and_saveexec_b32 s35, s2
	s_cbranch_execz .LBB89_30
; %bb.27:                               ;   in Loop: Header=BB89_3 Depth=1
	ds_load_b128 v[12:15], v43 offset:16352
	ds_load_b128 v[16:19], v42 offset:15808
	s_wait_dscnt 0x0
	v_mul_f64_e32 v[2:3], v[14:15], v[18:19]
	v_mul_f64_e32 v[18:19], v[12:13], v[18:19]
	s_delay_alu instid0(VALU_DEP_2) | instskip(NEXT) | instid1(VALU_DEP_2)
	v_fma_f64 v[2:3], v[12:13], v[16:17], -v[2:3]
	v_fmac_f64_e32 v[18:19], v[14:15], v[16:17]
	s_delay_alu instid0(VALU_DEP_2) | instskip(NEXT) | instid1(VALU_DEP_2)
	v_add_f64_e32 v[12:13], 0, v[2:3]
	v_add_f64_e32 v[14:15], 0, v[18:19]
	s_and_saveexec_b32 s40, s10
	s_cbranch_execz .LBB89_29
; %bb.28:                               ;   in Loop: Header=BB89_3 Depth=1
	ds_load_b128 v[16:19], v1 offset:16368
	ds_load_b128 v[200:203], v44 offset:16320
	s_wait_dscnt 0x0
	v_mul_f64_e32 v[2:3], v[18:19], v[202:203]
	s_delay_alu instid0(VALU_DEP_1) | instskip(SKIP_1) | instid1(VALU_DEP_2)
	v_fma_f64 v[2:3], v[16:17], v[200:201], -v[2:3]
	v_mul_f64_e32 v[16:17], v[16:17], v[202:203]
	v_add_f64_e32 v[12:13], v[12:13], v[2:3]
	s_delay_alu instid0(VALU_DEP_2) | instskip(NEXT) | instid1(VALU_DEP_1)
	v_fmac_f64_e32 v[16:17], v[18:19], v[200:201]
	v_add_f64_e32 v[14:15], v[14:15], v[16:17]
.LBB89_29:                              ;   in Loop: Header=BB89_3 Depth=1
	s_or_b32 exec_lo, exec_lo, s40
.LBB89_30:                              ;   in Loop: Header=BB89_3 Depth=1
	s_delay_alu instid0(SALU_CYCLE_1)
	s_or_b32 exec_lo, exec_lo, s35
	s_and_saveexec_b32 s35, s64
	s_cbranch_execz .LBB89_32
; %bb.31:                               ;   in Loop: Header=BB89_3 Depth=1
	ds_load_b128 v[16:19], v1 offset:15312
	s_wait_dscnt 0x0
	v_mul_f64_e32 v[2:3], v[14:15], v[18:19]
	v_mul_f64_e32 v[18:19], v[12:13], v[18:19]
	s_delay_alu instid0(VALU_DEP_1) | instskip(NEXT) | instid1(VALU_DEP_1)
	v_fmac_f64_e32 v[18:19], v[14:15], v[16:17]
	v_dual_fma_f64 v[2:3], v[12:13], v[16:17], -v[2:3] :: v_dual_mov_b32 v14, v18
	s_delay_alu instid0(VALU_DEP_1) | instskip(NEXT) | instid1(VALU_DEP_3)
	v_xor_b32_e32 v13, 0x80000000, v3
	v_xor_b32_e32 v15, 0x80000000, v19
	s_delay_alu instid0(VALU_DEP_3)
	v_mov_b32_e32 v12, v2
	ds_store_b128 v21, v[12:15]
	v_mov_b64_e32 v[12:13], v[2:3]
	v_mov_b64_e32 v[14:15], v[18:19]
.LBB89_32:                              ;   in Loop: Header=BB89_3 Depth=1
	s_or_b32 exec_lo, exec_lo, s35
	s_wait_loadcnt_dscnt 0x0
	s_barrier_signal -1
	s_barrier_wait -1
	s_and_saveexec_b32 s35, s65
	s_cbranch_execz .LBB89_34
; %bb.33:                               ;   in Loop: Header=BB89_3 Depth=1
	ds_load_b128 v[16:19], v21
	ds_load_b128 v[200:203], v1 offset:15296
	s_wait_dscnt 0x0
	v_mul_f64_e32 v[2:3], v[18:19], v[202:203]
	s_delay_alu instid0(VALU_DEP_1) | instskip(SKIP_1) | instid1(VALU_DEP_2)
	v_fma_f64 v[2:3], v[16:17], v[200:201], -v[2:3]
	v_mul_f64_e32 v[16:17], v[16:17], v[202:203]
	v_add_f64_e64 v[12:13], v[12:13], -v[2:3]
	s_delay_alu instid0(VALU_DEP_2) | instskip(NEXT) | instid1(VALU_DEP_1)
	v_fmac_f64_e32 v[16:17], v[18:19], v[200:201]
	v_add_f64_e64 v[14:15], v[14:15], -v[16:17]
.LBB89_34:                              ;   in Loop: Header=BB89_3 Depth=1
	s_or_b32 exec_lo, exec_lo, s35
	s_barrier_signal -1
	s_barrier_wait -1
	s_and_saveexec_b32 s35, s65
	s_cbranch_execz .LBB89_36
; %bb.35:                               ;   in Loop: Header=BB89_3 Depth=1
	ds_load_b128 v[16:19], v1 offset:14784
	s_wait_dscnt 0x0
	v_mul_f64_e32 v[2:3], v[14:15], v[18:19]
	v_mul_f64_e32 v[18:19], v[12:13], v[18:19]
	s_delay_alu instid0(VALU_DEP_1) | instskip(NEXT) | instid1(VALU_DEP_1)
	v_fmac_f64_e32 v[18:19], v[14:15], v[16:17]
	v_dual_fma_f64 v[2:3], v[12:13], v[16:17], -v[2:3] :: v_dual_mov_b32 v14, v18
	s_delay_alu instid0(VALU_DEP_1) | instskip(NEXT) | instid1(VALU_DEP_3)
	v_xor_b32_e32 v13, 0x80000000, v3
	v_xor_b32_e32 v15, 0x80000000, v19
	s_delay_alu instid0(VALU_DEP_3)
	v_mov_b32_e32 v12, v2
	ds_store_b128 v21, v[12:15]
	v_mov_b64_e32 v[12:13], v[2:3]
	v_mov_b64_e32 v[14:15], v[18:19]
.LBB89_36:                              ;   in Loop: Header=BB89_3 Depth=1
	s_or_b32 exec_lo, exec_lo, s35
	s_wait_dscnt 0x0
	s_barrier_signal -1
	s_barrier_wait -1
	s_barrier_signal -1
	s_barrier_wait -1
	s_and_saveexec_b32 s35, s2
; %bb.37:                               ;   in Loop: Header=BB89_3 Depth=1
	ds_store_b128 v45, v[12:15] offset:16320
; %bb.38:                               ;   in Loop: Header=BB89_3 Depth=1
	s_or_b32 exec_lo, exec_lo, s35
	s_wait_dscnt 0x0
	s_barrier_signal -1
	s_barrier_wait -1
	s_barrier_signal -1
	s_barrier_wait -1
	s_and_saveexec_b32 s35, s66
	s_cbranch_execz .LBB89_40
; %bb.39:                               ;   in Loop: Header=BB89_3 Depth=1
	ds_load_b128 v[12:15], v46
	s_wait_dscnt 0x0
	ds_store_b128 v133, v[12:15]
	ds_load_b128 v[12:15], v47
	s_wait_dscnt 0x0
	ds_store_b128 v134, v[12:15]
.LBB89_40:                              ;   in Loop: Header=BB89_3 Depth=1
	s_or_b32 exec_lo, exec_lo, s35
	s_wait_dscnt 0x0
	s_barrier_signal -1
	s_barrier_wait -1
	s_and_saveexec_b32 s35, s29
	s_cbranch_execz .LBB89_42
; %bb.41:                               ;   in Loop: Header=BB89_3 Depth=1
	ds_load_b128 v[12:15], v1 offset:15312
	ds_load_b128 v[16:19], v1 offset:14784
	s_wait_dscnt 0x0
	v_mul_f64_e32 v[2:3], v[14:15], v[18:19]
	v_mul_f64_e32 v[200:201], v[12:13], v[18:19]
	s_delay_alu instid0(VALU_DEP_2) | instskip(NEXT) | instid1(VALU_DEP_2)
	v_fma_f64 v[2:3], v[12:13], v[16:17], -v[2:3]
	v_fmac_f64_e32 v[200:201], v[14:15], v[16:17]
	ds_load_b128 v[12:15], v1 offset:15296
	s_wait_dscnt 0x0
	v_mul_f64_e32 v[18:19], v[2:3], v[14:15]
	v_mul_f64_e32 v[16:17], v[200:201], v[14:15]
	s_delay_alu instid0(VALU_DEP_2) | instskip(NEXT) | instid1(VALU_DEP_2)
	v_fmac_f64_e32 v[18:19], v[12:13], v[200:201]
	v_fma_f64 v[16:17], v[12:13], v[2:3], -v[16:17]
	ds_store_b128 v1, v[16:19] offset:15296
	ds_store_b128 v1, v[16:19] offset:14800
.LBB89_42:                              ;   in Loop: Header=BB89_3 Depth=1
	s_or_b32 exec_lo, exec_lo, s35
	v_mov_b64_e32 v[14:15], 0
	v_mov_b64_e32 v[12:13], 0
	s_wait_dscnt 0x0
	s_barrier_signal -1
	s_barrier_wait -1
	global_wb scope:SCOPE_DEV
	s_wait_storecnt 0x0
	global_inv scope:SCOPE_DEV
	s_and_saveexec_b32 s35, s4
	s_cbranch_execz .LBB89_48
; %bb.43:                               ;   in Loop: Header=BB89_3 Depth=1
	ds_load_b128 v[12:15], v51 offset:16320
	ds_load_b128 v[16:19], v50 offset:14720
	s_wait_dscnt 0x0
	v_mul_f64_e32 v[2:3], v[14:15], v[18:19]
	v_mul_f64_e32 v[18:19], v[12:13], v[18:19]
	s_delay_alu instid0(VALU_DEP_2) | instskip(NEXT) | instid1(VALU_DEP_2)
	v_fma_f64 v[2:3], v[12:13], v[16:17], -v[2:3]
	v_fmac_f64_e32 v[18:19], v[14:15], v[16:17]
	s_delay_alu instid0(VALU_DEP_2) | instskip(NEXT) | instid1(VALU_DEP_2)
	v_add_f64_e32 v[12:13], 0, v[2:3]
	v_add_f64_e32 v[14:15], 0, v[18:19]
	s_and_saveexec_b32 s40, s11
	s_cbranch_execnz .LBB89_550
; %bb.44:                               ;   in Loop: Header=BB89_3 Depth=1
	s_or_b32 exec_lo, exec_lo, s40
	s_and_saveexec_b32 s40, s12
	s_cbranch_execnz .LBB89_551
.LBB89_45:                              ;   in Loop: Header=BB89_3 Depth=1
	s_or_b32 exec_lo, exec_lo, s40
	s_and_saveexec_b32 s40, s2
	s_cbranch_execz .LBB89_47
.LBB89_46:                              ;   in Loop: Header=BB89_3 Depth=1
	ds_load_b128 v[16:19], v1 offset:16368
	ds_load_b128 v[200:203], v48 offset:16256
	s_wait_dscnt 0x0
	v_mul_f64_e32 v[2:3], v[18:19], v[202:203]
	s_delay_alu instid0(VALU_DEP_1) | instskip(SKIP_1) | instid1(VALU_DEP_2)
	v_fma_f64 v[2:3], v[16:17], v[200:201], -v[2:3]
	v_mul_f64_e32 v[16:17], v[16:17], v[202:203]
	v_add_f64_e32 v[12:13], v[12:13], v[2:3]
	s_delay_alu instid0(VALU_DEP_2) | instskip(NEXT) | instid1(VALU_DEP_1)
	v_fmac_f64_e32 v[16:17], v[18:19], v[200:201]
	v_add_f64_e32 v[14:15], v[14:15], v[16:17]
.LBB89_47:                              ;   in Loop: Header=BB89_3 Depth=1
	s_or_b32 exec_lo, exec_lo, s40
.LBB89_48:                              ;   in Loop: Header=BB89_3 Depth=1
	s_delay_alu instid0(SALU_CYCLE_1)
	s_or_b32 exec_lo, exec_lo, s35
	s_and_saveexec_b32 s35, s67
	s_cbranch_execz .LBB89_50
; %bb.49:                               ;   in Loop: Header=BB89_3 Depth=1
	ds_load_b128 v[16:19], v1 offset:14256
	s_wait_dscnt 0x0
	v_mul_f64_e32 v[2:3], v[14:15], v[18:19]
	v_mul_f64_e32 v[18:19], v[12:13], v[18:19]
	s_delay_alu instid0(VALU_DEP_1) | instskip(NEXT) | instid1(VALU_DEP_1)
	v_fmac_f64_e32 v[18:19], v[14:15], v[16:17]
	v_dual_fma_f64 v[2:3], v[12:13], v[16:17], -v[2:3] :: v_dual_mov_b32 v14, v18
	s_delay_alu instid0(VALU_DEP_1) | instskip(NEXT) | instid1(VALU_DEP_3)
	v_xor_b32_e32 v13, 0x80000000, v3
	v_xor_b32_e32 v15, 0x80000000, v19
	s_delay_alu instid0(VALU_DEP_3)
	v_mov_b32_e32 v12, v2
	ds_store_b128 v49, v[12:15]
	v_mov_b64_e32 v[12:13], v[2:3]
	v_mov_b64_e32 v[14:15], v[18:19]
.LBB89_50:                              ;   in Loop: Header=BB89_3 Depth=1
	s_or_b32 exec_lo, exec_lo, s35
	s_wait_loadcnt_dscnt 0x0
	s_barrier_signal -1
	s_barrier_wait -1
	s_and_saveexec_b32 s35, s68
	s_cbranch_execz .LBB89_52
; %bb.51:                               ;   in Loop: Header=BB89_3 Depth=1
	ds_load_b128 v[16:19], v49
	ds_load_b128 v[200:203], v50 offset:14208
	s_wait_dscnt 0x0
	v_mul_f64_e32 v[2:3], v[18:19], v[202:203]
	s_delay_alu instid0(VALU_DEP_1) | instskip(SKIP_1) | instid1(VALU_DEP_2)
	v_fma_f64 v[2:3], v[16:17], v[200:201], -v[2:3]
	v_mul_f64_e32 v[16:17], v[16:17], v[202:203]
	v_add_f64_e64 v[12:13], v[12:13], -v[2:3]
	s_delay_alu instid0(VALU_DEP_2) | instskip(NEXT) | instid1(VALU_DEP_1)
	v_fmac_f64_e32 v[16:17], v[18:19], v[200:201]
	v_add_f64_e64 v[14:15], v[14:15], -v[16:17]
.LBB89_52:                              ;   in Loop: Header=BB89_3 Depth=1
	s_or_b32 exec_lo, exec_lo, s35
	s_barrier_signal -1
	s_barrier_wait -1
	s_and_saveexec_b32 s35, s69
	s_cbranch_execz .LBB89_54
; %bb.53:                               ;   in Loop: Header=BB89_3 Depth=1
	ds_load_b128 v[16:19], v1 offset:13728
	s_wait_dscnt 0x0
	v_mul_f64_e32 v[2:3], v[14:15], v[18:19]
	v_mul_f64_e32 v[18:19], v[12:13], v[18:19]
	s_delay_alu instid0(VALU_DEP_1) | instskip(NEXT) | instid1(VALU_DEP_1)
	v_fmac_f64_e32 v[18:19], v[14:15], v[16:17]
	v_dual_fma_f64 v[2:3], v[12:13], v[16:17], -v[2:3] :: v_dual_mov_b32 v14, v18
	s_delay_alu instid0(VALU_DEP_1) | instskip(NEXT) | instid1(VALU_DEP_3)
	v_xor_b32_e32 v13, 0x80000000, v3
	v_xor_b32_e32 v15, 0x80000000, v19
	s_delay_alu instid0(VALU_DEP_3)
	v_mov_b32_e32 v12, v2
	ds_store_b128 v49, v[12:15]
	v_mov_b64_e32 v[12:13], v[2:3]
	v_mov_b64_e32 v[14:15], v[18:19]
.LBB89_54:                              ;   in Loop: Header=BB89_3 Depth=1
	s_or_b32 exec_lo, exec_lo, s35
	s_wait_dscnt 0x0
	s_barrier_signal -1
	s_barrier_wait -1
	s_and_saveexec_b32 s35, s70
	s_cbranch_execz .LBB89_56
; %bb.55:                               ;   in Loop: Header=BB89_3 Depth=1
	ds_load_b128 v[16:19], v49
	ds_load_b128 v[200:203], v50 offset:13696
	s_wait_dscnt 0x0
	v_mul_f64_e32 v[2:3], v[18:19], v[202:203]
	s_delay_alu instid0(VALU_DEP_1) | instskip(SKIP_1) | instid1(VALU_DEP_2)
	v_fma_f64 v[2:3], v[16:17], v[200:201], -v[2:3]
	v_mul_f64_e32 v[16:17], v[16:17], v[202:203]
	v_add_f64_e64 v[12:13], v[12:13], -v[2:3]
	s_delay_alu instid0(VALU_DEP_2) | instskip(NEXT) | instid1(VALU_DEP_1)
	v_fmac_f64_e32 v[16:17], v[18:19], v[200:201]
	v_add_f64_e64 v[14:15], v[14:15], -v[16:17]
.LBB89_56:                              ;   in Loop: Header=BB89_3 Depth=1
	s_or_b32 exec_lo, exec_lo, s35
	s_barrier_signal -1
	s_barrier_wait -1
	s_and_saveexec_b32 s35, s71
	s_cbranch_execz .LBB89_58
; %bb.57:                               ;   in Loop: Header=BB89_3 Depth=1
	ds_load_b128 v[16:19], v1 offset:13200
	s_wait_dscnt 0x0
	v_mul_f64_e32 v[2:3], v[14:15], v[18:19]
	v_mul_f64_e32 v[18:19], v[12:13], v[18:19]
	s_delay_alu instid0(VALU_DEP_1) | instskip(NEXT) | instid1(VALU_DEP_1)
	v_fmac_f64_e32 v[18:19], v[14:15], v[16:17]
	v_dual_fma_f64 v[2:3], v[12:13], v[16:17], -v[2:3] :: v_dual_mov_b32 v14, v18
	s_delay_alu instid0(VALU_DEP_1) | instskip(NEXT) | instid1(VALU_DEP_3)
	v_xor_b32_e32 v13, 0x80000000, v3
	v_xor_b32_e32 v15, 0x80000000, v19
	s_delay_alu instid0(VALU_DEP_3)
	v_mov_b32_e32 v12, v2
	ds_store_b128 v49, v[12:15]
	v_mov_b64_e32 v[12:13], v[2:3]
	v_mov_b64_e32 v[14:15], v[18:19]
.LBB89_58:                              ;   in Loop: Header=BB89_3 Depth=1
	s_or_b32 exec_lo, exec_lo, s35
	s_wait_dscnt 0x0
	;; [unrolled: 41-line block ×3, first 2 shown]
	s_barrier_signal -1
	s_barrier_wait -1
	s_barrier_signal -1
	s_barrier_wait -1
	s_and_saveexec_b32 s35, s4
; %bb.63:                               ;   in Loop: Header=BB89_3 Depth=1
	ds_store_b128 v52, v[12:15] offset:16256
; %bb.64:                               ;   in Loop: Header=BB89_3 Depth=1
	s_or_b32 exec_lo, exec_lo, s35
	s_wait_dscnt 0x0
	s_barrier_signal -1
	s_barrier_wait -1
	s_barrier_signal -1
	s_barrier_wait -1
	s_and_saveexec_b32 s35, s73
	s_cbranch_execz .LBB89_66
; %bb.65:                               ;   in Loop: Header=BB89_3 Depth=1
	ds_load_b128 v[12:15], v94
	s_wait_dscnt 0x0
	ds_store_b128 v135, v[12:15]
	ds_load_b128 v[12:15], v97
	s_wait_dscnt 0x0
	ds_store_b128 v138, v[12:15]
	;; [unrolled: 3-line block ×4, first 2 shown]
.LBB89_66:                              ;   in Loop: Header=BB89_3 Depth=1
	s_or_b32 exec_lo, exec_lo, s35
	s_wait_dscnt 0x0
	s_barrier_signal -1
	s_barrier_wait -1
	s_and_saveexec_b32 s35, s29
	s_cbranch_execz .LBB89_68
; %bb.67:                               ;   in Loop: Header=BB89_3 Depth=1
	ds_load_b128 v[12:15], v1 offset:14256
	ds_load_b128 v[16:19], v1 offset:13728
	s_wait_dscnt 0x0
	v_mul_f64_e32 v[2:3], v[14:15], v[18:19]
	v_mul_f64_e32 v[200:201], v[12:13], v[18:19]
	s_delay_alu instid0(VALU_DEP_2) | instskip(NEXT) | instid1(VALU_DEP_2)
	v_fma_f64 v[2:3], v[12:13], v[16:17], -v[2:3]
	v_fmac_f64_e32 v[200:201], v[14:15], v[16:17]
	ds_load_b128 v[12:15], v1 offset:14240
	s_wait_dscnt 0x0
	v_mul_f64_e32 v[18:19], v[2:3], v[14:15]
	v_mul_f64_e32 v[16:17], v[200:201], v[14:15]
	s_delay_alu instid0(VALU_DEP_2) | instskip(NEXT) | instid1(VALU_DEP_2)
	v_fmac_f64_e32 v[18:19], v[12:13], v[200:201]
	v_fma_f64 v[16:17], v[12:13], v[2:3], -v[16:17]
	ds_store_b128 v1, v[16:19] offset:14240
	ds_store_b128 v1, v[16:19] offset:13744
.LBB89_68:                              ;   in Loop: Header=BB89_3 Depth=1
	s_or_b32 exec_lo, exec_lo, s35
	v_mov_b64_e32 v[12:13], 0
	v_mov_b64_e32 v[14:15], 0
	s_wait_dscnt 0x0
	s_barrier_signal -1
	s_barrier_wait -1
	global_wb scope:SCOPE_DEV
	s_wait_storecnt 0x0
	global_inv scope:SCOPE_DEV
	s_and_saveexec_b32 s35, s2
	s_cbranch_execz .LBB89_72
; %bb.69:                               ;   in Loop: Header=BB89_3 Depth=1
	ds_load_b128 v[12:15], v43 offset:14240
	ds_load_b128 v[16:19], v42 offset:13696
	s_wait_dscnt 0x0
	v_mul_f64_e32 v[2:3], v[14:15], v[18:19]
	v_mul_f64_e32 v[18:19], v[12:13], v[18:19]
	s_delay_alu instid0(VALU_DEP_2) | instskip(NEXT) | instid1(VALU_DEP_2)
	v_fma_f64 v[2:3], v[12:13], v[16:17], -v[2:3]
	v_fmac_f64_e32 v[18:19], v[14:15], v[16:17]
	s_delay_alu instid0(VALU_DEP_2) | instskip(NEXT) | instid1(VALU_DEP_2)
	v_add_f64_e32 v[12:13], 0, v[2:3]
	v_add_f64_e32 v[14:15], 0, v[18:19]
	s_and_saveexec_b32 s40, s10
	s_cbranch_execz .LBB89_71
; %bb.70:                               ;   in Loop: Header=BB89_3 Depth=1
	ds_load_b128 v[16:19], v1 offset:14256
	ds_load_b128 v[200:203], v98 offset:14208
	s_wait_dscnt 0x0
	v_mul_f64_e32 v[2:3], v[18:19], v[202:203]
	s_delay_alu instid0(VALU_DEP_1) | instskip(SKIP_1) | instid1(VALU_DEP_2)
	v_fma_f64 v[2:3], v[16:17], v[200:201], -v[2:3]
	v_mul_f64_e32 v[16:17], v[16:17], v[202:203]
	v_add_f64_e32 v[12:13], v[12:13], v[2:3]
	s_delay_alu instid0(VALU_DEP_2) | instskip(NEXT) | instid1(VALU_DEP_1)
	v_fmac_f64_e32 v[16:17], v[18:19], v[200:201]
	v_add_f64_e32 v[14:15], v[14:15], v[16:17]
.LBB89_71:                              ;   in Loop: Header=BB89_3 Depth=1
	s_or_b32 exec_lo, exec_lo, s40
.LBB89_72:                              ;   in Loop: Header=BB89_3 Depth=1
	s_delay_alu instid0(SALU_CYCLE_1)
	s_or_b32 exec_lo, exec_lo, s35
	s_and_saveexec_b32 s35, s64
	s_cbranch_execz .LBB89_74
; %bb.73:                               ;   in Loop: Header=BB89_3 Depth=1
	ds_load_b128 v[16:19], v1 offset:13200
	s_wait_dscnt 0x0
	v_mul_f64_e32 v[2:3], v[14:15], v[18:19]
	v_mul_f64_e32 v[18:19], v[12:13], v[18:19]
	s_delay_alu instid0(VALU_DEP_1) | instskip(NEXT) | instid1(VALU_DEP_1)
	v_fmac_f64_e32 v[18:19], v[14:15], v[16:17]
	v_dual_fma_f64 v[2:3], v[12:13], v[16:17], -v[2:3] :: v_dual_mov_b32 v14, v18
	s_delay_alu instid0(VALU_DEP_1) | instskip(NEXT) | instid1(VALU_DEP_3)
	v_xor_b32_e32 v13, 0x80000000, v3
	v_xor_b32_e32 v15, 0x80000000, v19
	s_delay_alu instid0(VALU_DEP_3)
	v_mov_b32_e32 v12, v2
	ds_store_b128 v21, v[12:15]
	v_mov_b64_e32 v[12:13], v[2:3]
	v_mov_b64_e32 v[14:15], v[18:19]
.LBB89_74:                              ;   in Loop: Header=BB89_3 Depth=1
	s_or_b32 exec_lo, exec_lo, s35
	s_wait_loadcnt_dscnt 0x0
	s_barrier_signal -1
	s_barrier_wait -1
	s_and_saveexec_b32 s35, s65
	s_cbranch_execz .LBB89_76
; %bb.75:                               ;   in Loop: Header=BB89_3 Depth=1
	ds_load_b128 v[16:19], v21
	ds_load_b128 v[200:203], v1 offset:13184
	s_wait_dscnt 0x0
	v_mul_f64_e32 v[2:3], v[18:19], v[202:203]
	s_delay_alu instid0(VALU_DEP_1) | instskip(SKIP_1) | instid1(VALU_DEP_2)
	v_fma_f64 v[2:3], v[16:17], v[200:201], -v[2:3]
	v_mul_f64_e32 v[16:17], v[16:17], v[202:203]
	v_add_f64_e64 v[12:13], v[12:13], -v[2:3]
	s_delay_alu instid0(VALU_DEP_2) | instskip(NEXT) | instid1(VALU_DEP_1)
	v_fmac_f64_e32 v[16:17], v[18:19], v[200:201]
	v_add_f64_e64 v[14:15], v[14:15], -v[16:17]
.LBB89_76:                              ;   in Loop: Header=BB89_3 Depth=1
	s_or_b32 exec_lo, exec_lo, s35
	s_barrier_signal -1
	s_barrier_wait -1
	s_and_saveexec_b32 s35, s65
	s_cbranch_execz .LBB89_78
; %bb.77:                               ;   in Loop: Header=BB89_3 Depth=1
	ds_load_b128 v[16:19], v1 offset:12672
	s_wait_dscnt 0x0
	v_mul_f64_e32 v[2:3], v[14:15], v[18:19]
	v_mul_f64_e32 v[18:19], v[12:13], v[18:19]
	s_delay_alu instid0(VALU_DEP_1) | instskip(NEXT) | instid1(VALU_DEP_1)
	v_fmac_f64_e32 v[18:19], v[14:15], v[16:17]
	v_dual_fma_f64 v[2:3], v[12:13], v[16:17], -v[2:3] :: v_dual_mov_b32 v14, v18
	s_delay_alu instid0(VALU_DEP_1) | instskip(NEXT) | instid1(VALU_DEP_3)
	v_xor_b32_e32 v13, 0x80000000, v3
	v_xor_b32_e32 v15, 0x80000000, v19
	s_delay_alu instid0(VALU_DEP_3)
	v_mov_b32_e32 v12, v2
	ds_store_b128 v21, v[12:15]
	v_mov_b64_e32 v[12:13], v[2:3]
	v_mov_b64_e32 v[14:15], v[18:19]
.LBB89_78:                              ;   in Loop: Header=BB89_3 Depth=1
	s_or_b32 exec_lo, exec_lo, s35
	s_wait_dscnt 0x0
	s_barrier_signal -1
	s_barrier_wait -1
	s_barrier_signal -1
	s_barrier_wait -1
	s_and_saveexec_b32 s35, s2
; %bb.79:                               ;   in Loop: Header=BB89_3 Depth=1
	ds_store_b128 v45, v[12:15] offset:14208
; %bb.80:                               ;   in Loop: Header=BB89_3 Depth=1
	s_or_b32 exec_lo, exec_lo, s35
	s_wait_dscnt 0x0
	s_barrier_signal -1
	s_barrier_wait -1
	s_barrier_signal -1
	s_barrier_wait -1
	s_and_saveexec_b32 s35, s66
	s_cbranch_execz .LBB89_82
; %bb.81:                               ;   in Loop: Header=BB89_3 Depth=1
	ds_load_b128 v[12:15], v107
	s_wait_dscnt 0x0
	ds_store_b128 v139, v[12:15]
	ds_load_b128 v[12:15], v108
	s_wait_dscnt 0x0
	ds_store_b128 v140, v[12:15]
.LBB89_82:                              ;   in Loop: Header=BB89_3 Depth=1
	s_or_b32 exec_lo, exec_lo, s35
	s_wait_dscnt 0x0
	s_barrier_signal -1
	s_barrier_wait -1
	s_and_saveexec_b32 s35, s29
	s_cbranch_execz .LBB89_84
; %bb.83:                               ;   in Loop: Header=BB89_3 Depth=1
	ds_load_b128 v[12:15], v1 offset:13200
	ds_load_b128 v[16:19], v1 offset:12672
	s_wait_dscnt 0x0
	v_mul_f64_e32 v[2:3], v[14:15], v[18:19]
	v_mul_f64_e32 v[200:201], v[12:13], v[18:19]
	s_delay_alu instid0(VALU_DEP_2) | instskip(NEXT) | instid1(VALU_DEP_2)
	v_fma_f64 v[2:3], v[12:13], v[16:17], -v[2:3]
	v_fmac_f64_e32 v[200:201], v[14:15], v[16:17]
	ds_load_b128 v[12:15], v1 offset:13184
	s_wait_dscnt 0x0
	v_mul_f64_e32 v[18:19], v[2:3], v[14:15]
	v_mul_f64_e32 v[16:17], v[200:201], v[14:15]
	s_delay_alu instid0(VALU_DEP_2) | instskip(NEXT) | instid1(VALU_DEP_2)
	v_fmac_f64_e32 v[18:19], v[12:13], v[200:201]
	v_fma_f64 v[16:17], v[12:13], v[2:3], -v[16:17]
	ds_store_b128 v1, v[16:19] offset:13184
	ds_store_b128 v1, v[16:19] offset:12688
.LBB89_84:                              ;   in Loop: Header=BB89_3 Depth=1
	s_or_b32 exec_lo, exec_lo, s35
	v_mov_b64_e32 v[14:15], 0
	v_mov_b64_e32 v[12:13], 0
	s_wait_dscnt 0x0
	s_barrier_signal -1
	s_barrier_wait -1
	global_wb scope:SCOPE_DEV
	s_wait_storecnt 0x0
	global_inv scope:SCOPE_DEV
	s_and_saveexec_b32 s35, s5
	s_cbranch_execz .LBB89_94
; %bb.85:                               ;   in Loop: Header=BB89_3 Depth=1
	ds_load_b128 v[12:15], v55 offset:16256
	ds_load_b128 v[16:19], v54 offset:12544
	s_wait_dscnt 0x0
	v_mul_f64_e32 v[2:3], v[14:15], v[18:19]
	v_mul_f64_e32 v[18:19], v[12:13], v[18:19]
	s_delay_alu instid0(VALU_DEP_2) | instskip(NEXT) | instid1(VALU_DEP_2)
	v_fma_f64 v[2:3], v[12:13], v[16:17], -v[2:3]
	v_fmac_f64_e32 v[18:19], v[14:15], v[16:17]
	s_delay_alu instid0(VALU_DEP_2) | instskip(NEXT) | instid1(VALU_DEP_2)
	v_add_f64_e32 v[12:13], 0, v[2:3]
	v_add_f64_e32 v[14:15], 0, v[18:19]
	s_and_saveexec_b32 s40, s13
	s_cbranch_execnz .LBB89_552
; %bb.86:                               ;   in Loop: Header=BB89_3 Depth=1
	s_or_b32 exec_lo, exec_lo, s40
	s_and_saveexec_b32 s40, s14
	s_cbranch_execnz .LBB89_553
.LBB89_87:                              ;   in Loop: Header=BB89_3 Depth=1
	s_or_b32 exec_lo, exec_lo, s40
	s_and_saveexec_b32 s40, s15
	s_cbranch_execnz .LBB89_554
.LBB89_88:                              ;   in Loop: Header=BB89_3 Depth=1
	s_or_b32 exec_lo, exec_lo, s40
	s_and_saveexec_b32 s40, s16
	s_cbranch_execnz .LBB89_555
.LBB89_89:                              ;   in Loop: Header=BB89_3 Depth=1
	s_or_b32 exec_lo, exec_lo, s40
	s_and_saveexec_b32 s40, s17
	s_cbranch_execnz .LBB89_556
.LBB89_90:                              ;   in Loop: Header=BB89_3 Depth=1
	s_or_b32 exec_lo, exec_lo, s40
	s_and_saveexec_b32 s40, s4
	s_cbranch_execnz .LBB89_557
.LBB89_91:                              ;   in Loop: Header=BB89_3 Depth=1
	s_or_b32 exec_lo, exec_lo, s40
	s_and_saveexec_b32 s40, s12
	s_cbranch_execz .LBB89_93
.LBB89_92:                              ;   in Loop: Header=BB89_3 Depth=1
	ds_load_b128 v[16:19], v1 offset:16368
	ds_load_b128 v[200:203], v44 offset:16128
	s_wait_dscnt 0x0
	v_mul_f64_e32 v[2:3], v[18:19], v[202:203]
	s_delay_alu instid0(VALU_DEP_1) | instskip(SKIP_1) | instid1(VALU_DEP_2)
	v_fma_f64 v[2:3], v[16:17], v[200:201], -v[2:3]
	v_mul_f64_e32 v[16:17], v[16:17], v[202:203]
	v_add_f64_e32 v[12:13], v[12:13], v[2:3]
	s_delay_alu instid0(VALU_DEP_2) | instskip(NEXT) | instid1(VALU_DEP_1)
	v_fmac_f64_e32 v[16:17], v[18:19], v[200:201]
	v_add_f64_e32 v[14:15], v[14:15], v[16:17]
.LBB89_93:                              ;   in Loop: Header=BB89_3 Depth=1
	s_or_b32 exec_lo, exec_lo, s40
.LBB89_94:                              ;   in Loop: Header=BB89_3 Depth=1
	s_delay_alu instid0(SALU_CYCLE_1)
	s_or_b32 exec_lo, exec_lo, s35
	s_and_saveexec_b32 s35, s74
	s_cbranch_execz .LBB89_96
; %bb.95:                               ;   in Loop: Header=BB89_3 Depth=1
	ds_load_b128 v[16:19], v1 offset:12144
	s_wait_dscnt 0x0
	v_mul_f64_e32 v[2:3], v[14:15], v[18:19]
	v_mul_f64_e32 v[18:19], v[12:13], v[18:19]
	s_delay_alu instid0(VALU_DEP_1) | instskip(NEXT) | instid1(VALU_DEP_1)
	v_fmac_f64_e32 v[18:19], v[14:15], v[16:17]
	v_dual_fma_f64 v[2:3], v[12:13], v[16:17], -v[2:3] :: v_dual_mov_b32 v14, v18
	s_delay_alu instid0(VALU_DEP_1) | instskip(NEXT) | instid1(VALU_DEP_3)
	v_xor_b32_e32 v13, 0x80000000, v3
	v_xor_b32_e32 v15, 0x80000000, v19
	s_delay_alu instid0(VALU_DEP_3)
	v_mov_b32_e32 v12, v2
	ds_store_b128 v53, v[12:15]
	v_mov_b64_e32 v[12:13], v[2:3]
	v_mov_b64_e32 v[14:15], v[18:19]
.LBB89_96:                              ;   in Loop: Header=BB89_3 Depth=1
	s_or_b32 exec_lo, exec_lo, s35
	s_wait_loadcnt_dscnt 0x0
	s_barrier_signal -1
	s_barrier_wait -1
	s_and_saveexec_b32 s35, s75
	s_cbranch_execz .LBB89_98
; %bb.97:                               ;   in Loop: Header=BB89_3 Depth=1
	ds_load_b128 v[16:19], v53
	ds_load_b128 v[200:203], v54 offset:12032
	s_wait_dscnt 0x0
	v_mul_f64_e32 v[2:3], v[18:19], v[202:203]
	s_delay_alu instid0(VALU_DEP_1) | instskip(SKIP_1) | instid1(VALU_DEP_2)
	v_fma_f64 v[2:3], v[16:17], v[200:201], -v[2:3]
	v_mul_f64_e32 v[16:17], v[16:17], v[202:203]
	v_add_f64_e64 v[12:13], v[12:13], -v[2:3]
	s_delay_alu instid0(VALU_DEP_2) | instskip(NEXT) | instid1(VALU_DEP_1)
	v_fmac_f64_e32 v[16:17], v[18:19], v[200:201]
	v_add_f64_e64 v[14:15], v[14:15], -v[16:17]
.LBB89_98:                              ;   in Loop: Header=BB89_3 Depth=1
	s_or_b32 exec_lo, exec_lo, s35
	s_barrier_signal -1
	s_barrier_wait -1
	s_and_saveexec_b32 s35, s76
	s_cbranch_execz .LBB89_100
; %bb.99:                               ;   in Loop: Header=BB89_3 Depth=1
	ds_load_b128 v[16:19], v1 offset:11616
	s_wait_dscnt 0x0
	v_mul_f64_e32 v[2:3], v[14:15], v[18:19]
	v_mul_f64_e32 v[18:19], v[12:13], v[18:19]
	s_delay_alu instid0(VALU_DEP_1) | instskip(NEXT) | instid1(VALU_DEP_1)
	v_fmac_f64_e32 v[18:19], v[14:15], v[16:17]
	v_dual_fma_f64 v[2:3], v[12:13], v[16:17], -v[2:3] :: v_dual_mov_b32 v14, v18
	s_delay_alu instid0(VALU_DEP_1) | instskip(NEXT) | instid1(VALU_DEP_3)
	v_xor_b32_e32 v13, 0x80000000, v3
	v_xor_b32_e32 v15, 0x80000000, v19
	s_delay_alu instid0(VALU_DEP_3)
	v_mov_b32_e32 v12, v2
	ds_store_b128 v53, v[12:15]
	v_mov_b64_e32 v[12:13], v[2:3]
	v_mov_b64_e32 v[14:15], v[18:19]
.LBB89_100:                             ;   in Loop: Header=BB89_3 Depth=1
	s_or_b32 exec_lo, exec_lo, s35
	s_wait_dscnt 0x0
	s_barrier_signal -1
	s_barrier_wait -1
	s_and_saveexec_b32 s35, s77
	s_cbranch_execz .LBB89_102
; %bb.101:                              ;   in Loop: Header=BB89_3 Depth=1
	ds_load_b128 v[16:19], v53
	ds_load_b128 v[200:203], v54 offset:11520
	s_wait_dscnt 0x0
	v_mul_f64_e32 v[2:3], v[18:19], v[202:203]
	s_delay_alu instid0(VALU_DEP_1) | instskip(SKIP_1) | instid1(VALU_DEP_2)
	v_fma_f64 v[2:3], v[16:17], v[200:201], -v[2:3]
	v_mul_f64_e32 v[16:17], v[16:17], v[202:203]
	v_add_f64_e64 v[12:13], v[12:13], -v[2:3]
	s_delay_alu instid0(VALU_DEP_2) | instskip(NEXT) | instid1(VALU_DEP_1)
	v_fmac_f64_e32 v[16:17], v[18:19], v[200:201]
	v_add_f64_e64 v[14:15], v[14:15], -v[16:17]
.LBB89_102:                             ;   in Loop: Header=BB89_3 Depth=1
	s_or_b32 exec_lo, exec_lo, s35
	s_barrier_signal -1
	s_barrier_wait -1
	s_and_saveexec_b32 s35, s78
	s_cbranch_execz .LBB89_104
; %bb.103:                              ;   in Loop: Header=BB89_3 Depth=1
	ds_load_b128 v[16:19], v1 offset:11088
	s_wait_dscnt 0x0
	v_mul_f64_e32 v[2:3], v[14:15], v[18:19]
	v_mul_f64_e32 v[18:19], v[12:13], v[18:19]
	s_delay_alu instid0(VALU_DEP_1) | instskip(NEXT) | instid1(VALU_DEP_1)
	v_fmac_f64_e32 v[18:19], v[14:15], v[16:17]
	v_dual_fma_f64 v[2:3], v[12:13], v[16:17], -v[2:3] :: v_dual_mov_b32 v14, v18
	s_delay_alu instid0(VALU_DEP_1) | instskip(NEXT) | instid1(VALU_DEP_3)
	v_xor_b32_e32 v13, 0x80000000, v3
	v_xor_b32_e32 v15, 0x80000000, v19
	s_delay_alu instid0(VALU_DEP_3)
	v_mov_b32_e32 v12, v2
	ds_store_b128 v53, v[12:15]
	v_mov_b64_e32 v[12:13], v[2:3]
	v_mov_b64_e32 v[14:15], v[18:19]
.LBB89_104:                             ;   in Loop: Header=BB89_3 Depth=1
	s_or_b32 exec_lo, exec_lo, s35
	s_wait_dscnt 0x0
	s_barrier_signal -1
	s_barrier_wait -1
	s_and_saveexec_b32 s35, s79
	s_cbranch_execz .LBB89_106
; %bb.105:                              ;   in Loop: Header=BB89_3 Depth=1
	ds_load_b128 v[16:19], v53
	ds_load_b128 v[200:203], v54 offset:11008
	s_wait_dscnt 0x0
	v_mul_f64_e32 v[2:3], v[18:19], v[202:203]
	s_delay_alu instid0(VALU_DEP_1) | instskip(SKIP_1) | instid1(VALU_DEP_2)
	v_fma_f64 v[2:3], v[16:17], v[200:201], -v[2:3]
	v_mul_f64_e32 v[16:17], v[16:17], v[202:203]
	v_add_f64_e64 v[12:13], v[12:13], -v[2:3]
	s_delay_alu instid0(VALU_DEP_2) | instskip(NEXT) | instid1(VALU_DEP_1)
	v_fmac_f64_e32 v[16:17], v[18:19], v[200:201]
	v_add_f64_e64 v[14:15], v[14:15], -v[16:17]
.LBB89_106:                             ;   in Loop: Header=BB89_3 Depth=1
	s_or_b32 exec_lo, exec_lo, s35
	s_barrier_signal -1
	s_barrier_wait -1
	s_and_saveexec_b32 s35, s80
	s_cbranch_execz .LBB89_108
; %bb.107:                              ;   in Loop: Header=BB89_3 Depth=1
	ds_load_b128 v[16:19], v1 offset:10560
	s_wait_dscnt 0x0
	v_mul_f64_e32 v[2:3], v[14:15], v[18:19]
	v_mul_f64_e32 v[18:19], v[12:13], v[18:19]
	s_delay_alu instid0(VALU_DEP_1) | instskip(NEXT) | instid1(VALU_DEP_1)
	v_fmac_f64_e32 v[18:19], v[14:15], v[16:17]
	v_dual_fma_f64 v[2:3], v[12:13], v[16:17], -v[2:3] :: v_dual_mov_b32 v14, v18
	s_delay_alu instid0(VALU_DEP_1) | instskip(NEXT) | instid1(VALU_DEP_3)
	v_xor_b32_e32 v13, 0x80000000, v3
	v_xor_b32_e32 v15, 0x80000000, v19
	s_delay_alu instid0(VALU_DEP_3)
	v_mov_b32_e32 v12, v2
	ds_store_b128 v53, v[12:15]
	v_mov_b64_e32 v[12:13], v[2:3]
	v_mov_b64_e32 v[14:15], v[18:19]
.LBB89_108:                             ;   in Loop: Header=BB89_3 Depth=1
	;; [unrolled: 41-line block ×6, first 2 shown]
	s_or_b32 exec_lo, exec_lo, s35
	s_wait_dscnt 0x0
	s_barrier_signal -1
	s_barrier_wait -1
	s_barrier_signal -1
	s_barrier_wait -1
	s_and_saveexec_b32 s35, s5
; %bb.125:                              ;   in Loop: Header=BB89_3 Depth=1
	ds_store_b128 v56, v[12:15] offset:16128
; %bb.126:                              ;   in Loop: Header=BB89_3 Depth=1
	s_or_b32 exec_lo, exec_lo, s35
	s_wait_dscnt 0x0
	s_barrier_signal -1
	s_barrier_wait -1
	s_barrier_signal -1
	s_barrier_wait -1
	s_and_saveexec_b32 s35, s88
	s_cbranch_execz .LBB89_128
; %bb.127:                              ;   in Loop: Header=BB89_3 Depth=1
	ds_load_b128 v[12:15], v57
	s_wait_dscnt 0x0
	ds_store_b128 v141, v[12:15]
	ds_load_b128 v[12:15], v58
	s_wait_dscnt 0x0
	ds_store_b128 v142, v[12:15]
	;; [unrolled: 3-line block ×8, first 2 shown]
.LBB89_128:                             ;   in Loop: Header=BB89_3 Depth=1
	s_or_b32 exec_lo, exec_lo, s35
	s_wait_dscnt 0x0
	s_barrier_signal -1
	s_barrier_wait -1
	s_and_saveexec_b32 s35, s29
	s_cbranch_execz .LBB89_130
; %bb.129:                              ;   in Loop: Header=BB89_3 Depth=1
	ds_load_b128 v[12:15], v1 offset:12144
	ds_load_b128 v[16:19], v1 offset:11616
	s_wait_dscnt 0x0
	v_mul_f64_e32 v[2:3], v[14:15], v[18:19]
	v_mul_f64_e32 v[200:201], v[12:13], v[18:19]
	s_delay_alu instid0(VALU_DEP_2) | instskip(NEXT) | instid1(VALU_DEP_2)
	v_fma_f64 v[2:3], v[12:13], v[16:17], -v[2:3]
	v_fmac_f64_e32 v[200:201], v[14:15], v[16:17]
	ds_load_b128 v[12:15], v1 offset:12128
	s_wait_dscnt 0x0
	v_mul_f64_e32 v[18:19], v[2:3], v[14:15]
	v_mul_f64_e32 v[16:17], v[200:201], v[14:15]
	s_delay_alu instid0(VALU_DEP_2) | instskip(NEXT) | instid1(VALU_DEP_2)
	v_fmac_f64_e32 v[18:19], v[12:13], v[200:201]
	v_fma_f64 v[16:17], v[12:13], v[2:3], -v[16:17]
	ds_store_b128 v1, v[16:19] offset:12128
	ds_store_b128 v1, v[16:19] offset:11632
.LBB89_130:                             ;   in Loop: Header=BB89_3 Depth=1
	s_or_b32 exec_lo, exec_lo, s35
	v_mov_b64_e32 v[12:13], 0
	v_mov_b64_e32 v[14:15], 0
	s_wait_dscnt 0x0
	s_barrier_signal -1
	s_barrier_wait -1
	global_wb scope:SCOPE_DEV
	s_wait_storecnt 0x0
	global_inv scope:SCOPE_DEV
	s_and_saveexec_b32 s35, s2
	s_cbranch_execz .LBB89_134
; %bb.131:                              ;   in Loop: Header=BB89_3 Depth=1
	ds_load_b128 v[12:15], v43 offset:12128
	ds_load_b128 v[16:19], v42 offset:11584
	s_wait_dscnt 0x0
	v_mul_f64_e32 v[2:3], v[14:15], v[18:19]
	v_mul_f64_e32 v[18:19], v[12:13], v[18:19]
	s_delay_alu instid0(VALU_DEP_2) | instskip(NEXT) | instid1(VALU_DEP_2)
	v_fma_f64 v[2:3], v[12:13], v[16:17], -v[2:3]
	v_fmac_f64_e32 v[18:19], v[14:15], v[16:17]
	s_delay_alu instid0(VALU_DEP_2) | instskip(NEXT) | instid1(VALU_DEP_2)
	v_add_f64_e32 v[12:13], 0, v[2:3]
	v_add_f64_e32 v[14:15], 0, v[18:19]
	s_and_saveexec_b32 s40, s10
	s_cbranch_execz .LBB89_133
; %bb.132:                              ;   in Loop: Header=BB89_3 Depth=1
	ds_load_b128 v[16:19], v1 offset:12144
	ds_load_b128 v[200:203], v48 offset:12096
	s_wait_dscnt 0x0
	v_mul_f64_e32 v[2:3], v[18:19], v[202:203]
	s_delay_alu instid0(VALU_DEP_1) | instskip(SKIP_1) | instid1(VALU_DEP_2)
	v_fma_f64 v[2:3], v[16:17], v[200:201], -v[2:3]
	v_mul_f64_e32 v[16:17], v[16:17], v[202:203]
	v_add_f64_e32 v[12:13], v[12:13], v[2:3]
	s_delay_alu instid0(VALU_DEP_2) | instskip(NEXT) | instid1(VALU_DEP_1)
	v_fmac_f64_e32 v[16:17], v[18:19], v[200:201]
	v_add_f64_e32 v[14:15], v[14:15], v[16:17]
.LBB89_133:                             ;   in Loop: Header=BB89_3 Depth=1
	s_or_b32 exec_lo, exec_lo, s40
.LBB89_134:                             ;   in Loop: Header=BB89_3 Depth=1
	s_delay_alu instid0(SALU_CYCLE_1)
	s_or_b32 exec_lo, exec_lo, s35
	s_and_saveexec_b32 s35, s64
	s_cbranch_execz .LBB89_136
; %bb.135:                              ;   in Loop: Header=BB89_3 Depth=1
	ds_load_b128 v[16:19], v1 offset:11088
	s_wait_dscnt 0x0
	v_mul_f64_e32 v[2:3], v[14:15], v[18:19]
	v_mul_f64_e32 v[18:19], v[12:13], v[18:19]
	s_delay_alu instid0(VALU_DEP_1) | instskip(NEXT) | instid1(VALU_DEP_1)
	v_fmac_f64_e32 v[18:19], v[14:15], v[16:17]
	v_dual_fma_f64 v[2:3], v[12:13], v[16:17], -v[2:3] :: v_dual_mov_b32 v14, v18
	s_delay_alu instid0(VALU_DEP_1) | instskip(NEXT) | instid1(VALU_DEP_3)
	v_xor_b32_e32 v13, 0x80000000, v3
	v_xor_b32_e32 v15, 0x80000000, v19
	s_delay_alu instid0(VALU_DEP_3)
	v_mov_b32_e32 v12, v2
	ds_store_b128 v21, v[12:15]
	v_mov_b64_e32 v[12:13], v[2:3]
	v_mov_b64_e32 v[14:15], v[18:19]
.LBB89_136:                             ;   in Loop: Header=BB89_3 Depth=1
	s_or_b32 exec_lo, exec_lo, s35
	s_wait_loadcnt_dscnt 0x0
	s_barrier_signal -1
	s_barrier_wait -1
	s_and_saveexec_b32 s35, s65
	s_cbranch_execz .LBB89_138
; %bb.137:                              ;   in Loop: Header=BB89_3 Depth=1
	ds_load_b128 v[16:19], v21
	ds_load_b128 v[200:203], v1 offset:11072
	s_wait_dscnt 0x0
	v_mul_f64_e32 v[2:3], v[18:19], v[202:203]
	s_delay_alu instid0(VALU_DEP_1) | instskip(SKIP_1) | instid1(VALU_DEP_2)
	v_fma_f64 v[2:3], v[16:17], v[200:201], -v[2:3]
	v_mul_f64_e32 v[16:17], v[16:17], v[202:203]
	v_add_f64_e64 v[12:13], v[12:13], -v[2:3]
	s_delay_alu instid0(VALU_DEP_2) | instskip(NEXT) | instid1(VALU_DEP_1)
	v_fmac_f64_e32 v[16:17], v[18:19], v[200:201]
	v_add_f64_e64 v[14:15], v[14:15], -v[16:17]
.LBB89_138:                             ;   in Loop: Header=BB89_3 Depth=1
	s_or_b32 exec_lo, exec_lo, s35
	s_barrier_signal -1
	s_barrier_wait -1
	s_and_saveexec_b32 s35, s65
	s_cbranch_execz .LBB89_140
; %bb.139:                              ;   in Loop: Header=BB89_3 Depth=1
	ds_load_b128 v[16:19], v1 offset:10560
	s_wait_dscnt 0x0
	v_mul_f64_e32 v[2:3], v[14:15], v[18:19]
	v_mul_f64_e32 v[18:19], v[12:13], v[18:19]
	s_delay_alu instid0(VALU_DEP_1) | instskip(NEXT) | instid1(VALU_DEP_1)
	v_fmac_f64_e32 v[18:19], v[14:15], v[16:17]
	v_dual_fma_f64 v[2:3], v[12:13], v[16:17], -v[2:3] :: v_dual_mov_b32 v14, v18
	s_delay_alu instid0(VALU_DEP_1) | instskip(NEXT) | instid1(VALU_DEP_3)
	v_xor_b32_e32 v13, 0x80000000, v3
	v_xor_b32_e32 v15, 0x80000000, v19
	s_delay_alu instid0(VALU_DEP_3)
	v_mov_b32_e32 v12, v2
	ds_store_b128 v21, v[12:15]
	v_mov_b64_e32 v[12:13], v[2:3]
	v_mov_b64_e32 v[14:15], v[18:19]
.LBB89_140:                             ;   in Loop: Header=BB89_3 Depth=1
	s_or_b32 exec_lo, exec_lo, s35
	s_wait_dscnt 0x0
	s_barrier_signal -1
	s_barrier_wait -1
	s_barrier_signal -1
	s_barrier_wait -1
	s_and_saveexec_b32 s35, s2
; %bb.141:                              ;   in Loop: Header=BB89_3 Depth=1
	ds_store_b128 v45, v[12:15] offset:12096
; %bb.142:                              ;   in Loop: Header=BB89_3 Depth=1
	s_or_b32 exec_lo, exec_lo, s35
	s_wait_dscnt 0x0
	s_barrier_signal -1
	s_barrier_wait -1
	s_barrier_signal -1
	s_barrier_wait -1
	s_and_saveexec_b32 s35, s66
	s_cbranch_execz .LBB89_144
; %bb.143:                              ;   in Loop: Header=BB89_3 Depth=1
	ds_load_b128 v[12:15], v99
	s_wait_dscnt 0x0
	ds_store_b128 v149, v[12:15]
	ds_load_b128 v[12:15], v100
	s_wait_dscnt 0x0
	ds_store_b128 v150, v[12:15]
.LBB89_144:                             ;   in Loop: Header=BB89_3 Depth=1
	s_or_b32 exec_lo, exec_lo, s35
	s_wait_dscnt 0x0
	s_barrier_signal -1
	s_barrier_wait -1
	s_and_saveexec_b32 s35, s29
	s_cbranch_execz .LBB89_146
; %bb.145:                              ;   in Loop: Header=BB89_3 Depth=1
	ds_load_b128 v[12:15], v1 offset:11088
	ds_load_b128 v[16:19], v1 offset:10560
	s_wait_dscnt 0x0
	v_mul_f64_e32 v[2:3], v[14:15], v[18:19]
	v_mul_f64_e32 v[200:201], v[12:13], v[18:19]
	s_delay_alu instid0(VALU_DEP_2) | instskip(NEXT) | instid1(VALU_DEP_2)
	v_fma_f64 v[2:3], v[12:13], v[16:17], -v[2:3]
	v_fmac_f64_e32 v[200:201], v[14:15], v[16:17]
	ds_load_b128 v[12:15], v1 offset:11072
	s_wait_dscnt 0x0
	v_mul_f64_e32 v[18:19], v[2:3], v[14:15]
	v_mul_f64_e32 v[16:17], v[200:201], v[14:15]
	s_delay_alu instid0(VALU_DEP_2) | instskip(NEXT) | instid1(VALU_DEP_2)
	v_fmac_f64_e32 v[18:19], v[12:13], v[200:201]
	v_fma_f64 v[16:17], v[12:13], v[2:3], -v[16:17]
	ds_store_b128 v1, v[16:19] offset:11072
	ds_store_b128 v1, v[16:19] offset:10576
.LBB89_146:                             ;   in Loop: Header=BB89_3 Depth=1
	s_or_b32 exec_lo, exec_lo, s35
	v_mov_b64_e32 v[14:15], 0
	v_mov_b64_e32 v[12:13], 0
	s_wait_dscnt 0x0
	s_barrier_signal -1
	s_barrier_wait -1
	global_wb scope:SCOPE_DEV
	s_wait_storecnt 0x0
	global_inv scope:SCOPE_DEV
	s_and_saveexec_b32 s35, s4
	s_cbranch_execz .LBB89_152
; %bb.147:                              ;   in Loop: Header=BB89_3 Depth=1
	ds_load_b128 v[12:15], v51 offset:12096
	ds_load_b128 v[16:19], v50 offset:10496
	s_wait_dscnt 0x0
	v_mul_f64_e32 v[2:3], v[14:15], v[18:19]
	v_mul_f64_e32 v[18:19], v[12:13], v[18:19]
	s_delay_alu instid0(VALU_DEP_2) | instskip(NEXT) | instid1(VALU_DEP_2)
	v_fma_f64 v[2:3], v[12:13], v[16:17], -v[2:3]
	v_fmac_f64_e32 v[18:19], v[14:15], v[16:17]
	s_delay_alu instid0(VALU_DEP_2) | instskip(NEXT) | instid1(VALU_DEP_2)
	v_add_f64_e32 v[12:13], 0, v[2:3]
	v_add_f64_e32 v[14:15], 0, v[18:19]
	s_and_saveexec_b32 s40, s11
	s_cbranch_execnz .LBB89_558
; %bb.148:                              ;   in Loop: Header=BB89_3 Depth=1
	s_or_b32 exec_lo, exec_lo, s40
	s_and_saveexec_b32 s40, s12
	s_cbranch_execnz .LBB89_559
.LBB89_149:                             ;   in Loop: Header=BB89_3 Depth=1
	s_or_b32 exec_lo, exec_lo, s40
	s_and_saveexec_b32 s40, s2
	s_cbranch_execz .LBB89_151
.LBB89_150:                             ;   in Loop: Header=BB89_3 Depth=1
	ds_load_b128 v[16:19], v1 offset:12144
	ds_load_b128 v[200:203], v98 offset:12032
	s_wait_dscnt 0x0
	v_mul_f64_e32 v[2:3], v[18:19], v[202:203]
	s_delay_alu instid0(VALU_DEP_1) | instskip(SKIP_1) | instid1(VALU_DEP_2)
	v_fma_f64 v[2:3], v[16:17], v[200:201], -v[2:3]
	v_mul_f64_e32 v[16:17], v[16:17], v[202:203]
	v_add_f64_e32 v[12:13], v[12:13], v[2:3]
	s_delay_alu instid0(VALU_DEP_2) | instskip(NEXT) | instid1(VALU_DEP_1)
	v_fmac_f64_e32 v[16:17], v[18:19], v[200:201]
	v_add_f64_e32 v[14:15], v[14:15], v[16:17]
.LBB89_151:                             ;   in Loop: Header=BB89_3 Depth=1
	s_or_b32 exec_lo, exec_lo, s40
.LBB89_152:                             ;   in Loop: Header=BB89_3 Depth=1
	s_delay_alu instid0(SALU_CYCLE_1)
	s_or_b32 exec_lo, exec_lo, s35
	s_and_saveexec_b32 s35, s67
	s_cbranch_execz .LBB89_154
; %bb.153:                              ;   in Loop: Header=BB89_3 Depth=1
	ds_load_b128 v[16:19], v1 offset:10032
	s_wait_dscnt 0x0
	v_mul_f64_e32 v[2:3], v[14:15], v[18:19]
	v_mul_f64_e32 v[18:19], v[12:13], v[18:19]
	s_delay_alu instid0(VALU_DEP_1) | instskip(NEXT) | instid1(VALU_DEP_1)
	v_fmac_f64_e32 v[18:19], v[14:15], v[16:17]
	v_dual_fma_f64 v[2:3], v[12:13], v[16:17], -v[2:3] :: v_dual_mov_b32 v14, v18
	s_delay_alu instid0(VALU_DEP_1) | instskip(NEXT) | instid1(VALU_DEP_3)
	v_xor_b32_e32 v13, 0x80000000, v3
	v_xor_b32_e32 v15, 0x80000000, v19
	s_delay_alu instid0(VALU_DEP_3)
	v_mov_b32_e32 v12, v2
	ds_store_b128 v49, v[12:15]
	v_mov_b64_e32 v[12:13], v[2:3]
	v_mov_b64_e32 v[14:15], v[18:19]
.LBB89_154:                             ;   in Loop: Header=BB89_3 Depth=1
	s_or_b32 exec_lo, exec_lo, s35
	s_wait_loadcnt_dscnt 0x0
	s_barrier_signal -1
	s_barrier_wait -1
	s_and_saveexec_b32 s35, s68
	s_cbranch_execz .LBB89_156
; %bb.155:                              ;   in Loop: Header=BB89_3 Depth=1
	ds_load_b128 v[16:19], v49
	ds_load_b128 v[200:203], v50 offset:9984
	s_wait_dscnt 0x0
	v_mul_f64_e32 v[2:3], v[18:19], v[202:203]
	s_delay_alu instid0(VALU_DEP_1) | instskip(SKIP_1) | instid1(VALU_DEP_2)
	v_fma_f64 v[2:3], v[16:17], v[200:201], -v[2:3]
	v_mul_f64_e32 v[16:17], v[16:17], v[202:203]
	v_add_f64_e64 v[12:13], v[12:13], -v[2:3]
	s_delay_alu instid0(VALU_DEP_2) | instskip(NEXT) | instid1(VALU_DEP_1)
	v_fmac_f64_e32 v[16:17], v[18:19], v[200:201]
	v_add_f64_e64 v[14:15], v[14:15], -v[16:17]
.LBB89_156:                             ;   in Loop: Header=BB89_3 Depth=1
	s_or_b32 exec_lo, exec_lo, s35
	s_barrier_signal -1
	s_barrier_wait -1
	s_and_saveexec_b32 s35, s69
	s_cbranch_execz .LBB89_158
; %bb.157:                              ;   in Loop: Header=BB89_3 Depth=1
	ds_load_b128 v[16:19], v1 offset:9504
	s_wait_dscnt 0x0
	v_mul_f64_e32 v[2:3], v[14:15], v[18:19]
	v_mul_f64_e32 v[18:19], v[12:13], v[18:19]
	s_delay_alu instid0(VALU_DEP_1) | instskip(NEXT) | instid1(VALU_DEP_1)
	v_fmac_f64_e32 v[18:19], v[14:15], v[16:17]
	v_dual_fma_f64 v[2:3], v[12:13], v[16:17], -v[2:3] :: v_dual_mov_b32 v14, v18
	s_delay_alu instid0(VALU_DEP_1) | instskip(NEXT) | instid1(VALU_DEP_3)
	v_xor_b32_e32 v13, 0x80000000, v3
	v_xor_b32_e32 v15, 0x80000000, v19
	s_delay_alu instid0(VALU_DEP_3)
	v_mov_b32_e32 v12, v2
	ds_store_b128 v49, v[12:15]
	v_mov_b64_e32 v[12:13], v[2:3]
	v_mov_b64_e32 v[14:15], v[18:19]
.LBB89_158:                             ;   in Loop: Header=BB89_3 Depth=1
	s_or_b32 exec_lo, exec_lo, s35
	s_wait_dscnt 0x0
	s_barrier_signal -1
	s_barrier_wait -1
	s_and_saveexec_b32 s35, s70
	s_cbranch_execz .LBB89_160
; %bb.159:                              ;   in Loop: Header=BB89_3 Depth=1
	ds_load_b128 v[16:19], v49
	ds_load_b128 v[200:203], v50 offset:9472
	s_wait_dscnt 0x0
	v_mul_f64_e32 v[2:3], v[18:19], v[202:203]
	s_delay_alu instid0(VALU_DEP_1) | instskip(SKIP_1) | instid1(VALU_DEP_2)
	v_fma_f64 v[2:3], v[16:17], v[200:201], -v[2:3]
	v_mul_f64_e32 v[16:17], v[16:17], v[202:203]
	v_add_f64_e64 v[12:13], v[12:13], -v[2:3]
	s_delay_alu instid0(VALU_DEP_2) | instskip(NEXT) | instid1(VALU_DEP_1)
	v_fmac_f64_e32 v[16:17], v[18:19], v[200:201]
	v_add_f64_e64 v[14:15], v[14:15], -v[16:17]
.LBB89_160:                             ;   in Loop: Header=BB89_3 Depth=1
	s_or_b32 exec_lo, exec_lo, s35
	s_barrier_signal -1
	s_barrier_wait -1
	s_and_saveexec_b32 s35, s71
	s_cbranch_execz .LBB89_162
; %bb.161:                              ;   in Loop: Header=BB89_3 Depth=1
	ds_load_b128 v[16:19], v1 offset:8976
	s_wait_dscnt 0x0
	v_mul_f64_e32 v[2:3], v[14:15], v[18:19]
	v_mul_f64_e32 v[18:19], v[12:13], v[18:19]
	s_delay_alu instid0(VALU_DEP_1) | instskip(NEXT) | instid1(VALU_DEP_1)
	v_fmac_f64_e32 v[18:19], v[14:15], v[16:17]
	v_dual_fma_f64 v[2:3], v[12:13], v[16:17], -v[2:3] :: v_dual_mov_b32 v14, v18
	s_delay_alu instid0(VALU_DEP_1) | instskip(NEXT) | instid1(VALU_DEP_3)
	v_xor_b32_e32 v13, 0x80000000, v3
	v_xor_b32_e32 v15, 0x80000000, v19
	s_delay_alu instid0(VALU_DEP_3)
	v_mov_b32_e32 v12, v2
	ds_store_b128 v49, v[12:15]
	v_mov_b64_e32 v[12:13], v[2:3]
	v_mov_b64_e32 v[14:15], v[18:19]
.LBB89_162:                             ;   in Loop: Header=BB89_3 Depth=1
	s_or_b32 exec_lo, exec_lo, s35
	s_wait_dscnt 0x0
	;; [unrolled: 41-line block ×3, first 2 shown]
	s_barrier_signal -1
	s_barrier_wait -1
	s_barrier_signal -1
	s_barrier_wait -1
	s_and_saveexec_b32 s35, s4
; %bb.167:                              ;   in Loop: Header=BB89_3 Depth=1
	ds_store_b128 v52, v[12:15] offset:12032
; %bb.168:                              ;   in Loop: Header=BB89_3 Depth=1
	s_or_b32 exec_lo, exec_lo, s35
	s_wait_dscnt 0x0
	s_barrier_signal -1
	s_barrier_wait -1
	s_barrier_signal -1
	s_barrier_wait -1
	s_and_saveexec_b32 s35, s73
	s_cbranch_execz .LBB89_170
; %bb.169:                              ;   in Loop: Header=BB89_3 Depth=1
	ds_load_b128 v[12:15], v110
	s_wait_dscnt 0x0
	ds_store_b128 v151, v[12:15]
	ds_load_b128 v[12:15], v113
	s_wait_dscnt 0x0
	ds_store_b128 v154, v[12:15]
	;; [unrolled: 3-line block ×4, first 2 shown]
.LBB89_170:                             ;   in Loop: Header=BB89_3 Depth=1
	s_or_b32 exec_lo, exec_lo, s35
	s_wait_dscnt 0x0
	s_barrier_signal -1
	s_barrier_wait -1
	s_and_saveexec_b32 s35, s29
	s_cbranch_execz .LBB89_172
; %bb.171:                              ;   in Loop: Header=BB89_3 Depth=1
	ds_load_b128 v[12:15], v1 offset:10032
	ds_load_b128 v[16:19], v1 offset:9504
	s_wait_dscnt 0x0
	v_mul_f64_e32 v[2:3], v[14:15], v[18:19]
	v_mul_f64_e32 v[200:201], v[12:13], v[18:19]
	s_delay_alu instid0(VALU_DEP_2) | instskip(NEXT) | instid1(VALU_DEP_2)
	v_fma_f64 v[2:3], v[12:13], v[16:17], -v[2:3]
	v_fmac_f64_e32 v[200:201], v[14:15], v[16:17]
	ds_load_b128 v[12:15], v1 offset:10016
	s_wait_dscnt 0x0
	v_mul_f64_e32 v[18:19], v[2:3], v[14:15]
	v_mul_f64_e32 v[16:17], v[200:201], v[14:15]
	s_delay_alu instid0(VALU_DEP_2) | instskip(NEXT) | instid1(VALU_DEP_2)
	v_fmac_f64_e32 v[18:19], v[12:13], v[200:201]
	v_fma_f64 v[16:17], v[12:13], v[2:3], -v[16:17]
	ds_store_b128 v1, v[16:19] offset:10016
	ds_store_b128 v1, v[16:19] offset:9520
.LBB89_172:                             ;   in Loop: Header=BB89_3 Depth=1
	s_or_b32 exec_lo, exec_lo, s35
	v_mov_b64_e32 v[12:13], 0
	v_mov_b64_e32 v[14:15], 0
	s_wait_dscnt 0x0
	s_barrier_signal -1
	s_barrier_wait -1
	global_wb scope:SCOPE_DEV
	s_wait_storecnt 0x0
	global_inv scope:SCOPE_DEV
	s_and_saveexec_b32 s35, s2
	s_cbranch_execz .LBB89_176
; %bb.173:                              ;   in Loop: Header=BB89_3 Depth=1
	ds_load_b128 v[12:15], v43 offset:10016
	ds_load_b128 v[16:19], v42 offset:9472
	s_wait_dscnt 0x0
	v_mul_f64_e32 v[2:3], v[14:15], v[18:19]
	v_mul_f64_e32 v[18:19], v[12:13], v[18:19]
	s_delay_alu instid0(VALU_DEP_2) | instskip(NEXT) | instid1(VALU_DEP_2)
	v_fma_f64 v[2:3], v[12:13], v[16:17], -v[2:3]
	v_fmac_f64_e32 v[18:19], v[14:15], v[16:17]
	s_delay_alu instid0(VALU_DEP_2) | instskip(NEXT) | instid1(VALU_DEP_2)
	v_add_f64_e32 v[12:13], 0, v[2:3]
	v_add_f64_e32 v[14:15], 0, v[18:19]
	s_and_saveexec_b32 s40, s10
	s_cbranch_execz .LBB89_175
; %bb.174:                              ;   in Loop: Header=BB89_3 Depth=1
	ds_load_b128 v[16:19], v1 offset:10032
	ds_load_b128 v[200:203], v109 offset:9984
	s_wait_dscnt 0x0
	v_mul_f64_e32 v[2:3], v[18:19], v[202:203]
	s_delay_alu instid0(VALU_DEP_1) | instskip(SKIP_1) | instid1(VALU_DEP_2)
	v_fma_f64 v[2:3], v[16:17], v[200:201], -v[2:3]
	v_mul_f64_e32 v[16:17], v[16:17], v[202:203]
	v_add_f64_e32 v[12:13], v[12:13], v[2:3]
	s_delay_alu instid0(VALU_DEP_2) | instskip(NEXT) | instid1(VALU_DEP_1)
	v_fmac_f64_e32 v[16:17], v[18:19], v[200:201]
	v_add_f64_e32 v[14:15], v[14:15], v[16:17]
.LBB89_175:                             ;   in Loop: Header=BB89_3 Depth=1
	s_or_b32 exec_lo, exec_lo, s40
.LBB89_176:                             ;   in Loop: Header=BB89_3 Depth=1
	s_delay_alu instid0(SALU_CYCLE_1)
	s_or_b32 exec_lo, exec_lo, s35
	s_and_saveexec_b32 s35, s64
	s_cbranch_execz .LBB89_178
; %bb.177:                              ;   in Loop: Header=BB89_3 Depth=1
	ds_load_b128 v[16:19], v1 offset:8976
	s_wait_dscnt 0x0
	v_mul_f64_e32 v[2:3], v[14:15], v[18:19]
	v_mul_f64_e32 v[18:19], v[12:13], v[18:19]
	s_delay_alu instid0(VALU_DEP_1) | instskip(NEXT) | instid1(VALU_DEP_1)
	v_fmac_f64_e32 v[18:19], v[14:15], v[16:17]
	v_dual_fma_f64 v[2:3], v[12:13], v[16:17], -v[2:3] :: v_dual_mov_b32 v14, v18
	s_delay_alu instid0(VALU_DEP_1) | instskip(NEXT) | instid1(VALU_DEP_3)
	v_xor_b32_e32 v13, 0x80000000, v3
	v_xor_b32_e32 v15, 0x80000000, v19
	s_delay_alu instid0(VALU_DEP_3)
	v_mov_b32_e32 v12, v2
	ds_store_b128 v21, v[12:15]
	v_mov_b64_e32 v[12:13], v[2:3]
	v_mov_b64_e32 v[14:15], v[18:19]
.LBB89_178:                             ;   in Loop: Header=BB89_3 Depth=1
	s_or_b32 exec_lo, exec_lo, s35
	s_wait_loadcnt_dscnt 0x0
	s_barrier_signal -1
	s_barrier_wait -1
	s_and_saveexec_b32 s35, s65
	s_cbranch_execz .LBB89_180
; %bb.179:                              ;   in Loop: Header=BB89_3 Depth=1
	ds_load_b128 v[16:19], v21
	ds_load_b128 v[200:203], v1 offset:8960
	s_wait_dscnt 0x0
	v_mul_f64_e32 v[2:3], v[18:19], v[202:203]
	s_delay_alu instid0(VALU_DEP_1) | instskip(SKIP_1) | instid1(VALU_DEP_2)
	v_fma_f64 v[2:3], v[16:17], v[200:201], -v[2:3]
	v_mul_f64_e32 v[16:17], v[16:17], v[202:203]
	v_add_f64_e64 v[12:13], v[12:13], -v[2:3]
	s_delay_alu instid0(VALU_DEP_2) | instskip(NEXT) | instid1(VALU_DEP_1)
	v_fmac_f64_e32 v[16:17], v[18:19], v[200:201]
	v_add_f64_e64 v[14:15], v[14:15], -v[16:17]
.LBB89_180:                             ;   in Loop: Header=BB89_3 Depth=1
	s_or_b32 exec_lo, exec_lo, s35
	s_barrier_signal -1
	s_barrier_wait -1
	s_and_saveexec_b32 s35, s65
	s_cbranch_execz .LBB89_182
; %bb.181:                              ;   in Loop: Header=BB89_3 Depth=1
	ds_load_b128 v[16:19], v1 offset:8448
	s_wait_dscnt 0x0
	v_mul_f64_e32 v[2:3], v[14:15], v[18:19]
	v_mul_f64_e32 v[18:19], v[12:13], v[18:19]
	s_delay_alu instid0(VALU_DEP_1) | instskip(NEXT) | instid1(VALU_DEP_1)
	v_fmac_f64_e32 v[18:19], v[14:15], v[16:17]
	v_dual_fma_f64 v[2:3], v[12:13], v[16:17], -v[2:3] :: v_dual_mov_b32 v14, v18
	s_delay_alu instid0(VALU_DEP_1) | instskip(NEXT) | instid1(VALU_DEP_3)
	v_xor_b32_e32 v13, 0x80000000, v3
	v_xor_b32_e32 v15, 0x80000000, v19
	s_delay_alu instid0(VALU_DEP_3)
	v_mov_b32_e32 v12, v2
	ds_store_b128 v21, v[12:15]
	v_mov_b64_e32 v[12:13], v[2:3]
	v_mov_b64_e32 v[14:15], v[18:19]
.LBB89_182:                             ;   in Loop: Header=BB89_3 Depth=1
	s_or_b32 exec_lo, exec_lo, s35
	s_wait_dscnt 0x0
	s_barrier_signal -1
	s_barrier_wait -1
	s_barrier_signal -1
	s_barrier_wait -1
	s_and_saveexec_b32 s35, s2
; %bb.183:                              ;   in Loop: Header=BB89_3 Depth=1
	ds_store_b128 v45, v[12:15] offset:9984
; %bb.184:                              ;   in Loop: Header=BB89_3 Depth=1
	s_or_b32 exec_lo, exec_lo, s35
	s_wait_dscnt 0x0
	s_barrier_signal -1
	s_barrier_wait -1
	s_barrier_signal -1
	s_barrier_wait -1
	s_and_saveexec_b32 s35, s66
	s_cbranch_execz .LBB89_186
; %bb.185:                              ;   in Loop: Header=BB89_3 Depth=1
	ds_load_b128 v[12:15], v120
	s_wait_dscnt 0x0
	ds_store_b128 v126, v[12:15]
	ds_load_b128 v[12:15], v121
	s_wait_dscnt 0x0
	ds_store_b128 v128, v[12:15]
.LBB89_186:                             ;   in Loop: Header=BB89_3 Depth=1
	s_or_b32 exec_lo, exec_lo, s35
	s_wait_dscnt 0x0
	s_barrier_signal -1
	s_barrier_wait -1
	s_and_saveexec_b32 s35, s29
	s_cbranch_execz .LBB89_188
; %bb.187:                              ;   in Loop: Header=BB89_3 Depth=1
	ds_load_b128 v[12:15], v1 offset:8976
	ds_load_b128 v[16:19], v1 offset:8448
	s_wait_dscnt 0x0
	v_mul_f64_e32 v[2:3], v[14:15], v[18:19]
	v_mul_f64_e32 v[200:201], v[12:13], v[18:19]
	s_delay_alu instid0(VALU_DEP_2) | instskip(NEXT) | instid1(VALU_DEP_2)
	v_fma_f64 v[2:3], v[12:13], v[16:17], -v[2:3]
	v_fmac_f64_e32 v[200:201], v[14:15], v[16:17]
	ds_load_b128 v[12:15], v1 offset:8960
	s_wait_dscnt 0x0
	v_mul_f64_e32 v[18:19], v[2:3], v[14:15]
	v_mul_f64_e32 v[16:17], v[200:201], v[14:15]
	s_delay_alu instid0(VALU_DEP_2) | instskip(NEXT) | instid1(VALU_DEP_2)
	v_fmac_f64_e32 v[18:19], v[12:13], v[200:201]
	v_fma_f64 v[16:17], v[12:13], v[2:3], -v[16:17]
	ds_store_b128 v1, v[16:19] offset:8960
	ds_store_b128 v1, v[16:19] offset:8464
.LBB89_188:                             ;   in Loop: Header=BB89_3 Depth=1
	s_or_b32 exec_lo, exec_lo, s35
	v_mov_b64_e32 v[14:15], 0
	v_mov_b64_e32 v[12:13], 0
	s_wait_dscnt 0x0
	s_barrier_signal -1
	s_barrier_wait -1
	global_wb scope:SCOPE_DEV
	s_wait_storecnt 0x0
	global_inv scope:SCOPE_DEV
	s_and_saveexec_b32 s35, s6
	s_cbranch_execz .LBB89_216
; %bb.189:                              ;   in Loop: Header=BB89_3 Depth=1
	ds_load_b128 v[12:15], v67 offset:16128
	ds_load_b128 v[16:19], v66 offset:8192
	s_wait_dscnt 0x0
	v_mul_f64_e32 v[2:3], v[14:15], v[18:19]
	v_mul_f64_e32 v[18:19], v[12:13], v[18:19]
	s_delay_alu instid0(VALU_DEP_2) | instskip(NEXT) | instid1(VALU_DEP_2)
	v_fma_f64 v[2:3], v[12:13], v[16:17], -v[2:3]
	v_fmac_f64_e32 v[18:19], v[14:15], v[16:17]
	s_delay_alu instid0(VALU_DEP_2) | instskip(NEXT) | instid1(VALU_DEP_2)
	v_add_f64_e32 v[12:13], 0, v[2:3]
	v_add_f64_e32 v[14:15], 0, v[18:19]
	s_mov_b32 s40, exec_lo
	v_readlane_b32 s41, v208, 15
	s_and_b32 s41, s40, s41
	s_delay_alu instid0(SALU_CYCLE_1)
	s_mov_b32 exec_lo, s41
	s_cbranch_execz .LBB89_191
; %bb.190:                              ;   in Loop: Header=BB89_3 Depth=1
	ds_load_b128 v[16:19], v67 offset:16144
	ds_load_b128 v[200:203], v66 offset:8704
	s_wait_dscnt 0x0
	v_mul_f64_e32 v[2:3], v[18:19], v[202:203]
	s_delay_alu instid0(VALU_DEP_1) | instskip(SKIP_1) | instid1(VALU_DEP_2)
	v_fma_f64 v[2:3], v[16:17], v[200:201], -v[2:3]
	v_mul_f64_e32 v[16:17], v[16:17], v[202:203]
	v_add_f64_e32 v[12:13], v[12:13], v[2:3]
	s_delay_alu instid0(VALU_DEP_2) | instskip(NEXT) | instid1(VALU_DEP_1)
	v_fmac_f64_e32 v[16:17], v[18:19], v[200:201]
	v_add_f64_e32 v[14:15], v[14:15], v[16:17]
.LBB89_191:                             ;   in Loop: Header=BB89_3 Depth=1
	s_or_b32 exec_lo, exec_lo, s40
	s_delay_alu instid0(SALU_CYCLE_1) | instskip(SKIP_2) | instid1(SALU_CYCLE_1)
	s_mov_b32 s40, exec_lo
	v_readlane_b32 s41, v208, 16
	s_and_b32 s41, s40, s41
	s_mov_b32 exec_lo, s41
	s_cbranch_execz .LBB89_193
; %bb.192:                              ;   in Loop: Header=BB89_3 Depth=1
	ds_load_b128 v[16:19], v67 offset:16160
	ds_load_b128 v[200:203], v66 offset:9216
	s_wait_dscnt 0x0
	v_mul_f64_e32 v[2:3], v[18:19], v[202:203]
	s_delay_alu instid0(VALU_DEP_1) | instskip(SKIP_1) | instid1(VALU_DEP_2)
	v_fma_f64 v[2:3], v[16:17], v[200:201], -v[2:3]
	v_mul_f64_e32 v[16:17], v[16:17], v[202:203]
	v_add_f64_e32 v[12:13], v[12:13], v[2:3]
	s_delay_alu instid0(VALU_DEP_2) | instskip(NEXT) | instid1(VALU_DEP_1)
	v_fmac_f64_e32 v[16:17], v[18:19], v[200:201]
	v_add_f64_e32 v[14:15], v[14:15], v[16:17]
.LBB89_193:                             ;   in Loop: Header=BB89_3 Depth=1
	s_or_b32 exec_lo, exec_lo, s40
	s_delay_alu instid0(SALU_CYCLE_1) | instskip(SKIP_2) | instid1(SALU_CYCLE_1)
	s_mov_b32 s40, exec_lo
	v_readlane_b32 s41, v208, 17
	s_and_b32 s41, s40, s41
	;; [unrolled: 20-line block ×10, first 2 shown]
	s_mov_b32 exec_lo, s41
	s_cbranch_execnz .LBB89_560
; %bb.210:                              ;   in Loop: Header=BB89_3 Depth=1
	s_or_b32 exec_lo, exec_lo, s40
	s_and_saveexec_b32 s40, s5
	s_cbranch_execnz .LBB89_561
.LBB89_211:                             ;   in Loop: Header=BB89_3 Depth=1
	s_or_b32 exec_lo, exec_lo, s40
	s_and_saveexec_b32 s40, s14
	s_cbranch_execnz .LBB89_562
.LBB89_212:                             ;   in Loop: Header=BB89_3 Depth=1
	s_or_b32 exec_lo, exec_lo, s40
	s_and_saveexec_b32 s40, s16
	s_cbranch_execnz .LBB89_563
.LBB89_213:                             ;   in Loop: Header=BB89_3 Depth=1
	s_or_b32 exec_lo, exec_lo, s40
	s_and_saveexec_b32 s40, s4
	s_cbranch_execz .LBB89_215
.LBB89_214:                             ;   in Loop: Header=BB89_3 Depth=1
	ds_load_b128 v[16:19], v1 offset:16368
	ds_load_b128 v[200:203], v44 offset:15872
	s_wait_dscnt 0x0
	v_mul_f64_e32 v[2:3], v[18:19], v[202:203]
	s_delay_alu instid0(VALU_DEP_1) | instskip(SKIP_1) | instid1(VALU_DEP_2)
	v_fma_f64 v[2:3], v[16:17], v[200:201], -v[2:3]
	v_mul_f64_e32 v[16:17], v[16:17], v[202:203]
	v_add_f64_e32 v[12:13], v[12:13], v[2:3]
	s_delay_alu instid0(VALU_DEP_2) | instskip(NEXT) | instid1(VALU_DEP_1)
	v_fmac_f64_e32 v[16:17], v[18:19], v[200:201]
	v_add_f64_e32 v[14:15], v[14:15], v[16:17]
.LBB89_215:                             ;   in Loop: Header=BB89_3 Depth=1
	s_or_b32 exec_lo, exec_lo, s40
.LBB89_216:                             ;   in Loop: Header=BB89_3 Depth=1
	s_delay_alu instid0(SALU_CYCLE_1) | instskip(NEXT) | instid1(SALU_CYCLE_1)
	s_or_b32 exec_lo, exec_lo, s35
	s_mov_b32 s35, exec_lo
	v_readlane_b32 s40, v208, 0
	s_and_b32 s40, s35, s40
	s_delay_alu instid0(SALU_CYCLE_1)
	s_mov_b32 exec_lo, s40
	s_cbranch_execz .LBB89_218
; %bb.217:                              ;   in Loop: Header=BB89_3 Depth=1
	ds_load_b128 v[16:19], v1 offset:7920
	s_wait_dscnt 0x0
	v_mul_f64_e32 v[2:3], v[14:15], v[18:19]
	v_mul_f64_e32 v[18:19], v[12:13], v[18:19]
	s_delay_alu instid0(VALU_DEP_1) | instskip(NEXT) | instid1(VALU_DEP_1)
	v_fmac_f64_e32 v[18:19], v[14:15], v[16:17]
	v_dual_fma_f64 v[2:3], v[12:13], v[16:17], -v[2:3] :: v_dual_mov_b32 v14, v18
	s_delay_alu instid0(VALU_DEP_1) | instskip(NEXT) | instid1(VALU_DEP_3)
	v_xor_b32_e32 v13, 0x80000000, v3
	v_xor_b32_e32 v15, 0x80000000, v19
	s_delay_alu instid0(VALU_DEP_3)
	v_mov_b32_e32 v12, v2
	ds_store_b128 v65, v[12:15]
	v_mov_b64_e32 v[12:13], v[2:3]
	v_mov_b64_e32 v[14:15], v[18:19]
.LBB89_218:                             ;   in Loop: Header=BB89_3 Depth=1
	s_or_b32 exec_lo, exec_lo, s35
	s_wait_loadcnt_dscnt 0x0
	s_barrier_signal -1
	s_barrier_wait -1
	s_mov_b32 s35, exec_lo
	v_readlane_b32 s40, v208, 1
	s_and_b32 s40, s35, s40
	s_delay_alu instid0(SALU_CYCLE_1)
	s_mov_b32 exec_lo, s40
	s_cbranch_execz .LBB89_220
; %bb.219:                              ;   in Loop: Header=BB89_3 Depth=1
	ds_load_b128 v[16:19], v65
	ds_load_b128 v[200:203], v66 offset:7680
	s_wait_dscnt 0x0
	v_mul_f64_e32 v[2:3], v[18:19], v[202:203]
	s_delay_alu instid0(VALU_DEP_1) | instskip(SKIP_1) | instid1(VALU_DEP_2)
	v_fma_f64 v[2:3], v[16:17], v[200:201], -v[2:3]
	v_mul_f64_e32 v[16:17], v[16:17], v[202:203]
	v_add_f64_e64 v[12:13], v[12:13], -v[2:3]
	s_delay_alu instid0(VALU_DEP_2) | instskip(NEXT) | instid1(VALU_DEP_1)
	v_fmac_f64_e32 v[16:17], v[18:19], v[200:201]
	v_add_f64_e64 v[14:15], v[14:15], -v[16:17]
.LBB89_220:                             ;   in Loop: Header=BB89_3 Depth=1
	s_or_b32 exec_lo, exec_lo, s35
	s_barrier_signal -1
	s_barrier_wait -1
	s_mov_b32 s35, exec_lo
	v_readlane_b32 s40, v208, 2
	s_and_b32 s40, s35, s40
	s_delay_alu instid0(SALU_CYCLE_1)
	s_mov_b32 exec_lo, s40
	s_cbranch_execz .LBB89_222
; %bb.221:                              ;   in Loop: Header=BB89_3 Depth=1
	ds_load_b128 v[16:19], v1 offset:7392
	s_wait_dscnt 0x0
	v_mul_f64_e32 v[2:3], v[14:15], v[18:19]
	v_mul_f64_e32 v[18:19], v[12:13], v[18:19]
	s_delay_alu instid0(VALU_DEP_1) | instskip(NEXT) | instid1(VALU_DEP_1)
	v_fmac_f64_e32 v[18:19], v[14:15], v[16:17]
	v_dual_fma_f64 v[2:3], v[12:13], v[16:17], -v[2:3] :: v_dual_mov_b32 v14, v18
	s_delay_alu instid0(VALU_DEP_1) | instskip(NEXT) | instid1(VALU_DEP_3)
	v_xor_b32_e32 v13, 0x80000000, v3
	v_xor_b32_e32 v15, 0x80000000, v19
	s_delay_alu instid0(VALU_DEP_3)
	v_mov_b32_e32 v12, v2
	ds_store_b128 v65, v[12:15]
	v_mov_b64_e32 v[12:13], v[2:3]
	v_mov_b64_e32 v[14:15], v[18:19]
.LBB89_222:                             ;   in Loop: Header=BB89_3 Depth=1
	s_or_b32 exec_lo, exec_lo, s35
	s_wait_dscnt 0x0
	s_barrier_signal -1
	s_barrier_wait -1
	s_mov_b32 s35, exec_lo
	v_readlane_b32 s40, v208, 3
	s_and_b32 s40, s35, s40
	s_delay_alu instid0(SALU_CYCLE_1)
	s_mov_b32 exec_lo, s40
	s_cbranch_execz .LBB89_224
; %bb.223:                              ;   in Loop: Header=BB89_3 Depth=1
	ds_load_b128 v[16:19], v65
	ds_load_b128 v[200:203], v66 offset:7168
	s_wait_dscnt 0x0
	v_mul_f64_e32 v[2:3], v[18:19], v[202:203]
	s_delay_alu instid0(VALU_DEP_1) | instskip(SKIP_1) | instid1(VALU_DEP_2)
	v_fma_f64 v[2:3], v[16:17], v[200:201], -v[2:3]
	v_mul_f64_e32 v[16:17], v[16:17], v[202:203]
	v_add_f64_e64 v[12:13], v[12:13], -v[2:3]
	s_delay_alu instid0(VALU_DEP_2) | instskip(NEXT) | instid1(VALU_DEP_1)
	v_fmac_f64_e32 v[16:17], v[18:19], v[200:201]
	v_add_f64_e64 v[14:15], v[14:15], -v[16:17]
.LBB89_224:                             ;   in Loop: Header=BB89_3 Depth=1
	s_or_b32 exec_lo, exec_lo, s35
	s_barrier_signal -1
	s_barrier_wait -1
	s_mov_b32 s35, exec_lo
	v_readlane_b32 s40, v208, 4
	s_and_b32 s40, s35, s40
	s_delay_alu instid0(SALU_CYCLE_1)
	s_mov_b32 exec_lo, s40
	s_cbranch_execz .LBB89_226
; %bb.225:                              ;   in Loop: Header=BB89_3 Depth=1
	ds_load_b128 v[16:19], v1 offset:6864
	s_wait_dscnt 0x0
	v_mul_f64_e32 v[2:3], v[14:15], v[18:19]
	v_mul_f64_e32 v[18:19], v[12:13], v[18:19]
	s_delay_alu instid0(VALU_DEP_1) | instskip(NEXT) | instid1(VALU_DEP_1)
	v_fmac_f64_e32 v[18:19], v[14:15], v[16:17]
	v_dual_fma_f64 v[2:3], v[12:13], v[16:17], -v[2:3] :: v_dual_mov_b32 v14, v18
	s_delay_alu instid0(VALU_DEP_1) | instskip(NEXT) | instid1(VALU_DEP_3)
	v_xor_b32_e32 v13, 0x80000000, v3
	v_xor_b32_e32 v15, 0x80000000, v19
	s_delay_alu instid0(VALU_DEP_3)
	v_mov_b32_e32 v12, v2
	ds_store_b128 v65, v[12:15]
	v_mov_b64_e32 v[12:13], v[2:3]
	v_mov_b64_e32 v[14:15], v[18:19]
.LBB89_226:                             ;   in Loop: Header=BB89_3 Depth=1
	s_or_b32 exec_lo, exec_lo, s35
	s_wait_dscnt 0x0
	;; [unrolled: 49-line block ×4, first 2 shown]
	s_barrier_signal -1
	s_barrier_wait -1
	s_mov_b32 s35, exec_lo
	v_readlane_b32 s40, v208, 9
	s_and_b32 s40, s35, s40
	s_delay_alu instid0(SALU_CYCLE_1)
	s_mov_b32 exec_lo, s40
	s_cbranch_execz .LBB89_236
; %bb.235:                              ;   in Loop: Header=BB89_3 Depth=1
	ds_load_b128 v[16:19], v65
	ds_load_b128 v[200:203], v66 offset:5632
	s_wait_dscnt 0x0
	v_mul_f64_e32 v[2:3], v[18:19], v[202:203]
	s_delay_alu instid0(VALU_DEP_1) | instskip(SKIP_1) | instid1(VALU_DEP_2)
	v_fma_f64 v[2:3], v[16:17], v[200:201], -v[2:3]
	v_mul_f64_e32 v[16:17], v[16:17], v[202:203]
	v_add_f64_e64 v[12:13], v[12:13], -v[2:3]
	s_delay_alu instid0(VALU_DEP_2) | instskip(NEXT) | instid1(VALU_DEP_1)
	v_fmac_f64_e32 v[16:17], v[18:19], v[200:201]
	v_add_f64_e64 v[14:15], v[14:15], -v[16:17]
.LBB89_236:                             ;   in Loop: Header=BB89_3 Depth=1
	s_or_b32 exec_lo, exec_lo, s35
	s_barrier_signal -1
	s_barrier_wait -1
	s_and_saveexec_b32 s35, s99
	s_cbranch_execz .LBB89_238
; %bb.237:                              ;   in Loop: Header=BB89_3 Depth=1
	ds_load_b128 v[16:19], v1 offset:5280
	s_wait_dscnt 0x0
	v_mul_f64_e32 v[2:3], v[14:15], v[18:19]
	v_mul_f64_e32 v[18:19], v[12:13], v[18:19]
	s_delay_alu instid0(VALU_DEP_1) | instskip(NEXT) | instid1(VALU_DEP_1)
	v_fmac_f64_e32 v[18:19], v[14:15], v[16:17]
	v_dual_fma_f64 v[2:3], v[12:13], v[16:17], -v[2:3] :: v_dual_mov_b32 v14, v18
	s_delay_alu instid0(VALU_DEP_1) | instskip(NEXT) | instid1(VALU_DEP_3)
	v_xor_b32_e32 v13, 0x80000000, v3
	v_xor_b32_e32 v15, 0x80000000, v19
	s_delay_alu instid0(VALU_DEP_3)
	v_mov_b32_e32 v12, v2
	ds_store_b128 v65, v[12:15]
	v_mov_b64_e32 v[12:13], v[2:3]
	v_mov_b64_e32 v[14:15], v[18:19]
.LBB89_238:                             ;   in Loop: Header=BB89_3 Depth=1
	s_or_b32 exec_lo, exec_lo, s35
	s_wait_dscnt 0x0
	s_barrier_signal -1
	s_barrier_wait -1
	s_and_saveexec_b32 s35, s100
	s_cbranch_execz .LBB89_240
; %bb.239:                              ;   in Loop: Header=BB89_3 Depth=1
	ds_load_b128 v[16:19], v65
	ds_load_b128 v[200:203], v66 offset:5120
	s_wait_dscnt 0x0
	v_mul_f64_e32 v[2:3], v[18:19], v[202:203]
	s_delay_alu instid0(VALU_DEP_1) | instskip(SKIP_1) | instid1(VALU_DEP_2)
	v_fma_f64 v[2:3], v[16:17], v[200:201], -v[2:3]
	v_mul_f64_e32 v[16:17], v[16:17], v[202:203]
	v_add_f64_e64 v[12:13], v[12:13], -v[2:3]
	s_delay_alu instid0(VALU_DEP_2) | instskip(NEXT) | instid1(VALU_DEP_1)
	v_fmac_f64_e32 v[16:17], v[18:19], v[200:201]
	v_add_f64_e64 v[14:15], v[14:15], -v[16:17]
.LBB89_240:                             ;   in Loop: Header=BB89_3 Depth=1
	s_or_b32 exec_lo, exec_lo, s35
	s_barrier_signal -1
	s_barrier_wait -1
	s_and_saveexec_b32 s35, s101
	s_cbranch_execz .LBB89_242
; %bb.241:                              ;   in Loop: Header=BB89_3 Depth=1
	ds_load_b128 v[16:19], v1 offset:4752
	s_wait_dscnt 0x0
	v_mul_f64_e32 v[2:3], v[14:15], v[18:19]
	v_mul_f64_e32 v[18:19], v[12:13], v[18:19]
	s_delay_alu instid0(VALU_DEP_1) | instskip(NEXT) | instid1(VALU_DEP_1)
	v_fmac_f64_e32 v[18:19], v[14:15], v[16:17]
	v_dual_fma_f64 v[2:3], v[12:13], v[16:17], -v[2:3] :: v_dual_mov_b32 v14, v18
	s_delay_alu instid0(VALU_DEP_1) | instskip(NEXT) | instid1(VALU_DEP_3)
	v_xor_b32_e32 v13, 0x80000000, v3
	v_xor_b32_e32 v15, 0x80000000, v19
	s_delay_alu instid0(VALU_DEP_3)
	v_mov_b32_e32 v12, v2
	ds_store_b128 v65, v[12:15]
	v_mov_b64_e32 v[12:13], v[2:3]
	v_mov_b64_e32 v[14:15], v[18:19]
.LBB89_242:                             ;   in Loop: Header=BB89_3 Depth=1
	s_or_b32 exec_lo, exec_lo, s35
	s_wait_dscnt 0x0
	s_barrier_signal -1
	s_barrier_wait -1
	s_and_saveexec_b32 s35, s102
	;; [unrolled: 41-line block ×3, first 2 shown]
	s_cbranch_execz .LBB89_248
; %bb.247:                              ;   in Loop: Header=BB89_3 Depth=1
	ds_load_b128 v[16:19], v65
	ds_load_b128 v[200:203], v66 offset:4096
	s_wait_dscnt 0x0
	v_mul_f64_e32 v[2:3], v[18:19], v[202:203]
	s_delay_alu instid0(VALU_DEP_1) | instskip(SKIP_1) | instid1(VALU_DEP_2)
	v_fma_f64 v[2:3], v[16:17], v[200:201], -v[2:3]
	v_mul_f64_e32 v[16:17], v[16:17], v[202:203]
	v_add_f64_e64 v[12:13], v[12:13], -v[2:3]
	s_delay_alu instid0(VALU_DEP_2) | instskip(NEXT) | instid1(VALU_DEP_1)
	v_fmac_f64_e32 v[16:17], v[18:19], v[200:201]
	v_add_f64_e64 v[14:15], v[14:15], -v[16:17]
.LBB89_248:                             ;   in Loop: Header=BB89_3 Depth=1
	s_or_b32 exec_lo, exec_lo, s35
	s_barrier_signal -1
	s_barrier_wait -1
	s_and_saveexec_b32 s35, vcc_hi
	s_cbranch_execz .LBB89_250
; %bb.249:                              ;   in Loop: Header=BB89_3 Depth=1
	ds_load_b128 v[16:19], v1 offset:3696
	s_wait_dscnt 0x0
	v_mul_f64_e32 v[2:3], v[14:15], v[18:19]
	v_mul_f64_e32 v[18:19], v[12:13], v[18:19]
	s_delay_alu instid0(VALU_DEP_1) | instskip(NEXT) | instid1(VALU_DEP_1)
	v_fmac_f64_e32 v[18:19], v[14:15], v[16:17]
	v_dual_fma_f64 v[2:3], v[12:13], v[16:17], -v[2:3] :: v_dual_mov_b32 v14, v18
	s_delay_alu instid0(VALU_DEP_1) | instskip(NEXT) | instid1(VALU_DEP_3)
	v_xor_b32_e32 v13, 0x80000000, v3
	v_xor_b32_e32 v15, 0x80000000, v19
	s_delay_alu instid0(VALU_DEP_3)
	v_mov_b32_e32 v12, v2
	ds_store_b128 v65, v[12:15]
	v_mov_b64_e32 v[12:13], v[2:3]
	v_mov_b64_e32 v[14:15], v[18:19]
.LBB89_250:                             ;   in Loop: Header=BB89_3 Depth=1
	s_or_b32 exec_lo, exec_lo, s35
	s_wait_dscnt 0x0
	s_barrier_signal -1
	s_barrier_wait -1
	s_and_saveexec_b32 s35, s18
	s_cbranch_execz .LBB89_252
; %bb.251:                              ;   in Loop: Header=BB89_3 Depth=1
	ds_load_b128 v[16:19], v65
	ds_load_b128 v[200:203], v66 offset:3584
	s_wait_dscnt 0x0
	v_mul_f64_e32 v[2:3], v[18:19], v[202:203]
	s_delay_alu instid0(VALU_DEP_1) | instskip(SKIP_1) | instid1(VALU_DEP_2)
	v_fma_f64 v[2:3], v[16:17], v[200:201], -v[2:3]
	v_mul_f64_e32 v[16:17], v[16:17], v[202:203]
	v_add_f64_e64 v[12:13], v[12:13], -v[2:3]
	s_delay_alu instid0(VALU_DEP_2) | instskip(NEXT) | instid1(VALU_DEP_1)
	v_fmac_f64_e32 v[16:17], v[18:19], v[200:201]
	v_add_f64_e64 v[14:15], v[14:15], -v[16:17]
.LBB89_252:                             ;   in Loop: Header=BB89_3 Depth=1
	s_or_b32 exec_lo, exec_lo, s35
	s_barrier_signal -1
	s_barrier_wait -1
	s_and_saveexec_b32 s35, s19
	s_cbranch_execz .LBB89_254
; %bb.253:                              ;   in Loop: Header=BB89_3 Depth=1
	ds_load_b128 v[16:19], v1 offset:3168
	s_wait_dscnt 0x0
	v_mul_f64_e32 v[2:3], v[14:15], v[18:19]
	v_mul_f64_e32 v[18:19], v[12:13], v[18:19]
	s_delay_alu instid0(VALU_DEP_1) | instskip(NEXT) | instid1(VALU_DEP_1)
	v_fmac_f64_e32 v[18:19], v[14:15], v[16:17]
	v_dual_fma_f64 v[2:3], v[12:13], v[16:17], -v[2:3] :: v_dual_mov_b32 v14, v18
	s_delay_alu instid0(VALU_DEP_1) | instskip(NEXT) | instid1(VALU_DEP_3)
	v_xor_b32_e32 v13, 0x80000000, v3
	v_xor_b32_e32 v15, 0x80000000, v19
	s_delay_alu instid0(VALU_DEP_3)
	v_mov_b32_e32 v12, v2
	ds_store_b128 v65, v[12:15]
	v_mov_b64_e32 v[12:13], v[2:3]
	v_mov_b64_e32 v[14:15], v[18:19]
.LBB89_254:                             ;   in Loop: Header=BB89_3 Depth=1
	s_or_b32 exec_lo, exec_lo, s35
	s_wait_dscnt 0x0
	s_barrier_signal -1
	s_barrier_wait -1
	s_and_saveexec_b32 s35, s20
	s_cbranch_execz .LBB89_256
; %bb.255:                              ;   in Loop: Header=BB89_3 Depth=1
	ds_load_b128 v[16:19], v65
	ds_load_b128 v[200:203], v66 offset:3072
	s_wait_dscnt 0x0
	v_mul_f64_e32 v[2:3], v[18:19], v[202:203]
	s_delay_alu instid0(VALU_DEP_1) | instskip(SKIP_1) | instid1(VALU_DEP_2)
	v_fma_f64 v[2:3], v[16:17], v[200:201], -v[2:3]
	v_mul_f64_e32 v[16:17], v[16:17], v[202:203]
	v_add_f64_e64 v[12:13], v[12:13], -v[2:3]
	s_delay_alu instid0(VALU_DEP_2) | instskip(NEXT) | instid1(VALU_DEP_1)
	v_fmac_f64_e32 v[16:17], v[18:19], v[200:201]
	v_add_f64_e64 v[14:15], v[14:15], -v[16:17]
.LBB89_256:                             ;   in Loop: Header=BB89_3 Depth=1
	s_or_b32 exec_lo, exec_lo, s35
	s_barrier_signal -1
	s_barrier_wait -1
	s_and_saveexec_b32 s35, s21
	;; [unrolled: 41-line block ×7, first 2 shown]
	s_cbranch_execz .LBB89_278
; %bb.277:                              ;   in Loop: Header=BB89_3 Depth=1
	ds_load_b128 v[16:19], v1
	s_wait_dscnt 0x0
	v_mul_f64_e32 v[2:3], v[14:15], v[18:19]
	v_mul_f64_e32 v[18:19], v[12:13], v[18:19]
	s_delay_alu instid0(VALU_DEP_1) | instskip(NEXT) | instid1(VALU_DEP_1)
	v_fmac_f64_e32 v[18:19], v[14:15], v[16:17]
	v_dual_fma_f64 v[2:3], v[12:13], v[16:17], -v[2:3] :: v_dual_mov_b32 v14, v18
	s_delay_alu instid0(VALU_DEP_1) | instskip(NEXT) | instid1(VALU_DEP_3)
	v_xor_b32_e32 v13, 0x80000000, v3
	v_xor_b32_e32 v15, 0x80000000, v19
	s_delay_alu instid0(VALU_DEP_3)
	v_mov_b32_e32 v12, v2
	ds_store_b128 v65, v[12:15]
	v_mov_b64_e32 v[12:13], v[2:3]
	v_mov_b64_e32 v[14:15], v[18:19]
.LBB89_278:                             ;   in Loop: Header=BB89_3 Depth=1
	s_or_b32 exec_lo, exec_lo, s35
	s_wait_dscnt 0x0
	s_barrier_signal -1
	s_barrier_wait -1
	s_barrier_signal -1
	s_barrier_wait -1
	s_and_saveexec_b32 s35, s6
; %bb.279:                              ;   in Loop: Header=BB89_3 Depth=1
	ds_store_b128 v23, v[12:15] offset:15872
; %bb.280:                              ;   in Loop: Header=BB89_3 Depth=1
	s_or_b32 exec_lo, exec_lo, s35
	s_wait_dscnt 0x0
	s_barrier_signal -1
	s_barrier_wait -1
	s_barrier_signal -1
	s_barrier_wait -1
	s_and_saveexec_b32 s35, s9
	s_cbranch_execz .LBB89_282
; %bb.281:                              ;   in Loop: Header=BB89_3 Depth=1
	ds_load_b128 v[12:15], v68
	s_wait_dscnt 0x0
	ds_store_b128 v155, v[12:15]
	ds_load_b128 v[12:15], v69
	s_wait_dscnt 0x0
	ds_store_b128 v156, v[12:15]
	;; [unrolled: 3-line block ×16, first 2 shown]
.LBB89_282:                             ;   in Loop: Header=BB89_3 Depth=1
	s_or_b32 exec_lo, exec_lo, s35
	s_wait_dscnt 0x0
	s_barrier_signal -1
	s_barrier_wait -1
	s_and_saveexec_b32 s35, s29
	s_cbranch_execz .LBB89_284
; %bb.283:                              ;   in Loop: Header=BB89_3 Depth=1
	ds_load_b128 v[12:15], v1 offset:7920
	ds_load_b128 v[16:19], v1 offset:7392
	s_wait_dscnt 0x0
	v_mul_f64_e32 v[2:3], v[14:15], v[18:19]
	v_mul_f64_e32 v[200:201], v[12:13], v[18:19]
	s_delay_alu instid0(VALU_DEP_2) | instskip(NEXT) | instid1(VALU_DEP_2)
	v_fma_f64 v[2:3], v[12:13], v[16:17], -v[2:3]
	v_fmac_f64_e32 v[200:201], v[14:15], v[16:17]
	ds_load_b128 v[12:15], v1 offset:7904
	s_wait_dscnt 0x0
	v_mul_f64_e32 v[18:19], v[2:3], v[14:15]
	v_mul_f64_e32 v[16:17], v[200:201], v[14:15]
	s_delay_alu instid0(VALU_DEP_2) | instskip(NEXT) | instid1(VALU_DEP_2)
	v_fmac_f64_e32 v[18:19], v[12:13], v[200:201]
	v_fma_f64 v[16:17], v[12:13], v[2:3], -v[16:17]
	ds_store_b128 v1, v[16:19] offset:7904
	ds_store_b128 v1, v[16:19] offset:7408
.LBB89_284:                             ;   in Loop: Header=BB89_3 Depth=1
	s_or_b32 exec_lo, exec_lo, s35
	v_mov_b64_e32 v[12:13], 0
	v_mov_b64_e32 v[14:15], 0
	s_wait_dscnt 0x0
	s_barrier_signal -1
	s_barrier_wait -1
	global_wb scope:SCOPE_DEV
	s_wait_storecnt 0x0
	global_inv scope:SCOPE_DEV
	s_and_saveexec_b32 s35, s2
	s_cbranch_execz .LBB89_288
; %bb.285:                              ;   in Loop: Header=BB89_3 Depth=1
	ds_load_b128 v[12:15], v43 offset:7904
	ds_load_b128 v[16:19], v42 offset:7360
	s_wait_dscnt 0x0
	v_mul_f64_e32 v[2:3], v[14:15], v[18:19]
	v_mul_f64_e32 v[18:19], v[12:13], v[18:19]
	s_delay_alu instid0(VALU_DEP_2) | instskip(NEXT) | instid1(VALU_DEP_2)
	v_fma_f64 v[2:3], v[12:13], v[16:17], -v[2:3]
	v_fmac_f64_e32 v[18:19], v[14:15], v[16:17]
	s_delay_alu instid0(VALU_DEP_2) | instskip(NEXT) | instid1(VALU_DEP_2)
	v_add_f64_e32 v[12:13], 0, v[2:3]
	v_add_f64_e32 v[14:15], 0, v[18:19]
	s_and_saveexec_b32 s40, s10
	s_cbranch_execz .LBB89_287
; %bb.286:                              ;   in Loop: Header=BB89_3 Depth=1
	ds_load_b128 v[16:19], v1 offset:7920
	ds_load_b128 v[200:203], v44 offset:7872
	s_wait_dscnt 0x0
	v_mul_f64_e32 v[2:3], v[18:19], v[202:203]
	s_delay_alu instid0(VALU_DEP_1) | instskip(SKIP_1) | instid1(VALU_DEP_2)
	v_fma_f64 v[2:3], v[16:17], v[200:201], -v[2:3]
	v_mul_f64_e32 v[16:17], v[16:17], v[202:203]
	v_add_f64_e32 v[12:13], v[12:13], v[2:3]
	s_delay_alu instid0(VALU_DEP_2) | instskip(NEXT) | instid1(VALU_DEP_1)
	v_fmac_f64_e32 v[16:17], v[18:19], v[200:201]
	v_add_f64_e32 v[14:15], v[14:15], v[16:17]
.LBB89_287:                             ;   in Loop: Header=BB89_3 Depth=1
	s_or_b32 exec_lo, exec_lo, s40
.LBB89_288:                             ;   in Loop: Header=BB89_3 Depth=1
	s_delay_alu instid0(SALU_CYCLE_1)
	s_or_b32 exec_lo, exec_lo, s35
	s_and_saveexec_b32 s35, s64
	s_cbranch_execz .LBB89_290
; %bb.289:                              ;   in Loop: Header=BB89_3 Depth=1
	ds_load_b128 v[16:19], v1 offset:6864
	s_wait_dscnt 0x0
	v_mul_f64_e32 v[2:3], v[14:15], v[18:19]
	v_mul_f64_e32 v[18:19], v[12:13], v[18:19]
	s_delay_alu instid0(VALU_DEP_1) | instskip(NEXT) | instid1(VALU_DEP_1)
	v_fmac_f64_e32 v[18:19], v[14:15], v[16:17]
	v_dual_fma_f64 v[2:3], v[12:13], v[16:17], -v[2:3] :: v_dual_mov_b32 v14, v18
	s_delay_alu instid0(VALU_DEP_1) | instskip(NEXT) | instid1(VALU_DEP_3)
	v_xor_b32_e32 v13, 0x80000000, v3
	v_xor_b32_e32 v15, 0x80000000, v19
	s_delay_alu instid0(VALU_DEP_3)
	v_mov_b32_e32 v12, v2
	ds_store_b128 v21, v[12:15]
	v_mov_b64_e32 v[12:13], v[2:3]
	v_mov_b64_e32 v[14:15], v[18:19]
.LBB89_290:                             ;   in Loop: Header=BB89_3 Depth=1
	s_or_b32 exec_lo, exec_lo, s35
	s_wait_loadcnt_dscnt 0x0
	s_barrier_signal -1
	s_barrier_wait -1
	s_and_saveexec_b32 s35, s65
	s_cbranch_execz .LBB89_292
; %bb.291:                              ;   in Loop: Header=BB89_3 Depth=1
	ds_load_b128 v[16:19], v21
	ds_load_b128 v[200:203], v1 offset:6848
	s_wait_dscnt 0x0
	v_mul_f64_e32 v[2:3], v[18:19], v[202:203]
	s_delay_alu instid0(VALU_DEP_1) | instskip(SKIP_1) | instid1(VALU_DEP_2)
	v_fma_f64 v[2:3], v[16:17], v[200:201], -v[2:3]
	v_mul_f64_e32 v[16:17], v[16:17], v[202:203]
	v_add_f64_e64 v[12:13], v[12:13], -v[2:3]
	s_delay_alu instid0(VALU_DEP_2) | instskip(NEXT) | instid1(VALU_DEP_1)
	v_fmac_f64_e32 v[16:17], v[18:19], v[200:201]
	v_add_f64_e64 v[14:15], v[14:15], -v[16:17]
.LBB89_292:                             ;   in Loop: Header=BB89_3 Depth=1
	s_or_b32 exec_lo, exec_lo, s35
	s_barrier_signal -1
	s_barrier_wait -1
	s_and_saveexec_b32 s35, s65
	s_cbranch_execz .LBB89_294
; %bb.293:                              ;   in Loop: Header=BB89_3 Depth=1
	ds_load_b128 v[16:19], v1 offset:6336
	s_wait_dscnt 0x0
	v_mul_f64_e32 v[2:3], v[14:15], v[18:19]
	v_mul_f64_e32 v[18:19], v[12:13], v[18:19]
	s_delay_alu instid0(VALU_DEP_1) | instskip(NEXT) | instid1(VALU_DEP_1)
	v_fmac_f64_e32 v[18:19], v[14:15], v[16:17]
	v_dual_fma_f64 v[2:3], v[12:13], v[16:17], -v[2:3] :: v_dual_mov_b32 v14, v18
	s_delay_alu instid0(VALU_DEP_1) | instskip(NEXT) | instid1(VALU_DEP_3)
	v_xor_b32_e32 v13, 0x80000000, v3
	v_xor_b32_e32 v15, 0x80000000, v19
	s_delay_alu instid0(VALU_DEP_3)
	v_mov_b32_e32 v12, v2
	ds_store_b128 v21, v[12:15]
	v_mov_b64_e32 v[12:13], v[2:3]
	v_mov_b64_e32 v[14:15], v[18:19]
.LBB89_294:                             ;   in Loop: Header=BB89_3 Depth=1
	s_or_b32 exec_lo, exec_lo, s35
	s_wait_dscnt 0x0
	s_barrier_signal -1
	s_barrier_wait -1
	s_barrier_signal -1
	s_barrier_wait -1
	s_and_saveexec_b32 s35, s2
; %bb.295:                              ;   in Loop: Header=BB89_3 Depth=1
	ds_store_b128 v45, v[12:15] offset:7872
; %bb.296:                              ;   in Loop: Header=BB89_3 Depth=1
	s_or_b32 exec_lo, exec_lo, s35
	s_wait_dscnt 0x0
	s_barrier_signal -1
	s_barrier_wait -1
	s_barrier_signal -1
	s_barrier_wait -1
	s_and_saveexec_b32 s35, s66
	s_cbranch_execz .LBB89_298
; %bb.297:                              ;   in Loop: Header=BB89_3 Depth=1
	ds_load_b128 v[12:15], v84
	s_wait_dscnt 0x0
	ds_store_b128 v171, v[12:15]
	ds_load_b128 v[12:15], v85
	s_wait_dscnt 0x0
	ds_store_b128 v172, v[12:15]
.LBB89_298:                             ;   in Loop: Header=BB89_3 Depth=1
	s_or_b32 exec_lo, exec_lo, s35
	s_wait_dscnt 0x0
	s_barrier_signal -1
	s_barrier_wait -1
	s_and_saveexec_b32 s35, s29
	s_cbranch_execz .LBB89_300
; %bb.299:                              ;   in Loop: Header=BB89_3 Depth=1
	ds_load_b128 v[12:15], v1 offset:6864
	ds_load_b128 v[16:19], v1 offset:6336
	s_wait_dscnt 0x0
	v_mul_f64_e32 v[2:3], v[14:15], v[18:19]
	v_mul_f64_e32 v[200:201], v[12:13], v[18:19]
	s_delay_alu instid0(VALU_DEP_2) | instskip(NEXT) | instid1(VALU_DEP_2)
	v_fma_f64 v[2:3], v[12:13], v[16:17], -v[2:3]
	v_fmac_f64_e32 v[200:201], v[14:15], v[16:17]
	ds_load_b128 v[12:15], v1 offset:6848
	s_wait_dscnt 0x0
	v_mul_f64_e32 v[18:19], v[2:3], v[14:15]
	v_mul_f64_e32 v[16:17], v[200:201], v[14:15]
	s_delay_alu instid0(VALU_DEP_2) | instskip(NEXT) | instid1(VALU_DEP_2)
	v_fmac_f64_e32 v[18:19], v[12:13], v[200:201]
	v_fma_f64 v[16:17], v[12:13], v[2:3], -v[16:17]
	ds_store_b128 v1, v[16:19] offset:6848
	ds_store_b128 v1, v[16:19] offset:6352
.LBB89_300:                             ;   in Loop: Header=BB89_3 Depth=1
	s_or_b32 exec_lo, exec_lo, s35
	v_mov_b64_e32 v[14:15], 0
	v_mov_b64_e32 v[12:13], 0
	s_wait_dscnt 0x0
	s_barrier_signal -1
	s_barrier_wait -1
	global_wb scope:SCOPE_DEV
	s_wait_storecnt 0x0
	global_inv scope:SCOPE_DEV
	s_and_saveexec_b32 s35, s4
	s_cbranch_execz .LBB89_306
; %bb.301:                              ;   in Loop: Header=BB89_3 Depth=1
	ds_load_b128 v[12:15], v51 offset:7872
	ds_load_b128 v[16:19], v50 offset:6272
	s_wait_dscnt 0x0
	v_mul_f64_e32 v[2:3], v[14:15], v[18:19]
	v_mul_f64_e32 v[18:19], v[12:13], v[18:19]
	s_delay_alu instid0(VALU_DEP_2) | instskip(NEXT) | instid1(VALU_DEP_2)
	v_fma_f64 v[2:3], v[12:13], v[16:17], -v[2:3]
	v_fmac_f64_e32 v[18:19], v[14:15], v[16:17]
	s_delay_alu instid0(VALU_DEP_2) | instskip(NEXT) | instid1(VALU_DEP_2)
	v_add_f64_e32 v[12:13], 0, v[2:3]
	v_add_f64_e32 v[14:15], 0, v[18:19]
	s_and_saveexec_b32 s40, s11
	s_cbranch_execnz .LBB89_564
; %bb.302:                              ;   in Loop: Header=BB89_3 Depth=1
	s_or_b32 exec_lo, exec_lo, s40
	s_and_saveexec_b32 s40, s12
	s_cbranch_execnz .LBB89_565
.LBB89_303:                             ;   in Loop: Header=BB89_3 Depth=1
	s_or_b32 exec_lo, exec_lo, s40
	s_and_saveexec_b32 s40, s2
	s_cbranch_execz .LBB89_305
.LBB89_304:                             ;   in Loop: Header=BB89_3 Depth=1
	ds_load_b128 v[16:19], v1 offset:7920
	ds_load_b128 v[200:203], v48 offset:7808
	s_wait_dscnt 0x0
	v_mul_f64_e32 v[2:3], v[18:19], v[202:203]
	s_delay_alu instid0(VALU_DEP_1) | instskip(SKIP_1) | instid1(VALU_DEP_2)
	v_fma_f64 v[2:3], v[16:17], v[200:201], -v[2:3]
	v_mul_f64_e32 v[16:17], v[16:17], v[202:203]
	v_add_f64_e32 v[12:13], v[12:13], v[2:3]
	s_delay_alu instid0(VALU_DEP_2) | instskip(NEXT) | instid1(VALU_DEP_1)
	v_fmac_f64_e32 v[16:17], v[18:19], v[200:201]
	v_add_f64_e32 v[14:15], v[14:15], v[16:17]
.LBB89_305:                             ;   in Loop: Header=BB89_3 Depth=1
	s_or_b32 exec_lo, exec_lo, s40
.LBB89_306:                             ;   in Loop: Header=BB89_3 Depth=1
	s_delay_alu instid0(SALU_CYCLE_1)
	s_or_b32 exec_lo, exec_lo, s35
	s_and_saveexec_b32 s35, s67
	s_cbranch_execz .LBB89_308
; %bb.307:                              ;   in Loop: Header=BB89_3 Depth=1
	ds_load_b128 v[16:19], v1 offset:5808
	s_wait_dscnt 0x0
	v_mul_f64_e32 v[2:3], v[14:15], v[18:19]
	v_mul_f64_e32 v[18:19], v[12:13], v[18:19]
	s_delay_alu instid0(VALU_DEP_1) | instskip(NEXT) | instid1(VALU_DEP_1)
	v_fmac_f64_e32 v[18:19], v[14:15], v[16:17]
	v_dual_fma_f64 v[2:3], v[12:13], v[16:17], -v[2:3] :: v_dual_mov_b32 v14, v18
	s_delay_alu instid0(VALU_DEP_1) | instskip(NEXT) | instid1(VALU_DEP_3)
	v_xor_b32_e32 v13, 0x80000000, v3
	v_xor_b32_e32 v15, 0x80000000, v19
	s_delay_alu instid0(VALU_DEP_3)
	v_mov_b32_e32 v12, v2
	ds_store_b128 v49, v[12:15]
	v_mov_b64_e32 v[12:13], v[2:3]
	v_mov_b64_e32 v[14:15], v[18:19]
.LBB89_308:                             ;   in Loop: Header=BB89_3 Depth=1
	s_or_b32 exec_lo, exec_lo, s35
	s_wait_loadcnt_dscnt 0x0
	s_barrier_signal -1
	s_barrier_wait -1
	s_and_saveexec_b32 s35, s68
	s_cbranch_execz .LBB89_310
; %bb.309:                              ;   in Loop: Header=BB89_3 Depth=1
	ds_load_b128 v[16:19], v49
	ds_load_b128 v[200:203], v50 offset:5760
	s_wait_dscnt 0x0
	v_mul_f64_e32 v[2:3], v[18:19], v[202:203]
	s_delay_alu instid0(VALU_DEP_1) | instskip(SKIP_1) | instid1(VALU_DEP_2)
	v_fma_f64 v[2:3], v[16:17], v[200:201], -v[2:3]
	v_mul_f64_e32 v[16:17], v[16:17], v[202:203]
	v_add_f64_e64 v[12:13], v[12:13], -v[2:3]
	s_delay_alu instid0(VALU_DEP_2) | instskip(NEXT) | instid1(VALU_DEP_1)
	v_fmac_f64_e32 v[16:17], v[18:19], v[200:201]
	v_add_f64_e64 v[14:15], v[14:15], -v[16:17]
.LBB89_310:                             ;   in Loop: Header=BB89_3 Depth=1
	s_or_b32 exec_lo, exec_lo, s35
	s_barrier_signal -1
	s_barrier_wait -1
	s_and_saveexec_b32 s35, s69
	s_cbranch_execz .LBB89_312
; %bb.311:                              ;   in Loop: Header=BB89_3 Depth=1
	ds_load_b128 v[16:19], v1 offset:5280
	s_wait_dscnt 0x0
	v_mul_f64_e32 v[2:3], v[14:15], v[18:19]
	v_mul_f64_e32 v[18:19], v[12:13], v[18:19]
	s_delay_alu instid0(VALU_DEP_1) | instskip(NEXT) | instid1(VALU_DEP_1)
	v_fmac_f64_e32 v[18:19], v[14:15], v[16:17]
	v_dual_fma_f64 v[2:3], v[12:13], v[16:17], -v[2:3] :: v_dual_mov_b32 v14, v18
	s_delay_alu instid0(VALU_DEP_1) | instskip(NEXT) | instid1(VALU_DEP_3)
	v_xor_b32_e32 v13, 0x80000000, v3
	v_xor_b32_e32 v15, 0x80000000, v19
	s_delay_alu instid0(VALU_DEP_3)
	v_mov_b32_e32 v12, v2
	ds_store_b128 v49, v[12:15]
	v_mov_b64_e32 v[12:13], v[2:3]
	v_mov_b64_e32 v[14:15], v[18:19]
.LBB89_312:                             ;   in Loop: Header=BB89_3 Depth=1
	s_or_b32 exec_lo, exec_lo, s35
	s_wait_dscnt 0x0
	s_barrier_signal -1
	s_barrier_wait -1
	s_and_saveexec_b32 s35, s70
	s_cbranch_execz .LBB89_314
; %bb.313:                              ;   in Loop: Header=BB89_3 Depth=1
	ds_load_b128 v[16:19], v49
	ds_load_b128 v[200:203], v50 offset:5248
	s_wait_dscnt 0x0
	v_mul_f64_e32 v[2:3], v[18:19], v[202:203]
	s_delay_alu instid0(VALU_DEP_1) | instskip(SKIP_1) | instid1(VALU_DEP_2)
	v_fma_f64 v[2:3], v[16:17], v[200:201], -v[2:3]
	v_mul_f64_e32 v[16:17], v[16:17], v[202:203]
	v_add_f64_e64 v[12:13], v[12:13], -v[2:3]
	s_delay_alu instid0(VALU_DEP_2) | instskip(NEXT) | instid1(VALU_DEP_1)
	v_fmac_f64_e32 v[16:17], v[18:19], v[200:201]
	v_add_f64_e64 v[14:15], v[14:15], -v[16:17]
.LBB89_314:                             ;   in Loop: Header=BB89_3 Depth=1
	s_or_b32 exec_lo, exec_lo, s35
	s_barrier_signal -1
	s_barrier_wait -1
	s_and_saveexec_b32 s35, s71
	s_cbranch_execz .LBB89_316
; %bb.315:                              ;   in Loop: Header=BB89_3 Depth=1
	ds_load_b128 v[16:19], v1 offset:4752
	s_wait_dscnt 0x0
	v_mul_f64_e32 v[2:3], v[14:15], v[18:19]
	v_mul_f64_e32 v[18:19], v[12:13], v[18:19]
	s_delay_alu instid0(VALU_DEP_1) | instskip(NEXT) | instid1(VALU_DEP_1)
	v_fmac_f64_e32 v[18:19], v[14:15], v[16:17]
	v_dual_fma_f64 v[2:3], v[12:13], v[16:17], -v[2:3] :: v_dual_mov_b32 v14, v18
	s_delay_alu instid0(VALU_DEP_1) | instskip(NEXT) | instid1(VALU_DEP_3)
	v_xor_b32_e32 v13, 0x80000000, v3
	v_xor_b32_e32 v15, 0x80000000, v19
	s_delay_alu instid0(VALU_DEP_3)
	v_mov_b32_e32 v12, v2
	ds_store_b128 v49, v[12:15]
	v_mov_b64_e32 v[12:13], v[2:3]
	v_mov_b64_e32 v[14:15], v[18:19]
.LBB89_316:                             ;   in Loop: Header=BB89_3 Depth=1
	s_or_b32 exec_lo, exec_lo, s35
	s_wait_dscnt 0x0
	;; [unrolled: 41-line block ×3, first 2 shown]
	s_barrier_signal -1
	s_barrier_wait -1
	s_barrier_signal -1
	s_barrier_wait -1
	s_and_saveexec_b32 s35, s4
; %bb.321:                              ;   in Loop: Header=BB89_3 Depth=1
	ds_store_b128 v52, v[12:15] offset:7808
; %bb.322:                              ;   in Loop: Header=BB89_3 Depth=1
	s_or_b32 exec_lo, exec_lo, s35
	s_wait_dscnt 0x0
	s_barrier_signal -1
	s_barrier_wait -1
	s_barrier_signal -1
	s_barrier_wait -1
	s_and_saveexec_b32 s35, s73
	s_cbranch_execz .LBB89_324
; %bb.323:                              ;   in Loop: Header=BB89_3 Depth=1
	ds_load_b128 v[12:15], v101
	s_wait_dscnt 0x0
	ds_store_b128 v173, v[12:15]
	ds_load_b128 v[12:15], v104
	s_wait_dscnt 0x0
	ds_store_b128 v176, v[12:15]
	ds_load_b128 v[12:15], v103
	s_wait_dscnt 0x0
	ds_store_b128 v175, v[12:15]
	ds_load_b128 v[12:15], v102
	s_wait_dscnt 0x0
	ds_store_b128 v174, v[12:15]
.LBB89_324:                             ;   in Loop: Header=BB89_3 Depth=1
	s_or_b32 exec_lo, exec_lo, s35
	s_wait_dscnt 0x0
	s_barrier_signal -1
	s_barrier_wait -1
	s_and_saveexec_b32 s35, s29
	s_cbranch_execz .LBB89_326
; %bb.325:                              ;   in Loop: Header=BB89_3 Depth=1
	ds_load_b128 v[12:15], v1 offset:5808
	ds_load_b128 v[16:19], v1 offset:5280
	s_wait_dscnt 0x0
	v_mul_f64_e32 v[2:3], v[14:15], v[18:19]
	v_mul_f64_e32 v[200:201], v[12:13], v[18:19]
	s_delay_alu instid0(VALU_DEP_2) | instskip(NEXT) | instid1(VALU_DEP_2)
	v_fma_f64 v[2:3], v[12:13], v[16:17], -v[2:3]
	v_fmac_f64_e32 v[200:201], v[14:15], v[16:17]
	ds_load_b128 v[12:15], v1 offset:5792
	s_wait_dscnt 0x0
	v_mul_f64_e32 v[18:19], v[2:3], v[14:15]
	v_mul_f64_e32 v[16:17], v[200:201], v[14:15]
	s_delay_alu instid0(VALU_DEP_2) | instskip(NEXT) | instid1(VALU_DEP_2)
	v_fmac_f64_e32 v[18:19], v[12:13], v[200:201]
	v_fma_f64 v[16:17], v[12:13], v[2:3], -v[16:17]
	ds_store_b128 v1, v[16:19] offset:5792
	ds_store_b128 v1, v[16:19] offset:5296
.LBB89_326:                             ;   in Loop: Header=BB89_3 Depth=1
	s_or_b32 exec_lo, exec_lo, s35
	v_mov_b64_e32 v[12:13], 0
	v_mov_b64_e32 v[14:15], 0
	s_wait_dscnt 0x0
	s_barrier_signal -1
	s_barrier_wait -1
	global_wb scope:SCOPE_DEV
	s_wait_storecnt 0x0
	global_inv scope:SCOPE_DEV
	s_and_saveexec_b32 s35, s2
	s_cbranch_execz .LBB89_330
; %bb.327:                              ;   in Loop: Header=BB89_3 Depth=1
	ds_load_b128 v[12:15], v43 offset:5792
	ds_load_b128 v[16:19], v42 offset:5248
	s_wait_dscnt 0x0
	v_mul_f64_e32 v[2:3], v[14:15], v[18:19]
	v_mul_f64_e32 v[18:19], v[12:13], v[18:19]
	s_delay_alu instid0(VALU_DEP_2) | instskip(NEXT) | instid1(VALU_DEP_2)
	v_fma_f64 v[2:3], v[12:13], v[16:17], -v[2:3]
	v_fmac_f64_e32 v[18:19], v[14:15], v[16:17]
	s_delay_alu instid0(VALU_DEP_2) | instskip(NEXT) | instid1(VALU_DEP_2)
	v_add_f64_e32 v[12:13], 0, v[2:3]
	v_add_f64_e32 v[14:15], 0, v[18:19]
	s_and_saveexec_b32 s40, s10
	s_cbranch_execz .LBB89_329
; %bb.328:                              ;   in Loop: Header=BB89_3 Depth=1
	ds_load_b128 v[16:19], v1 offset:5808
	ds_load_b128 v[200:203], v98 offset:5760
	s_wait_dscnt 0x0
	v_mul_f64_e32 v[2:3], v[18:19], v[202:203]
	s_delay_alu instid0(VALU_DEP_1) | instskip(SKIP_1) | instid1(VALU_DEP_2)
	v_fma_f64 v[2:3], v[16:17], v[200:201], -v[2:3]
	v_mul_f64_e32 v[16:17], v[16:17], v[202:203]
	v_add_f64_e32 v[12:13], v[12:13], v[2:3]
	s_delay_alu instid0(VALU_DEP_2) | instskip(NEXT) | instid1(VALU_DEP_1)
	v_fmac_f64_e32 v[16:17], v[18:19], v[200:201]
	v_add_f64_e32 v[14:15], v[14:15], v[16:17]
.LBB89_329:                             ;   in Loop: Header=BB89_3 Depth=1
	s_or_b32 exec_lo, exec_lo, s40
.LBB89_330:                             ;   in Loop: Header=BB89_3 Depth=1
	s_delay_alu instid0(SALU_CYCLE_1)
	s_or_b32 exec_lo, exec_lo, s35
	s_and_saveexec_b32 s35, s64
	s_cbranch_execz .LBB89_332
; %bb.331:                              ;   in Loop: Header=BB89_3 Depth=1
	ds_load_b128 v[16:19], v1 offset:4752
	s_wait_dscnt 0x0
	v_mul_f64_e32 v[2:3], v[14:15], v[18:19]
	v_mul_f64_e32 v[18:19], v[12:13], v[18:19]
	s_delay_alu instid0(VALU_DEP_1) | instskip(NEXT) | instid1(VALU_DEP_1)
	v_fmac_f64_e32 v[18:19], v[14:15], v[16:17]
	v_dual_fma_f64 v[2:3], v[12:13], v[16:17], -v[2:3] :: v_dual_mov_b32 v14, v18
	s_delay_alu instid0(VALU_DEP_1) | instskip(NEXT) | instid1(VALU_DEP_3)
	v_xor_b32_e32 v13, 0x80000000, v3
	v_xor_b32_e32 v15, 0x80000000, v19
	s_delay_alu instid0(VALU_DEP_3)
	v_mov_b32_e32 v12, v2
	ds_store_b128 v21, v[12:15]
	v_mov_b64_e32 v[12:13], v[2:3]
	v_mov_b64_e32 v[14:15], v[18:19]
.LBB89_332:                             ;   in Loop: Header=BB89_3 Depth=1
	s_or_b32 exec_lo, exec_lo, s35
	s_wait_loadcnt_dscnt 0x0
	s_barrier_signal -1
	s_barrier_wait -1
	s_and_saveexec_b32 s35, s65
	s_cbranch_execz .LBB89_334
; %bb.333:                              ;   in Loop: Header=BB89_3 Depth=1
	ds_load_b128 v[16:19], v21
	ds_load_b128 v[200:203], v1 offset:4736
	s_wait_dscnt 0x0
	v_mul_f64_e32 v[2:3], v[18:19], v[202:203]
	s_delay_alu instid0(VALU_DEP_1) | instskip(SKIP_1) | instid1(VALU_DEP_2)
	v_fma_f64 v[2:3], v[16:17], v[200:201], -v[2:3]
	v_mul_f64_e32 v[16:17], v[16:17], v[202:203]
	v_add_f64_e64 v[12:13], v[12:13], -v[2:3]
	s_delay_alu instid0(VALU_DEP_2) | instskip(NEXT) | instid1(VALU_DEP_1)
	v_fmac_f64_e32 v[16:17], v[18:19], v[200:201]
	v_add_f64_e64 v[14:15], v[14:15], -v[16:17]
.LBB89_334:                             ;   in Loop: Header=BB89_3 Depth=1
	s_or_b32 exec_lo, exec_lo, s35
	s_barrier_signal -1
	s_barrier_wait -1
	s_and_saveexec_b32 s35, s65
	s_cbranch_execz .LBB89_336
; %bb.335:                              ;   in Loop: Header=BB89_3 Depth=1
	ds_load_b128 v[16:19], v1 offset:4224
	s_wait_dscnt 0x0
	v_mul_f64_e32 v[2:3], v[14:15], v[18:19]
	v_mul_f64_e32 v[18:19], v[12:13], v[18:19]
	s_delay_alu instid0(VALU_DEP_1) | instskip(NEXT) | instid1(VALU_DEP_1)
	v_fmac_f64_e32 v[18:19], v[14:15], v[16:17]
	v_dual_fma_f64 v[2:3], v[12:13], v[16:17], -v[2:3] :: v_dual_mov_b32 v14, v18
	s_delay_alu instid0(VALU_DEP_1) | instskip(NEXT) | instid1(VALU_DEP_3)
	v_xor_b32_e32 v13, 0x80000000, v3
	v_xor_b32_e32 v15, 0x80000000, v19
	s_delay_alu instid0(VALU_DEP_3)
	v_mov_b32_e32 v12, v2
	ds_store_b128 v21, v[12:15]
	v_mov_b64_e32 v[12:13], v[2:3]
	v_mov_b64_e32 v[14:15], v[18:19]
.LBB89_336:                             ;   in Loop: Header=BB89_3 Depth=1
	s_or_b32 exec_lo, exec_lo, s35
	s_wait_dscnt 0x0
	s_barrier_signal -1
	s_barrier_wait -1
	s_barrier_signal -1
	s_barrier_wait -1
	s_and_saveexec_b32 s35, s2
; %bb.337:                              ;   in Loop: Header=BB89_3 Depth=1
	ds_store_b128 v45, v[12:15] offset:5760
; %bb.338:                              ;   in Loop: Header=BB89_3 Depth=1
	s_or_b32 exec_lo, exec_lo, s35
	s_wait_dscnt 0x0
	s_barrier_signal -1
	s_barrier_wait -1
	s_barrier_signal -1
	s_barrier_wait -1
	s_and_saveexec_b32 s35, s66
	s_cbranch_execz .LBB89_340
; %bb.339:                              ;   in Loop: Header=BB89_3 Depth=1
	ds_load_b128 v[12:15], v114
	s_wait_dscnt 0x0
	ds_store_b128 v177, v[12:15]
	ds_load_b128 v[12:15], v115
	s_wait_dscnt 0x0
	ds_store_b128 v178, v[12:15]
.LBB89_340:                             ;   in Loop: Header=BB89_3 Depth=1
	s_or_b32 exec_lo, exec_lo, s35
	s_wait_dscnt 0x0
	s_barrier_signal -1
	s_barrier_wait -1
	s_and_saveexec_b32 s35, s29
	s_cbranch_execz .LBB89_342
; %bb.341:                              ;   in Loop: Header=BB89_3 Depth=1
	ds_load_b128 v[12:15], v1 offset:4752
	ds_load_b128 v[16:19], v1 offset:4224
	s_wait_dscnt 0x0
	v_mul_f64_e32 v[2:3], v[14:15], v[18:19]
	v_mul_f64_e32 v[200:201], v[12:13], v[18:19]
	s_delay_alu instid0(VALU_DEP_2) | instskip(NEXT) | instid1(VALU_DEP_2)
	v_fma_f64 v[2:3], v[12:13], v[16:17], -v[2:3]
	v_fmac_f64_e32 v[200:201], v[14:15], v[16:17]
	ds_load_b128 v[12:15], v1 offset:4736
	s_wait_dscnt 0x0
	v_mul_f64_e32 v[18:19], v[2:3], v[14:15]
	v_mul_f64_e32 v[16:17], v[200:201], v[14:15]
	s_delay_alu instid0(VALU_DEP_2) | instskip(NEXT) | instid1(VALU_DEP_2)
	v_fmac_f64_e32 v[18:19], v[12:13], v[200:201]
	v_fma_f64 v[16:17], v[12:13], v[2:3], -v[16:17]
	ds_store_b128 v1, v[16:19] offset:4736
	ds_store_b128 v1, v[16:19] offset:4240
.LBB89_342:                             ;   in Loop: Header=BB89_3 Depth=1
	s_or_b32 exec_lo, exec_lo, s35
	v_mov_b64_e32 v[14:15], 0
	v_mov_b64_e32 v[12:13], 0
	s_wait_dscnt 0x0
	s_barrier_signal -1
	s_barrier_wait -1
	global_wb scope:SCOPE_DEV
	s_wait_storecnt 0x0
	global_inv scope:SCOPE_DEV
	s_and_saveexec_b32 s35, s5
	s_cbranch_execz .LBB89_352
; %bb.343:                              ;   in Loop: Header=BB89_3 Depth=1
	ds_load_b128 v[12:15], v55 offset:7808
	ds_load_b128 v[16:19], v54 offset:4096
	s_wait_dscnt 0x0
	v_mul_f64_e32 v[2:3], v[14:15], v[18:19]
	v_mul_f64_e32 v[18:19], v[12:13], v[18:19]
	s_delay_alu instid0(VALU_DEP_2) | instskip(NEXT) | instid1(VALU_DEP_2)
	v_fma_f64 v[2:3], v[12:13], v[16:17], -v[2:3]
	v_fmac_f64_e32 v[18:19], v[14:15], v[16:17]
	s_delay_alu instid0(VALU_DEP_2) | instskip(NEXT) | instid1(VALU_DEP_2)
	v_add_f64_e32 v[12:13], 0, v[2:3]
	v_add_f64_e32 v[14:15], 0, v[18:19]
	s_and_saveexec_b32 s40, s13
	s_cbranch_execnz .LBB89_566
; %bb.344:                              ;   in Loop: Header=BB89_3 Depth=1
	s_or_b32 exec_lo, exec_lo, s40
	s_and_saveexec_b32 s40, s14
	s_cbranch_execnz .LBB89_567
.LBB89_345:                             ;   in Loop: Header=BB89_3 Depth=1
	s_or_b32 exec_lo, exec_lo, s40
	s_and_saveexec_b32 s40, s15
	s_cbranch_execnz .LBB89_568
.LBB89_346:                             ;   in Loop: Header=BB89_3 Depth=1
	s_or_b32 exec_lo, exec_lo, s40
	s_and_saveexec_b32 s40, s16
	s_cbranch_execnz .LBB89_569
.LBB89_347:                             ;   in Loop: Header=BB89_3 Depth=1
	s_or_b32 exec_lo, exec_lo, s40
	s_and_saveexec_b32 s40, s17
	s_cbranch_execnz .LBB89_570
.LBB89_348:                             ;   in Loop: Header=BB89_3 Depth=1
	s_or_b32 exec_lo, exec_lo, s40
	s_and_saveexec_b32 s40, s4
	s_cbranch_execnz .LBB89_571
.LBB89_349:                             ;   in Loop: Header=BB89_3 Depth=1
	s_or_b32 exec_lo, exec_lo, s40
	s_and_saveexec_b32 s40, s12
	s_cbranch_execz .LBB89_351
.LBB89_350:                             ;   in Loop: Header=BB89_3 Depth=1
	ds_load_b128 v[16:19], v1 offset:7920
	ds_load_b128 v[200:203], v44 offset:7680
	s_wait_dscnt 0x0
	v_mul_f64_e32 v[2:3], v[18:19], v[202:203]
	s_delay_alu instid0(VALU_DEP_1) | instskip(SKIP_1) | instid1(VALU_DEP_2)
	v_fma_f64 v[2:3], v[16:17], v[200:201], -v[2:3]
	v_mul_f64_e32 v[16:17], v[16:17], v[202:203]
	v_add_f64_e32 v[12:13], v[12:13], v[2:3]
	s_delay_alu instid0(VALU_DEP_2) | instskip(NEXT) | instid1(VALU_DEP_1)
	v_fmac_f64_e32 v[16:17], v[18:19], v[200:201]
	v_add_f64_e32 v[14:15], v[14:15], v[16:17]
.LBB89_351:                             ;   in Loop: Header=BB89_3 Depth=1
	s_or_b32 exec_lo, exec_lo, s40
.LBB89_352:                             ;   in Loop: Header=BB89_3 Depth=1
	s_delay_alu instid0(SALU_CYCLE_1)
	s_or_b32 exec_lo, exec_lo, s35
	s_and_saveexec_b32 s35, s74
	s_cbranch_execz .LBB89_354
; %bb.353:                              ;   in Loop: Header=BB89_3 Depth=1
	ds_load_b128 v[16:19], v1 offset:3696
	s_wait_dscnt 0x0
	v_mul_f64_e32 v[2:3], v[14:15], v[18:19]
	v_mul_f64_e32 v[18:19], v[12:13], v[18:19]
	s_delay_alu instid0(VALU_DEP_1) | instskip(NEXT) | instid1(VALU_DEP_1)
	v_fmac_f64_e32 v[18:19], v[14:15], v[16:17]
	v_dual_fma_f64 v[2:3], v[12:13], v[16:17], -v[2:3] :: v_dual_mov_b32 v14, v18
	s_delay_alu instid0(VALU_DEP_1) | instskip(NEXT) | instid1(VALU_DEP_3)
	v_xor_b32_e32 v13, 0x80000000, v3
	v_xor_b32_e32 v15, 0x80000000, v19
	s_delay_alu instid0(VALU_DEP_3)
	v_mov_b32_e32 v12, v2
	ds_store_b128 v53, v[12:15]
	v_mov_b64_e32 v[12:13], v[2:3]
	v_mov_b64_e32 v[14:15], v[18:19]
.LBB89_354:                             ;   in Loop: Header=BB89_3 Depth=1
	s_or_b32 exec_lo, exec_lo, s35
	s_wait_loadcnt_dscnt 0x0
	s_barrier_signal -1
	s_barrier_wait -1
	s_and_saveexec_b32 s35, s75
	s_cbranch_execz .LBB89_356
; %bb.355:                              ;   in Loop: Header=BB89_3 Depth=1
	ds_load_b128 v[16:19], v53
	ds_load_b128 v[200:203], v54 offset:3584
	s_wait_dscnt 0x0
	v_mul_f64_e32 v[2:3], v[18:19], v[202:203]
	s_delay_alu instid0(VALU_DEP_1) | instskip(SKIP_1) | instid1(VALU_DEP_2)
	v_fma_f64 v[2:3], v[16:17], v[200:201], -v[2:3]
	v_mul_f64_e32 v[16:17], v[16:17], v[202:203]
	v_add_f64_e64 v[12:13], v[12:13], -v[2:3]
	s_delay_alu instid0(VALU_DEP_2) | instskip(NEXT) | instid1(VALU_DEP_1)
	v_fmac_f64_e32 v[16:17], v[18:19], v[200:201]
	v_add_f64_e64 v[14:15], v[14:15], -v[16:17]
.LBB89_356:                             ;   in Loop: Header=BB89_3 Depth=1
	s_or_b32 exec_lo, exec_lo, s35
	s_barrier_signal -1
	s_barrier_wait -1
	s_and_saveexec_b32 s35, s76
	s_cbranch_execz .LBB89_358
; %bb.357:                              ;   in Loop: Header=BB89_3 Depth=1
	ds_load_b128 v[16:19], v1 offset:3168
	s_wait_dscnt 0x0
	v_mul_f64_e32 v[2:3], v[14:15], v[18:19]
	v_mul_f64_e32 v[18:19], v[12:13], v[18:19]
	s_delay_alu instid0(VALU_DEP_1) | instskip(NEXT) | instid1(VALU_DEP_1)
	v_fmac_f64_e32 v[18:19], v[14:15], v[16:17]
	v_dual_fma_f64 v[2:3], v[12:13], v[16:17], -v[2:3] :: v_dual_mov_b32 v14, v18
	s_delay_alu instid0(VALU_DEP_1) | instskip(NEXT) | instid1(VALU_DEP_3)
	v_xor_b32_e32 v13, 0x80000000, v3
	v_xor_b32_e32 v15, 0x80000000, v19
	s_delay_alu instid0(VALU_DEP_3)
	v_mov_b32_e32 v12, v2
	ds_store_b128 v53, v[12:15]
	v_mov_b64_e32 v[12:13], v[2:3]
	v_mov_b64_e32 v[14:15], v[18:19]
.LBB89_358:                             ;   in Loop: Header=BB89_3 Depth=1
	s_or_b32 exec_lo, exec_lo, s35
	s_wait_dscnt 0x0
	s_barrier_signal -1
	s_barrier_wait -1
	s_and_saveexec_b32 s35, s77
	s_cbranch_execz .LBB89_360
; %bb.359:                              ;   in Loop: Header=BB89_3 Depth=1
	ds_load_b128 v[16:19], v53
	ds_load_b128 v[200:203], v54 offset:3072
	s_wait_dscnt 0x0
	v_mul_f64_e32 v[2:3], v[18:19], v[202:203]
	s_delay_alu instid0(VALU_DEP_1) | instskip(SKIP_1) | instid1(VALU_DEP_2)
	v_fma_f64 v[2:3], v[16:17], v[200:201], -v[2:3]
	v_mul_f64_e32 v[16:17], v[16:17], v[202:203]
	v_add_f64_e64 v[12:13], v[12:13], -v[2:3]
	s_delay_alu instid0(VALU_DEP_2) | instskip(NEXT) | instid1(VALU_DEP_1)
	v_fmac_f64_e32 v[16:17], v[18:19], v[200:201]
	v_add_f64_e64 v[14:15], v[14:15], -v[16:17]
.LBB89_360:                             ;   in Loop: Header=BB89_3 Depth=1
	s_or_b32 exec_lo, exec_lo, s35
	s_barrier_signal -1
	s_barrier_wait -1
	s_and_saveexec_b32 s35, s78
	s_cbranch_execz .LBB89_362
; %bb.361:                              ;   in Loop: Header=BB89_3 Depth=1
	ds_load_b128 v[16:19], v1 offset:2640
	s_wait_dscnt 0x0
	v_mul_f64_e32 v[2:3], v[14:15], v[18:19]
	v_mul_f64_e32 v[18:19], v[12:13], v[18:19]
	s_delay_alu instid0(VALU_DEP_1) | instskip(NEXT) | instid1(VALU_DEP_1)
	v_fmac_f64_e32 v[18:19], v[14:15], v[16:17]
	v_dual_fma_f64 v[2:3], v[12:13], v[16:17], -v[2:3] :: v_dual_mov_b32 v14, v18
	s_delay_alu instid0(VALU_DEP_1) | instskip(NEXT) | instid1(VALU_DEP_3)
	v_xor_b32_e32 v13, 0x80000000, v3
	v_xor_b32_e32 v15, 0x80000000, v19
	s_delay_alu instid0(VALU_DEP_3)
	v_mov_b32_e32 v12, v2
	ds_store_b128 v53, v[12:15]
	v_mov_b64_e32 v[12:13], v[2:3]
	v_mov_b64_e32 v[14:15], v[18:19]
.LBB89_362:                             ;   in Loop: Header=BB89_3 Depth=1
	s_or_b32 exec_lo, exec_lo, s35
	s_wait_dscnt 0x0
	;; [unrolled: 41-line block ×6, first 2 shown]
	s_barrier_signal -1
	s_barrier_wait -1
	s_and_saveexec_b32 s35, s87
	s_cbranch_execz .LBB89_380
; %bb.379:                              ;   in Loop: Header=BB89_3 Depth=1
	ds_load_b128 v[16:19], v53
	ds_load_b128 v[200:203], v1 offset:512
	s_wait_dscnt 0x0
	v_mul_f64_e32 v[2:3], v[18:19], v[202:203]
	s_delay_alu instid0(VALU_DEP_1) | instskip(SKIP_1) | instid1(VALU_DEP_2)
	v_fma_f64 v[2:3], v[16:17], v[200:201], -v[2:3]
	v_mul_f64_e32 v[16:17], v[16:17], v[202:203]
	v_add_f64_e64 v[12:13], v[12:13], -v[2:3]
	s_delay_alu instid0(VALU_DEP_2) | instskip(NEXT) | instid1(VALU_DEP_1)
	v_fmac_f64_e32 v[16:17], v[18:19], v[200:201]
	v_add_f64_e64 v[14:15], v[14:15], -v[16:17]
.LBB89_380:                             ;   in Loop: Header=BB89_3 Depth=1
	s_or_b32 exec_lo, exec_lo, s35
	s_barrier_signal -1
	s_barrier_wait -1
	s_and_saveexec_b32 s35, s87
	s_cbranch_execz .LBB89_382
; %bb.381:                              ;   in Loop: Header=BB89_3 Depth=1
	ds_load_b128 v[16:19], v1
	s_wait_dscnt 0x0
	v_mul_f64_e32 v[2:3], v[14:15], v[18:19]
	v_mul_f64_e32 v[18:19], v[12:13], v[18:19]
	s_delay_alu instid0(VALU_DEP_1) | instskip(NEXT) | instid1(VALU_DEP_1)
	v_fmac_f64_e32 v[18:19], v[14:15], v[16:17]
	v_dual_fma_f64 v[2:3], v[12:13], v[16:17], -v[2:3] :: v_dual_mov_b32 v14, v18
	s_delay_alu instid0(VALU_DEP_1) | instskip(NEXT) | instid1(VALU_DEP_3)
	v_xor_b32_e32 v13, 0x80000000, v3
	v_xor_b32_e32 v15, 0x80000000, v19
	s_delay_alu instid0(VALU_DEP_3)
	v_mov_b32_e32 v12, v2
	ds_store_b128 v53, v[12:15]
	v_mov_b64_e32 v[12:13], v[2:3]
	v_mov_b64_e32 v[14:15], v[18:19]
.LBB89_382:                             ;   in Loop: Header=BB89_3 Depth=1
	s_or_b32 exec_lo, exec_lo, s35
	s_wait_dscnt 0x0
	s_barrier_signal -1
	s_barrier_wait -1
	s_barrier_signal -1
	s_barrier_wait -1
	s_and_saveexec_b32 s35, s5
; %bb.383:                              ;   in Loop: Header=BB89_3 Depth=1
	ds_store_b128 v56, v[12:15] offset:7680
; %bb.384:                              ;   in Loop: Header=BB89_3 Depth=1
	s_or_b32 exec_lo, exec_lo, s35
	s_wait_dscnt 0x0
	s_barrier_signal -1
	s_barrier_wait -1
	s_barrier_signal -1
	s_barrier_wait -1
	s_and_saveexec_b32 s35, s88
	s_cbranch_execz .LBB89_386
; %bb.385:                              ;   in Loop: Header=BB89_3 Depth=1
	ds_load_b128 v[12:15], v86
	s_wait_dscnt 0x0
	ds_store_b128 v179, v[12:15]
	ds_load_b128 v[12:15], v87
	s_wait_dscnt 0x0
	ds_store_b128 v180, v[12:15]
	;; [unrolled: 3-line block ×8, first 2 shown]
.LBB89_386:                             ;   in Loop: Header=BB89_3 Depth=1
	s_or_b32 exec_lo, exec_lo, s35
	s_wait_dscnt 0x0
	s_barrier_signal -1
	s_barrier_wait -1
	s_and_saveexec_b32 s35, s29
	s_cbranch_execz .LBB89_388
; %bb.387:                              ;   in Loop: Header=BB89_3 Depth=1
	ds_load_b128 v[12:15], v1 offset:3696
	ds_load_b128 v[16:19], v1 offset:3168
	s_wait_dscnt 0x0
	v_mul_f64_e32 v[2:3], v[14:15], v[18:19]
	v_mul_f64_e32 v[200:201], v[12:13], v[18:19]
	s_delay_alu instid0(VALU_DEP_2) | instskip(NEXT) | instid1(VALU_DEP_2)
	v_fma_f64 v[2:3], v[12:13], v[16:17], -v[2:3]
	v_fmac_f64_e32 v[200:201], v[14:15], v[16:17]
	ds_load_b128 v[12:15], v1 offset:3680
	s_wait_dscnt 0x0
	v_mul_f64_e32 v[18:19], v[2:3], v[14:15]
	v_mul_f64_e32 v[16:17], v[200:201], v[14:15]
	s_delay_alu instid0(VALU_DEP_2) | instskip(NEXT) | instid1(VALU_DEP_2)
	v_fmac_f64_e32 v[18:19], v[12:13], v[200:201]
	v_fma_f64 v[16:17], v[12:13], v[2:3], -v[16:17]
	ds_store_b128 v1, v[16:19] offset:3680
	ds_store_b128 v1, v[16:19] offset:3184
.LBB89_388:                             ;   in Loop: Header=BB89_3 Depth=1
	s_or_b32 exec_lo, exec_lo, s35
	v_mov_b64_e32 v[12:13], 0
	v_mov_b64_e32 v[14:15], 0
	s_wait_dscnt 0x0
	s_barrier_signal -1
	s_barrier_wait -1
	global_wb scope:SCOPE_DEV
	s_wait_storecnt 0x0
	global_inv scope:SCOPE_DEV
	s_and_saveexec_b32 s35, s2
	s_cbranch_execz .LBB89_392
; %bb.389:                              ;   in Loop: Header=BB89_3 Depth=1
	ds_load_b128 v[12:15], v43 offset:3680
	ds_load_b128 v[16:19], v42 offset:3136
	s_wait_dscnt 0x0
	v_mul_f64_e32 v[2:3], v[14:15], v[18:19]
	v_mul_f64_e32 v[18:19], v[12:13], v[18:19]
	s_delay_alu instid0(VALU_DEP_2) | instskip(NEXT) | instid1(VALU_DEP_2)
	v_fma_f64 v[2:3], v[12:13], v[16:17], -v[2:3]
	v_fmac_f64_e32 v[18:19], v[14:15], v[16:17]
	s_delay_alu instid0(VALU_DEP_2) | instskip(NEXT) | instid1(VALU_DEP_2)
	v_add_f64_e32 v[12:13], 0, v[2:3]
	v_add_f64_e32 v[14:15], 0, v[18:19]
	s_and_saveexec_b32 s40, s10
	s_cbranch_execz .LBB89_391
; %bb.390:                              ;   in Loop: Header=BB89_3 Depth=1
	ds_load_b128 v[16:19], v1 offset:3696
	ds_load_b128 v[200:203], v48 offset:3648
	s_wait_dscnt 0x0
	v_mul_f64_e32 v[2:3], v[18:19], v[202:203]
	s_delay_alu instid0(VALU_DEP_1) | instskip(SKIP_1) | instid1(VALU_DEP_2)
	v_fma_f64 v[2:3], v[16:17], v[200:201], -v[2:3]
	v_mul_f64_e32 v[16:17], v[16:17], v[202:203]
	v_add_f64_e32 v[12:13], v[12:13], v[2:3]
	s_delay_alu instid0(VALU_DEP_2) | instskip(NEXT) | instid1(VALU_DEP_1)
	v_fmac_f64_e32 v[16:17], v[18:19], v[200:201]
	v_add_f64_e32 v[14:15], v[14:15], v[16:17]
.LBB89_391:                             ;   in Loop: Header=BB89_3 Depth=1
	s_or_b32 exec_lo, exec_lo, s40
.LBB89_392:                             ;   in Loop: Header=BB89_3 Depth=1
	s_delay_alu instid0(SALU_CYCLE_1)
	s_or_b32 exec_lo, exec_lo, s35
	s_and_saveexec_b32 s35, s64
	s_cbranch_execz .LBB89_394
; %bb.393:                              ;   in Loop: Header=BB89_3 Depth=1
	ds_load_b128 v[16:19], v1 offset:2640
	s_wait_dscnt 0x0
	v_mul_f64_e32 v[2:3], v[14:15], v[18:19]
	v_mul_f64_e32 v[18:19], v[12:13], v[18:19]
	s_delay_alu instid0(VALU_DEP_1) | instskip(NEXT) | instid1(VALU_DEP_1)
	v_fmac_f64_e32 v[18:19], v[14:15], v[16:17]
	v_dual_fma_f64 v[2:3], v[12:13], v[16:17], -v[2:3] :: v_dual_mov_b32 v14, v18
	s_delay_alu instid0(VALU_DEP_1) | instskip(NEXT) | instid1(VALU_DEP_3)
	v_xor_b32_e32 v13, 0x80000000, v3
	v_xor_b32_e32 v15, 0x80000000, v19
	s_delay_alu instid0(VALU_DEP_3)
	v_mov_b32_e32 v12, v2
	ds_store_b128 v21, v[12:15]
	v_mov_b64_e32 v[12:13], v[2:3]
	v_mov_b64_e32 v[14:15], v[18:19]
.LBB89_394:                             ;   in Loop: Header=BB89_3 Depth=1
	s_or_b32 exec_lo, exec_lo, s35
	s_wait_loadcnt_dscnt 0x0
	s_barrier_signal -1
	s_barrier_wait -1
	s_and_saveexec_b32 s35, s65
	s_cbranch_execz .LBB89_396
; %bb.395:                              ;   in Loop: Header=BB89_3 Depth=1
	ds_load_b128 v[16:19], v21
	ds_load_b128 v[200:203], v1 offset:2624
	s_wait_dscnt 0x0
	v_mul_f64_e32 v[2:3], v[18:19], v[202:203]
	s_delay_alu instid0(VALU_DEP_1) | instskip(SKIP_1) | instid1(VALU_DEP_2)
	v_fma_f64 v[2:3], v[16:17], v[200:201], -v[2:3]
	v_mul_f64_e32 v[16:17], v[16:17], v[202:203]
	v_add_f64_e64 v[12:13], v[12:13], -v[2:3]
	s_delay_alu instid0(VALU_DEP_2) | instskip(NEXT) | instid1(VALU_DEP_1)
	v_fmac_f64_e32 v[16:17], v[18:19], v[200:201]
	v_add_f64_e64 v[14:15], v[14:15], -v[16:17]
.LBB89_396:                             ;   in Loop: Header=BB89_3 Depth=1
	s_or_b32 exec_lo, exec_lo, s35
	s_barrier_signal -1
	s_barrier_wait -1
	s_and_saveexec_b32 s35, s65
	s_cbranch_execz .LBB89_398
; %bb.397:                              ;   in Loop: Header=BB89_3 Depth=1
	ds_load_b128 v[16:19], v1 offset:2112
	s_wait_dscnt 0x0
	v_mul_f64_e32 v[2:3], v[14:15], v[18:19]
	v_mul_f64_e32 v[18:19], v[12:13], v[18:19]
	s_delay_alu instid0(VALU_DEP_1) | instskip(NEXT) | instid1(VALU_DEP_1)
	v_fmac_f64_e32 v[18:19], v[14:15], v[16:17]
	v_dual_fma_f64 v[2:3], v[12:13], v[16:17], -v[2:3] :: v_dual_mov_b32 v14, v18
	s_delay_alu instid0(VALU_DEP_1) | instskip(NEXT) | instid1(VALU_DEP_3)
	v_xor_b32_e32 v13, 0x80000000, v3
	v_xor_b32_e32 v15, 0x80000000, v19
	s_delay_alu instid0(VALU_DEP_3)
	v_mov_b32_e32 v12, v2
	ds_store_b128 v21, v[12:15]
	v_mov_b64_e32 v[12:13], v[2:3]
	v_mov_b64_e32 v[14:15], v[18:19]
.LBB89_398:                             ;   in Loop: Header=BB89_3 Depth=1
	s_or_b32 exec_lo, exec_lo, s35
	s_wait_dscnt 0x0
	s_barrier_signal -1
	s_barrier_wait -1
	s_barrier_signal -1
	s_barrier_wait -1
	s_and_saveexec_b32 s35, s2
; %bb.399:                              ;   in Loop: Header=BB89_3 Depth=1
	ds_store_b128 v45, v[12:15] offset:3648
; %bb.400:                              ;   in Loop: Header=BB89_3 Depth=1
	s_or_b32 exec_lo, exec_lo, s35
	s_wait_dscnt 0x0
	s_barrier_signal -1
	s_barrier_wait -1
	s_barrier_signal -1
	s_barrier_wait -1
	s_and_saveexec_b32 s35, s66
	s_cbranch_execz .LBB89_402
; %bb.401:                              ;   in Loop: Header=BB89_3 Depth=1
	ds_load_b128 v[12:15], v105
	s_wait_dscnt 0x0
	ds_store_b128 v187, v[12:15]
	ds_load_b128 v[12:15], v106
	s_wait_dscnt 0x0
	ds_store_b128 v188, v[12:15]
.LBB89_402:                             ;   in Loop: Header=BB89_3 Depth=1
	s_or_b32 exec_lo, exec_lo, s35
	s_wait_dscnt 0x0
	s_barrier_signal -1
	s_barrier_wait -1
	s_and_saveexec_b32 s35, s29
	s_cbranch_execz .LBB89_404
; %bb.403:                              ;   in Loop: Header=BB89_3 Depth=1
	ds_load_b128 v[12:15], v1 offset:2640
	ds_load_b128 v[16:19], v1 offset:2112
	s_wait_dscnt 0x0
	v_mul_f64_e32 v[2:3], v[14:15], v[18:19]
	v_mul_f64_e32 v[200:201], v[12:13], v[18:19]
	s_delay_alu instid0(VALU_DEP_2) | instskip(NEXT) | instid1(VALU_DEP_2)
	v_fma_f64 v[2:3], v[12:13], v[16:17], -v[2:3]
	v_fmac_f64_e32 v[200:201], v[14:15], v[16:17]
	ds_load_b128 v[12:15], v1 offset:2624
	s_wait_dscnt 0x0
	v_mul_f64_e32 v[18:19], v[2:3], v[14:15]
	v_mul_f64_e32 v[16:17], v[200:201], v[14:15]
	s_delay_alu instid0(VALU_DEP_2) | instskip(NEXT) | instid1(VALU_DEP_2)
	v_fmac_f64_e32 v[18:19], v[12:13], v[200:201]
	v_fma_f64 v[16:17], v[12:13], v[2:3], -v[16:17]
	ds_store_b128 v1, v[16:19] offset:2624
	ds_store_b128 v1, v[16:19] offset:2128
.LBB89_404:                             ;   in Loop: Header=BB89_3 Depth=1
	s_or_b32 exec_lo, exec_lo, s35
	v_mov_b64_e32 v[14:15], 0
	v_mov_b64_e32 v[12:13], 0
	s_wait_dscnt 0x0
	s_barrier_signal -1
	s_barrier_wait -1
	global_wb scope:SCOPE_DEV
	s_wait_storecnt 0x0
	global_inv scope:SCOPE_DEV
	s_and_saveexec_b32 s35, s4
	s_cbranch_execz .LBB89_410
; %bb.405:                              ;   in Loop: Header=BB89_3 Depth=1
	ds_load_b128 v[12:15], v51 offset:3648
	ds_load_b128 v[16:19], v50 offset:2048
	s_wait_dscnt 0x0
	v_mul_f64_e32 v[2:3], v[14:15], v[18:19]
	v_mul_f64_e32 v[18:19], v[12:13], v[18:19]
	s_delay_alu instid0(VALU_DEP_2) | instskip(NEXT) | instid1(VALU_DEP_2)
	v_fma_f64 v[2:3], v[12:13], v[16:17], -v[2:3]
	v_fmac_f64_e32 v[18:19], v[14:15], v[16:17]
	s_delay_alu instid0(VALU_DEP_2) | instskip(NEXT) | instid1(VALU_DEP_2)
	v_add_f64_e32 v[12:13], 0, v[2:3]
	v_add_f64_e32 v[14:15], 0, v[18:19]
	s_and_saveexec_b32 s40, s11
	s_cbranch_execnz .LBB89_572
; %bb.406:                              ;   in Loop: Header=BB89_3 Depth=1
	s_or_b32 exec_lo, exec_lo, s40
	s_and_saveexec_b32 s40, s12
	s_cbranch_execnz .LBB89_573
.LBB89_407:                             ;   in Loop: Header=BB89_3 Depth=1
	s_or_b32 exec_lo, exec_lo, s40
	s_and_saveexec_b32 s40, s2
	s_cbranch_execz .LBB89_409
.LBB89_408:                             ;   in Loop: Header=BB89_3 Depth=1
	ds_load_b128 v[16:19], v1 offset:3696
	ds_load_b128 v[200:203], v98 offset:3584
	s_wait_dscnt 0x0
	v_mul_f64_e32 v[2:3], v[18:19], v[202:203]
	s_delay_alu instid0(VALU_DEP_1) | instskip(SKIP_1) | instid1(VALU_DEP_2)
	v_fma_f64 v[2:3], v[16:17], v[200:201], -v[2:3]
	v_mul_f64_e32 v[16:17], v[16:17], v[202:203]
	v_add_f64_e32 v[12:13], v[12:13], v[2:3]
	s_delay_alu instid0(VALU_DEP_2) | instskip(NEXT) | instid1(VALU_DEP_1)
	v_fmac_f64_e32 v[16:17], v[18:19], v[200:201]
	v_add_f64_e32 v[14:15], v[14:15], v[16:17]
.LBB89_409:                             ;   in Loop: Header=BB89_3 Depth=1
	s_or_b32 exec_lo, exec_lo, s40
.LBB89_410:                             ;   in Loop: Header=BB89_3 Depth=1
	s_delay_alu instid0(SALU_CYCLE_1)
	s_or_b32 exec_lo, exec_lo, s35
	s_and_saveexec_b32 s35, s67
	s_cbranch_execz .LBB89_412
; %bb.411:                              ;   in Loop: Header=BB89_3 Depth=1
	ds_load_b128 v[16:19], v1 offset:1584
	s_wait_dscnt 0x0
	v_mul_f64_e32 v[2:3], v[14:15], v[18:19]
	v_mul_f64_e32 v[18:19], v[12:13], v[18:19]
	s_delay_alu instid0(VALU_DEP_1) | instskip(NEXT) | instid1(VALU_DEP_1)
	v_fmac_f64_e32 v[18:19], v[14:15], v[16:17]
	v_dual_fma_f64 v[2:3], v[12:13], v[16:17], -v[2:3] :: v_dual_mov_b32 v14, v18
	s_delay_alu instid0(VALU_DEP_1) | instskip(NEXT) | instid1(VALU_DEP_3)
	v_xor_b32_e32 v13, 0x80000000, v3
	v_xor_b32_e32 v15, 0x80000000, v19
	s_delay_alu instid0(VALU_DEP_3)
	v_mov_b32_e32 v12, v2
	ds_store_b128 v49, v[12:15]
	v_mov_b64_e32 v[12:13], v[2:3]
	v_mov_b64_e32 v[14:15], v[18:19]
.LBB89_412:                             ;   in Loop: Header=BB89_3 Depth=1
	s_or_b32 exec_lo, exec_lo, s35
	s_wait_loadcnt_dscnt 0x0
	s_barrier_signal -1
	s_barrier_wait -1
	s_and_saveexec_b32 s35, s68
	s_cbranch_execz .LBB89_414
; %bb.413:                              ;   in Loop: Header=BB89_3 Depth=1
	ds_load_b128 v[16:19], v49
	ds_load_b128 v[200:203], v50 offset:1536
	s_wait_dscnt 0x0
	v_mul_f64_e32 v[2:3], v[18:19], v[202:203]
	s_delay_alu instid0(VALU_DEP_1) | instskip(SKIP_1) | instid1(VALU_DEP_2)
	v_fma_f64 v[2:3], v[16:17], v[200:201], -v[2:3]
	v_mul_f64_e32 v[16:17], v[16:17], v[202:203]
	v_add_f64_e64 v[12:13], v[12:13], -v[2:3]
	s_delay_alu instid0(VALU_DEP_2) | instskip(NEXT) | instid1(VALU_DEP_1)
	v_fmac_f64_e32 v[16:17], v[18:19], v[200:201]
	v_add_f64_e64 v[14:15], v[14:15], -v[16:17]
.LBB89_414:                             ;   in Loop: Header=BB89_3 Depth=1
	s_or_b32 exec_lo, exec_lo, s35
	s_barrier_signal -1
	s_barrier_wait -1
	s_and_saveexec_b32 s35, s69
	s_cbranch_execz .LBB89_416
; %bb.415:                              ;   in Loop: Header=BB89_3 Depth=1
	ds_load_b128 v[16:19], v1 offset:1056
	s_wait_dscnt 0x0
	v_mul_f64_e32 v[2:3], v[14:15], v[18:19]
	v_mul_f64_e32 v[18:19], v[12:13], v[18:19]
	s_delay_alu instid0(VALU_DEP_1) | instskip(NEXT) | instid1(VALU_DEP_1)
	v_fmac_f64_e32 v[18:19], v[14:15], v[16:17]
	v_dual_fma_f64 v[2:3], v[12:13], v[16:17], -v[2:3] :: v_dual_mov_b32 v14, v18
	s_delay_alu instid0(VALU_DEP_1) | instskip(NEXT) | instid1(VALU_DEP_3)
	v_xor_b32_e32 v13, 0x80000000, v3
	v_xor_b32_e32 v15, 0x80000000, v19
	s_delay_alu instid0(VALU_DEP_3)
	v_mov_b32_e32 v12, v2
	ds_store_b128 v49, v[12:15]
	v_mov_b64_e32 v[12:13], v[2:3]
	v_mov_b64_e32 v[14:15], v[18:19]
.LBB89_416:                             ;   in Loop: Header=BB89_3 Depth=1
	s_or_b32 exec_lo, exec_lo, s35
	s_wait_dscnt 0x0
	s_barrier_signal -1
	s_barrier_wait -1
	s_and_saveexec_b32 s35, s70
	s_cbranch_execz .LBB89_418
; %bb.417:                              ;   in Loop: Header=BB89_3 Depth=1
	ds_load_b128 v[16:19], v49
	ds_load_b128 v[200:203], v50 offset:1024
	s_wait_dscnt 0x0
	v_mul_f64_e32 v[2:3], v[18:19], v[202:203]
	s_delay_alu instid0(VALU_DEP_1) | instskip(SKIP_1) | instid1(VALU_DEP_2)
	v_fma_f64 v[2:3], v[16:17], v[200:201], -v[2:3]
	v_mul_f64_e32 v[16:17], v[16:17], v[202:203]
	v_add_f64_e64 v[12:13], v[12:13], -v[2:3]
	s_delay_alu instid0(VALU_DEP_2) | instskip(NEXT) | instid1(VALU_DEP_1)
	v_fmac_f64_e32 v[16:17], v[18:19], v[200:201]
	v_add_f64_e64 v[14:15], v[14:15], -v[16:17]
.LBB89_418:                             ;   in Loop: Header=BB89_3 Depth=1
	s_or_b32 exec_lo, exec_lo, s35
	s_barrier_signal -1
	s_barrier_wait -1
	s_and_saveexec_b32 s35, s71
	s_cbranch_execz .LBB89_420
; %bb.419:                              ;   in Loop: Header=BB89_3 Depth=1
	ds_load_b128 v[16:19], v1 offset:528
	s_wait_dscnt 0x0
	v_mul_f64_e32 v[2:3], v[14:15], v[18:19]
	v_mul_f64_e32 v[18:19], v[12:13], v[18:19]
	s_delay_alu instid0(VALU_DEP_1) | instskip(NEXT) | instid1(VALU_DEP_1)
	v_fmac_f64_e32 v[18:19], v[14:15], v[16:17]
	v_dual_fma_f64 v[2:3], v[12:13], v[16:17], -v[2:3] :: v_dual_mov_b32 v14, v18
	s_delay_alu instid0(VALU_DEP_1) | instskip(NEXT) | instid1(VALU_DEP_3)
	v_xor_b32_e32 v13, 0x80000000, v3
	v_xor_b32_e32 v15, 0x80000000, v19
	s_delay_alu instid0(VALU_DEP_3)
	v_mov_b32_e32 v12, v2
	ds_store_b128 v49, v[12:15]
	v_mov_b64_e32 v[12:13], v[2:3]
	v_mov_b64_e32 v[14:15], v[18:19]
.LBB89_420:                             ;   in Loop: Header=BB89_3 Depth=1
	s_or_b32 exec_lo, exec_lo, s35
	s_wait_dscnt 0x0
	s_barrier_signal -1
	s_barrier_wait -1
	s_and_saveexec_b32 s35, s72
	s_cbranch_execz .LBB89_422
; %bb.421:                              ;   in Loop: Header=BB89_3 Depth=1
	ds_load_b128 v[16:19], v49
	ds_load_b128 v[200:203], v1 offset:512
	s_wait_dscnt 0x0
	v_mul_f64_e32 v[2:3], v[18:19], v[202:203]
	s_delay_alu instid0(VALU_DEP_1) | instskip(SKIP_1) | instid1(VALU_DEP_2)
	v_fma_f64 v[2:3], v[16:17], v[200:201], -v[2:3]
	v_mul_f64_e32 v[16:17], v[16:17], v[202:203]
	v_add_f64_e64 v[12:13], v[12:13], -v[2:3]
	s_delay_alu instid0(VALU_DEP_2) | instskip(NEXT) | instid1(VALU_DEP_1)
	v_fmac_f64_e32 v[16:17], v[18:19], v[200:201]
	v_add_f64_e64 v[14:15], v[14:15], -v[16:17]
.LBB89_422:                             ;   in Loop: Header=BB89_3 Depth=1
	s_or_b32 exec_lo, exec_lo, s35
	s_barrier_signal -1
	s_barrier_wait -1
	s_and_saveexec_b32 s35, s72
	s_cbranch_execz .LBB89_424
; %bb.423:                              ;   in Loop: Header=BB89_3 Depth=1
	ds_load_b128 v[16:19], v1
	s_wait_dscnt 0x0
	v_mul_f64_e32 v[2:3], v[14:15], v[18:19]
	v_mul_f64_e32 v[18:19], v[12:13], v[18:19]
	s_delay_alu instid0(VALU_DEP_1) | instskip(NEXT) | instid1(VALU_DEP_1)
	v_fmac_f64_e32 v[18:19], v[14:15], v[16:17]
	v_dual_fma_f64 v[2:3], v[12:13], v[16:17], -v[2:3] :: v_dual_mov_b32 v14, v18
	s_delay_alu instid0(VALU_DEP_1) | instskip(NEXT) | instid1(VALU_DEP_3)
	v_xor_b32_e32 v13, 0x80000000, v3
	v_xor_b32_e32 v15, 0x80000000, v19
	s_delay_alu instid0(VALU_DEP_3)
	v_mov_b32_e32 v12, v2
	ds_store_b128 v49, v[12:15]
	v_mov_b64_e32 v[12:13], v[2:3]
	v_mov_b64_e32 v[14:15], v[18:19]
.LBB89_424:                             ;   in Loop: Header=BB89_3 Depth=1
	s_or_b32 exec_lo, exec_lo, s35
	s_wait_dscnt 0x0
	s_barrier_signal -1
	s_barrier_wait -1
	s_barrier_signal -1
	s_barrier_wait -1
	s_and_saveexec_b32 s35, s4
; %bb.425:                              ;   in Loop: Header=BB89_3 Depth=1
	ds_store_b128 v52, v[12:15] offset:3584
; %bb.426:                              ;   in Loop: Header=BB89_3 Depth=1
	s_or_b32 exec_lo, exec_lo, s35
	s_wait_dscnt 0x0
	s_barrier_signal -1
	s_barrier_wait -1
	s_barrier_signal -1
	s_barrier_wait -1
	s_and_saveexec_b32 s35, s73
	s_cbranch_execz .LBB89_428
; %bb.427:                              ;   in Loop: Header=BB89_3 Depth=1
	ds_load_b128 v[12:15], v116
	s_wait_dscnt 0x0
	ds_store_b128 v189, v[12:15]
	ds_load_b128 v[12:15], v119
	s_wait_dscnt 0x0
	ds_store_b128 v192, v[12:15]
	;; [unrolled: 3-line block ×4, first 2 shown]
.LBB89_428:                             ;   in Loop: Header=BB89_3 Depth=1
	s_or_b32 exec_lo, exec_lo, s35
	s_wait_dscnt 0x0
	s_barrier_signal -1
	s_barrier_wait -1
	s_and_saveexec_b32 s35, s29
	s_cbranch_execz .LBB89_430
; %bb.429:                              ;   in Loop: Header=BB89_3 Depth=1
	ds_load_b128 v[12:15], v1 offset:1584
	ds_load_b128 v[16:19], v1 offset:1056
	s_wait_dscnt 0x0
	v_mul_f64_e32 v[2:3], v[14:15], v[18:19]
	v_mul_f64_e32 v[200:201], v[12:13], v[18:19]
	s_delay_alu instid0(VALU_DEP_2) | instskip(NEXT) | instid1(VALU_DEP_2)
	v_fma_f64 v[2:3], v[12:13], v[16:17], -v[2:3]
	v_fmac_f64_e32 v[200:201], v[14:15], v[16:17]
	ds_load_b128 v[12:15], v1 offset:1568
	s_wait_dscnt 0x0
	v_mul_f64_e32 v[18:19], v[2:3], v[14:15]
	v_mul_f64_e32 v[16:17], v[200:201], v[14:15]
	s_delay_alu instid0(VALU_DEP_2) | instskip(NEXT) | instid1(VALU_DEP_2)
	v_fmac_f64_e32 v[18:19], v[12:13], v[200:201]
	v_fma_f64 v[16:17], v[12:13], v[2:3], -v[16:17]
	ds_store_b128 v1, v[16:19] offset:1568
	ds_store_b128 v1, v[16:19] offset:1072
.LBB89_430:                             ;   in Loop: Header=BB89_3 Depth=1
	s_or_b32 exec_lo, exec_lo, s35
	v_mov_b64_e32 v[12:13], 0
	v_mov_b64_e32 v[14:15], 0
	s_wait_dscnt 0x0
	s_barrier_signal -1
	s_barrier_wait -1
	global_wb scope:SCOPE_DEV
	s_wait_storecnt 0x0
	global_inv scope:SCOPE_DEV
	s_and_saveexec_b32 s35, s2
	s_cbranch_execz .LBB89_434
; %bb.431:                              ;   in Loop: Header=BB89_3 Depth=1
	ds_load_b128 v[12:15], v43 offset:1568
	ds_load_b128 v[16:19], v42 offset:1024
	s_wait_dscnt 0x0
	v_mul_f64_e32 v[2:3], v[14:15], v[18:19]
	v_mul_f64_e32 v[18:19], v[12:13], v[18:19]
	s_delay_alu instid0(VALU_DEP_2) | instskip(NEXT) | instid1(VALU_DEP_2)
	v_fma_f64 v[2:3], v[12:13], v[16:17], -v[2:3]
	v_fmac_f64_e32 v[18:19], v[14:15], v[16:17]
	s_delay_alu instid0(VALU_DEP_2) | instskip(NEXT) | instid1(VALU_DEP_2)
	v_add_f64_e32 v[12:13], 0, v[2:3]
	v_add_f64_e32 v[14:15], 0, v[18:19]
	s_and_saveexec_b32 s40, s10
	s_cbranch_execz .LBB89_433
; %bb.432:                              ;   in Loop: Header=BB89_3 Depth=1
	ds_load_b128 v[16:19], v1 offset:1584
	ds_load_b128 v[200:203], v109 offset:1536
	s_wait_dscnt 0x0
	v_mul_f64_e32 v[2:3], v[18:19], v[202:203]
	s_delay_alu instid0(VALU_DEP_1) | instskip(SKIP_1) | instid1(VALU_DEP_2)
	v_fma_f64 v[2:3], v[16:17], v[200:201], -v[2:3]
	v_mul_f64_e32 v[16:17], v[16:17], v[202:203]
	v_add_f64_e32 v[12:13], v[12:13], v[2:3]
	s_delay_alu instid0(VALU_DEP_2) | instskip(NEXT) | instid1(VALU_DEP_1)
	v_fmac_f64_e32 v[16:17], v[18:19], v[200:201]
	v_add_f64_e32 v[14:15], v[14:15], v[16:17]
.LBB89_433:                             ;   in Loop: Header=BB89_3 Depth=1
	s_or_b32 exec_lo, exec_lo, s40
.LBB89_434:                             ;   in Loop: Header=BB89_3 Depth=1
	s_delay_alu instid0(SALU_CYCLE_1)
	s_or_b32 exec_lo, exec_lo, s35
	s_and_saveexec_b32 s35, s64
	s_cbranch_execz .LBB89_436
; %bb.435:                              ;   in Loop: Header=BB89_3 Depth=1
	ds_load_b128 v[16:19], v1 offset:528
	s_wait_dscnt 0x0
	v_mul_f64_e32 v[2:3], v[14:15], v[18:19]
	v_mul_f64_e32 v[18:19], v[12:13], v[18:19]
	s_delay_alu instid0(VALU_DEP_1) | instskip(NEXT) | instid1(VALU_DEP_1)
	v_fmac_f64_e32 v[18:19], v[14:15], v[16:17]
	v_dual_fma_f64 v[2:3], v[12:13], v[16:17], -v[2:3] :: v_dual_mov_b32 v14, v18
	s_delay_alu instid0(VALU_DEP_1) | instskip(NEXT) | instid1(VALU_DEP_3)
	v_xor_b32_e32 v13, 0x80000000, v3
	v_xor_b32_e32 v15, 0x80000000, v19
	s_delay_alu instid0(VALU_DEP_3)
	v_mov_b32_e32 v12, v2
	ds_store_b128 v21, v[12:15]
	v_mov_b64_e32 v[12:13], v[2:3]
	v_mov_b64_e32 v[14:15], v[18:19]
.LBB89_436:                             ;   in Loop: Header=BB89_3 Depth=1
	s_or_b32 exec_lo, exec_lo, s35
	s_wait_loadcnt_dscnt 0x0
	s_barrier_signal -1
	s_barrier_wait -1
	s_and_saveexec_b32 s35, s65
	s_cbranch_execz .LBB89_438
; %bb.437:                              ;   in Loop: Header=BB89_3 Depth=1
	ds_load_b128 v[16:19], v21
	ds_load_b128 v[200:203], v1 offset:512
	s_wait_dscnt 0x0
	v_mul_f64_e32 v[2:3], v[18:19], v[202:203]
	s_delay_alu instid0(VALU_DEP_1) | instskip(SKIP_1) | instid1(VALU_DEP_2)
	v_fma_f64 v[2:3], v[16:17], v[200:201], -v[2:3]
	v_mul_f64_e32 v[16:17], v[16:17], v[202:203]
	v_add_f64_e64 v[12:13], v[12:13], -v[2:3]
	s_delay_alu instid0(VALU_DEP_2) | instskip(NEXT) | instid1(VALU_DEP_1)
	v_fmac_f64_e32 v[16:17], v[18:19], v[200:201]
	v_add_f64_e64 v[14:15], v[14:15], -v[16:17]
.LBB89_438:                             ;   in Loop: Header=BB89_3 Depth=1
	s_or_b32 exec_lo, exec_lo, s35
	s_barrier_signal -1
	s_barrier_wait -1
	s_and_saveexec_b32 s35, s65
	s_cbranch_execz .LBB89_440
; %bb.439:                              ;   in Loop: Header=BB89_3 Depth=1
	ds_load_b128 v[16:19], v1
	s_wait_dscnt 0x0
	v_mul_f64_e32 v[2:3], v[14:15], v[18:19]
	v_mul_f64_e32 v[18:19], v[12:13], v[18:19]
	s_delay_alu instid0(VALU_DEP_1) | instskip(NEXT) | instid1(VALU_DEP_1)
	v_fmac_f64_e32 v[18:19], v[14:15], v[16:17]
	v_dual_fma_f64 v[2:3], v[12:13], v[16:17], -v[2:3] :: v_dual_mov_b32 v14, v18
	s_delay_alu instid0(VALU_DEP_1) | instskip(NEXT) | instid1(VALU_DEP_3)
	v_xor_b32_e32 v13, 0x80000000, v3
	v_xor_b32_e32 v15, 0x80000000, v19
	s_delay_alu instid0(VALU_DEP_3)
	v_mov_b32_e32 v12, v2
	ds_store_b128 v21, v[12:15]
	v_mov_b64_e32 v[12:13], v[2:3]
	v_mov_b64_e32 v[14:15], v[18:19]
.LBB89_440:                             ;   in Loop: Header=BB89_3 Depth=1
	s_or_b32 exec_lo, exec_lo, s35
	s_wait_dscnt 0x0
	s_barrier_signal -1
	s_barrier_wait -1
	s_barrier_signal -1
	s_barrier_wait -1
	s_and_saveexec_b32 s35, s2
; %bb.441:                              ;   in Loop: Header=BB89_3 Depth=1
	ds_store_b128 v45, v[12:15] offset:1536
; %bb.442:                              ;   in Loop: Header=BB89_3 Depth=1
	s_or_b32 exec_lo, exec_lo, s35
	s_wait_dscnt 0x0
	s_barrier_signal -1
	s_barrier_wait -1
	s_barrier_signal -1
	s_barrier_wait -1
	s_and_saveexec_b32 s35, s66
	s_cbranch_execz .LBB89_444
; %bb.443:                              ;   in Loop: Header=BB89_3 Depth=1
	ds_load_b128 v[12:15], v122
	s_wait_dscnt 0x0
	ds_store_b128 v129, v[12:15]
	ds_load_b128 v[12:15], v123
	s_wait_dscnt 0x0
	ds_store_b128 v130, v[12:15]
.LBB89_444:                             ;   in Loop: Header=BB89_3 Depth=1
	s_or_b32 exec_lo, exec_lo, s35
	s_wait_dscnt 0x0
	s_barrier_signal -1
	s_barrier_wait -1
	s_and_saveexec_b32 s35, s29
	s_cbranch_execz .LBB89_446
; %bb.445:                              ;   in Loop: Header=BB89_3 Depth=1
	ds_load_b128 v[12:15], v1 offset:528
	ds_load_b128 v[16:19], v1
	s_wait_dscnt 0x0
	v_mul_f64_e32 v[2:3], v[14:15], v[18:19]
	v_mul_f64_e32 v[200:201], v[12:13], v[18:19]
	s_delay_alu instid0(VALU_DEP_2) | instskip(NEXT) | instid1(VALU_DEP_2)
	v_fma_f64 v[2:3], v[12:13], v[16:17], -v[2:3]
	v_fmac_f64_e32 v[200:201], v[14:15], v[16:17]
	ds_load_b128 v[12:15], v1 offset:512
	s_wait_dscnt 0x0
	v_mul_f64_e32 v[18:19], v[2:3], v[14:15]
	v_mul_f64_e32 v[16:17], v[200:201], v[14:15]
	s_delay_alu instid0(VALU_DEP_2) | instskip(NEXT) | instid1(VALU_DEP_2)
	v_fmac_f64_e32 v[18:19], v[12:13], v[200:201]
	v_fma_f64 v[16:17], v[12:13], v[2:3], -v[16:17]
	ds_store_b128 v1, v[16:19] offset:512
	ds_store_b128 v1, v[16:19] offset:16
.LBB89_446:                             ;   in Loop: Header=BB89_3 Depth=1
	s_or_b32 exec_lo, exec_lo, s35
.LBB89_447:                             ;   in Loop: Header=BB89_3 Depth=1
	v_mov_b64_e32 v[12:13], 0
	v_mov_b64_e32 v[14:15], 0
	s_mul_u64 s[40:41], s[38:39], s[52:53]
	s_wait_dscnt 0x0
	s_lshl_b64 s[40:41], s[40:41], 4
	s_barrier_signal -1
	s_add_nc_u64 s[40:41], s[48:49], s[40:41]
	s_barrier_wait -1
	s_and_saveexec_b32 s35, s90
	s_cbranch_execz .LBB89_449
; %bb.448:                              ;   in Loop: Header=BB89_3 Depth=1
	v_lshl_add_u64 v[2:3], v[30:31], 4, s[40:41]
	global_load_b128 v[14:17], v[2:3], off
	s_wait_loadcnt 0x0
	v_mul_f64_e32 v[2:3], s[44:45], v[14:15]
	s_delay_alu instid0(VALU_DEP_1) | instskip(SKIP_1) | instid1(VALU_DEP_1)
	v_fma_f64 v[12:13], s[46:47], v[16:17], -v[2:3]
	v_mul_f64_e32 v[2:3], s[44:45], v[16:17]
	v_fma_f64 v[14:15], v[14:15], -s[46:47], -v[2:3]
.LBB89_449:                             ;   in Loop: Header=BB89_3 Depth=1
	s_or_b32 exec_lo, exec_lo, s35
	s_delay_alu instid0(SALU_CYCLE_1)
	s_and_not1_b32 vcc_lo, exec_lo, s91
	s_cbranch_vccnz .LBB89_472
; %bb.450:                              ;   in Loop: Header=BB89_3 Depth=1
	v_mov_b32_e32 v199, -1
	s_lshl_b64 s[56:57], s[52:53], 2
	s_mov_b32 s95, 0
	s_add_nc_u64 s[56:57], s[54:55], s[56:57]
	s_branch .LBB89_453
.LBB89_451:                             ;   in Loop: Header=BB89_453 Depth=2
	ds_load_b128 v[200:203], v125 offset:256
	s_wait_loadcnt_dscnt 0x0
	v_mul_f64_e32 v[2:3], v[18:19], v[202:203]
	s_delay_alu instid0(VALU_DEP_1) | instskip(SKIP_1) | instid1(VALU_DEP_2)
	v_fma_f64 v[2:3], v[16:17], v[200:201], -v[2:3]
	v_mul_f64_e32 v[16:17], v[16:17], v[202:203]
	v_add_f64_e32 v[12:13], v[12:13], v[2:3]
	s_delay_alu instid0(VALU_DEP_2) | instskip(NEXT) | instid1(VALU_DEP_1)
	v_fmac_f64_e32 v[16:17], v[18:19], v[200:201]
	v_add_f64_e32 v[14:15], v[14:15], v[16:17]
.LBB89_452:                             ;   in Loop: Header=BB89_453 Depth=2
	s_or_b32 exec_lo, exec_lo, s35
	s_add_co_i32 s95, s95, 1
	s_delay_alu instid0(SALU_CYCLE_1)
	s_cmp_eq_u32 s95, s60
	s_cbranch_scc1 .LBB89_472
.LBB89_453:                             ;   Parent Loop BB89_3 Depth=1
                                        ; =>  This Loop Header: Depth=2
                                        ;       Child Loop BB89_455 Depth 3
	v_cmp_gt_i32_e32 vcc_lo, s95, v199
	s_and_b32 s96, s33, vcc_lo
	s_delay_alu instid0(SALU_CYCLE_1)
	s_and_saveexec_b32 s35, s96
	s_cbranch_execz .LBB89_456
; %bb.454:                              ;   in Loop: Header=BB89_453 Depth=2
	global_load_b32 v199, v1, s[56:57]
	s_wait_loadcnt 0x0
	v_cmp_le_i32_e32 vcc_lo, s95, v199
	s_cbranch_vccnz .LBB89_456
.LBB89_455:                             ;   Parent Loop BB89_3 Depth=1
                                        ;     Parent Loop BB89_453 Depth=2
                                        ; =>    This Inner Loop Header: Depth=3
	global_wb scope:SCOPE_DEV
	s_wait_storecnt 0x0
	global_inv scope:SCOPE_DEV
	global_load_b32 v199, v1, s[56:57]
	s_wait_loadcnt 0x0
	v_cmp_gt_i32_e32 vcc_lo, s95, v199
	s_cbranch_vccnz .LBB89_455
.LBB89_456:                             ;   in Loop: Header=BB89_453 Depth=2
	s_or_b32 exec_lo, exec_lo, s35
	s_lshl_b32 s35, s95, 5
	global_wb scope:SCOPE_DEV
	s_wait_storecnt 0x0
	global_inv scope:SCOPE_DEV
	s_wait_loadcnt 0x0
	s_barrier_signal -1
	s_barrier_wait -1
	s_and_saveexec_b32 s96, s34
	s_cbranch_execz .LBB89_461
; %bb.457:                              ;   in Loop: Header=BB89_453 Depth=2
	v_or_b32_e32 v0, s35, v22
	s_delay_alu instid0(VALU_DEP_1) | instskip(SKIP_1) | instid1(SALU_CYCLE_1)
	v_cmp_le_i32_e32 vcc_lo, s59, v0
	s_and_saveexec_b32 s97, vcc_lo
	s_xor_b32 vcc_lo, exec_lo, s97
; %bb.458:                              ;   in Loop: Header=BB89_453 Depth=2
	v_dual_mov_b32 v0, v1 :: v_dual_mov_b32 v2, v1
	v_mov_b32_e32 v3, v1
	ds_store_b128 v195, v[0:3]
; %bb.459:                              ;   in Loop: Header=BB89_453 Depth=2
	s_and_not1_saveexec_b32 s97, vcc_lo
	s_cbranch_execz .LBB89_461
; %bb.460:                              ;   in Loop: Header=BB89_453 Depth=2
	v_mul_u64_e32 v[2:3], s[36:37], v[0:1]
	s_delay_alu instid0(VALU_DEP_1)
	v_lshl_add_u64 v[2:3], v[2:3], 4, s[40:41]
	global_load_b128 v[16:19], v[2:3], off
	s_wait_loadcnt 0x0
	ds_store_2addr_b64 v195, v[16:17], v[18:19] offset1:1
.LBB89_461:                             ;   in Loop: Header=BB89_453 Depth=2
	s_or_b32 exec_lo, exec_lo, s96
	v_add_nc_u32_e32 v0, s35, v40
	v_cmp_ne_u32_e32 vcc_lo, s95, v41
	s_wait_dscnt 0x0
	s_barrier_signal -1
	s_barrier_wait -1
	v_cmp_gt_i32_e64 s35, s59, v0
	v_lshl_add_u64 v[2:3], v[0:1], 4, v[38:39]
	v_cndmask_b32_e64 v200, 0, 1, vcc_lo
	s_and_b32 s96, s35, s0
	s_delay_alu instid0(SALU_CYCLE_1)
	s_and_saveexec_b32 s35, s96
	s_cbranch_execz .LBB89_467
; %bb.462:                              ;   in Loop: Header=BB89_453 Depth=2
	v_mov_b64_e32 v[16:17], v[4:5]
	s_and_not1_b32 vcc_lo, exec_lo, vcc_lo
	s_cbranch_vccnz .LBB89_464
; %bb.463:                              ;   in Loop: Header=BB89_453 Depth=2
	global_load_b64 v[16:17], v[2:3], off
.LBB89_464:                             ;   in Loop: Header=BB89_453 Depth=2
	v_cmp_ne_u32_e32 vcc_lo, 1, v200
	v_mov_b64_e32 v[18:19], v[6:7]
	s_cbranch_vccnz .LBB89_466
; %bb.465:                              ;   in Loop: Header=BB89_453 Depth=2
	global_load_b64 v[18:19], v[2:3], off offset:8
.LBB89_466:                             ;   in Loop: Header=BB89_453 Depth=2
	ds_load_b128 v[202:205], v125
	s_wait_loadcnt_dscnt 0x0
	v_mul_f64_e32 v[206:207], v[18:19], v[204:205]
	s_delay_alu instid0(VALU_DEP_1) | instskip(SKIP_1) | instid1(VALU_DEP_2)
	v_fma_f64 v[206:207], v[16:17], v[202:203], -v[206:207]
	v_mul_f64_e32 v[16:17], v[16:17], v[204:205]
	v_add_f64_e32 v[12:13], v[12:13], v[206:207]
	s_delay_alu instid0(VALU_DEP_2) | instskip(NEXT) | instid1(VALU_DEP_1)
	v_fmac_f64_e32 v[16:17], v[18:19], v[202:203]
	v_add_f64_e32 v[14:15], v[14:15], v[16:17]
.LBB89_467:                             ;   in Loop: Header=BB89_453 Depth=2
	s_or_b32 exec_lo, exec_lo, s35
	v_add_nc_u32_e32 v0, 16, v0
	s_delay_alu instid0(VALU_DEP_1) | instskip(SKIP_1) | instid1(SALU_CYCLE_1)
	v_cmp_gt_i32_e32 vcc_lo, s59, v0
	s_and_b32 s96, vcc_lo, s0
	s_and_saveexec_b32 s35, s96
	s_cbranch_execz .LBB89_452
; %bb.468:                              ;   in Loop: Header=BB89_453 Depth=2
	v_cmp_ne_u32_e32 vcc_lo, 1, v200
	v_mov_b64_e32 v[16:17], v[8:9]
	s_cbranch_vccnz .LBB89_470
; %bb.469:                              ;   in Loop: Header=BB89_453 Depth=2
	global_load_b64 v[16:17], v[2:3], off offset:256
.LBB89_470:                             ;   in Loop: Header=BB89_453 Depth=2
	v_cmp_ne_u32_e32 vcc_lo, 1, v200
	v_mov_b64_e32 v[18:19], v[10:11]
	s_cbranch_vccnz .LBB89_451
; %bb.471:                              ;   in Loop: Header=BB89_453 Depth=2
	global_load_b64 v[18:19], v[2:3], off offset:264
	s_branch .LBB89_451
.LBB89_472:                             ;   in Loop: Header=BB89_3 Depth=1
	ds_store_b128 v196, v[12:15]
	s_wait_dscnt 0x0
	s_barrier_signal -1
	s_barrier_wait -1
	s_and_saveexec_b32 s35, s3
	s_cbranch_execz .LBB89_474
; %bb.473:                              ;   in Loop: Header=BB89_3 Depth=1
	ds_load_b128 v[16:19], v197 offset:512
	s_wait_dscnt 0x0
	v_add_f64_e32 v[2:3], v[12:13], v[16:17]
	v_add_f64_e32 v[16:17], v[14:15], v[18:19]
	ds_load_b128 v[12:15], v197 offset:1024
	s_wait_dscnt 0x0
	v_add_f64_e32 v[2:3], v[2:3], v[12:13]
	v_add_f64_e32 v[16:17], v[16:17], v[14:15]
	;; [unrolled: 4-line block ×15, first 2 shown]
	s_delay_alu instid0(VALU_DEP_2) | instskip(NEXT) | instid1(VALU_DEP_2)
	v_xor_b32_e32 v0, 0x80000000, v3
	v_xor_b32_e32 v3, 0x80000000, v15
	s_delay_alu instid0(VALU_DEP_4) | instskip(NEXT) | instid1(VALU_DEP_4)
	v_cndmask_b32_e64 v12, v2, 0, s89
	v_cndmask_b32_e64 v14, v14, 0, s89
	s_delay_alu instid0(VALU_DEP_4) | instskip(NEXT) | instid1(VALU_DEP_4)
	v_cndmask_b32_e64 v13, v0, 0, s89
	v_cndmask_b32_e64 v15, v3, 0, s89
.LBB89_474:                             ;   in Loop: Header=BB89_3 Depth=1
	s_or_b32 exec_lo, exec_lo, s35
	s_delay_alu instid0(SALU_CYCLE_1)
	s_and_not1_b32 vcc_lo, exec_lo, s63
	s_cbranch_vccnz .LBB89_483
; %bb.475:                              ;   in Loop: Header=BB89_3 Depth=1
	s_and_saveexec_b32 s35, s3
; %bb.476:                              ;   in Loop: Header=BB89_3 Depth=1
	ds_store_b128 v198, v[12:15]
; %bb.477:                              ;   in Loop: Header=BB89_3 Depth=1
	s_or_b32 exec_lo, exec_lo, s35
	v_mov_b64_e32 v[16:17], 0
	v_mov_b64_e32 v[18:19], 0
	s_wait_dscnt 0x0
	s_barrier_signal -1
	s_barrier_wait -1
	s_and_saveexec_b32 s35, s1
	s_cbranch_execz .LBB89_479
; %bb.478:                              ;   in Loop: Header=BB89_3 Depth=1
	ds_load_b128 v[16:19], v125
	ds_load_b128 v[200:203], v131
	s_wait_dscnt 0x0
	v_mul_f64_e32 v[2:3], v[18:19], v[202:203]
	v_mul_f64_e32 v[38:39], v[16:17], v[202:203]
	s_delay_alu instid0(VALU_DEP_2) | instskip(NEXT) | instid1(VALU_DEP_2)
	v_fma_f64 v[2:3], v[16:17], v[200:201], -v[2:3]
	v_fmac_f64_e32 v[38:39], v[18:19], v[200:201]
	s_delay_alu instid0(VALU_DEP_2) | instskip(NEXT) | instid1(VALU_DEP_2)
	v_add_f64_e32 v[16:17], 0, v[2:3]
	v_add_f64_e32 v[18:19], 0, v[38:39]
.LBB89_479:                             ;   in Loop: Header=BB89_3 Depth=1
	s_or_b32 exec_lo, exec_lo, s35
	s_and_saveexec_b32 s35, s7
	s_cbranch_execz .LBB89_481
; %bb.480:                              ;   in Loop: Header=BB89_3 Depth=1
	ds_load_b128 v[200:203], v125 offset:256
	ds_load_b128 v[204:207], v131 offset:8192
	s_wait_dscnt 0x0
	v_mul_f64_e32 v[2:3], v[202:203], v[206:207]
	v_mul_f64_e32 v[38:39], v[200:201], v[206:207]
	s_delay_alu instid0(VALU_DEP_2) | instskip(NEXT) | instid1(VALU_DEP_2)
	v_fma_f64 v[2:3], v[200:201], v[204:205], -v[2:3]
	v_fmac_f64_e32 v[38:39], v[202:203], v[204:205]
	s_delay_alu instid0(VALU_DEP_2) | instskip(NEXT) | instid1(VALU_DEP_2)
	v_add_f64_e32 v[16:17], v[16:17], v[2:3]
	v_add_f64_e32 v[18:19], v[18:19], v[38:39]
.LBB89_481:                             ;   in Loop: Header=BB89_3 Depth=1
	s_or_b32 exec_lo, exec_lo, s35
	s_mov_b32 s56, 0
	s_mov_b32 s35, 0
	ds_store_b128 v196, v[16:19]
	s_wait_dscnt 0x0
	s_barrier_signal -1
	s_barrier_wait -1
                                        ; implicit-def: $vgpr2_vgpr3
                                        ; implicit-def: $vgpr38_vgpr39
	s_and_saveexec_b32 s57, s3
	s_cbranch_execz .LBB89_545
; %bb.482:                              ;   in Loop: Header=BB89_3 Depth=1
	ds_load_b128 v[200:203], v197 offset:512
	s_mov_b32 s35, exec_lo
	s_wait_dscnt 0x0
	v_add_f64_e32 v[2:3], v[16:17], v[200:201]
	v_add_f64_e32 v[38:39], v[18:19], v[202:203]
	ds_load_b128 v[16:19], v197 offset:1024
	s_wait_dscnt 0x0
	v_add_f64_e32 v[2:3], v[2:3], v[16:17]
	v_add_f64_e32 v[38:39], v[38:39], v[18:19]
	ds_load_b128 v[16:19], v197 offset:1536
	s_wait_dscnt 0x0
	v_add_f64_e32 v[2:3], v[2:3], v[16:17]
	v_add_f64_e32 v[38:39], v[38:39], v[18:19]
	ds_load_b128 v[16:19], v197 offset:2048
	s_wait_dscnt 0x0
	v_add_f64_e32 v[2:3], v[2:3], v[16:17]
	v_add_f64_e32 v[38:39], v[38:39], v[18:19]
	ds_load_b128 v[16:19], v197 offset:2560
	s_wait_dscnt 0x0
	v_add_f64_e32 v[2:3], v[2:3], v[16:17]
	v_add_f64_e32 v[38:39], v[38:39], v[18:19]
	ds_load_b128 v[16:19], v197 offset:3072
	s_wait_dscnt 0x0
	v_add_f64_e32 v[2:3], v[2:3], v[16:17]
	v_add_f64_e32 v[38:39], v[38:39], v[18:19]
	ds_load_b128 v[16:19], v197 offset:3584
	s_wait_dscnt 0x0
	v_add_f64_e32 v[2:3], v[2:3], v[16:17]
	v_add_f64_e32 v[38:39], v[38:39], v[18:19]
	ds_load_b128 v[16:19], v197 offset:4096
	s_wait_dscnt 0x0
	v_add_f64_e32 v[2:3], v[2:3], v[16:17]
	v_add_f64_e32 v[38:39], v[38:39], v[18:19]
	ds_load_b128 v[16:19], v197 offset:4608
	s_wait_dscnt 0x0
	v_add_f64_e32 v[2:3], v[2:3], v[16:17]
	v_add_f64_e32 v[38:39], v[38:39], v[18:19]
	ds_load_b128 v[16:19], v197 offset:5120
	s_wait_dscnt 0x0
	v_add_f64_e32 v[2:3], v[2:3], v[16:17]
	v_add_f64_e32 v[38:39], v[38:39], v[18:19]
	ds_load_b128 v[16:19], v197 offset:5632
	s_wait_dscnt 0x0
	v_add_f64_e32 v[2:3], v[2:3], v[16:17]
	v_add_f64_e32 v[38:39], v[38:39], v[18:19]
	ds_load_b128 v[16:19], v197 offset:6144
	s_wait_dscnt 0x0
	v_add_f64_e32 v[2:3], v[2:3], v[16:17]
	v_add_f64_e32 v[38:39], v[38:39], v[18:19]
	ds_load_b128 v[16:19], v197 offset:6656
	s_wait_dscnt 0x0
	v_add_f64_e32 v[2:3], v[2:3], v[16:17]
	v_add_f64_e32 v[38:39], v[38:39], v[18:19]
	ds_load_b128 v[16:19], v197 offset:7168
	s_wait_dscnt 0x0
	v_add_f64_e32 v[2:3], v[2:3], v[16:17]
	v_add_f64_e32 v[200:201], v[38:39], v[18:19]
	ds_load_b128 v[16:19], v197 offset:7680
	s_wait_dscnt 0x0
	v_add_f64_e32 v[38:39], v[2:3], v[16:17]
	v_add_f64_e32 v[2:3], v[200:201], v[18:19]
	s_or_b32 exec_lo, exec_lo, s57
	s_delay_alu instid0(SALU_CYCLE_1)
	s_and_b32 vcc_lo, exec_lo, s56
	s_cbranch_vccnz .LBB89_484
	s_branch .LBB89_546
.LBB89_483:                             ;   in Loop: Header=BB89_3 Depth=1
	s_mov_b32 s35, 0
                                        ; implicit-def: $vgpr2_vgpr3
                                        ; implicit-def: $vgpr38_vgpr39
	s_cbranch_execz .LBB89_546
.LBB89_484:                             ;   in Loop: Header=BB89_3 Depth=1
	v_dual_mov_b32 v0, v20 :: v_dual_mov_b32 v2, v132
	s_mov_b32 s56, 0
	s_branch .LBB89_486
.LBB89_485:                             ;   in Loop: Header=BB89_486 Depth=2
	s_or_b32 exec_lo, exec_lo, s57
	v_add_nc_u32_e32 v2, 0x400, v2
	v_add_nc_u32_e32 v0, -2, v0
	s_add_co_i32 s56, s56, 2
	s_delay_alu instid0(SALU_CYCLE_1)
	s_cmp_lg_u32 s56, 32
	s_barrier_signal -1
	s_barrier_wait -1
	s_cbranch_scc0 .LBB89_494
.LBB89_486:                             ;   Parent Loop BB89_3 Depth=1
                                        ; =>  This Inner Loop Header: Depth=2
	s_delay_alu instid0(VALU_DEP_1) | instskip(SKIP_1) | instid1(SALU_CYCLE_1)
	v_cmp_eq_u32_e32 vcc_lo, 0, v0
	s_and_b32 s95, s3, vcc_lo
	s_and_saveexec_b32 s57, s95
	s_cbranch_execz .LBB89_488
; %bb.487:                              ;   in Loop: Header=BB89_486 Depth=2
	ds_load_b128 v[16:19], v127
	s_wait_dscnt 0x0
	v_mul_f64_e32 v[38:39], v[14:15], v[18:19]
	v_mul_f64_e32 v[202:203], v[12:13], v[18:19]
	s_delay_alu instid0(VALU_DEP_2) | instskip(NEXT) | instid1(VALU_DEP_2)
	v_fma_f64 v[200:201], v[12:13], v[16:17], -v[38:39]
	v_fmac_f64_e32 v[202:203], v[14:15], v[16:17]
	s_delay_alu instid0(VALU_DEP_2) | instskip(NEXT) | instid1(VALU_DEP_2)
	v_mov_b64_e32 v[12:13], v[200:201]
	v_mov_b64_e32 v[14:15], v[202:203]
	ds_store_b128 v1, v[200:203] offset:25088
.LBB89_488:                             ;   in Loop: Header=BB89_486 Depth=2
	s_or_b32 exec_lo, exec_lo, s57
	v_cmp_lt_u32_e32 vcc_lo, s56, v20
	s_wait_dscnt 0x0
	s_barrier_signal -1
	s_barrier_wait -1
	s_and_b32 s95, s3, vcc_lo
	s_delay_alu instid0(SALU_CYCLE_1)
	s_and_saveexec_b32 s57, s95
	s_cbranch_execz .LBB89_490
; %bb.489:                              ;   in Loop: Header=BB89_486 Depth=2
	ds_load_b128 v[16:19], v1 offset:25088
	ds_load_b128 v[200:203], v2
	s_wait_dscnt 0x0
	v_mul_f64_e32 v[38:39], v[18:19], v[202:203]
	s_delay_alu instid0(VALU_DEP_1) | instskip(SKIP_1) | instid1(VALU_DEP_2)
	v_fma_f64 v[38:39], v[16:17], v[200:201], -v[38:39]
	v_mul_f64_e32 v[16:17], v[16:17], v[202:203]
	v_add_f64_e32 v[12:13], v[12:13], v[38:39]
	s_delay_alu instid0(VALU_DEP_2) | instskip(NEXT) | instid1(VALU_DEP_1)
	v_fmac_f64_e32 v[16:17], v[18:19], v[200:201]
	v_add_f64_e32 v[14:15], v[14:15], v[16:17]
.LBB89_490:                             ;   in Loop: Header=BB89_486 Depth=2
	s_or_b32 exec_lo, exec_lo, s57
	s_or_b32 s57, s56, 1
	s_delay_alu instid0(SALU_CYCLE_1) | instskip(SKIP_3) | instid1(SALU_CYCLE_1)
	v_cmp_eq_u32_e32 vcc_lo, s57, v20
	s_barrier_signal -1
	s_barrier_wait -1
	s_and_b32 s96, s3, vcc_lo
	s_and_saveexec_b32 s95, s96
	s_cbranch_execz .LBB89_492
; %bb.491:                              ;   in Loop: Header=BB89_486 Depth=2
	ds_load_b128 v[16:19], v127
	s_wait_dscnt 0x0
	v_mul_f64_e32 v[38:39], v[14:15], v[18:19]
	v_mul_f64_e32 v[202:203], v[12:13], v[18:19]
	s_delay_alu instid0(VALU_DEP_2) | instskip(NEXT) | instid1(VALU_DEP_2)
	v_fma_f64 v[200:201], v[12:13], v[16:17], -v[38:39]
	v_fmac_f64_e32 v[202:203], v[14:15], v[16:17]
	s_delay_alu instid0(VALU_DEP_2) | instskip(NEXT) | instid1(VALU_DEP_2)
	v_mov_b64_e32 v[12:13], v[200:201]
	v_mov_b64_e32 v[14:15], v[202:203]
	ds_store_b128 v1, v[200:203] offset:25088
.LBB89_492:                             ;   in Loop: Header=BB89_486 Depth=2
	s_or_b32 exec_lo, exec_lo, s95
	v_cmp_lt_u32_e32 vcc_lo, s57, v20
	s_wait_dscnt 0x0
	s_barrier_signal -1
	s_barrier_wait -1
	s_and_b32 s95, s3, vcc_lo
	s_delay_alu instid0(SALU_CYCLE_1)
	s_and_saveexec_b32 s57, s95
	s_cbranch_execz .LBB89_485
; %bb.493:                              ;   in Loop: Header=BB89_486 Depth=2
	ds_load_b128 v[16:19], v1 offset:25088
	ds_load_b128 v[200:203], v2 offset:512
	s_wait_dscnt 0x0
	v_mul_f64_e32 v[38:39], v[18:19], v[202:203]
	s_delay_alu instid0(VALU_DEP_1) | instskip(SKIP_1) | instid1(VALU_DEP_2)
	v_fma_f64 v[38:39], v[16:17], v[200:201], -v[38:39]
	v_mul_f64_e32 v[16:17], v[16:17], v[202:203]
	v_add_f64_e32 v[12:13], v[12:13], v[38:39]
	s_delay_alu instid0(VALU_DEP_2) | instskip(NEXT) | instid1(VALU_DEP_1)
	v_fmac_f64_e32 v[16:17], v[18:19], v[200:201]
	v_add_f64_e32 v[14:15], v[14:15], v[16:17]
	s_branch .LBB89_485
.LBB89_494:                             ;   in Loop: Header=BB89_3 Depth=1
	s_and_b32 vcc_lo, exec_lo, s62
	s_mov_b32 s56, -1
	s_cbranch_vccz .LBB89_496
; %bb.495:                              ;   in Loop: Header=BB89_3 Depth=1
	s_and_not1_b32 s35, s35, exec_lo
	s_and_b32 s57, s3, exec_lo
	s_mov_b32 s56, 0
	s_or_b32 s35, s35, s57
.LBB89_496:                             ;   in Loop: Header=BB89_3 Depth=1
	s_and_not1_b32 vcc_lo, exec_lo, s56
	s_cbranch_vccnz .LBB89_498
; %bb.497:                              ;   in Loop: Header=BB89_3 Depth=1
	v_readlane_b32 s56, v208, 10
	s_and_not1_b32 s35, s35, exec_lo
	s_and_b32 s56, s56, exec_lo
	s_delay_alu instid0(SALU_CYCLE_1)
	s_or_b32 s35, s35, s56
.LBB89_498:                             ;   in Loop: Header=BB89_3 Depth=1
	v_mov_b64_e32 v[2:3], v[34:35]
	s_and_saveexec_b32 s56, s35
	s_cbranch_execnz .LBB89_547
	s_branch .LBB89_548
.LBB89_499:                             ;   in Loop: Header=BB89_3 Depth=1
	s_mov_b32 s56, exec_lo
	v_readlane_b32 s57, v208, 11
	s_and_b32 s57, s56, s57
	s_delay_alu instid0(SALU_CYCLE_1)
	s_xor_b32 s56, s57, s56
	s_mov_b32 exec_lo, s57
	s_cbranch_execz .LBB89_503
; %bb.500:                              ;   in Loop: Header=BB89_3 Depth=1
	s_mov_b32 s57, exec_lo
	v_readlane_b32 s95, v208, 26
	s_and_b32 s95, s57, s95
	s_delay_alu instid0(SALU_CYCLE_1)
	s_mov_b32 exec_lo, s95
; %bb.501:                              ;   in Loop: Header=BB89_3 Depth=1
	v_dual_mov_b32 v0, v1 :: v_dual_mov_b32 v2, v1
	v_mov_b32_e32 v3, v1
	ds_store_b128 v193, v[0:3]
; %bb.502:                              ;   in Loop: Header=BB89_3 Depth=1
	s_or_b32 exec_lo, exec_lo, s57
.LBB89_503:                             ;   in Loop: Header=BB89_3 Depth=1
	s_and_not1_saveexec_b32 s56, s56
	s_cbranch_execz .LBB89_509
; %bb.504:                              ;   in Loop: Header=BB89_3 Depth=1
	v_lshl_add_u64 v[2:3], v[26:27], 4, s[40:41]
                                        ; implicit-def: $vgpr16_vgpr17
	global_load_b128 v[12:15], v[2:3], off
	s_wait_loadcnt 0x0
	v_cmp_ngt_f64_e64 s57, |v[12:13]|, |v[14:15]|
	s_and_saveexec_b32 s95, s57
	s_delay_alu instid0(SALU_CYCLE_1)
	s_xor_b32 s57, exec_lo, s95
	s_cbranch_execz .LBB89_506
; %bb.505:                              ;   in Loop: Header=BB89_3 Depth=1
	v_div_scale_f64 v[2:3], null, v[14:15], v[14:15], v[12:13]
	v_div_scale_f64 v[200:201], vcc_lo, v[12:13], v[14:15], v[12:13]
	s_delay_alu instid0(VALU_DEP_2) | instskip(SKIP_1) | instid1(TRANS32_DEP_1)
	v_rcp_f64_e32 v[16:17], v[2:3]
	v_nop
	v_fma_f64 v[18:19], -v[2:3], v[16:17], 1.0
	s_delay_alu instid0(VALU_DEP_1) | instskip(NEXT) | instid1(VALU_DEP_1)
	v_fmac_f64_e32 v[16:17], v[16:17], v[18:19]
	v_fma_f64 v[18:19], -v[2:3], v[16:17], 1.0
	s_delay_alu instid0(VALU_DEP_1) | instskip(NEXT) | instid1(VALU_DEP_1)
	v_fmac_f64_e32 v[16:17], v[16:17], v[18:19]
	v_mul_f64_e32 v[18:19], v[200:201], v[16:17]
	s_delay_alu instid0(VALU_DEP_1) | instskip(NEXT) | instid1(VALU_DEP_1)
	v_fma_f64 v[2:3], -v[2:3], v[18:19], v[200:201]
	v_div_fmas_f64 v[2:3], v[2:3], v[16:17], v[18:19]
	s_delay_alu instid0(VALU_DEP_1) | instskip(NEXT) | instid1(VALU_DEP_1)
	v_div_fixup_f64 v[2:3], v[2:3], v[14:15], v[12:13]
	v_fmac_f64_e32 v[14:15], v[12:13], v[2:3]
	s_delay_alu instid0(VALU_DEP_1) | instskip(NEXT) | instid1(VALU_DEP_1)
	v_div_scale_f64 v[12:13], null, v[14:15], v[14:15], 1.0
	v_rcp_f64_e32 v[16:17], v[12:13]
	v_nop
	s_delay_alu instid0(TRANS32_DEP_1) | instskip(NEXT) | instid1(VALU_DEP_1)
	v_fma_f64 v[18:19], -v[12:13], v[16:17], 1.0
	v_fmac_f64_e32 v[16:17], v[16:17], v[18:19]
	s_delay_alu instid0(VALU_DEP_1) | instskip(NEXT) | instid1(VALU_DEP_1)
	v_fma_f64 v[18:19], -v[12:13], v[16:17], 1.0
	v_fmac_f64_e32 v[16:17], v[16:17], v[18:19]
	v_div_scale_f64 v[18:19], vcc_lo, 1.0, v[14:15], 1.0
	s_delay_alu instid0(VALU_DEP_1) | instskip(NEXT) | instid1(VALU_DEP_1)
	v_mul_f64_e32 v[200:201], v[18:19], v[16:17]
	v_fma_f64 v[12:13], -v[12:13], v[200:201], v[18:19]
	s_delay_alu instid0(VALU_DEP_1) | instskip(NEXT) | instid1(VALU_DEP_1)
	v_div_fmas_f64 v[12:13], v[12:13], v[16:17], v[200:201]
	v_div_fixup_f64 v[18:19], v[12:13], v[14:15], 1.0
                                        ; implicit-def: $vgpr12_vgpr13
	s_delay_alu instid0(VALU_DEP_1)
	v_mul_f64_e32 v[16:17], v[2:3], v[18:19]
	v_xor_b32_e32 v19, 0x80000000, v19
.LBB89_506:                             ;   in Loop: Header=BB89_3 Depth=1
	s_and_not1_saveexec_b32 s57, s57
	s_cbranch_execz .LBB89_508
; %bb.507:                              ;   in Loop: Header=BB89_3 Depth=1
	v_div_scale_f64 v[2:3], null, v[12:13], v[12:13], v[14:15]
	v_div_scale_f64 v[200:201], vcc_lo, v[14:15], v[12:13], v[14:15]
	s_delay_alu instid0(VALU_DEP_2) | instskip(SKIP_1) | instid1(TRANS32_DEP_1)
	v_rcp_f64_e32 v[16:17], v[2:3]
	v_nop
	v_fma_f64 v[18:19], -v[2:3], v[16:17], 1.0
	s_delay_alu instid0(VALU_DEP_1) | instskip(NEXT) | instid1(VALU_DEP_1)
	v_fmac_f64_e32 v[16:17], v[16:17], v[18:19]
	v_fma_f64 v[18:19], -v[2:3], v[16:17], 1.0
	s_delay_alu instid0(VALU_DEP_1) | instskip(NEXT) | instid1(VALU_DEP_1)
	v_fmac_f64_e32 v[16:17], v[16:17], v[18:19]
	v_mul_f64_e32 v[18:19], v[200:201], v[16:17]
	s_delay_alu instid0(VALU_DEP_1) | instskip(NEXT) | instid1(VALU_DEP_1)
	v_fma_f64 v[2:3], -v[2:3], v[18:19], v[200:201]
	v_div_fmas_f64 v[2:3], v[2:3], v[16:17], v[18:19]
	s_delay_alu instid0(VALU_DEP_1) | instskip(NEXT) | instid1(VALU_DEP_1)
	v_div_fixup_f64 v[2:3], v[2:3], v[12:13], v[14:15]
	v_fmac_f64_e32 v[12:13], v[14:15], v[2:3]
	s_delay_alu instid0(VALU_DEP_1) | instskip(NEXT) | instid1(VALU_DEP_1)
	v_div_scale_f64 v[14:15], null, v[12:13], v[12:13], 1.0
	v_rcp_f64_e32 v[16:17], v[14:15]
	v_nop
	s_delay_alu instid0(TRANS32_DEP_1) | instskip(NEXT) | instid1(VALU_DEP_1)
	v_fma_f64 v[18:19], -v[14:15], v[16:17], 1.0
	v_fmac_f64_e32 v[16:17], v[16:17], v[18:19]
	s_delay_alu instid0(VALU_DEP_1) | instskip(NEXT) | instid1(VALU_DEP_1)
	v_fma_f64 v[18:19], -v[14:15], v[16:17], 1.0
	v_fmac_f64_e32 v[16:17], v[16:17], v[18:19]
	v_div_scale_f64 v[18:19], vcc_lo, 1.0, v[12:13], 1.0
	s_delay_alu instid0(VALU_DEP_1) | instskip(NEXT) | instid1(VALU_DEP_1)
	v_mul_f64_e32 v[200:201], v[18:19], v[16:17]
	v_fma_f64 v[14:15], -v[14:15], v[200:201], v[18:19]
	s_delay_alu instid0(VALU_DEP_1) | instskip(NEXT) | instid1(VALU_DEP_1)
	v_div_fmas_f64 v[14:15], v[14:15], v[16:17], v[200:201]
	v_div_fixup_f64 v[16:17], v[14:15], v[12:13], 1.0
	s_delay_alu instid0(VALU_DEP_1)
	v_mul_f64_e64 v[18:19], v[2:3], -v[16:17]
.LBB89_508:                             ;   in Loop: Header=BB89_3 Depth=1
	s_or_b32 exec_lo, exec_lo, s57
	ds_store_b128 v193, v[16:19]
.LBB89_509:                             ;   in Loop: Header=BB89_3 Depth=1
	s_or_b32 exec_lo, exec_lo, s56
	s_and_not1_saveexec_b32 s35, s35
	s_cbranch_execz .LBB89_13
.LBB89_510:                             ;   in Loop: Header=BB89_3 Depth=1
	v_lshl_add_u64 v[2:3], v[26:27], 4, s[40:41]
	global_load_b128 v[12:15], v[2:3], off
	s_wait_loadcnt 0x0
	v_xor_b32_e32 v13, 0x80000000, v13
	v_xor_b32_e32 v15, 0x80000000, v15
	ds_store_b128 v193, v[12:15]
	s_or_b32 exec_lo, exec_lo, s35
	s_and_saveexec_b32 s35, s7
	s_delay_alu instid0(SALU_CYCLE_1)
	s_xor_b32 s35, exec_lo, s35
	s_cbranch_execz .LBB89_14
.LBB89_511:                             ;   in Loop: Header=BB89_3 Depth=1
	s_mov_b32 s56, exec_lo
	v_readlane_b32 s57, v208, 13
	s_and_b32 s57, s56, s57
	s_delay_alu instid0(SALU_CYCLE_1)
	s_xor_b32 s56, s57, s56
	s_mov_b32 exec_lo, s57
	s_cbranch_execz .LBB89_515
; %bb.512:                              ;   in Loop: Header=BB89_3 Depth=1
	s_mov_b32 s57, exec_lo
	v_readlane_b32 s95, v208, 27
	s_and_b32 s95, s57, s95
	s_delay_alu instid0(SALU_CYCLE_1)
	s_mov_b32 exec_lo, s95
; %bb.513:                              ;   in Loop: Header=BB89_3 Depth=1
	v_dual_mov_b32 v0, v1 :: v_dual_mov_b32 v2, v1
	v_mov_b32_e32 v3, v1
	ds_store_b128 v194, v[0:3]
; %bb.514:                              ;   in Loop: Header=BB89_3 Depth=1
	s_or_b32 exec_lo, exec_lo, s57
.LBB89_515:                             ;   in Loop: Header=BB89_3 Depth=1
	s_and_not1_saveexec_b32 s56, s56
	s_cbranch_execz .LBB89_521
; %bb.516:                              ;   in Loop: Header=BB89_3 Depth=1
	v_lshl_add_u64 v[2:3], v[32:33], 4, s[40:41]
                                        ; implicit-def: $vgpr16_vgpr17
	global_load_b128 v[12:15], v[2:3], off
	s_wait_loadcnt 0x0
	v_cmp_ngt_f64_e64 s57, |v[12:13]|, |v[14:15]|
	s_and_saveexec_b32 s95, s57
	s_delay_alu instid0(SALU_CYCLE_1)
	s_xor_b32 s57, exec_lo, s95
	s_cbranch_execz .LBB89_518
; %bb.517:                              ;   in Loop: Header=BB89_3 Depth=1
	v_div_scale_f64 v[2:3], null, v[14:15], v[14:15], v[12:13]
	v_div_scale_f64 v[200:201], vcc_lo, v[12:13], v[14:15], v[12:13]
	s_delay_alu instid0(VALU_DEP_2) | instskip(SKIP_1) | instid1(TRANS32_DEP_1)
	v_rcp_f64_e32 v[16:17], v[2:3]
	v_nop
	v_fma_f64 v[18:19], -v[2:3], v[16:17], 1.0
	s_delay_alu instid0(VALU_DEP_1) | instskip(NEXT) | instid1(VALU_DEP_1)
	v_fmac_f64_e32 v[16:17], v[16:17], v[18:19]
	v_fma_f64 v[18:19], -v[2:3], v[16:17], 1.0
	s_delay_alu instid0(VALU_DEP_1) | instskip(NEXT) | instid1(VALU_DEP_1)
	v_fmac_f64_e32 v[16:17], v[16:17], v[18:19]
	v_mul_f64_e32 v[18:19], v[200:201], v[16:17]
	s_delay_alu instid0(VALU_DEP_1) | instskip(NEXT) | instid1(VALU_DEP_1)
	v_fma_f64 v[2:3], -v[2:3], v[18:19], v[200:201]
	v_div_fmas_f64 v[2:3], v[2:3], v[16:17], v[18:19]
	s_delay_alu instid0(VALU_DEP_1) | instskip(NEXT) | instid1(VALU_DEP_1)
	v_div_fixup_f64 v[2:3], v[2:3], v[14:15], v[12:13]
	v_fmac_f64_e32 v[14:15], v[12:13], v[2:3]
	s_delay_alu instid0(VALU_DEP_1) | instskip(NEXT) | instid1(VALU_DEP_1)
	v_div_scale_f64 v[12:13], null, v[14:15], v[14:15], 1.0
	v_rcp_f64_e32 v[16:17], v[12:13]
	v_nop
	s_delay_alu instid0(TRANS32_DEP_1) | instskip(NEXT) | instid1(VALU_DEP_1)
	v_fma_f64 v[18:19], -v[12:13], v[16:17], 1.0
	v_fmac_f64_e32 v[16:17], v[16:17], v[18:19]
	s_delay_alu instid0(VALU_DEP_1) | instskip(NEXT) | instid1(VALU_DEP_1)
	v_fma_f64 v[18:19], -v[12:13], v[16:17], 1.0
	v_fmac_f64_e32 v[16:17], v[16:17], v[18:19]
	v_div_scale_f64 v[18:19], vcc_lo, 1.0, v[14:15], 1.0
	s_delay_alu instid0(VALU_DEP_1) | instskip(NEXT) | instid1(VALU_DEP_1)
	v_mul_f64_e32 v[200:201], v[18:19], v[16:17]
	v_fma_f64 v[12:13], -v[12:13], v[200:201], v[18:19]
	s_delay_alu instid0(VALU_DEP_1) | instskip(NEXT) | instid1(VALU_DEP_1)
	v_div_fmas_f64 v[12:13], v[12:13], v[16:17], v[200:201]
	v_div_fixup_f64 v[18:19], v[12:13], v[14:15], 1.0
                                        ; implicit-def: $vgpr12_vgpr13
	s_delay_alu instid0(VALU_DEP_1)
	v_mul_f64_e32 v[16:17], v[2:3], v[18:19]
	v_xor_b32_e32 v19, 0x80000000, v19
.LBB89_518:                             ;   in Loop: Header=BB89_3 Depth=1
	s_and_not1_saveexec_b32 s57, s57
	s_cbranch_execz .LBB89_520
; %bb.519:                              ;   in Loop: Header=BB89_3 Depth=1
	v_div_scale_f64 v[2:3], null, v[12:13], v[12:13], v[14:15]
	v_div_scale_f64 v[200:201], vcc_lo, v[14:15], v[12:13], v[14:15]
	s_delay_alu instid0(VALU_DEP_2) | instskip(SKIP_1) | instid1(TRANS32_DEP_1)
	v_rcp_f64_e32 v[16:17], v[2:3]
	v_nop
	v_fma_f64 v[18:19], -v[2:3], v[16:17], 1.0
	s_delay_alu instid0(VALU_DEP_1) | instskip(NEXT) | instid1(VALU_DEP_1)
	v_fmac_f64_e32 v[16:17], v[16:17], v[18:19]
	v_fma_f64 v[18:19], -v[2:3], v[16:17], 1.0
	s_delay_alu instid0(VALU_DEP_1) | instskip(NEXT) | instid1(VALU_DEP_1)
	v_fmac_f64_e32 v[16:17], v[16:17], v[18:19]
	v_mul_f64_e32 v[18:19], v[200:201], v[16:17]
	s_delay_alu instid0(VALU_DEP_1) | instskip(NEXT) | instid1(VALU_DEP_1)
	v_fma_f64 v[2:3], -v[2:3], v[18:19], v[200:201]
	v_div_fmas_f64 v[2:3], v[2:3], v[16:17], v[18:19]
	s_delay_alu instid0(VALU_DEP_1) | instskip(NEXT) | instid1(VALU_DEP_1)
	v_div_fixup_f64 v[2:3], v[2:3], v[12:13], v[14:15]
	v_fmac_f64_e32 v[12:13], v[14:15], v[2:3]
	s_delay_alu instid0(VALU_DEP_1) | instskip(NEXT) | instid1(VALU_DEP_1)
	v_div_scale_f64 v[14:15], null, v[12:13], v[12:13], 1.0
	v_rcp_f64_e32 v[16:17], v[14:15]
	v_nop
	s_delay_alu instid0(TRANS32_DEP_1) | instskip(NEXT) | instid1(VALU_DEP_1)
	v_fma_f64 v[18:19], -v[14:15], v[16:17], 1.0
	v_fmac_f64_e32 v[16:17], v[16:17], v[18:19]
	s_delay_alu instid0(VALU_DEP_1) | instskip(NEXT) | instid1(VALU_DEP_1)
	v_fma_f64 v[18:19], -v[14:15], v[16:17], 1.0
	v_fmac_f64_e32 v[16:17], v[16:17], v[18:19]
	v_div_scale_f64 v[18:19], vcc_lo, 1.0, v[12:13], 1.0
	s_delay_alu instid0(VALU_DEP_1) | instskip(NEXT) | instid1(VALU_DEP_1)
	v_mul_f64_e32 v[200:201], v[18:19], v[16:17]
	v_fma_f64 v[14:15], -v[14:15], v[200:201], v[18:19]
	s_delay_alu instid0(VALU_DEP_1) | instskip(NEXT) | instid1(VALU_DEP_1)
	v_div_fmas_f64 v[14:15], v[14:15], v[16:17], v[200:201]
	v_div_fixup_f64 v[16:17], v[14:15], v[12:13], 1.0
	s_delay_alu instid0(VALU_DEP_1)
	v_mul_f64_e64 v[18:19], v[2:3], -v[16:17]
.LBB89_520:                             ;   in Loop: Header=BB89_3 Depth=1
	s_or_b32 exec_lo, exec_lo, s57
	ds_store_b128 v194, v[16:19]
.LBB89_521:                             ;   in Loop: Header=BB89_3 Depth=1
	s_or_b32 exec_lo, exec_lo, s56
	s_and_not1_saveexec_b32 s35, s35
	s_cbranch_execnz .LBB89_15
	s_branch .LBB89_16
.LBB89_522:                             ;   in Loop: Header=BB89_3 Depth=1
	s_mov_b32 s56, exec_lo
	v_readlane_b32 s57, v208, 12
	s_and_b32 s57, s56, s57
	s_delay_alu instid0(SALU_CYCLE_1)
	s_xor_b32 s56, s57, s56
	s_mov_b32 exec_lo, s57
	s_cbranch_execz .LBB89_526
; %bb.523:                              ;   in Loop: Header=BB89_3 Depth=1
	s_mov_b32 s57, exec_lo
	v_readlane_b32 s95, v208, 26
	s_and_b32 s95, s57, s95
	s_delay_alu instid0(SALU_CYCLE_1)
	s_mov_b32 exec_lo, s95
; %bb.524:                              ;   in Loop: Header=BB89_3 Depth=1
	v_dual_mov_b32 v0, v1 :: v_dual_mov_b32 v2, v1
	v_mov_b32_e32 v3, v1
	ds_store_b128 v124, v[0:3]
; %bb.525:                              ;   in Loop: Header=BB89_3 Depth=1
	s_or_b32 exec_lo, exec_lo, s57
.LBB89_526:                             ;   in Loop: Header=BB89_3 Depth=1
	s_and_not1_saveexec_b32 s56, s56
	s_cbranch_execz .LBB89_532
; %bb.527:                              ;   in Loop: Header=BB89_3 Depth=1
	v_lshl_add_u64 v[2:3], v[26:27], 4, s[40:41]
                                        ; implicit-def: $vgpr16_vgpr17
	global_load_b128 v[12:15], v[2:3], off
	s_wait_loadcnt 0x0
	v_cmp_ngt_f64_e64 s57, |v[12:13]|, |v[14:15]|
	s_and_saveexec_b32 s95, s57
	s_delay_alu instid0(SALU_CYCLE_1)
	s_xor_b32 s57, exec_lo, s95
	s_cbranch_execz .LBB89_529
; %bb.528:                              ;   in Loop: Header=BB89_3 Depth=1
	v_div_scale_f64 v[2:3], null, v[14:15], v[14:15], v[12:13]
	v_div_scale_f64 v[200:201], vcc_lo, v[12:13], v[14:15], v[12:13]
	s_delay_alu instid0(VALU_DEP_2) | instskip(SKIP_1) | instid1(TRANS32_DEP_1)
	v_rcp_f64_e32 v[16:17], v[2:3]
	v_nop
	v_fma_f64 v[18:19], -v[2:3], v[16:17], 1.0
	s_delay_alu instid0(VALU_DEP_1) | instskip(NEXT) | instid1(VALU_DEP_1)
	v_fmac_f64_e32 v[16:17], v[16:17], v[18:19]
	v_fma_f64 v[18:19], -v[2:3], v[16:17], 1.0
	s_delay_alu instid0(VALU_DEP_1) | instskip(NEXT) | instid1(VALU_DEP_1)
	v_fmac_f64_e32 v[16:17], v[16:17], v[18:19]
	v_mul_f64_e32 v[18:19], v[200:201], v[16:17]
	s_delay_alu instid0(VALU_DEP_1) | instskip(NEXT) | instid1(VALU_DEP_1)
	v_fma_f64 v[2:3], -v[2:3], v[18:19], v[200:201]
	v_div_fmas_f64 v[2:3], v[2:3], v[16:17], v[18:19]
	s_delay_alu instid0(VALU_DEP_1) | instskip(NEXT) | instid1(VALU_DEP_1)
	v_div_fixup_f64 v[2:3], v[2:3], v[14:15], v[12:13]
	v_fmac_f64_e32 v[14:15], v[12:13], v[2:3]
	s_delay_alu instid0(VALU_DEP_1) | instskip(NEXT) | instid1(VALU_DEP_1)
	v_div_scale_f64 v[12:13], null, v[14:15], v[14:15], 1.0
	v_rcp_f64_e32 v[16:17], v[12:13]
	v_nop
	s_delay_alu instid0(TRANS32_DEP_1) | instskip(NEXT) | instid1(VALU_DEP_1)
	v_fma_f64 v[18:19], -v[12:13], v[16:17], 1.0
	v_fmac_f64_e32 v[16:17], v[16:17], v[18:19]
	s_delay_alu instid0(VALU_DEP_1) | instskip(NEXT) | instid1(VALU_DEP_1)
	v_fma_f64 v[18:19], -v[12:13], v[16:17], 1.0
	v_fmac_f64_e32 v[16:17], v[16:17], v[18:19]
	v_div_scale_f64 v[18:19], vcc_lo, 1.0, v[14:15], 1.0
	s_delay_alu instid0(VALU_DEP_1) | instskip(NEXT) | instid1(VALU_DEP_1)
	v_mul_f64_e32 v[200:201], v[18:19], v[16:17]
	v_fma_f64 v[12:13], -v[12:13], v[200:201], v[18:19]
	s_delay_alu instid0(VALU_DEP_1) | instskip(NEXT) | instid1(VALU_DEP_1)
	v_div_fmas_f64 v[12:13], v[12:13], v[16:17], v[200:201]
	v_div_fixup_f64 v[18:19], v[12:13], v[14:15], 1.0
                                        ; implicit-def: $vgpr12_vgpr13
	s_delay_alu instid0(VALU_DEP_1)
	v_mul_f64_e32 v[16:17], v[2:3], v[18:19]
	v_xor_b32_e32 v19, 0x80000000, v19
.LBB89_529:                             ;   in Loop: Header=BB89_3 Depth=1
	s_and_not1_saveexec_b32 s57, s57
	s_cbranch_execz .LBB89_531
; %bb.530:                              ;   in Loop: Header=BB89_3 Depth=1
	v_div_scale_f64 v[2:3], null, v[12:13], v[12:13], v[14:15]
	v_div_scale_f64 v[200:201], vcc_lo, v[14:15], v[12:13], v[14:15]
	s_delay_alu instid0(VALU_DEP_2) | instskip(SKIP_1) | instid1(TRANS32_DEP_1)
	v_rcp_f64_e32 v[16:17], v[2:3]
	v_nop
	v_fma_f64 v[18:19], -v[2:3], v[16:17], 1.0
	s_delay_alu instid0(VALU_DEP_1) | instskip(NEXT) | instid1(VALU_DEP_1)
	v_fmac_f64_e32 v[16:17], v[16:17], v[18:19]
	v_fma_f64 v[18:19], -v[2:3], v[16:17], 1.0
	s_delay_alu instid0(VALU_DEP_1) | instskip(NEXT) | instid1(VALU_DEP_1)
	v_fmac_f64_e32 v[16:17], v[16:17], v[18:19]
	v_mul_f64_e32 v[18:19], v[200:201], v[16:17]
	s_delay_alu instid0(VALU_DEP_1) | instskip(NEXT) | instid1(VALU_DEP_1)
	v_fma_f64 v[2:3], -v[2:3], v[18:19], v[200:201]
	v_div_fmas_f64 v[2:3], v[2:3], v[16:17], v[18:19]
	s_delay_alu instid0(VALU_DEP_1) | instskip(NEXT) | instid1(VALU_DEP_1)
	v_div_fixup_f64 v[2:3], v[2:3], v[12:13], v[14:15]
	v_fmac_f64_e32 v[12:13], v[14:15], v[2:3]
	s_delay_alu instid0(VALU_DEP_1) | instskip(NEXT) | instid1(VALU_DEP_1)
	v_div_scale_f64 v[14:15], null, v[12:13], v[12:13], 1.0
	v_rcp_f64_e32 v[16:17], v[14:15]
	v_nop
	s_delay_alu instid0(TRANS32_DEP_1) | instskip(NEXT) | instid1(VALU_DEP_1)
	v_fma_f64 v[18:19], -v[14:15], v[16:17], 1.0
	v_fmac_f64_e32 v[16:17], v[16:17], v[18:19]
	s_delay_alu instid0(VALU_DEP_1) | instskip(NEXT) | instid1(VALU_DEP_1)
	v_fma_f64 v[18:19], -v[14:15], v[16:17], 1.0
	v_fmac_f64_e32 v[16:17], v[16:17], v[18:19]
	v_div_scale_f64 v[18:19], vcc_lo, 1.0, v[12:13], 1.0
	s_delay_alu instid0(VALU_DEP_1) | instskip(NEXT) | instid1(VALU_DEP_1)
	v_mul_f64_e32 v[200:201], v[18:19], v[16:17]
	v_fma_f64 v[14:15], -v[14:15], v[200:201], v[18:19]
	s_delay_alu instid0(VALU_DEP_1) | instskip(NEXT) | instid1(VALU_DEP_1)
	v_div_fmas_f64 v[14:15], v[14:15], v[16:17], v[200:201]
	v_div_fixup_f64 v[16:17], v[14:15], v[12:13], 1.0
	s_delay_alu instid0(VALU_DEP_1)
	v_mul_f64_e64 v[18:19], v[2:3], -v[16:17]
.LBB89_531:                             ;   in Loop: Header=BB89_3 Depth=1
	s_or_b32 exec_lo, exec_lo, s57
	ds_store_b128 v124, v[16:19]
.LBB89_532:                             ;   in Loop: Header=BB89_3 Depth=1
	s_or_b32 exec_lo, exec_lo, s56
	s_and_not1_saveexec_b32 s35, s35
	s_cbranch_execz .LBB89_19
.LBB89_533:                             ;   in Loop: Header=BB89_3 Depth=1
	v_lshl_add_u64 v[2:3], v[26:27], 4, s[40:41]
	global_load_b128 v[12:15], v[2:3], off
	s_wait_loadcnt 0x0
	v_xor_b32_e32 v13, 0x80000000, v13
	v_xor_b32_e32 v15, 0x80000000, v15
	ds_store_b128 v124, v[12:15]
	s_or_b32 exec_lo, exec_lo, s35
	s_and_saveexec_b32 s35, s94
	s_delay_alu instid0(SALU_CYCLE_1)
	s_xor_b32 s35, exec_lo, s35
	s_cbranch_execz .LBB89_20
.LBB89_534:                             ;   in Loop: Header=BB89_3 Depth=1
	s_mov_b32 s56, exec_lo
	v_readlane_b32 s57, v208, 14
	s_and_b32 s57, s56, s57
	s_delay_alu instid0(SALU_CYCLE_1)
	s_xor_b32 s56, s57, s56
	s_mov_b32 exec_lo, s57
	s_cbranch_execz .LBB89_538
; %bb.535:                              ;   in Loop: Header=BB89_3 Depth=1
	s_mov_b32 s57, exec_lo
	v_readlane_b32 s95, v208, 27
	s_and_b32 s95, s57, s95
	s_delay_alu instid0(SALU_CYCLE_1)
	s_mov_b32 exec_lo, s95
; %bb.536:                              ;   in Loop: Header=BB89_3 Depth=1
	v_dual_mov_b32 v0, v1 :: v_dual_mov_b32 v2, v1
	v_mov_b32_e32 v3, v1
	ds_store_b128 v194, v[0:3]
; %bb.537:                              ;   in Loop: Header=BB89_3 Depth=1
	s_or_b32 exec_lo, exec_lo, s57
.LBB89_538:                             ;   in Loop: Header=BB89_3 Depth=1
	s_and_not1_saveexec_b32 s56, s56
	s_cbranch_execz .LBB89_544
; %bb.539:                              ;   in Loop: Header=BB89_3 Depth=1
	v_lshl_add_u64 v[2:3], v[32:33], 4, s[40:41]
                                        ; implicit-def: $vgpr16_vgpr17
	global_load_b128 v[12:15], v[2:3], off
	s_wait_loadcnt 0x0
	v_cmp_ngt_f64_e64 s57, |v[12:13]|, |v[14:15]|
	s_and_saveexec_b32 s95, s57
	s_delay_alu instid0(SALU_CYCLE_1)
	s_xor_b32 s57, exec_lo, s95
	s_cbranch_execz .LBB89_541
; %bb.540:                              ;   in Loop: Header=BB89_3 Depth=1
	v_div_scale_f64 v[2:3], null, v[14:15], v[14:15], v[12:13]
	v_div_scale_f64 v[200:201], vcc_lo, v[12:13], v[14:15], v[12:13]
	s_delay_alu instid0(VALU_DEP_2) | instskip(SKIP_1) | instid1(TRANS32_DEP_1)
	v_rcp_f64_e32 v[16:17], v[2:3]
	v_nop
	v_fma_f64 v[18:19], -v[2:3], v[16:17], 1.0
	s_delay_alu instid0(VALU_DEP_1) | instskip(NEXT) | instid1(VALU_DEP_1)
	v_fmac_f64_e32 v[16:17], v[16:17], v[18:19]
	v_fma_f64 v[18:19], -v[2:3], v[16:17], 1.0
	s_delay_alu instid0(VALU_DEP_1) | instskip(NEXT) | instid1(VALU_DEP_1)
	v_fmac_f64_e32 v[16:17], v[16:17], v[18:19]
	v_mul_f64_e32 v[18:19], v[200:201], v[16:17]
	s_delay_alu instid0(VALU_DEP_1) | instskip(NEXT) | instid1(VALU_DEP_1)
	v_fma_f64 v[2:3], -v[2:3], v[18:19], v[200:201]
	v_div_fmas_f64 v[2:3], v[2:3], v[16:17], v[18:19]
	s_delay_alu instid0(VALU_DEP_1) | instskip(NEXT) | instid1(VALU_DEP_1)
	v_div_fixup_f64 v[2:3], v[2:3], v[14:15], v[12:13]
	v_fmac_f64_e32 v[14:15], v[12:13], v[2:3]
	s_delay_alu instid0(VALU_DEP_1) | instskip(NEXT) | instid1(VALU_DEP_1)
	v_div_scale_f64 v[12:13], null, v[14:15], v[14:15], 1.0
	v_rcp_f64_e32 v[16:17], v[12:13]
	v_nop
	s_delay_alu instid0(TRANS32_DEP_1) | instskip(NEXT) | instid1(VALU_DEP_1)
	v_fma_f64 v[18:19], -v[12:13], v[16:17], 1.0
	v_fmac_f64_e32 v[16:17], v[16:17], v[18:19]
	s_delay_alu instid0(VALU_DEP_1) | instskip(NEXT) | instid1(VALU_DEP_1)
	v_fma_f64 v[18:19], -v[12:13], v[16:17], 1.0
	v_fmac_f64_e32 v[16:17], v[16:17], v[18:19]
	v_div_scale_f64 v[18:19], vcc_lo, 1.0, v[14:15], 1.0
	s_delay_alu instid0(VALU_DEP_1) | instskip(NEXT) | instid1(VALU_DEP_1)
	v_mul_f64_e32 v[200:201], v[18:19], v[16:17]
	v_fma_f64 v[12:13], -v[12:13], v[200:201], v[18:19]
	s_delay_alu instid0(VALU_DEP_1) | instskip(NEXT) | instid1(VALU_DEP_1)
	v_div_fmas_f64 v[12:13], v[12:13], v[16:17], v[200:201]
	v_div_fixup_f64 v[18:19], v[12:13], v[14:15], 1.0
                                        ; implicit-def: $vgpr12_vgpr13
	s_delay_alu instid0(VALU_DEP_1)
	v_mul_f64_e32 v[16:17], v[2:3], v[18:19]
	v_xor_b32_e32 v19, 0x80000000, v19
.LBB89_541:                             ;   in Loop: Header=BB89_3 Depth=1
	s_and_not1_saveexec_b32 s57, s57
	s_cbranch_execz .LBB89_543
; %bb.542:                              ;   in Loop: Header=BB89_3 Depth=1
	v_div_scale_f64 v[2:3], null, v[12:13], v[12:13], v[14:15]
	v_div_scale_f64 v[200:201], vcc_lo, v[14:15], v[12:13], v[14:15]
	s_delay_alu instid0(VALU_DEP_2) | instskip(SKIP_1) | instid1(TRANS32_DEP_1)
	v_rcp_f64_e32 v[16:17], v[2:3]
	v_nop
	v_fma_f64 v[18:19], -v[2:3], v[16:17], 1.0
	s_delay_alu instid0(VALU_DEP_1) | instskip(NEXT) | instid1(VALU_DEP_1)
	v_fmac_f64_e32 v[16:17], v[16:17], v[18:19]
	v_fma_f64 v[18:19], -v[2:3], v[16:17], 1.0
	s_delay_alu instid0(VALU_DEP_1) | instskip(NEXT) | instid1(VALU_DEP_1)
	v_fmac_f64_e32 v[16:17], v[16:17], v[18:19]
	v_mul_f64_e32 v[18:19], v[200:201], v[16:17]
	s_delay_alu instid0(VALU_DEP_1) | instskip(NEXT) | instid1(VALU_DEP_1)
	v_fma_f64 v[2:3], -v[2:3], v[18:19], v[200:201]
	v_div_fmas_f64 v[2:3], v[2:3], v[16:17], v[18:19]
	s_delay_alu instid0(VALU_DEP_1) | instskip(NEXT) | instid1(VALU_DEP_1)
	v_div_fixup_f64 v[2:3], v[2:3], v[12:13], v[14:15]
	v_fmac_f64_e32 v[12:13], v[14:15], v[2:3]
	s_delay_alu instid0(VALU_DEP_1) | instskip(NEXT) | instid1(VALU_DEP_1)
	v_div_scale_f64 v[14:15], null, v[12:13], v[12:13], 1.0
	v_rcp_f64_e32 v[16:17], v[14:15]
	v_nop
	s_delay_alu instid0(TRANS32_DEP_1) | instskip(NEXT) | instid1(VALU_DEP_1)
	v_fma_f64 v[18:19], -v[14:15], v[16:17], 1.0
	v_fmac_f64_e32 v[16:17], v[16:17], v[18:19]
	s_delay_alu instid0(VALU_DEP_1) | instskip(NEXT) | instid1(VALU_DEP_1)
	v_fma_f64 v[18:19], -v[14:15], v[16:17], 1.0
	v_fmac_f64_e32 v[16:17], v[16:17], v[18:19]
	v_div_scale_f64 v[18:19], vcc_lo, 1.0, v[12:13], 1.0
	s_delay_alu instid0(VALU_DEP_1) | instskip(NEXT) | instid1(VALU_DEP_1)
	v_mul_f64_e32 v[200:201], v[18:19], v[16:17]
	v_fma_f64 v[14:15], -v[14:15], v[200:201], v[18:19]
	s_delay_alu instid0(VALU_DEP_1) | instskip(NEXT) | instid1(VALU_DEP_1)
	v_div_fmas_f64 v[14:15], v[14:15], v[16:17], v[200:201]
	v_div_fixup_f64 v[16:17], v[14:15], v[12:13], 1.0
	s_delay_alu instid0(VALU_DEP_1)
	v_mul_f64_e64 v[18:19], v[2:3], -v[16:17]
.LBB89_543:                             ;   in Loop: Header=BB89_3 Depth=1
	s_or_b32 exec_lo, exec_lo, s57
	ds_store_b128 v194, v[16:19]
.LBB89_544:                             ;   in Loop: Header=BB89_3 Depth=1
	s_or_b32 exec_lo, exec_lo, s56
	s_and_not1_saveexec_b32 s35, s35
	s_cbranch_execnz .LBB89_21
	s_branch .LBB89_22
.LBB89_545:                             ;   in Loop: Header=BB89_3 Depth=1
	s_or_b32 exec_lo, exec_lo, s57
	s_delay_alu instid0(SALU_CYCLE_1)
	s_and_b32 vcc_lo, exec_lo, s56
	s_cbranch_vccnz .LBB89_484
.LBB89_546:                             ;   in Loop: Header=BB89_3 Depth=1
	s_delay_alu instid0(VALU_DEP_1) | instskip(NEXT) | instid1(VALU_DEP_3)
	v_mov_b64_e32 v[14:15], v[2:3]
	v_mov_b64_e32 v[12:13], v[38:39]
	;; [unrolled: 1-line block ×3, first 2 shown]
	s_and_saveexec_b32 s56, s35
	s_cbranch_execz .LBB89_548
.LBB89_547:                             ;   in Loop: Header=BB89_3 Depth=1
	s_delay_alu instid0(VALU_DEP_1)
	v_lshl_add_u64 v[2:3], v[2:3], 4, s[40:41]
	global_store_b128 v[2:3], v[12:15], off
.LBB89_548:                             ;   in Loop: Header=BB89_3 Depth=1
	s_wait_xcnt 0x0
	s_or_b32 exec_lo, exec_lo, s56
	global_wb scope:SCOPE_DEV
	s_wait_storecnt 0x0
	global_inv scope:SCOPE_DEV
	s_wait_loadcnt 0x0
	s_barrier_signal -1
	s_barrier_wait -1
	s_and_saveexec_b32 s35, s33
	s_cbranch_execz .LBB89_2
; %bb.549:                              ;   in Loop: Header=BB89_3 Depth=1
	s_lshl_b64 s[40:41], s[52:53], 2
	s_delay_alu instid0(SALU_CYCLE_1)
	s_add_nc_u64 s[40:41], s[54:55], s[40:41]
	global_load_b32 v0, v1, s[40:41]
	s_wait_loadcnt 0x0
	v_add_nc_u32_e32 v0, 1, v0
	global_store_b32 v1, v0, s[40:41]
	s_branch .LBB89_2
.LBB89_550:                             ;   in Loop: Header=BB89_3 Depth=1
	ds_load_b128 v[16:19], v51 offset:16336
	ds_load_b128 v[200:203], v50 offset:15232
	s_wait_dscnt 0x0
	v_mul_f64_e32 v[2:3], v[18:19], v[202:203]
	s_delay_alu instid0(VALU_DEP_1) | instskip(SKIP_1) | instid1(VALU_DEP_2)
	v_fma_f64 v[2:3], v[16:17], v[200:201], -v[2:3]
	v_mul_f64_e32 v[16:17], v[16:17], v[202:203]
	v_add_f64_e32 v[12:13], v[12:13], v[2:3]
	s_delay_alu instid0(VALU_DEP_2) | instskip(NEXT) | instid1(VALU_DEP_1)
	v_fmac_f64_e32 v[16:17], v[18:19], v[200:201]
	v_add_f64_e32 v[14:15], v[14:15], v[16:17]
	s_or_b32 exec_lo, exec_lo, s40
	s_and_saveexec_b32 s40, s12
	s_cbranch_execz .LBB89_45
.LBB89_551:                             ;   in Loop: Header=BB89_3 Depth=1
	ds_load_b128 v[16:19], v51 offset:16352
	ds_load_b128 v[200:203], v50 offset:15744
	s_wait_dscnt 0x0
	v_mul_f64_e32 v[2:3], v[18:19], v[202:203]
	s_delay_alu instid0(VALU_DEP_1) | instskip(SKIP_1) | instid1(VALU_DEP_2)
	v_fma_f64 v[2:3], v[16:17], v[200:201], -v[2:3]
	v_mul_f64_e32 v[16:17], v[16:17], v[202:203]
	v_add_f64_e32 v[12:13], v[12:13], v[2:3]
	s_delay_alu instid0(VALU_DEP_2) | instskip(NEXT) | instid1(VALU_DEP_1)
	v_fmac_f64_e32 v[16:17], v[18:19], v[200:201]
	v_add_f64_e32 v[14:15], v[14:15], v[16:17]
	s_or_b32 exec_lo, exec_lo, s40
	s_and_saveexec_b32 s40, s2
	s_cbranch_execnz .LBB89_46
	s_branch .LBB89_47
.LBB89_552:                             ;   in Loop: Header=BB89_3 Depth=1
	ds_load_b128 v[16:19], v55 offset:16272
	ds_load_b128 v[200:203], v54 offset:13056
	s_wait_dscnt 0x0
	v_mul_f64_e32 v[2:3], v[18:19], v[202:203]
	s_delay_alu instid0(VALU_DEP_1) | instskip(SKIP_1) | instid1(VALU_DEP_2)
	v_fma_f64 v[2:3], v[16:17], v[200:201], -v[2:3]
	v_mul_f64_e32 v[16:17], v[16:17], v[202:203]
	v_add_f64_e32 v[12:13], v[12:13], v[2:3]
	s_delay_alu instid0(VALU_DEP_2) | instskip(NEXT) | instid1(VALU_DEP_1)
	v_fmac_f64_e32 v[16:17], v[18:19], v[200:201]
	v_add_f64_e32 v[14:15], v[14:15], v[16:17]
	s_or_b32 exec_lo, exec_lo, s40
	s_and_saveexec_b32 s40, s14
	s_cbranch_execz .LBB89_87
.LBB89_553:                             ;   in Loop: Header=BB89_3 Depth=1
	ds_load_b128 v[16:19], v55 offset:16288
	ds_load_b128 v[200:203], v54 offset:13568
	s_wait_dscnt 0x0
	v_mul_f64_e32 v[2:3], v[18:19], v[202:203]
	s_delay_alu instid0(VALU_DEP_1) | instskip(SKIP_1) | instid1(VALU_DEP_2)
	v_fma_f64 v[2:3], v[16:17], v[200:201], -v[2:3]
	v_mul_f64_e32 v[16:17], v[16:17], v[202:203]
	v_add_f64_e32 v[12:13], v[12:13], v[2:3]
	s_delay_alu instid0(VALU_DEP_2) | instskip(NEXT) | instid1(VALU_DEP_1)
	v_fmac_f64_e32 v[16:17], v[18:19], v[200:201]
	v_add_f64_e32 v[14:15], v[14:15], v[16:17]
	s_or_b32 exec_lo, exec_lo, s40
	s_and_saveexec_b32 s40, s15
	s_cbranch_execz .LBB89_88
.LBB89_554:                             ;   in Loop: Header=BB89_3 Depth=1
	ds_load_b128 v[16:19], v55 offset:16304
	ds_load_b128 v[200:203], v54 offset:14080
	s_wait_dscnt 0x0
	v_mul_f64_e32 v[2:3], v[18:19], v[202:203]
	s_delay_alu instid0(VALU_DEP_1) | instskip(SKIP_1) | instid1(VALU_DEP_2)
	v_fma_f64 v[2:3], v[16:17], v[200:201], -v[2:3]
	v_mul_f64_e32 v[16:17], v[16:17], v[202:203]
	v_add_f64_e32 v[12:13], v[12:13], v[2:3]
	s_delay_alu instid0(VALU_DEP_2) | instskip(NEXT) | instid1(VALU_DEP_1)
	v_fmac_f64_e32 v[16:17], v[18:19], v[200:201]
	v_add_f64_e32 v[14:15], v[14:15], v[16:17]
	s_or_b32 exec_lo, exec_lo, s40
	s_and_saveexec_b32 s40, s16
	s_cbranch_execz .LBB89_89
.LBB89_555:                             ;   in Loop: Header=BB89_3 Depth=1
	ds_load_b128 v[16:19], v55 offset:16320
	ds_load_b128 v[200:203], v54 offset:14592
	s_wait_dscnt 0x0
	v_mul_f64_e32 v[2:3], v[18:19], v[202:203]
	s_delay_alu instid0(VALU_DEP_1) | instskip(SKIP_1) | instid1(VALU_DEP_2)
	v_fma_f64 v[2:3], v[16:17], v[200:201], -v[2:3]
	v_mul_f64_e32 v[16:17], v[16:17], v[202:203]
	v_add_f64_e32 v[12:13], v[12:13], v[2:3]
	s_delay_alu instid0(VALU_DEP_2) | instskip(NEXT) | instid1(VALU_DEP_1)
	v_fmac_f64_e32 v[16:17], v[18:19], v[200:201]
	v_add_f64_e32 v[14:15], v[14:15], v[16:17]
	s_or_b32 exec_lo, exec_lo, s40
	s_and_saveexec_b32 s40, s17
	s_cbranch_execz .LBB89_90
.LBB89_556:                             ;   in Loop: Header=BB89_3 Depth=1
	ds_load_b128 v[16:19], v55 offset:16336
	ds_load_b128 v[200:203], v54 offset:15104
	s_wait_dscnt 0x0
	v_mul_f64_e32 v[2:3], v[18:19], v[202:203]
	s_delay_alu instid0(VALU_DEP_1) | instskip(SKIP_1) | instid1(VALU_DEP_2)
	v_fma_f64 v[2:3], v[16:17], v[200:201], -v[2:3]
	v_mul_f64_e32 v[16:17], v[16:17], v[202:203]
	v_add_f64_e32 v[12:13], v[12:13], v[2:3]
	s_delay_alu instid0(VALU_DEP_2) | instskip(NEXT) | instid1(VALU_DEP_1)
	v_fmac_f64_e32 v[16:17], v[18:19], v[200:201]
	v_add_f64_e32 v[14:15], v[14:15], v[16:17]
	s_or_b32 exec_lo, exec_lo, s40
	s_and_saveexec_b32 s40, s4
	s_cbranch_execz .LBB89_91
.LBB89_557:                             ;   in Loop: Header=BB89_3 Depth=1
	ds_load_b128 v[16:19], v55 offset:16352
	ds_load_b128 v[200:203], v54 offset:15616
	s_wait_dscnt 0x0
	v_mul_f64_e32 v[2:3], v[18:19], v[202:203]
	s_delay_alu instid0(VALU_DEP_1) | instskip(SKIP_1) | instid1(VALU_DEP_2)
	v_fma_f64 v[2:3], v[16:17], v[200:201], -v[2:3]
	v_mul_f64_e32 v[16:17], v[16:17], v[202:203]
	v_add_f64_e32 v[12:13], v[12:13], v[2:3]
	s_delay_alu instid0(VALU_DEP_2) | instskip(NEXT) | instid1(VALU_DEP_1)
	v_fmac_f64_e32 v[16:17], v[18:19], v[200:201]
	v_add_f64_e32 v[14:15], v[14:15], v[16:17]
	s_or_b32 exec_lo, exec_lo, s40
	s_and_saveexec_b32 s40, s12
	s_cbranch_execnz .LBB89_92
	s_branch .LBB89_93
.LBB89_558:                             ;   in Loop: Header=BB89_3 Depth=1
	ds_load_b128 v[16:19], v51 offset:12112
	ds_load_b128 v[200:203], v50 offset:11008
	s_wait_dscnt 0x0
	v_mul_f64_e32 v[2:3], v[18:19], v[202:203]
	s_delay_alu instid0(VALU_DEP_1) | instskip(SKIP_1) | instid1(VALU_DEP_2)
	v_fma_f64 v[2:3], v[16:17], v[200:201], -v[2:3]
	v_mul_f64_e32 v[16:17], v[16:17], v[202:203]
	v_add_f64_e32 v[12:13], v[12:13], v[2:3]
	s_delay_alu instid0(VALU_DEP_2) | instskip(NEXT) | instid1(VALU_DEP_1)
	v_fmac_f64_e32 v[16:17], v[18:19], v[200:201]
	v_add_f64_e32 v[14:15], v[14:15], v[16:17]
	s_or_b32 exec_lo, exec_lo, s40
	s_and_saveexec_b32 s40, s12
	s_cbranch_execz .LBB89_149
.LBB89_559:                             ;   in Loop: Header=BB89_3 Depth=1
	ds_load_b128 v[16:19], v51 offset:12128
	ds_load_b128 v[200:203], v50 offset:11520
	s_wait_dscnt 0x0
	v_mul_f64_e32 v[2:3], v[18:19], v[202:203]
	s_delay_alu instid0(VALU_DEP_1) | instskip(SKIP_1) | instid1(VALU_DEP_2)
	v_fma_f64 v[2:3], v[16:17], v[200:201], -v[2:3]
	v_mul_f64_e32 v[16:17], v[16:17], v[202:203]
	v_add_f64_e32 v[12:13], v[12:13], v[2:3]
	s_delay_alu instid0(VALU_DEP_2) | instskip(NEXT) | instid1(VALU_DEP_1)
	v_fmac_f64_e32 v[16:17], v[18:19], v[200:201]
	v_add_f64_e32 v[14:15], v[14:15], v[16:17]
	s_or_b32 exec_lo, exec_lo, s40
	s_and_saveexec_b32 s40, s2
	s_cbranch_execnz .LBB89_150
	s_branch .LBB89_151
.LBB89_560:                             ;   in Loop: Header=BB89_3 Depth=1
	ds_load_b128 v[16:19], v67 offset:16304
	ds_load_b128 v[200:203], v66 offset:13824
	s_wait_dscnt 0x0
	v_mul_f64_e32 v[2:3], v[18:19], v[202:203]
	s_delay_alu instid0(VALU_DEP_1) | instskip(SKIP_1) | instid1(VALU_DEP_2)
	v_fma_f64 v[2:3], v[16:17], v[200:201], -v[2:3]
	v_mul_f64_e32 v[16:17], v[16:17], v[202:203]
	v_add_f64_e32 v[12:13], v[12:13], v[2:3]
	s_delay_alu instid0(VALU_DEP_2) | instskip(NEXT) | instid1(VALU_DEP_1)
	v_fmac_f64_e32 v[16:17], v[18:19], v[200:201]
	v_add_f64_e32 v[14:15], v[14:15], v[16:17]
	s_or_b32 exec_lo, exec_lo, s40
	s_and_saveexec_b32 s40, s5
	s_cbranch_execz .LBB89_211
.LBB89_561:                             ;   in Loop: Header=BB89_3 Depth=1
	ds_load_b128 v[16:19], v67 offset:16320
	ds_load_b128 v[200:203], v66 offset:14336
	s_wait_dscnt 0x0
	v_mul_f64_e32 v[2:3], v[18:19], v[202:203]
	s_delay_alu instid0(VALU_DEP_1) | instskip(SKIP_1) | instid1(VALU_DEP_2)
	v_fma_f64 v[2:3], v[16:17], v[200:201], -v[2:3]
	v_mul_f64_e32 v[16:17], v[16:17], v[202:203]
	v_add_f64_e32 v[12:13], v[12:13], v[2:3]
	s_delay_alu instid0(VALU_DEP_2) | instskip(NEXT) | instid1(VALU_DEP_1)
	v_fmac_f64_e32 v[16:17], v[18:19], v[200:201]
	v_add_f64_e32 v[14:15], v[14:15], v[16:17]
	s_or_b32 exec_lo, exec_lo, s40
	s_and_saveexec_b32 s40, s14
	s_cbranch_execz .LBB89_212
.LBB89_562:                             ;   in Loop: Header=BB89_3 Depth=1
	ds_load_b128 v[16:19], v67 offset:16336
	ds_load_b128 v[200:203], v66 offset:14848
	s_wait_dscnt 0x0
	v_mul_f64_e32 v[2:3], v[18:19], v[202:203]
	s_delay_alu instid0(VALU_DEP_1) | instskip(SKIP_1) | instid1(VALU_DEP_2)
	v_fma_f64 v[2:3], v[16:17], v[200:201], -v[2:3]
	v_mul_f64_e32 v[16:17], v[16:17], v[202:203]
	v_add_f64_e32 v[12:13], v[12:13], v[2:3]
	s_delay_alu instid0(VALU_DEP_2) | instskip(NEXT) | instid1(VALU_DEP_1)
	v_fmac_f64_e32 v[16:17], v[18:19], v[200:201]
	v_add_f64_e32 v[14:15], v[14:15], v[16:17]
	s_or_b32 exec_lo, exec_lo, s40
	s_and_saveexec_b32 s40, s16
	s_cbranch_execz .LBB89_213
.LBB89_563:                             ;   in Loop: Header=BB89_3 Depth=1
	ds_load_b128 v[16:19], v67 offset:16352
	ds_load_b128 v[200:203], v66 offset:15360
	s_wait_dscnt 0x0
	v_mul_f64_e32 v[2:3], v[18:19], v[202:203]
	s_delay_alu instid0(VALU_DEP_1) | instskip(SKIP_1) | instid1(VALU_DEP_2)
	v_fma_f64 v[2:3], v[16:17], v[200:201], -v[2:3]
	v_mul_f64_e32 v[16:17], v[16:17], v[202:203]
	v_add_f64_e32 v[12:13], v[12:13], v[2:3]
	s_delay_alu instid0(VALU_DEP_2) | instskip(NEXT) | instid1(VALU_DEP_1)
	v_fmac_f64_e32 v[16:17], v[18:19], v[200:201]
	v_add_f64_e32 v[14:15], v[14:15], v[16:17]
	s_or_b32 exec_lo, exec_lo, s40
	s_and_saveexec_b32 s40, s4
	s_cbranch_execnz .LBB89_214
	s_branch .LBB89_215
.LBB89_564:                             ;   in Loop: Header=BB89_3 Depth=1
	ds_load_b128 v[16:19], v51 offset:7888
	ds_load_b128 v[200:203], v50 offset:6784
	s_wait_dscnt 0x0
	v_mul_f64_e32 v[2:3], v[18:19], v[202:203]
	s_delay_alu instid0(VALU_DEP_1) | instskip(SKIP_1) | instid1(VALU_DEP_2)
	v_fma_f64 v[2:3], v[16:17], v[200:201], -v[2:3]
	v_mul_f64_e32 v[16:17], v[16:17], v[202:203]
	v_add_f64_e32 v[12:13], v[12:13], v[2:3]
	s_delay_alu instid0(VALU_DEP_2) | instskip(NEXT) | instid1(VALU_DEP_1)
	v_fmac_f64_e32 v[16:17], v[18:19], v[200:201]
	v_add_f64_e32 v[14:15], v[14:15], v[16:17]
	s_or_b32 exec_lo, exec_lo, s40
	s_and_saveexec_b32 s40, s12
	s_cbranch_execz .LBB89_303
.LBB89_565:                             ;   in Loop: Header=BB89_3 Depth=1
	ds_load_b128 v[16:19], v51 offset:7904
	ds_load_b128 v[200:203], v50 offset:7296
	s_wait_dscnt 0x0
	v_mul_f64_e32 v[2:3], v[18:19], v[202:203]
	s_delay_alu instid0(VALU_DEP_1) | instskip(SKIP_1) | instid1(VALU_DEP_2)
	v_fma_f64 v[2:3], v[16:17], v[200:201], -v[2:3]
	v_mul_f64_e32 v[16:17], v[16:17], v[202:203]
	v_add_f64_e32 v[12:13], v[12:13], v[2:3]
	s_delay_alu instid0(VALU_DEP_2) | instskip(NEXT) | instid1(VALU_DEP_1)
	v_fmac_f64_e32 v[16:17], v[18:19], v[200:201]
	v_add_f64_e32 v[14:15], v[14:15], v[16:17]
	s_or_b32 exec_lo, exec_lo, s40
	s_and_saveexec_b32 s40, s2
	s_cbranch_execnz .LBB89_304
	s_branch .LBB89_305
.LBB89_566:                             ;   in Loop: Header=BB89_3 Depth=1
	ds_load_b128 v[16:19], v55 offset:7824
	ds_load_b128 v[200:203], v54 offset:4608
	s_wait_dscnt 0x0
	v_mul_f64_e32 v[2:3], v[18:19], v[202:203]
	s_delay_alu instid0(VALU_DEP_1) | instskip(SKIP_1) | instid1(VALU_DEP_2)
	v_fma_f64 v[2:3], v[16:17], v[200:201], -v[2:3]
	v_mul_f64_e32 v[16:17], v[16:17], v[202:203]
	v_add_f64_e32 v[12:13], v[12:13], v[2:3]
	s_delay_alu instid0(VALU_DEP_2) | instskip(NEXT) | instid1(VALU_DEP_1)
	v_fmac_f64_e32 v[16:17], v[18:19], v[200:201]
	v_add_f64_e32 v[14:15], v[14:15], v[16:17]
	s_or_b32 exec_lo, exec_lo, s40
	s_and_saveexec_b32 s40, s14
	s_cbranch_execz .LBB89_345
.LBB89_567:                             ;   in Loop: Header=BB89_3 Depth=1
	ds_load_b128 v[16:19], v55 offset:7840
	ds_load_b128 v[200:203], v54 offset:5120
	s_wait_dscnt 0x0
	v_mul_f64_e32 v[2:3], v[18:19], v[202:203]
	s_delay_alu instid0(VALU_DEP_1) | instskip(SKIP_1) | instid1(VALU_DEP_2)
	v_fma_f64 v[2:3], v[16:17], v[200:201], -v[2:3]
	v_mul_f64_e32 v[16:17], v[16:17], v[202:203]
	v_add_f64_e32 v[12:13], v[12:13], v[2:3]
	s_delay_alu instid0(VALU_DEP_2) | instskip(NEXT) | instid1(VALU_DEP_1)
	v_fmac_f64_e32 v[16:17], v[18:19], v[200:201]
	v_add_f64_e32 v[14:15], v[14:15], v[16:17]
	s_or_b32 exec_lo, exec_lo, s40
	s_and_saveexec_b32 s40, s15
	s_cbranch_execz .LBB89_346
.LBB89_568:                             ;   in Loop: Header=BB89_3 Depth=1
	ds_load_b128 v[16:19], v55 offset:7856
	ds_load_b128 v[200:203], v54 offset:5632
	s_wait_dscnt 0x0
	v_mul_f64_e32 v[2:3], v[18:19], v[202:203]
	s_delay_alu instid0(VALU_DEP_1) | instskip(SKIP_1) | instid1(VALU_DEP_2)
	v_fma_f64 v[2:3], v[16:17], v[200:201], -v[2:3]
	v_mul_f64_e32 v[16:17], v[16:17], v[202:203]
	v_add_f64_e32 v[12:13], v[12:13], v[2:3]
	s_delay_alu instid0(VALU_DEP_2) | instskip(NEXT) | instid1(VALU_DEP_1)
	v_fmac_f64_e32 v[16:17], v[18:19], v[200:201]
	v_add_f64_e32 v[14:15], v[14:15], v[16:17]
	s_or_b32 exec_lo, exec_lo, s40
	s_and_saveexec_b32 s40, s16
	s_cbranch_execz .LBB89_347
.LBB89_569:                             ;   in Loop: Header=BB89_3 Depth=1
	ds_load_b128 v[16:19], v55 offset:7872
	ds_load_b128 v[200:203], v54 offset:6144
	s_wait_dscnt 0x0
	v_mul_f64_e32 v[2:3], v[18:19], v[202:203]
	s_delay_alu instid0(VALU_DEP_1) | instskip(SKIP_1) | instid1(VALU_DEP_2)
	v_fma_f64 v[2:3], v[16:17], v[200:201], -v[2:3]
	v_mul_f64_e32 v[16:17], v[16:17], v[202:203]
	v_add_f64_e32 v[12:13], v[12:13], v[2:3]
	s_delay_alu instid0(VALU_DEP_2) | instskip(NEXT) | instid1(VALU_DEP_1)
	v_fmac_f64_e32 v[16:17], v[18:19], v[200:201]
	v_add_f64_e32 v[14:15], v[14:15], v[16:17]
	s_or_b32 exec_lo, exec_lo, s40
	s_and_saveexec_b32 s40, s17
	s_cbranch_execz .LBB89_348
.LBB89_570:                             ;   in Loop: Header=BB89_3 Depth=1
	ds_load_b128 v[16:19], v55 offset:7888
	ds_load_b128 v[200:203], v54 offset:6656
	s_wait_dscnt 0x0
	v_mul_f64_e32 v[2:3], v[18:19], v[202:203]
	s_delay_alu instid0(VALU_DEP_1) | instskip(SKIP_1) | instid1(VALU_DEP_2)
	v_fma_f64 v[2:3], v[16:17], v[200:201], -v[2:3]
	v_mul_f64_e32 v[16:17], v[16:17], v[202:203]
	v_add_f64_e32 v[12:13], v[12:13], v[2:3]
	s_delay_alu instid0(VALU_DEP_2) | instskip(NEXT) | instid1(VALU_DEP_1)
	v_fmac_f64_e32 v[16:17], v[18:19], v[200:201]
	v_add_f64_e32 v[14:15], v[14:15], v[16:17]
	s_or_b32 exec_lo, exec_lo, s40
	s_and_saveexec_b32 s40, s4
	s_cbranch_execz .LBB89_349
.LBB89_571:                             ;   in Loop: Header=BB89_3 Depth=1
	ds_load_b128 v[16:19], v55 offset:7904
	ds_load_b128 v[200:203], v54 offset:7168
	s_wait_dscnt 0x0
	v_mul_f64_e32 v[2:3], v[18:19], v[202:203]
	s_delay_alu instid0(VALU_DEP_1) | instskip(SKIP_1) | instid1(VALU_DEP_2)
	v_fma_f64 v[2:3], v[16:17], v[200:201], -v[2:3]
	v_mul_f64_e32 v[16:17], v[16:17], v[202:203]
	v_add_f64_e32 v[12:13], v[12:13], v[2:3]
	s_delay_alu instid0(VALU_DEP_2) | instskip(NEXT) | instid1(VALU_DEP_1)
	v_fmac_f64_e32 v[16:17], v[18:19], v[200:201]
	v_add_f64_e32 v[14:15], v[14:15], v[16:17]
	s_or_b32 exec_lo, exec_lo, s40
	s_and_saveexec_b32 s40, s12
	s_cbranch_execnz .LBB89_350
	s_branch .LBB89_351
.LBB89_572:                             ;   in Loop: Header=BB89_3 Depth=1
	ds_load_b128 v[16:19], v51 offset:3664
	ds_load_b128 v[200:203], v50 offset:2560
	s_wait_dscnt 0x0
	v_mul_f64_e32 v[2:3], v[18:19], v[202:203]
	s_delay_alu instid0(VALU_DEP_1) | instskip(SKIP_1) | instid1(VALU_DEP_2)
	v_fma_f64 v[2:3], v[16:17], v[200:201], -v[2:3]
	v_mul_f64_e32 v[16:17], v[16:17], v[202:203]
	v_add_f64_e32 v[12:13], v[12:13], v[2:3]
	s_delay_alu instid0(VALU_DEP_2) | instskip(NEXT) | instid1(VALU_DEP_1)
	v_fmac_f64_e32 v[16:17], v[18:19], v[200:201]
	v_add_f64_e32 v[14:15], v[14:15], v[16:17]
	s_or_b32 exec_lo, exec_lo, s40
	s_and_saveexec_b32 s40, s12
	s_cbranch_execz .LBB89_407
.LBB89_573:                             ;   in Loop: Header=BB89_3 Depth=1
	ds_load_b128 v[16:19], v51 offset:3680
	ds_load_b128 v[200:203], v50 offset:3072
	s_wait_dscnt 0x0
	v_mul_f64_e32 v[2:3], v[18:19], v[202:203]
	s_delay_alu instid0(VALU_DEP_1) | instskip(SKIP_1) | instid1(VALU_DEP_2)
	v_fma_f64 v[2:3], v[16:17], v[200:201], -v[2:3]
	v_mul_f64_e32 v[16:17], v[16:17], v[202:203]
	v_add_f64_e32 v[12:13], v[12:13], v[2:3]
	s_delay_alu instid0(VALU_DEP_2) | instskip(NEXT) | instid1(VALU_DEP_1)
	v_fmac_f64_e32 v[16:17], v[18:19], v[200:201]
	v_add_f64_e32 v[14:15], v[14:15], v[16:17]
	s_or_b32 exec_lo, exec_lo, s40
	s_and_saveexec_b32 s40, s2
	s_cbranch_execnz .LBB89_408
	s_branch .LBB89_409
.LBB89_574:
	s_endpgm
	.section	.rodata,"a",@progbits
	.p2align	6, 0x0
	.amdhsa_kernel _ZL19rocblas_trsv_deviceILi32ELi16ELb0ELb1ELb0ELb0E19rocblas_complex_numIdES1_PKS1_PS1_EviT7_lllT6_T8_lllPii
		.amdhsa_group_segment_fixed_size 25104
		.amdhsa_private_segment_fixed_size 0
		.amdhsa_kernarg_size 360
		.amdhsa_user_sgpr_count 2
		.amdhsa_user_sgpr_dispatch_ptr 0
		.amdhsa_user_sgpr_queue_ptr 0
		.amdhsa_user_sgpr_kernarg_segment_ptr 1
		.amdhsa_user_sgpr_dispatch_id 0
		.amdhsa_user_sgpr_kernarg_preload_length 0
		.amdhsa_user_sgpr_kernarg_preload_offset 0
		.amdhsa_user_sgpr_private_segment_size 0
		.amdhsa_wavefront_size32 1
		.amdhsa_uses_dynamic_stack 0
		.amdhsa_enable_private_segment 0
		.amdhsa_system_sgpr_workgroup_id_x 1
		.amdhsa_system_sgpr_workgroup_id_y 0
		.amdhsa_system_sgpr_workgroup_id_z 1
		.amdhsa_system_sgpr_workgroup_info 0
		.amdhsa_system_vgpr_workitem_id 1
		.amdhsa_next_free_vgpr 209
		.amdhsa_next_free_sgpr 105
		.amdhsa_named_barrier_count 0
		.amdhsa_reserve_vcc 1
		.amdhsa_float_round_mode_32 0
		.amdhsa_float_round_mode_16_64 0
		.amdhsa_float_denorm_mode_32 3
		.amdhsa_float_denorm_mode_16_64 3
		.amdhsa_fp16_overflow 0
		.amdhsa_memory_ordered 1
		.amdhsa_forward_progress 1
		.amdhsa_inst_pref_size 230
		.amdhsa_round_robin_scheduling 0
		.amdhsa_exception_fp_ieee_invalid_op 0
		.amdhsa_exception_fp_denorm_src 0
		.amdhsa_exception_fp_ieee_div_zero 0
		.amdhsa_exception_fp_ieee_overflow 0
		.amdhsa_exception_fp_ieee_underflow 0
		.amdhsa_exception_fp_ieee_inexact 0
		.amdhsa_exception_int_div_zero 0
	.end_amdhsa_kernel
	.section	.text._ZL19rocblas_trsv_deviceILi32ELi16ELb0ELb1ELb0ELb0E19rocblas_complex_numIdES1_PKS1_PS1_EviT7_lllT6_T8_lllPii,"axG",@progbits,_ZL19rocblas_trsv_deviceILi32ELi16ELb0ELb1ELb0ELb0E19rocblas_complex_numIdES1_PKS1_PS1_EviT7_lllT6_T8_lllPii,comdat
.Lfunc_end89:
	.size	_ZL19rocblas_trsv_deviceILi32ELi16ELb0ELb1ELb0ELb0E19rocblas_complex_numIdES1_PKS1_PS1_EviT7_lllT6_T8_lllPii, .Lfunc_end89-_ZL19rocblas_trsv_deviceILi32ELi16ELb0ELb1ELb0ELb0E19rocblas_complex_numIdES1_PKS1_PS1_EviT7_lllT6_T8_lllPii
                                        ; -- End function
	.set _ZL19rocblas_trsv_deviceILi32ELi16ELb0ELb1ELb0ELb0E19rocblas_complex_numIdES1_PKS1_PS1_EviT7_lllT6_T8_lllPii.num_vgpr, 209
	.set _ZL19rocblas_trsv_deviceILi32ELi16ELb0ELb1ELb0ELb0E19rocblas_complex_numIdES1_PKS1_PS1_EviT7_lllT6_T8_lllPii.num_agpr, 0
	.set _ZL19rocblas_trsv_deviceILi32ELi16ELb0ELb1ELb0ELb0E19rocblas_complex_numIdES1_PKS1_PS1_EviT7_lllT6_T8_lllPii.numbered_sgpr, 105
	.set _ZL19rocblas_trsv_deviceILi32ELi16ELb0ELb1ELb0ELb0E19rocblas_complex_numIdES1_PKS1_PS1_EviT7_lllT6_T8_lllPii.num_named_barrier, 0
	.set _ZL19rocblas_trsv_deviceILi32ELi16ELb0ELb1ELb0ELb0E19rocblas_complex_numIdES1_PKS1_PS1_EviT7_lllT6_T8_lllPii.private_seg_size, 0
	.set _ZL19rocblas_trsv_deviceILi32ELi16ELb0ELb1ELb0ELb0E19rocblas_complex_numIdES1_PKS1_PS1_EviT7_lllT6_T8_lllPii.uses_vcc, 1
	.set _ZL19rocblas_trsv_deviceILi32ELi16ELb0ELb1ELb0ELb0E19rocblas_complex_numIdES1_PKS1_PS1_EviT7_lllT6_T8_lllPii.uses_flat_scratch, 0
	.set _ZL19rocblas_trsv_deviceILi32ELi16ELb0ELb1ELb0ELb0E19rocblas_complex_numIdES1_PKS1_PS1_EviT7_lllT6_T8_lllPii.has_dyn_sized_stack, 0
	.set _ZL19rocblas_trsv_deviceILi32ELi16ELb0ELb1ELb0ELb0E19rocblas_complex_numIdES1_PKS1_PS1_EviT7_lllT6_T8_lllPii.has_recursion, 0
	.set _ZL19rocblas_trsv_deviceILi32ELi16ELb0ELb1ELb0ELb0E19rocblas_complex_numIdES1_PKS1_PS1_EviT7_lllT6_T8_lllPii.has_indirect_call, 0
	.section	.AMDGPU.csdata,"",@progbits
; Kernel info:
; codeLenInByte = 29344
; TotalNumSgprs: 107
; NumVgprs: 209
; ScratchSize: 0
; MemoryBound: 1
; FloatMode: 240
; IeeeMode: 1
; LDSByteSize: 25104 bytes/workgroup (compile time only)
; SGPRBlocks: 0
; VGPRBlocks: 13
; NumSGPRsForWavesPerEU: 107
; NumVGPRsForWavesPerEU: 209
; NamedBarCnt: 0
; Occupancy: 4
; WaveLimiterHint : 0
; COMPUTE_PGM_RSRC2:SCRATCH_EN: 0
; COMPUTE_PGM_RSRC2:USER_SGPR: 2
; COMPUTE_PGM_RSRC2:TRAP_HANDLER: 0
; COMPUTE_PGM_RSRC2:TGID_X_EN: 1
; COMPUTE_PGM_RSRC2:TGID_Y_EN: 0
; COMPUTE_PGM_RSRC2:TGID_Z_EN: 1
; COMPUTE_PGM_RSRC2:TIDIG_COMP_CNT: 1
	.section	.text._ZL19rocblas_trsv_deviceILi32ELi16ELb0ELb1ELb1ELb0E19rocblas_complex_numIdES1_PKS1_PS1_EviT7_lllT6_T8_lllPii,"axG",@progbits,_ZL19rocblas_trsv_deviceILi32ELi16ELb0ELb1ELb1ELb0E19rocblas_complex_numIdES1_PKS1_PS1_EviT7_lllT6_T8_lllPii,comdat
	.globl	_ZL19rocblas_trsv_deviceILi32ELi16ELb0ELb1ELb1ELb0E19rocblas_complex_numIdES1_PKS1_PS1_EviT7_lllT6_T8_lllPii ; -- Begin function _ZL19rocblas_trsv_deviceILi32ELi16ELb0ELb1ELb1ELb0E19rocblas_complex_numIdES1_PKS1_PS1_EviT7_lllT6_T8_lllPii
	.p2align	8
	.type	_ZL19rocblas_trsv_deviceILi32ELi16ELb0ELb1ELb1ELb0E19rocblas_complex_numIdES1_PKS1_PS1_EviT7_lllT6_T8_lllPii,@function
_ZL19rocblas_trsv_deviceILi32ELi16ELb0ELb1ELb1ELb0E19rocblas_complex_numIdES1_PKS1_PS1_EviT7_lllT6_T8_lllPii: ; @_ZL19rocblas_trsv_deviceILi32ELi16ELb0ELb1ELb1ELb0E19rocblas_complex_numIdES1_PKS1_PS1_EviT7_lllT6_T8_lllPii
; %bb.0:
	s_load_b32 s58, s[0:1], 0x60
	s_bfe_u32 s2, ttmp6, 0x40014
	s_lshr_b32 s3, ttmp7, 16
	s_add_co_i32 s2, s2, 1
	s_bfe_u32 s5, ttmp6, 0x40008
	s_mul_i32 s4, s3, s2
	s_getreg_b32 s2, hwreg(HW_REG_IB_STS2, 6, 4)
	s_add_co_i32 s5, s5, s4
	s_cmp_eq_u32 s2, 0
	s_mov_b32 s53, 0
	s_cselect_b32 s52, s3, s5
	s_wait_kmcnt 0x0
	s_cmp_ge_u32 s52, s58
	s_cbranch_scc1 .LBB90_574
; %bb.1:
	s_clause 0x2
	s_load_b512 s[36:51], s[0:1], 0x8
	s_load_b32 s3, s[0:1], 0x74
	s_load_b32 s59, s[0:1], 0x0
	s_bfe_u32 s5, ttmp6, 0x4000c
	s_and_b32 s4, ttmp6, 15
	s_add_co_i32 s5, s5, 1
	v_and_b32_e32 v20, 0x3ff, v0
	s_mul_i32 s5, ttmp9, s5
	v_bfe_u32 v40, v0, 10, 10
	s_add_co_i32 s10, s4, s5
	s_delay_alu instid0(VALU_DEP_2) | instskip(SKIP_1) | instid1(VALU_DEP_3)
	v_dual_mov_b32 v1, 0 :: v_dual_lshlrev_b32 v9, 5, v20
                                        ; implicit-def: $vgpr208 : SGPR spill to VGPR lane
	v_mul_u32_u24_e32 v127, 0x210, v20
	v_lshl_add_u32 v7, v40, 5, v20
	s_delay_alu instid0(VALU_DEP_3) | instskip(NEXT) | instid1(VALU_DEP_4)
	v_dual_mov_b32 v23, v1 :: v_dual_bitop2_b32 v12, 1, v0 bitop3:0x40
	v_dual_mov_b32 v21, v1 :: v_dual_add_nc_u32 v10, v40, v9
	s_delay_alu instid0(VALU_DEP_3)
	v_cmp_gt_u32_e64 s29, 0xf0, v7
	v_lshl_add_u32 v196, v7, 4, 0x4000
	s_wait_kmcnt 0x0
	s_lshl_b64 s[4:5], s[38:39], 4
	s_lshl_b64 s[6:7], s[50:51], 4
	s_cmp_eq_u32 s2, 0
	s_add_nc_u64 s[50:51], s[36:37], s[4:5]
	s_cselect_b32 s60, ttmp9, s10
	s_and_b32 s2, s3, 0xffff
	s_add_co_i32 s3, s59, -1
	s_ashr_i32 s10, s59, 31
	s_ashr_i32 s11, s3, 31
	s_lshr_b32 s10, s10, 27
	s_lshr_b32 s11, s11, 27
	s_add_co_i32 s10, s59, s10
	s_add_co_i32 s3, s3, s11
	s_and_not1_b32 s10, s10, 31
	s_ashr_i32 s3, s3, 5
	s_sub_co_i32 s12, s59, s10
	s_cmp_eq_u32 s3, s60
	v_mad_u32_u24 v22, v40, s2, v20
	s_cselect_b32 s3, -1, 0
	s_cmp_lg_u32 s12, 0
	v_sub_co_u32 v41, s2, s60, 1
	s_cselect_b32 s4, -1, 0
	s_lshl_b32 s10, s60, 5
	s_delay_alu instid0(SALU_CYCLE_1)
	v_dual_add_nc_u32 v6, 16, v40 :: v_dual_add_nc_u32 v8, s10, v40
	s_and_b32 s13, s4, s3
	s_xor_b32 s61, s2, -1
	s_xor_b32 s62, s13, -1
	v_add_nc_u32_e32 v2, s10, v20
	s_cmp_lt_i32 s60, 5
	v_lshl_add_u32 v11, v6, 5, v20
	s_cselect_b32 vcc_lo, -1, 0
	v_dual_cndmask_b32 v14, v7, v10 :: v_dual_add_nc_u32 v9, v6, v9
	s_or_b32 vcc_lo, vcc_lo, s13
	v_lshrrev_b32_e32 v10, 10, v0
	s_add_nc_u64 s[8:9], s[40:41], 1
	s_delay_alu instid0(VALU_DEP_2)
	v_dual_cndmask_b32 v9, v11, v9, vcc_lo :: v_dual_lshrrev_b32 v11, 1, v7
	v_mad_nc_u64_u32 v[4:5], s8, s10, v[20:21]
	v_lshlrev_b32_e32 v42, 4, v12
	s_xor_b32 s63, vcc_lo, -1
	v_cmp_eq_u32_e32 vcc_lo, 1, v12
	v_lshlrev_b32_e32 v13, 9, v11
	v_cmp_eq_u32_e64 s4, 0, v12
	v_lshrrev_b32_e32 v12, 2, v7
	s_ashr_i32 s11, s10, 31
	s_mul_i32 s3, s9, s10
	v_sub_nc_u32_e32 v45, v42, v13
	s_mul_i32 s2, s8, s11
	v_dual_sub_nc_u32 v43, 0, v13 :: v_dual_lshlrev_b32 v44, 4, v20
	v_add3_u32 v5, s2, s3, v5
	v_cmp_gt_u32_e64 s2, 4, v7
	v_lshlrev_b32_e32 v15, 9, v12
	v_and_b32_e32 v13, 3, v0
	v_cmp_eq_u32_e64 s3, 0, v40
	v_cmp_gt_u32_e64 s5, 2, v20
	s_and_b32 s64, vcc_lo, s2
	s_and_b32 s65, s4, s2
	v_cmp_gt_u32_e64 s4, 16, v7
	v_sub_nc_u32_e32 v51, 0, v15
	v_cmp_eq_u32_e32 vcc_lo, 3, v13
	s_and_b32 s66, s3, s5
	v_cmp_ne_u32_e64 s5, 3, v13
	s_add_nc_u64 s[48:49], s[48:49], s[6:7]
	v_lshl_add_u32 v49, v12, 4, 0x4000
	s_and_b32 s67, vcc_lo, s4
	v_cmp_gt_u32_e32 vcc_lo, 2, v13
	v_lshlrev_b32_e32 v50, 4, v13
	v_cmp_eq_u32_e64 s6, 2, v13
	v_cmp_eq_u32_e64 s7, 1, v13
	s_and_b32 s68, s5, s4
	v_cmp_eq_u32_e64 s5, 0, v13
	s_and_b32 s70, vcc_lo, s4
	v_cmp_gt_u32_e32 vcc_lo, 4, v20
	v_dual_lshrrev_b32 v12, 3, v7 :: v_dual_bitop2_b32 v13, 7, v0 bitop3:0x40
	s_and_b32 s72, s5, s4
	v_cmp_gt_u32_e64 s5, 64, v7
	s_and_b32 s73, s3, vcc_lo
	s_and_b32 s69, s6, s4
	v_cmp_eq_u32_e32 vcc_lo, 7, v13
	v_cmp_ne_u32_e64 s6, 7, v13
	s_and_b32 s71, s7, s4
	v_dual_sub_nc_u32 v52, v50, v15 :: v_dual_lshlrev_b32 v15, 9, v12
	s_and_b32 s74, vcc_lo, s5
	v_cmp_eq_u32_e32 vcc_lo, 5, v13
	s_and_b32 s75, s6, s5
	v_cmp_gt_u32_e64 s6, 5, v13
	v_dual_lshlrev_b32 v54, 4, v13 :: v_dual_sub_nc_u32 v55, 0, v15
	s_and_b32 s78, vcc_lo, s5
	v_cmp_eq_u32_e32 vcc_lo, 4, v13
	v_cmp_eq_u32_e64 s7, 6, v13
	v_cmp_gt_u32_e64 s8, 6, v13
	s_and_b32 s79, s6, s5
	v_cmp_gt_u32_e64 s6, 3, v13
	s_and_b32 s80, vcc_lo, s5
	v_cmp_eq_u32_e32 vcc_lo, 2, v13
	v_bitop3_b32 v10, v0, v10, 0x3ff bitop3:0xa8
	s_and_b32 s76, s7, s5
	s_and_b32 s77, s8, s5
	v_cmp_gt_u32_e64 s7, 4, v13
	v_cmp_eq_u32_e64 s8, 3, v13
	s_and_b32 s83, s6, s5
	v_cmp_gt_u32_e64 s6, 2, v13
	s_and_b32 s84, vcc_lo, s5
	v_cmp_gt_u32_e32 vcc_lo, 8, v20
	v_dual_sub_nc_u32 v56, v54, v15 :: v_dual_bitop2_b32 v0, 15, v0 bitop3:0x40
	s_and_b32 s81, s7, s5
	s_and_b32 s82, s8, s5
	v_cmp_eq_u32_e64 s7, 1, v13
	v_cmp_eq_u32_e64 s8, 0, v13
	s_and_b32 s85, s6, s5
	s_and_b32 s88, s3, vcc_lo
	v_cmp_gt_u32_e64 s6, 0x100, v7
	v_cmp_eq_u32_e32 vcc_lo, 15, v0
	s_and_b32 s86, s7, s5
	s_and_b32 s87, s8, s5
	v_cmp_ne_u32_e64 s7, 15, v0
	v_cmp_eq_u32_e64 s9, 13, v0
	s_and_b32 s8, vcc_lo, s6
	v_cmp_eq_u32_e32 vcc_lo, 14, v0
	v_writelane_b32 v208, s8, 0
	s_and_b32 s7, s7, s6
	v_cmp_gt_u32_e64 s8, 14, v0
	s_clause 0x1
	s_load_b64 s[54:55], s[0:1], 0x58
	s_load_b128 s[36:39], s[0:1], 0x48
	s_and_b32 s14, vcc_lo, s6
	v_writelane_b32 v208, s7, 1
	v_cmp_gt_u32_e64 s7, 13, v0
	s_and_b32 s8, s8, s6
	v_cmp_eq_u32_e32 vcc_lo, 12, v0
	s_wait_xcnt 0x0
	v_cmp_gt_i32_e64 s1, s12, v20
	v_writelane_b32 v208, s14, 2
	s_and_b32 s7, s7, s6
	v_subrev_nc_u32_e32 v24, 32, v8
	s_and_b32 s14, vcc_lo, s6
	v_cmp_eq_u32_e32 vcc_lo, 10, v0
	v_writelane_b32 v208, s8, 3
	s_and_b32 s8, s9, s6
	v_cmp_gt_u32_e64 s9, 11, v0
	v_lshl_add_u32 v53, v12, 4, 0x4000
	s_and_b32 s99, vcc_lo, s6
	v_writelane_b32 v208, s8, 4
	v_cmp_eq_u32_e64 s8, 11, v0
	v_cmp_eq_u32_e32 vcc_lo, 9, v0
	v_dual_lshlrev_b32 v12, 5, v7 :: v_dual_bitop2_b32 v13, -16, v7 bitop3:0x40
	v_writelane_b32 v208, s7, 5
	v_cmp_gt_u32_e64 s7, 12, v0
	s_and_b32 s101, vcc_lo, s6
	v_cmp_eq_u32_e32 vcc_lo, 7, v0
	v_and_b32_e32 v15, 0xfffffe00, v12
	v_writelane_b32 v208, s14, 6
	s_and_b32 s7, s7, s6
	v_cmp_gt_i32_e64 s0, s59, v2
	s_and_b32 vcc_hi, vcc_lo, s6
	v_cmp_eq_u32_e32 vcc_lo, 5, v0
	v_writelane_b32 v208, s7, 7
	s_and_b32 s7, s8, s6
	v_cmp_gt_u32_e64 s8, 9, v0
	v_add_nc_u32_e32 v65, 0x4000, v13
	s_and_b32 s21, vcc_lo, s6
	v_writelane_b32 v208, s7, 8
	s_and_b32 s7, s9, s6
	v_cmp_eq_u32_e64 s9, 8, v0
	v_cmp_eq_u32_e32 vcc_lo, 4, v0
	s_and_b32 s102, s8, s6
	v_writelane_b32 v208, s7, 9
	v_cmp_gt_u32_e64 s7, 10, v0
	s_and_b32 s103, s9, s6
	v_cmp_gt_u32_e64 s9, 6, v0
	s_and_b32 s23, vcc_lo, s6
	v_cmp_eq_u32_e32 vcc_lo, 2, v0
	s_and_b32 s100, s7, s6
	v_cmp_gt_u32_e64 s7, 8, v0
	s_and_b32 s20, s9, s6
	v_cmp_eq_u32_e64 s9, 3, v0
	v_cmp_eq_u32_e64 s8, 6, v0
	s_and_b32 s27, vcc_lo, s6
	s_and_b32 s104, s7, s6
	v_cmp_gt_u32_e64 s7, 7, v0
	s_and_b32 s25, s9, s6
	v_cmp_eq_u32_e64 s9, 0, v0
	v_cmp_gt_u32_e32 vcc_lo, 16, v20
	s_and_b32 s19, s8, s6
	s_and_b32 s18, s7, s6
	v_cmp_gt_u32_e64 s7, 5, v0
	v_cmp_gt_u32_e64 s8, 4, v0
	s_and_b32 s31, s9, s6
	s_and_b32 s9, s3, vcc_lo
	v_cmp_le_i32_e32 vcc_lo, s12, v20
	s_and_b32 s22, s7, s6
	v_cmp_gt_u32_e64 s7, 3, v0
	s_and_b32 s24, s8, s6
	v_cmp_eq_u32_e64 s8, 1, v0
	s_and_b32 s89, vcc_lo, s13
	v_dual_lshlrev_b32 v66, 4, v0 :: v_dual_sub_nc_u32 v67, 0, v15
	s_and_b32 s26, s7, s6
	v_cmp_gt_u32_e64 s7, 2, v0
	s_and_b32 s30, s8, s6
	v_add_nc_u32_e32 v0, s10, v22
	v_add_nc_u64_e32 v[12:13], s[10:11], v[22:23]
	v_cmp_ne_u32_e64 s11, v20, v6
	s_and_b32 s28, s7, s6
	s_xor_b32 s7, s89, -1
	v_lshl_add_u32 v21, v11, 4, 0x4000
	s_and_b32 s90, s3, s7
	s_cmp_gt_i32 s60, 0
	v_cmp_gt_i32_e64 s7, s59, v24
	s_cselect_b32 s91, -1, 0
	s_and_b32 s1, s3, s1
	v_mad_u32_u24 v11, 0x1f0, v20, v44
	v_writelane_b32 v208, s1, 10
	v_cmp_le_i32_e64 s1, s12, v40
	s_and_b32 s92, s7, s0
	v_cmp_le_i32_e64 s7, s12, v6
	v_mad_i32_i24 v48, 0xfffffe10, v20, v11
	v_sub_nc_u32_e32 v23, v66, v15
	s_or_b32 s10, s1, vcc_lo
	v_cmp_ge_u32_e64 s1, v20, v40
	v_dual_ashrrev_i32 v3, 31, v2 :: v_dual_ashrrev_i32 v25, 31, v24
	v_mad_u32_u24 v15, 0x1f0, v20, v48
	v_add_nc_u32_e32 v46, 0x3dc0, v11
	s_or_b32 s93, s10, s1
	s_or_b32 s10, s7, vcc_lo
	v_cmp_ge_u32_e64 s7, v20, v6
	v_mad_i32_i24 v98, 0xfffffe10, v20, v15
	v_add_nc_u32_e32 v47, 0x3dd0, v11
	v_add_nc_u32_e32 v57, 0x3100, v11
	;; [unrolled: 1-line block ×3, first 2 shown]
	s_or_b32 s94, s10, s7
	v_cmp_ne_u32_e64 s10, v20, v40
	v_add_nc_u32_e32 v59, 0x3120, v11
	v_add_nc_u32_e32 v60, 0x3130, v11
	;; [unrolled: 1-line block ×4, first 2 shown]
	v_writelane_b32 v208, s10, 11
	s_or_b32 s10, vcc_lo, s10
	v_add_nc_u32_e32 v63, 0x3160, v11
	v_add_nc_u32_e32 v64, 0x3170, v11
	;; [unrolled: 1-line block ×3, first 2 shown]
	v_writelane_b32 v208, s10, 12
	s_or_b32 s10, vcc_lo, s11
	v_add_nc_u32_e32 v69, 0x2010, v11
	v_add_nc_u32_e32 v70, 0x2020, v11
	;; [unrolled: 1-line block ×3, first 2 shown]
	v_writelane_b32 v208, s11, 13
	v_add_nc_u32_e32 v72, 0x2040, v11
	v_add_nc_u32_e32 v73, 0x2050, v11
	;; [unrolled: 1-line block ×4, first 2 shown]
	v_writelane_b32 v208, s10, 14
	v_add_nc_u32_e32 v76, 0x2080, v11
	v_add_nc_u32_e32 v77, 0x2090, v11
	v_add_nc_u32_e32 v78, 0x20a0, v11
	v_add_nc_u32_e32 v79, 0x20b0, v11
	v_writelane_b32 v208, s29, 15
	v_cmp_gt_u32_e64 s29, 0xe0, v7
	v_add_nc_u32_e32 v80, 0x20c0, v11
	v_add_nc_u32_e32 v81, 0x20d0, v11
	v_add_nc_u32_e32 v82, 0x20e0, v11
	v_add_nc_u32_e32 v83, 0x20f0, v11
	v_writelane_b32 v208, s29, 16
	v_cmp_gt_u32_e64 s29, 0xd0, v7
	;; [unrolled: 6-line block ×4, first 2 shown]
	v_add_nc_u32_e32 v92, 0x1060, v11
	v_add_nc_u32_e32 v93, 0x1070, v11
	v_mad_u32_u24 v11, 0x1f0, v20, v98
	v_mul_u64_e32 v[28:29], s[40:41], v[2:3]
	v_writelane_b32 v208, s29, 19
	v_cmp_gt_u32_e64 s29, 0xa0, v7
	s_wait_kmcnt 0x0
	v_mul_u64_e32 v[30:31], s[36:37], v[2:3]
	v_mul_u64_e32 v[34:35], s[36:37], v[12:13]
	v_mul_u64_e32 v[36:37], s[36:37], v[0:1]
	v_mad_i32_i24 v109, 0xfffffe10, v20, v11
	v_writelane_b32 v208, s29, 20
	v_cmp_gt_u32_e64 s29, 0x90, v7
	v_add_nc_u32_e32 v94, 0x3980, v15
	v_add_nc_u32_e32 v95, 0x39b0, v15
	v_add_nc_u32_e32 v96, 0x39a0, v15
	v_add_nc_u32_e32 v97, 0x3990, v15
	v_writelane_b32 v208, s29, 21
	v_cmp_gt_u32_e64 s29, 0x80, v7
	v_add_nc_u32_e32 v99, 0x2d40, v15
	v_add_nc_u32_e32 v100, 0x2d50, v15
	v_add_nc_u32_e32 v101, 0x1880, v15
	v_add_nc_u32_e32 v102, 0x18b0, v15
	;; [unrolled: 6-line block ×3, first 2 shown]
	v_add_nc_u32_e32 v107, 0x3580, v11
	v_add_nc_u32_e32 v108, 0x3590, v11
	;; [unrolled: 1-line block ×8, first 2 shown]
	v_mad_u32_u24 v15, 0x1f0, v20, v109
	v_add_nc_u32_e32 v116, 0x800, v11
	v_add_nc_u32_e32 v117, 0x830, v11
	;; [unrolled: 1-line block ×4, first 2 shown]
	v_dual_lshlrev_b32 v11, 4, v40 :: v_dual_add_nc_u32 v189, 64, v98
	v_writelane_b32 v208, s29, 23
	v_cmp_gt_u32_e64 s29, 0x60, v7
	v_mad_nc_u64_u32 v[26:27], s40, v40, v[4:5]
	v_mad_nc_u64_u32 v[32:33], s40, v6, v[4:5]
	v_mad_i32_i24 v16, 0xfffffe10, v20, v15
	v_add_nc_u32_e32 v124, v15, v11
	v_add_nc_u32_e32 v125, 0x6000, v11
	v_lshlrev_b32_e32 v11, 9, v20
	v_writelane_b32 v208, s29, 24
	v_cmp_gt_u32_e64 s29, 0x50, v7
	v_add_nc_u32_e32 v129, 32, v16
	v_cmp_gt_u32_e64 s33, 32, v10
	v_dual_sub_nc_u32 v132, v127, v11 :: v_dual_bitop2_b32 v11, v6, v20 bitop3:0x54
	v_lshlrev_b32_e32 v193, 4, v14
	v_writelane_b32 v208, s29, 25
	v_dual_add_nc_u32 v3, -16, v8 :: v_dual_lshlrev_b32 v194, 4, v9
	v_mad_u32 v27, s41, v40, v27
	v_mad_u32 v33, s41, v6, v33
	v_writelane_b32 v208, s33, 26
	v_cmp_gt_u32_e64 s33, 32, v11
	v_cmp_gt_i32_e64 s8, s59, v3
	v_add_nc_u32_e32 v120, 0x2500, v15
	v_add_nc_u32_e32 v121, 0x2510, v15
	;; [unrolled: 1-line block ×7, first 2 shown]
	v_lshl_add_u32 v131, v40, 9, v16
	v_add_nc_u32_e32 v133, 0x39e0, v48
	v_add_nc_u32_e32 v134, 0x3be0, v48
	;; [unrolled: 1-line block ×59, first 2 shown]
	v_lshl_add_u32 v195, v22, 4, 0x6000
	v_add_nc_u32_e32 v197, 0x4000, v44
	v_add_nc_u32_e32 v198, v125, v44
	v_cmp_gt_u32_e64 s10, 2, v7
	v_cmp_gt_u32_e64 s11, 12, v7
	;; [unrolled: 1-line block ×8, first 2 shown]
	v_cmp_eq_u32_e64 s29, 0, v10
	v_writelane_b32 v208, s33, 27
	v_cmp_eq_u32_e64 s33, 0, v22
	v_cmp_gt_u32_e64 s34, 32, v22
	s_and_b32 s8, s8, s0
                                        ; implicit-def: $vgpr4_vgpr5
                                        ; implicit-def: $vgpr8_vgpr9
	s_branch .LBB90_3
.LBB90_2:                               ;   in Loop: Header=BB90_3 Depth=1
	s_wait_xcnt 0x0
	s_or_b32 exec_lo, exec_lo, s35
	s_add_co_i32 s52, s52, 0x10000
	global_wb scope:SCOPE_DEV
	s_wait_storecnt 0x0
	global_inv scope:SCOPE_DEV
	s_cmp_lt_u32 s52, s58
	s_cbranch_scc0 .LBB90_574
.LBB90_3:                               ; =>This Loop Header: Depth=1
                                        ;     Child Loop BB90_453 Depth 2
                                        ;       Child Loop BB90_455 Depth 3
                                        ;     Child Loop BB90_486 Depth 2
	s_mul_u64 s[40:41], s[42:43], s[52:53]
	s_and_not1_b32 vcc_lo, exec_lo, s61
	s_lshl_b64 s[40:41], s[40:41], 4
	s_delay_alu instid0(SALU_CYCLE_1) | instskip(NEXT) | instid1(SALU_CYCLE_1)
	s_add_nc_u64 s[40:41], s[50:51], s[40:41]
	v_lshl_add_u64 v[38:39], v[28:29], 4, s[40:41]
	s_cbranch_vccz .LBB90_6
; %bb.4:                                ;   in Loop: Header=BB90_3 Depth=1
	s_and_not1_b32 vcc_lo, exec_lo, s62
	s_mov_b32 s35, -1
	s_cbranch_vccz .LBB90_11
.LBB90_5:                               ;   in Loop: Header=BB90_3 Depth=1
	s_and_b32 vcc_lo, exec_lo, s35
	s_cbranch_vccnz .LBB90_17
	s_branch .LBB90_23
.LBB90_6:                               ;   in Loop: Header=BB90_3 Depth=1
	v_mov_b64_e32 v[10:11], 0
	v_mov_b64_e32 v[4:5], 0
	;; [unrolled: 1-line block ×3, first 2 shown]
	v_lshl_add_u64 v[2:3], v[24:25], 4, v[38:39]
	s_barrier_signal -1
	s_barrier_wait -1
	s_and_saveexec_b32 s35, s92
	s_cbranch_execz .LBB90_8
; %bb.7:                                ;   in Loop: Header=BB90_3 Depth=1
	global_load_b128 v[4:7], v[2:3], off
.LBB90_8:                               ;   in Loop: Header=BB90_3 Depth=1
	s_wait_xcnt 0x0
	s_or_b32 exec_lo, exec_lo, s35
	v_mov_b64_e32 v[8:9], 0
	s_wait_loadcnt 0x0
	s_barrier_signal -1
	s_barrier_wait -1
	s_and_saveexec_b32 s35, s8
	s_cbranch_execz .LBB90_10
; %bb.9:                                ;   in Loop: Header=BB90_3 Depth=1
	global_load_b128 v[8:11], v[2:3], off offset:256
.LBB90_10:                              ;   in Loop: Header=BB90_3 Depth=1
	s_wait_xcnt 0x0
	s_or_b32 exec_lo, exec_lo, s35
	s_delay_alu instid0(SALU_CYCLE_1)
	s_and_not1_b32 vcc_lo, exec_lo, s62
	s_mov_b32 s35, -1
	s_cbranch_vccnz .LBB90_5
.LBB90_11:                              ;   in Loop: Header=BB90_3 Depth=1
	s_and_saveexec_b32 s35, s1
	s_delay_alu instid0(SALU_CYCLE_1)
	s_xor_b32 s35, exec_lo, s35
	s_cbranch_execnz .LBB90_499
; %bb.12:                               ;   in Loop: Header=BB90_3 Depth=1
	s_and_not1_saveexec_b32 s35, s35
	s_cbranch_execnz .LBB90_510
.LBB90_13:                              ;   in Loop: Header=BB90_3 Depth=1
	s_or_b32 exec_lo, exec_lo, s35
	s_and_saveexec_b32 s35, s7
	s_delay_alu instid0(SALU_CYCLE_1)
	s_xor_b32 s35, exec_lo, s35
	s_cbranch_execnz .LBB90_511
.LBB90_14:                              ;   in Loop: Header=BB90_3 Depth=1
	s_and_not1_saveexec_b32 s35, s35
	s_cbranch_execz .LBB90_16
.LBB90_15:                              ;   in Loop: Header=BB90_3 Depth=1
	v_lshl_add_u64 v[2:3], v[32:33], 4, s[40:41]
	global_load_b128 v[12:15], v[2:3], off
	s_wait_loadcnt 0x0
	v_xor_b32_e32 v13, 0x80000000, v13
	ds_store_b128 v194, v[12:15]
.LBB90_16:                              ;   in Loop: Header=BB90_3 Depth=1
	s_or_b32 exec_lo, exec_lo, s35
	s_branch .LBB90_23
.LBB90_17:                              ;   in Loop: Header=BB90_3 Depth=1
	s_and_saveexec_b32 s35, s93
	s_delay_alu instid0(SALU_CYCLE_1)
	s_xor_b32 s35, exec_lo, s35
	s_cbranch_execnz .LBB90_522
; %bb.18:                               ;   in Loop: Header=BB90_3 Depth=1
	s_and_not1_saveexec_b32 s35, s35
	s_cbranch_execnz .LBB90_533
.LBB90_19:                              ;   in Loop: Header=BB90_3 Depth=1
	s_or_b32 exec_lo, exec_lo, s35
	s_and_saveexec_b32 s35, s94
	s_delay_alu instid0(SALU_CYCLE_1)
	s_xor_b32 s35, exec_lo, s35
	s_cbranch_execnz .LBB90_534
.LBB90_20:                              ;   in Loop: Header=BB90_3 Depth=1
	s_and_not1_saveexec_b32 s35, s35
	s_cbranch_execz .LBB90_22
.LBB90_21:                              ;   in Loop: Header=BB90_3 Depth=1
	v_lshl_add_u64 v[2:3], v[32:33], 4, s[40:41]
	global_load_b128 v[12:15], v[2:3], off
	s_wait_loadcnt 0x0
	v_xor_b32_e32 v13, 0x80000000, v13
	ds_store_b128 v194, v[12:15]
.LBB90_22:                              ;   in Loop: Header=BB90_3 Depth=1
	s_or_b32 exec_lo, exec_lo, s35
.LBB90_23:                              ;   in Loop: Header=BB90_3 Depth=1
	s_delay_alu instid0(SALU_CYCLE_1)
	s_and_not1_b32 vcc_lo, exec_lo, s63
	s_wait_loadcnt_dscnt 0x0
	s_barrier_signal -1
	s_barrier_wait -1
	s_cbranch_vccnz .LBB90_447
; %bb.24:                               ;   in Loop: Header=BB90_3 Depth=1
	s_and_saveexec_b32 s35, s29
	s_cbranch_execz .LBB90_26
; %bb.25:                               ;   in Loop: Header=BB90_3 Depth=1
	ds_load_b128 v[12:15], v1 offset:16368
	ds_load_b128 v[16:19], v1 offset:15840
	s_wait_dscnt 0x0
	v_mul_f64_e32 v[2:3], v[14:15], v[18:19]
	v_mul_f64_e32 v[200:201], v[12:13], v[18:19]
	s_delay_alu instid0(VALU_DEP_2) | instskip(NEXT) | instid1(VALU_DEP_2)
	v_fma_f64 v[2:3], v[12:13], v[16:17], -v[2:3]
	v_fmac_f64_e32 v[200:201], v[14:15], v[16:17]
	ds_load_b128 v[12:15], v1 offset:16352
	s_wait_dscnt 0x0
	v_mul_f64_e32 v[18:19], v[2:3], v[14:15]
	v_mul_f64_e32 v[16:17], v[200:201], v[14:15]
	s_delay_alu instid0(VALU_DEP_2) | instskip(NEXT) | instid1(VALU_DEP_2)
	v_fmac_f64_e32 v[18:19], v[12:13], v[200:201]
	v_fma_f64 v[16:17], v[12:13], v[2:3], -v[16:17]
	ds_store_b128 v1, v[16:19] offset:16352
	ds_store_b128 v1, v[16:19] offset:15856
.LBB90_26:                              ;   in Loop: Header=BB90_3 Depth=1
	s_or_b32 exec_lo, exec_lo, s35
	v_mov_b64_e32 v[12:13], 0
	v_mov_b64_e32 v[14:15], 0
	s_wait_dscnt 0x0
	s_barrier_signal -1
	s_barrier_wait -1
	global_wb scope:SCOPE_DEV
	s_wait_storecnt 0x0
	global_inv scope:SCOPE_DEV
	s_and_saveexec_b32 s35, s2
	s_cbranch_execz .LBB90_30
; %bb.27:                               ;   in Loop: Header=BB90_3 Depth=1
	ds_load_b128 v[12:15], v43 offset:16352
	ds_load_b128 v[16:19], v42 offset:15808
	s_wait_dscnt 0x0
	v_mul_f64_e32 v[2:3], v[14:15], v[18:19]
	v_mul_f64_e32 v[18:19], v[12:13], v[18:19]
	s_delay_alu instid0(VALU_DEP_2) | instskip(NEXT) | instid1(VALU_DEP_2)
	v_fma_f64 v[2:3], v[12:13], v[16:17], -v[2:3]
	v_fmac_f64_e32 v[18:19], v[14:15], v[16:17]
	s_delay_alu instid0(VALU_DEP_2) | instskip(NEXT) | instid1(VALU_DEP_2)
	v_add_f64_e32 v[12:13], 0, v[2:3]
	v_add_f64_e32 v[14:15], 0, v[18:19]
	s_and_saveexec_b32 s40, s10
	s_cbranch_execz .LBB90_29
; %bb.28:                               ;   in Loop: Header=BB90_3 Depth=1
	ds_load_b128 v[16:19], v1 offset:16368
	ds_load_b128 v[200:203], v44 offset:16320
	s_wait_dscnt 0x0
	v_mul_f64_e32 v[2:3], v[18:19], v[202:203]
	s_delay_alu instid0(VALU_DEP_1) | instskip(SKIP_1) | instid1(VALU_DEP_2)
	v_fma_f64 v[2:3], v[16:17], v[200:201], -v[2:3]
	v_mul_f64_e32 v[16:17], v[16:17], v[202:203]
	v_add_f64_e32 v[12:13], v[12:13], v[2:3]
	s_delay_alu instid0(VALU_DEP_2) | instskip(NEXT) | instid1(VALU_DEP_1)
	v_fmac_f64_e32 v[16:17], v[18:19], v[200:201]
	v_add_f64_e32 v[14:15], v[14:15], v[16:17]
.LBB90_29:                              ;   in Loop: Header=BB90_3 Depth=1
	s_or_b32 exec_lo, exec_lo, s40
.LBB90_30:                              ;   in Loop: Header=BB90_3 Depth=1
	s_delay_alu instid0(SALU_CYCLE_1)
	s_or_b32 exec_lo, exec_lo, s35
	s_and_saveexec_b32 s35, s64
	s_cbranch_execz .LBB90_32
; %bb.31:                               ;   in Loop: Header=BB90_3 Depth=1
	ds_load_b128 v[16:19], v1 offset:15312
	s_wait_dscnt 0x0
	v_mul_f64_e32 v[2:3], v[14:15], v[18:19]
	v_mul_f64_e32 v[18:19], v[12:13], v[18:19]
	s_delay_alu instid0(VALU_DEP_1) | instskip(NEXT) | instid1(VALU_DEP_1)
	v_fmac_f64_e32 v[18:19], v[14:15], v[16:17]
	v_dual_fma_f64 v[2:3], v[12:13], v[16:17], -v[2:3] :: v_dual_mov_b32 v14, v18
	s_delay_alu instid0(VALU_DEP_1) | instskip(NEXT) | instid1(VALU_DEP_3)
	v_xor_b32_e32 v13, 0x80000000, v3
	v_xor_b32_e32 v15, 0x80000000, v19
	s_delay_alu instid0(VALU_DEP_3)
	v_mov_b32_e32 v12, v2
	ds_store_b128 v21, v[12:15]
	v_mov_b64_e32 v[12:13], v[2:3]
	v_mov_b64_e32 v[14:15], v[18:19]
.LBB90_32:                              ;   in Loop: Header=BB90_3 Depth=1
	s_or_b32 exec_lo, exec_lo, s35
	s_wait_loadcnt_dscnt 0x0
	s_barrier_signal -1
	s_barrier_wait -1
	s_and_saveexec_b32 s35, s65
	s_cbranch_execz .LBB90_34
; %bb.33:                               ;   in Loop: Header=BB90_3 Depth=1
	ds_load_b128 v[16:19], v21
	ds_load_b128 v[200:203], v1 offset:15296
	s_wait_dscnt 0x0
	v_mul_f64_e32 v[2:3], v[18:19], v[202:203]
	s_delay_alu instid0(VALU_DEP_1) | instskip(SKIP_1) | instid1(VALU_DEP_2)
	v_fma_f64 v[2:3], v[16:17], v[200:201], -v[2:3]
	v_mul_f64_e32 v[16:17], v[16:17], v[202:203]
	v_add_f64_e64 v[12:13], v[12:13], -v[2:3]
	s_delay_alu instid0(VALU_DEP_2) | instskip(NEXT) | instid1(VALU_DEP_1)
	v_fmac_f64_e32 v[16:17], v[18:19], v[200:201]
	v_add_f64_e64 v[14:15], v[14:15], -v[16:17]
.LBB90_34:                              ;   in Loop: Header=BB90_3 Depth=1
	s_or_b32 exec_lo, exec_lo, s35
	s_barrier_signal -1
	s_barrier_wait -1
	s_and_saveexec_b32 s35, s65
	s_cbranch_execz .LBB90_36
; %bb.35:                               ;   in Loop: Header=BB90_3 Depth=1
	ds_load_b128 v[16:19], v1 offset:14784
	s_wait_dscnt 0x0
	v_mul_f64_e32 v[2:3], v[14:15], v[18:19]
	v_mul_f64_e32 v[18:19], v[12:13], v[18:19]
	s_delay_alu instid0(VALU_DEP_1) | instskip(NEXT) | instid1(VALU_DEP_1)
	v_fmac_f64_e32 v[18:19], v[14:15], v[16:17]
	v_dual_fma_f64 v[2:3], v[12:13], v[16:17], -v[2:3] :: v_dual_mov_b32 v14, v18
	s_delay_alu instid0(VALU_DEP_1) | instskip(NEXT) | instid1(VALU_DEP_3)
	v_xor_b32_e32 v13, 0x80000000, v3
	v_xor_b32_e32 v15, 0x80000000, v19
	s_delay_alu instid0(VALU_DEP_3)
	v_mov_b32_e32 v12, v2
	ds_store_b128 v21, v[12:15]
	v_mov_b64_e32 v[12:13], v[2:3]
	v_mov_b64_e32 v[14:15], v[18:19]
.LBB90_36:                              ;   in Loop: Header=BB90_3 Depth=1
	s_or_b32 exec_lo, exec_lo, s35
	s_wait_dscnt 0x0
	s_barrier_signal -1
	s_barrier_wait -1
	s_barrier_signal -1
	s_barrier_wait -1
	s_and_saveexec_b32 s35, s2
; %bb.37:                               ;   in Loop: Header=BB90_3 Depth=1
	ds_store_b128 v45, v[12:15] offset:16320
; %bb.38:                               ;   in Loop: Header=BB90_3 Depth=1
	s_or_b32 exec_lo, exec_lo, s35
	s_wait_dscnt 0x0
	s_barrier_signal -1
	s_barrier_wait -1
	s_barrier_signal -1
	s_barrier_wait -1
	s_and_saveexec_b32 s35, s66
	s_cbranch_execz .LBB90_40
; %bb.39:                               ;   in Loop: Header=BB90_3 Depth=1
	ds_load_b128 v[12:15], v46
	s_wait_dscnt 0x0
	ds_store_b128 v133, v[12:15]
	ds_load_b128 v[12:15], v47
	s_wait_dscnt 0x0
	ds_store_b128 v134, v[12:15]
.LBB90_40:                              ;   in Loop: Header=BB90_3 Depth=1
	s_or_b32 exec_lo, exec_lo, s35
	s_wait_dscnt 0x0
	s_barrier_signal -1
	s_barrier_wait -1
	s_and_saveexec_b32 s35, s29
	s_cbranch_execz .LBB90_42
; %bb.41:                               ;   in Loop: Header=BB90_3 Depth=1
	ds_load_b128 v[12:15], v1 offset:15312
	ds_load_b128 v[16:19], v1 offset:14784
	s_wait_dscnt 0x0
	v_mul_f64_e32 v[2:3], v[14:15], v[18:19]
	v_mul_f64_e32 v[200:201], v[12:13], v[18:19]
	s_delay_alu instid0(VALU_DEP_2) | instskip(NEXT) | instid1(VALU_DEP_2)
	v_fma_f64 v[2:3], v[12:13], v[16:17], -v[2:3]
	v_fmac_f64_e32 v[200:201], v[14:15], v[16:17]
	ds_load_b128 v[12:15], v1 offset:15296
	s_wait_dscnt 0x0
	v_mul_f64_e32 v[18:19], v[2:3], v[14:15]
	v_mul_f64_e32 v[16:17], v[200:201], v[14:15]
	s_delay_alu instid0(VALU_DEP_2) | instskip(NEXT) | instid1(VALU_DEP_2)
	v_fmac_f64_e32 v[18:19], v[12:13], v[200:201]
	v_fma_f64 v[16:17], v[12:13], v[2:3], -v[16:17]
	ds_store_b128 v1, v[16:19] offset:15296
	ds_store_b128 v1, v[16:19] offset:14800
.LBB90_42:                              ;   in Loop: Header=BB90_3 Depth=1
	s_or_b32 exec_lo, exec_lo, s35
	v_mov_b64_e32 v[14:15], 0
	v_mov_b64_e32 v[12:13], 0
	s_wait_dscnt 0x0
	s_barrier_signal -1
	s_barrier_wait -1
	global_wb scope:SCOPE_DEV
	s_wait_storecnt 0x0
	global_inv scope:SCOPE_DEV
	s_and_saveexec_b32 s35, s4
	s_cbranch_execz .LBB90_48
; %bb.43:                               ;   in Loop: Header=BB90_3 Depth=1
	ds_load_b128 v[12:15], v51 offset:16320
	ds_load_b128 v[16:19], v50 offset:14720
	s_wait_dscnt 0x0
	v_mul_f64_e32 v[2:3], v[14:15], v[18:19]
	v_mul_f64_e32 v[18:19], v[12:13], v[18:19]
	s_delay_alu instid0(VALU_DEP_2) | instskip(NEXT) | instid1(VALU_DEP_2)
	v_fma_f64 v[2:3], v[12:13], v[16:17], -v[2:3]
	v_fmac_f64_e32 v[18:19], v[14:15], v[16:17]
	s_delay_alu instid0(VALU_DEP_2) | instskip(NEXT) | instid1(VALU_DEP_2)
	v_add_f64_e32 v[12:13], 0, v[2:3]
	v_add_f64_e32 v[14:15], 0, v[18:19]
	s_and_saveexec_b32 s40, s11
	s_cbranch_execnz .LBB90_550
; %bb.44:                               ;   in Loop: Header=BB90_3 Depth=1
	s_or_b32 exec_lo, exec_lo, s40
	s_and_saveexec_b32 s40, s12
	s_cbranch_execnz .LBB90_551
.LBB90_45:                              ;   in Loop: Header=BB90_3 Depth=1
	s_or_b32 exec_lo, exec_lo, s40
	s_and_saveexec_b32 s40, s2
	s_cbranch_execz .LBB90_47
.LBB90_46:                              ;   in Loop: Header=BB90_3 Depth=1
	ds_load_b128 v[16:19], v1 offset:16368
	ds_load_b128 v[200:203], v48 offset:16256
	s_wait_dscnt 0x0
	v_mul_f64_e32 v[2:3], v[18:19], v[202:203]
	s_delay_alu instid0(VALU_DEP_1) | instskip(SKIP_1) | instid1(VALU_DEP_2)
	v_fma_f64 v[2:3], v[16:17], v[200:201], -v[2:3]
	v_mul_f64_e32 v[16:17], v[16:17], v[202:203]
	v_add_f64_e32 v[12:13], v[12:13], v[2:3]
	s_delay_alu instid0(VALU_DEP_2) | instskip(NEXT) | instid1(VALU_DEP_1)
	v_fmac_f64_e32 v[16:17], v[18:19], v[200:201]
	v_add_f64_e32 v[14:15], v[14:15], v[16:17]
.LBB90_47:                              ;   in Loop: Header=BB90_3 Depth=1
	s_or_b32 exec_lo, exec_lo, s40
.LBB90_48:                              ;   in Loop: Header=BB90_3 Depth=1
	s_delay_alu instid0(SALU_CYCLE_1)
	s_or_b32 exec_lo, exec_lo, s35
	s_and_saveexec_b32 s35, s67
	s_cbranch_execz .LBB90_50
; %bb.49:                               ;   in Loop: Header=BB90_3 Depth=1
	ds_load_b128 v[16:19], v1 offset:14256
	s_wait_dscnt 0x0
	v_mul_f64_e32 v[2:3], v[14:15], v[18:19]
	v_mul_f64_e32 v[18:19], v[12:13], v[18:19]
	s_delay_alu instid0(VALU_DEP_1) | instskip(NEXT) | instid1(VALU_DEP_1)
	v_fmac_f64_e32 v[18:19], v[14:15], v[16:17]
	v_dual_fma_f64 v[2:3], v[12:13], v[16:17], -v[2:3] :: v_dual_mov_b32 v14, v18
	s_delay_alu instid0(VALU_DEP_1) | instskip(NEXT) | instid1(VALU_DEP_3)
	v_xor_b32_e32 v13, 0x80000000, v3
	v_xor_b32_e32 v15, 0x80000000, v19
	s_delay_alu instid0(VALU_DEP_3)
	v_mov_b32_e32 v12, v2
	ds_store_b128 v49, v[12:15]
	v_mov_b64_e32 v[12:13], v[2:3]
	v_mov_b64_e32 v[14:15], v[18:19]
.LBB90_50:                              ;   in Loop: Header=BB90_3 Depth=1
	s_or_b32 exec_lo, exec_lo, s35
	s_wait_loadcnt_dscnt 0x0
	s_barrier_signal -1
	s_barrier_wait -1
	s_and_saveexec_b32 s35, s68
	s_cbranch_execz .LBB90_52
; %bb.51:                               ;   in Loop: Header=BB90_3 Depth=1
	ds_load_b128 v[16:19], v49
	ds_load_b128 v[200:203], v50 offset:14208
	s_wait_dscnt 0x0
	v_mul_f64_e32 v[2:3], v[18:19], v[202:203]
	s_delay_alu instid0(VALU_DEP_1) | instskip(SKIP_1) | instid1(VALU_DEP_2)
	v_fma_f64 v[2:3], v[16:17], v[200:201], -v[2:3]
	v_mul_f64_e32 v[16:17], v[16:17], v[202:203]
	v_add_f64_e64 v[12:13], v[12:13], -v[2:3]
	s_delay_alu instid0(VALU_DEP_2) | instskip(NEXT) | instid1(VALU_DEP_1)
	v_fmac_f64_e32 v[16:17], v[18:19], v[200:201]
	v_add_f64_e64 v[14:15], v[14:15], -v[16:17]
.LBB90_52:                              ;   in Loop: Header=BB90_3 Depth=1
	s_or_b32 exec_lo, exec_lo, s35
	s_barrier_signal -1
	s_barrier_wait -1
	s_and_saveexec_b32 s35, s69
	s_cbranch_execz .LBB90_54
; %bb.53:                               ;   in Loop: Header=BB90_3 Depth=1
	ds_load_b128 v[16:19], v1 offset:13728
	s_wait_dscnt 0x0
	v_mul_f64_e32 v[2:3], v[14:15], v[18:19]
	v_mul_f64_e32 v[18:19], v[12:13], v[18:19]
	s_delay_alu instid0(VALU_DEP_1) | instskip(NEXT) | instid1(VALU_DEP_1)
	v_fmac_f64_e32 v[18:19], v[14:15], v[16:17]
	v_dual_fma_f64 v[2:3], v[12:13], v[16:17], -v[2:3] :: v_dual_mov_b32 v14, v18
	s_delay_alu instid0(VALU_DEP_1) | instskip(NEXT) | instid1(VALU_DEP_3)
	v_xor_b32_e32 v13, 0x80000000, v3
	v_xor_b32_e32 v15, 0x80000000, v19
	s_delay_alu instid0(VALU_DEP_3)
	v_mov_b32_e32 v12, v2
	ds_store_b128 v49, v[12:15]
	v_mov_b64_e32 v[12:13], v[2:3]
	v_mov_b64_e32 v[14:15], v[18:19]
.LBB90_54:                              ;   in Loop: Header=BB90_3 Depth=1
	s_or_b32 exec_lo, exec_lo, s35
	s_wait_dscnt 0x0
	s_barrier_signal -1
	s_barrier_wait -1
	s_and_saveexec_b32 s35, s70
	s_cbranch_execz .LBB90_56
; %bb.55:                               ;   in Loop: Header=BB90_3 Depth=1
	ds_load_b128 v[16:19], v49
	ds_load_b128 v[200:203], v50 offset:13696
	s_wait_dscnt 0x0
	v_mul_f64_e32 v[2:3], v[18:19], v[202:203]
	s_delay_alu instid0(VALU_DEP_1) | instskip(SKIP_1) | instid1(VALU_DEP_2)
	v_fma_f64 v[2:3], v[16:17], v[200:201], -v[2:3]
	v_mul_f64_e32 v[16:17], v[16:17], v[202:203]
	v_add_f64_e64 v[12:13], v[12:13], -v[2:3]
	s_delay_alu instid0(VALU_DEP_2) | instskip(NEXT) | instid1(VALU_DEP_1)
	v_fmac_f64_e32 v[16:17], v[18:19], v[200:201]
	v_add_f64_e64 v[14:15], v[14:15], -v[16:17]
.LBB90_56:                              ;   in Loop: Header=BB90_3 Depth=1
	s_or_b32 exec_lo, exec_lo, s35
	s_barrier_signal -1
	s_barrier_wait -1
	s_and_saveexec_b32 s35, s71
	s_cbranch_execz .LBB90_58
; %bb.57:                               ;   in Loop: Header=BB90_3 Depth=1
	ds_load_b128 v[16:19], v1 offset:13200
	s_wait_dscnt 0x0
	v_mul_f64_e32 v[2:3], v[14:15], v[18:19]
	v_mul_f64_e32 v[18:19], v[12:13], v[18:19]
	s_delay_alu instid0(VALU_DEP_1) | instskip(NEXT) | instid1(VALU_DEP_1)
	v_fmac_f64_e32 v[18:19], v[14:15], v[16:17]
	v_dual_fma_f64 v[2:3], v[12:13], v[16:17], -v[2:3] :: v_dual_mov_b32 v14, v18
	s_delay_alu instid0(VALU_DEP_1) | instskip(NEXT) | instid1(VALU_DEP_3)
	v_xor_b32_e32 v13, 0x80000000, v3
	v_xor_b32_e32 v15, 0x80000000, v19
	s_delay_alu instid0(VALU_DEP_3)
	v_mov_b32_e32 v12, v2
	ds_store_b128 v49, v[12:15]
	v_mov_b64_e32 v[12:13], v[2:3]
	v_mov_b64_e32 v[14:15], v[18:19]
.LBB90_58:                              ;   in Loop: Header=BB90_3 Depth=1
	s_or_b32 exec_lo, exec_lo, s35
	s_wait_dscnt 0x0
	;; [unrolled: 41-line block ×3, first 2 shown]
	s_barrier_signal -1
	s_barrier_wait -1
	s_barrier_signal -1
	s_barrier_wait -1
	s_and_saveexec_b32 s35, s4
; %bb.63:                               ;   in Loop: Header=BB90_3 Depth=1
	ds_store_b128 v52, v[12:15] offset:16256
; %bb.64:                               ;   in Loop: Header=BB90_3 Depth=1
	s_or_b32 exec_lo, exec_lo, s35
	s_wait_dscnt 0x0
	s_barrier_signal -1
	s_barrier_wait -1
	s_barrier_signal -1
	s_barrier_wait -1
	s_and_saveexec_b32 s35, s73
	s_cbranch_execz .LBB90_66
; %bb.65:                               ;   in Loop: Header=BB90_3 Depth=1
	ds_load_b128 v[12:15], v94
	s_wait_dscnt 0x0
	ds_store_b128 v135, v[12:15]
	ds_load_b128 v[12:15], v97
	s_wait_dscnt 0x0
	ds_store_b128 v138, v[12:15]
	;; [unrolled: 3-line block ×4, first 2 shown]
.LBB90_66:                              ;   in Loop: Header=BB90_3 Depth=1
	s_or_b32 exec_lo, exec_lo, s35
	s_wait_dscnt 0x0
	s_barrier_signal -1
	s_barrier_wait -1
	s_and_saveexec_b32 s35, s29
	s_cbranch_execz .LBB90_68
; %bb.67:                               ;   in Loop: Header=BB90_3 Depth=1
	ds_load_b128 v[12:15], v1 offset:14256
	ds_load_b128 v[16:19], v1 offset:13728
	s_wait_dscnt 0x0
	v_mul_f64_e32 v[2:3], v[14:15], v[18:19]
	v_mul_f64_e32 v[200:201], v[12:13], v[18:19]
	s_delay_alu instid0(VALU_DEP_2) | instskip(NEXT) | instid1(VALU_DEP_2)
	v_fma_f64 v[2:3], v[12:13], v[16:17], -v[2:3]
	v_fmac_f64_e32 v[200:201], v[14:15], v[16:17]
	ds_load_b128 v[12:15], v1 offset:14240
	s_wait_dscnt 0x0
	v_mul_f64_e32 v[18:19], v[2:3], v[14:15]
	v_mul_f64_e32 v[16:17], v[200:201], v[14:15]
	s_delay_alu instid0(VALU_DEP_2) | instskip(NEXT) | instid1(VALU_DEP_2)
	v_fmac_f64_e32 v[18:19], v[12:13], v[200:201]
	v_fma_f64 v[16:17], v[12:13], v[2:3], -v[16:17]
	ds_store_b128 v1, v[16:19] offset:14240
	ds_store_b128 v1, v[16:19] offset:13744
.LBB90_68:                              ;   in Loop: Header=BB90_3 Depth=1
	s_or_b32 exec_lo, exec_lo, s35
	v_mov_b64_e32 v[12:13], 0
	v_mov_b64_e32 v[14:15], 0
	s_wait_dscnt 0x0
	s_barrier_signal -1
	s_barrier_wait -1
	global_wb scope:SCOPE_DEV
	s_wait_storecnt 0x0
	global_inv scope:SCOPE_DEV
	s_and_saveexec_b32 s35, s2
	s_cbranch_execz .LBB90_72
; %bb.69:                               ;   in Loop: Header=BB90_3 Depth=1
	ds_load_b128 v[12:15], v43 offset:14240
	ds_load_b128 v[16:19], v42 offset:13696
	s_wait_dscnt 0x0
	v_mul_f64_e32 v[2:3], v[14:15], v[18:19]
	v_mul_f64_e32 v[18:19], v[12:13], v[18:19]
	s_delay_alu instid0(VALU_DEP_2) | instskip(NEXT) | instid1(VALU_DEP_2)
	v_fma_f64 v[2:3], v[12:13], v[16:17], -v[2:3]
	v_fmac_f64_e32 v[18:19], v[14:15], v[16:17]
	s_delay_alu instid0(VALU_DEP_2) | instskip(NEXT) | instid1(VALU_DEP_2)
	v_add_f64_e32 v[12:13], 0, v[2:3]
	v_add_f64_e32 v[14:15], 0, v[18:19]
	s_and_saveexec_b32 s40, s10
	s_cbranch_execz .LBB90_71
; %bb.70:                               ;   in Loop: Header=BB90_3 Depth=1
	ds_load_b128 v[16:19], v1 offset:14256
	ds_load_b128 v[200:203], v98 offset:14208
	s_wait_dscnt 0x0
	v_mul_f64_e32 v[2:3], v[18:19], v[202:203]
	s_delay_alu instid0(VALU_DEP_1) | instskip(SKIP_1) | instid1(VALU_DEP_2)
	v_fma_f64 v[2:3], v[16:17], v[200:201], -v[2:3]
	v_mul_f64_e32 v[16:17], v[16:17], v[202:203]
	v_add_f64_e32 v[12:13], v[12:13], v[2:3]
	s_delay_alu instid0(VALU_DEP_2) | instskip(NEXT) | instid1(VALU_DEP_1)
	v_fmac_f64_e32 v[16:17], v[18:19], v[200:201]
	v_add_f64_e32 v[14:15], v[14:15], v[16:17]
.LBB90_71:                              ;   in Loop: Header=BB90_3 Depth=1
	s_or_b32 exec_lo, exec_lo, s40
.LBB90_72:                              ;   in Loop: Header=BB90_3 Depth=1
	s_delay_alu instid0(SALU_CYCLE_1)
	s_or_b32 exec_lo, exec_lo, s35
	s_and_saveexec_b32 s35, s64
	s_cbranch_execz .LBB90_74
; %bb.73:                               ;   in Loop: Header=BB90_3 Depth=1
	ds_load_b128 v[16:19], v1 offset:13200
	s_wait_dscnt 0x0
	v_mul_f64_e32 v[2:3], v[14:15], v[18:19]
	v_mul_f64_e32 v[18:19], v[12:13], v[18:19]
	s_delay_alu instid0(VALU_DEP_1) | instskip(NEXT) | instid1(VALU_DEP_1)
	v_fmac_f64_e32 v[18:19], v[14:15], v[16:17]
	v_dual_fma_f64 v[2:3], v[12:13], v[16:17], -v[2:3] :: v_dual_mov_b32 v14, v18
	s_delay_alu instid0(VALU_DEP_1) | instskip(NEXT) | instid1(VALU_DEP_3)
	v_xor_b32_e32 v13, 0x80000000, v3
	v_xor_b32_e32 v15, 0x80000000, v19
	s_delay_alu instid0(VALU_DEP_3)
	v_mov_b32_e32 v12, v2
	ds_store_b128 v21, v[12:15]
	v_mov_b64_e32 v[12:13], v[2:3]
	v_mov_b64_e32 v[14:15], v[18:19]
.LBB90_74:                              ;   in Loop: Header=BB90_3 Depth=1
	s_or_b32 exec_lo, exec_lo, s35
	s_wait_loadcnt_dscnt 0x0
	s_barrier_signal -1
	s_barrier_wait -1
	s_and_saveexec_b32 s35, s65
	s_cbranch_execz .LBB90_76
; %bb.75:                               ;   in Loop: Header=BB90_3 Depth=1
	ds_load_b128 v[16:19], v21
	ds_load_b128 v[200:203], v1 offset:13184
	s_wait_dscnt 0x0
	v_mul_f64_e32 v[2:3], v[18:19], v[202:203]
	s_delay_alu instid0(VALU_DEP_1) | instskip(SKIP_1) | instid1(VALU_DEP_2)
	v_fma_f64 v[2:3], v[16:17], v[200:201], -v[2:3]
	v_mul_f64_e32 v[16:17], v[16:17], v[202:203]
	v_add_f64_e64 v[12:13], v[12:13], -v[2:3]
	s_delay_alu instid0(VALU_DEP_2) | instskip(NEXT) | instid1(VALU_DEP_1)
	v_fmac_f64_e32 v[16:17], v[18:19], v[200:201]
	v_add_f64_e64 v[14:15], v[14:15], -v[16:17]
.LBB90_76:                              ;   in Loop: Header=BB90_3 Depth=1
	s_or_b32 exec_lo, exec_lo, s35
	s_barrier_signal -1
	s_barrier_wait -1
	s_and_saveexec_b32 s35, s65
	s_cbranch_execz .LBB90_78
; %bb.77:                               ;   in Loop: Header=BB90_3 Depth=1
	ds_load_b128 v[16:19], v1 offset:12672
	s_wait_dscnt 0x0
	v_mul_f64_e32 v[2:3], v[14:15], v[18:19]
	v_mul_f64_e32 v[18:19], v[12:13], v[18:19]
	s_delay_alu instid0(VALU_DEP_1) | instskip(NEXT) | instid1(VALU_DEP_1)
	v_fmac_f64_e32 v[18:19], v[14:15], v[16:17]
	v_dual_fma_f64 v[2:3], v[12:13], v[16:17], -v[2:3] :: v_dual_mov_b32 v14, v18
	s_delay_alu instid0(VALU_DEP_1) | instskip(NEXT) | instid1(VALU_DEP_3)
	v_xor_b32_e32 v13, 0x80000000, v3
	v_xor_b32_e32 v15, 0x80000000, v19
	s_delay_alu instid0(VALU_DEP_3)
	v_mov_b32_e32 v12, v2
	ds_store_b128 v21, v[12:15]
	v_mov_b64_e32 v[12:13], v[2:3]
	v_mov_b64_e32 v[14:15], v[18:19]
.LBB90_78:                              ;   in Loop: Header=BB90_3 Depth=1
	s_or_b32 exec_lo, exec_lo, s35
	s_wait_dscnt 0x0
	s_barrier_signal -1
	s_barrier_wait -1
	s_barrier_signal -1
	s_barrier_wait -1
	s_and_saveexec_b32 s35, s2
; %bb.79:                               ;   in Loop: Header=BB90_3 Depth=1
	ds_store_b128 v45, v[12:15] offset:14208
; %bb.80:                               ;   in Loop: Header=BB90_3 Depth=1
	s_or_b32 exec_lo, exec_lo, s35
	s_wait_dscnt 0x0
	s_barrier_signal -1
	s_barrier_wait -1
	s_barrier_signal -1
	s_barrier_wait -1
	s_and_saveexec_b32 s35, s66
	s_cbranch_execz .LBB90_82
; %bb.81:                               ;   in Loop: Header=BB90_3 Depth=1
	ds_load_b128 v[12:15], v107
	s_wait_dscnt 0x0
	ds_store_b128 v139, v[12:15]
	ds_load_b128 v[12:15], v108
	s_wait_dscnt 0x0
	ds_store_b128 v140, v[12:15]
.LBB90_82:                              ;   in Loop: Header=BB90_3 Depth=1
	s_or_b32 exec_lo, exec_lo, s35
	s_wait_dscnt 0x0
	s_barrier_signal -1
	s_barrier_wait -1
	s_and_saveexec_b32 s35, s29
	s_cbranch_execz .LBB90_84
; %bb.83:                               ;   in Loop: Header=BB90_3 Depth=1
	ds_load_b128 v[12:15], v1 offset:13200
	ds_load_b128 v[16:19], v1 offset:12672
	s_wait_dscnt 0x0
	v_mul_f64_e32 v[2:3], v[14:15], v[18:19]
	v_mul_f64_e32 v[200:201], v[12:13], v[18:19]
	s_delay_alu instid0(VALU_DEP_2) | instskip(NEXT) | instid1(VALU_DEP_2)
	v_fma_f64 v[2:3], v[12:13], v[16:17], -v[2:3]
	v_fmac_f64_e32 v[200:201], v[14:15], v[16:17]
	ds_load_b128 v[12:15], v1 offset:13184
	s_wait_dscnt 0x0
	v_mul_f64_e32 v[18:19], v[2:3], v[14:15]
	v_mul_f64_e32 v[16:17], v[200:201], v[14:15]
	s_delay_alu instid0(VALU_DEP_2) | instskip(NEXT) | instid1(VALU_DEP_2)
	v_fmac_f64_e32 v[18:19], v[12:13], v[200:201]
	v_fma_f64 v[16:17], v[12:13], v[2:3], -v[16:17]
	ds_store_b128 v1, v[16:19] offset:13184
	ds_store_b128 v1, v[16:19] offset:12688
.LBB90_84:                              ;   in Loop: Header=BB90_3 Depth=1
	s_or_b32 exec_lo, exec_lo, s35
	v_mov_b64_e32 v[14:15], 0
	v_mov_b64_e32 v[12:13], 0
	s_wait_dscnt 0x0
	s_barrier_signal -1
	s_barrier_wait -1
	global_wb scope:SCOPE_DEV
	s_wait_storecnt 0x0
	global_inv scope:SCOPE_DEV
	s_and_saveexec_b32 s35, s5
	s_cbranch_execz .LBB90_94
; %bb.85:                               ;   in Loop: Header=BB90_3 Depth=1
	ds_load_b128 v[12:15], v55 offset:16256
	ds_load_b128 v[16:19], v54 offset:12544
	s_wait_dscnt 0x0
	v_mul_f64_e32 v[2:3], v[14:15], v[18:19]
	v_mul_f64_e32 v[18:19], v[12:13], v[18:19]
	s_delay_alu instid0(VALU_DEP_2) | instskip(NEXT) | instid1(VALU_DEP_2)
	v_fma_f64 v[2:3], v[12:13], v[16:17], -v[2:3]
	v_fmac_f64_e32 v[18:19], v[14:15], v[16:17]
	s_delay_alu instid0(VALU_DEP_2) | instskip(NEXT) | instid1(VALU_DEP_2)
	v_add_f64_e32 v[12:13], 0, v[2:3]
	v_add_f64_e32 v[14:15], 0, v[18:19]
	s_and_saveexec_b32 s40, s13
	s_cbranch_execnz .LBB90_552
; %bb.86:                               ;   in Loop: Header=BB90_3 Depth=1
	s_or_b32 exec_lo, exec_lo, s40
	s_and_saveexec_b32 s40, s14
	s_cbranch_execnz .LBB90_553
.LBB90_87:                              ;   in Loop: Header=BB90_3 Depth=1
	s_or_b32 exec_lo, exec_lo, s40
	s_and_saveexec_b32 s40, s15
	s_cbranch_execnz .LBB90_554
.LBB90_88:                              ;   in Loop: Header=BB90_3 Depth=1
	s_or_b32 exec_lo, exec_lo, s40
	s_and_saveexec_b32 s40, s16
	s_cbranch_execnz .LBB90_555
.LBB90_89:                              ;   in Loop: Header=BB90_3 Depth=1
	s_or_b32 exec_lo, exec_lo, s40
	s_and_saveexec_b32 s40, s17
	s_cbranch_execnz .LBB90_556
.LBB90_90:                              ;   in Loop: Header=BB90_3 Depth=1
	s_or_b32 exec_lo, exec_lo, s40
	s_and_saveexec_b32 s40, s4
	s_cbranch_execnz .LBB90_557
.LBB90_91:                              ;   in Loop: Header=BB90_3 Depth=1
	s_or_b32 exec_lo, exec_lo, s40
	s_and_saveexec_b32 s40, s12
	s_cbranch_execz .LBB90_93
.LBB90_92:                              ;   in Loop: Header=BB90_3 Depth=1
	ds_load_b128 v[16:19], v1 offset:16368
	ds_load_b128 v[200:203], v44 offset:16128
	s_wait_dscnt 0x0
	v_mul_f64_e32 v[2:3], v[18:19], v[202:203]
	s_delay_alu instid0(VALU_DEP_1) | instskip(SKIP_1) | instid1(VALU_DEP_2)
	v_fma_f64 v[2:3], v[16:17], v[200:201], -v[2:3]
	v_mul_f64_e32 v[16:17], v[16:17], v[202:203]
	v_add_f64_e32 v[12:13], v[12:13], v[2:3]
	s_delay_alu instid0(VALU_DEP_2) | instskip(NEXT) | instid1(VALU_DEP_1)
	v_fmac_f64_e32 v[16:17], v[18:19], v[200:201]
	v_add_f64_e32 v[14:15], v[14:15], v[16:17]
.LBB90_93:                              ;   in Loop: Header=BB90_3 Depth=1
	s_or_b32 exec_lo, exec_lo, s40
.LBB90_94:                              ;   in Loop: Header=BB90_3 Depth=1
	s_delay_alu instid0(SALU_CYCLE_1)
	s_or_b32 exec_lo, exec_lo, s35
	s_and_saveexec_b32 s35, s74
	s_cbranch_execz .LBB90_96
; %bb.95:                               ;   in Loop: Header=BB90_3 Depth=1
	ds_load_b128 v[16:19], v1 offset:12144
	s_wait_dscnt 0x0
	v_mul_f64_e32 v[2:3], v[14:15], v[18:19]
	v_mul_f64_e32 v[18:19], v[12:13], v[18:19]
	s_delay_alu instid0(VALU_DEP_1) | instskip(NEXT) | instid1(VALU_DEP_1)
	v_fmac_f64_e32 v[18:19], v[14:15], v[16:17]
	v_dual_fma_f64 v[2:3], v[12:13], v[16:17], -v[2:3] :: v_dual_mov_b32 v14, v18
	s_delay_alu instid0(VALU_DEP_1) | instskip(NEXT) | instid1(VALU_DEP_3)
	v_xor_b32_e32 v13, 0x80000000, v3
	v_xor_b32_e32 v15, 0x80000000, v19
	s_delay_alu instid0(VALU_DEP_3)
	v_mov_b32_e32 v12, v2
	ds_store_b128 v53, v[12:15]
	v_mov_b64_e32 v[12:13], v[2:3]
	v_mov_b64_e32 v[14:15], v[18:19]
.LBB90_96:                              ;   in Loop: Header=BB90_3 Depth=1
	s_or_b32 exec_lo, exec_lo, s35
	s_wait_loadcnt_dscnt 0x0
	s_barrier_signal -1
	s_barrier_wait -1
	s_and_saveexec_b32 s35, s75
	s_cbranch_execz .LBB90_98
; %bb.97:                               ;   in Loop: Header=BB90_3 Depth=1
	ds_load_b128 v[16:19], v53
	ds_load_b128 v[200:203], v54 offset:12032
	s_wait_dscnt 0x0
	v_mul_f64_e32 v[2:3], v[18:19], v[202:203]
	s_delay_alu instid0(VALU_DEP_1) | instskip(SKIP_1) | instid1(VALU_DEP_2)
	v_fma_f64 v[2:3], v[16:17], v[200:201], -v[2:3]
	v_mul_f64_e32 v[16:17], v[16:17], v[202:203]
	v_add_f64_e64 v[12:13], v[12:13], -v[2:3]
	s_delay_alu instid0(VALU_DEP_2) | instskip(NEXT) | instid1(VALU_DEP_1)
	v_fmac_f64_e32 v[16:17], v[18:19], v[200:201]
	v_add_f64_e64 v[14:15], v[14:15], -v[16:17]
.LBB90_98:                              ;   in Loop: Header=BB90_3 Depth=1
	s_or_b32 exec_lo, exec_lo, s35
	s_barrier_signal -1
	s_barrier_wait -1
	s_and_saveexec_b32 s35, s76
	s_cbranch_execz .LBB90_100
; %bb.99:                               ;   in Loop: Header=BB90_3 Depth=1
	ds_load_b128 v[16:19], v1 offset:11616
	s_wait_dscnt 0x0
	v_mul_f64_e32 v[2:3], v[14:15], v[18:19]
	v_mul_f64_e32 v[18:19], v[12:13], v[18:19]
	s_delay_alu instid0(VALU_DEP_1) | instskip(NEXT) | instid1(VALU_DEP_1)
	v_fmac_f64_e32 v[18:19], v[14:15], v[16:17]
	v_dual_fma_f64 v[2:3], v[12:13], v[16:17], -v[2:3] :: v_dual_mov_b32 v14, v18
	s_delay_alu instid0(VALU_DEP_1) | instskip(NEXT) | instid1(VALU_DEP_3)
	v_xor_b32_e32 v13, 0x80000000, v3
	v_xor_b32_e32 v15, 0x80000000, v19
	s_delay_alu instid0(VALU_DEP_3)
	v_mov_b32_e32 v12, v2
	ds_store_b128 v53, v[12:15]
	v_mov_b64_e32 v[12:13], v[2:3]
	v_mov_b64_e32 v[14:15], v[18:19]
.LBB90_100:                             ;   in Loop: Header=BB90_3 Depth=1
	s_or_b32 exec_lo, exec_lo, s35
	s_wait_dscnt 0x0
	s_barrier_signal -1
	s_barrier_wait -1
	s_and_saveexec_b32 s35, s77
	s_cbranch_execz .LBB90_102
; %bb.101:                              ;   in Loop: Header=BB90_3 Depth=1
	ds_load_b128 v[16:19], v53
	ds_load_b128 v[200:203], v54 offset:11520
	s_wait_dscnt 0x0
	v_mul_f64_e32 v[2:3], v[18:19], v[202:203]
	s_delay_alu instid0(VALU_DEP_1) | instskip(SKIP_1) | instid1(VALU_DEP_2)
	v_fma_f64 v[2:3], v[16:17], v[200:201], -v[2:3]
	v_mul_f64_e32 v[16:17], v[16:17], v[202:203]
	v_add_f64_e64 v[12:13], v[12:13], -v[2:3]
	s_delay_alu instid0(VALU_DEP_2) | instskip(NEXT) | instid1(VALU_DEP_1)
	v_fmac_f64_e32 v[16:17], v[18:19], v[200:201]
	v_add_f64_e64 v[14:15], v[14:15], -v[16:17]
.LBB90_102:                             ;   in Loop: Header=BB90_3 Depth=1
	s_or_b32 exec_lo, exec_lo, s35
	s_barrier_signal -1
	s_barrier_wait -1
	s_and_saveexec_b32 s35, s78
	s_cbranch_execz .LBB90_104
; %bb.103:                              ;   in Loop: Header=BB90_3 Depth=1
	ds_load_b128 v[16:19], v1 offset:11088
	s_wait_dscnt 0x0
	v_mul_f64_e32 v[2:3], v[14:15], v[18:19]
	v_mul_f64_e32 v[18:19], v[12:13], v[18:19]
	s_delay_alu instid0(VALU_DEP_1) | instskip(NEXT) | instid1(VALU_DEP_1)
	v_fmac_f64_e32 v[18:19], v[14:15], v[16:17]
	v_dual_fma_f64 v[2:3], v[12:13], v[16:17], -v[2:3] :: v_dual_mov_b32 v14, v18
	s_delay_alu instid0(VALU_DEP_1) | instskip(NEXT) | instid1(VALU_DEP_3)
	v_xor_b32_e32 v13, 0x80000000, v3
	v_xor_b32_e32 v15, 0x80000000, v19
	s_delay_alu instid0(VALU_DEP_3)
	v_mov_b32_e32 v12, v2
	ds_store_b128 v53, v[12:15]
	v_mov_b64_e32 v[12:13], v[2:3]
	v_mov_b64_e32 v[14:15], v[18:19]
.LBB90_104:                             ;   in Loop: Header=BB90_3 Depth=1
	s_or_b32 exec_lo, exec_lo, s35
	s_wait_dscnt 0x0
	s_barrier_signal -1
	s_barrier_wait -1
	s_and_saveexec_b32 s35, s79
	s_cbranch_execz .LBB90_106
; %bb.105:                              ;   in Loop: Header=BB90_3 Depth=1
	ds_load_b128 v[16:19], v53
	ds_load_b128 v[200:203], v54 offset:11008
	s_wait_dscnt 0x0
	v_mul_f64_e32 v[2:3], v[18:19], v[202:203]
	s_delay_alu instid0(VALU_DEP_1) | instskip(SKIP_1) | instid1(VALU_DEP_2)
	v_fma_f64 v[2:3], v[16:17], v[200:201], -v[2:3]
	v_mul_f64_e32 v[16:17], v[16:17], v[202:203]
	v_add_f64_e64 v[12:13], v[12:13], -v[2:3]
	s_delay_alu instid0(VALU_DEP_2) | instskip(NEXT) | instid1(VALU_DEP_1)
	v_fmac_f64_e32 v[16:17], v[18:19], v[200:201]
	v_add_f64_e64 v[14:15], v[14:15], -v[16:17]
.LBB90_106:                             ;   in Loop: Header=BB90_3 Depth=1
	s_or_b32 exec_lo, exec_lo, s35
	s_barrier_signal -1
	s_barrier_wait -1
	s_and_saveexec_b32 s35, s80
	s_cbranch_execz .LBB90_108
; %bb.107:                              ;   in Loop: Header=BB90_3 Depth=1
	ds_load_b128 v[16:19], v1 offset:10560
	s_wait_dscnt 0x0
	v_mul_f64_e32 v[2:3], v[14:15], v[18:19]
	v_mul_f64_e32 v[18:19], v[12:13], v[18:19]
	s_delay_alu instid0(VALU_DEP_1) | instskip(NEXT) | instid1(VALU_DEP_1)
	v_fmac_f64_e32 v[18:19], v[14:15], v[16:17]
	v_dual_fma_f64 v[2:3], v[12:13], v[16:17], -v[2:3] :: v_dual_mov_b32 v14, v18
	s_delay_alu instid0(VALU_DEP_1) | instskip(NEXT) | instid1(VALU_DEP_3)
	v_xor_b32_e32 v13, 0x80000000, v3
	v_xor_b32_e32 v15, 0x80000000, v19
	s_delay_alu instid0(VALU_DEP_3)
	v_mov_b32_e32 v12, v2
	ds_store_b128 v53, v[12:15]
	v_mov_b64_e32 v[12:13], v[2:3]
	v_mov_b64_e32 v[14:15], v[18:19]
.LBB90_108:                             ;   in Loop: Header=BB90_3 Depth=1
	;; [unrolled: 41-line block ×6, first 2 shown]
	s_or_b32 exec_lo, exec_lo, s35
	s_wait_dscnt 0x0
	s_barrier_signal -1
	s_barrier_wait -1
	s_barrier_signal -1
	s_barrier_wait -1
	s_and_saveexec_b32 s35, s5
; %bb.125:                              ;   in Loop: Header=BB90_3 Depth=1
	ds_store_b128 v56, v[12:15] offset:16128
; %bb.126:                              ;   in Loop: Header=BB90_3 Depth=1
	s_or_b32 exec_lo, exec_lo, s35
	s_wait_dscnt 0x0
	s_barrier_signal -1
	s_barrier_wait -1
	s_barrier_signal -1
	s_barrier_wait -1
	s_and_saveexec_b32 s35, s88
	s_cbranch_execz .LBB90_128
; %bb.127:                              ;   in Loop: Header=BB90_3 Depth=1
	ds_load_b128 v[12:15], v57
	s_wait_dscnt 0x0
	ds_store_b128 v141, v[12:15]
	ds_load_b128 v[12:15], v58
	s_wait_dscnt 0x0
	ds_store_b128 v142, v[12:15]
	;; [unrolled: 3-line block ×8, first 2 shown]
.LBB90_128:                             ;   in Loop: Header=BB90_3 Depth=1
	s_or_b32 exec_lo, exec_lo, s35
	s_wait_dscnt 0x0
	s_barrier_signal -1
	s_barrier_wait -1
	s_and_saveexec_b32 s35, s29
	s_cbranch_execz .LBB90_130
; %bb.129:                              ;   in Loop: Header=BB90_3 Depth=1
	ds_load_b128 v[12:15], v1 offset:12144
	ds_load_b128 v[16:19], v1 offset:11616
	s_wait_dscnt 0x0
	v_mul_f64_e32 v[2:3], v[14:15], v[18:19]
	v_mul_f64_e32 v[200:201], v[12:13], v[18:19]
	s_delay_alu instid0(VALU_DEP_2) | instskip(NEXT) | instid1(VALU_DEP_2)
	v_fma_f64 v[2:3], v[12:13], v[16:17], -v[2:3]
	v_fmac_f64_e32 v[200:201], v[14:15], v[16:17]
	ds_load_b128 v[12:15], v1 offset:12128
	s_wait_dscnt 0x0
	v_mul_f64_e32 v[18:19], v[2:3], v[14:15]
	v_mul_f64_e32 v[16:17], v[200:201], v[14:15]
	s_delay_alu instid0(VALU_DEP_2) | instskip(NEXT) | instid1(VALU_DEP_2)
	v_fmac_f64_e32 v[18:19], v[12:13], v[200:201]
	v_fma_f64 v[16:17], v[12:13], v[2:3], -v[16:17]
	ds_store_b128 v1, v[16:19] offset:12128
	ds_store_b128 v1, v[16:19] offset:11632
.LBB90_130:                             ;   in Loop: Header=BB90_3 Depth=1
	s_or_b32 exec_lo, exec_lo, s35
	v_mov_b64_e32 v[12:13], 0
	v_mov_b64_e32 v[14:15], 0
	s_wait_dscnt 0x0
	s_barrier_signal -1
	s_barrier_wait -1
	global_wb scope:SCOPE_DEV
	s_wait_storecnt 0x0
	global_inv scope:SCOPE_DEV
	s_and_saveexec_b32 s35, s2
	s_cbranch_execz .LBB90_134
; %bb.131:                              ;   in Loop: Header=BB90_3 Depth=1
	ds_load_b128 v[12:15], v43 offset:12128
	ds_load_b128 v[16:19], v42 offset:11584
	s_wait_dscnt 0x0
	v_mul_f64_e32 v[2:3], v[14:15], v[18:19]
	v_mul_f64_e32 v[18:19], v[12:13], v[18:19]
	s_delay_alu instid0(VALU_DEP_2) | instskip(NEXT) | instid1(VALU_DEP_2)
	v_fma_f64 v[2:3], v[12:13], v[16:17], -v[2:3]
	v_fmac_f64_e32 v[18:19], v[14:15], v[16:17]
	s_delay_alu instid0(VALU_DEP_2) | instskip(NEXT) | instid1(VALU_DEP_2)
	v_add_f64_e32 v[12:13], 0, v[2:3]
	v_add_f64_e32 v[14:15], 0, v[18:19]
	s_and_saveexec_b32 s40, s10
	s_cbranch_execz .LBB90_133
; %bb.132:                              ;   in Loop: Header=BB90_3 Depth=1
	ds_load_b128 v[16:19], v1 offset:12144
	ds_load_b128 v[200:203], v48 offset:12096
	s_wait_dscnt 0x0
	v_mul_f64_e32 v[2:3], v[18:19], v[202:203]
	s_delay_alu instid0(VALU_DEP_1) | instskip(SKIP_1) | instid1(VALU_DEP_2)
	v_fma_f64 v[2:3], v[16:17], v[200:201], -v[2:3]
	v_mul_f64_e32 v[16:17], v[16:17], v[202:203]
	v_add_f64_e32 v[12:13], v[12:13], v[2:3]
	s_delay_alu instid0(VALU_DEP_2) | instskip(NEXT) | instid1(VALU_DEP_1)
	v_fmac_f64_e32 v[16:17], v[18:19], v[200:201]
	v_add_f64_e32 v[14:15], v[14:15], v[16:17]
.LBB90_133:                             ;   in Loop: Header=BB90_3 Depth=1
	s_or_b32 exec_lo, exec_lo, s40
.LBB90_134:                             ;   in Loop: Header=BB90_3 Depth=1
	s_delay_alu instid0(SALU_CYCLE_1)
	s_or_b32 exec_lo, exec_lo, s35
	s_and_saveexec_b32 s35, s64
	s_cbranch_execz .LBB90_136
; %bb.135:                              ;   in Loop: Header=BB90_3 Depth=1
	ds_load_b128 v[16:19], v1 offset:11088
	s_wait_dscnt 0x0
	v_mul_f64_e32 v[2:3], v[14:15], v[18:19]
	v_mul_f64_e32 v[18:19], v[12:13], v[18:19]
	s_delay_alu instid0(VALU_DEP_1) | instskip(NEXT) | instid1(VALU_DEP_1)
	v_fmac_f64_e32 v[18:19], v[14:15], v[16:17]
	v_dual_fma_f64 v[2:3], v[12:13], v[16:17], -v[2:3] :: v_dual_mov_b32 v14, v18
	s_delay_alu instid0(VALU_DEP_1) | instskip(NEXT) | instid1(VALU_DEP_3)
	v_xor_b32_e32 v13, 0x80000000, v3
	v_xor_b32_e32 v15, 0x80000000, v19
	s_delay_alu instid0(VALU_DEP_3)
	v_mov_b32_e32 v12, v2
	ds_store_b128 v21, v[12:15]
	v_mov_b64_e32 v[12:13], v[2:3]
	v_mov_b64_e32 v[14:15], v[18:19]
.LBB90_136:                             ;   in Loop: Header=BB90_3 Depth=1
	s_or_b32 exec_lo, exec_lo, s35
	s_wait_loadcnt_dscnt 0x0
	s_barrier_signal -1
	s_barrier_wait -1
	s_and_saveexec_b32 s35, s65
	s_cbranch_execz .LBB90_138
; %bb.137:                              ;   in Loop: Header=BB90_3 Depth=1
	ds_load_b128 v[16:19], v21
	ds_load_b128 v[200:203], v1 offset:11072
	s_wait_dscnt 0x0
	v_mul_f64_e32 v[2:3], v[18:19], v[202:203]
	s_delay_alu instid0(VALU_DEP_1) | instskip(SKIP_1) | instid1(VALU_DEP_2)
	v_fma_f64 v[2:3], v[16:17], v[200:201], -v[2:3]
	v_mul_f64_e32 v[16:17], v[16:17], v[202:203]
	v_add_f64_e64 v[12:13], v[12:13], -v[2:3]
	s_delay_alu instid0(VALU_DEP_2) | instskip(NEXT) | instid1(VALU_DEP_1)
	v_fmac_f64_e32 v[16:17], v[18:19], v[200:201]
	v_add_f64_e64 v[14:15], v[14:15], -v[16:17]
.LBB90_138:                             ;   in Loop: Header=BB90_3 Depth=1
	s_or_b32 exec_lo, exec_lo, s35
	s_barrier_signal -1
	s_barrier_wait -1
	s_and_saveexec_b32 s35, s65
	s_cbranch_execz .LBB90_140
; %bb.139:                              ;   in Loop: Header=BB90_3 Depth=1
	ds_load_b128 v[16:19], v1 offset:10560
	s_wait_dscnt 0x0
	v_mul_f64_e32 v[2:3], v[14:15], v[18:19]
	v_mul_f64_e32 v[18:19], v[12:13], v[18:19]
	s_delay_alu instid0(VALU_DEP_1) | instskip(NEXT) | instid1(VALU_DEP_1)
	v_fmac_f64_e32 v[18:19], v[14:15], v[16:17]
	v_dual_fma_f64 v[2:3], v[12:13], v[16:17], -v[2:3] :: v_dual_mov_b32 v14, v18
	s_delay_alu instid0(VALU_DEP_1) | instskip(NEXT) | instid1(VALU_DEP_3)
	v_xor_b32_e32 v13, 0x80000000, v3
	v_xor_b32_e32 v15, 0x80000000, v19
	s_delay_alu instid0(VALU_DEP_3)
	v_mov_b32_e32 v12, v2
	ds_store_b128 v21, v[12:15]
	v_mov_b64_e32 v[12:13], v[2:3]
	v_mov_b64_e32 v[14:15], v[18:19]
.LBB90_140:                             ;   in Loop: Header=BB90_3 Depth=1
	s_or_b32 exec_lo, exec_lo, s35
	s_wait_dscnt 0x0
	s_barrier_signal -1
	s_barrier_wait -1
	s_barrier_signal -1
	s_barrier_wait -1
	s_and_saveexec_b32 s35, s2
; %bb.141:                              ;   in Loop: Header=BB90_3 Depth=1
	ds_store_b128 v45, v[12:15] offset:12096
; %bb.142:                              ;   in Loop: Header=BB90_3 Depth=1
	s_or_b32 exec_lo, exec_lo, s35
	s_wait_dscnt 0x0
	s_barrier_signal -1
	s_barrier_wait -1
	s_barrier_signal -1
	s_barrier_wait -1
	s_and_saveexec_b32 s35, s66
	s_cbranch_execz .LBB90_144
; %bb.143:                              ;   in Loop: Header=BB90_3 Depth=1
	ds_load_b128 v[12:15], v99
	s_wait_dscnt 0x0
	ds_store_b128 v149, v[12:15]
	ds_load_b128 v[12:15], v100
	s_wait_dscnt 0x0
	ds_store_b128 v150, v[12:15]
.LBB90_144:                             ;   in Loop: Header=BB90_3 Depth=1
	s_or_b32 exec_lo, exec_lo, s35
	s_wait_dscnt 0x0
	s_barrier_signal -1
	s_barrier_wait -1
	s_and_saveexec_b32 s35, s29
	s_cbranch_execz .LBB90_146
; %bb.145:                              ;   in Loop: Header=BB90_3 Depth=1
	ds_load_b128 v[12:15], v1 offset:11088
	ds_load_b128 v[16:19], v1 offset:10560
	s_wait_dscnt 0x0
	v_mul_f64_e32 v[2:3], v[14:15], v[18:19]
	v_mul_f64_e32 v[200:201], v[12:13], v[18:19]
	s_delay_alu instid0(VALU_DEP_2) | instskip(NEXT) | instid1(VALU_DEP_2)
	v_fma_f64 v[2:3], v[12:13], v[16:17], -v[2:3]
	v_fmac_f64_e32 v[200:201], v[14:15], v[16:17]
	ds_load_b128 v[12:15], v1 offset:11072
	s_wait_dscnt 0x0
	v_mul_f64_e32 v[18:19], v[2:3], v[14:15]
	v_mul_f64_e32 v[16:17], v[200:201], v[14:15]
	s_delay_alu instid0(VALU_DEP_2) | instskip(NEXT) | instid1(VALU_DEP_2)
	v_fmac_f64_e32 v[18:19], v[12:13], v[200:201]
	v_fma_f64 v[16:17], v[12:13], v[2:3], -v[16:17]
	ds_store_b128 v1, v[16:19] offset:11072
	ds_store_b128 v1, v[16:19] offset:10576
.LBB90_146:                             ;   in Loop: Header=BB90_3 Depth=1
	s_or_b32 exec_lo, exec_lo, s35
	v_mov_b64_e32 v[14:15], 0
	v_mov_b64_e32 v[12:13], 0
	s_wait_dscnt 0x0
	s_barrier_signal -1
	s_barrier_wait -1
	global_wb scope:SCOPE_DEV
	s_wait_storecnt 0x0
	global_inv scope:SCOPE_DEV
	s_and_saveexec_b32 s35, s4
	s_cbranch_execz .LBB90_152
; %bb.147:                              ;   in Loop: Header=BB90_3 Depth=1
	ds_load_b128 v[12:15], v51 offset:12096
	ds_load_b128 v[16:19], v50 offset:10496
	s_wait_dscnt 0x0
	v_mul_f64_e32 v[2:3], v[14:15], v[18:19]
	v_mul_f64_e32 v[18:19], v[12:13], v[18:19]
	s_delay_alu instid0(VALU_DEP_2) | instskip(NEXT) | instid1(VALU_DEP_2)
	v_fma_f64 v[2:3], v[12:13], v[16:17], -v[2:3]
	v_fmac_f64_e32 v[18:19], v[14:15], v[16:17]
	s_delay_alu instid0(VALU_DEP_2) | instskip(NEXT) | instid1(VALU_DEP_2)
	v_add_f64_e32 v[12:13], 0, v[2:3]
	v_add_f64_e32 v[14:15], 0, v[18:19]
	s_and_saveexec_b32 s40, s11
	s_cbranch_execnz .LBB90_558
; %bb.148:                              ;   in Loop: Header=BB90_3 Depth=1
	s_or_b32 exec_lo, exec_lo, s40
	s_and_saveexec_b32 s40, s12
	s_cbranch_execnz .LBB90_559
.LBB90_149:                             ;   in Loop: Header=BB90_3 Depth=1
	s_or_b32 exec_lo, exec_lo, s40
	s_and_saveexec_b32 s40, s2
	s_cbranch_execz .LBB90_151
.LBB90_150:                             ;   in Loop: Header=BB90_3 Depth=1
	ds_load_b128 v[16:19], v1 offset:12144
	ds_load_b128 v[200:203], v98 offset:12032
	s_wait_dscnt 0x0
	v_mul_f64_e32 v[2:3], v[18:19], v[202:203]
	s_delay_alu instid0(VALU_DEP_1) | instskip(SKIP_1) | instid1(VALU_DEP_2)
	v_fma_f64 v[2:3], v[16:17], v[200:201], -v[2:3]
	v_mul_f64_e32 v[16:17], v[16:17], v[202:203]
	v_add_f64_e32 v[12:13], v[12:13], v[2:3]
	s_delay_alu instid0(VALU_DEP_2) | instskip(NEXT) | instid1(VALU_DEP_1)
	v_fmac_f64_e32 v[16:17], v[18:19], v[200:201]
	v_add_f64_e32 v[14:15], v[14:15], v[16:17]
.LBB90_151:                             ;   in Loop: Header=BB90_3 Depth=1
	s_or_b32 exec_lo, exec_lo, s40
.LBB90_152:                             ;   in Loop: Header=BB90_3 Depth=1
	s_delay_alu instid0(SALU_CYCLE_1)
	s_or_b32 exec_lo, exec_lo, s35
	s_and_saveexec_b32 s35, s67
	s_cbranch_execz .LBB90_154
; %bb.153:                              ;   in Loop: Header=BB90_3 Depth=1
	ds_load_b128 v[16:19], v1 offset:10032
	s_wait_dscnt 0x0
	v_mul_f64_e32 v[2:3], v[14:15], v[18:19]
	v_mul_f64_e32 v[18:19], v[12:13], v[18:19]
	s_delay_alu instid0(VALU_DEP_1) | instskip(NEXT) | instid1(VALU_DEP_1)
	v_fmac_f64_e32 v[18:19], v[14:15], v[16:17]
	v_dual_fma_f64 v[2:3], v[12:13], v[16:17], -v[2:3] :: v_dual_mov_b32 v14, v18
	s_delay_alu instid0(VALU_DEP_1) | instskip(NEXT) | instid1(VALU_DEP_3)
	v_xor_b32_e32 v13, 0x80000000, v3
	v_xor_b32_e32 v15, 0x80000000, v19
	s_delay_alu instid0(VALU_DEP_3)
	v_mov_b32_e32 v12, v2
	ds_store_b128 v49, v[12:15]
	v_mov_b64_e32 v[12:13], v[2:3]
	v_mov_b64_e32 v[14:15], v[18:19]
.LBB90_154:                             ;   in Loop: Header=BB90_3 Depth=1
	s_or_b32 exec_lo, exec_lo, s35
	s_wait_loadcnt_dscnt 0x0
	s_barrier_signal -1
	s_barrier_wait -1
	s_and_saveexec_b32 s35, s68
	s_cbranch_execz .LBB90_156
; %bb.155:                              ;   in Loop: Header=BB90_3 Depth=1
	ds_load_b128 v[16:19], v49
	ds_load_b128 v[200:203], v50 offset:9984
	s_wait_dscnt 0x0
	v_mul_f64_e32 v[2:3], v[18:19], v[202:203]
	s_delay_alu instid0(VALU_DEP_1) | instskip(SKIP_1) | instid1(VALU_DEP_2)
	v_fma_f64 v[2:3], v[16:17], v[200:201], -v[2:3]
	v_mul_f64_e32 v[16:17], v[16:17], v[202:203]
	v_add_f64_e64 v[12:13], v[12:13], -v[2:3]
	s_delay_alu instid0(VALU_DEP_2) | instskip(NEXT) | instid1(VALU_DEP_1)
	v_fmac_f64_e32 v[16:17], v[18:19], v[200:201]
	v_add_f64_e64 v[14:15], v[14:15], -v[16:17]
.LBB90_156:                             ;   in Loop: Header=BB90_3 Depth=1
	s_or_b32 exec_lo, exec_lo, s35
	s_barrier_signal -1
	s_barrier_wait -1
	s_and_saveexec_b32 s35, s69
	s_cbranch_execz .LBB90_158
; %bb.157:                              ;   in Loop: Header=BB90_3 Depth=1
	ds_load_b128 v[16:19], v1 offset:9504
	s_wait_dscnt 0x0
	v_mul_f64_e32 v[2:3], v[14:15], v[18:19]
	v_mul_f64_e32 v[18:19], v[12:13], v[18:19]
	s_delay_alu instid0(VALU_DEP_1) | instskip(NEXT) | instid1(VALU_DEP_1)
	v_fmac_f64_e32 v[18:19], v[14:15], v[16:17]
	v_dual_fma_f64 v[2:3], v[12:13], v[16:17], -v[2:3] :: v_dual_mov_b32 v14, v18
	s_delay_alu instid0(VALU_DEP_1) | instskip(NEXT) | instid1(VALU_DEP_3)
	v_xor_b32_e32 v13, 0x80000000, v3
	v_xor_b32_e32 v15, 0x80000000, v19
	s_delay_alu instid0(VALU_DEP_3)
	v_mov_b32_e32 v12, v2
	ds_store_b128 v49, v[12:15]
	v_mov_b64_e32 v[12:13], v[2:3]
	v_mov_b64_e32 v[14:15], v[18:19]
.LBB90_158:                             ;   in Loop: Header=BB90_3 Depth=1
	s_or_b32 exec_lo, exec_lo, s35
	s_wait_dscnt 0x0
	s_barrier_signal -1
	s_barrier_wait -1
	s_and_saveexec_b32 s35, s70
	s_cbranch_execz .LBB90_160
; %bb.159:                              ;   in Loop: Header=BB90_3 Depth=1
	ds_load_b128 v[16:19], v49
	ds_load_b128 v[200:203], v50 offset:9472
	s_wait_dscnt 0x0
	v_mul_f64_e32 v[2:3], v[18:19], v[202:203]
	s_delay_alu instid0(VALU_DEP_1) | instskip(SKIP_1) | instid1(VALU_DEP_2)
	v_fma_f64 v[2:3], v[16:17], v[200:201], -v[2:3]
	v_mul_f64_e32 v[16:17], v[16:17], v[202:203]
	v_add_f64_e64 v[12:13], v[12:13], -v[2:3]
	s_delay_alu instid0(VALU_DEP_2) | instskip(NEXT) | instid1(VALU_DEP_1)
	v_fmac_f64_e32 v[16:17], v[18:19], v[200:201]
	v_add_f64_e64 v[14:15], v[14:15], -v[16:17]
.LBB90_160:                             ;   in Loop: Header=BB90_3 Depth=1
	s_or_b32 exec_lo, exec_lo, s35
	s_barrier_signal -1
	s_barrier_wait -1
	s_and_saveexec_b32 s35, s71
	s_cbranch_execz .LBB90_162
; %bb.161:                              ;   in Loop: Header=BB90_3 Depth=1
	ds_load_b128 v[16:19], v1 offset:8976
	s_wait_dscnt 0x0
	v_mul_f64_e32 v[2:3], v[14:15], v[18:19]
	v_mul_f64_e32 v[18:19], v[12:13], v[18:19]
	s_delay_alu instid0(VALU_DEP_1) | instskip(NEXT) | instid1(VALU_DEP_1)
	v_fmac_f64_e32 v[18:19], v[14:15], v[16:17]
	v_dual_fma_f64 v[2:3], v[12:13], v[16:17], -v[2:3] :: v_dual_mov_b32 v14, v18
	s_delay_alu instid0(VALU_DEP_1) | instskip(NEXT) | instid1(VALU_DEP_3)
	v_xor_b32_e32 v13, 0x80000000, v3
	v_xor_b32_e32 v15, 0x80000000, v19
	s_delay_alu instid0(VALU_DEP_3)
	v_mov_b32_e32 v12, v2
	ds_store_b128 v49, v[12:15]
	v_mov_b64_e32 v[12:13], v[2:3]
	v_mov_b64_e32 v[14:15], v[18:19]
.LBB90_162:                             ;   in Loop: Header=BB90_3 Depth=1
	s_or_b32 exec_lo, exec_lo, s35
	s_wait_dscnt 0x0
	;; [unrolled: 41-line block ×3, first 2 shown]
	s_barrier_signal -1
	s_barrier_wait -1
	s_barrier_signal -1
	s_barrier_wait -1
	s_and_saveexec_b32 s35, s4
; %bb.167:                              ;   in Loop: Header=BB90_3 Depth=1
	ds_store_b128 v52, v[12:15] offset:12032
; %bb.168:                              ;   in Loop: Header=BB90_3 Depth=1
	s_or_b32 exec_lo, exec_lo, s35
	s_wait_dscnt 0x0
	s_barrier_signal -1
	s_barrier_wait -1
	s_barrier_signal -1
	s_barrier_wait -1
	s_and_saveexec_b32 s35, s73
	s_cbranch_execz .LBB90_170
; %bb.169:                              ;   in Loop: Header=BB90_3 Depth=1
	ds_load_b128 v[12:15], v110
	s_wait_dscnt 0x0
	ds_store_b128 v151, v[12:15]
	ds_load_b128 v[12:15], v113
	s_wait_dscnt 0x0
	ds_store_b128 v154, v[12:15]
	;; [unrolled: 3-line block ×4, first 2 shown]
.LBB90_170:                             ;   in Loop: Header=BB90_3 Depth=1
	s_or_b32 exec_lo, exec_lo, s35
	s_wait_dscnt 0x0
	s_barrier_signal -1
	s_barrier_wait -1
	s_and_saveexec_b32 s35, s29
	s_cbranch_execz .LBB90_172
; %bb.171:                              ;   in Loop: Header=BB90_3 Depth=1
	ds_load_b128 v[12:15], v1 offset:10032
	ds_load_b128 v[16:19], v1 offset:9504
	s_wait_dscnt 0x0
	v_mul_f64_e32 v[2:3], v[14:15], v[18:19]
	v_mul_f64_e32 v[200:201], v[12:13], v[18:19]
	s_delay_alu instid0(VALU_DEP_2) | instskip(NEXT) | instid1(VALU_DEP_2)
	v_fma_f64 v[2:3], v[12:13], v[16:17], -v[2:3]
	v_fmac_f64_e32 v[200:201], v[14:15], v[16:17]
	ds_load_b128 v[12:15], v1 offset:10016
	s_wait_dscnt 0x0
	v_mul_f64_e32 v[18:19], v[2:3], v[14:15]
	v_mul_f64_e32 v[16:17], v[200:201], v[14:15]
	s_delay_alu instid0(VALU_DEP_2) | instskip(NEXT) | instid1(VALU_DEP_2)
	v_fmac_f64_e32 v[18:19], v[12:13], v[200:201]
	v_fma_f64 v[16:17], v[12:13], v[2:3], -v[16:17]
	ds_store_b128 v1, v[16:19] offset:10016
	ds_store_b128 v1, v[16:19] offset:9520
.LBB90_172:                             ;   in Loop: Header=BB90_3 Depth=1
	s_or_b32 exec_lo, exec_lo, s35
	v_mov_b64_e32 v[12:13], 0
	v_mov_b64_e32 v[14:15], 0
	s_wait_dscnt 0x0
	s_barrier_signal -1
	s_barrier_wait -1
	global_wb scope:SCOPE_DEV
	s_wait_storecnt 0x0
	global_inv scope:SCOPE_DEV
	s_and_saveexec_b32 s35, s2
	s_cbranch_execz .LBB90_176
; %bb.173:                              ;   in Loop: Header=BB90_3 Depth=1
	ds_load_b128 v[12:15], v43 offset:10016
	ds_load_b128 v[16:19], v42 offset:9472
	s_wait_dscnt 0x0
	v_mul_f64_e32 v[2:3], v[14:15], v[18:19]
	v_mul_f64_e32 v[18:19], v[12:13], v[18:19]
	s_delay_alu instid0(VALU_DEP_2) | instskip(NEXT) | instid1(VALU_DEP_2)
	v_fma_f64 v[2:3], v[12:13], v[16:17], -v[2:3]
	v_fmac_f64_e32 v[18:19], v[14:15], v[16:17]
	s_delay_alu instid0(VALU_DEP_2) | instskip(NEXT) | instid1(VALU_DEP_2)
	v_add_f64_e32 v[12:13], 0, v[2:3]
	v_add_f64_e32 v[14:15], 0, v[18:19]
	s_and_saveexec_b32 s40, s10
	s_cbranch_execz .LBB90_175
; %bb.174:                              ;   in Loop: Header=BB90_3 Depth=1
	ds_load_b128 v[16:19], v1 offset:10032
	ds_load_b128 v[200:203], v109 offset:9984
	s_wait_dscnt 0x0
	v_mul_f64_e32 v[2:3], v[18:19], v[202:203]
	s_delay_alu instid0(VALU_DEP_1) | instskip(SKIP_1) | instid1(VALU_DEP_2)
	v_fma_f64 v[2:3], v[16:17], v[200:201], -v[2:3]
	v_mul_f64_e32 v[16:17], v[16:17], v[202:203]
	v_add_f64_e32 v[12:13], v[12:13], v[2:3]
	s_delay_alu instid0(VALU_DEP_2) | instskip(NEXT) | instid1(VALU_DEP_1)
	v_fmac_f64_e32 v[16:17], v[18:19], v[200:201]
	v_add_f64_e32 v[14:15], v[14:15], v[16:17]
.LBB90_175:                             ;   in Loop: Header=BB90_3 Depth=1
	s_or_b32 exec_lo, exec_lo, s40
.LBB90_176:                             ;   in Loop: Header=BB90_3 Depth=1
	s_delay_alu instid0(SALU_CYCLE_1)
	s_or_b32 exec_lo, exec_lo, s35
	s_and_saveexec_b32 s35, s64
	s_cbranch_execz .LBB90_178
; %bb.177:                              ;   in Loop: Header=BB90_3 Depth=1
	ds_load_b128 v[16:19], v1 offset:8976
	s_wait_dscnt 0x0
	v_mul_f64_e32 v[2:3], v[14:15], v[18:19]
	v_mul_f64_e32 v[18:19], v[12:13], v[18:19]
	s_delay_alu instid0(VALU_DEP_1) | instskip(NEXT) | instid1(VALU_DEP_1)
	v_fmac_f64_e32 v[18:19], v[14:15], v[16:17]
	v_dual_fma_f64 v[2:3], v[12:13], v[16:17], -v[2:3] :: v_dual_mov_b32 v14, v18
	s_delay_alu instid0(VALU_DEP_1) | instskip(NEXT) | instid1(VALU_DEP_3)
	v_xor_b32_e32 v13, 0x80000000, v3
	v_xor_b32_e32 v15, 0x80000000, v19
	s_delay_alu instid0(VALU_DEP_3)
	v_mov_b32_e32 v12, v2
	ds_store_b128 v21, v[12:15]
	v_mov_b64_e32 v[12:13], v[2:3]
	v_mov_b64_e32 v[14:15], v[18:19]
.LBB90_178:                             ;   in Loop: Header=BB90_3 Depth=1
	s_or_b32 exec_lo, exec_lo, s35
	s_wait_loadcnt_dscnt 0x0
	s_barrier_signal -1
	s_barrier_wait -1
	s_and_saveexec_b32 s35, s65
	s_cbranch_execz .LBB90_180
; %bb.179:                              ;   in Loop: Header=BB90_3 Depth=1
	ds_load_b128 v[16:19], v21
	ds_load_b128 v[200:203], v1 offset:8960
	s_wait_dscnt 0x0
	v_mul_f64_e32 v[2:3], v[18:19], v[202:203]
	s_delay_alu instid0(VALU_DEP_1) | instskip(SKIP_1) | instid1(VALU_DEP_2)
	v_fma_f64 v[2:3], v[16:17], v[200:201], -v[2:3]
	v_mul_f64_e32 v[16:17], v[16:17], v[202:203]
	v_add_f64_e64 v[12:13], v[12:13], -v[2:3]
	s_delay_alu instid0(VALU_DEP_2) | instskip(NEXT) | instid1(VALU_DEP_1)
	v_fmac_f64_e32 v[16:17], v[18:19], v[200:201]
	v_add_f64_e64 v[14:15], v[14:15], -v[16:17]
.LBB90_180:                             ;   in Loop: Header=BB90_3 Depth=1
	s_or_b32 exec_lo, exec_lo, s35
	s_barrier_signal -1
	s_barrier_wait -1
	s_and_saveexec_b32 s35, s65
	s_cbranch_execz .LBB90_182
; %bb.181:                              ;   in Loop: Header=BB90_3 Depth=1
	ds_load_b128 v[16:19], v1 offset:8448
	s_wait_dscnt 0x0
	v_mul_f64_e32 v[2:3], v[14:15], v[18:19]
	v_mul_f64_e32 v[18:19], v[12:13], v[18:19]
	s_delay_alu instid0(VALU_DEP_1) | instskip(NEXT) | instid1(VALU_DEP_1)
	v_fmac_f64_e32 v[18:19], v[14:15], v[16:17]
	v_dual_fma_f64 v[2:3], v[12:13], v[16:17], -v[2:3] :: v_dual_mov_b32 v14, v18
	s_delay_alu instid0(VALU_DEP_1) | instskip(NEXT) | instid1(VALU_DEP_3)
	v_xor_b32_e32 v13, 0x80000000, v3
	v_xor_b32_e32 v15, 0x80000000, v19
	s_delay_alu instid0(VALU_DEP_3)
	v_mov_b32_e32 v12, v2
	ds_store_b128 v21, v[12:15]
	v_mov_b64_e32 v[12:13], v[2:3]
	v_mov_b64_e32 v[14:15], v[18:19]
.LBB90_182:                             ;   in Loop: Header=BB90_3 Depth=1
	s_or_b32 exec_lo, exec_lo, s35
	s_wait_dscnt 0x0
	s_barrier_signal -1
	s_barrier_wait -1
	s_barrier_signal -1
	s_barrier_wait -1
	s_and_saveexec_b32 s35, s2
; %bb.183:                              ;   in Loop: Header=BB90_3 Depth=1
	ds_store_b128 v45, v[12:15] offset:9984
; %bb.184:                              ;   in Loop: Header=BB90_3 Depth=1
	s_or_b32 exec_lo, exec_lo, s35
	s_wait_dscnt 0x0
	s_barrier_signal -1
	s_barrier_wait -1
	s_barrier_signal -1
	s_barrier_wait -1
	s_and_saveexec_b32 s35, s66
	s_cbranch_execz .LBB90_186
; %bb.185:                              ;   in Loop: Header=BB90_3 Depth=1
	ds_load_b128 v[12:15], v120
	s_wait_dscnt 0x0
	ds_store_b128 v126, v[12:15]
	ds_load_b128 v[12:15], v121
	s_wait_dscnt 0x0
	ds_store_b128 v128, v[12:15]
.LBB90_186:                             ;   in Loop: Header=BB90_3 Depth=1
	s_or_b32 exec_lo, exec_lo, s35
	s_wait_dscnt 0x0
	s_barrier_signal -1
	s_barrier_wait -1
	s_and_saveexec_b32 s35, s29
	s_cbranch_execz .LBB90_188
; %bb.187:                              ;   in Loop: Header=BB90_3 Depth=1
	ds_load_b128 v[12:15], v1 offset:8976
	ds_load_b128 v[16:19], v1 offset:8448
	s_wait_dscnt 0x0
	v_mul_f64_e32 v[2:3], v[14:15], v[18:19]
	v_mul_f64_e32 v[200:201], v[12:13], v[18:19]
	s_delay_alu instid0(VALU_DEP_2) | instskip(NEXT) | instid1(VALU_DEP_2)
	v_fma_f64 v[2:3], v[12:13], v[16:17], -v[2:3]
	v_fmac_f64_e32 v[200:201], v[14:15], v[16:17]
	ds_load_b128 v[12:15], v1 offset:8960
	s_wait_dscnt 0x0
	v_mul_f64_e32 v[18:19], v[2:3], v[14:15]
	v_mul_f64_e32 v[16:17], v[200:201], v[14:15]
	s_delay_alu instid0(VALU_DEP_2) | instskip(NEXT) | instid1(VALU_DEP_2)
	v_fmac_f64_e32 v[18:19], v[12:13], v[200:201]
	v_fma_f64 v[16:17], v[12:13], v[2:3], -v[16:17]
	ds_store_b128 v1, v[16:19] offset:8960
	ds_store_b128 v1, v[16:19] offset:8464
.LBB90_188:                             ;   in Loop: Header=BB90_3 Depth=1
	s_or_b32 exec_lo, exec_lo, s35
	v_mov_b64_e32 v[14:15], 0
	v_mov_b64_e32 v[12:13], 0
	s_wait_dscnt 0x0
	s_barrier_signal -1
	s_barrier_wait -1
	global_wb scope:SCOPE_DEV
	s_wait_storecnt 0x0
	global_inv scope:SCOPE_DEV
	s_and_saveexec_b32 s35, s6
	s_cbranch_execz .LBB90_216
; %bb.189:                              ;   in Loop: Header=BB90_3 Depth=1
	ds_load_b128 v[12:15], v67 offset:16128
	ds_load_b128 v[16:19], v66 offset:8192
	s_wait_dscnt 0x0
	v_mul_f64_e32 v[2:3], v[14:15], v[18:19]
	v_mul_f64_e32 v[18:19], v[12:13], v[18:19]
	s_delay_alu instid0(VALU_DEP_2) | instskip(NEXT) | instid1(VALU_DEP_2)
	v_fma_f64 v[2:3], v[12:13], v[16:17], -v[2:3]
	v_fmac_f64_e32 v[18:19], v[14:15], v[16:17]
	s_delay_alu instid0(VALU_DEP_2) | instskip(NEXT) | instid1(VALU_DEP_2)
	v_add_f64_e32 v[12:13], 0, v[2:3]
	v_add_f64_e32 v[14:15], 0, v[18:19]
	s_mov_b32 s40, exec_lo
	v_readlane_b32 s41, v208, 15
	s_and_b32 s41, s40, s41
	s_delay_alu instid0(SALU_CYCLE_1)
	s_mov_b32 exec_lo, s41
	s_cbranch_execz .LBB90_191
; %bb.190:                              ;   in Loop: Header=BB90_3 Depth=1
	ds_load_b128 v[16:19], v67 offset:16144
	ds_load_b128 v[200:203], v66 offset:8704
	s_wait_dscnt 0x0
	v_mul_f64_e32 v[2:3], v[18:19], v[202:203]
	s_delay_alu instid0(VALU_DEP_1) | instskip(SKIP_1) | instid1(VALU_DEP_2)
	v_fma_f64 v[2:3], v[16:17], v[200:201], -v[2:3]
	v_mul_f64_e32 v[16:17], v[16:17], v[202:203]
	v_add_f64_e32 v[12:13], v[12:13], v[2:3]
	s_delay_alu instid0(VALU_DEP_2) | instskip(NEXT) | instid1(VALU_DEP_1)
	v_fmac_f64_e32 v[16:17], v[18:19], v[200:201]
	v_add_f64_e32 v[14:15], v[14:15], v[16:17]
.LBB90_191:                             ;   in Loop: Header=BB90_3 Depth=1
	s_or_b32 exec_lo, exec_lo, s40
	s_delay_alu instid0(SALU_CYCLE_1) | instskip(SKIP_2) | instid1(SALU_CYCLE_1)
	s_mov_b32 s40, exec_lo
	v_readlane_b32 s41, v208, 16
	s_and_b32 s41, s40, s41
	s_mov_b32 exec_lo, s41
	s_cbranch_execz .LBB90_193
; %bb.192:                              ;   in Loop: Header=BB90_3 Depth=1
	ds_load_b128 v[16:19], v67 offset:16160
	ds_load_b128 v[200:203], v66 offset:9216
	s_wait_dscnt 0x0
	v_mul_f64_e32 v[2:3], v[18:19], v[202:203]
	s_delay_alu instid0(VALU_DEP_1) | instskip(SKIP_1) | instid1(VALU_DEP_2)
	v_fma_f64 v[2:3], v[16:17], v[200:201], -v[2:3]
	v_mul_f64_e32 v[16:17], v[16:17], v[202:203]
	v_add_f64_e32 v[12:13], v[12:13], v[2:3]
	s_delay_alu instid0(VALU_DEP_2) | instskip(NEXT) | instid1(VALU_DEP_1)
	v_fmac_f64_e32 v[16:17], v[18:19], v[200:201]
	v_add_f64_e32 v[14:15], v[14:15], v[16:17]
.LBB90_193:                             ;   in Loop: Header=BB90_3 Depth=1
	s_or_b32 exec_lo, exec_lo, s40
	s_delay_alu instid0(SALU_CYCLE_1) | instskip(SKIP_2) | instid1(SALU_CYCLE_1)
	s_mov_b32 s40, exec_lo
	v_readlane_b32 s41, v208, 17
	s_and_b32 s41, s40, s41
	;; [unrolled: 20-line block ×10, first 2 shown]
	s_mov_b32 exec_lo, s41
	s_cbranch_execnz .LBB90_560
; %bb.210:                              ;   in Loop: Header=BB90_3 Depth=1
	s_or_b32 exec_lo, exec_lo, s40
	s_and_saveexec_b32 s40, s5
	s_cbranch_execnz .LBB90_561
.LBB90_211:                             ;   in Loop: Header=BB90_3 Depth=1
	s_or_b32 exec_lo, exec_lo, s40
	s_and_saveexec_b32 s40, s14
	s_cbranch_execnz .LBB90_562
.LBB90_212:                             ;   in Loop: Header=BB90_3 Depth=1
	s_or_b32 exec_lo, exec_lo, s40
	s_and_saveexec_b32 s40, s16
	s_cbranch_execnz .LBB90_563
.LBB90_213:                             ;   in Loop: Header=BB90_3 Depth=1
	s_or_b32 exec_lo, exec_lo, s40
	s_and_saveexec_b32 s40, s4
	s_cbranch_execz .LBB90_215
.LBB90_214:                             ;   in Loop: Header=BB90_3 Depth=1
	ds_load_b128 v[16:19], v1 offset:16368
	ds_load_b128 v[200:203], v44 offset:15872
	s_wait_dscnt 0x0
	v_mul_f64_e32 v[2:3], v[18:19], v[202:203]
	s_delay_alu instid0(VALU_DEP_1) | instskip(SKIP_1) | instid1(VALU_DEP_2)
	v_fma_f64 v[2:3], v[16:17], v[200:201], -v[2:3]
	v_mul_f64_e32 v[16:17], v[16:17], v[202:203]
	v_add_f64_e32 v[12:13], v[12:13], v[2:3]
	s_delay_alu instid0(VALU_DEP_2) | instskip(NEXT) | instid1(VALU_DEP_1)
	v_fmac_f64_e32 v[16:17], v[18:19], v[200:201]
	v_add_f64_e32 v[14:15], v[14:15], v[16:17]
.LBB90_215:                             ;   in Loop: Header=BB90_3 Depth=1
	s_or_b32 exec_lo, exec_lo, s40
.LBB90_216:                             ;   in Loop: Header=BB90_3 Depth=1
	s_delay_alu instid0(SALU_CYCLE_1) | instskip(NEXT) | instid1(SALU_CYCLE_1)
	s_or_b32 exec_lo, exec_lo, s35
	s_mov_b32 s35, exec_lo
	v_readlane_b32 s40, v208, 0
	s_and_b32 s40, s35, s40
	s_delay_alu instid0(SALU_CYCLE_1)
	s_mov_b32 exec_lo, s40
	s_cbranch_execz .LBB90_218
; %bb.217:                              ;   in Loop: Header=BB90_3 Depth=1
	ds_load_b128 v[16:19], v1 offset:7920
	s_wait_dscnt 0x0
	v_mul_f64_e32 v[2:3], v[14:15], v[18:19]
	v_mul_f64_e32 v[18:19], v[12:13], v[18:19]
	s_delay_alu instid0(VALU_DEP_1) | instskip(NEXT) | instid1(VALU_DEP_1)
	v_fmac_f64_e32 v[18:19], v[14:15], v[16:17]
	v_dual_fma_f64 v[2:3], v[12:13], v[16:17], -v[2:3] :: v_dual_mov_b32 v14, v18
	s_delay_alu instid0(VALU_DEP_1) | instskip(NEXT) | instid1(VALU_DEP_3)
	v_xor_b32_e32 v13, 0x80000000, v3
	v_xor_b32_e32 v15, 0x80000000, v19
	s_delay_alu instid0(VALU_DEP_3)
	v_mov_b32_e32 v12, v2
	ds_store_b128 v65, v[12:15]
	v_mov_b64_e32 v[12:13], v[2:3]
	v_mov_b64_e32 v[14:15], v[18:19]
.LBB90_218:                             ;   in Loop: Header=BB90_3 Depth=1
	s_or_b32 exec_lo, exec_lo, s35
	s_wait_loadcnt_dscnt 0x0
	s_barrier_signal -1
	s_barrier_wait -1
	s_mov_b32 s35, exec_lo
	v_readlane_b32 s40, v208, 1
	s_and_b32 s40, s35, s40
	s_delay_alu instid0(SALU_CYCLE_1)
	s_mov_b32 exec_lo, s40
	s_cbranch_execz .LBB90_220
; %bb.219:                              ;   in Loop: Header=BB90_3 Depth=1
	ds_load_b128 v[16:19], v65
	ds_load_b128 v[200:203], v66 offset:7680
	s_wait_dscnt 0x0
	v_mul_f64_e32 v[2:3], v[18:19], v[202:203]
	s_delay_alu instid0(VALU_DEP_1) | instskip(SKIP_1) | instid1(VALU_DEP_2)
	v_fma_f64 v[2:3], v[16:17], v[200:201], -v[2:3]
	v_mul_f64_e32 v[16:17], v[16:17], v[202:203]
	v_add_f64_e64 v[12:13], v[12:13], -v[2:3]
	s_delay_alu instid0(VALU_DEP_2) | instskip(NEXT) | instid1(VALU_DEP_1)
	v_fmac_f64_e32 v[16:17], v[18:19], v[200:201]
	v_add_f64_e64 v[14:15], v[14:15], -v[16:17]
.LBB90_220:                             ;   in Loop: Header=BB90_3 Depth=1
	s_or_b32 exec_lo, exec_lo, s35
	s_barrier_signal -1
	s_barrier_wait -1
	s_mov_b32 s35, exec_lo
	v_readlane_b32 s40, v208, 2
	s_and_b32 s40, s35, s40
	s_delay_alu instid0(SALU_CYCLE_1)
	s_mov_b32 exec_lo, s40
	s_cbranch_execz .LBB90_222
; %bb.221:                              ;   in Loop: Header=BB90_3 Depth=1
	ds_load_b128 v[16:19], v1 offset:7392
	s_wait_dscnt 0x0
	v_mul_f64_e32 v[2:3], v[14:15], v[18:19]
	v_mul_f64_e32 v[18:19], v[12:13], v[18:19]
	s_delay_alu instid0(VALU_DEP_1) | instskip(NEXT) | instid1(VALU_DEP_1)
	v_fmac_f64_e32 v[18:19], v[14:15], v[16:17]
	v_dual_fma_f64 v[2:3], v[12:13], v[16:17], -v[2:3] :: v_dual_mov_b32 v14, v18
	s_delay_alu instid0(VALU_DEP_1) | instskip(NEXT) | instid1(VALU_DEP_3)
	v_xor_b32_e32 v13, 0x80000000, v3
	v_xor_b32_e32 v15, 0x80000000, v19
	s_delay_alu instid0(VALU_DEP_3)
	v_mov_b32_e32 v12, v2
	ds_store_b128 v65, v[12:15]
	v_mov_b64_e32 v[12:13], v[2:3]
	v_mov_b64_e32 v[14:15], v[18:19]
.LBB90_222:                             ;   in Loop: Header=BB90_3 Depth=1
	s_or_b32 exec_lo, exec_lo, s35
	s_wait_dscnt 0x0
	s_barrier_signal -1
	s_barrier_wait -1
	s_mov_b32 s35, exec_lo
	v_readlane_b32 s40, v208, 3
	s_and_b32 s40, s35, s40
	s_delay_alu instid0(SALU_CYCLE_1)
	s_mov_b32 exec_lo, s40
	s_cbranch_execz .LBB90_224
; %bb.223:                              ;   in Loop: Header=BB90_3 Depth=1
	ds_load_b128 v[16:19], v65
	ds_load_b128 v[200:203], v66 offset:7168
	s_wait_dscnt 0x0
	v_mul_f64_e32 v[2:3], v[18:19], v[202:203]
	s_delay_alu instid0(VALU_DEP_1) | instskip(SKIP_1) | instid1(VALU_DEP_2)
	v_fma_f64 v[2:3], v[16:17], v[200:201], -v[2:3]
	v_mul_f64_e32 v[16:17], v[16:17], v[202:203]
	v_add_f64_e64 v[12:13], v[12:13], -v[2:3]
	s_delay_alu instid0(VALU_DEP_2) | instskip(NEXT) | instid1(VALU_DEP_1)
	v_fmac_f64_e32 v[16:17], v[18:19], v[200:201]
	v_add_f64_e64 v[14:15], v[14:15], -v[16:17]
.LBB90_224:                             ;   in Loop: Header=BB90_3 Depth=1
	s_or_b32 exec_lo, exec_lo, s35
	s_barrier_signal -1
	s_barrier_wait -1
	s_mov_b32 s35, exec_lo
	v_readlane_b32 s40, v208, 4
	s_and_b32 s40, s35, s40
	s_delay_alu instid0(SALU_CYCLE_1)
	s_mov_b32 exec_lo, s40
	s_cbranch_execz .LBB90_226
; %bb.225:                              ;   in Loop: Header=BB90_3 Depth=1
	ds_load_b128 v[16:19], v1 offset:6864
	s_wait_dscnt 0x0
	v_mul_f64_e32 v[2:3], v[14:15], v[18:19]
	v_mul_f64_e32 v[18:19], v[12:13], v[18:19]
	s_delay_alu instid0(VALU_DEP_1) | instskip(NEXT) | instid1(VALU_DEP_1)
	v_fmac_f64_e32 v[18:19], v[14:15], v[16:17]
	v_dual_fma_f64 v[2:3], v[12:13], v[16:17], -v[2:3] :: v_dual_mov_b32 v14, v18
	s_delay_alu instid0(VALU_DEP_1) | instskip(NEXT) | instid1(VALU_DEP_3)
	v_xor_b32_e32 v13, 0x80000000, v3
	v_xor_b32_e32 v15, 0x80000000, v19
	s_delay_alu instid0(VALU_DEP_3)
	v_mov_b32_e32 v12, v2
	ds_store_b128 v65, v[12:15]
	v_mov_b64_e32 v[12:13], v[2:3]
	v_mov_b64_e32 v[14:15], v[18:19]
.LBB90_226:                             ;   in Loop: Header=BB90_3 Depth=1
	s_or_b32 exec_lo, exec_lo, s35
	s_wait_dscnt 0x0
	;; [unrolled: 49-line block ×4, first 2 shown]
	s_barrier_signal -1
	s_barrier_wait -1
	s_mov_b32 s35, exec_lo
	v_readlane_b32 s40, v208, 9
	s_and_b32 s40, s35, s40
	s_delay_alu instid0(SALU_CYCLE_1)
	s_mov_b32 exec_lo, s40
	s_cbranch_execz .LBB90_236
; %bb.235:                              ;   in Loop: Header=BB90_3 Depth=1
	ds_load_b128 v[16:19], v65
	ds_load_b128 v[200:203], v66 offset:5632
	s_wait_dscnt 0x0
	v_mul_f64_e32 v[2:3], v[18:19], v[202:203]
	s_delay_alu instid0(VALU_DEP_1) | instskip(SKIP_1) | instid1(VALU_DEP_2)
	v_fma_f64 v[2:3], v[16:17], v[200:201], -v[2:3]
	v_mul_f64_e32 v[16:17], v[16:17], v[202:203]
	v_add_f64_e64 v[12:13], v[12:13], -v[2:3]
	s_delay_alu instid0(VALU_DEP_2) | instskip(NEXT) | instid1(VALU_DEP_1)
	v_fmac_f64_e32 v[16:17], v[18:19], v[200:201]
	v_add_f64_e64 v[14:15], v[14:15], -v[16:17]
.LBB90_236:                             ;   in Loop: Header=BB90_3 Depth=1
	s_or_b32 exec_lo, exec_lo, s35
	s_barrier_signal -1
	s_barrier_wait -1
	s_and_saveexec_b32 s35, s99
	s_cbranch_execz .LBB90_238
; %bb.237:                              ;   in Loop: Header=BB90_3 Depth=1
	ds_load_b128 v[16:19], v1 offset:5280
	s_wait_dscnt 0x0
	v_mul_f64_e32 v[2:3], v[14:15], v[18:19]
	v_mul_f64_e32 v[18:19], v[12:13], v[18:19]
	s_delay_alu instid0(VALU_DEP_1) | instskip(NEXT) | instid1(VALU_DEP_1)
	v_fmac_f64_e32 v[18:19], v[14:15], v[16:17]
	v_dual_fma_f64 v[2:3], v[12:13], v[16:17], -v[2:3] :: v_dual_mov_b32 v14, v18
	s_delay_alu instid0(VALU_DEP_1) | instskip(NEXT) | instid1(VALU_DEP_3)
	v_xor_b32_e32 v13, 0x80000000, v3
	v_xor_b32_e32 v15, 0x80000000, v19
	s_delay_alu instid0(VALU_DEP_3)
	v_mov_b32_e32 v12, v2
	ds_store_b128 v65, v[12:15]
	v_mov_b64_e32 v[12:13], v[2:3]
	v_mov_b64_e32 v[14:15], v[18:19]
.LBB90_238:                             ;   in Loop: Header=BB90_3 Depth=1
	s_or_b32 exec_lo, exec_lo, s35
	s_wait_dscnt 0x0
	s_barrier_signal -1
	s_barrier_wait -1
	s_and_saveexec_b32 s35, s100
	s_cbranch_execz .LBB90_240
; %bb.239:                              ;   in Loop: Header=BB90_3 Depth=1
	ds_load_b128 v[16:19], v65
	ds_load_b128 v[200:203], v66 offset:5120
	s_wait_dscnt 0x0
	v_mul_f64_e32 v[2:3], v[18:19], v[202:203]
	s_delay_alu instid0(VALU_DEP_1) | instskip(SKIP_1) | instid1(VALU_DEP_2)
	v_fma_f64 v[2:3], v[16:17], v[200:201], -v[2:3]
	v_mul_f64_e32 v[16:17], v[16:17], v[202:203]
	v_add_f64_e64 v[12:13], v[12:13], -v[2:3]
	s_delay_alu instid0(VALU_DEP_2) | instskip(NEXT) | instid1(VALU_DEP_1)
	v_fmac_f64_e32 v[16:17], v[18:19], v[200:201]
	v_add_f64_e64 v[14:15], v[14:15], -v[16:17]
.LBB90_240:                             ;   in Loop: Header=BB90_3 Depth=1
	s_or_b32 exec_lo, exec_lo, s35
	s_barrier_signal -1
	s_barrier_wait -1
	s_and_saveexec_b32 s35, s101
	s_cbranch_execz .LBB90_242
; %bb.241:                              ;   in Loop: Header=BB90_3 Depth=1
	ds_load_b128 v[16:19], v1 offset:4752
	s_wait_dscnt 0x0
	v_mul_f64_e32 v[2:3], v[14:15], v[18:19]
	v_mul_f64_e32 v[18:19], v[12:13], v[18:19]
	s_delay_alu instid0(VALU_DEP_1) | instskip(NEXT) | instid1(VALU_DEP_1)
	v_fmac_f64_e32 v[18:19], v[14:15], v[16:17]
	v_dual_fma_f64 v[2:3], v[12:13], v[16:17], -v[2:3] :: v_dual_mov_b32 v14, v18
	s_delay_alu instid0(VALU_DEP_1) | instskip(NEXT) | instid1(VALU_DEP_3)
	v_xor_b32_e32 v13, 0x80000000, v3
	v_xor_b32_e32 v15, 0x80000000, v19
	s_delay_alu instid0(VALU_DEP_3)
	v_mov_b32_e32 v12, v2
	ds_store_b128 v65, v[12:15]
	v_mov_b64_e32 v[12:13], v[2:3]
	v_mov_b64_e32 v[14:15], v[18:19]
.LBB90_242:                             ;   in Loop: Header=BB90_3 Depth=1
	s_or_b32 exec_lo, exec_lo, s35
	s_wait_dscnt 0x0
	s_barrier_signal -1
	s_barrier_wait -1
	s_and_saveexec_b32 s35, s102
	;; [unrolled: 41-line block ×3, first 2 shown]
	s_cbranch_execz .LBB90_248
; %bb.247:                              ;   in Loop: Header=BB90_3 Depth=1
	ds_load_b128 v[16:19], v65
	ds_load_b128 v[200:203], v66 offset:4096
	s_wait_dscnt 0x0
	v_mul_f64_e32 v[2:3], v[18:19], v[202:203]
	s_delay_alu instid0(VALU_DEP_1) | instskip(SKIP_1) | instid1(VALU_DEP_2)
	v_fma_f64 v[2:3], v[16:17], v[200:201], -v[2:3]
	v_mul_f64_e32 v[16:17], v[16:17], v[202:203]
	v_add_f64_e64 v[12:13], v[12:13], -v[2:3]
	s_delay_alu instid0(VALU_DEP_2) | instskip(NEXT) | instid1(VALU_DEP_1)
	v_fmac_f64_e32 v[16:17], v[18:19], v[200:201]
	v_add_f64_e64 v[14:15], v[14:15], -v[16:17]
.LBB90_248:                             ;   in Loop: Header=BB90_3 Depth=1
	s_or_b32 exec_lo, exec_lo, s35
	s_barrier_signal -1
	s_barrier_wait -1
	s_and_saveexec_b32 s35, vcc_hi
	s_cbranch_execz .LBB90_250
; %bb.249:                              ;   in Loop: Header=BB90_3 Depth=1
	ds_load_b128 v[16:19], v1 offset:3696
	s_wait_dscnt 0x0
	v_mul_f64_e32 v[2:3], v[14:15], v[18:19]
	v_mul_f64_e32 v[18:19], v[12:13], v[18:19]
	s_delay_alu instid0(VALU_DEP_1) | instskip(NEXT) | instid1(VALU_DEP_1)
	v_fmac_f64_e32 v[18:19], v[14:15], v[16:17]
	v_dual_fma_f64 v[2:3], v[12:13], v[16:17], -v[2:3] :: v_dual_mov_b32 v14, v18
	s_delay_alu instid0(VALU_DEP_1) | instskip(NEXT) | instid1(VALU_DEP_3)
	v_xor_b32_e32 v13, 0x80000000, v3
	v_xor_b32_e32 v15, 0x80000000, v19
	s_delay_alu instid0(VALU_DEP_3)
	v_mov_b32_e32 v12, v2
	ds_store_b128 v65, v[12:15]
	v_mov_b64_e32 v[12:13], v[2:3]
	v_mov_b64_e32 v[14:15], v[18:19]
.LBB90_250:                             ;   in Loop: Header=BB90_3 Depth=1
	s_or_b32 exec_lo, exec_lo, s35
	s_wait_dscnt 0x0
	s_barrier_signal -1
	s_barrier_wait -1
	s_and_saveexec_b32 s35, s18
	s_cbranch_execz .LBB90_252
; %bb.251:                              ;   in Loop: Header=BB90_3 Depth=1
	ds_load_b128 v[16:19], v65
	ds_load_b128 v[200:203], v66 offset:3584
	s_wait_dscnt 0x0
	v_mul_f64_e32 v[2:3], v[18:19], v[202:203]
	s_delay_alu instid0(VALU_DEP_1) | instskip(SKIP_1) | instid1(VALU_DEP_2)
	v_fma_f64 v[2:3], v[16:17], v[200:201], -v[2:3]
	v_mul_f64_e32 v[16:17], v[16:17], v[202:203]
	v_add_f64_e64 v[12:13], v[12:13], -v[2:3]
	s_delay_alu instid0(VALU_DEP_2) | instskip(NEXT) | instid1(VALU_DEP_1)
	v_fmac_f64_e32 v[16:17], v[18:19], v[200:201]
	v_add_f64_e64 v[14:15], v[14:15], -v[16:17]
.LBB90_252:                             ;   in Loop: Header=BB90_3 Depth=1
	s_or_b32 exec_lo, exec_lo, s35
	s_barrier_signal -1
	s_barrier_wait -1
	s_and_saveexec_b32 s35, s19
	s_cbranch_execz .LBB90_254
; %bb.253:                              ;   in Loop: Header=BB90_3 Depth=1
	ds_load_b128 v[16:19], v1 offset:3168
	s_wait_dscnt 0x0
	v_mul_f64_e32 v[2:3], v[14:15], v[18:19]
	v_mul_f64_e32 v[18:19], v[12:13], v[18:19]
	s_delay_alu instid0(VALU_DEP_1) | instskip(NEXT) | instid1(VALU_DEP_1)
	v_fmac_f64_e32 v[18:19], v[14:15], v[16:17]
	v_dual_fma_f64 v[2:3], v[12:13], v[16:17], -v[2:3] :: v_dual_mov_b32 v14, v18
	s_delay_alu instid0(VALU_DEP_1) | instskip(NEXT) | instid1(VALU_DEP_3)
	v_xor_b32_e32 v13, 0x80000000, v3
	v_xor_b32_e32 v15, 0x80000000, v19
	s_delay_alu instid0(VALU_DEP_3)
	v_mov_b32_e32 v12, v2
	ds_store_b128 v65, v[12:15]
	v_mov_b64_e32 v[12:13], v[2:3]
	v_mov_b64_e32 v[14:15], v[18:19]
.LBB90_254:                             ;   in Loop: Header=BB90_3 Depth=1
	s_or_b32 exec_lo, exec_lo, s35
	s_wait_dscnt 0x0
	s_barrier_signal -1
	s_barrier_wait -1
	s_and_saveexec_b32 s35, s20
	s_cbranch_execz .LBB90_256
; %bb.255:                              ;   in Loop: Header=BB90_3 Depth=1
	ds_load_b128 v[16:19], v65
	ds_load_b128 v[200:203], v66 offset:3072
	s_wait_dscnt 0x0
	v_mul_f64_e32 v[2:3], v[18:19], v[202:203]
	s_delay_alu instid0(VALU_DEP_1) | instskip(SKIP_1) | instid1(VALU_DEP_2)
	v_fma_f64 v[2:3], v[16:17], v[200:201], -v[2:3]
	v_mul_f64_e32 v[16:17], v[16:17], v[202:203]
	v_add_f64_e64 v[12:13], v[12:13], -v[2:3]
	s_delay_alu instid0(VALU_DEP_2) | instskip(NEXT) | instid1(VALU_DEP_1)
	v_fmac_f64_e32 v[16:17], v[18:19], v[200:201]
	v_add_f64_e64 v[14:15], v[14:15], -v[16:17]
.LBB90_256:                             ;   in Loop: Header=BB90_3 Depth=1
	s_or_b32 exec_lo, exec_lo, s35
	s_barrier_signal -1
	s_barrier_wait -1
	s_and_saveexec_b32 s35, s21
	;; [unrolled: 41-line block ×7, first 2 shown]
	s_cbranch_execz .LBB90_278
; %bb.277:                              ;   in Loop: Header=BB90_3 Depth=1
	ds_load_b128 v[16:19], v1
	s_wait_dscnt 0x0
	v_mul_f64_e32 v[2:3], v[14:15], v[18:19]
	v_mul_f64_e32 v[18:19], v[12:13], v[18:19]
	s_delay_alu instid0(VALU_DEP_1) | instskip(NEXT) | instid1(VALU_DEP_1)
	v_fmac_f64_e32 v[18:19], v[14:15], v[16:17]
	v_dual_fma_f64 v[2:3], v[12:13], v[16:17], -v[2:3] :: v_dual_mov_b32 v14, v18
	s_delay_alu instid0(VALU_DEP_1) | instskip(NEXT) | instid1(VALU_DEP_3)
	v_xor_b32_e32 v13, 0x80000000, v3
	v_xor_b32_e32 v15, 0x80000000, v19
	s_delay_alu instid0(VALU_DEP_3)
	v_mov_b32_e32 v12, v2
	ds_store_b128 v65, v[12:15]
	v_mov_b64_e32 v[12:13], v[2:3]
	v_mov_b64_e32 v[14:15], v[18:19]
.LBB90_278:                             ;   in Loop: Header=BB90_3 Depth=1
	s_or_b32 exec_lo, exec_lo, s35
	s_wait_dscnt 0x0
	s_barrier_signal -1
	s_barrier_wait -1
	s_barrier_signal -1
	s_barrier_wait -1
	s_and_saveexec_b32 s35, s6
; %bb.279:                              ;   in Loop: Header=BB90_3 Depth=1
	ds_store_b128 v23, v[12:15] offset:15872
; %bb.280:                              ;   in Loop: Header=BB90_3 Depth=1
	s_or_b32 exec_lo, exec_lo, s35
	s_wait_dscnt 0x0
	s_barrier_signal -1
	s_barrier_wait -1
	s_barrier_signal -1
	s_barrier_wait -1
	s_and_saveexec_b32 s35, s9
	s_cbranch_execz .LBB90_282
; %bb.281:                              ;   in Loop: Header=BB90_3 Depth=1
	ds_load_b128 v[12:15], v68
	s_wait_dscnt 0x0
	ds_store_b128 v155, v[12:15]
	ds_load_b128 v[12:15], v69
	s_wait_dscnt 0x0
	ds_store_b128 v156, v[12:15]
	;; [unrolled: 3-line block ×16, first 2 shown]
.LBB90_282:                             ;   in Loop: Header=BB90_3 Depth=1
	s_or_b32 exec_lo, exec_lo, s35
	s_wait_dscnt 0x0
	s_barrier_signal -1
	s_barrier_wait -1
	s_and_saveexec_b32 s35, s29
	s_cbranch_execz .LBB90_284
; %bb.283:                              ;   in Loop: Header=BB90_3 Depth=1
	ds_load_b128 v[12:15], v1 offset:7920
	ds_load_b128 v[16:19], v1 offset:7392
	s_wait_dscnt 0x0
	v_mul_f64_e32 v[2:3], v[14:15], v[18:19]
	v_mul_f64_e32 v[200:201], v[12:13], v[18:19]
	s_delay_alu instid0(VALU_DEP_2) | instskip(NEXT) | instid1(VALU_DEP_2)
	v_fma_f64 v[2:3], v[12:13], v[16:17], -v[2:3]
	v_fmac_f64_e32 v[200:201], v[14:15], v[16:17]
	ds_load_b128 v[12:15], v1 offset:7904
	s_wait_dscnt 0x0
	v_mul_f64_e32 v[18:19], v[2:3], v[14:15]
	v_mul_f64_e32 v[16:17], v[200:201], v[14:15]
	s_delay_alu instid0(VALU_DEP_2) | instskip(NEXT) | instid1(VALU_DEP_2)
	v_fmac_f64_e32 v[18:19], v[12:13], v[200:201]
	v_fma_f64 v[16:17], v[12:13], v[2:3], -v[16:17]
	ds_store_b128 v1, v[16:19] offset:7904
	ds_store_b128 v1, v[16:19] offset:7408
.LBB90_284:                             ;   in Loop: Header=BB90_3 Depth=1
	s_or_b32 exec_lo, exec_lo, s35
	v_mov_b64_e32 v[12:13], 0
	v_mov_b64_e32 v[14:15], 0
	s_wait_dscnt 0x0
	s_barrier_signal -1
	s_barrier_wait -1
	global_wb scope:SCOPE_DEV
	s_wait_storecnt 0x0
	global_inv scope:SCOPE_DEV
	s_and_saveexec_b32 s35, s2
	s_cbranch_execz .LBB90_288
; %bb.285:                              ;   in Loop: Header=BB90_3 Depth=1
	ds_load_b128 v[12:15], v43 offset:7904
	ds_load_b128 v[16:19], v42 offset:7360
	s_wait_dscnt 0x0
	v_mul_f64_e32 v[2:3], v[14:15], v[18:19]
	v_mul_f64_e32 v[18:19], v[12:13], v[18:19]
	s_delay_alu instid0(VALU_DEP_2) | instskip(NEXT) | instid1(VALU_DEP_2)
	v_fma_f64 v[2:3], v[12:13], v[16:17], -v[2:3]
	v_fmac_f64_e32 v[18:19], v[14:15], v[16:17]
	s_delay_alu instid0(VALU_DEP_2) | instskip(NEXT) | instid1(VALU_DEP_2)
	v_add_f64_e32 v[12:13], 0, v[2:3]
	v_add_f64_e32 v[14:15], 0, v[18:19]
	s_and_saveexec_b32 s40, s10
	s_cbranch_execz .LBB90_287
; %bb.286:                              ;   in Loop: Header=BB90_3 Depth=1
	ds_load_b128 v[16:19], v1 offset:7920
	ds_load_b128 v[200:203], v44 offset:7872
	s_wait_dscnt 0x0
	v_mul_f64_e32 v[2:3], v[18:19], v[202:203]
	s_delay_alu instid0(VALU_DEP_1) | instskip(SKIP_1) | instid1(VALU_DEP_2)
	v_fma_f64 v[2:3], v[16:17], v[200:201], -v[2:3]
	v_mul_f64_e32 v[16:17], v[16:17], v[202:203]
	v_add_f64_e32 v[12:13], v[12:13], v[2:3]
	s_delay_alu instid0(VALU_DEP_2) | instskip(NEXT) | instid1(VALU_DEP_1)
	v_fmac_f64_e32 v[16:17], v[18:19], v[200:201]
	v_add_f64_e32 v[14:15], v[14:15], v[16:17]
.LBB90_287:                             ;   in Loop: Header=BB90_3 Depth=1
	s_or_b32 exec_lo, exec_lo, s40
.LBB90_288:                             ;   in Loop: Header=BB90_3 Depth=1
	s_delay_alu instid0(SALU_CYCLE_1)
	s_or_b32 exec_lo, exec_lo, s35
	s_and_saveexec_b32 s35, s64
	s_cbranch_execz .LBB90_290
; %bb.289:                              ;   in Loop: Header=BB90_3 Depth=1
	ds_load_b128 v[16:19], v1 offset:6864
	s_wait_dscnt 0x0
	v_mul_f64_e32 v[2:3], v[14:15], v[18:19]
	v_mul_f64_e32 v[18:19], v[12:13], v[18:19]
	s_delay_alu instid0(VALU_DEP_1) | instskip(NEXT) | instid1(VALU_DEP_1)
	v_fmac_f64_e32 v[18:19], v[14:15], v[16:17]
	v_dual_fma_f64 v[2:3], v[12:13], v[16:17], -v[2:3] :: v_dual_mov_b32 v14, v18
	s_delay_alu instid0(VALU_DEP_1) | instskip(NEXT) | instid1(VALU_DEP_3)
	v_xor_b32_e32 v13, 0x80000000, v3
	v_xor_b32_e32 v15, 0x80000000, v19
	s_delay_alu instid0(VALU_DEP_3)
	v_mov_b32_e32 v12, v2
	ds_store_b128 v21, v[12:15]
	v_mov_b64_e32 v[12:13], v[2:3]
	v_mov_b64_e32 v[14:15], v[18:19]
.LBB90_290:                             ;   in Loop: Header=BB90_3 Depth=1
	s_or_b32 exec_lo, exec_lo, s35
	s_wait_loadcnt_dscnt 0x0
	s_barrier_signal -1
	s_barrier_wait -1
	s_and_saveexec_b32 s35, s65
	s_cbranch_execz .LBB90_292
; %bb.291:                              ;   in Loop: Header=BB90_3 Depth=1
	ds_load_b128 v[16:19], v21
	ds_load_b128 v[200:203], v1 offset:6848
	s_wait_dscnt 0x0
	v_mul_f64_e32 v[2:3], v[18:19], v[202:203]
	s_delay_alu instid0(VALU_DEP_1) | instskip(SKIP_1) | instid1(VALU_DEP_2)
	v_fma_f64 v[2:3], v[16:17], v[200:201], -v[2:3]
	v_mul_f64_e32 v[16:17], v[16:17], v[202:203]
	v_add_f64_e64 v[12:13], v[12:13], -v[2:3]
	s_delay_alu instid0(VALU_DEP_2) | instskip(NEXT) | instid1(VALU_DEP_1)
	v_fmac_f64_e32 v[16:17], v[18:19], v[200:201]
	v_add_f64_e64 v[14:15], v[14:15], -v[16:17]
.LBB90_292:                             ;   in Loop: Header=BB90_3 Depth=1
	s_or_b32 exec_lo, exec_lo, s35
	s_barrier_signal -1
	s_barrier_wait -1
	s_and_saveexec_b32 s35, s65
	s_cbranch_execz .LBB90_294
; %bb.293:                              ;   in Loop: Header=BB90_3 Depth=1
	ds_load_b128 v[16:19], v1 offset:6336
	s_wait_dscnt 0x0
	v_mul_f64_e32 v[2:3], v[14:15], v[18:19]
	v_mul_f64_e32 v[18:19], v[12:13], v[18:19]
	s_delay_alu instid0(VALU_DEP_1) | instskip(NEXT) | instid1(VALU_DEP_1)
	v_fmac_f64_e32 v[18:19], v[14:15], v[16:17]
	v_dual_fma_f64 v[2:3], v[12:13], v[16:17], -v[2:3] :: v_dual_mov_b32 v14, v18
	s_delay_alu instid0(VALU_DEP_1) | instskip(NEXT) | instid1(VALU_DEP_3)
	v_xor_b32_e32 v13, 0x80000000, v3
	v_xor_b32_e32 v15, 0x80000000, v19
	s_delay_alu instid0(VALU_DEP_3)
	v_mov_b32_e32 v12, v2
	ds_store_b128 v21, v[12:15]
	v_mov_b64_e32 v[12:13], v[2:3]
	v_mov_b64_e32 v[14:15], v[18:19]
.LBB90_294:                             ;   in Loop: Header=BB90_3 Depth=1
	s_or_b32 exec_lo, exec_lo, s35
	s_wait_dscnt 0x0
	s_barrier_signal -1
	s_barrier_wait -1
	s_barrier_signal -1
	s_barrier_wait -1
	s_and_saveexec_b32 s35, s2
; %bb.295:                              ;   in Loop: Header=BB90_3 Depth=1
	ds_store_b128 v45, v[12:15] offset:7872
; %bb.296:                              ;   in Loop: Header=BB90_3 Depth=1
	s_or_b32 exec_lo, exec_lo, s35
	s_wait_dscnt 0x0
	s_barrier_signal -1
	s_barrier_wait -1
	s_barrier_signal -1
	s_barrier_wait -1
	s_and_saveexec_b32 s35, s66
	s_cbranch_execz .LBB90_298
; %bb.297:                              ;   in Loop: Header=BB90_3 Depth=1
	ds_load_b128 v[12:15], v84
	s_wait_dscnt 0x0
	ds_store_b128 v171, v[12:15]
	ds_load_b128 v[12:15], v85
	s_wait_dscnt 0x0
	ds_store_b128 v172, v[12:15]
.LBB90_298:                             ;   in Loop: Header=BB90_3 Depth=1
	s_or_b32 exec_lo, exec_lo, s35
	s_wait_dscnt 0x0
	s_barrier_signal -1
	s_barrier_wait -1
	s_and_saveexec_b32 s35, s29
	s_cbranch_execz .LBB90_300
; %bb.299:                              ;   in Loop: Header=BB90_3 Depth=1
	ds_load_b128 v[12:15], v1 offset:6864
	ds_load_b128 v[16:19], v1 offset:6336
	s_wait_dscnt 0x0
	v_mul_f64_e32 v[2:3], v[14:15], v[18:19]
	v_mul_f64_e32 v[200:201], v[12:13], v[18:19]
	s_delay_alu instid0(VALU_DEP_2) | instskip(NEXT) | instid1(VALU_DEP_2)
	v_fma_f64 v[2:3], v[12:13], v[16:17], -v[2:3]
	v_fmac_f64_e32 v[200:201], v[14:15], v[16:17]
	ds_load_b128 v[12:15], v1 offset:6848
	s_wait_dscnt 0x0
	v_mul_f64_e32 v[18:19], v[2:3], v[14:15]
	v_mul_f64_e32 v[16:17], v[200:201], v[14:15]
	s_delay_alu instid0(VALU_DEP_2) | instskip(NEXT) | instid1(VALU_DEP_2)
	v_fmac_f64_e32 v[18:19], v[12:13], v[200:201]
	v_fma_f64 v[16:17], v[12:13], v[2:3], -v[16:17]
	ds_store_b128 v1, v[16:19] offset:6848
	ds_store_b128 v1, v[16:19] offset:6352
.LBB90_300:                             ;   in Loop: Header=BB90_3 Depth=1
	s_or_b32 exec_lo, exec_lo, s35
	v_mov_b64_e32 v[14:15], 0
	v_mov_b64_e32 v[12:13], 0
	s_wait_dscnt 0x0
	s_barrier_signal -1
	s_barrier_wait -1
	global_wb scope:SCOPE_DEV
	s_wait_storecnt 0x0
	global_inv scope:SCOPE_DEV
	s_and_saveexec_b32 s35, s4
	s_cbranch_execz .LBB90_306
; %bb.301:                              ;   in Loop: Header=BB90_3 Depth=1
	ds_load_b128 v[12:15], v51 offset:7872
	ds_load_b128 v[16:19], v50 offset:6272
	s_wait_dscnt 0x0
	v_mul_f64_e32 v[2:3], v[14:15], v[18:19]
	v_mul_f64_e32 v[18:19], v[12:13], v[18:19]
	s_delay_alu instid0(VALU_DEP_2) | instskip(NEXT) | instid1(VALU_DEP_2)
	v_fma_f64 v[2:3], v[12:13], v[16:17], -v[2:3]
	v_fmac_f64_e32 v[18:19], v[14:15], v[16:17]
	s_delay_alu instid0(VALU_DEP_2) | instskip(NEXT) | instid1(VALU_DEP_2)
	v_add_f64_e32 v[12:13], 0, v[2:3]
	v_add_f64_e32 v[14:15], 0, v[18:19]
	s_and_saveexec_b32 s40, s11
	s_cbranch_execnz .LBB90_564
; %bb.302:                              ;   in Loop: Header=BB90_3 Depth=1
	s_or_b32 exec_lo, exec_lo, s40
	s_and_saveexec_b32 s40, s12
	s_cbranch_execnz .LBB90_565
.LBB90_303:                             ;   in Loop: Header=BB90_3 Depth=1
	s_or_b32 exec_lo, exec_lo, s40
	s_and_saveexec_b32 s40, s2
	s_cbranch_execz .LBB90_305
.LBB90_304:                             ;   in Loop: Header=BB90_3 Depth=1
	ds_load_b128 v[16:19], v1 offset:7920
	ds_load_b128 v[200:203], v48 offset:7808
	s_wait_dscnt 0x0
	v_mul_f64_e32 v[2:3], v[18:19], v[202:203]
	s_delay_alu instid0(VALU_DEP_1) | instskip(SKIP_1) | instid1(VALU_DEP_2)
	v_fma_f64 v[2:3], v[16:17], v[200:201], -v[2:3]
	v_mul_f64_e32 v[16:17], v[16:17], v[202:203]
	v_add_f64_e32 v[12:13], v[12:13], v[2:3]
	s_delay_alu instid0(VALU_DEP_2) | instskip(NEXT) | instid1(VALU_DEP_1)
	v_fmac_f64_e32 v[16:17], v[18:19], v[200:201]
	v_add_f64_e32 v[14:15], v[14:15], v[16:17]
.LBB90_305:                             ;   in Loop: Header=BB90_3 Depth=1
	s_or_b32 exec_lo, exec_lo, s40
.LBB90_306:                             ;   in Loop: Header=BB90_3 Depth=1
	s_delay_alu instid0(SALU_CYCLE_1)
	s_or_b32 exec_lo, exec_lo, s35
	s_and_saveexec_b32 s35, s67
	s_cbranch_execz .LBB90_308
; %bb.307:                              ;   in Loop: Header=BB90_3 Depth=1
	ds_load_b128 v[16:19], v1 offset:5808
	s_wait_dscnt 0x0
	v_mul_f64_e32 v[2:3], v[14:15], v[18:19]
	v_mul_f64_e32 v[18:19], v[12:13], v[18:19]
	s_delay_alu instid0(VALU_DEP_1) | instskip(NEXT) | instid1(VALU_DEP_1)
	v_fmac_f64_e32 v[18:19], v[14:15], v[16:17]
	v_dual_fma_f64 v[2:3], v[12:13], v[16:17], -v[2:3] :: v_dual_mov_b32 v14, v18
	s_delay_alu instid0(VALU_DEP_1) | instskip(NEXT) | instid1(VALU_DEP_3)
	v_xor_b32_e32 v13, 0x80000000, v3
	v_xor_b32_e32 v15, 0x80000000, v19
	s_delay_alu instid0(VALU_DEP_3)
	v_mov_b32_e32 v12, v2
	ds_store_b128 v49, v[12:15]
	v_mov_b64_e32 v[12:13], v[2:3]
	v_mov_b64_e32 v[14:15], v[18:19]
.LBB90_308:                             ;   in Loop: Header=BB90_3 Depth=1
	s_or_b32 exec_lo, exec_lo, s35
	s_wait_loadcnt_dscnt 0x0
	s_barrier_signal -1
	s_barrier_wait -1
	s_and_saveexec_b32 s35, s68
	s_cbranch_execz .LBB90_310
; %bb.309:                              ;   in Loop: Header=BB90_3 Depth=1
	ds_load_b128 v[16:19], v49
	ds_load_b128 v[200:203], v50 offset:5760
	s_wait_dscnt 0x0
	v_mul_f64_e32 v[2:3], v[18:19], v[202:203]
	s_delay_alu instid0(VALU_DEP_1) | instskip(SKIP_1) | instid1(VALU_DEP_2)
	v_fma_f64 v[2:3], v[16:17], v[200:201], -v[2:3]
	v_mul_f64_e32 v[16:17], v[16:17], v[202:203]
	v_add_f64_e64 v[12:13], v[12:13], -v[2:3]
	s_delay_alu instid0(VALU_DEP_2) | instskip(NEXT) | instid1(VALU_DEP_1)
	v_fmac_f64_e32 v[16:17], v[18:19], v[200:201]
	v_add_f64_e64 v[14:15], v[14:15], -v[16:17]
.LBB90_310:                             ;   in Loop: Header=BB90_3 Depth=1
	s_or_b32 exec_lo, exec_lo, s35
	s_barrier_signal -1
	s_barrier_wait -1
	s_and_saveexec_b32 s35, s69
	s_cbranch_execz .LBB90_312
; %bb.311:                              ;   in Loop: Header=BB90_3 Depth=1
	ds_load_b128 v[16:19], v1 offset:5280
	s_wait_dscnt 0x0
	v_mul_f64_e32 v[2:3], v[14:15], v[18:19]
	v_mul_f64_e32 v[18:19], v[12:13], v[18:19]
	s_delay_alu instid0(VALU_DEP_1) | instskip(NEXT) | instid1(VALU_DEP_1)
	v_fmac_f64_e32 v[18:19], v[14:15], v[16:17]
	v_dual_fma_f64 v[2:3], v[12:13], v[16:17], -v[2:3] :: v_dual_mov_b32 v14, v18
	s_delay_alu instid0(VALU_DEP_1) | instskip(NEXT) | instid1(VALU_DEP_3)
	v_xor_b32_e32 v13, 0x80000000, v3
	v_xor_b32_e32 v15, 0x80000000, v19
	s_delay_alu instid0(VALU_DEP_3)
	v_mov_b32_e32 v12, v2
	ds_store_b128 v49, v[12:15]
	v_mov_b64_e32 v[12:13], v[2:3]
	v_mov_b64_e32 v[14:15], v[18:19]
.LBB90_312:                             ;   in Loop: Header=BB90_3 Depth=1
	s_or_b32 exec_lo, exec_lo, s35
	s_wait_dscnt 0x0
	s_barrier_signal -1
	s_barrier_wait -1
	s_and_saveexec_b32 s35, s70
	s_cbranch_execz .LBB90_314
; %bb.313:                              ;   in Loop: Header=BB90_3 Depth=1
	ds_load_b128 v[16:19], v49
	ds_load_b128 v[200:203], v50 offset:5248
	s_wait_dscnt 0x0
	v_mul_f64_e32 v[2:3], v[18:19], v[202:203]
	s_delay_alu instid0(VALU_DEP_1) | instskip(SKIP_1) | instid1(VALU_DEP_2)
	v_fma_f64 v[2:3], v[16:17], v[200:201], -v[2:3]
	v_mul_f64_e32 v[16:17], v[16:17], v[202:203]
	v_add_f64_e64 v[12:13], v[12:13], -v[2:3]
	s_delay_alu instid0(VALU_DEP_2) | instskip(NEXT) | instid1(VALU_DEP_1)
	v_fmac_f64_e32 v[16:17], v[18:19], v[200:201]
	v_add_f64_e64 v[14:15], v[14:15], -v[16:17]
.LBB90_314:                             ;   in Loop: Header=BB90_3 Depth=1
	s_or_b32 exec_lo, exec_lo, s35
	s_barrier_signal -1
	s_barrier_wait -1
	s_and_saveexec_b32 s35, s71
	s_cbranch_execz .LBB90_316
; %bb.315:                              ;   in Loop: Header=BB90_3 Depth=1
	ds_load_b128 v[16:19], v1 offset:4752
	s_wait_dscnt 0x0
	v_mul_f64_e32 v[2:3], v[14:15], v[18:19]
	v_mul_f64_e32 v[18:19], v[12:13], v[18:19]
	s_delay_alu instid0(VALU_DEP_1) | instskip(NEXT) | instid1(VALU_DEP_1)
	v_fmac_f64_e32 v[18:19], v[14:15], v[16:17]
	v_dual_fma_f64 v[2:3], v[12:13], v[16:17], -v[2:3] :: v_dual_mov_b32 v14, v18
	s_delay_alu instid0(VALU_DEP_1) | instskip(NEXT) | instid1(VALU_DEP_3)
	v_xor_b32_e32 v13, 0x80000000, v3
	v_xor_b32_e32 v15, 0x80000000, v19
	s_delay_alu instid0(VALU_DEP_3)
	v_mov_b32_e32 v12, v2
	ds_store_b128 v49, v[12:15]
	v_mov_b64_e32 v[12:13], v[2:3]
	v_mov_b64_e32 v[14:15], v[18:19]
.LBB90_316:                             ;   in Loop: Header=BB90_3 Depth=1
	s_or_b32 exec_lo, exec_lo, s35
	s_wait_dscnt 0x0
	s_barrier_signal -1
	s_barrier_wait -1
	s_and_saveexec_b32 s35, s72
	s_cbranch_execz .LBB90_318
; %bb.317:                              ;   in Loop: Header=BB90_3 Depth=1
	ds_load_b128 v[16:19], v49
	ds_load_b128 v[200:203], v1 offset:4736
	s_wait_dscnt 0x0
	v_mul_f64_e32 v[2:3], v[18:19], v[202:203]
	s_delay_alu instid0(VALU_DEP_1) | instskip(SKIP_1) | instid1(VALU_DEP_2)
	v_fma_f64 v[2:3], v[16:17], v[200:201], -v[2:3]
	v_mul_f64_e32 v[16:17], v[16:17], v[202:203]
	v_add_f64_e64 v[12:13], v[12:13], -v[2:3]
	s_delay_alu instid0(VALU_DEP_2) | instskip(NEXT) | instid1(VALU_DEP_1)
	v_fmac_f64_e32 v[16:17], v[18:19], v[200:201]
	v_add_f64_e64 v[14:15], v[14:15], -v[16:17]
.LBB90_318:                             ;   in Loop: Header=BB90_3 Depth=1
	s_or_b32 exec_lo, exec_lo, s35
	s_barrier_signal -1
	s_barrier_wait -1
	s_and_saveexec_b32 s35, s72
	s_cbranch_execz .LBB90_320
; %bb.319:                              ;   in Loop: Header=BB90_3 Depth=1
	ds_load_b128 v[16:19], v1 offset:4224
	s_wait_dscnt 0x0
	v_mul_f64_e32 v[2:3], v[14:15], v[18:19]
	v_mul_f64_e32 v[18:19], v[12:13], v[18:19]
	s_delay_alu instid0(VALU_DEP_1) | instskip(NEXT) | instid1(VALU_DEP_1)
	v_fmac_f64_e32 v[18:19], v[14:15], v[16:17]
	v_dual_fma_f64 v[2:3], v[12:13], v[16:17], -v[2:3] :: v_dual_mov_b32 v14, v18
	s_delay_alu instid0(VALU_DEP_1) | instskip(NEXT) | instid1(VALU_DEP_3)
	v_xor_b32_e32 v13, 0x80000000, v3
	v_xor_b32_e32 v15, 0x80000000, v19
	s_delay_alu instid0(VALU_DEP_3)
	v_mov_b32_e32 v12, v2
	ds_store_b128 v49, v[12:15]
	v_mov_b64_e32 v[12:13], v[2:3]
	v_mov_b64_e32 v[14:15], v[18:19]
.LBB90_320:                             ;   in Loop: Header=BB90_3 Depth=1
	s_or_b32 exec_lo, exec_lo, s35
	s_wait_dscnt 0x0
	s_barrier_signal -1
	s_barrier_wait -1
	s_barrier_signal -1
	s_barrier_wait -1
	s_and_saveexec_b32 s35, s4
; %bb.321:                              ;   in Loop: Header=BB90_3 Depth=1
	ds_store_b128 v52, v[12:15] offset:7808
; %bb.322:                              ;   in Loop: Header=BB90_3 Depth=1
	s_or_b32 exec_lo, exec_lo, s35
	s_wait_dscnt 0x0
	s_barrier_signal -1
	s_barrier_wait -1
	s_barrier_signal -1
	s_barrier_wait -1
	s_and_saveexec_b32 s35, s73
	s_cbranch_execz .LBB90_324
; %bb.323:                              ;   in Loop: Header=BB90_3 Depth=1
	ds_load_b128 v[12:15], v101
	s_wait_dscnt 0x0
	ds_store_b128 v173, v[12:15]
	ds_load_b128 v[12:15], v104
	s_wait_dscnt 0x0
	ds_store_b128 v176, v[12:15]
	;; [unrolled: 3-line block ×4, first 2 shown]
.LBB90_324:                             ;   in Loop: Header=BB90_3 Depth=1
	s_or_b32 exec_lo, exec_lo, s35
	s_wait_dscnt 0x0
	s_barrier_signal -1
	s_barrier_wait -1
	s_and_saveexec_b32 s35, s29
	s_cbranch_execz .LBB90_326
; %bb.325:                              ;   in Loop: Header=BB90_3 Depth=1
	ds_load_b128 v[12:15], v1 offset:5808
	ds_load_b128 v[16:19], v1 offset:5280
	s_wait_dscnt 0x0
	v_mul_f64_e32 v[2:3], v[14:15], v[18:19]
	v_mul_f64_e32 v[200:201], v[12:13], v[18:19]
	s_delay_alu instid0(VALU_DEP_2) | instskip(NEXT) | instid1(VALU_DEP_2)
	v_fma_f64 v[2:3], v[12:13], v[16:17], -v[2:3]
	v_fmac_f64_e32 v[200:201], v[14:15], v[16:17]
	ds_load_b128 v[12:15], v1 offset:5792
	s_wait_dscnt 0x0
	v_mul_f64_e32 v[18:19], v[2:3], v[14:15]
	v_mul_f64_e32 v[16:17], v[200:201], v[14:15]
	s_delay_alu instid0(VALU_DEP_2) | instskip(NEXT) | instid1(VALU_DEP_2)
	v_fmac_f64_e32 v[18:19], v[12:13], v[200:201]
	v_fma_f64 v[16:17], v[12:13], v[2:3], -v[16:17]
	ds_store_b128 v1, v[16:19] offset:5792
	ds_store_b128 v1, v[16:19] offset:5296
.LBB90_326:                             ;   in Loop: Header=BB90_3 Depth=1
	s_or_b32 exec_lo, exec_lo, s35
	v_mov_b64_e32 v[12:13], 0
	v_mov_b64_e32 v[14:15], 0
	s_wait_dscnt 0x0
	s_barrier_signal -1
	s_barrier_wait -1
	global_wb scope:SCOPE_DEV
	s_wait_storecnt 0x0
	global_inv scope:SCOPE_DEV
	s_and_saveexec_b32 s35, s2
	s_cbranch_execz .LBB90_330
; %bb.327:                              ;   in Loop: Header=BB90_3 Depth=1
	ds_load_b128 v[12:15], v43 offset:5792
	ds_load_b128 v[16:19], v42 offset:5248
	s_wait_dscnt 0x0
	v_mul_f64_e32 v[2:3], v[14:15], v[18:19]
	v_mul_f64_e32 v[18:19], v[12:13], v[18:19]
	s_delay_alu instid0(VALU_DEP_2) | instskip(NEXT) | instid1(VALU_DEP_2)
	v_fma_f64 v[2:3], v[12:13], v[16:17], -v[2:3]
	v_fmac_f64_e32 v[18:19], v[14:15], v[16:17]
	s_delay_alu instid0(VALU_DEP_2) | instskip(NEXT) | instid1(VALU_DEP_2)
	v_add_f64_e32 v[12:13], 0, v[2:3]
	v_add_f64_e32 v[14:15], 0, v[18:19]
	s_and_saveexec_b32 s40, s10
	s_cbranch_execz .LBB90_329
; %bb.328:                              ;   in Loop: Header=BB90_3 Depth=1
	ds_load_b128 v[16:19], v1 offset:5808
	ds_load_b128 v[200:203], v98 offset:5760
	s_wait_dscnt 0x0
	v_mul_f64_e32 v[2:3], v[18:19], v[202:203]
	s_delay_alu instid0(VALU_DEP_1) | instskip(SKIP_1) | instid1(VALU_DEP_2)
	v_fma_f64 v[2:3], v[16:17], v[200:201], -v[2:3]
	v_mul_f64_e32 v[16:17], v[16:17], v[202:203]
	v_add_f64_e32 v[12:13], v[12:13], v[2:3]
	s_delay_alu instid0(VALU_DEP_2) | instskip(NEXT) | instid1(VALU_DEP_1)
	v_fmac_f64_e32 v[16:17], v[18:19], v[200:201]
	v_add_f64_e32 v[14:15], v[14:15], v[16:17]
.LBB90_329:                             ;   in Loop: Header=BB90_3 Depth=1
	s_or_b32 exec_lo, exec_lo, s40
.LBB90_330:                             ;   in Loop: Header=BB90_3 Depth=1
	s_delay_alu instid0(SALU_CYCLE_1)
	s_or_b32 exec_lo, exec_lo, s35
	s_and_saveexec_b32 s35, s64
	s_cbranch_execz .LBB90_332
; %bb.331:                              ;   in Loop: Header=BB90_3 Depth=1
	ds_load_b128 v[16:19], v1 offset:4752
	s_wait_dscnt 0x0
	v_mul_f64_e32 v[2:3], v[14:15], v[18:19]
	v_mul_f64_e32 v[18:19], v[12:13], v[18:19]
	s_delay_alu instid0(VALU_DEP_1) | instskip(NEXT) | instid1(VALU_DEP_1)
	v_fmac_f64_e32 v[18:19], v[14:15], v[16:17]
	v_dual_fma_f64 v[2:3], v[12:13], v[16:17], -v[2:3] :: v_dual_mov_b32 v14, v18
	s_delay_alu instid0(VALU_DEP_1) | instskip(NEXT) | instid1(VALU_DEP_3)
	v_xor_b32_e32 v13, 0x80000000, v3
	v_xor_b32_e32 v15, 0x80000000, v19
	s_delay_alu instid0(VALU_DEP_3)
	v_mov_b32_e32 v12, v2
	ds_store_b128 v21, v[12:15]
	v_mov_b64_e32 v[12:13], v[2:3]
	v_mov_b64_e32 v[14:15], v[18:19]
.LBB90_332:                             ;   in Loop: Header=BB90_3 Depth=1
	s_or_b32 exec_lo, exec_lo, s35
	s_wait_loadcnt_dscnt 0x0
	s_barrier_signal -1
	s_barrier_wait -1
	s_and_saveexec_b32 s35, s65
	s_cbranch_execz .LBB90_334
; %bb.333:                              ;   in Loop: Header=BB90_3 Depth=1
	ds_load_b128 v[16:19], v21
	ds_load_b128 v[200:203], v1 offset:4736
	s_wait_dscnt 0x0
	v_mul_f64_e32 v[2:3], v[18:19], v[202:203]
	s_delay_alu instid0(VALU_DEP_1) | instskip(SKIP_1) | instid1(VALU_DEP_2)
	v_fma_f64 v[2:3], v[16:17], v[200:201], -v[2:3]
	v_mul_f64_e32 v[16:17], v[16:17], v[202:203]
	v_add_f64_e64 v[12:13], v[12:13], -v[2:3]
	s_delay_alu instid0(VALU_DEP_2) | instskip(NEXT) | instid1(VALU_DEP_1)
	v_fmac_f64_e32 v[16:17], v[18:19], v[200:201]
	v_add_f64_e64 v[14:15], v[14:15], -v[16:17]
.LBB90_334:                             ;   in Loop: Header=BB90_3 Depth=1
	s_or_b32 exec_lo, exec_lo, s35
	s_barrier_signal -1
	s_barrier_wait -1
	s_and_saveexec_b32 s35, s65
	s_cbranch_execz .LBB90_336
; %bb.335:                              ;   in Loop: Header=BB90_3 Depth=1
	ds_load_b128 v[16:19], v1 offset:4224
	s_wait_dscnt 0x0
	v_mul_f64_e32 v[2:3], v[14:15], v[18:19]
	v_mul_f64_e32 v[18:19], v[12:13], v[18:19]
	s_delay_alu instid0(VALU_DEP_1) | instskip(NEXT) | instid1(VALU_DEP_1)
	v_fmac_f64_e32 v[18:19], v[14:15], v[16:17]
	v_dual_fma_f64 v[2:3], v[12:13], v[16:17], -v[2:3] :: v_dual_mov_b32 v14, v18
	s_delay_alu instid0(VALU_DEP_1) | instskip(NEXT) | instid1(VALU_DEP_3)
	v_xor_b32_e32 v13, 0x80000000, v3
	v_xor_b32_e32 v15, 0x80000000, v19
	s_delay_alu instid0(VALU_DEP_3)
	v_mov_b32_e32 v12, v2
	ds_store_b128 v21, v[12:15]
	v_mov_b64_e32 v[12:13], v[2:3]
	v_mov_b64_e32 v[14:15], v[18:19]
.LBB90_336:                             ;   in Loop: Header=BB90_3 Depth=1
	s_or_b32 exec_lo, exec_lo, s35
	s_wait_dscnt 0x0
	s_barrier_signal -1
	s_barrier_wait -1
	s_barrier_signal -1
	s_barrier_wait -1
	s_and_saveexec_b32 s35, s2
; %bb.337:                              ;   in Loop: Header=BB90_3 Depth=1
	ds_store_b128 v45, v[12:15] offset:5760
; %bb.338:                              ;   in Loop: Header=BB90_3 Depth=1
	s_or_b32 exec_lo, exec_lo, s35
	s_wait_dscnt 0x0
	s_barrier_signal -1
	s_barrier_wait -1
	s_barrier_signal -1
	s_barrier_wait -1
	s_and_saveexec_b32 s35, s66
	s_cbranch_execz .LBB90_340
; %bb.339:                              ;   in Loop: Header=BB90_3 Depth=1
	ds_load_b128 v[12:15], v114
	s_wait_dscnt 0x0
	ds_store_b128 v177, v[12:15]
	ds_load_b128 v[12:15], v115
	s_wait_dscnt 0x0
	ds_store_b128 v178, v[12:15]
.LBB90_340:                             ;   in Loop: Header=BB90_3 Depth=1
	s_or_b32 exec_lo, exec_lo, s35
	s_wait_dscnt 0x0
	s_barrier_signal -1
	s_barrier_wait -1
	s_and_saveexec_b32 s35, s29
	s_cbranch_execz .LBB90_342
; %bb.341:                              ;   in Loop: Header=BB90_3 Depth=1
	ds_load_b128 v[12:15], v1 offset:4752
	ds_load_b128 v[16:19], v1 offset:4224
	s_wait_dscnt 0x0
	v_mul_f64_e32 v[2:3], v[14:15], v[18:19]
	v_mul_f64_e32 v[200:201], v[12:13], v[18:19]
	s_delay_alu instid0(VALU_DEP_2) | instskip(NEXT) | instid1(VALU_DEP_2)
	v_fma_f64 v[2:3], v[12:13], v[16:17], -v[2:3]
	v_fmac_f64_e32 v[200:201], v[14:15], v[16:17]
	ds_load_b128 v[12:15], v1 offset:4736
	s_wait_dscnt 0x0
	v_mul_f64_e32 v[18:19], v[2:3], v[14:15]
	v_mul_f64_e32 v[16:17], v[200:201], v[14:15]
	s_delay_alu instid0(VALU_DEP_2) | instskip(NEXT) | instid1(VALU_DEP_2)
	v_fmac_f64_e32 v[18:19], v[12:13], v[200:201]
	v_fma_f64 v[16:17], v[12:13], v[2:3], -v[16:17]
	ds_store_b128 v1, v[16:19] offset:4736
	ds_store_b128 v1, v[16:19] offset:4240
.LBB90_342:                             ;   in Loop: Header=BB90_3 Depth=1
	s_or_b32 exec_lo, exec_lo, s35
	v_mov_b64_e32 v[14:15], 0
	v_mov_b64_e32 v[12:13], 0
	s_wait_dscnt 0x0
	s_barrier_signal -1
	s_barrier_wait -1
	global_wb scope:SCOPE_DEV
	s_wait_storecnt 0x0
	global_inv scope:SCOPE_DEV
	s_and_saveexec_b32 s35, s5
	s_cbranch_execz .LBB90_352
; %bb.343:                              ;   in Loop: Header=BB90_3 Depth=1
	ds_load_b128 v[12:15], v55 offset:7808
	ds_load_b128 v[16:19], v54 offset:4096
	s_wait_dscnt 0x0
	v_mul_f64_e32 v[2:3], v[14:15], v[18:19]
	v_mul_f64_e32 v[18:19], v[12:13], v[18:19]
	s_delay_alu instid0(VALU_DEP_2) | instskip(NEXT) | instid1(VALU_DEP_2)
	v_fma_f64 v[2:3], v[12:13], v[16:17], -v[2:3]
	v_fmac_f64_e32 v[18:19], v[14:15], v[16:17]
	s_delay_alu instid0(VALU_DEP_2) | instskip(NEXT) | instid1(VALU_DEP_2)
	v_add_f64_e32 v[12:13], 0, v[2:3]
	v_add_f64_e32 v[14:15], 0, v[18:19]
	s_and_saveexec_b32 s40, s13
	s_cbranch_execnz .LBB90_566
; %bb.344:                              ;   in Loop: Header=BB90_3 Depth=1
	s_or_b32 exec_lo, exec_lo, s40
	s_and_saveexec_b32 s40, s14
	s_cbranch_execnz .LBB90_567
.LBB90_345:                             ;   in Loop: Header=BB90_3 Depth=1
	s_or_b32 exec_lo, exec_lo, s40
	s_and_saveexec_b32 s40, s15
	s_cbranch_execnz .LBB90_568
.LBB90_346:                             ;   in Loop: Header=BB90_3 Depth=1
	s_or_b32 exec_lo, exec_lo, s40
	s_and_saveexec_b32 s40, s16
	s_cbranch_execnz .LBB90_569
.LBB90_347:                             ;   in Loop: Header=BB90_3 Depth=1
	s_or_b32 exec_lo, exec_lo, s40
	s_and_saveexec_b32 s40, s17
	s_cbranch_execnz .LBB90_570
.LBB90_348:                             ;   in Loop: Header=BB90_3 Depth=1
	s_or_b32 exec_lo, exec_lo, s40
	s_and_saveexec_b32 s40, s4
	s_cbranch_execnz .LBB90_571
.LBB90_349:                             ;   in Loop: Header=BB90_3 Depth=1
	s_or_b32 exec_lo, exec_lo, s40
	s_and_saveexec_b32 s40, s12
	s_cbranch_execz .LBB90_351
.LBB90_350:                             ;   in Loop: Header=BB90_3 Depth=1
	ds_load_b128 v[16:19], v1 offset:7920
	ds_load_b128 v[200:203], v44 offset:7680
	s_wait_dscnt 0x0
	v_mul_f64_e32 v[2:3], v[18:19], v[202:203]
	s_delay_alu instid0(VALU_DEP_1) | instskip(SKIP_1) | instid1(VALU_DEP_2)
	v_fma_f64 v[2:3], v[16:17], v[200:201], -v[2:3]
	v_mul_f64_e32 v[16:17], v[16:17], v[202:203]
	v_add_f64_e32 v[12:13], v[12:13], v[2:3]
	s_delay_alu instid0(VALU_DEP_2) | instskip(NEXT) | instid1(VALU_DEP_1)
	v_fmac_f64_e32 v[16:17], v[18:19], v[200:201]
	v_add_f64_e32 v[14:15], v[14:15], v[16:17]
.LBB90_351:                             ;   in Loop: Header=BB90_3 Depth=1
	s_or_b32 exec_lo, exec_lo, s40
.LBB90_352:                             ;   in Loop: Header=BB90_3 Depth=1
	s_delay_alu instid0(SALU_CYCLE_1)
	s_or_b32 exec_lo, exec_lo, s35
	s_and_saveexec_b32 s35, s74
	s_cbranch_execz .LBB90_354
; %bb.353:                              ;   in Loop: Header=BB90_3 Depth=1
	ds_load_b128 v[16:19], v1 offset:3696
	s_wait_dscnt 0x0
	v_mul_f64_e32 v[2:3], v[14:15], v[18:19]
	v_mul_f64_e32 v[18:19], v[12:13], v[18:19]
	s_delay_alu instid0(VALU_DEP_1) | instskip(NEXT) | instid1(VALU_DEP_1)
	v_fmac_f64_e32 v[18:19], v[14:15], v[16:17]
	v_dual_fma_f64 v[2:3], v[12:13], v[16:17], -v[2:3] :: v_dual_mov_b32 v14, v18
	s_delay_alu instid0(VALU_DEP_1) | instskip(NEXT) | instid1(VALU_DEP_3)
	v_xor_b32_e32 v13, 0x80000000, v3
	v_xor_b32_e32 v15, 0x80000000, v19
	s_delay_alu instid0(VALU_DEP_3)
	v_mov_b32_e32 v12, v2
	ds_store_b128 v53, v[12:15]
	v_mov_b64_e32 v[12:13], v[2:3]
	v_mov_b64_e32 v[14:15], v[18:19]
.LBB90_354:                             ;   in Loop: Header=BB90_3 Depth=1
	s_or_b32 exec_lo, exec_lo, s35
	s_wait_loadcnt_dscnt 0x0
	s_barrier_signal -1
	s_barrier_wait -1
	s_and_saveexec_b32 s35, s75
	s_cbranch_execz .LBB90_356
; %bb.355:                              ;   in Loop: Header=BB90_3 Depth=1
	ds_load_b128 v[16:19], v53
	ds_load_b128 v[200:203], v54 offset:3584
	s_wait_dscnt 0x0
	v_mul_f64_e32 v[2:3], v[18:19], v[202:203]
	s_delay_alu instid0(VALU_DEP_1) | instskip(SKIP_1) | instid1(VALU_DEP_2)
	v_fma_f64 v[2:3], v[16:17], v[200:201], -v[2:3]
	v_mul_f64_e32 v[16:17], v[16:17], v[202:203]
	v_add_f64_e64 v[12:13], v[12:13], -v[2:3]
	s_delay_alu instid0(VALU_DEP_2) | instskip(NEXT) | instid1(VALU_DEP_1)
	v_fmac_f64_e32 v[16:17], v[18:19], v[200:201]
	v_add_f64_e64 v[14:15], v[14:15], -v[16:17]
.LBB90_356:                             ;   in Loop: Header=BB90_3 Depth=1
	s_or_b32 exec_lo, exec_lo, s35
	s_barrier_signal -1
	s_barrier_wait -1
	s_and_saveexec_b32 s35, s76
	s_cbranch_execz .LBB90_358
; %bb.357:                              ;   in Loop: Header=BB90_3 Depth=1
	ds_load_b128 v[16:19], v1 offset:3168
	s_wait_dscnt 0x0
	v_mul_f64_e32 v[2:3], v[14:15], v[18:19]
	v_mul_f64_e32 v[18:19], v[12:13], v[18:19]
	s_delay_alu instid0(VALU_DEP_1) | instskip(NEXT) | instid1(VALU_DEP_1)
	v_fmac_f64_e32 v[18:19], v[14:15], v[16:17]
	v_dual_fma_f64 v[2:3], v[12:13], v[16:17], -v[2:3] :: v_dual_mov_b32 v14, v18
	s_delay_alu instid0(VALU_DEP_1) | instskip(NEXT) | instid1(VALU_DEP_3)
	v_xor_b32_e32 v13, 0x80000000, v3
	v_xor_b32_e32 v15, 0x80000000, v19
	s_delay_alu instid0(VALU_DEP_3)
	v_mov_b32_e32 v12, v2
	ds_store_b128 v53, v[12:15]
	v_mov_b64_e32 v[12:13], v[2:3]
	v_mov_b64_e32 v[14:15], v[18:19]
.LBB90_358:                             ;   in Loop: Header=BB90_3 Depth=1
	s_or_b32 exec_lo, exec_lo, s35
	s_wait_dscnt 0x0
	s_barrier_signal -1
	s_barrier_wait -1
	s_and_saveexec_b32 s35, s77
	s_cbranch_execz .LBB90_360
; %bb.359:                              ;   in Loop: Header=BB90_3 Depth=1
	ds_load_b128 v[16:19], v53
	ds_load_b128 v[200:203], v54 offset:3072
	s_wait_dscnt 0x0
	v_mul_f64_e32 v[2:3], v[18:19], v[202:203]
	s_delay_alu instid0(VALU_DEP_1) | instskip(SKIP_1) | instid1(VALU_DEP_2)
	v_fma_f64 v[2:3], v[16:17], v[200:201], -v[2:3]
	v_mul_f64_e32 v[16:17], v[16:17], v[202:203]
	v_add_f64_e64 v[12:13], v[12:13], -v[2:3]
	s_delay_alu instid0(VALU_DEP_2) | instskip(NEXT) | instid1(VALU_DEP_1)
	v_fmac_f64_e32 v[16:17], v[18:19], v[200:201]
	v_add_f64_e64 v[14:15], v[14:15], -v[16:17]
.LBB90_360:                             ;   in Loop: Header=BB90_3 Depth=1
	s_or_b32 exec_lo, exec_lo, s35
	s_barrier_signal -1
	s_barrier_wait -1
	s_and_saveexec_b32 s35, s78
	s_cbranch_execz .LBB90_362
; %bb.361:                              ;   in Loop: Header=BB90_3 Depth=1
	ds_load_b128 v[16:19], v1 offset:2640
	s_wait_dscnt 0x0
	v_mul_f64_e32 v[2:3], v[14:15], v[18:19]
	v_mul_f64_e32 v[18:19], v[12:13], v[18:19]
	s_delay_alu instid0(VALU_DEP_1) | instskip(NEXT) | instid1(VALU_DEP_1)
	v_fmac_f64_e32 v[18:19], v[14:15], v[16:17]
	v_dual_fma_f64 v[2:3], v[12:13], v[16:17], -v[2:3] :: v_dual_mov_b32 v14, v18
	s_delay_alu instid0(VALU_DEP_1) | instskip(NEXT) | instid1(VALU_DEP_3)
	v_xor_b32_e32 v13, 0x80000000, v3
	v_xor_b32_e32 v15, 0x80000000, v19
	s_delay_alu instid0(VALU_DEP_3)
	v_mov_b32_e32 v12, v2
	ds_store_b128 v53, v[12:15]
	v_mov_b64_e32 v[12:13], v[2:3]
	v_mov_b64_e32 v[14:15], v[18:19]
.LBB90_362:                             ;   in Loop: Header=BB90_3 Depth=1
	s_or_b32 exec_lo, exec_lo, s35
	s_wait_dscnt 0x0
	;; [unrolled: 41-line block ×6, first 2 shown]
	s_barrier_signal -1
	s_barrier_wait -1
	s_and_saveexec_b32 s35, s87
	s_cbranch_execz .LBB90_380
; %bb.379:                              ;   in Loop: Header=BB90_3 Depth=1
	ds_load_b128 v[16:19], v53
	ds_load_b128 v[200:203], v1 offset:512
	s_wait_dscnt 0x0
	v_mul_f64_e32 v[2:3], v[18:19], v[202:203]
	s_delay_alu instid0(VALU_DEP_1) | instskip(SKIP_1) | instid1(VALU_DEP_2)
	v_fma_f64 v[2:3], v[16:17], v[200:201], -v[2:3]
	v_mul_f64_e32 v[16:17], v[16:17], v[202:203]
	v_add_f64_e64 v[12:13], v[12:13], -v[2:3]
	s_delay_alu instid0(VALU_DEP_2) | instskip(NEXT) | instid1(VALU_DEP_1)
	v_fmac_f64_e32 v[16:17], v[18:19], v[200:201]
	v_add_f64_e64 v[14:15], v[14:15], -v[16:17]
.LBB90_380:                             ;   in Loop: Header=BB90_3 Depth=1
	s_or_b32 exec_lo, exec_lo, s35
	s_barrier_signal -1
	s_barrier_wait -1
	s_and_saveexec_b32 s35, s87
	s_cbranch_execz .LBB90_382
; %bb.381:                              ;   in Loop: Header=BB90_3 Depth=1
	ds_load_b128 v[16:19], v1
	s_wait_dscnt 0x0
	v_mul_f64_e32 v[2:3], v[14:15], v[18:19]
	v_mul_f64_e32 v[18:19], v[12:13], v[18:19]
	s_delay_alu instid0(VALU_DEP_1) | instskip(NEXT) | instid1(VALU_DEP_1)
	v_fmac_f64_e32 v[18:19], v[14:15], v[16:17]
	v_dual_fma_f64 v[2:3], v[12:13], v[16:17], -v[2:3] :: v_dual_mov_b32 v14, v18
	s_delay_alu instid0(VALU_DEP_1) | instskip(NEXT) | instid1(VALU_DEP_3)
	v_xor_b32_e32 v13, 0x80000000, v3
	v_xor_b32_e32 v15, 0x80000000, v19
	s_delay_alu instid0(VALU_DEP_3)
	v_mov_b32_e32 v12, v2
	ds_store_b128 v53, v[12:15]
	v_mov_b64_e32 v[12:13], v[2:3]
	v_mov_b64_e32 v[14:15], v[18:19]
.LBB90_382:                             ;   in Loop: Header=BB90_3 Depth=1
	s_or_b32 exec_lo, exec_lo, s35
	s_wait_dscnt 0x0
	s_barrier_signal -1
	s_barrier_wait -1
	s_barrier_signal -1
	s_barrier_wait -1
	s_and_saveexec_b32 s35, s5
; %bb.383:                              ;   in Loop: Header=BB90_3 Depth=1
	ds_store_b128 v56, v[12:15] offset:7680
; %bb.384:                              ;   in Loop: Header=BB90_3 Depth=1
	s_or_b32 exec_lo, exec_lo, s35
	s_wait_dscnt 0x0
	s_barrier_signal -1
	s_barrier_wait -1
	s_barrier_signal -1
	s_barrier_wait -1
	s_and_saveexec_b32 s35, s88
	s_cbranch_execz .LBB90_386
; %bb.385:                              ;   in Loop: Header=BB90_3 Depth=1
	ds_load_b128 v[12:15], v86
	s_wait_dscnt 0x0
	ds_store_b128 v179, v[12:15]
	ds_load_b128 v[12:15], v87
	s_wait_dscnt 0x0
	ds_store_b128 v180, v[12:15]
	;; [unrolled: 3-line block ×8, first 2 shown]
.LBB90_386:                             ;   in Loop: Header=BB90_3 Depth=1
	s_or_b32 exec_lo, exec_lo, s35
	s_wait_dscnt 0x0
	s_barrier_signal -1
	s_barrier_wait -1
	s_and_saveexec_b32 s35, s29
	s_cbranch_execz .LBB90_388
; %bb.387:                              ;   in Loop: Header=BB90_3 Depth=1
	ds_load_b128 v[12:15], v1 offset:3696
	ds_load_b128 v[16:19], v1 offset:3168
	s_wait_dscnt 0x0
	v_mul_f64_e32 v[2:3], v[14:15], v[18:19]
	v_mul_f64_e32 v[200:201], v[12:13], v[18:19]
	s_delay_alu instid0(VALU_DEP_2) | instskip(NEXT) | instid1(VALU_DEP_2)
	v_fma_f64 v[2:3], v[12:13], v[16:17], -v[2:3]
	v_fmac_f64_e32 v[200:201], v[14:15], v[16:17]
	ds_load_b128 v[12:15], v1 offset:3680
	s_wait_dscnt 0x0
	v_mul_f64_e32 v[18:19], v[2:3], v[14:15]
	v_mul_f64_e32 v[16:17], v[200:201], v[14:15]
	s_delay_alu instid0(VALU_DEP_2) | instskip(NEXT) | instid1(VALU_DEP_2)
	v_fmac_f64_e32 v[18:19], v[12:13], v[200:201]
	v_fma_f64 v[16:17], v[12:13], v[2:3], -v[16:17]
	ds_store_b128 v1, v[16:19] offset:3680
	ds_store_b128 v1, v[16:19] offset:3184
.LBB90_388:                             ;   in Loop: Header=BB90_3 Depth=1
	s_or_b32 exec_lo, exec_lo, s35
	v_mov_b64_e32 v[12:13], 0
	v_mov_b64_e32 v[14:15], 0
	s_wait_dscnt 0x0
	s_barrier_signal -1
	s_barrier_wait -1
	global_wb scope:SCOPE_DEV
	s_wait_storecnt 0x0
	global_inv scope:SCOPE_DEV
	s_and_saveexec_b32 s35, s2
	s_cbranch_execz .LBB90_392
; %bb.389:                              ;   in Loop: Header=BB90_3 Depth=1
	ds_load_b128 v[12:15], v43 offset:3680
	ds_load_b128 v[16:19], v42 offset:3136
	s_wait_dscnt 0x0
	v_mul_f64_e32 v[2:3], v[14:15], v[18:19]
	v_mul_f64_e32 v[18:19], v[12:13], v[18:19]
	s_delay_alu instid0(VALU_DEP_2) | instskip(NEXT) | instid1(VALU_DEP_2)
	v_fma_f64 v[2:3], v[12:13], v[16:17], -v[2:3]
	v_fmac_f64_e32 v[18:19], v[14:15], v[16:17]
	s_delay_alu instid0(VALU_DEP_2) | instskip(NEXT) | instid1(VALU_DEP_2)
	v_add_f64_e32 v[12:13], 0, v[2:3]
	v_add_f64_e32 v[14:15], 0, v[18:19]
	s_and_saveexec_b32 s40, s10
	s_cbranch_execz .LBB90_391
; %bb.390:                              ;   in Loop: Header=BB90_3 Depth=1
	ds_load_b128 v[16:19], v1 offset:3696
	ds_load_b128 v[200:203], v48 offset:3648
	s_wait_dscnt 0x0
	v_mul_f64_e32 v[2:3], v[18:19], v[202:203]
	s_delay_alu instid0(VALU_DEP_1) | instskip(SKIP_1) | instid1(VALU_DEP_2)
	v_fma_f64 v[2:3], v[16:17], v[200:201], -v[2:3]
	v_mul_f64_e32 v[16:17], v[16:17], v[202:203]
	v_add_f64_e32 v[12:13], v[12:13], v[2:3]
	s_delay_alu instid0(VALU_DEP_2) | instskip(NEXT) | instid1(VALU_DEP_1)
	v_fmac_f64_e32 v[16:17], v[18:19], v[200:201]
	v_add_f64_e32 v[14:15], v[14:15], v[16:17]
.LBB90_391:                             ;   in Loop: Header=BB90_3 Depth=1
	s_or_b32 exec_lo, exec_lo, s40
.LBB90_392:                             ;   in Loop: Header=BB90_3 Depth=1
	s_delay_alu instid0(SALU_CYCLE_1)
	s_or_b32 exec_lo, exec_lo, s35
	s_and_saveexec_b32 s35, s64
	s_cbranch_execz .LBB90_394
; %bb.393:                              ;   in Loop: Header=BB90_3 Depth=1
	ds_load_b128 v[16:19], v1 offset:2640
	s_wait_dscnt 0x0
	v_mul_f64_e32 v[2:3], v[14:15], v[18:19]
	v_mul_f64_e32 v[18:19], v[12:13], v[18:19]
	s_delay_alu instid0(VALU_DEP_1) | instskip(NEXT) | instid1(VALU_DEP_1)
	v_fmac_f64_e32 v[18:19], v[14:15], v[16:17]
	v_dual_fma_f64 v[2:3], v[12:13], v[16:17], -v[2:3] :: v_dual_mov_b32 v14, v18
	s_delay_alu instid0(VALU_DEP_1) | instskip(NEXT) | instid1(VALU_DEP_3)
	v_xor_b32_e32 v13, 0x80000000, v3
	v_xor_b32_e32 v15, 0x80000000, v19
	s_delay_alu instid0(VALU_DEP_3)
	v_mov_b32_e32 v12, v2
	ds_store_b128 v21, v[12:15]
	v_mov_b64_e32 v[12:13], v[2:3]
	v_mov_b64_e32 v[14:15], v[18:19]
.LBB90_394:                             ;   in Loop: Header=BB90_3 Depth=1
	s_or_b32 exec_lo, exec_lo, s35
	s_wait_loadcnt_dscnt 0x0
	s_barrier_signal -1
	s_barrier_wait -1
	s_and_saveexec_b32 s35, s65
	s_cbranch_execz .LBB90_396
; %bb.395:                              ;   in Loop: Header=BB90_3 Depth=1
	ds_load_b128 v[16:19], v21
	ds_load_b128 v[200:203], v1 offset:2624
	s_wait_dscnt 0x0
	v_mul_f64_e32 v[2:3], v[18:19], v[202:203]
	s_delay_alu instid0(VALU_DEP_1) | instskip(SKIP_1) | instid1(VALU_DEP_2)
	v_fma_f64 v[2:3], v[16:17], v[200:201], -v[2:3]
	v_mul_f64_e32 v[16:17], v[16:17], v[202:203]
	v_add_f64_e64 v[12:13], v[12:13], -v[2:3]
	s_delay_alu instid0(VALU_DEP_2) | instskip(NEXT) | instid1(VALU_DEP_1)
	v_fmac_f64_e32 v[16:17], v[18:19], v[200:201]
	v_add_f64_e64 v[14:15], v[14:15], -v[16:17]
.LBB90_396:                             ;   in Loop: Header=BB90_3 Depth=1
	s_or_b32 exec_lo, exec_lo, s35
	s_barrier_signal -1
	s_barrier_wait -1
	s_and_saveexec_b32 s35, s65
	s_cbranch_execz .LBB90_398
; %bb.397:                              ;   in Loop: Header=BB90_3 Depth=1
	ds_load_b128 v[16:19], v1 offset:2112
	s_wait_dscnt 0x0
	v_mul_f64_e32 v[2:3], v[14:15], v[18:19]
	v_mul_f64_e32 v[18:19], v[12:13], v[18:19]
	s_delay_alu instid0(VALU_DEP_1) | instskip(NEXT) | instid1(VALU_DEP_1)
	v_fmac_f64_e32 v[18:19], v[14:15], v[16:17]
	v_dual_fma_f64 v[2:3], v[12:13], v[16:17], -v[2:3] :: v_dual_mov_b32 v14, v18
	s_delay_alu instid0(VALU_DEP_1) | instskip(NEXT) | instid1(VALU_DEP_3)
	v_xor_b32_e32 v13, 0x80000000, v3
	v_xor_b32_e32 v15, 0x80000000, v19
	s_delay_alu instid0(VALU_DEP_3)
	v_mov_b32_e32 v12, v2
	ds_store_b128 v21, v[12:15]
	v_mov_b64_e32 v[12:13], v[2:3]
	v_mov_b64_e32 v[14:15], v[18:19]
.LBB90_398:                             ;   in Loop: Header=BB90_3 Depth=1
	s_or_b32 exec_lo, exec_lo, s35
	s_wait_dscnt 0x0
	s_barrier_signal -1
	s_barrier_wait -1
	s_barrier_signal -1
	s_barrier_wait -1
	s_and_saveexec_b32 s35, s2
; %bb.399:                              ;   in Loop: Header=BB90_3 Depth=1
	ds_store_b128 v45, v[12:15] offset:3648
; %bb.400:                              ;   in Loop: Header=BB90_3 Depth=1
	s_or_b32 exec_lo, exec_lo, s35
	s_wait_dscnt 0x0
	s_barrier_signal -1
	s_barrier_wait -1
	s_barrier_signal -1
	s_barrier_wait -1
	s_and_saveexec_b32 s35, s66
	s_cbranch_execz .LBB90_402
; %bb.401:                              ;   in Loop: Header=BB90_3 Depth=1
	ds_load_b128 v[12:15], v105
	s_wait_dscnt 0x0
	ds_store_b128 v187, v[12:15]
	ds_load_b128 v[12:15], v106
	s_wait_dscnt 0x0
	ds_store_b128 v188, v[12:15]
.LBB90_402:                             ;   in Loop: Header=BB90_3 Depth=1
	s_or_b32 exec_lo, exec_lo, s35
	s_wait_dscnt 0x0
	s_barrier_signal -1
	s_barrier_wait -1
	s_and_saveexec_b32 s35, s29
	s_cbranch_execz .LBB90_404
; %bb.403:                              ;   in Loop: Header=BB90_3 Depth=1
	ds_load_b128 v[12:15], v1 offset:2640
	ds_load_b128 v[16:19], v1 offset:2112
	s_wait_dscnt 0x0
	v_mul_f64_e32 v[2:3], v[14:15], v[18:19]
	v_mul_f64_e32 v[200:201], v[12:13], v[18:19]
	s_delay_alu instid0(VALU_DEP_2) | instskip(NEXT) | instid1(VALU_DEP_2)
	v_fma_f64 v[2:3], v[12:13], v[16:17], -v[2:3]
	v_fmac_f64_e32 v[200:201], v[14:15], v[16:17]
	ds_load_b128 v[12:15], v1 offset:2624
	s_wait_dscnt 0x0
	v_mul_f64_e32 v[18:19], v[2:3], v[14:15]
	v_mul_f64_e32 v[16:17], v[200:201], v[14:15]
	s_delay_alu instid0(VALU_DEP_2) | instskip(NEXT) | instid1(VALU_DEP_2)
	v_fmac_f64_e32 v[18:19], v[12:13], v[200:201]
	v_fma_f64 v[16:17], v[12:13], v[2:3], -v[16:17]
	ds_store_b128 v1, v[16:19] offset:2624
	ds_store_b128 v1, v[16:19] offset:2128
.LBB90_404:                             ;   in Loop: Header=BB90_3 Depth=1
	s_or_b32 exec_lo, exec_lo, s35
	v_mov_b64_e32 v[14:15], 0
	v_mov_b64_e32 v[12:13], 0
	s_wait_dscnt 0x0
	s_barrier_signal -1
	s_barrier_wait -1
	global_wb scope:SCOPE_DEV
	s_wait_storecnt 0x0
	global_inv scope:SCOPE_DEV
	s_and_saveexec_b32 s35, s4
	s_cbranch_execz .LBB90_410
; %bb.405:                              ;   in Loop: Header=BB90_3 Depth=1
	ds_load_b128 v[12:15], v51 offset:3648
	ds_load_b128 v[16:19], v50 offset:2048
	s_wait_dscnt 0x0
	v_mul_f64_e32 v[2:3], v[14:15], v[18:19]
	v_mul_f64_e32 v[18:19], v[12:13], v[18:19]
	s_delay_alu instid0(VALU_DEP_2) | instskip(NEXT) | instid1(VALU_DEP_2)
	v_fma_f64 v[2:3], v[12:13], v[16:17], -v[2:3]
	v_fmac_f64_e32 v[18:19], v[14:15], v[16:17]
	s_delay_alu instid0(VALU_DEP_2) | instskip(NEXT) | instid1(VALU_DEP_2)
	v_add_f64_e32 v[12:13], 0, v[2:3]
	v_add_f64_e32 v[14:15], 0, v[18:19]
	s_and_saveexec_b32 s40, s11
	s_cbranch_execnz .LBB90_572
; %bb.406:                              ;   in Loop: Header=BB90_3 Depth=1
	s_or_b32 exec_lo, exec_lo, s40
	s_and_saveexec_b32 s40, s12
	s_cbranch_execnz .LBB90_573
.LBB90_407:                             ;   in Loop: Header=BB90_3 Depth=1
	s_or_b32 exec_lo, exec_lo, s40
	s_and_saveexec_b32 s40, s2
	s_cbranch_execz .LBB90_409
.LBB90_408:                             ;   in Loop: Header=BB90_3 Depth=1
	ds_load_b128 v[16:19], v1 offset:3696
	ds_load_b128 v[200:203], v98 offset:3584
	s_wait_dscnt 0x0
	v_mul_f64_e32 v[2:3], v[18:19], v[202:203]
	s_delay_alu instid0(VALU_DEP_1) | instskip(SKIP_1) | instid1(VALU_DEP_2)
	v_fma_f64 v[2:3], v[16:17], v[200:201], -v[2:3]
	v_mul_f64_e32 v[16:17], v[16:17], v[202:203]
	v_add_f64_e32 v[12:13], v[12:13], v[2:3]
	s_delay_alu instid0(VALU_DEP_2) | instskip(NEXT) | instid1(VALU_DEP_1)
	v_fmac_f64_e32 v[16:17], v[18:19], v[200:201]
	v_add_f64_e32 v[14:15], v[14:15], v[16:17]
.LBB90_409:                             ;   in Loop: Header=BB90_3 Depth=1
	s_or_b32 exec_lo, exec_lo, s40
.LBB90_410:                             ;   in Loop: Header=BB90_3 Depth=1
	s_delay_alu instid0(SALU_CYCLE_1)
	s_or_b32 exec_lo, exec_lo, s35
	s_and_saveexec_b32 s35, s67
	s_cbranch_execz .LBB90_412
; %bb.411:                              ;   in Loop: Header=BB90_3 Depth=1
	ds_load_b128 v[16:19], v1 offset:1584
	s_wait_dscnt 0x0
	v_mul_f64_e32 v[2:3], v[14:15], v[18:19]
	v_mul_f64_e32 v[18:19], v[12:13], v[18:19]
	s_delay_alu instid0(VALU_DEP_1) | instskip(NEXT) | instid1(VALU_DEP_1)
	v_fmac_f64_e32 v[18:19], v[14:15], v[16:17]
	v_dual_fma_f64 v[2:3], v[12:13], v[16:17], -v[2:3] :: v_dual_mov_b32 v14, v18
	s_delay_alu instid0(VALU_DEP_1) | instskip(NEXT) | instid1(VALU_DEP_3)
	v_xor_b32_e32 v13, 0x80000000, v3
	v_xor_b32_e32 v15, 0x80000000, v19
	s_delay_alu instid0(VALU_DEP_3)
	v_mov_b32_e32 v12, v2
	ds_store_b128 v49, v[12:15]
	v_mov_b64_e32 v[12:13], v[2:3]
	v_mov_b64_e32 v[14:15], v[18:19]
.LBB90_412:                             ;   in Loop: Header=BB90_3 Depth=1
	s_or_b32 exec_lo, exec_lo, s35
	s_wait_loadcnt_dscnt 0x0
	s_barrier_signal -1
	s_barrier_wait -1
	s_and_saveexec_b32 s35, s68
	s_cbranch_execz .LBB90_414
; %bb.413:                              ;   in Loop: Header=BB90_3 Depth=1
	ds_load_b128 v[16:19], v49
	ds_load_b128 v[200:203], v50 offset:1536
	s_wait_dscnt 0x0
	v_mul_f64_e32 v[2:3], v[18:19], v[202:203]
	s_delay_alu instid0(VALU_DEP_1) | instskip(SKIP_1) | instid1(VALU_DEP_2)
	v_fma_f64 v[2:3], v[16:17], v[200:201], -v[2:3]
	v_mul_f64_e32 v[16:17], v[16:17], v[202:203]
	v_add_f64_e64 v[12:13], v[12:13], -v[2:3]
	s_delay_alu instid0(VALU_DEP_2) | instskip(NEXT) | instid1(VALU_DEP_1)
	v_fmac_f64_e32 v[16:17], v[18:19], v[200:201]
	v_add_f64_e64 v[14:15], v[14:15], -v[16:17]
.LBB90_414:                             ;   in Loop: Header=BB90_3 Depth=1
	s_or_b32 exec_lo, exec_lo, s35
	s_barrier_signal -1
	s_barrier_wait -1
	s_and_saveexec_b32 s35, s69
	s_cbranch_execz .LBB90_416
; %bb.415:                              ;   in Loop: Header=BB90_3 Depth=1
	ds_load_b128 v[16:19], v1 offset:1056
	s_wait_dscnt 0x0
	v_mul_f64_e32 v[2:3], v[14:15], v[18:19]
	v_mul_f64_e32 v[18:19], v[12:13], v[18:19]
	s_delay_alu instid0(VALU_DEP_1) | instskip(NEXT) | instid1(VALU_DEP_1)
	v_fmac_f64_e32 v[18:19], v[14:15], v[16:17]
	v_dual_fma_f64 v[2:3], v[12:13], v[16:17], -v[2:3] :: v_dual_mov_b32 v14, v18
	s_delay_alu instid0(VALU_DEP_1) | instskip(NEXT) | instid1(VALU_DEP_3)
	v_xor_b32_e32 v13, 0x80000000, v3
	v_xor_b32_e32 v15, 0x80000000, v19
	s_delay_alu instid0(VALU_DEP_3)
	v_mov_b32_e32 v12, v2
	ds_store_b128 v49, v[12:15]
	v_mov_b64_e32 v[12:13], v[2:3]
	v_mov_b64_e32 v[14:15], v[18:19]
.LBB90_416:                             ;   in Loop: Header=BB90_3 Depth=1
	s_or_b32 exec_lo, exec_lo, s35
	s_wait_dscnt 0x0
	s_barrier_signal -1
	s_barrier_wait -1
	s_and_saveexec_b32 s35, s70
	s_cbranch_execz .LBB90_418
; %bb.417:                              ;   in Loop: Header=BB90_3 Depth=1
	ds_load_b128 v[16:19], v49
	ds_load_b128 v[200:203], v50 offset:1024
	s_wait_dscnt 0x0
	v_mul_f64_e32 v[2:3], v[18:19], v[202:203]
	s_delay_alu instid0(VALU_DEP_1) | instskip(SKIP_1) | instid1(VALU_DEP_2)
	v_fma_f64 v[2:3], v[16:17], v[200:201], -v[2:3]
	v_mul_f64_e32 v[16:17], v[16:17], v[202:203]
	v_add_f64_e64 v[12:13], v[12:13], -v[2:3]
	s_delay_alu instid0(VALU_DEP_2) | instskip(NEXT) | instid1(VALU_DEP_1)
	v_fmac_f64_e32 v[16:17], v[18:19], v[200:201]
	v_add_f64_e64 v[14:15], v[14:15], -v[16:17]
.LBB90_418:                             ;   in Loop: Header=BB90_3 Depth=1
	s_or_b32 exec_lo, exec_lo, s35
	s_barrier_signal -1
	s_barrier_wait -1
	s_and_saveexec_b32 s35, s71
	s_cbranch_execz .LBB90_420
; %bb.419:                              ;   in Loop: Header=BB90_3 Depth=1
	ds_load_b128 v[16:19], v1 offset:528
	s_wait_dscnt 0x0
	v_mul_f64_e32 v[2:3], v[14:15], v[18:19]
	v_mul_f64_e32 v[18:19], v[12:13], v[18:19]
	s_delay_alu instid0(VALU_DEP_1) | instskip(NEXT) | instid1(VALU_DEP_1)
	v_fmac_f64_e32 v[18:19], v[14:15], v[16:17]
	v_dual_fma_f64 v[2:3], v[12:13], v[16:17], -v[2:3] :: v_dual_mov_b32 v14, v18
	s_delay_alu instid0(VALU_DEP_1) | instskip(NEXT) | instid1(VALU_DEP_3)
	v_xor_b32_e32 v13, 0x80000000, v3
	v_xor_b32_e32 v15, 0x80000000, v19
	s_delay_alu instid0(VALU_DEP_3)
	v_mov_b32_e32 v12, v2
	ds_store_b128 v49, v[12:15]
	v_mov_b64_e32 v[12:13], v[2:3]
	v_mov_b64_e32 v[14:15], v[18:19]
.LBB90_420:                             ;   in Loop: Header=BB90_3 Depth=1
	s_or_b32 exec_lo, exec_lo, s35
	s_wait_dscnt 0x0
	s_barrier_signal -1
	s_barrier_wait -1
	s_and_saveexec_b32 s35, s72
	s_cbranch_execz .LBB90_422
; %bb.421:                              ;   in Loop: Header=BB90_3 Depth=1
	ds_load_b128 v[16:19], v49
	ds_load_b128 v[200:203], v1 offset:512
	s_wait_dscnt 0x0
	v_mul_f64_e32 v[2:3], v[18:19], v[202:203]
	s_delay_alu instid0(VALU_DEP_1) | instskip(SKIP_1) | instid1(VALU_DEP_2)
	v_fma_f64 v[2:3], v[16:17], v[200:201], -v[2:3]
	v_mul_f64_e32 v[16:17], v[16:17], v[202:203]
	v_add_f64_e64 v[12:13], v[12:13], -v[2:3]
	s_delay_alu instid0(VALU_DEP_2) | instskip(NEXT) | instid1(VALU_DEP_1)
	v_fmac_f64_e32 v[16:17], v[18:19], v[200:201]
	v_add_f64_e64 v[14:15], v[14:15], -v[16:17]
.LBB90_422:                             ;   in Loop: Header=BB90_3 Depth=1
	s_or_b32 exec_lo, exec_lo, s35
	s_barrier_signal -1
	s_barrier_wait -1
	s_and_saveexec_b32 s35, s72
	s_cbranch_execz .LBB90_424
; %bb.423:                              ;   in Loop: Header=BB90_3 Depth=1
	ds_load_b128 v[16:19], v1
	s_wait_dscnt 0x0
	v_mul_f64_e32 v[2:3], v[14:15], v[18:19]
	v_mul_f64_e32 v[18:19], v[12:13], v[18:19]
	s_delay_alu instid0(VALU_DEP_1) | instskip(NEXT) | instid1(VALU_DEP_1)
	v_fmac_f64_e32 v[18:19], v[14:15], v[16:17]
	v_dual_fma_f64 v[2:3], v[12:13], v[16:17], -v[2:3] :: v_dual_mov_b32 v14, v18
	s_delay_alu instid0(VALU_DEP_1) | instskip(NEXT) | instid1(VALU_DEP_3)
	v_xor_b32_e32 v13, 0x80000000, v3
	v_xor_b32_e32 v15, 0x80000000, v19
	s_delay_alu instid0(VALU_DEP_3)
	v_mov_b32_e32 v12, v2
	ds_store_b128 v49, v[12:15]
	v_mov_b64_e32 v[12:13], v[2:3]
	v_mov_b64_e32 v[14:15], v[18:19]
.LBB90_424:                             ;   in Loop: Header=BB90_3 Depth=1
	s_or_b32 exec_lo, exec_lo, s35
	s_wait_dscnt 0x0
	s_barrier_signal -1
	s_barrier_wait -1
	s_barrier_signal -1
	s_barrier_wait -1
	s_and_saveexec_b32 s35, s4
; %bb.425:                              ;   in Loop: Header=BB90_3 Depth=1
	ds_store_b128 v52, v[12:15] offset:3584
; %bb.426:                              ;   in Loop: Header=BB90_3 Depth=1
	s_or_b32 exec_lo, exec_lo, s35
	s_wait_dscnt 0x0
	s_barrier_signal -1
	s_barrier_wait -1
	s_barrier_signal -1
	s_barrier_wait -1
	s_and_saveexec_b32 s35, s73
	s_cbranch_execz .LBB90_428
; %bb.427:                              ;   in Loop: Header=BB90_3 Depth=1
	ds_load_b128 v[12:15], v116
	s_wait_dscnt 0x0
	ds_store_b128 v189, v[12:15]
	ds_load_b128 v[12:15], v119
	s_wait_dscnt 0x0
	ds_store_b128 v192, v[12:15]
	;; [unrolled: 3-line block ×4, first 2 shown]
.LBB90_428:                             ;   in Loop: Header=BB90_3 Depth=1
	s_or_b32 exec_lo, exec_lo, s35
	s_wait_dscnt 0x0
	s_barrier_signal -1
	s_barrier_wait -1
	s_and_saveexec_b32 s35, s29
	s_cbranch_execz .LBB90_430
; %bb.429:                              ;   in Loop: Header=BB90_3 Depth=1
	ds_load_b128 v[12:15], v1 offset:1584
	ds_load_b128 v[16:19], v1 offset:1056
	s_wait_dscnt 0x0
	v_mul_f64_e32 v[2:3], v[14:15], v[18:19]
	v_mul_f64_e32 v[200:201], v[12:13], v[18:19]
	s_delay_alu instid0(VALU_DEP_2) | instskip(NEXT) | instid1(VALU_DEP_2)
	v_fma_f64 v[2:3], v[12:13], v[16:17], -v[2:3]
	v_fmac_f64_e32 v[200:201], v[14:15], v[16:17]
	ds_load_b128 v[12:15], v1 offset:1568
	s_wait_dscnt 0x0
	v_mul_f64_e32 v[18:19], v[2:3], v[14:15]
	v_mul_f64_e32 v[16:17], v[200:201], v[14:15]
	s_delay_alu instid0(VALU_DEP_2) | instskip(NEXT) | instid1(VALU_DEP_2)
	v_fmac_f64_e32 v[18:19], v[12:13], v[200:201]
	v_fma_f64 v[16:17], v[12:13], v[2:3], -v[16:17]
	ds_store_b128 v1, v[16:19] offset:1568
	ds_store_b128 v1, v[16:19] offset:1072
.LBB90_430:                             ;   in Loop: Header=BB90_3 Depth=1
	s_or_b32 exec_lo, exec_lo, s35
	v_mov_b64_e32 v[12:13], 0
	v_mov_b64_e32 v[14:15], 0
	s_wait_dscnt 0x0
	s_barrier_signal -1
	s_barrier_wait -1
	global_wb scope:SCOPE_DEV
	s_wait_storecnt 0x0
	global_inv scope:SCOPE_DEV
	s_and_saveexec_b32 s35, s2
	s_cbranch_execz .LBB90_434
; %bb.431:                              ;   in Loop: Header=BB90_3 Depth=1
	ds_load_b128 v[12:15], v43 offset:1568
	ds_load_b128 v[16:19], v42 offset:1024
	s_wait_dscnt 0x0
	v_mul_f64_e32 v[2:3], v[14:15], v[18:19]
	v_mul_f64_e32 v[18:19], v[12:13], v[18:19]
	s_delay_alu instid0(VALU_DEP_2) | instskip(NEXT) | instid1(VALU_DEP_2)
	v_fma_f64 v[2:3], v[12:13], v[16:17], -v[2:3]
	v_fmac_f64_e32 v[18:19], v[14:15], v[16:17]
	s_delay_alu instid0(VALU_DEP_2) | instskip(NEXT) | instid1(VALU_DEP_2)
	v_add_f64_e32 v[12:13], 0, v[2:3]
	v_add_f64_e32 v[14:15], 0, v[18:19]
	s_and_saveexec_b32 s40, s10
	s_cbranch_execz .LBB90_433
; %bb.432:                              ;   in Loop: Header=BB90_3 Depth=1
	ds_load_b128 v[16:19], v1 offset:1584
	ds_load_b128 v[200:203], v109 offset:1536
	s_wait_dscnt 0x0
	v_mul_f64_e32 v[2:3], v[18:19], v[202:203]
	s_delay_alu instid0(VALU_DEP_1) | instskip(SKIP_1) | instid1(VALU_DEP_2)
	v_fma_f64 v[2:3], v[16:17], v[200:201], -v[2:3]
	v_mul_f64_e32 v[16:17], v[16:17], v[202:203]
	v_add_f64_e32 v[12:13], v[12:13], v[2:3]
	s_delay_alu instid0(VALU_DEP_2) | instskip(NEXT) | instid1(VALU_DEP_1)
	v_fmac_f64_e32 v[16:17], v[18:19], v[200:201]
	v_add_f64_e32 v[14:15], v[14:15], v[16:17]
.LBB90_433:                             ;   in Loop: Header=BB90_3 Depth=1
	s_or_b32 exec_lo, exec_lo, s40
.LBB90_434:                             ;   in Loop: Header=BB90_3 Depth=1
	s_delay_alu instid0(SALU_CYCLE_1)
	s_or_b32 exec_lo, exec_lo, s35
	s_and_saveexec_b32 s35, s64
	s_cbranch_execz .LBB90_436
; %bb.435:                              ;   in Loop: Header=BB90_3 Depth=1
	ds_load_b128 v[16:19], v1 offset:528
	s_wait_dscnt 0x0
	v_mul_f64_e32 v[2:3], v[14:15], v[18:19]
	v_mul_f64_e32 v[18:19], v[12:13], v[18:19]
	s_delay_alu instid0(VALU_DEP_1) | instskip(NEXT) | instid1(VALU_DEP_1)
	v_fmac_f64_e32 v[18:19], v[14:15], v[16:17]
	v_dual_fma_f64 v[2:3], v[12:13], v[16:17], -v[2:3] :: v_dual_mov_b32 v14, v18
	s_delay_alu instid0(VALU_DEP_1) | instskip(NEXT) | instid1(VALU_DEP_3)
	v_xor_b32_e32 v13, 0x80000000, v3
	v_xor_b32_e32 v15, 0x80000000, v19
	s_delay_alu instid0(VALU_DEP_3)
	v_mov_b32_e32 v12, v2
	ds_store_b128 v21, v[12:15]
	v_mov_b64_e32 v[12:13], v[2:3]
	v_mov_b64_e32 v[14:15], v[18:19]
.LBB90_436:                             ;   in Loop: Header=BB90_3 Depth=1
	s_or_b32 exec_lo, exec_lo, s35
	s_wait_loadcnt_dscnt 0x0
	s_barrier_signal -1
	s_barrier_wait -1
	s_and_saveexec_b32 s35, s65
	s_cbranch_execz .LBB90_438
; %bb.437:                              ;   in Loop: Header=BB90_3 Depth=1
	ds_load_b128 v[16:19], v21
	ds_load_b128 v[200:203], v1 offset:512
	s_wait_dscnt 0x0
	v_mul_f64_e32 v[2:3], v[18:19], v[202:203]
	s_delay_alu instid0(VALU_DEP_1) | instskip(SKIP_1) | instid1(VALU_DEP_2)
	v_fma_f64 v[2:3], v[16:17], v[200:201], -v[2:3]
	v_mul_f64_e32 v[16:17], v[16:17], v[202:203]
	v_add_f64_e64 v[12:13], v[12:13], -v[2:3]
	s_delay_alu instid0(VALU_DEP_2) | instskip(NEXT) | instid1(VALU_DEP_1)
	v_fmac_f64_e32 v[16:17], v[18:19], v[200:201]
	v_add_f64_e64 v[14:15], v[14:15], -v[16:17]
.LBB90_438:                             ;   in Loop: Header=BB90_3 Depth=1
	s_or_b32 exec_lo, exec_lo, s35
	s_barrier_signal -1
	s_barrier_wait -1
	s_and_saveexec_b32 s35, s65
	s_cbranch_execz .LBB90_440
; %bb.439:                              ;   in Loop: Header=BB90_3 Depth=1
	ds_load_b128 v[16:19], v1
	s_wait_dscnt 0x0
	v_mul_f64_e32 v[2:3], v[14:15], v[18:19]
	v_mul_f64_e32 v[18:19], v[12:13], v[18:19]
	s_delay_alu instid0(VALU_DEP_1) | instskip(NEXT) | instid1(VALU_DEP_1)
	v_fmac_f64_e32 v[18:19], v[14:15], v[16:17]
	v_dual_fma_f64 v[2:3], v[12:13], v[16:17], -v[2:3] :: v_dual_mov_b32 v14, v18
	s_delay_alu instid0(VALU_DEP_1) | instskip(NEXT) | instid1(VALU_DEP_3)
	v_xor_b32_e32 v13, 0x80000000, v3
	v_xor_b32_e32 v15, 0x80000000, v19
	s_delay_alu instid0(VALU_DEP_3)
	v_mov_b32_e32 v12, v2
	ds_store_b128 v21, v[12:15]
	v_mov_b64_e32 v[12:13], v[2:3]
	v_mov_b64_e32 v[14:15], v[18:19]
.LBB90_440:                             ;   in Loop: Header=BB90_3 Depth=1
	s_or_b32 exec_lo, exec_lo, s35
	s_wait_dscnt 0x0
	s_barrier_signal -1
	s_barrier_wait -1
	s_barrier_signal -1
	s_barrier_wait -1
	s_and_saveexec_b32 s35, s2
; %bb.441:                              ;   in Loop: Header=BB90_3 Depth=1
	ds_store_b128 v45, v[12:15] offset:1536
; %bb.442:                              ;   in Loop: Header=BB90_3 Depth=1
	s_or_b32 exec_lo, exec_lo, s35
	s_wait_dscnt 0x0
	s_barrier_signal -1
	s_barrier_wait -1
	s_barrier_signal -1
	s_barrier_wait -1
	s_and_saveexec_b32 s35, s66
	s_cbranch_execz .LBB90_444
; %bb.443:                              ;   in Loop: Header=BB90_3 Depth=1
	ds_load_b128 v[12:15], v122
	s_wait_dscnt 0x0
	ds_store_b128 v129, v[12:15]
	ds_load_b128 v[12:15], v123
	s_wait_dscnt 0x0
	ds_store_b128 v130, v[12:15]
.LBB90_444:                             ;   in Loop: Header=BB90_3 Depth=1
	s_or_b32 exec_lo, exec_lo, s35
	s_wait_dscnt 0x0
	s_barrier_signal -1
	s_barrier_wait -1
	s_and_saveexec_b32 s35, s29
	s_cbranch_execz .LBB90_446
; %bb.445:                              ;   in Loop: Header=BB90_3 Depth=1
	ds_load_b128 v[12:15], v1 offset:528
	ds_load_b128 v[16:19], v1
	s_wait_dscnt 0x0
	v_mul_f64_e32 v[2:3], v[14:15], v[18:19]
	v_mul_f64_e32 v[200:201], v[12:13], v[18:19]
	s_delay_alu instid0(VALU_DEP_2) | instskip(NEXT) | instid1(VALU_DEP_2)
	v_fma_f64 v[2:3], v[12:13], v[16:17], -v[2:3]
	v_fmac_f64_e32 v[200:201], v[14:15], v[16:17]
	ds_load_b128 v[12:15], v1 offset:512
	s_wait_dscnt 0x0
	v_mul_f64_e32 v[18:19], v[2:3], v[14:15]
	v_mul_f64_e32 v[16:17], v[200:201], v[14:15]
	s_delay_alu instid0(VALU_DEP_2) | instskip(NEXT) | instid1(VALU_DEP_2)
	v_fmac_f64_e32 v[18:19], v[12:13], v[200:201]
	v_fma_f64 v[16:17], v[12:13], v[2:3], -v[16:17]
	ds_store_b128 v1, v[16:19] offset:512
	ds_store_b128 v1, v[16:19] offset:16
.LBB90_446:                             ;   in Loop: Header=BB90_3 Depth=1
	s_or_b32 exec_lo, exec_lo, s35
.LBB90_447:                             ;   in Loop: Header=BB90_3 Depth=1
	v_mov_b64_e32 v[12:13], 0
	v_mov_b64_e32 v[14:15], 0
	s_mul_u64 s[40:41], s[38:39], s[52:53]
	s_wait_dscnt 0x0
	s_lshl_b64 s[40:41], s[40:41], 4
	s_barrier_signal -1
	s_add_nc_u64 s[40:41], s[48:49], s[40:41]
	s_barrier_wait -1
	s_and_saveexec_b32 s35, s90
	s_cbranch_execz .LBB90_449
; %bb.448:                              ;   in Loop: Header=BB90_3 Depth=1
	v_lshl_add_u64 v[2:3], v[30:31], 4, s[40:41]
	global_load_b128 v[14:17], v[2:3], off
	s_wait_loadcnt 0x0
	v_mul_f64_e32 v[2:3], s[44:45], v[14:15]
	s_delay_alu instid0(VALU_DEP_1) | instskip(SKIP_1) | instid1(VALU_DEP_1)
	v_fma_f64 v[12:13], s[46:47], v[16:17], -v[2:3]
	v_mul_f64_e32 v[2:3], s[44:45], v[16:17]
	v_fma_f64 v[14:15], v[14:15], -s[46:47], -v[2:3]
.LBB90_449:                             ;   in Loop: Header=BB90_3 Depth=1
	s_or_b32 exec_lo, exec_lo, s35
	s_delay_alu instid0(SALU_CYCLE_1)
	s_and_not1_b32 vcc_lo, exec_lo, s91
	s_cbranch_vccnz .LBB90_472
; %bb.450:                              ;   in Loop: Header=BB90_3 Depth=1
	v_mov_b32_e32 v199, -1
	s_lshl_b64 s[56:57], s[52:53], 2
	s_mov_b32 s95, 0
	s_add_nc_u64 s[56:57], s[54:55], s[56:57]
	s_branch .LBB90_453
.LBB90_451:                             ;   in Loop: Header=BB90_453 Depth=2
	ds_load_b128 v[200:203], v125 offset:256
	s_wait_loadcnt_dscnt 0x0
	v_mul_f64_e32 v[2:3], v[18:19], v[202:203]
	v_mul_f64_e32 v[18:19], v[18:19], v[200:201]
	s_delay_alu instid0(VALU_DEP_2) | instskip(NEXT) | instid1(VALU_DEP_2)
	v_fmac_f64_e32 v[2:3], v[16:17], v[200:201]
	v_fma_f64 v[16:17], v[16:17], v[202:203], -v[18:19]
	s_delay_alu instid0(VALU_DEP_2) | instskip(NEXT) | instid1(VALU_DEP_2)
	v_add_f64_e32 v[12:13], v[12:13], v[2:3]
	v_add_f64_e32 v[14:15], v[14:15], v[16:17]
.LBB90_452:                             ;   in Loop: Header=BB90_453 Depth=2
	s_or_b32 exec_lo, exec_lo, s35
	s_add_co_i32 s95, s95, 1
	s_delay_alu instid0(SALU_CYCLE_1)
	s_cmp_eq_u32 s95, s60
	s_cbranch_scc1 .LBB90_472
.LBB90_453:                             ;   Parent Loop BB90_3 Depth=1
                                        ; =>  This Loop Header: Depth=2
                                        ;       Child Loop BB90_455 Depth 3
	v_cmp_gt_i32_e32 vcc_lo, s95, v199
	s_and_b32 s96, s33, vcc_lo
	s_delay_alu instid0(SALU_CYCLE_1)
	s_and_saveexec_b32 s35, s96
	s_cbranch_execz .LBB90_456
; %bb.454:                              ;   in Loop: Header=BB90_453 Depth=2
	global_load_b32 v199, v1, s[56:57]
	s_wait_loadcnt 0x0
	v_cmp_le_i32_e32 vcc_lo, s95, v199
	s_cbranch_vccnz .LBB90_456
.LBB90_455:                             ;   Parent Loop BB90_3 Depth=1
                                        ;     Parent Loop BB90_453 Depth=2
                                        ; =>    This Inner Loop Header: Depth=3
	global_wb scope:SCOPE_DEV
	s_wait_storecnt 0x0
	global_inv scope:SCOPE_DEV
	global_load_b32 v199, v1, s[56:57]
	s_wait_loadcnt 0x0
	v_cmp_gt_i32_e32 vcc_lo, s95, v199
	s_cbranch_vccnz .LBB90_455
.LBB90_456:                             ;   in Loop: Header=BB90_453 Depth=2
	s_or_b32 exec_lo, exec_lo, s35
	s_lshl_b32 s35, s95, 5
	global_wb scope:SCOPE_DEV
	s_wait_storecnt 0x0
	global_inv scope:SCOPE_DEV
	s_wait_loadcnt 0x0
	s_barrier_signal -1
	s_barrier_wait -1
	s_and_saveexec_b32 s96, s34
	s_cbranch_execz .LBB90_461
; %bb.457:                              ;   in Loop: Header=BB90_453 Depth=2
	v_or_b32_e32 v0, s35, v22
	s_delay_alu instid0(VALU_DEP_1) | instskip(SKIP_1) | instid1(SALU_CYCLE_1)
	v_cmp_le_i32_e32 vcc_lo, s59, v0
	s_and_saveexec_b32 s97, vcc_lo
	s_xor_b32 vcc_lo, exec_lo, s97
; %bb.458:                              ;   in Loop: Header=BB90_453 Depth=2
	v_dual_mov_b32 v0, v1 :: v_dual_mov_b32 v2, v1
	v_mov_b32_e32 v3, v1
	ds_store_b128 v195, v[0:3]
; %bb.459:                              ;   in Loop: Header=BB90_453 Depth=2
	s_and_not1_saveexec_b32 s97, vcc_lo
	s_cbranch_execz .LBB90_461
; %bb.460:                              ;   in Loop: Header=BB90_453 Depth=2
	v_mul_u64_e32 v[2:3], s[36:37], v[0:1]
	s_delay_alu instid0(VALU_DEP_1)
	v_lshl_add_u64 v[2:3], v[2:3], 4, s[40:41]
	global_load_b128 v[16:19], v[2:3], off
	s_wait_loadcnt 0x0
	ds_store_2addr_b64 v195, v[16:17], v[18:19] offset1:1
.LBB90_461:                             ;   in Loop: Header=BB90_453 Depth=2
	s_or_b32 exec_lo, exec_lo, s96
	v_add_nc_u32_e32 v0, s35, v40
	v_cmp_ne_u32_e32 vcc_lo, s95, v41
	s_wait_dscnt 0x0
	s_barrier_signal -1
	s_barrier_wait -1
	v_cmp_gt_i32_e64 s35, s59, v0
	v_lshl_add_u64 v[2:3], v[0:1], 4, v[38:39]
	v_cndmask_b32_e64 v200, 0, 1, vcc_lo
	s_and_b32 s96, s35, s0
	s_delay_alu instid0(SALU_CYCLE_1)
	s_and_saveexec_b32 s35, s96
	s_cbranch_execz .LBB90_467
; %bb.462:                              ;   in Loop: Header=BB90_453 Depth=2
	v_mov_b64_e32 v[16:17], v[4:5]
	s_and_not1_b32 vcc_lo, exec_lo, vcc_lo
	s_cbranch_vccnz .LBB90_464
; %bb.463:                              ;   in Loop: Header=BB90_453 Depth=2
	global_load_b64 v[16:17], v[2:3], off
.LBB90_464:                             ;   in Loop: Header=BB90_453 Depth=2
	v_cmp_ne_u32_e32 vcc_lo, 1, v200
	v_mov_b64_e32 v[18:19], v[6:7]
	s_cbranch_vccnz .LBB90_466
; %bb.465:                              ;   in Loop: Header=BB90_453 Depth=2
	global_load_b64 v[18:19], v[2:3], off offset:8
.LBB90_466:                             ;   in Loop: Header=BB90_453 Depth=2
	ds_load_b128 v[202:205], v125
	s_wait_loadcnt_dscnt 0x0
	v_mul_f64_e32 v[206:207], v[18:19], v[204:205]
	v_mul_f64_e32 v[18:19], v[18:19], v[202:203]
	s_delay_alu instid0(VALU_DEP_2) | instskip(NEXT) | instid1(VALU_DEP_2)
	v_fmac_f64_e32 v[206:207], v[16:17], v[202:203]
	v_fma_f64 v[16:17], v[16:17], v[204:205], -v[18:19]
	s_delay_alu instid0(VALU_DEP_2) | instskip(NEXT) | instid1(VALU_DEP_2)
	v_add_f64_e32 v[12:13], v[12:13], v[206:207]
	v_add_f64_e32 v[14:15], v[14:15], v[16:17]
.LBB90_467:                             ;   in Loop: Header=BB90_453 Depth=2
	s_or_b32 exec_lo, exec_lo, s35
	v_add_nc_u32_e32 v0, 16, v0
	s_delay_alu instid0(VALU_DEP_1) | instskip(SKIP_1) | instid1(SALU_CYCLE_1)
	v_cmp_gt_i32_e32 vcc_lo, s59, v0
	s_and_b32 s96, vcc_lo, s0
	s_and_saveexec_b32 s35, s96
	s_cbranch_execz .LBB90_452
; %bb.468:                              ;   in Loop: Header=BB90_453 Depth=2
	v_cmp_ne_u32_e32 vcc_lo, 1, v200
	v_mov_b64_e32 v[16:17], v[8:9]
	s_cbranch_vccnz .LBB90_470
; %bb.469:                              ;   in Loop: Header=BB90_453 Depth=2
	global_load_b64 v[16:17], v[2:3], off offset:256
.LBB90_470:                             ;   in Loop: Header=BB90_453 Depth=2
	v_cmp_ne_u32_e32 vcc_lo, 1, v200
	v_mov_b64_e32 v[18:19], v[10:11]
	s_cbranch_vccnz .LBB90_451
; %bb.471:                              ;   in Loop: Header=BB90_453 Depth=2
	global_load_b64 v[18:19], v[2:3], off offset:264
	s_branch .LBB90_451
.LBB90_472:                             ;   in Loop: Header=BB90_3 Depth=1
	ds_store_b128 v196, v[12:15]
	s_wait_dscnt 0x0
	s_barrier_signal -1
	s_barrier_wait -1
	s_and_saveexec_b32 s35, s3
	s_cbranch_execz .LBB90_474
; %bb.473:                              ;   in Loop: Header=BB90_3 Depth=1
	ds_load_b128 v[16:19], v197 offset:512
	s_wait_dscnt 0x0
	v_add_f64_e32 v[2:3], v[12:13], v[16:17]
	v_add_f64_e32 v[16:17], v[14:15], v[18:19]
	ds_load_b128 v[12:15], v197 offset:1024
	s_wait_dscnt 0x0
	v_add_f64_e32 v[2:3], v[2:3], v[12:13]
	v_add_f64_e32 v[16:17], v[16:17], v[14:15]
	;; [unrolled: 4-line block ×15, first 2 shown]
	s_delay_alu instid0(VALU_DEP_2) | instskip(NEXT) | instid1(VALU_DEP_2)
	v_xor_b32_e32 v0, 0x80000000, v3
	v_xor_b32_e32 v3, 0x80000000, v15
	s_delay_alu instid0(VALU_DEP_4) | instskip(NEXT) | instid1(VALU_DEP_4)
	v_cndmask_b32_e64 v12, v2, 0, s89
	v_cndmask_b32_e64 v14, v14, 0, s89
	s_delay_alu instid0(VALU_DEP_4) | instskip(NEXT) | instid1(VALU_DEP_4)
	v_cndmask_b32_e64 v13, v0, 0, s89
	v_cndmask_b32_e64 v15, v3, 0, s89
.LBB90_474:                             ;   in Loop: Header=BB90_3 Depth=1
	s_or_b32 exec_lo, exec_lo, s35
	s_delay_alu instid0(SALU_CYCLE_1)
	s_and_not1_b32 vcc_lo, exec_lo, s63
	s_cbranch_vccnz .LBB90_483
; %bb.475:                              ;   in Loop: Header=BB90_3 Depth=1
	s_and_saveexec_b32 s35, s3
; %bb.476:                              ;   in Loop: Header=BB90_3 Depth=1
	ds_store_b128 v198, v[12:15]
; %bb.477:                              ;   in Loop: Header=BB90_3 Depth=1
	s_or_b32 exec_lo, exec_lo, s35
	v_mov_b64_e32 v[16:17], 0
	v_mov_b64_e32 v[18:19], 0
	s_wait_dscnt 0x0
	s_barrier_signal -1
	s_barrier_wait -1
	s_and_saveexec_b32 s35, s1
	s_cbranch_execz .LBB90_479
; %bb.478:                              ;   in Loop: Header=BB90_3 Depth=1
	ds_load_b128 v[16:19], v125
	ds_load_b128 v[200:203], v131
	s_wait_dscnt 0x0
	v_mul_f64_e32 v[2:3], v[18:19], v[202:203]
	v_mul_f64_e32 v[38:39], v[16:17], v[202:203]
	s_delay_alu instid0(VALU_DEP_2) | instskip(NEXT) | instid1(VALU_DEP_2)
	v_fma_f64 v[2:3], v[16:17], v[200:201], -v[2:3]
	v_fmac_f64_e32 v[38:39], v[18:19], v[200:201]
	s_delay_alu instid0(VALU_DEP_2) | instskip(NEXT) | instid1(VALU_DEP_2)
	v_add_f64_e32 v[16:17], 0, v[2:3]
	v_add_f64_e32 v[18:19], 0, v[38:39]
.LBB90_479:                             ;   in Loop: Header=BB90_3 Depth=1
	s_or_b32 exec_lo, exec_lo, s35
	s_and_saveexec_b32 s35, s7
	s_cbranch_execz .LBB90_481
; %bb.480:                              ;   in Loop: Header=BB90_3 Depth=1
	ds_load_b128 v[200:203], v125 offset:256
	ds_load_b128 v[204:207], v131 offset:8192
	s_wait_dscnt 0x0
	v_mul_f64_e32 v[2:3], v[202:203], v[206:207]
	v_mul_f64_e32 v[38:39], v[200:201], v[206:207]
	s_delay_alu instid0(VALU_DEP_2) | instskip(NEXT) | instid1(VALU_DEP_2)
	v_fma_f64 v[2:3], v[200:201], v[204:205], -v[2:3]
	v_fmac_f64_e32 v[38:39], v[202:203], v[204:205]
	s_delay_alu instid0(VALU_DEP_2) | instskip(NEXT) | instid1(VALU_DEP_2)
	v_add_f64_e32 v[16:17], v[16:17], v[2:3]
	v_add_f64_e32 v[18:19], v[18:19], v[38:39]
.LBB90_481:                             ;   in Loop: Header=BB90_3 Depth=1
	s_or_b32 exec_lo, exec_lo, s35
	s_mov_b32 s56, 0
	s_mov_b32 s35, 0
	ds_store_b128 v196, v[16:19]
	s_wait_dscnt 0x0
	s_barrier_signal -1
	s_barrier_wait -1
                                        ; implicit-def: $vgpr2_vgpr3
                                        ; implicit-def: $vgpr38_vgpr39
	s_and_saveexec_b32 s57, s3
	s_cbranch_execz .LBB90_545
; %bb.482:                              ;   in Loop: Header=BB90_3 Depth=1
	ds_load_b128 v[200:203], v197 offset:512
	s_mov_b32 s35, exec_lo
	s_wait_dscnt 0x0
	v_add_f64_e32 v[2:3], v[16:17], v[200:201]
	v_add_f64_e32 v[38:39], v[18:19], v[202:203]
	ds_load_b128 v[16:19], v197 offset:1024
	s_wait_dscnt 0x0
	v_add_f64_e32 v[2:3], v[2:3], v[16:17]
	v_add_f64_e32 v[38:39], v[38:39], v[18:19]
	ds_load_b128 v[16:19], v197 offset:1536
	;; [unrolled: 4-line block ×14, first 2 shown]
	s_wait_dscnt 0x0
	v_add_f64_e32 v[38:39], v[2:3], v[16:17]
	v_add_f64_e32 v[2:3], v[200:201], v[18:19]
	s_or_b32 exec_lo, exec_lo, s57
	s_delay_alu instid0(SALU_CYCLE_1)
	s_and_b32 vcc_lo, exec_lo, s56
	s_cbranch_vccnz .LBB90_484
	s_branch .LBB90_546
.LBB90_483:                             ;   in Loop: Header=BB90_3 Depth=1
	s_mov_b32 s35, 0
                                        ; implicit-def: $vgpr2_vgpr3
                                        ; implicit-def: $vgpr38_vgpr39
	s_cbranch_execz .LBB90_546
.LBB90_484:                             ;   in Loop: Header=BB90_3 Depth=1
	v_dual_mov_b32 v0, v20 :: v_dual_mov_b32 v2, v132
	s_mov_b32 s56, 0
	s_branch .LBB90_486
.LBB90_485:                             ;   in Loop: Header=BB90_486 Depth=2
	s_or_b32 exec_lo, exec_lo, s57
	v_add_nc_u32_e32 v2, 0x400, v2
	v_add_nc_u32_e32 v0, -2, v0
	s_add_co_i32 s56, s56, 2
	s_delay_alu instid0(SALU_CYCLE_1)
	s_cmp_lg_u32 s56, 32
	s_barrier_signal -1
	s_barrier_wait -1
	s_cbranch_scc0 .LBB90_494
.LBB90_486:                             ;   Parent Loop BB90_3 Depth=1
                                        ; =>  This Inner Loop Header: Depth=2
	s_delay_alu instid0(VALU_DEP_1) | instskip(SKIP_1) | instid1(SALU_CYCLE_1)
	v_cmp_eq_u32_e32 vcc_lo, 0, v0
	s_and_b32 s95, s3, vcc_lo
	s_and_saveexec_b32 s57, s95
	s_cbranch_execz .LBB90_488
; %bb.487:                              ;   in Loop: Header=BB90_486 Depth=2
	ds_load_b128 v[16:19], v127
	s_wait_dscnt 0x0
	v_mul_f64_e32 v[38:39], v[14:15], v[18:19]
	v_mul_f64_e32 v[202:203], v[12:13], v[18:19]
	s_delay_alu instid0(VALU_DEP_2) | instskip(NEXT) | instid1(VALU_DEP_2)
	v_fma_f64 v[200:201], v[12:13], v[16:17], -v[38:39]
	v_fmac_f64_e32 v[202:203], v[14:15], v[16:17]
	s_delay_alu instid0(VALU_DEP_2) | instskip(NEXT) | instid1(VALU_DEP_2)
	v_mov_b64_e32 v[12:13], v[200:201]
	v_mov_b64_e32 v[14:15], v[202:203]
	ds_store_b128 v1, v[200:203] offset:25088
.LBB90_488:                             ;   in Loop: Header=BB90_486 Depth=2
	s_or_b32 exec_lo, exec_lo, s57
	v_cmp_lt_u32_e32 vcc_lo, s56, v20
	s_wait_dscnt 0x0
	s_barrier_signal -1
	s_barrier_wait -1
	s_and_b32 s95, s3, vcc_lo
	s_delay_alu instid0(SALU_CYCLE_1)
	s_and_saveexec_b32 s57, s95
	s_cbranch_execz .LBB90_490
; %bb.489:                              ;   in Loop: Header=BB90_486 Depth=2
	ds_load_b128 v[16:19], v1 offset:25088
	ds_load_b128 v[200:203], v2
	s_wait_dscnt 0x0
	v_mul_f64_e32 v[38:39], v[18:19], v[202:203]
	s_delay_alu instid0(VALU_DEP_1) | instskip(SKIP_1) | instid1(VALU_DEP_2)
	v_fma_f64 v[38:39], v[16:17], v[200:201], -v[38:39]
	v_mul_f64_e32 v[16:17], v[16:17], v[202:203]
	v_add_f64_e32 v[12:13], v[12:13], v[38:39]
	s_delay_alu instid0(VALU_DEP_2) | instskip(NEXT) | instid1(VALU_DEP_1)
	v_fmac_f64_e32 v[16:17], v[18:19], v[200:201]
	v_add_f64_e32 v[14:15], v[14:15], v[16:17]
.LBB90_490:                             ;   in Loop: Header=BB90_486 Depth=2
	s_or_b32 exec_lo, exec_lo, s57
	s_or_b32 s57, s56, 1
	s_delay_alu instid0(SALU_CYCLE_1) | instskip(SKIP_3) | instid1(SALU_CYCLE_1)
	v_cmp_eq_u32_e32 vcc_lo, s57, v20
	s_barrier_signal -1
	s_barrier_wait -1
	s_and_b32 s96, s3, vcc_lo
	s_and_saveexec_b32 s95, s96
	s_cbranch_execz .LBB90_492
; %bb.491:                              ;   in Loop: Header=BB90_486 Depth=2
	ds_load_b128 v[16:19], v127
	s_wait_dscnt 0x0
	v_mul_f64_e32 v[38:39], v[14:15], v[18:19]
	v_mul_f64_e32 v[202:203], v[12:13], v[18:19]
	s_delay_alu instid0(VALU_DEP_2) | instskip(NEXT) | instid1(VALU_DEP_2)
	v_fma_f64 v[200:201], v[12:13], v[16:17], -v[38:39]
	v_fmac_f64_e32 v[202:203], v[14:15], v[16:17]
	s_delay_alu instid0(VALU_DEP_2) | instskip(NEXT) | instid1(VALU_DEP_2)
	v_mov_b64_e32 v[12:13], v[200:201]
	v_mov_b64_e32 v[14:15], v[202:203]
	ds_store_b128 v1, v[200:203] offset:25088
.LBB90_492:                             ;   in Loop: Header=BB90_486 Depth=2
	s_or_b32 exec_lo, exec_lo, s95
	v_cmp_lt_u32_e32 vcc_lo, s57, v20
	s_wait_dscnt 0x0
	s_barrier_signal -1
	s_barrier_wait -1
	s_and_b32 s95, s3, vcc_lo
	s_delay_alu instid0(SALU_CYCLE_1)
	s_and_saveexec_b32 s57, s95
	s_cbranch_execz .LBB90_485
; %bb.493:                              ;   in Loop: Header=BB90_486 Depth=2
	ds_load_b128 v[16:19], v1 offset:25088
	ds_load_b128 v[200:203], v2 offset:512
	s_wait_dscnt 0x0
	v_mul_f64_e32 v[38:39], v[18:19], v[202:203]
	s_delay_alu instid0(VALU_DEP_1) | instskip(SKIP_1) | instid1(VALU_DEP_2)
	v_fma_f64 v[38:39], v[16:17], v[200:201], -v[38:39]
	v_mul_f64_e32 v[16:17], v[16:17], v[202:203]
	v_add_f64_e32 v[12:13], v[12:13], v[38:39]
	s_delay_alu instid0(VALU_DEP_2) | instskip(NEXT) | instid1(VALU_DEP_1)
	v_fmac_f64_e32 v[16:17], v[18:19], v[200:201]
	v_add_f64_e32 v[14:15], v[14:15], v[16:17]
	s_branch .LBB90_485
.LBB90_494:                             ;   in Loop: Header=BB90_3 Depth=1
	s_and_b32 vcc_lo, exec_lo, s62
	s_mov_b32 s56, -1
	s_cbranch_vccz .LBB90_496
; %bb.495:                              ;   in Loop: Header=BB90_3 Depth=1
	s_and_not1_b32 s35, s35, exec_lo
	s_and_b32 s57, s3, exec_lo
	s_mov_b32 s56, 0
	s_or_b32 s35, s35, s57
.LBB90_496:                             ;   in Loop: Header=BB90_3 Depth=1
	s_and_not1_b32 vcc_lo, exec_lo, s56
	s_cbranch_vccnz .LBB90_498
; %bb.497:                              ;   in Loop: Header=BB90_3 Depth=1
	v_readlane_b32 s56, v208, 10
	s_and_not1_b32 s35, s35, exec_lo
	s_and_b32 s56, s56, exec_lo
	s_delay_alu instid0(SALU_CYCLE_1)
	s_or_b32 s35, s35, s56
.LBB90_498:                             ;   in Loop: Header=BB90_3 Depth=1
	v_mov_b64_e32 v[2:3], v[34:35]
	s_and_saveexec_b32 s56, s35
	s_cbranch_execnz .LBB90_547
	s_branch .LBB90_548
.LBB90_499:                             ;   in Loop: Header=BB90_3 Depth=1
	s_mov_b32 s56, exec_lo
	v_readlane_b32 s57, v208, 11
	s_and_b32 s57, s56, s57
	s_delay_alu instid0(SALU_CYCLE_1)
	s_xor_b32 s56, s57, s56
	s_mov_b32 exec_lo, s57
	s_cbranch_execz .LBB90_503
; %bb.500:                              ;   in Loop: Header=BB90_3 Depth=1
	s_mov_b32 s57, exec_lo
	v_readlane_b32 s95, v208, 26
	s_and_b32 s95, s57, s95
	s_delay_alu instid0(SALU_CYCLE_1)
	s_mov_b32 exec_lo, s95
; %bb.501:                              ;   in Loop: Header=BB90_3 Depth=1
	v_dual_mov_b32 v0, v1 :: v_dual_mov_b32 v2, v1
	v_mov_b32_e32 v3, v1
	ds_store_b128 v193, v[0:3]
; %bb.502:                              ;   in Loop: Header=BB90_3 Depth=1
	s_or_b32 exec_lo, exec_lo, s57
.LBB90_503:                             ;   in Loop: Header=BB90_3 Depth=1
	s_and_not1_saveexec_b32 s56, s56
	s_cbranch_execz .LBB90_509
; %bb.504:                              ;   in Loop: Header=BB90_3 Depth=1
	v_lshl_add_u64 v[2:3], v[26:27], 4, s[40:41]
                                        ; implicit-def: $vgpr16_vgpr17
	global_load_b128 v[12:15], v[2:3], off
	s_wait_loadcnt 0x0
	v_cmp_ngt_f64_e64 s57, |v[12:13]|, |v[14:15]|
	s_and_saveexec_b32 s95, s57
	s_delay_alu instid0(SALU_CYCLE_1)
	s_xor_b32 s57, exec_lo, s95
	s_cbranch_execz .LBB90_506
; %bb.505:                              ;   in Loop: Header=BB90_3 Depth=1
	v_div_scale_f64 v[2:3], null, -v[14:15], -v[14:15], v[12:13]
	v_div_scale_f64 v[200:201], vcc_lo, v[12:13], -v[14:15], v[12:13]
	s_delay_alu instid0(VALU_DEP_2) | instskip(SKIP_1) | instid1(TRANS32_DEP_1)
	v_rcp_f64_e32 v[16:17], v[2:3]
	v_nop
	v_fma_f64 v[18:19], -v[2:3], v[16:17], 1.0
	s_delay_alu instid0(VALU_DEP_1) | instskip(NEXT) | instid1(VALU_DEP_1)
	v_fmac_f64_e32 v[16:17], v[16:17], v[18:19]
	v_fma_f64 v[18:19], -v[2:3], v[16:17], 1.0
	s_delay_alu instid0(VALU_DEP_1) | instskip(NEXT) | instid1(VALU_DEP_1)
	v_fmac_f64_e32 v[16:17], v[16:17], v[18:19]
	v_mul_f64_e32 v[18:19], v[200:201], v[16:17]
	s_delay_alu instid0(VALU_DEP_1) | instskip(NEXT) | instid1(VALU_DEP_1)
	v_fma_f64 v[2:3], -v[2:3], v[18:19], v[200:201]
	v_div_fmas_f64 v[2:3], v[2:3], v[16:17], v[18:19]
	s_delay_alu instid0(VALU_DEP_1) | instskip(NEXT) | instid1(VALU_DEP_1)
	v_div_fixup_f64 v[2:3], v[2:3], -v[14:15], v[12:13]
	v_fma_f64 v[12:13], v[12:13], v[2:3], -v[14:15]
	s_delay_alu instid0(VALU_DEP_1) | instskip(NEXT) | instid1(VALU_DEP_1)
	v_div_scale_f64 v[14:15], null, v[12:13], v[12:13], 1.0
	v_rcp_f64_e32 v[16:17], v[14:15]
	v_nop
	s_delay_alu instid0(TRANS32_DEP_1) | instskip(NEXT) | instid1(VALU_DEP_1)
	v_fma_f64 v[18:19], -v[14:15], v[16:17], 1.0
	v_fmac_f64_e32 v[16:17], v[16:17], v[18:19]
	s_delay_alu instid0(VALU_DEP_1) | instskip(NEXT) | instid1(VALU_DEP_1)
	v_fma_f64 v[18:19], -v[14:15], v[16:17], 1.0
	v_fmac_f64_e32 v[16:17], v[16:17], v[18:19]
	v_div_scale_f64 v[18:19], vcc_lo, 1.0, v[12:13], 1.0
	s_delay_alu instid0(VALU_DEP_1) | instskip(NEXT) | instid1(VALU_DEP_1)
	v_mul_f64_e32 v[200:201], v[18:19], v[16:17]
	v_fma_f64 v[14:15], -v[14:15], v[200:201], v[18:19]
	s_delay_alu instid0(VALU_DEP_1) | instskip(NEXT) | instid1(VALU_DEP_1)
	v_div_fmas_f64 v[14:15], v[14:15], v[16:17], v[200:201]
	v_div_fixup_f64 v[18:19], v[14:15], v[12:13], 1.0
                                        ; implicit-def: $vgpr12_vgpr13
	s_delay_alu instid0(VALU_DEP_1)
	v_mul_f64_e32 v[16:17], v[2:3], v[18:19]
	v_xor_b32_e32 v19, 0x80000000, v19
.LBB90_506:                             ;   in Loop: Header=BB90_3 Depth=1
	s_and_not1_saveexec_b32 s57, s57
	s_cbranch_execz .LBB90_508
; %bb.507:                              ;   in Loop: Header=BB90_3 Depth=1
	v_div_scale_f64 v[2:3], null, v[12:13], v[12:13], -v[14:15]
	v_div_scale_f64 v[200:201], vcc_lo, -v[14:15], v[12:13], -v[14:15]
	s_delay_alu instid0(VALU_DEP_2) | instskip(SKIP_1) | instid1(TRANS32_DEP_1)
	v_rcp_f64_e32 v[16:17], v[2:3]
	v_nop
	v_fma_f64 v[18:19], -v[2:3], v[16:17], 1.0
	s_delay_alu instid0(VALU_DEP_1) | instskip(NEXT) | instid1(VALU_DEP_1)
	v_fmac_f64_e32 v[16:17], v[16:17], v[18:19]
	v_fma_f64 v[18:19], -v[2:3], v[16:17], 1.0
	s_delay_alu instid0(VALU_DEP_1) | instskip(NEXT) | instid1(VALU_DEP_1)
	v_fmac_f64_e32 v[16:17], v[16:17], v[18:19]
	v_mul_f64_e32 v[18:19], v[200:201], v[16:17]
	s_delay_alu instid0(VALU_DEP_1) | instskip(NEXT) | instid1(VALU_DEP_1)
	v_fma_f64 v[2:3], -v[2:3], v[18:19], v[200:201]
	v_div_fmas_f64 v[2:3], v[2:3], v[16:17], v[18:19]
	s_delay_alu instid0(VALU_DEP_1) | instskip(NEXT) | instid1(VALU_DEP_1)
	v_div_fixup_f64 v[2:3], v[2:3], v[12:13], -v[14:15]
	v_fma_f64 v[12:13], -v[14:15], v[2:3], v[12:13]
	s_delay_alu instid0(VALU_DEP_1) | instskip(NEXT) | instid1(VALU_DEP_1)
	v_div_scale_f64 v[14:15], null, v[12:13], v[12:13], 1.0
	v_rcp_f64_e32 v[16:17], v[14:15]
	v_nop
	s_delay_alu instid0(TRANS32_DEP_1) | instskip(NEXT) | instid1(VALU_DEP_1)
	v_fma_f64 v[18:19], -v[14:15], v[16:17], 1.0
	v_fmac_f64_e32 v[16:17], v[16:17], v[18:19]
	s_delay_alu instid0(VALU_DEP_1) | instskip(NEXT) | instid1(VALU_DEP_1)
	v_fma_f64 v[18:19], -v[14:15], v[16:17], 1.0
	v_fmac_f64_e32 v[16:17], v[16:17], v[18:19]
	v_div_scale_f64 v[18:19], vcc_lo, 1.0, v[12:13], 1.0
	s_delay_alu instid0(VALU_DEP_1) | instskip(NEXT) | instid1(VALU_DEP_1)
	v_mul_f64_e32 v[200:201], v[18:19], v[16:17]
	v_fma_f64 v[14:15], -v[14:15], v[200:201], v[18:19]
	s_delay_alu instid0(VALU_DEP_1) | instskip(NEXT) | instid1(VALU_DEP_1)
	v_div_fmas_f64 v[14:15], v[14:15], v[16:17], v[200:201]
	v_div_fixup_f64 v[16:17], v[14:15], v[12:13], 1.0
	s_delay_alu instid0(VALU_DEP_1)
	v_mul_f64_e64 v[18:19], v[2:3], -v[16:17]
.LBB90_508:                             ;   in Loop: Header=BB90_3 Depth=1
	s_or_b32 exec_lo, exec_lo, s57
	ds_store_b128 v193, v[16:19]
.LBB90_509:                             ;   in Loop: Header=BB90_3 Depth=1
	s_or_b32 exec_lo, exec_lo, s56
	s_and_not1_saveexec_b32 s35, s35
	s_cbranch_execz .LBB90_13
.LBB90_510:                             ;   in Loop: Header=BB90_3 Depth=1
	v_lshl_add_u64 v[2:3], v[26:27], 4, s[40:41]
	global_load_b128 v[12:15], v[2:3], off
	s_wait_loadcnt 0x0
	v_xor_b32_e32 v13, 0x80000000, v13
	ds_store_b128 v193, v[12:15]
	s_or_b32 exec_lo, exec_lo, s35
	s_and_saveexec_b32 s35, s7
	s_delay_alu instid0(SALU_CYCLE_1)
	s_xor_b32 s35, exec_lo, s35
	s_cbranch_execz .LBB90_14
.LBB90_511:                             ;   in Loop: Header=BB90_3 Depth=1
	s_mov_b32 s56, exec_lo
	v_readlane_b32 s57, v208, 13
	s_and_b32 s57, s56, s57
	s_delay_alu instid0(SALU_CYCLE_1)
	s_xor_b32 s56, s57, s56
	s_mov_b32 exec_lo, s57
	s_cbranch_execz .LBB90_515
; %bb.512:                              ;   in Loop: Header=BB90_3 Depth=1
	s_mov_b32 s57, exec_lo
	v_readlane_b32 s95, v208, 27
	s_and_b32 s95, s57, s95
	s_delay_alu instid0(SALU_CYCLE_1)
	s_mov_b32 exec_lo, s95
; %bb.513:                              ;   in Loop: Header=BB90_3 Depth=1
	v_dual_mov_b32 v0, v1 :: v_dual_mov_b32 v2, v1
	v_mov_b32_e32 v3, v1
	ds_store_b128 v194, v[0:3]
; %bb.514:                              ;   in Loop: Header=BB90_3 Depth=1
	s_or_b32 exec_lo, exec_lo, s57
.LBB90_515:                             ;   in Loop: Header=BB90_3 Depth=1
	s_and_not1_saveexec_b32 s56, s56
	s_cbranch_execz .LBB90_521
; %bb.516:                              ;   in Loop: Header=BB90_3 Depth=1
	v_lshl_add_u64 v[2:3], v[32:33], 4, s[40:41]
                                        ; implicit-def: $vgpr16_vgpr17
	global_load_b128 v[12:15], v[2:3], off
	s_wait_loadcnt 0x0
	v_cmp_ngt_f64_e64 s57, |v[12:13]|, |v[14:15]|
	s_and_saveexec_b32 s95, s57
	s_delay_alu instid0(SALU_CYCLE_1)
	s_xor_b32 s57, exec_lo, s95
	s_cbranch_execz .LBB90_518
; %bb.517:                              ;   in Loop: Header=BB90_3 Depth=1
	v_div_scale_f64 v[2:3], null, -v[14:15], -v[14:15], v[12:13]
	v_div_scale_f64 v[200:201], vcc_lo, v[12:13], -v[14:15], v[12:13]
	s_delay_alu instid0(VALU_DEP_2) | instskip(SKIP_1) | instid1(TRANS32_DEP_1)
	v_rcp_f64_e32 v[16:17], v[2:3]
	v_nop
	v_fma_f64 v[18:19], -v[2:3], v[16:17], 1.0
	s_delay_alu instid0(VALU_DEP_1) | instskip(NEXT) | instid1(VALU_DEP_1)
	v_fmac_f64_e32 v[16:17], v[16:17], v[18:19]
	v_fma_f64 v[18:19], -v[2:3], v[16:17], 1.0
	s_delay_alu instid0(VALU_DEP_1) | instskip(NEXT) | instid1(VALU_DEP_1)
	v_fmac_f64_e32 v[16:17], v[16:17], v[18:19]
	v_mul_f64_e32 v[18:19], v[200:201], v[16:17]
	s_delay_alu instid0(VALU_DEP_1) | instskip(NEXT) | instid1(VALU_DEP_1)
	v_fma_f64 v[2:3], -v[2:3], v[18:19], v[200:201]
	v_div_fmas_f64 v[2:3], v[2:3], v[16:17], v[18:19]
	s_delay_alu instid0(VALU_DEP_1) | instskip(NEXT) | instid1(VALU_DEP_1)
	v_div_fixup_f64 v[2:3], v[2:3], -v[14:15], v[12:13]
	v_fma_f64 v[12:13], v[12:13], v[2:3], -v[14:15]
	s_delay_alu instid0(VALU_DEP_1) | instskip(NEXT) | instid1(VALU_DEP_1)
	v_div_scale_f64 v[14:15], null, v[12:13], v[12:13], 1.0
	v_rcp_f64_e32 v[16:17], v[14:15]
	v_nop
	s_delay_alu instid0(TRANS32_DEP_1) | instskip(NEXT) | instid1(VALU_DEP_1)
	v_fma_f64 v[18:19], -v[14:15], v[16:17], 1.0
	v_fmac_f64_e32 v[16:17], v[16:17], v[18:19]
	s_delay_alu instid0(VALU_DEP_1) | instskip(NEXT) | instid1(VALU_DEP_1)
	v_fma_f64 v[18:19], -v[14:15], v[16:17], 1.0
	v_fmac_f64_e32 v[16:17], v[16:17], v[18:19]
	v_div_scale_f64 v[18:19], vcc_lo, 1.0, v[12:13], 1.0
	s_delay_alu instid0(VALU_DEP_1) | instskip(NEXT) | instid1(VALU_DEP_1)
	v_mul_f64_e32 v[200:201], v[18:19], v[16:17]
	v_fma_f64 v[14:15], -v[14:15], v[200:201], v[18:19]
	s_delay_alu instid0(VALU_DEP_1) | instskip(NEXT) | instid1(VALU_DEP_1)
	v_div_fmas_f64 v[14:15], v[14:15], v[16:17], v[200:201]
	v_div_fixup_f64 v[18:19], v[14:15], v[12:13], 1.0
                                        ; implicit-def: $vgpr12_vgpr13
	s_delay_alu instid0(VALU_DEP_1)
	v_mul_f64_e32 v[16:17], v[2:3], v[18:19]
	v_xor_b32_e32 v19, 0x80000000, v19
.LBB90_518:                             ;   in Loop: Header=BB90_3 Depth=1
	s_and_not1_saveexec_b32 s57, s57
	s_cbranch_execz .LBB90_520
; %bb.519:                              ;   in Loop: Header=BB90_3 Depth=1
	v_div_scale_f64 v[2:3], null, v[12:13], v[12:13], -v[14:15]
	v_div_scale_f64 v[200:201], vcc_lo, -v[14:15], v[12:13], -v[14:15]
	s_delay_alu instid0(VALU_DEP_2) | instskip(SKIP_1) | instid1(TRANS32_DEP_1)
	v_rcp_f64_e32 v[16:17], v[2:3]
	v_nop
	v_fma_f64 v[18:19], -v[2:3], v[16:17], 1.0
	s_delay_alu instid0(VALU_DEP_1) | instskip(NEXT) | instid1(VALU_DEP_1)
	v_fmac_f64_e32 v[16:17], v[16:17], v[18:19]
	v_fma_f64 v[18:19], -v[2:3], v[16:17], 1.0
	s_delay_alu instid0(VALU_DEP_1) | instskip(NEXT) | instid1(VALU_DEP_1)
	v_fmac_f64_e32 v[16:17], v[16:17], v[18:19]
	v_mul_f64_e32 v[18:19], v[200:201], v[16:17]
	s_delay_alu instid0(VALU_DEP_1) | instskip(NEXT) | instid1(VALU_DEP_1)
	v_fma_f64 v[2:3], -v[2:3], v[18:19], v[200:201]
	v_div_fmas_f64 v[2:3], v[2:3], v[16:17], v[18:19]
	s_delay_alu instid0(VALU_DEP_1) | instskip(NEXT) | instid1(VALU_DEP_1)
	v_div_fixup_f64 v[2:3], v[2:3], v[12:13], -v[14:15]
	v_fma_f64 v[12:13], -v[14:15], v[2:3], v[12:13]
	s_delay_alu instid0(VALU_DEP_1) | instskip(NEXT) | instid1(VALU_DEP_1)
	v_div_scale_f64 v[14:15], null, v[12:13], v[12:13], 1.0
	v_rcp_f64_e32 v[16:17], v[14:15]
	v_nop
	s_delay_alu instid0(TRANS32_DEP_1) | instskip(NEXT) | instid1(VALU_DEP_1)
	v_fma_f64 v[18:19], -v[14:15], v[16:17], 1.0
	v_fmac_f64_e32 v[16:17], v[16:17], v[18:19]
	s_delay_alu instid0(VALU_DEP_1) | instskip(NEXT) | instid1(VALU_DEP_1)
	v_fma_f64 v[18:19], -v[14:15], v[16:17], 1.0
	v_fmac_f64_e32 v[16:17], v[16:17], v[18:19]
	v_div_scale_f64 v[18:19], vcc_lo, 1.0, v[12:13], 1.0
	s_delay_alu instid0(VALU_DEP_1) | instskip(NEXT) | instid1(VALU_DEP_1)
	v_mul_f64_e32 v[200:201], v[18:19], v[16:17]
	v_fma_f64 v[14:15], -v[14:15], v[200:201], v[18:19]
	s_delay_alu instid0(VALU_DEP_1) | instskip(NEXT) | instid1(VALU_DEP_1)
	v_div_fmas_f64 v[14:15], v[14:15], v[16:17], v[200:201]
	v_div_fixup_f64 v[16:17], v[14:15], v[12:13], 1.0
	s_delay_alu instid0(VALU_DEP_1)
	v_mul_f64_e64 v[18:19], v[2:3], -v[16:17]
.LBB90_520:                             ;   in Loop: Header=BB90_3 Depth=1
	s_or_b32 exec_lo, exec_lo, s57
	ds_store_b128 v194, v[16:19]
.LBB90_521:                             ;   in Loop: Header=BB90_3 Depth=1
	s_or_b32 exec_lo, exec_lo, s56
	s_and_not1_saveexec_b32 s35, s35
	s_cbranch_execnz .LBB90_15
	s_branch .LBB90_16
.LBB90_522:                             ;   in Loop: Header=BB90_3 Depth=1
	s_mov_b32 s56, exec_lo
	v_readlane_b32 s57, v208, 12
	s_and_b32 s57, s56, s57
	s_delay_alu instid0(SALU_CYCLE_1)
	s_xor_b32 s56, s57, s56
	s_mov_b32 exec_lo, s57
	s_cbranch_execz .LBB90_526
; %bb.523:                              ;   in Loop: Header=BB90_3 Depth=1
	s_mov_b32 s57, exec_lo
	v_readlane_b32 s95, v208, 26
	s_and_b32 s95, s57, s95
	s_delay_alu instid0(SALU_CYCLE_1)
	s_mov_b32 exec_lo, s95
; %bb.524:                              ;   in Loop: Header=BB90_3 Depth=1
	v_dual_mov_b32 v0, v1 :: v_dual_mov_b32 v2, v1
	v_mov_b32_e32 v3, v1
	ds_store_b128 v124, v[0:3]
; %bb.525:                              ;   in Loop: Header=BB90_3 Depth=1
	s_or_b32 exec_lo, exec_lo, s57
.LBB90_526:                             ;   in Loop: Header=BB90_3 Depth=1
	s_and_not1_saveexec_b32 s56, s56
	s_cbranch_execz .LBB90_532
; %bb.527:                              ;   in Loop: Header=BB90_3 Depth=1
	v_lshl_add_u64 v[2:3], v[26:27], 4, s[40:41]
                                        ; implicit-def: $vgpr16_vgpr17
	global_load_b128 v[12:15], v[2:3], off
	s_wait_loadcnt 0x0
	v_cmp_ngt_f64_e64 s57, |v[12:13]|, |v[14:15]|
	s_and_saveexec_b32 s95, s57
	s_delay_alu instid0(SALU_CYCLE_1)
	s_xor_b32 s57, exec_lo, s95
	s_cbranch_execz .LBB90_529
; %bb.528:                              ;   in Loop: Header=BB90_3 Depth=1
	v_div_scale_f64 v[2:3], null, -v[14:15], -v[14:15], v[12:13]
	v_div_scale_f64 v[200:201], vcc_lo, v[12:13], -v[14:15], v[12:13]
	s_delay_alu instid0(VALU_DEP_2) | instskip(SKIP_1) | instid1(TRANS32_DEP_1)
	v_rcp_f64_e32 v[16:17], v[2:3]
	v_nop
	v_fma_f64 v[18:19], -v[2:3], v[16:17], 1.0
	s_delay_alu instid0(VALU_DEP_1) | instskip(NEXT) | instid1(VALU_DEP_1)
	v_fmac_f64_e32 v[16:17], v[16:17], v[18:19]
	v_fma_f64 v[18:19], -v[2:3], v[16:17], 1.0
	s_delay_alu instid0(VALU_DEP_1) | instskip(NEXT) | instid1(VALU_DEP_1)
	v_fmac_f64_e32 v[16:17], v[16:17], v[18:19]
	v_mul_f64_e32 v[18:19], v[200:201], v[16:17]
	s_delay_alu instid0(VALU_DEP_1) | instskip(NEXT) | instid1(VALU_DEP_1)
	v_fma_f64 v[2:3], -v[2:3], v[18:19], v[200:201]
	v_div_fmas_f64 v[2:3], v[2:3], v[16:17], v[18:19]
	s_delay_alu instid0(VALU_DEP_1) | instskip(NEXT) | instid1(VALU_DEP_1)
	v_div_fixup_f64 v[2:3], v[2:3], -v[14:15], v[12:13]
	v_fma_f64 v[12:13], v[12:13], v[2:3], -v[14:15]
	s_delay_alu instid0(VALU_DEP_1) | instskip(NEXT) | instid1(VALU_DEP_1)
	v_div_scale_f64 v[14:15], null, v[12:13], v[12:13], 1.0
	v_rcp_f64_e32 v[16:17], v[14:15]
	v_nop
	s_delay_alu instid0(TRANS32_DEP_1) | instskip(NEXT) | instid1(VALU_DEP_1)
	v_fma_f64 v[18:19], -v[14:15], v[16:17], 1.0
	v_fmac_f64_e32 v[16:17], v[16:17], v[18:19]
	s_delay_alu instid0(VALU_DEP_1) | instskip(NEXT) | instid1(VALU_DEP_1)
	v_fma_f64 v[18:19], -v[14:15], v[16:17], 1.0
	v_fmac_f64_e32 v[16:17], v[16:17], v[18:19]
	v_div_scale_f64 v[18:19], vcc_lo, 1.0, v[12:13], 1.0
	s_delay_alu instid0(VALU_DEP_1) | instskip(NEXT) | instid1(VALU_DEP_1)
	v_mul_f64_e32 v[200:201], v[18:19], v[16:17]
	v_fma_f64 v[14:15], -v[14:15], v[200:201], v[18:19]
	s_delay_alu instid0(VALU_DEP_1) | instskip(NEXT) | instid1(VALU_DEP_1)
	v_div_fmas_f64 v[14:15], v[14:15], v[16:17], v[200:201]
	v_div_fixup_f64 v[18:19], v[14:15], v[12:13], 1.0
                                        ; implicit-def: $vgpr12_vgpr13
	s_delay_alu instid0(VALU_DEP_1)
	v_mul_f64_e32 v[16:17], v[2:3], v[18:19]
	v_xor_b32_e32 v19, 0x80000000, v19
.LBB90_529:                             ;   in Loop: Header=BB90_3 Depth=1
	s_and_not1_saveexec_b32 s57, s57
	s_cbranch_execz .LBB90_531
; %bb.530:                              ;   in Loop: Header=BB90_3 Depth=1
	v_div_scale_f64 v[2:3], null, v[12:13], v[12:13], -v[14:15]
	v_div_scale_f64 v[200:201], vcc_lo, -v[14:15], v[12:13], -v[14:15]
	s_delay_alu instid0(VALU_DEP_2) | instskip(SKIP_1) | instid1(TRANS32_DEP_1)
	v_rcp_f64_e32 v[16:17], v[2:3]
	v_nop
	v_fma_f64 v[18:19], -v[2:3], v[16:17], 1.0
	s_delay_alu instid0(VALU_DEP_1) | instskip(NEXT) | instid1(VALU_DEP_1)
	v_fmac_f64_e32 v[16:17], v[16:17], v[18:19]
	v_fma_f64 v[18:19], -v[2:3], v[16:17], 1.0
	s_delay_alu instid0(VALU_DEP_1) | instskip(NEXT) | instid1(VALU_DEP_1)
	v_fmac_f64_e32 v[16:17], v[16:17], v[18:19]
	v_mul_f64_e32 v[18:19], v[200:201], v[16:17]
	s_delay_alu instid0(VALU_DEP_1) | instskip(NEXT) | instid1(VALU_DEP_1)
	v_fma_f64 v[2:3], -v[2:3], v[18:19], v[200:201]
	v_div_fmas_f64 v[2:3], v[2:3], v[16:17], v[18:19]
	s_delay_alu instid0(VALU_DEP_1) | instskip(NEXT) | instid1(VALU_DEP_1)
	v_div_fixup_f64 v[2:3], v[2:3], v[12:13], -v[14:15]
	v_fma_f64 v[12:13], -v[14:15], v[2:3], v[12:13]
	s_delay_alu instid0(VALU_DEP_1) | instskip(NEXT) | instid1(VALU_DEP_1)
	v_div_scale_f64 v[14:15], null, v[12:13], v[12:13], 1.0
	v_rcp_f64_e32 v[16:17], v[14:15]
	v_nop
	s_delay_alu instid0(TRANS32_DEP_1) | instskip(NEXT) | instid1(VALU_DEP_1)
	v_fma_f64 v[18:19], -v[14:15], v[16:17], 1.0
	v_fmac_f64_e32 v[16:17], v[16:17], v[18:19]
	s_delay_alu instid0(VALU_DEP_1) | instskip(NEXT) | instid1(VALU_DEP_1)
	v_fma_f64 v[18:19], -v[14:15], v[16:17], 1.0
	v_fmac_f64_e32 v[16:17], v[16:17], v[18:19]
	v_div_scale_f64 v[18:19], vcc_lo, 1.0, v[12:13], 1.0
	s_delay_alu instid0(VALU_DEP_1) | instskip(NEXT) | instid1(VALU_DEP_1)
	v_mul_f64_e32 v[200:201], v[18:19], v[16:17]
	v_fma_f64 v[14:15], -v[14:15], v[200:201], v[18:19]
	s_delay_alu instid0(VALU_DEP_1) | instskip(NEXT) | instid1(VALU_DEP_1)
	v_div_fmas_f64 v[14:15], v[14:15], v[16:17], v[200:201]
	v_div_fixup_f64 v[16:17], v[14:15], v[12:13], 1.0
	s_delay_alu instid0(VALU_DEP_1)
	v_mul_f64_e64 v[18:19], v[2:3], -v[16:17]
.LBB90_531:                             ;   in Loop: Header=BB90_3 Depth=1
	s_or_b32 exec_lo, exec_lo, s57
	ds_store_b128 v124, v[16:19]
.LBB90_532:                             ;   in Loop: Header=BB90_3 Depth=1
	s_or_b32 exec_lo, exec_lo, s56
	s_and_not1_saveexec_b32 s35, s35
	s_cbranch_execz .LBB90_19
.LBB90_533:                             ;   in Loop: Header=BB90_3 Depth=1
	v_lshl_add_u64 v[2:3], v[26:27], 4, s[40:41]
	global_load_b128 v[12:15], v[2:3], off
	s_wait_loadcnt 0x0
	v_xor_b32_e32 v13, 0x80000000, v13
	ds_store_b128 v124, v[12:15]
	s_or_b32 exec_lo, exec_lo, s35
	s_and_saveexec_b32 s35, s94
	s_delay_alu instid0(SALU_CYCLE_1)
	s_xor_b32 s35, exec_lo, s35
	s_cbranch_execz .LBB90_20
.LBB90_534:                             ;   in Loop: Header=BB90_3 Depth=1
	s_mov_b32 s56, exec_lo
	v_readlane_b32 s57, v208, 14
	s_and_b32 s57, s56, s57
	s_delay_alu instid0(SALU_CYCLE_1)
	s_xor_b32 s56, s57, s56
	s_mov_b32 exec_lo, s57
	s_cbranch_execz .LBB90_538
; %bb.535:                              ;   in Loop: Header=BB90_3 Depth=1
	s_mov_b32 s57, exec_lo
	v_readlane_b32 s95, v208, 27
	s_and_b32 s95, s57, s95
	s_delay_alu instid0(SALU_CYCLE_1)
	s_mov_b32 exec_lo, s95
; %bb.536:                              ;   in Loop: Header=BB90_3 Depth=1
	v_dual_mov_b32 v0, v1 :: v_dual_mov_b32 v2, v1
	v_mov_b32_e32 v3, v1
	ds_store_b128 v194, v[0:3]
; %bb.537:                              ;   in Loop: Header=BB90_3 Depth=1
	s_or_b32 exec_lo, exec_lo, s57
.LBB90_538:                             ;   in Loop: Header=BB90_3 Depth=1
	s_and_not1_saveexec_b32 s56, s56
	s_cbranch_execz .LBB90_544
; %bb.539:                              ;   in Loop: Header=BB90_3 Depth=1
	v_lshl_add_u64 v[2:3], v[32:33], 4, s[40:41]
                                        ; implicit-def: $vgpr16_vgpr17
	global_load_b128 v[12:15], v[2:3], off
	s_wait_loadcnt 0x0
	v_cmp_ngt_f64_e64 s57, |v[12:13]|, |v[14:15]|
	s_and_saveexec_b32 s95, s57
	s_delay_alu instid0(SALU_CYCLE_1)
	s_xor_b32 s57, exec_lo, s95
	s_cbranch_execz .LBB90_541
; %bb.540:                              ;   in Loop: Header=BB90_3 Depth=1
	v_div_scale_f64 v[2:3], null, -v[14:15], -v[14:15], v[12:13]
	v_div_scale_f64 v[200:201], vcc_lo, v[12:13], -v[14:15], v[12:13]
	s_delay_alu instid0(VALU_DEP_2) | instskip(SKIP_1) | instid1(TRANS32_DEP_1)
	v_rcp_f64_e32 v[16:17], v[2:3]
	v_nop
	v_fma_f64 v[18:19], -v[2:3], v[16:17], 1.0
	s_delay_alu instid0(VALU_DEP_1) | instskip(NEXT) | instid1(VALU_DEP_1)
	v_fmac_f64_e32 v[16:17], v[16:17], v[18:19]
	v_fma_f64 v[18:19], -v[2:3], v[16:17], 1.0
	s_delay_alu instid0(VALU_DEP_1) | instskip(NEXT) | instid1(VALU_DEP_1)
	v_fmac_f64_e32 v[16:17], v[16:17], v[18:19]
	v_mul_f64_e32 v[18:19], v[200:201], v[16:17]
	s_delay_alu instid0(VALU_DEP_1) | instskip(NEXT) | instid1(VALU_DEP_1)
	v_fma_f64 v[2:3], -v[2:3], v[18:19], v[200:201]
	v_div_fmas_f64 v[2:3], v[2:3], v[16:17], v[18:19]
	s_delay_alu instid0(VALU_DEP_1) | instskip(NEXT) | instid1(VALU_DEP_1)
	v_div_fixup_f64 v[2:3], v[2:3], -v[14:15], v[12:13]
	v_fma_f64 v[12:13], v[12:13], v[2:3], -v[14:15]
	s_delay_alu instid0(VALU_DEP_1) | instskip(NEXT) | instid1(VALU_DEP_1)
	v_div_scale_f64 v[14:15], null, v[12:13], v[12:13], 1.0
	v_rcp_f64_e32 v[16:17], v[14:15]
	v_nop
	s_delay_alu instid0(TRANS32_DEP_1) | instskip(NEXT) | instid1(VALU_DEP_1)
	v_fma_f64 v[18:19], -v[14:15], v[16:17], 1.0
	v_fmac_f64_e32 v[16:17], v[16:17], v[18:19]
	s_delay_alu instid0(VALU_DEP_1) | instskip(NEXT) | instid1(VALU_DEP_1)
	v_fma_f64 v[18:19], -v[14:15], v[16:17], 1.0
	v_fmac_f64_e32 v[16:17], v[16:17], v[18:19]
	v_div_scale_f64 v[18:19], vcc_lo, 1.0, v[12:13], 1.0
	s_delay_alu instid0(VALU_DEP_1) | instskip(NEXT) | instid1(VALU_DEP_1)
	v_mul_f64_e32 v[200:201], v[18:19], v[16:17]
	v_fma_f64 v[14:15], -v[14:15], v[200:201], v[18:19]
	s_delay_alu instid0(VALU_DEP_1) | instskip(NEXT) | instid1(VALU_DEP_1)
	v_div_fmas_f64 v[14:15], v[14:15], v[16:17], v[200:201]
	v_div_fixup_f64 v[18:19], v[14:15], v[12:13], 1.0
                                        ; implicit-def: $vgpr12_vgpr13
	s_delay_alu instid0(VALU_DEP_1)
	v_mul_f64_e32 v[16:17], v[2:3], v[18:19]
	v_xor_b32_e32 v19, 0x80000000, v19
.LBB90_541:                             ;   in Loop: Header=BB90_3 Depth=1
	s_and_not1_saveexec_b32 s57, s57
	s_cbranch_execz .LBB90_543
; %bb.542:                              ;   in Loop: Header=BB90_3 Depth=1
	v_div_scale_f64 v[2:3], null, v[12:13], v[12:13], -v[14:15]
	v_div_scale_f64 v[200:201], vcc_lo, -v[14:15], v[12:13], -v[14:15]
	s_delay_alu instid0(VALU_DEP_2) | instskip(SKIP_1) | instid1(TRANS32_DEP_1)
	v_rcp_f64_e32 v[16:17], v[2:3]
	v_nop
	v_fma_f64 v[18:19], -v[2:3], v[16:17], 1.0
	s_delay_alu instid0(VALU_DEP_1) | instskip(NEXT) | instid1(VALU_DEP_1)
	v_fmac_f64_e32 v[16:17], v[16:17], v[18:19]
	v_fma_f64 v[18:19], -v[2:3], v[16:17], 1.0
	s_delay_alu instid0(VALU_DEP_1) | instskip(NEXT) | instid1(VALU_DEP_1)
	v_fmac_f64_e32 v[16:17], v[16:17], v[18:19]
	v_mul_f64_e32 v[18:19], v[200:201], v[16:17]
	s_delay_alu instid0(VALU_DEP_1) | instskip(NEXT) | instid1(VALU_DEP_1)
	v_fma_f64 v[2:3], -v[2:3], v[18:19], v[200:201]
	v_div_fmas_f64 v[2:3], v[2:3], v[16:17], v[18:19]
	s_delay_alu instid0(VALU_DEP_1) | instskip(NEXT) | instid1(VALU_DEP_1)
	v_div_fixup_f64 v[2:3], v[2:3], v[12:13], -v[14:15]
	v_fma_f64 v[12:13], -v[14:15], v[2:3], v[12:13]
	s_delay_alu instid0(VALU_DEP_1) | instskip(NEXT) | instid1(VALU_DEP_1)
	v_div_scale_f64 v[14:15], null, v[12:13], v[12:13], 1.0
	v_rcp_f64_e32 v[16:17], v[14:15]
	v_nop
	s_delay_alu instid0(TRANS32_DEP_1) | instskip(NEXT) | instid1(VALU_DEP_1)
	v_fma_f64 v[18:19], -v[14:15], v[16:17], 1.0
	v_fmac_f64_e32 v[16:17], v[16:17], v[18:19]
	s_delay_alu instid0(VALU_DEP_1) | instskip(NEXT) | instid1(VALU_DEP_1)
	v_fma_f64 v[18:19], -v[14:15], v[16:17], 1.0
	v_fmac_f64_e32 v[16:17], v[16:17], v[18:19]
	v_div_scale_f64 v[18:19], vcc_lo, 1.0, v[12:13], 1.0
	s_delay_alu instid0(VALU_DEP_1) | instskip(NEXT) | instid1(VALU_DEP_1)
	v_mul_f64_e32 v[200:201], v[18:19], v[16:17]
	v_fma_f64 v[14:15], -v[14:15], v[200:201], v[18:19]
	s_delay_alu instid0(VALU_DEP_1) | instskip(NEXT) | instid1(VALU_DEP_1)
	v_div_fmas_f64 v[14:15], v[14:15], v[16:17], v[200:201]
	v_div_fixup_f64 v[16:17], v[14:15], v[12:13], 1.0
	s_delay_alu instid0(VALU_DEP_1)
	v_mul_f64_e64 v[18:19], v[2:3], -v[16:17]
.LBB90_543:                             ;   in Loop: Header=BB90_3 Depth=1
	s_or_b32 exec_lo, exec_lo, s57
	ds_store_b128 v194, v[16:19]
.LBB90_544:                             ;   in Loop: Header=BB90_3 Depth=1
	s_or_b32 exec_lo, exec_lo, s56
	s_and_not1_saveexec_b32 s35, s35
	s_cbranch_execnz .LBB90_21
	s_branch .LBB90_22
.LBB90_545:                             ;   in Loop: Header=BB90_3 Depth=1
	s_or_b32 exec_lo, exec_lo, s57
	s_delay_alu instid0(SALU_CYCLE_1)
	s_and_b32 vcc_lo, exec_lo, s56
	s_cbranch_vccnz .LBB90_484
.LBB90_546:                             ;   in Loop: Header=BB90_3 Depth=1
	s_delay_alu instid0(VALU_DEP_1) | instskip(NEXT) | instid1(VALU_DEP_3)
	v_mov_b64_e32 v[14:15], v[2:3]
	v_mov_b64_e32 v[12:13], v[38:39]
	;; [unrolled: 1-line block ×3, first 2 shown]
	s_and_saveexec_b32 s56, s35
	s_cbranch_execz .LBB90_548
.LBB90_547:                             ;   in Loop: Header=BB90_3 Depth=1
	s_delay_alu instid0(VALU_DEP_1)
	v_lshl_add_u64 v[2:3], v[2:3], 4, s[40:41]
	global_store_b128 v[2:3], v[12:15], off
.LBB90_548:                             ;   in Loop: Header=BB90_3 Depth=1
	s_wait_xcnt 0x0
	s_or_b32 exec_lo, exec_lo, s56
	global_wb scope:SCOPE_DEV
	s_wait_storecnt 0x0
	global_inv scope:SCOPE_DEV
	s_wait_loadcnt 0x0
	s_barrier_signal -1
	s_barrier_wait -1
	s_and_saveexec_b32 s35, s33
	s_cbranch_execz .LBB90_2
; %bb.549:                              ;   in Loop: Header=BB90_3 Depth=1
	s_lshl_b64 s[40:41], s[52:53], 2
	s_delay_alu instid0(SALU_CYCLE_1)
	s_add_nc_u64 s[40:41], s[54:55], s[40:41]
	global_load_b32 v0, v1, s[40:41]
	s_wait_loadcnt 0x0
	v_add_nc_u32_e32 v0, 1, v0
	global_store_b32 v1, v0, s[40:41]
	s_branch .LBB90_2
.LBB90_550:                             ;   in Loop: Header=BB90_3 Depth=1
	ds_load_b128 v[16:19], v51 offset:16336
	ds_load_b128 v[200:203], v50 offset:15232
	s_wait_dscnt 0x0
	v_mul_f64_e32 v[2:3], v[18:19], v[202:203]
	s_delay_alu instid0(VALU_DEP_1) | instskip(SKIP_1) | instid1(VALU_DEP_2)
	v_fma_f64 v[2:3], v[16:17], v[200:201], -v[2:3]
	v_mul_f64_e32 v[16:17], v[16:17], v[202:203]
	v_add_f64_e32 v[12:13], v[12:13], v[2:3]
	s_delay_alu instid0(VALU_DEP_2) | instskip(NEXT) | instid1(VALU_DEP_1)
	v_fmac_f64_e32 v[16:17], v[18:19], v[200:201]
	v_add_f64_e32 v[14:15], v[14:15], v[16:17]
	s_or_b32 exec_lo, exec_lo, s40
	s_and_saveexec_b32 s40, s12
	s_cbranch_execz .LBB90_45
.LBB90_551:                             ;   in Loop: Header=BB90_3 Depth=1
	ds_load_b128 v[16:19], v51 offset:16352
	ds_load_b128 v[200:203], v50 offset:15744
	s_wait_dscnt 0x0
	v_mul_f64_e32 v[2:3], v[18:19], v[202:203]
	s_delay_alu instid0(VALU_DEP_1) | instskip(SKIP_1) | instid1(VALU_DEP_2)
	v_fma_f64 v[2:3], v[16:17], v[200:201], -v[2:3]
	v_mul_f64_e32 v[16:17], v[16:17], v[202:203]
	v_add_f64_e32 v[12:13], v[12:13], v[2:3]
	s_delay_alu instid0(VALU_DEP_2) | instskip(NEXT) | instid1(VALU_DEP_1)
	v_fmac_f64_e32 v[16:17], v[18:19], v[200:201]
	v_add_f64_e32 v[14:15], v[14:15], v[16:17]
	s_or_b32 exec_lo, exec_lo, s40
	s_and_saveexec_b32 s40, s2
	s_cbranch_execnz .LBB90_46
	s_branch .LBB90_47
.LBB90_552:                             ;   in Loop: Header=BB90_3 Depth=1
	ds_load_b128 v[16:19], v55 offset:16272
	ds_load_b128 v[200:203], v54 offset:13056
	s_wait_dscnt 0x0
	v_mul_f64_e32 v[2:3], v[18:19], v[202:203]
	s_delay_alu instid0(VALU_DEP_1) | instskip(SKIP_1) | instid1(VALU_DEP_2)
	v_fma_f64 v[2:3], v[16:17], v[200:201], -v[2:3]
	v_mul_f64_e32 v[16:17], v[16:17], v[202:203]
	v_add_f64_e32 v[12:13], v[12:13], v[2:3]
	s_delay_alu instid0(VALU_DEP_2) | instskip(NEXT) | instid1(VALU_DEP_1)
	v_fmac_f64_e32 v[16:17], v[18:19], v[200:201]
	v_add_f64_e32 v[14:15], v[14:15], v[16:17]
	s_or_b32 exec_lo, exec_lo, s40
	s_and_saveexec_b32 s40, s14
	s_cbranch_execz .LBB90_87
.LBB90_553:                             ;   in Loop: Header=BB90_3 Depth=1
	ds_load_b128 v[16:19], v55 offset:16288
	ds_load_b128 v[200:203], v54 offset:13568
	s_wait_dscnt 0x0
	v_mul_f64_e32 v[2:3], v[18:19], v[202:203]
	s_delay_alu instid0(VALU_DEP_1) | instskip(SKIP_1) | instid1(VALU_DEP_2)
	v_fma_f64 v[2:3], v[16:17], v[200:201], -v[2:3]
	v_mul_f64_e32 v[16:17], v[16:17], v[202:203]
	v_add_f64_e32 v[12:13], v[12:13], v[2:3]
	s_delay_alu instid0(VALU_DEP_2) | instskip(NEXT) | instid1(VALU_DEP_1)
	v_fmac_f64_e32 v[16:17], v[18:19], v[200:201]
	v_add_f64_e32 v[14:15], v[14:15], v[16:17]
	s_or_b32 exec_lo, exec_lo, s40
	s_and_saveexec_b32 s40, s15
	s_cbranch_execz .LBB90_88
.LBB90_554:                             ;   in Loop: Header=BB90_3 Depth=1
	ds_load_b128 v[16:19], v55 offset:16304
	ds_load_b128 v[200:203], v54 offset:14080
	s_wait_dscnt 0x0
	v_mul_f64_e32 v[2:3], v[18:19], v[202:203]
	s_delay_alu instid0(VALU_DEP_1) | instskip(SKIP_1) | instid1(VALU_DEP_2)
	v_fma_f64 v[2:3], v[16:17], v[200:201], -v[2:3]
	v_mul_f64_e32 v[16:17], v[16:17], v[202:203]
	v_add_f64_e32 v[12:13], v[12:13], v[2:3]
	s_delay_alu instid0(VALU_DEP_2) | instskip(NEXT) | instid1(VALU_DEP_1)
	v_fmac_f64_e32 v[16:17], v[18:19], v[200:201]
	v_add_f64_e32 v[14:15], v[14:15], v[16:17]
	s_or_b32 exec_lo, exec_lo, s40
	s_and_saveexec_b32 s40, s16
	s_cbranch_execz .LBB90_89
.LBB90_555:                             ;   in Loop: Header=BB90_3 Depth=1
	ds_load_b128 v[16:19], v55 offset:16320
	ds_load_b128 v[200:203], v54 offset:14592
	s_wait_dscnt 0x0
	v_mul_f64_e32 v[2:3], v[18:19], v[202:203]
	s_delay_alu instid0(VALU_DEP_1) | instskip(SKIP_1) | instid1(VALU_DEP_2)
	v_fma_f64 v[2:3], v[16:17], v[200:201], -v[2:3]
	v_mul_f64_e32 v[16:17], v[16:17], v[202:203]
	v_add_f64_e32 v[12:13], v[12:13], v[2:3]
	s_delay_alu instid0(VALU_DEP_2) | instskip(NEXT) | instid1(VALU_DEP_1)
	v_fmac_f64_e32 v[16:17], v[18:19], v[200:201]
	v_add_f64_e32 v[14:15], v[14:15], v[16:17]
	s_or_b32 exec_lo, exec_lo, s40
	s_and_saveexec_b32 s40, s17
	s_cbranch_execz .LBB90_90
.LBB90_556:                             ;   in Loop: Header=BB90_3 Depth=1
	ds_load_b128 v[16:19], v55 offset:16336
	ds_load_b128 v[200:203], v54 offset:15104
	s_wait_dscnt 0x0
	v_mul_f64_e32 v[2:3], v[18:19], v[202:203]
	s_delay_alu instid0(VALU_DEP_1) | instskip(SKIP_1) | instid1(VALU_DEP_2)
	v_fma_f64 v[2:3], v[16:17], v[200:201], -v[2:3]
	v_mul_f64_e32 v[16:17], v[16:17], v[202:203]
	v_add_f64_e32 v[12:13], v[12:13], v[2:3]
	s_delay_alu instid0(VALU_DEP_2) | instskip(NEXT) | instid1(VALU_DEP_1)
	v_fmac_f64_e32 v[16:17], v[18:19], v[200:201]
	v_add_f64_e32 v[14:15], v[14:15], v[16:17]
	s_or_b32 exec_lo, exec_lo, s40
	s_and_saveexec_b32 s40, s4
	s_cbranch_execz .LBB90_91
.LBB90_557:                             ;   in Loop: Header=BB90_3 Depth=1
	ds_load_b128 v[16:19], v55 offset:16352
	ds_load_b128 v[200:203], v54 offset:15616
	s_wait_dscnt 0x0
	v_mul_f64_e32 v[2:3], v[18:19], v[202:203]
	s_delay_alu instid0(VALU_DEP_1) | instskip(SKIP_1) | instid1(VALU_DEP_2)
	v_fma_f64 v[2:3], v[16:17], v[200:201], -v[2:3]
	v_mul_f64_e32 v[16:17], v[16:17], v[202:203]
	v_add_f64_e32 v[12:13], v[12:13], v[2:3]
	s_delay_alu instid0(VALU_DEP_2) | instskip(NEXT) | instid1(VALU_DEP_1)
	v_fmac_f64_e32 v[16:17], v[18:19], v[200:201]
	v_add_f64_e32 v[14:15], v[14:15], v[16:17]
	s_or_b32 exec_lo, exec_lo, s40
	s_and_saveexec_b32 s40, s12
	s_cbranch_execnz .LBB90_92
	s_branch .LBB90_93
.LBB90_558:                             ;   in Loop: Header=BB90_3 Depth=1
	ds_load_b128 v[16:19], v51 offset:12112
	ds_load_b128 v[200:203], v50 offset:11008
	s_wait_dscnt 0x0
	v_mul_f64_e32 v[2:3], v[18:19], v[202:203]
	s_delay_alu instid0(VALU_DEP_1) | instskip(SKIP_1) | instid1(VALU_DEP_2)
	v_fma_f64 v[2:3], v[16:17], v[200:201], -v[2:3]
	v_mul_f64_e32 v[16:17], v[16:17], v[202:203]
	v_add_f64_e32 v[12:13], v[12:13], v[2:3]
	s_delay_alu instid0(VALU_DEP_2) | instskip(NEXT) | instid1(VALU_DEP_1)
	v_fmac_f64_e32 v[16:17], v[18:19], v[200:201]
	v_add_f64_e32 v[14:15], v[14:15], v[16:17]
	s_or_b32 exec_lo, exec_lo, s40
	s_and_saveexec_b32 s40, s12
	s_cbranch_execz .LBB90_149
.LBB90_559:                             ;   in Loop: Header=BB90_3 Depth=1
	ds_load_b128 v[16:19], v51 offset:12128
	ds_load_b128 v[200:203], v50 offset:11520
	s_wait_dscnt 0x0
	v_mul_f64_e32 v[2:3], v[18:19], v[202:203]
	s_delay_alu instid0(VALU_DEP_1) | instskip(SKIP_1) | instid1(VALU_DEP_2)
	v_fma_f64 v[2:3], v[16:17], v[200:201], -v[2:3]
	v_mul_f64_e32 v[16:17], v[16:17], v[202:203]
	v_add_f64_e32 v[12:13], v[12:13], v[2:3]
	s_delay_alu instid0(VALU_DEP_2) | instskip(NEXT) | instid1(VALU_DEP_1)
	v_fmac_f64_e32 v[16:17], v[18:19], v[200:201]
	v_add_f64_e32 v[14:15], v[14:15], v[16:17]
	s_or_b32 exec_lo, exec_lo, s40
	s_and_saveexec_b32 s40, s2
	s_cbranch_execnz .LBB90_150
	s_branch .LBB90_151
.LBB90_560:                             ;   in Loop: Header=BB90_3 Depth=1
	ds_load_b128 v[16:19], v67 offset:16304
	ds_load_b128 v[200:203], v66 offset:13824
	s_wait_dscnt 0x0
	v_mul_f64_e32 v[2:3], v[18:19], v[202:203]
	s_delay_alu instid0(VALU_DEP_1) | instskip(SKIP_1) | instid1(VALU_DEP_2)
	v_fma_f64 v[2:3], v[16:17], v[200:201], -v[2:3]
	v_mul_f64_e32 v[16:17], v[16:17], v[202:203]
	v_add_f64_e32 v[12:13], v[12:13], v[2:3]
	s_delay_alu instid0(VALU_DEP_2) | instskip(NEXT) | instid1(VALU_DEP_1)
	v_fmac_f64_e32 v[16:17], v[18:19], v[200:201]
	v_add_f64_e32 v[14:15], v[14:15], v[16:17]
	s_or_b32 exec_lo, exec_lo, s40
	s_and_saveexec_b32 s40, s5
	s_cbranch_execz .LBB90_211
.LBB90_561:                             ;   in Loop: Header=BB90_3 Depth=1
	ds_load_b128 v[16:19], v67 offset:16320
	ds_load_b128 v[200:203], v66 offset:14336
	s_wait_dscnt 0x0
	v_mul_f64_e32 v[2:3], v[18:19], v[202:203]
	s_delay_alu instid0(VALU_DEP_1) | instskip(SKIP_1) | instid1(VALU_DEP_2)
	v_fma_f64 v[2:3], v[16:17], v[200:201], -v[2:3]
	v_mul_f64_e32 v[16:17], v[16:17], v[202:203]
	v_add_f64_e32 v[12:13], v[12:13], v[2:3]
	s_delay_alu instid0(VALU_DEP_2) | instskip(NEXT) | instid1(VALU_DEP_1)
	v_fmac_f64_e32 v[16:17], v[18:19], v[200:201]
	v_add_f64_e32 v[14:15], v[14:15], v[16:17]
	s_or_b32 exec_lo, exec_lo, s40
	s_and_saveexec_b32 s40, s14
	s_cbranch_execz .LBB90_212
.LBB90_562:                             ;   in Loop: Header=BB90_3 Depth=1
	ds_load_b128 v[16:19], v67 offset:16336
	ds_load_b128 v[200:203], v66 offset:14848
	s_wait_dscnt 0x0
	v_mul_f64_e32 v[2:3], v[18:19], v[202:203]
	s_delay_alu instid0(VALU_DEP_1) | instskip(SKIP_1) | instid1(VALU_DEP_2)
	v_fma_f64 v[2:3], v[16:17], v[200:201], -v[2:3]
	v_mul_f64_e32 v[16:17], v[16:17], v[202:203]
	v_add_f64_e32 v[12:13], v[12:13], v[2:3]
	s_delay_alu instid0(VALU_DEP_2) | instskip(NEXT) | instid1(VALU_DEP_1)
	v_fmac_f64_e32 v[16:17], v[18:19], v[200:201]
	v_add_f64_e32 v[14:15], v[14:15], v[16:17]
	s_or_b32 exec_lo, exec_lo, s40
	s_and_saveexec_b32 s40, s16
	s_cbranch_execz .LBB90_213
.LBB90_563:                             ;   in Loop: Header=BB90_3 Depth=1
	ds_load_b128 v[16:19], v67 offset:16352
	ds_load_b128 v[200:203], v66 offset:15360
	s_wait_dscnt 0x0
	v_mul_f64_e32 v[2:3], v[18:19], v[202:203]
	s_delay_alu instid0(VALU_DEP_1) | instskip(SKIP_1) | instid1(VALU_DEP_2)
	v_fma_f64 v[2:3], v[16:17], v[200:201], -v[2:3]
	v_mul_f64_e32 v[16:17], v[16:17], v[202:203]
	v_add_f64_e32 v[12:13], v[12:13], v[2:3]
	s_delay_alu instid0(VALU_DEP_2) | instskip(NEXT) | instid1(VALU_DEP_1)
	v_fmac_f64_e32 v[16:17], v[18:19], v[200:201]
	v_add_f64_e32 v[14:15], v[14:15], v[16:17]
	s_or_b32 exec_lo, exec_lo, s40
	s_and_saveexec_b32 s40, s4
	s_cbranch_execnz .LBB90_214
	s_branch .LBB90_215
.LBB90_564:                             ;   in Loop: Header=BB90_3 Depth=1
	ds_load_b128 v[16:19], v51 offset:7888
	ds_load_b128 v[200:203], v50 offset:6784
	s_wait_dscnt 0x0
	v_mul_f64_e32 v[2:3], v[18:19], v[202:203]
	s_delay_alu instid0(VALU_DEP_1) | instskip(SKIP_1) | instid1(VALU_DEP_2)
	v_fma_f64 v[2:3], v[16:17], v[200:201], -v[2:3]
	v_mul_f64_e32 v[16:17], v[16:17], v[202:203]
	v_add_f64_e32 v[12:13], v[12:13], v[2:3]
	s_delay_alu instid0(VALU_DEP_2) | instskip(NEXT) | instid1(VALU_DEP_1)
	v_fmac_f64_e32 v[16:17], v[18:19], v[200:201]
	v_add_f64_e32 v[14:15], v[14:15], v[16:17]
	s_or_b32 exec_lo, exec_lo, s40
	s_and_saveexec_b32 s40, s12
	s_cbranch_execz .LBB90_303
.LBB90_565:                             ;   in Loop: Header=BB90_3 Depth=1
	ds_load_b128 v[16:19], v51 offset:7904
	ds_load_b128 v[200:203], v50 offset:7296
	s_wait_dscnt 0x0
	v_mul_f64_e32 v[2:3], v[18:19], v[202:203]
	s_delay_alu instid0(VALU_DEP_1) | instskip(SKIP_1) | instid1(VALU_DEP_2)
	v_fma_f64 v[2:3], v[16:17], v[200:201], -v[2:3]
	v_mul_f64_e32 v[16:17], v[16:17], v[202:203]
	v_add_f64_e32 v[12:13], v[12:13], v[2:3]
	s_delay_alu instid0(VALU_DEP_2) | instskip(NEXT) | instid1(VALU_DEP_1)
	v_fmac_f64_e32 v[16:17], v[18:19], v[200:201]
	v_add_f64_e32 v[14:15], v[14:15], v[16:17]
	s_or_b32 exec_lo, exec_lo, s40
	s_and_saveexec_b32 s40, s2
	s_cbranch_execnz .LBB90_304
	s_branch .LBB90_305
.LBB90_566:                             ;   in Loop: Header=BB90_3 Depth=1
	ds_load_b128 v[16:19], v55 offset:7824
	ds_load_b128 v[200:203], v54 offset:4608
	s_wait_dscnt 0x0
	v_mul_f64_e32 v[2:3], v[18:19], v[202:203]
	s_delay_alu instid0(VALU_DEP_1) | instskip(SKIP_1) | instid1(VALU_DEP_2)
	v_fma_f64 v[2:3], v[16:17], v[200:201], -v[2:3]
	v_mul_f64_e32 v[16:17], v[16:17], v[202:203]
	v_add_f64_e32 v[12:13], v[12:13], v[2:3]
	s_delay_alu instid0(VALU_DEP_2) | instskip(NEXT) | instid1(VALU_DEP_1)
	v_fmac_f64_e32 v[16:17], v[18:19], v[200:201]
	v_add_f64_e32 v[14:15], v[14:15], v[16:17]
	s_or_b32 exec_lo, exec_lo, s40
	s_and_saveexec_b32 s40, s14
	s_cbranch_execz .LBB90_345
.LBB90_567:                             ;   in Loop: Header=BB90_3 Depth=1
	ds_load_b128 v[16:19], v55 offset:7840
	ds_load_b128 v[200:203], v54 offset:5120
	s_wait_dscnt 0x0
	v_mul_f64_e32 v[2:3], v[18:19], v[202:203]
	s_delay_alu instid0(VALU_DEP_1) | instskip(SKIP_1) | instid1(VALU_DEP_2)
	v_fma_f64 v[2:3], v[16:17], v[200:201], -v[2:3]
	v_mul_f64_e32 v[16:17], v[16:17], v[202:203]
	v_add_f64_e32 v[12:13], v[12:13], v[2:3]
	s_delay_alu instid0(VALU_DEP_2) | instskip(NEXT) | instid1(VALU_DEP_1)
	v_fmac_f64_e32 v[16:17], v[18:19], v[200:201]
	v_add_f64_e32 v[14:15], v[14:15], v[16:17]
	s_or_b32 exec_lo, exec_lo, s40
	s_and_saveexec_b32 s40, s15
	s_cbranch_execz .LBB90_346
.LBB90_568:                             ;   in Loop: Header=BB90_3 Depth=1
	ds_load_b128 v[16:19], v55 offset:7856
	ds_load_b128 v[200:203], v54 offset:5632
	s_wait_dscnt 0x0
	v_mul_f64_e32 v[2:3], v[18:19], v[202:203]
	s_delay_alu instid0(VALU_DEP_1) | instskip(SKIP_1) | instid1(VALU_DEP_2)
	v_fma_f64 v[2:3], v[16:17], v[200:201], -v[2:3]
	v_mul_f64_e32 v[16:17], v[16:17], v[202:203]
	v_add_f64_e32 v[12:13], v[12:13], v[2:3]
	s_delay_alu instid0(VALU_DEP_2) | instskip(NEXT) | instid1(VALU_DEP_1)
	v_fmac_f64_e32 v[16:17], v[18:19], v[200:201]
	v_add_f64_e32 v[14:15], v[14:15], v[16:17]
	s_or_b32 exec_lo, exec_lo, s40
	s_and_saveexec_b32 s40, s16
	s_cbranch_execz .LBB90_347
.LBB90_569:                             ;   in Loop: Header=BB90_3 Depth=1
	ds_load_b128 v[16:19], v55 offset:7872
	ds_load_b128 v[200:203], v54 offset:6144
	s_wait_dscnt 0x0
	v_mul_f64_e32 v[2:3], v[18:19], v[202:203]
	s_delay_alu instid0(VALU_DEP_1) | instskip(SKIP_1) | instid1(VALU_DEP_2)
	v_fma_f64 v[2:3], v[16:17], v[200:201], -v[2:3]
	v_mul_f64_e32 v[16:17], v[16:17], v[202:203]
	v_add_f64_e32 v[12:13], v[12:13], v[2:3]
	s_delay_alu instid0(VALU_DEP_2) | instskip(NEXT) | instid1(VALU_DEP_1)
	v_fmac_f64_e32 v[16:17], v[18:19], v[200:201]
	v_add_f64_e32 v[14:15], v[14:15], v[16:17]
	s_or_b32 exec_lo, exec_lo, s40
	s_and_saveexec_b32 s40, s17
	s_cbranch_execz .LBB90_348
.LBB90_570:                             ;   in Loop: Header=BB90_3 Depth=1
	ds_load_b128 v[16:19], v55 offset:7888
	ds_load_b128 v[200:203], v54 offset:6656
	s_wait_dscnt 0x0
	v_mul_f64_e32 v[2:3], v[18:19], v[202:203]
	s_delay_alu instid0(VALU_DEP_1) | instskip(SKIP_1) | instid1(VALU_DEP_2)
	v_fma_f64 v[2:3], v[16:17], v[200:201], -v[2:3]
	v_mul_f64_e32 v[16:17], v[16:17], v[202:203]
	v_add_f64_e32 v[12:13], v[12:13], v[2:3]
	s_delay_alu instid0(VALU_DEP_2) | instskip(NEXT) | instid1(VALU_DEP_1)
	v_fmac_f64_e32 v[16:17], v[18:19], v[200:201]
	v_add_f64_e32 v[14:15], v[14:15], v[16:17]
	s_or_b32 exec_lo, exec_lo, s40
	s_and_saveexec_b32 s40, s4
	s_cbranch_execz .LBB90_349
.LBB90_571:                             ;   in Loop: Header=BB90_3 Depth=1
	ds_load_b128 v[16:19], v55 offset:7904
	ds_load_b128 v[200:203], v54 offset:7168
	s_wait_dscnt 0x0
	v_mul_f64_e32 v[2:3], v[18:19], v[202:203]
	s_delay_alu instid0(VALU_DEP_1) | instskip(SKIP_1) | instid1(VALU_DEP_2)
	v_fma_f64 v[2:3], v[16:17], v[200:201], -v[2:3]
	v_mul_f64_e32 v[16:17], v[16:17], v[202:203]
	v_add_f64_e32 v[12:13], v[12:13], v[2:3]
	s_delay_alu instid0(VALU_DEP_2) | instskip(NEXT) | instid1(VALU_DEP_1)
	v_fmac_f64_e32 v[16:17], v[18:19], v[200:201]
	v_add_f64_e32 v[14:15], v[14:15], v[16:17]
	s_or_b32 exec_lo, exec_lo, s40
	s_and_saveexec_b32 s40, s12
	s_cbranch_execnz .LBB90_350
	s_branch .LBB90_351
.LBB90_572:                             ;   in Loop: Header=BB90_3 Depth=1
	ds_load_b128 v[16:19], v51 offset:3664
	ds_load_b128 v[200:203], v50 offset:2560
	s_wait_dscnt 0x0
	v_mul_f64_e32 v[2:3], v[18:19], v[202:203]
	s_delay_alu instid0(VALU_DEP_1) | instskip(SKIP_1) | instid1(VALU_DEP_2)
	v_fma_f64 v[2:3], v[16:17], v[200:201], -v[2:3]
	v_mul_f64_e32 v[16:17], v[16:17], v[202:203]
	v_add_f64_e32 v[12:13], v[12:13], v[2:3]
	s_delay_alu instid0(VALU_DEP_2) | instskip(NEXT) | instid1(VALU_DEP_1)
	v_fmac_f64_e32 v[16:17], v[18:19], v[200:201]
	v_add_f64_e32 v[14:15], v[14:15], v[16:17]
	s_or_b32 exec_lo, exec_lo, s40
	s_and_saveexec_b32 s40, s12
	s_cbranch_execz .LBB90_407
.LBB90_573:                             ;   in Loop: Header=BB90_3 Depth=1
	ds_load_b128 v[16:19], v51 offset:3680
	ds_load_b128 v[200:203], v50 offset:3072
	s_wait_dscnt 0x0
	v_mul_f64_e32 v[2:3], v[18:19], v[202:203]
	s_delay_alu instid0(VALU_DEP_1) | instskip(SKIP_1) | instid1(VALU_DEP_2)
	v_fma_f64 v[2:3], v[16:17], v[200:201], -v[2:3]
	v_mul_f64_e32 v[16:17], v[16:17], v[202:203]
	v_add_f64_e32 v[12:13], v[12:13], v[2:3]
	s_delay_alu instid0(VALU_DEP_2) | instskip(NEXT) | instid1(VALU_DEP_1)
	v_fmac_f64_e32 v[16:17], v[18:19], v[200:201]
	v_add_f64_e32 v[14:15], v[14:15], v[16:17]
	s_or_b32 exec_lo, exec_lo, s40
	s_and_saveexec_b32 s40, s2
	s_cbranch_execnz .LBB90_408
	s_branch .LBB90_409
.LBB90_574:
	s_endpgm
	.section	.rodata,"a",@progbits
	.p2align	6, 0x0
	.amdhsa_kernel _ZL19rocblas_trsv_deviceILi32ELi16ELb0ELb1ELb1ELb0E19rocblas_complex_numIdES1_PKS1_PS1_EviT7_lllT6_T8_lllPii
		.amdhsa_group_segment_fixed_size 25104
		.amdhsa_private_segment_fixed_size 0
		.amdhsa_kernarg_size 360
		.amdhsa_user_sgpr_count 2
		.amdhsa_user_sgpr_dispatch_ptr 0
		.amdhsa_user_sgpr_queue_ptr 0
		.amdhsa_user_sgpr_kernarg_segment_ptr 1
		.amdhsa_user_sgpr_dispatch_id 0
		.amdhsa_user_sgpr_kernarg_preload_length 0
		.amdhsa_user_sgpr_kernarg_preload_offset 0
		.amdhsa_user_sgpr_private_segment_size 0
		.amdhsa_wavefront_size32 1
		.amdhsa_uses_dynamic_stack 0
		.amdhsa_enable_private_segment 0
		.amdhsa_system_sgpr_workgroup_id_x 1
		.amdhsa_system_sgpr_workgroup_id_y 0
		.amdhsa_system_sgpr_workgroup_id_z 1
		.amdhsa_system_sgpr_workgroup_info 0
		.amdhsa_system_vgpr_workitem_id 1
		.amdhsa_next_free_vgpr 209
		.amdhsa_next_free_sgpr 105
		.amdhsa_named_barrier_count 0
		.amdhsa_reserve_vcc 1
		.amdhsa_float_round_mode_32 0
		.amdhsa_float_round_mode_16_64 0
		.amdhsa_float_denorm_mode_32 3
		.amdhsa_float_denorm_mode_16_64 3
		.amdhsa_fp16_overflow 0
		.amdhsa_memory_ordered 1
		.amdhsa_forward_progress 1
		.amdhsa_inst_pref_size 230
		.amdhsa_round_robin_scheduling 0
		.amdhsa_exception_fp_ieee_invalid_op 0
		.amdhsa_exception_fp_denorm_src 0
		.amdhsa_exception_fp_ieee_div_zero 0
		.amdhsa_exception_fp_ieee_overflow 0
		.amdhsa_exception_fp_ieee_underflow 0
		.amdhsa_exception_fp_ieee_inexact 0
		.amdhsa_exception_int_div_zero 0
	.end_amdhsa_kernel
	.section	.text._ZL19rocblas_trsv_deviceILi32ELi16ELb0ELb1ELb1ELb0E19rocblas_complex_numIdES1_PKS1_PS1_EviT7_lllT6_T8_lllPii,"axG",@progbits,_ZL19rocblas_trsv_deviceILi32ELi16ELb0ELb1ELb1ELb0E19rocblas_complex_numIdES1_PKS1_PS1_EviT7_lllT6_T8_lllPii,comdat
.Lfunc_end90:
	.size	_ZL19rocblas_trsv_deviceILi32ELi16ELb0ELb1ELb1ELb0E19rocblas_complex_numIdES1_PKS1_PS1_EviT7_lllT6_T8_lllPii, .Lfunc_end90-_ZL19rocblas_trsv_deviceILi32ELi16ELb0ELb1ELb1ELb0E19rocblas_complex_numIdES1_PKS1_PS1_EviT7_lllT6_T8_lllPii
                                        ; -- End function
	.set _ZL19rocblas_trsv_deviceILi32ELi16ELb0ELb1ELb1ELb0E19rocblas_complex_numIdES1_PKS1_PS1_EviT7_lllT6_T8_lllPii.num_vgpr, 209
	.set _ZL19rocblas_trsv_deviceILi32ELi16ELb0ELb1ELb1ELb0E19rocblas_complex_numIdES1_PKS1_PS1_EviT7_lllT6_T8_lllPii.num_agpr, 0
	.set _ZL19rocblas_trsv_deviceILi32ELi16ELb0ELb1ELb1ELb0E19rocblas_complex_numIdES1_PKS1_PS1_EviT7_lllT6_T8_lllPii.numbered_sgpr, 105
	.set _ZL19rocblas_trsv_deviceILi32ELi16ELb0ELb1ELb1ELb0E19rocblas_complex_numIdES1_PKS1_PS1_EviT7_lllT6_T8_lllPii.num_named_barrier, 0
	.set _ZL19rocblas_trsv_deviceILi32ELi16ELb0ELb1ELb1ELb0E19rocblas_complex_numIdES1_PKS1_PS1_EviT7_lllT6_T8_lllPii.private_seg_size, 0
	.set _ZL19rocblas_trsv_deviceILi32ELi16ELb0ELb1ELb1ELb0E19rocblas_complex_numIdES1_PKS1_PS1_EviT7_lllT6_T8_lllPii.uses_vcc, 1
	.set _ZL19rocblas_trsv_deviceILi32ELi16ELb0ELb1ELb1ELb0E19rocblas_complex_numIdES1_PKS1_PS1_EviT7_lllT6_T8_lllPii.uses_flat_scratch, 0
	.set _ZL19rocblas_trsv_deviceILi32ELi16ELb0ELb1ELb1ELb0E19rocblas_complex_numIdES1_PKS1_PS1_EviT7_lllT6_T8_lllPii.has_dyn_sized_stack, 0
	.set _ZL19rocblas_trsv_deviceILi32ELi16ELb0ELb1ELb1ELb0E19rocblas_complex_numIdES1_PKS1_PS1_EviT7_lllT6_T8_lllPii.has_recursion, 0
	.set _ZL19rocblas_trsv_deviceILi32ELi16ELb0ELb1ELb1ELb0E19rocblas_complex_numIdES1_PKS1_PS1_EviT7_lllT6_T8_lllPii.has_indirect_call, 0
	.section	.AMDGPU.csdata,"",@progbits
; Kernel info:
; codeLenInByte = 29344
; TotalNumSgprs: 107
; NumVgprs: 209
; ScratchSize: 0
; MemoryBound: 1
; FloatMode: 240
; IeeeMode: 1
; LDSByteSize: 25104 bytes/workgroup (compile time only)
; SGPRBlocks: 0
; VGPRBlocks: 13
; NumSGPRsForWavesPerEU: 107
; NumVGPRsForWavesPerEU: 209
; NamedBarCnt: 0
; Occupancy: 4
; WaveLimiterHint : 0
; COMPUTE_PGM_RSRC2:SCRATCH_EN: 0
; COMPUTE_PGM_RSRC2:USER_SGPR: 2
; COMPUTE_PGM_RSRC2:TRAP_HANDLER: 0
; COMPUTE_PGM_RSRC2:TGID_X_EN: 1
; COMPUTE_PGM_RSRC2:TGID_Y_EN: 0
; COMPUTE_PGM_RSRC2:TGID_Z_EN: 1
; COMPUTE_PGM_RSRC2:TIDIG_COMP_CNT: 1
	.section	.text._ZL19rocblas_trsv_deviceILi32ELi16ELb1ELb0ELb0ELb1E19rocblas_complex_numIdES1_PKS1_PS1_EviT7_lllT6_T8_lllPii,"axG",@progbits,_ZL19rocblas_trsv_deviceILi32ELi16ELb1ELb0ELb0ELb1E19rocblas_complex_numIdES1_PKS1_PS1_EviT7_lllT6_T8_lllPii,comdat
	.globl	_ZL19rocblas_trsv_deviceILi32ELi16ELb1ELb0ELb0ELb1E19rocblas_complex_numIdES1_PKS1_PS1_EviT7_lllT6_T8_lllPii ; -- Begin function _ZL19rocblas_trsv_deviceILi32ELi16ELb1ELb0ELb0ELb1E19rocblas_complex_numIdES1_PKS1_PS1_EviT7_lllT6_T8_lllPii
	.p2align	8
	.type	_ZL19rocblas_trsv_deviceILi32ELi16ELb1ELb0ELb0ELb1E19rocblas_complex_numIdES1_PKS1_PS1_EviT7_lllT6_T8_lllPii,@function
_ZL19rocblas_trsv_deviceILi32ELi16ELb1ELb0ELb0ELb1E19rocblas_complex_numIdES1_PKS1_PS1_EviT7_lllT6_T8_lllPii: ; @_ZL19rocblas_trsv_deviceILi32ELi16ELb1ELb0ELb0ELb1E19rocblas_complex_numIdES1_PKS1_PS1_EviT7_lllT6_T8_lllPii
; %bb.0:
	s_load_b32 s66, s[0:1], 0x60
	s_bfe_u32 s2, ttmp6, 0x40014
	s_lshr_b32 s3, ttmp7, 16
	s_add_co_i32 s2, s2, 1
	s_bfe_u32 s5, ttmp6, 0x40008
	s_mul_i32 s4, s3, s2
	s_getreg_b32 s2, hwreg(HW_REG_IB_STS2, 6, 4)
	s_add_co_i32 s5, s5, s4
	s_cmp_eq_u32 s2, 0
	s_mov_b32 s53, 0
	s_cselect_b32 s52, s3, s5
	s_wait_kmcnt 0x0
	s_cmp_ge_u32 s52, s66
	s_cbranch_scc1 .LBB91_512
; %bb.1:
	s_clause 0x2
	s_load_b512 s[36:51], s[0:1], 0x8
	s_load_b32 s4, s[0:1], 0x74
	s_load_b32 s67, s[0:1], 0x0
	s_bfe_u32 s3, ttmp6, 0x4000c
	s_and_b32 s5, ttmp6, 15
	s_add_co_i32 s3, s3, 1
	v_bfe_u32 v22, v0, 10, 10
	s_mul_i32 s3, ttmp9, s3
	v_and_b32_e32 v24, 0x3ff, v0
	s_add_co_i32 s5, s5, s3
	s_delay_alu instid0(VALU_DEP_2) | instskip(SKIP_2) | instid1(VALU_DEP_3)
	v_dual_mov_b32 v3, 0 :: v_dual_lshlrev_b32 v2, 5, v22
	v_dual_add_nc_u32 v8, 16, v22 :: v_dual_bitop2_b32 v6, 1, v0 bitop3:0x40
	v_dual_lshrrev_b32 v15, 10, v0 :: v_dual_bitop2_b32 v9, 7, v0 bitop3:0x40
	v_add_nc_u16 v1, v2, v24
	s_delay_alu instid0(VALU_DEP_3)
	v_cmp_eq_u32_e32 vcc_lo, 1, v6
	v_dual_lshlrev_b32 v6, 4, v6 :: v_dual_bitop2_b32 v14, 15, v0 bitop3:0x40
	s_wait_kmcnt 0x0
	s_lshl_b64 s[12:13], s[38:39], 4
	s_lshl_b64 s[14:15], s[50:51], 4
	s_cmp_eq_u32 s2, 0
	s_add_nc_u64 s[2:3], s[40:41], 1
	s_cselect_b32 s68, ttmp9, s5
	s_add_co_i32 s5, s67, -1
	s_ashr_i32 s6, s67, 31
	s_ashr_i32 s7, s5, 31
	s_lshr_b32 s6, s6, 27
	s_lshr_b32 s7, s7, 27
	s_add_co_i32 s6, s67, s6
	s_add_co_i32 s5, s5, s7
	s_and_not1_b32 s6, s6, 31
	s_ashr_i32 s5, s5, 5
	s_and_b32 s4, s4, 0xffff
	s_sub_co_i32 s9, s67, s6
	s_cmp_eq_u32 s5, s68
	v_mad_u32_u24 v26, v22, s4, v24
	s_cselect_b32 s4, -1, 0
	s_cmp_lg_u32 s9, 0
	v_add_nc_u32_e32 v4, v2, v24
	s_cselect_b32 s6, -1, 0
	s_lshl_b32 s16, s68, 5
	v_sub_co_u32 v25, s5, s68, 1
	v_add_nc_u32_e32 v28, s16, v24
	s_and_b32 s18, s6, s4
	s_ashr_i32 s17, s16, 31
	s_xor_b32 s69, s5, -1
	s_xor_b32 s70, s18, -1
	s_mul_u64 s[10:11], s[2:3], s[16:17]
	v_cmp_gt_u32_e64 s2, 4, v4
	v_dual_add_nc_u32 v2, s16, v26 :: v_dual_bitop2_b32 v7, 3, v0 bitop3:0x40
	s_cmp_gt_i32 s68, 4
	v_cmp_eq_u32_e64 s7, 0, v9
	s_cselect_b32 s3, -1, 0
	s_xor_b32 s4, vcc_lo, -1
	s_and_b32 s71, s3, s70
	v_cmp_gt_u32_e64 s3, 16, v4
	s_and_b32 s73, vcc_lo, s2
	v_cmp_eq_u32_e32 vcc_lo, 1, v7
	s_and_b32 s72, s4, s2
	v_cmp_eq_u32_e64 s4, 0, v7
	v_cmp_ne_u32_e64 s5, 0, v7
	v_cmp_lt_u32_e64 s6, 1, v7
	s_and_b32 s76, vcc_lo, s3
	v_cmp_eq_u32_e32 vcc_lo, 2, v7
	s_and_b32 s74, s4, s3
	s_and_b32 s75, s5, s3
	v_cmp_eq_u32_e64 s5, 3, v7
	v_cmp_gt_u32_e64 s4, 64, v4
	s_and_b32 s78, vcc_lo, s3
	v_cmp_ne_u32_e32 vcc_lo, 0, v9
	s_and_b32 s77, s6, s3
	s_and_b32 s79, s5, s3
	v_cmp_eq_u32_e64 s5, 1, v9
	s_and_b32 s80, s7, s4
	s_and_b32 s81, vcc_lo, s4
	v_cmp_eq_u32_e32 vcc_lo, 2, v9
	v_cmp_lt_u32_e64 s7, 2, v9
	s_and_b32 s82, s5, s4
	v_cmp_eq_u32_e64 s5, 3, v9
	v_cmp_lt_u32_e64 s6, 1, v9
	s_and_b32 s84, vcc_lo, s4
	v_cmp_lt_u32_e32 vcc_lo, 3, v9
	s_and_b32 s85, s7, s4
	s_and_b32 s86, s5, s4
	v_cmp_lt_u32_e64 s5, 4, v9
	v_cmp_eq_u32_e64 s7, 5, v9
	s_and_b32 s87, vcc_lo, s4
	v_cmp_lt_u32_e32 vcc_lo, 5, v9
	s_and_b32 s83, s6, s4
	v_cmp_eq_u32_e64 s6, 4, v9
	s_and_b32 s89, s5, s4
	s_and_b32 s90, s7, s4
	v_cmp_eq_u32_e64 s7, 7, v9
	s_and_b32 s91, vcc_lo, s4
	v_cmp_gt_u32_e64 s5, 0x100, v4
	v_cmp_eq_u32_e32 vcc_lo, 0, v14
	s_and_b32 s88, s6, s4
	v_cmp_eq_u32_e64 s6, 6, v9
	v_cmp_ne_u32_e64 s8, 0, v14
	s_and_b32 s93, s7, s4
	s_and_b32 s7, vcc_lo, s5
                                        ; implicit-def: $vgpr76 : SGPR spill to VGPR lane
	v_cmp_lt_u32_e32 vcc_lo, 1, v14
	v_writelane_b32 v76, s7, 0
	s_and_b32 s92, s6, s4
	v_cmp_eq_u32_e64 s6, 1, v14
	s_and_b32 s7, s8, s5
	s_and_b32 s19, vcc_lo, s5
	v_writelane_b32 v76, s7, 1
	v_cmp_eq_u32_e64 s7, 2, v14
	s_and_b32 s6, s6, s5
	v_cmp_eq_u32_e64 s8, 3, v14
	v_cmp_lt_u32_e32 vcc_lo, 3, v14
	v_writelane_b32 v76, s6, 2
	v_cmp_lt_u32_e64 s6, 2, v14
	s_and_b32 s7, s7, s5
	v_dual_mov_b32 v27, v3 :: v_dual_add_nc_u32 v5, s16, v22
	v_writelane_b32 v76, s19, 3
	s_and_b32 s6, s6, s5
	v_lshrrev_b16 v1, 1, v1
	s_delay_alu instid0(VALU_DEP_3)
	v_add_nc_u64_e32 v[10:11], s[16:17], v[26:27]
	v_subrev_nc_u32_e32 v12, 32, v5
	v_writelane_b32 v76, s7, 4
	v_cmp_lt_u32_e64 s7, 4, v14
	v_cmp_gt_u32_e64 s20, 0xf0, v4
	s_add_nc_u64 s[54:55], s[36:37], s[12:13]
	v_dual_ashrrev_i32 v13, 31, v12 :: v_dual_lshlrev_b32 v48, 4, v7
	v_writelane_b32 v76, s6, 5
	s_and_b32 s6, s8, s5
	s_and_b32 s8, vcc_lo, s5
	v_cmp_eq_u32_e32 vcc_lo, 5, v14
	v_mul_u64_e32 v[30:31], s[40:41], v[12:13]
	v_writelane_b32 v76, s6, 6
	v_cmp_eq_u32_e64 s6, 4, v14
	v_and_b32_e32 v1, 0xffff, v1
	v_lshrrev_b32_e32 v13, 2, v4
	s_clause 0x1
	s_load_b64 s[58:59], s[0:1], 0x58
	s_load_b128 s[36:39], s[0:1], 0x48
	v_writelane_b32 v76, s8, 7
	s_and_b32 s6, s6, s5
	v_cmp_lt_u32_e64 s8, 5, v14
	v_bitop3_b32 v15, v0, v15, 0x3ff bitop3:0xa8
	v_lshl_add_u32 v27, v1, 4, 0x4000
	v_writelane_b32 v76, s6, 8
	s_and_b32 s6, s7, s5
	s_and_b32 s7, vcc_lo, s5
	v_cmp_lt_u32_e32 vcc_lo, 6, v14
	v_lshl_or_b32 v44, v1, 9, v6
	v_writelane_b32 v76, s6, 9
	v_cmp_eq_u32_e64 s6, 6, v14
	v_mul_u32_u24_e32 v45, 0x210, v1
	s_and_b32 s19, vcc_lo, s5
	v_cmp_lt_u32_e32 vcc_lo, 8, v14
	v_writelane_b32 v76, s7, 10
	s_and_b32 s7, s8, s5
	s_and_b32 s6, s6, s5
	v_cmp_eq_u32_e64 s8, 8, v14
	s_and_b32 s23, vcc_lo, s5
	v_writelane_b32 v76, s7, 11
	v_cmp_eq_u32_e64 s7, 7, v14
	v_cmp_eq_u32_e32 vcc_lo, 10, v14
	v_lshrrev_b32_e32 v1, 3, v4
	v_dual_ashrrev_i32 v29, 31, v28 :: v_dual_lshlrev_b32 v0, 4, v13
	v_writelane_b32 v76, s6, 12
	v_cmp_lt_u32_e64 s6, 7, v14
	s_and_b32 s7, s7, s5
	s_and_b32 s26, vcc_lo, s5
	v_cmp_lt_u32_e32 vcc_lo, 11, v14
	v_writelane_b32 v76, s19, 13
	s_and_b32 s6, s6, s5
	v_mul_u32_u24_e32 v46, 0x210, v13
	v_dual_lshlrev_b32 v47, 4, v24 :: v_dual_lshlrev_b32 v6, 4, v1
	v_writelane_b32 v76, s7, 14
	v_cmp_lt_u32_e64 s7, 9, v14
	s_and_b32 s95, vcc_lo, s5
	v_cmp_lt_u32_e32 vcc_lo, 13, v14
	v_add_nc_u32_e32 v49, 0x4000, v0
	v_writelane_b32 v76, s6, 15
	s_and_b32 s6, s8, s5
	v_cmp_lt_u32_e64 s8, 10, v14
	s_and_b32 s25, s7, s5
	v_cmp_eq_u32_e64 s7, 12, v14
	v_writelane_b32 v76, s6, 16
	v_cmp_eq_u32_e64 s6, 9, v14
	s_and_b32 s27, s8, s5
	v_cmp_eq_u32_e64 s8, 13, v14
	s_and_b32 s96, s7, s5
	v_cmp_le_i32_e64 s7, s9, v24
	s_and_b32 s24, s6, s5
	v_cmp_eq_u32_e64 s6, 11, v14
	s_and_b32 s98, s8, s5
	v_cmp_eq_u32_e64 s8, 14, v14
	s_and_b32 s99, vcc_lo, s5
	v_cmp_eq_u32_e32 vcc_lo, 15, v14
	s_and_b32 s94, s6, s5
	v_cmp_lt_u32_e64 s6, 12, v14
	s_and_b32 s100, s7, s18
	s_and_b32 s101, s8, s5
	s_xor_b32 s8, s100, -1
	s_and_b32 s102, vcc_lo, s5
	s_and_b32 s97, s6, s5
	v_cmp_eq_u32_e64 s6, 0, v22
	v_cmp_le_i32_e32 vcc_lo, s9, v22
	v_dual_sub_nc_u32 v0, v46, v0 :: v_dual_lshlrev_b32 v53, 4, v9
	v_mul_u32_u24_e32 v50, 0x210, v1
	s_and_b32 s103, s6, s8
	s_cmp_gt_i32 s68, 0
	v_cmp_le_i32_e64 s8, s9, v8
	s_cselect_b32 s17, -1, 0
	s_or_b32 s16, vcc_lo, s7
	v_cmp_gt_i32_e32 vcc_lo, s9, v24
	v_and_b32_e32 v54, 0x7ff0, v4
	s_or_b32 s8, s8, s7
	v_lshlrev_b32_e32 v7, 5, v4
	v_dual_add_nc_u32 v52, v0, v48 :: v_dual_lshlrev_b32 v56, 4, v14
	s_and_b32 s7, s6, vcc_lo
	v_sub_nc_u32_e32 v0, v50, v6
	v_writelane_b32 v76, s7, 17
	v_dual_mov_b32 v23, v3 :: v_dual_add_nc_u32 v60, 0x4000, v54
	v_mov_b32_e32 v9, v3
	v_and_b32_e32 v55, 0xfffffe00, v7
	v_writelane_b32 v76, s20, 18
	v_cmp_gt_u32_e64 s20, 0xe0, v4
	v_lshl_or_b32 v58, v1, 9, v53
	s_delay_alu instid0(VALU_DEP_4)
	v_dual_add_nc_u32 v59, v0, v53 :: v_dual_bitop2_b32 v61, v55, v56 bitop3:0x54
	s_wait_kmcnt 0x0
	v_mul_u64_e32 v[0:1], s[36:37], v[28:29]
	v_writelane_b32 v76, s20, 19
	v_cmp_gt_u32_e64 s20, 0xd0, v4
	v_mul_u64_e32 v[32:33], s[36:37], v[2:3]
	v_mul_u64_e32 v[34:35], s[36:37], v[10:11]
	;; [unrolled: 1-line block ×3, first 2 shown]
	v_or_b32_e32 v2, v8, v24
	v_writelane_b32 v76, s20, 20
	v_cmp_gt_u32_e64 s20, 0xc0, v4
	v_mul_u64_e32 v[38:39], s[40:41], v[8:9]
	v_cmp_gt_i32_e64 s0, s67, v28
	v_cmp_gt_i32_e64 s1, s67, v12
	v_lshl_add_u32 v63, v22, 4, 0x6000
	v_writelane_b32 v76, s20, 21
	v_cmp_gt_u32_e64 s20, 0xb0, v4
	v_add_nc_u32_e32 v5, -16, v5
	s_and_b32 s104, s0, s1
	v_cmp_le_u32_e64 s1, v24, v22
	v_cmp_le_u32_e64 s7, v24, v8
	v_writelane_b32 v76, s20, 22
	v_cmp_gt_u32_e64 s20, 0xa0, v4
	v_add_nc_u32_e32 v67, v63, v47
	v_cmp_gt_i32_e32 vcc_lo, s67, v5
	s_add_nc_u64 s[56:57], s[48:49], s[14:15]
	v_lshl_or_b32 v51, v13, 9, v48
	v_writelane_b32 v76, s20, 23
	v_cmp_gt_u32_e64 s20, 0x90, v4
	v_add_nc_u32_e32 v57, 0x4000, v6
	v_lshl_add_u32 v62, v26, 4, 0x6000
	v_lshl_add_u32 v64, v4, 4, 0x4000
	v_add_nc_u32_e32 v65, 0x4000, v47
	v_writelane_b32 v76, s20, 24
	v_cmp_gt_u32_e64 s20, 0x80, v4
	v_lshl_add_u32 v66, v22, 9, v47
	s_or_b32 s18, s16, s1
	s_or_b32 s19, s8, s7
	s_lshl_b64 s[60:61], s[10:11], 4
	v_writelane_b32 v76, s20, 25
	v_cmp_gt_u32_e64 s20, 0x70, v4
	v_dual_mov_b32 v41, v3 :: v_dual_lshlrev_b32 v40, 4, v24
	v_lshl_add_u32 v23, v8, 9, v47
	v_cmp_eq_u32_e64 s8, 0, v15
	s_delay_alu instid0(VALU_DEP_4)
	v_writelane_b32 v76, s20, 26
	v_cmp_gt_u32_e64 s20, 0x60, v4
	v_cmp_gt_u32_e64 s9, 2, v4
	;; [unrolled: 1-line block ×9, first 2 shown]
	v_writelane_b32 v76, s20, 27
	v_cmp_gt_u32_e64 s20, 0x50, v4
	v_cmp_eq_u32_e64 s28, 0, v26
	v_cmp_gt_u32_e64 s29, 32, v26
	v_cmp_ge_u32_e64 s30, v24, v22
	v_cmp_ge_u32_e64 s31, v24, v8
	v_cmp_gt_u32_e64 s33, 32, v15
	v_cmp_gt_u32_e64 s34, 32, v2
	s_and_b32 vcc_hi, s0, vcc_lo
	s_lshl_b64 s[62:63], s[40:41], 8
	s_mov_b32 s49, 0x3ff00000
                                        ; implicit-def: $vgpr6_vgpr7
                                        ; implicit-def: $vgpr10_vgpr11
	v_writelane_b32 v76, s20, 28
	s_branch .LBB91_3
.LBB91_2:                               ;   in Loop: Header=BB91_3 Depth=1
	s_wait_xcnt 0x0
	s_or_b32 exec_lo, exec_lo, s20
	s_add_co_i32 s52, s52, 0x10000
	global_wb scope:SCOPE_DEV
	s_wait_storecnt 0x0
	global_inv scope:SCOPE_DEV
	s_cmp_lt_u32 s52, s66
	s_cbranch_scc0 .LBB91_512
.LBB91_3:                               ; =>This Loop Header: Depth=1
                                        ;     Child Loop BB91_427 Depth 2
                                        ;       Child Loop BB91_429 Depth 3
                                        ;     Child Loop BB91_460 Depth 2
	s_mul_u64 s[50:51], s[42:43], s[52:53]
	s_and_not1_b32 vcc_lo, exec_lo, s69
	s_lshl_b64 s[50:51], s[50:51], 4
	s_delay_alu instid0(SALU_CYCLE_1)
	s_add_nc_u64 s[64:65], s[54:55], s[50:51]
	s_cbranch_vccnz .LBB91_9
; %bb.4:                                ;   in Loop: Header=BB91_3 Depth=1
	v_lshl_add_u64 v[4:5], v[30:31], 4, s[64:65]
	v_mov_b64_e32 v[12:13], 0
	v_mov_b64_e32 v[6:7], 0
	;; [unrolled: 1-line block ×3, first 2 shown]
	s_delay_alu instid0(VALU_DEP_4)
	v_lshl_add_u64 v[4:5], v[28:29], 4, v[4:5]
	s_barrier_signal -1
	s_barrier_wait -1
	s_and_saveexec_b32 s20, s104
	s_cbranch_execz .LBB91_6
; %bb.5:                                ;   in Loop: Header=BB91_3 Depth=1
	global_load_b128 v[6:9], v[4:5], off
.LBB91_6:                               ;   in Loop: Header=BB91_3 Depth=1
	s_wait_xcnt 0x0
	s_or_b32 exec_lo, exec_lo, s20
	v_mov_b64_e32 v[10:11], 0
	s_wait_loadcnt 0x0
	s_barrier_signal -1
	s_barrier_wait -1
	s_and_saveexec_b32 s20, vcc_hi
	s_cbranch_execz .LBB91_8
; %bb.7:                                ;   in Loop: Header=BB91_3 Depth=1
	v_add_nc_u64_e32 v[4:5], s[62:63], v[4:5]
	global_load_b128 v[10:13], v[4:5], off
.LBB91_8:                               ;   in Loop: Header=BB91_3 Depth=1
	s_wait_xcnt 0x0
	s_or_b32 exec_lo, exec_lo, s20
.LBB91_9:                               ;   in Loop: Header=BB91_3 Depth=1
	s_add_nc_u64 s[50:51], s[64:65], s[60:61]
	s_and_not1_b32 vcc_lo, exec_lo, s70
	v_add_nc_u64_e32 v[18:19], s[50:51], v[40:41]
	s_mov_b32 s20, -1
	s_cbranch_vccnz .LBB91_18
; %bb.10:                               ;   in Loop: Header=BB91_3 Depth=1
	s_mov_b32 s35, 0
	s_and_saveexec_b32 s20, s1
	s_delay_alu instid0(SALU_CYCLE_1)
	s_xor_b32 s20, exec_lo, s20
; %bb.11:                               ;   in Loop: Header=BB91_3 Depth=1
	s_and_b32 s35, s33, exec_lo
; %bb.12:                               ;   in Loop: Header=BB91_3 Depth=1
	s_or_saveexec_b32 s20, s20
	v_mov_b64_e32 v[16:17], 0
	v_mov_b64_e32 v[14:15], 0
	s_xor_b32 exec_lo, exec_lo, s20
	s_cbranch_execnz .LBB91_473
; %bb.13:                               ;   in Loop: Header=BB91_3 Depth=1
	s_or_b32 exec_lo, exec_lo, s20
	s_and_saveexec_b32 s20, s35
	s_cbranch_execnz .LBB91_474
.LBB91_14:                              ;   in Loop: Header=BB91_3 Depth=1
	s_or_b32 exec_lo, exec_lo, s20
	s_and_saveexec_b32 s20, s7
	s_delay_alu instid0(SALU_CYCLE_1)
	s_xor_b32 s20, exec_lo, s20
	s_cbranch_execnz .LBB91_475
.LBB91_15:                              ;   in Loop: Header=BB91_3 Depth=1
	s_and_not1_saveexec_b32 s20, s20
	s_cbranch_execz .LBB91_17
.LBB91_16:                              ;   in Loop: Header=BB91_3 Depth=1
	v_lshl_add_u64 v[4:5], v[38:39], 4, v[18:19]
	global_load_b128 v[14:17], v[4:5], off
	s_wait_loadcnt 0x0
	v_xor_b32_e32 v15, 0x80000000, v15
	v_xor_b32_e32 v17, 0x80000000, v17
	ds_store_b128 v23, v[14:17]
.LBB91_17:                              ;   in Loop: Header=BB91_3 Depth=1
	s_or_b32 exec_lo, exec_lo, s20
	s_mov_b32 s20, 0
.LBB91_18:                              ;   in Loop: Header=BB91_3 Depth=1
	s_delay_alu instid0(SALU_CYCLE_1)
	s_and_b32 vcc_lo, exec_lo, s20
	s_cbranch_vccz .LBB91_27
; %bb.19:                               ;   in Loop: Header=BB91_3 Depth=1
	s_mov_b32 s35, 0
	s_and_saveexec_b32 s20, s18
	s_delay_alu instid0(SALU_CYCLE_1)
	s_xor_b32 s20, exec_lo, s20
; %bb.20:                               ;   in Loop: Header=BB91_3 Depth=1
	s_and_b32 s35, s33, exec_lo
; %bb.21:                               ;   in Loop: Header=BB91_3 Depth=1
	s_or_saveexec_b32 s20, s20
	v_mov_b64_e32 v[16:17], 0
	v_mov_b64_e32 v[14:15], 0
	s_xor_b32 exec_lo, exec_lo, s20
	s_cbranch_execnz .LBB91_478
; %bb.22:                               ;   in Loop: Header=BB91_3 Depth=1
	s_or_b32 exec_lo, exec_lo, s20
	s_and_saveexec_b32 s20, s35
	s_cbranch_execnz .LBB91_479
.LBB91_23:                              ;   in Loop: Header=BB91_3 Depth=1
	s_or_b32 exec_lo, exec_lo, s20
	s_and_saveexec_b32 s20, s19
	s_delay_alu instid0(SALU_CYCLE_1)
	s_xor_b32 s20, exec_lo, s20
	s_cbranch_execnz .LBB91_480
.LBB91_24:                              ;   in Loop: Header=BB91_3 Depth=1
	s_and_not1_saveexec_b32 s20, s20
	s_cbranch_execz .LBB91_26
.LBB91_25:                              ;   in Loop: Header=BB91_3 Depth=1
	v_lshl_add_u64 v[4:5], v[38:39], 4, v[18:19]
	global_load_b128 v[14:17], v[4:5], off
	s_wait_loadcnt 0x0
	v_xor_b32_e32 v15, 0x80000000, v15
	v_xor_b32_e32 v17, 0x80000000, v17
	ds_store_b128 v23, v[14:17]
.LBB91_26:                              ;   in Loop: Header=BB91_3 Depth=1
	s_or_b32 exec_lo, exec_lo, s20
.LBB91_27:                              ;   in Loop: Header=BB91_3 Depth=1
	s_delay_alu instid0(SALU_CYCLE_1)
	s_and_not1_b32 vcc_lo, exec_lo, s71
	s_wait_loadcnt_dscnt 0x0
	s_barrier_signal -1
	s_barrier_wait -1
	s_cbranch_vccnz .LBB91_421
; %bb.28:                               ;   in Loop: Header=BB91_3 Depth=1
	s_and_saveexec_b32 s20, s8
	s_cbranch_execz .LBB91_30
; %bb.29:                               ;   in Loop: Header=BB91_3 Depth=1
	s_mov_b32 s48, s53
	s_mov_b32 s50, s53
	;; [unrolled: 1-line block ×3, first 2 shown]
	v_mov_b64_e32 v[14:15], s[48:49]
	v_mov_b64_e32 v[16:17], s[50:51]
	ds_store_b128 v3, v[14:17]
	ds_store_b128 v3, v[14:17] offset:528
.LBB91_30:                              ;   in Loop: Header=BB91_3 Depth=1
	s_or_b32 exec_lo, exec_lo, s20
	v_mov_b64_e32 v[16:17], 0
	v_mov_b64_e32 v[14:15], 0
	s_wait_dscnt 0x0
	s_barrier_signal -1
	s_barrier_wait -1
	s_and_saveexec_b32 s35, s2
	s_cbranch_execz .LBB91_34
; %bb.31:                               ;   in Loop: Header=BB91_3 Depth=1
	ds_load_b128 v[14:17], v45
	ds_load_b128 v[18:21], v44 offset:32
	s_wait_dscnt 0x0
	v_mul_f64_e32 v[4:5], v[16:17], v[20:21]
	v_mul_f64_e32 v[20:21], v[14:15], v[20:21]
	s_delay_alu instid0(VALU_DEP_2) | instskip(NEXT) | instid1(VALU_DEP_2)
	v_fma_f64 v[4:5], v[14:15], v[18:19], -v[4:5]
	v_fmac_f64_e32 v[20:21], v[16:17], v[18:19]
	s_delay_alu instid0(VALU_DEP_2) | instskip(NEXT) | instid1(VALU_DEP_2)
	v_add_f64_e32 v[14:15], 0, v[4:5]
	v_add_f64_e32 v[16:17], 0, v[20:21]
	s_and_saveexec_b32 s20, s9
	s_cbranch_execz .LBB91_33
; %bb.32:                               ;   in Loop: Header=BB91_3 Depth=1
	ds_load_b128 v[18:21], v3 offset:16
	ds_load_b128 v[68:71], v47 offset:544
	s_wait_dscnt 0x0
	v_mul_f64_e32 v[4:5], v[20:21], v[70:71]
	v_mul_f64_e32 v[42:43], v[18:19], v[70:71]
	s_delay_alu instid0(VALU_DEP_2) | instskip(NEXT) | instid1(VALU_DEP_2)
	v_fma_f64 v[4:5], v[18:19], v[68:69], -v[4:5]
	v_fmac_f64_e32 v[42:43], v[20:21], v[68:69]
	s_delay_alu instid0(VALU_DEP_2) | instskip(NEXT) | instid1(VALU_DEP_2)
	v_add_f64_e32 v[14:15], v[14:15], v[4:5]
	v_add_f64_e32 v[16:17], v[16:17], v[42:43]
.LBB91_33:                              ;   in Loop: Header=BB91_3 Depth=1
	s_or_b32 exec_lo, exec_lo, s20
	s_delay_alu instid0(VALU_DEP_2) | instskip(NEXT) | instid1(VALU_DEP_2)
	v_xor_b32_e32 v15, 0x80000000, v15
	v_xor_b32_e32 v17, 0x80000000, v17
.LBB91_34:                              ;   in Loop: Header=BB91_3 Depth=1
	s_or_b32 exec_lo, exec_lo, s35
	s_and_saveexec_b32 s20, s72
; %bb.35:                               ;   in Loop: Header=BB91_3 Depth=1
	ds_store_b128 v27, v[14:17]
; %bb.36:                               ;   in Loop: Header=BB91_3 Depth=1
	s_or_b32 exec_lo, exec_lo, s20
	s_wait_dscnt 0x0
	s_barrier_signal -1
	s_barrier_wait -1
	s_and_saveexec_b32 s20, s73
	s_cbranch_execz .LBB91_38
; %bb.37:                               ;   in Loop: Header=BB91_3 Depth=1
	ds_load_b128 v[18:21], v27
	ds_load_b128 v[68:71], v3 offset:1072
	s_wait_dscnt 0x0
	v_mul_f64_e32 v[4:5], v[20:21], v[70:71]
	v_mul_f64_e32 v[42:43], v[18:19], v[70:71]
	s_delay_alu instid0(VALU_DEP_2) | instskip(NEXT) | instid1(VALU_DEP_2)
	v_fma_f64 v[4:5], v[18:19], v[68:69], -v[4:5]
	v_fmac_f64_e32 v[42:43], v[20:21], v[68:69]
	s_delay_alu instid0(VALU_DEP_2) | instskip(NEXT) | instid1(VALU_DEP_2)
	v_add_f64_e32 v[14:15], v[14:15], v[4:5]
	v_add_f64_e32 v[16:17], v[16:17], v[42:43]
.LBB91_38:                              ;   in Loop: Header=BB91_3 Depth=1
	s_or_b32 exec_lo, exec_lo, s20
	s_barrier_signal -1
	s_barrier_wait -1
	s_and_saveexec_b32 s20, s73
; %bb.39:                               ;   in Loop: Header=BB91_3 Depth=1
	ds_store_b128 v27, v[14:17]
; %bb.40:                               ;   in Loop: Header=BB91_3 Depth=1
	s_or_b32 exec_lo, exec_lo, s20
	s_wait_dscnt 0x0
	s_barrier_signal -1
	s_barrier_wait -1
	s_barrier_signal -1
	s_barrier_wait -1
	s_and_saveexec_b32 s20, s2
; %bb.41:                               ;   in Loop: Header=BB91_3 Depth=1
	v_xor_b32_e32 v15, 0x80000000, v15
	v_xor_b32_e32 v17, 0x80000000, v17
	ds_store_b128 v44, v[14:17] offset:32
; %bb.42:                               ;   in Loop: Header=BB91_3 Depth=1
	s_or_b32 exec_lo, exec_lo, s20
	s_wait_dscnt 0x0
	s_barrier_signal -1
	s_barrier_wait -1
	s_barrier_signal -1
	s_barrier_wait -1
	s_and_saveexec_b32 s20, s8
	s_cbranch_execz .LBB91_44
; %bb.43:                               ;   in Loop: Header=BB91_3 Depth=1
	s_mov_b32 s48, s53
	s_mov_b32 s50, s53
	;; [unrolled: 1-line block ×3, first 2 shown]
	v_mov_b64_e32 v[14:15], s[48:49]
	v_mov_b64_e32 v[16:17], s[50:51]
	ds_store_b128 v3, v[14:17] offset:1056
	ds_store_b128 v3, v[14:17] offset:1584
.LBB91_44:                              ;   in Loop: Header=BB91_3 Depth=1
	s_or_b32 exec_lo, exec_lo, s20
	v_mov_b64_e32 v[16:17], 0
	v_mov_b64_e32 v[14:15], 0
	s_wait_dscnt 0x0
	s_barrier_signal -1
	s_barrier_wait -1
	s_and_saveexec_b32 s35, s3
	s_cbranch_execz .LBB91_50
; %bb.45:                               ;   in Loop: Header=BB91_3 Depth=1
	ds_load_b128 v[14:17], v46
	ds_load_b128 v[18:21], v51 offset:64
	s_wait_dscnt 0x0
	v_mul_f64_e32 v[4:5], v[16:17], v[20:21]
	v_mul_f64_e32 v[20:21], v[14:15], v[20:21]
	s_delay_alu instid0(VALU_DEP_2) | instskip(NEXT) | instid1(VALU_DEP_2)
	v_fma_f64 v[4:5], v[14:15], v[18:19], -v[4:5]
	v_fmac_f64_e32 v[20:21], v[16:17], v[18:19]
	s_delay_alu instid0(VALU_DEP_2) | instskip(NEXT) | instid1(VALU_DEP_2)
	v_add_f64_e32 v[14:15], 0, v[4:5]
	v_add_f64_e32 v[16:17], 0, v[20:21]
	s_and_saveexec_b32 s20, s10
	s_cbranch_execnz .LBB91_488
; %bb.46:                               ;   in Loop: Header=BB91_3 Depth=1
	s_or_b32 exec_lo, exec_lo, s20
	s_and_saveexec_b32 s20, s11
	s_cbranch_execnz .LBB91_489
.LBB91_47:                              ;   in Loop: Header=BB91_3 Depth=1
	s_or_b32 exec_lo, exec_lo, s20
	s_and_saveexec_b32 s20, s2
	s_cbranch_execz .LBB91_49
.LBB91_48:                              ;   in Loop: Header=BB91_3 Depth=1
	ds_load_b128 v[18:21], v3 offset:48
	ds_load_b128 v[68:71], v47 offset:1600
	s_wait_dscnt 0x0
	v_mul_f64_e32 v[4:5], v[20:21], v[70:71]
	v_mul_f64_e32 v[42:43], v[18:19], v[70:71]
	s_delay_alu instid0(VALU_DEP_2) | instskip(NEXT) | instid1(VALU_DEP_2)
	v_fma_f64 v[4:5], v[18:19], v[68:69], -v[4:5]
	v_fmac_f64_e32 v[42:43], v[20:21], v[68:69]
	s_delay_alu instid0(VALU_DEP_2) | instskip(NEXT) | instid1(VALU_DEP_2)
	v_add_f64_e32 v[14:15], v[14:15], v[4:5]
	v_add_f64_e32 v[16:17], v[16:17], v[42:43]
.LBB91_49:                              ;   in Loop: Header=BB91_3 Depth=1
	s_or_b32 exec_lo, exec_lo, s20
	s_delay_alu instid0(VALU_DEP_2) | instskip(NEXT) | instid1(VALU_DEP_2)
	v_xor_b32_e32 v15, 0x80000000, v15
	v_xor_b32_e32 v17, 0x80000000, v17
.LBB91_50:                              ;   in Loop: Header=BB91_3 Depth=1
	s_or_b32 exec_lo, exec_lo, s35
	s_and_saveexec_b32 s20, s74
; %bb.51:                               ;   in Loop: Header=BB91_3 Depth=1
	ds_store_b128 v49, v[14:17]
; %bb.52:                               ;   in Loop: Header=BB91_3 Depth=1
	s_or_b32 exec_lo, exec_lo, s20
	s_wait_dscnt 0x0
	s_barrier_signal -1
	s_barrier_wait -1
	s_and_saveexec_b32 s20, s75
	s_cbranch_execz .LBB91_54
; %bb.53:                               ;   in Loop: Header=BB91_3 Depth=1
	ds_load_b128 v[18:21], v49
	ds_load_b128 v[68:71], v48 offset:2112
	s_wait_dscnt 0x0
	v_mul_f64_e32 v[4:5], v[20:21], v[70:71]
	v_mul_f64_e32 v[42:43], v[18:19], v[70:71]
	s_delay_alu instid0(VALU_DEP_2) | instskip(NEXT) | instid1(VALU_DEP_2)
	v_fma_f64 v[4:5], v[18:19], v[68:69], -v[4:5]
	v_fmac_f64_e32 v[42:43], v[20:21], v[68:69]
	s_delay_alu instid0(VALU_DEP_2) | instskip(NEXT) | instid1(VALU_DEP_2)
	v_add_f64_e32 v[14:15], v[14:15], v[4:5]
	v_add_f64_e32 v[16:17], v[16:17], v[42:43]
.LBB91_54:                              ;   in Loop: Header=BB91_3 Depth=1
	s_or_b32 exec_lo, exec_lo, s20
	s_barrier_signal -1
	s_barrier_wait -1
	s_and_saveexec_b32 s20, s76
; %bb.55:                               ;   in Loop: Header=BB91_3 Depth=1
	ds_store_b128 v49, v[14:17]
; %bb.56:                               ;   in Loop: Header=BB91_3 Depth=1
	s_or_b32 exec_lo, exec_lo, s20
	s_wait_dscnt 0x0
	s_barrier_signal -1
	s_barrier_wait -1
	s_and_saveexec_b32 s20, s77
	s_cbranch_execz .LBB91_58
; %bb.57:                               ;   in Loop: Header=BB91_3 Depth=1
	ds_load_b128 v[18:21], v49
	ds_load_b128 v[68:71], v48 offset:2624
	s_wait_dscnt 0x0
	v_mul_f64_e32 v[4:5], v[20:21], v[70:71]
	v_mul_f64_e32 v[42:43], v[18:19], v[70:71]
	s_delay_alu instid0(VALU_DEP_2) | instskip(NEXT) | instid1(VALU_DEP_2)
	v_fma_f64 v[4:5], v[18:19], v[68:69], -v[4:5]
	v_fmac_f64_e32 v[42:43], v[20:21], v[68:69]
	s_delay_alu instid0(VALU_DEP_2) | instskip(NEXT) | instid1(VALU_DEP_2)
	v_add_f64_e32 v[14:15], v[14:15], v[4:5]
	v_add_f64_e32 v[16:17], v[16:17], v[42:43]
.LBB91_58:                              ;   in Loop: Header=BB91_3 Depth=1
	s_or_b32 exec_lo, exec_lo, s20
	s_barrier_signal -1
	s_barrier_wait -1
	;; [unrolled: 26-line block ×3, first 2 shown]
	s_and_saveexec_b32 s20, s79
; %bb.63:                               ;   in Loop: Header=BB91_3 Depth=1
	ds_store_b128 v49, v[14:17]
; %bb.64:                               ;   in Loop: Header=BB91_3 Depth=1
	s_or_b32 exec_lo, exec_lo, s20
	s_wait_dscnt 0x0
	s_barrier_signal -1
	s_barrier_wait -1
	s_barrier_signal -1
	s_barrier_wait -1
	s_and_saveexec_b32 s20, s3
; %bb.65:                               ;   in Loop: Header=BB91_3 Depth=1
	v_xor_b32_e32 v17, 0x80000000, v17
	v_xor_b32_e32 v15, 0x80000000, v15
	ds_store_b128 v51, v[14:17] offset:64
; %bb.66:                               ;   in Loop: Header=BB91_3 Depth=1
	s_or_b32 exec_lo, exec_lo, s20
	s_wait_dscnt 0x0
	s_barrier_signal -1
	s_barrier_wait -1
	s_barrier_signal -1
	s_barrier_wait -1
	s_and_saveexec_b32 s20, s8
	s_cbranch_execz .LBB91_68
; %bb.67:                               ;   in Loop: Header=BB91_3 Depth=1
	s_mov_b32 s48, s53
	s_mov_b32 s50, s53
	;; [unrolled: 1-line block ×3, first 2 shown]
	v_mov_b64_e32 v[14:15], s[48:49]
	v_mov_b64_e32 v[16:17], s[50:51]
	ds_store_b128 v3, v[14:17] offset:2112
	ds_store_b128 v3, v[14:17] offset:2640
.LBB91_68:                              ;   in Loop: Header=BB91_3 Depth=1
	s_or_b32 exec_lo, exec_lo, s20
	v_mov_b64_e32 v[16:17], 0
	v_mov_b64_e32 v[14:15], 0
	s_wait_dscnt 0x0
	s_barrier_signal -1
	s_barrier_wait -1
	s_and_saveexec_b32 s35, s2
	s_cbranch_execz .LBB91_72
; %bb.69:                               ;   in Loop: Header=BB91_3 Depth=1
	ds_load_b128 v[14:17], v45 offset:2112
	ds_load_b128 v[18:21], v44 offset:2144
	s_wait_dscnt 0x0
	v_mul_f64_e32 v[4:5], v[16:17], v[20:21]
	v_mul_f64_e32 v[20:21], v[14:15], v[20:21]
	s_delay_alu instid0(VALU_DEP_2) | instskip(NEXT) | instid1(VALU_DEP_2)
	v_fma_f64 v[4:5], v[14:15], v[18:19], -v[4:5]
	v_fmac_f64_e32 v[20:21], v[16:17], v[18:19]
	s_delay_alu instid0(VALU_DEP_2) | instskip(NEXT) | instid1(VALU_DEP_2)
	v_add_f64_e32 v[14:15], 0, v[4:5]
	v_add_f64_e32 v[16:17], 0, v[20:21]
	s_and_saveexec_b32 s20, s9
	s_cbranch_execz .LBB91_71
; %bb.70:                               ;   in Loop: Header=BB91_3 Depth=1
	ds_load_b128 v[18:21], v3 offset:2128
	ds_load_b128 v[68:71], v47 offset:2656
	s_wait_dscnt 0x0
	v_mul_f64_e32 v[4:5], v[20:21], v[70:71]
	v_mul_f64_e32 v[42:43], v[18:19], v[70:71]
	s_delay_alu instid0(VALU_DEP_2) | instskip(NEXT) | instid1(VALU_DEP_2)
	v_fma_f64 v[4:5], v[18:19], v[68:69], -v[4:5]
	v_fmac_f64_e32 v[42:43], v[20:21], v[68:69]
	s_delay_alu instid0(VALU_DEP_2) | instskip(NEXT) | instid1(VALU_DEP_2)
	v_add_f64_e32 v[14:15], v[14:15], v[4:5]
	v_add_f64_e32 v[16:17], v[16:17], v[42:43]
.LBB91_71:                              ;   in Loop: Header=BB91_3 Depth=1
	s_or_b32 exec_lo, exec_lo, s20
	s_delay_alu instid0(VALU_DEP_2) | instskip(NEXT) | instid1(VALU_DEP_2)
	v_xor_b32_e32 v15, 0x80000000, v15
	v_xor_b32_e32 v17, 0x80000000, v17
.LBB91_72:                              ;   in Loop: Header=BB91_3 Depth=1
	s_or_b32 exec_lo, exec_lo, s35
	s_and_saveexec_b32 s20, s72
; %bb.73:                               ;   in Loop: Header=BB91_3 Depth=1
	ds_store_b128 v27, v[14:17]
; %bb.74:                               ;   in Loop: Header=BB91_3 Depth=1
	s_or_b32 exec_lo, exec_lo, s20
	s_wait_dscnt 0x0
	s_barrier_signal -1
	s_barrier_wait -1
	s_and_saveexec_b32 s20, s73
	s_cbranch_execz .LBB91_76
; %bb.75:                               ;   in Loop: Header=BB91_3 Depth=1
	ds_load_b128 v[18:21], v27
	ds_load_b128 v[68:71], v3 offset:3184
	s_wait_dscnt 0x0
	v_mul_f64_e32 v[4:5], v[20:21], v[70:71]
	v_mul_f64_e32 v[42:43], v[18:19], v[70:71]
	s_delay_alu instid0(VALU_DEP_2) | instskip(NEXT) | instid1(VALU_DEP_2)
	v_fma_f64 v[4:5], v[18:19], v[68:69], -v[4:5]
	v_fmac_f64_e32 v[42:43], v[20:21], v[68:69]
	s_delay_alu instid0(VALU_DEP_2) | instskip(NEXT) | instid1(VALU_DEP_2)
	v_add_f64_e32 v[14:15], v[14:15], v[4:5]
	v_add_f64_e32 v[16:17], v[16:17], v[42:43]
.LBB91_76:                              ;   in Loop: Header=BB91_3 Depth=1
	s_or_b32 exec_lo, exec_lo, s20
	s_barrier_signal -1
	s_barrier_wait -1
	s_and_saveexec_b32 s20, s73
; %bb.77:                               ;   in Loop: Header=BB91_3 Depth=1
	ds_store_b128 v27, v[14:17]
; %bb.78:                               ;   in Loop: Header=BB91_3 Depth=1
	s_or_b32 exec_lo, exec_lo, s20
	s_wait_dscnt 0x0
	s_barrier_signal -1
	s_barrier_wait -1
	s_barrier_signal -1
	s_barrier_wait -1
	s_and_saveexec_b32 s20, s2
; %bb.79:                               ;   in Loop: Header=BB91_3 Depth=1
	v_xor_b32_e32 v15, 0x80000000, v15
	v_xor_b32_e32 v17, 0x80000000, v17
	ds_store_b128 v44, v[14:17] offset:2144
; %bb.80:                               ;   in Loop: Header=BB91_3 Depth=1
	s_or_b32 exec_lo, exec_lo, s20
	s_wait_dscnt 0x0
	s_barrier_signal -1
	s_barrier_wait -1
	s_barrier_signal -1
	s_barrier_wait -1
	s_and_saveexec_b32 s20, s8
	s_cbranch_execz .LBB91_82
; %bb.81:                               ;   in Loop: Header=BB91_3 Depth=1
	s_mov_b32 s48, s53
	s_mov_b32 s50, s53
	;; [unrolled: 1-line block ×3, first 2 shown]
	v_mov_b64_e32 v[14:15], s[48:49]
	v_mov_b64_e32 v[16:17], s[50:51]
	ds_store_b128 v3, v[14:17] offset:3168
	ds_store_b128 v3, v[14:17] offset:3696
.LBB91_82:                              ;   in Loop: Header=BB91_3 Depth=1
	s_or_b32 exec_lo, exec_lo, s20
	v_mov_b64_e32 v[16:17], 0
	v_mov_b64_e32 v[14:15], 0
	s_wait_dscnt 0x0
	s_barrier_signal -1
	s_barrier_wait -1
	s_and_saveexec_b32 s35, s4
	s_cbranch_execz .LBB91_92
; %bb.83:                               ;   in Loop: Header=BB91_3 Depth=1
	ds_load_b128 v[14:17], v50
	ds_load_b128 v[18:21], v58 offset:128
	s_wait_dscnt 0x0
	v_mul_f64_e32 v[4:5], v[16:17], v[20:21]
	v_mul_f64_e32 v[20:21], v[14:15], v[20:21]
	s_delay_alu instid0(VALU_DEP_2) | instskip(NEXT) | instid1(VALU_DEP_2)
	v_fma_f64 v[4:5], v[14:15], v[18:19], -v[4:5]
	v_fmac_f64_e32 v[20:21], v[16:17], v[18:19]
	s_delay_alu instid0(VALU_DEP_2) | instskip(NEXT) | instid1(VALU_DEP_2)
	v_add_f64_e32 v[14:15], 0, v[4:5]
	v_add_f64_e32 v[16:17], 0, v[20:21]
	s_and_saveexec_b32 s20, s12
	s_cbranch_execnz .LBB91_490
; %bb.84:                               ;   in Loop: Header=BB91_3 Depth=1
	s_or_b32 exec_lo, exec_lo, s20
	s_and_saveexec_b32 s20, s13
	s_cbranch_execnz .LBB91_491
.LBB91_85:                              ;   in Loop: Header=BB91_3 Depth=1
	s_or_b32 exec_lo, exec_lo, s20
	s_and_saveexec_b32 s20, s14
	s_cbranch_execnz .LBB91_492
.LBB91_86:                              ;   in Loop: Header=BB91_3 Depth=1
	s_or_b32 exec_lo, exec_lo, s20
	s_and_saveexec_b32 s20, s15
	s_cbranch_execnz .LBB91_493
.LBB91_87:                              ;   in Loop: Header=BB91_3 Depth=1
	s_or_b32 exec_lo, exec_lo, s20
	s_and_saveexec_b32 s20, s16
	s_cbranch_execnz .LBB91_494
.LBB91_88:                              ;   in Loop: Header=BB91_3 Depth=1
	s_or_b32 exec_lo, exec_lo, s20
	s_and_saveexec_b32 s20, s3
	s_cbranch_execnz .LBB91_495
.LBB91_89:                              ;   in Loop: Header=BB91_3 Depth=1
	s_or_b32 exec_lo, exec_lo, s20
	s_and_saveexec_b32 s20, s11
	s_cbranch_execz .LBB91_91
.LBB91_90:                              ;   in Loop: Header=BB91_3 Depth=1
	ds_load_b128 v[18:21], v3 offset:112
	ds_load_b128 v[68:71], v47 offset:3712
	s_wait_dscnt 0x0
	v_mul_f64_e32 v[4:5], v[20:21], v[70:71]
	v_mul_f64_e32 v[42:43], v[18:19], v[70:71]
	s_delay_alu instid0(VALU_DEP_2) | instskip(NEXT) | instid1(VALU_DEP_2)
	v_fma_f64 v[4:5], v[18:19], v[68:69], -v[4:5]
	v_fmac_f64_e32 v[42:43], v[20:21], v[68:69]
	s_delay_alu instid0(VALU_DEP_2) | instskip(NEXT) | instid1(VALU_DEP_2)
	v_add_f64_e32 v[14:15], v[14:15], v[4:5]
	v_add_f64_e32 v[16:17], v[16:17], v[42:43]
.LBB91_91:                              ;   in Loop: Header=BB91_3 Depth=1
	s_or_b32 exec_lo, exec_lo, s20
	s_delay_alu instid0(VALU_DEP_2) | instskip(NEXT) | instid1(VALU_DEP_2)
	v_xor_b32_e32 v15, 0x80000000, v15
	v_xor_b32_e32 v17, 0x80000000, v17
.LBB91_92:                              ;   in Loop: Header=BB91_3 Depth=1
	s_or_b32 exec_lo, exec_lo, s35
	s_and_saveexec_b32 s20, s80
; %bb.93:                               ;   in Loop: Header=BB91_3 Depth=1
	ds_store_b128 v57, v[14:17]
; %bb.94:                               ;   in Loop: Header=BB91_3 Depth=1
	s_or_b32 exec_lo, exec_lo, s20
	s_wait_dscnt 0x0
	s_barrier_signal -1
	s_barrier_wait -1
	s_and_saveexec_b32 s20, s81
	s_cbranch_execz .LBB91_96
; %bb.95:                               ;   in Loop: Header=BB91_3 Depth=1
	ds_load_b128 v[18:21], v57
	ds_load_b128 v[68:71], v53 offset:4224
	s_wait_dscnt 0x0
	v_mul_f64_e32 v[4:5], v[20:21], v[70:71]
	v_mul_f64_e32 v[42:43], v[18:19], v[70:71]
	s_delay_alu instid0(VALU_DEP_2) | instskip(NEXT) | instid1(VALU_DEP_2)
	v_fma_f64 v[4:5], v[18:19], v[68:69], -v[4:5]
	v_fmac_f64_e32 v[42:43], v[20:21], v[68:69]
	s_delay_alu instid0(VALU_DEP_2) | instskip(NEXT) | instid1(VALU_DEP_2)
	v_add_f64_e32 v[14:15], v[14:15], v[4:5]
	v_add_f64_e32 v[16:17], v[16:17], v[42:43]
.LBB91_96:                              ;   in Loop: Header=BB91_3 Depth=1
	s_or_b32 exec_lo, exec_lo, s20
	s_barrier_signal -1
	s_barrier_wait -1
	s_and_saveexec_b32 s20, s82
; %bb.97:                               ;   in Loop: Header=BB91_3 Depth=1
	ds_store_b128 v57, v[14:17]
; %bb.98:                               ;   in Loop: Header=BB91_3 Depth=1
	s_or_b32 exec_lo, exec_lo, s20
	s_wait_dscnt 0x0
	s_barrier_signal -1
	s_barrier_wait -1
	s_and_saveexec_b32 s20, s83
	s_cbranch_execz .LBB91_100
; %bb.99:                               ;   in Loop: Header=BB91_3 Depth=1
	ds_load_b128 v[18:21], v57
	ds_load_b128 v[68:71], v53 offset:4736
	s_wait_dscnt 0x0
	v_mul_f64_e32 v[4:5], v[20:21], v[70:71]
	v_mul_f64_e32 v[42:43], v[18:19], v[70:71]
	s_delay_alu instid0(VALU_DEP_2) | instskip(NEXT) | instid1(VALU_DEP_2)
	v_fma_f64 v[4:5], v[18:19], v[68:69], -v[4:5]
	v_fmac_f64_e32 v[42:43], v[20:21], v[68:69]
	s_delay_alu instid0(VALU_DEP_2) | instskip(NEXT) | instid1(VALU_DEP_2)
	v_add_f64_e32 v[14:15], v[14:15], v[4:5]
	v_add_f64_e32 v[16:17], v[16:17], v[42:43]
.LBB91_100:                             ;   in Loop: Header=BB91_3 Depth=1
	s_or_b32 exec_lo, exec_lo, s20
	s_barrier_signal -1
	s_barrier_wait -1
	s_and_saveexec_b32 s20, s84
; %bb.101:                              ;   in Loop: Header=BB91_3 Depth=1
	ds_store_b128 v57, v[14:17]
; %bb.102:                              ;   in Loop: Header=BB91_3 Depth=1
	s_or_b32 exec_lo, exec_lo, s20
	s_wait_dscnt 0x0
	s_barrier_signal -1
	s_barrier_wait -1
	s_and_saveexec_b32 s20, s85
	s_cbranch_execz .LBB91_104
; %bb.103:                              ;   in Loop: Header=BB91_3 Depth=1
	ds_load_b128 v[18:21], v57
	ds_load_b128 v[68:71], v53 offset:5248
	s_wait_dscnt 0x0
	v_mul_f64_e32 v[4:5], v[20:21], v[70:71]
	v_mul_f64_e32 v[42:43], v[18:19], v[70:71]
	s_delay_alu instid0(VALU_DEP_2) | instskip(NEXT) | instid1(VALU_DEP_2)
	v_fma_f64 v[4:5], v[18:19], v[68:69], -v[4:5]
	v_fmac_f64_e32 v[42:43], v[20:21], v[68:69]
	s_delay_alu instid0(VALU_DEP_2) | instskip(NEXT) | instid1(VALU_DEP_2)
	v_add_f64_e32 v[14:15], v[14:15], v[4:5]
	v_add_f64_e32 v[16:17], v[16:17], v[42:43]
.LBB91_104:                             ;   in Loop: Header=BB91_3 Depth=1
	s_or_b32 exec_lo, exec_lo, s20
	s_barrier_signal -1
	s_barrier_wait -1
	s_and_saveexec_b32 s20, s86
; %bb.105:                              ;   in Loop: Header=BB91_3 Depth=1
	ds_store_b128 v57, v[14:17]
; %bb.106:                              ;   in Loop: Header=BB91_3 Depth=1
	s_or_b32 exec_lo, exec_lo, s20
	s_wait_dscnt 0x0
	s_barrier_signal -1
	s_barrier_wait -1
	s_and_saveexec_b32 s20, s87
	s_cbranch_execz .LBB91_108
; %bb.107:                              ;   in Loop: Header=BB91_3 Depth=1
	ds_load_b128 v[18:21], v57
	ds_load_b128 v[68:71], v53 offset:5760
	s_wait_dscnt 0x0
	v_mul_f64_e32 v[4:5], v[20:21], v[70:71]
	v_mul_f64_e32 v[42:43], v[18:19], v[70:71]
	s_delay_alu instid0(VALU_DEP_2) | instskip(NEXT) | instid1(VALU_DEP_2)
	v_fma_f64 v[4:5], v[18:19], v[68:69], -v[4:5]
	v_fmac_f64_e32 v[42:43], v[20:21], v[68:69]
	s_delay_alu instid0(VALU_DEP_2) | instskip(NEXT) | instid1(VALU_DEP_2)
	v_add_f64_e32 v[14:15], v[14:15], v[4:5]
	v_add_f64_e32 v[16:17], v[16:17], v[42:43]
.LBB91_108:                             ;   in Loop: Header=BB91_3 Depth=1
	;; [unrolled: 26-line block ×5, first 2 shown]
	s_or_b32 exec_lo, exec_lo, s20
	s_barrier_signal -1
	s_barrier_wait -1
	s_and_saveexec_b32 s20, s93
; %bb.121:                              ;   in Loop: Header=BB91_3 Depth=1
	ds_store_b128 v57, v[14:17]
; %bb.122:                              ;   in Loop: Header=BB91_3 Depth=1
	s_or_b32 exec_lo, exec_lo, s20
	s_wait_dscnt 0x0
	s_barrier_signal -1
	s_barrier_wait -1
	s_barrier_signal -1
	s_barrier_wait -1
	s_and_saveexec_b32 s20, s4
; %bb.123:                              ;   in Loop: Header=BB91_3 Depth=1
	v_xor_b32_e32 v15, 0x80000000, v15
	v_xor_b32_e32 v17, 0x80000000, v17
	ds_store_b128 v58, v[14:17] offset:128
; %bb.124:                              ;   in Loop: Header=BB91_3 Depth=1
	s_or_b32 exec_lo, exec_lo, s20
	s_wait_dscnt 0x0
	s_barrier_signal -1
	s_barrier_wait -1
	s_barrier_signal -1
	s_barrier_wait -1
	s_and_saveexec_b32 s20, s8
	s_cbranch_execz .LBB91_126
; %bb.125:                              ;   in Loop: Header=BB91_3 Depth=1
	s_mov_b32 s48, s53
	s_mov_b32 s50, s53
	;; [unrolled: 1-line block ×3, first 2 shown]
	v_mov_b64_e32 v[14:15], s[48:49]
	v_mov_b64_e32 v[16:17], s[50:51]
	ds_store_b128 v3, v[14:17] offset:4224
	ds_store_b128 v3, v[14:17] offset:4752
.LBB91_126:                             ;   in Loop: Header=BB91_3 Depth=1
	s_or_b32 exec_lo, exec_lo, s20
	v_mov_b64_e32 v[16:17], 0
	v_mov_b64_e32 v[14:15], 0
	s_wait_dscnt 0x0
	s_barrier_signal -1
	s_barrier_wait -1
	s_and_saveexec_b32 s35, s2
	s_cbranch_execz .LBB91_130
; %bb.127:                              ;   in Loop: Header=BB91_3 Depth=1
	ds_load_b128 v[14:17], v45 offset:4224
	ds_load_b128 v[18:21], v44 offset:4256
	s_wait_dscnt 0x0
	v_mul_f64_e32 v[4:5], v[16:17], v[20:21]
	v_mul_f64_e32 v[20:21], v[14:15], v[20:21]
	s_delay_alu instid0(VALU_DEP_2) | instskip(NEXT) | instid1(VALU_DEP_2)
	v_fma_f64 v[4:5], v[14:15], v[18:19], -v[4:5]
	v_fmac_f64_e32 v[20:21], v[16:17], v[18:19]
	s_delay_alu instid0(VALU_DEP_2) | instskip(NEXT) | instid1(VALU_DEP_2)
	v_add_f64_e32 v[14:15], 0, v[4:5]
	v_add_f64_e32 v[16:17], 0, v[20:21]
	s_and_saveexec_b32 s20, s9
	s_cbranch_execz .LBB91_129
; %bb.128:                              ;   in Loop: Header=BB91_3 Depth=1
	ds_load_b128 v[18:21], v3 offset:4240
	ds_load_b128 v[68:71], v47 offset:4768
	s_wait_dscnt 0x0
	v_mul_f64_e32 v[4:5], v[20:21], v[70:71]
	v_mul_f64_e32 v[42:43], v[18:19], v[70:71]
	s_delay_alu instid0(VALU_DEP_2) | instskip(NEXT) | instid1(VALU_DEP_2)
	v_fma_f64 v[4:5], v[18:19], v[68:69], -v[4:5]
	v_fmac_f64_e32 v[42:43], v[20:21], v[68:69]
	s_delay_alu instid0(VALU_DEP_2) | instskip(NEXT) | instid1(VALU_DEP_2)
	v_add_f64_e32 v[14:15], v[14:15], v[4:5]
	v_add_f64_e32 v[16:17], v[16:17], v[42:43]
.LBB91_129:                             ;   in Loop: Header=BB91_3 Depth=1
	s_or_b32 exec_lo, exec_lo, s20
	s_delay_alu instid0(VALU_DEP_2) | instskip(NEXT) | instid1(VALU_DEP_2)
	v_xor_b32_e32 v15, 0x80000000, v15
	v_xor_b32_e32 v17, 0x80000000, v17
.LBB91_130:                             ;   in Loop: Header=BB91_3 Depth=1
	s_or_b32 exec_lo, exec_lo, s35
	s_and_saveexec_b32 s20, s72
; %bb.131:                              ;   in Loop: Header=BB91_3 Depth=1
	ds_store_b128 v27, v[14:17]
; %bb.132:                              ;   in Loop: Header=BB91_3 Depth=1
	s_or_b32 exec_lo, exec_lo, s20
	s_wait_dscnt 0x0
	s_barrier_signal -1
	s_barrier_wait -1
	s_and_saveexec_b32 s20, s73
	s_cbranch_execz .LBB91_134
; %bb.133:                              ;   in Loop: Header=BB91_3 Depth=1
	ds_load_b128 v[18:21], v27
	ds_load_b128 v[68:71], v3 offset:5296
	s_wait_dscnt 0x0
	v_mul_f64_e32 v[4:5], v[20:21], v[70:71]
	v_mul_f64_e32 v[42:43], v[18:19], v[70:71]
	s_delay_alu instid0(VALU_DEP_2) | instskip(NEXT) | instid1(VALU_DEP_2)
	v_fma_f64 v[4:5], v[18:19], v[68:69], -v[4:5]
	v_fmac_f64_e32 v[42:43], v[20:21], v[68:69]
	s_delay_alu instid0(VALU_DEP_2) | instskip(NEXT) | instid1(VALU_DEP_2)
	v_add_f64_e32 v[14:15], v[14:15], v[4:5]
	v_add_f64_e32 v[16:17], v[16:17], v[42:43]
.LBB91_134:                             ;   in Loop: Header=BB91_3 Depth=1
	s_or_b32 exec_lo, exec_lo, s20
	s_barrier_signal -1
	s_barrier_wait -1
	s_and_saveexec_b32 s20, s73
; %bb.135:                              ;   in Loop: Header=BB91_3 Depth=1
	ds_store_b128 v27, v[14:17]
; %bb.136:                              ;   in Loop: Header=BB91_3 Depth=1
	s_or_b32 exec_lo, exec_lo, s20
	s_wait_dscnt 0x0
	s_barrier_signal -1
	s_barrier_wait -1
	s_barrier_signal -1
	s_barrier_wait -1
	s_and_saveexec_b32 s20, s2
; %bb.137:                              ;   in Loop: Header=BB91_3 Depth=1
	v_xor_b32_e32 v15, 0x80000000, v15
	v_xor_b32_e32 v17, 0x80000000, v17
	ds_store_b128 v44, v[14:17] offset:4256
; %bb.138:                              ;   in Loop: Header=BB91_3 Depth=1
	s_or_b32 exec_lo, exec_lo, s20
	s_wait_dscnt 0x0
	s_barrier_signal -1
	s_barrier_wait -1
	s_barrier_signal -1
	s_barrier_wait -1
	s_and_saveexec_b32 s20, s8
	s_cbranch_execz .LBB91_140
; %bb.139:                              ;   in Loop: Header=BB91_3 Depth=1
	s_mov_b32 s48, s53
	s_mov_b32 s50, s53
	;; [unrolled: 1-line block ×3, first 2 shown]
	v_mov_b64_e32 v[14:15], s[48:49]
	v_mov_b64_e32 v[16:17], s[50:51]
	ds_store_b128 v3, v[14:17] offset:5280
	ds_store_b128 v3, v[14:17] offset:5808
.LBB91_140:                             ;   in Loop: Header=BB91_3 Depth=1
	s_or_b32 exec_lo, exec_lo, s20
	v_mov_b64_e32 v[16:17], 0
	v_mov_b64_e32 v[14:15], 0
	s_wait_dscnt 0x0
	s_barrier_signal -1
	s_barrier_wait -1
	s_and_saveexec_b32 s35, s3
	s_cbranch_execz .LBB91_146
; %bb.141:                              ;   in Loop: Header=BB91_3 Depth=1
	ds_load_b128 v[14:17], v46 offset:4224
	ds_load_b128 v[18:21], v51 offset:4288
	s_wait_dscnt 0x0
	v_mul_f64_e32 v[4:5], v[16:17], v[20:21]
	v_mul_f64_e32 v[20:21], v[14:15], v[20:21]
	s_delay_alu instid0(VALU_DEP_2) | instskip(NEXT) | instid1(VALU_DEP_2)
	v_fma_f64 v[4:5], v[14:15], v[18:19], -v[4:5]
	v_fmac_f64_e32 v[20:21], v[16:17], v[18:19]
	s_delay_alu instid0(VALU_DEP_2) | instskip(NEXT) | instid1(VALU_DEP_2)
	v_add_f64_e32 v[14:15], 0, v[4:5]
	v_add_f64_e32 v[16:17], 0, v[20:21]
	s_and_saveexec_b32 s20, s10
	s_cbranch_execnz .LBB91_496
; %bb.142:                              ;   in Loop: Header=BB91_3 Depth=1
	s_or_b32 exec_lo, exec_lo, s20
	s_and_saveexec_b32 s20, s11
	s_cbranch_execnz .LBB91_497
.LBB91_143:                             ;   in Loop: Header=BB91_3 Depth=1
	s_or_b32 exec_lo, exec_lo, s20
	s_and_saveexec_b32 s20, s2
	s_cbranch_execz .LBB91_145
.LBB91_144:                             ;   in Loop: Header=BB91_3 Depth=1
	ds_load_b128 v[18:21], v3 offset:4272
	ds_load_b128 v[68:71], v47 offset:5824
	s_wait_dscnt 0x0
	v_mul_f64_e32 v[4:5], v[20:21], v[70:71]
	v_mul_f64_e32 v[42:43], v[18:19], v[70:71]
	s_delay_alu instid0(VALU_DEP_2) | instskip(NEXT) | instid1(VALU_DEP_2)
	v_fma_f64 v[4:5], v[18:19], v[68:69], -v[4:5]
	v_fmac_f64_e32 v[42:43], v[20:21], v[68:69]
	s_delay_alu instid0(VALU_DEP_2) | instskip(NEXT) | instid1(VALU_DEP_2)
	v_add_f64_e32 v[14:15], v[14:15], v[4:5]
	v_add_f64_e32 v[16:17], v[16:17], v[42:43]
.LBB91_145:                             ;   in Loop: Header=BB91_3 Depth=1
	s_or_b32 exec_lo, exec_lo, s20
	s_delay_alu instid0(VALU_DEP_2) | instskip(NEXT) | instid1(VALU_DEP_2)
	v_xor_b32_e32 v15, 0x80000000, v15
	v_xor_b32_e32 v17, 0x80000000, v17
.LBB91_146:                             ;   in Loop: Header=BB91_3 Depth=1
	s_or_b32 exec_lo, exec_lo, s35
	s_and_saveexec_b32 s20, s74
; %bb.147:                              ;   in Loop: Header=BB91_3 Depth=1
	ds_store_b128 v49, v[14:17]
; %bb.148:                              ;   in Loop: Header=BB91_3 Depth=1
	s_or_b32 exec_lo, exec_lo, s20
	s_wait_dscnt 0x0
	s_barrier_signal -1
	s_barrier_wait -1
	s_and_saveexec_b32 s20, s75
	s_cbranch_execz .LBB91_150
; %bb.149:                              ;   in Loop: Header=BB91_3 Depth=1
	ds_load_b128 v[18:21], v49
	ds_load_b128 v[68:71], v48 offset:6336
	s_wait_dscnt 0x0
	v_mul_f64_e32 v[4:5], v[20:21], v[70:71]
	v_mul_f64_e32 v[42:43], v[18:19], v[70:71]
	s_delay_alu instid0(VALU_DEP_2) | instskip(NEXT) | instid1(VALU_DEP_2)
	v_fma_f64 v[4:5], v[18:19], v[68:69], -v[4:5]
	v_fmac_f64_e32 v[42:43], v[20:21], v[68:69]
	s_delay_alu instid0(VALU_DEP_2) | instskip(NEXT) | instid1(VALU_DEP_2)
	v_add_f64_e32 v[14:15], v[14:15], v[4:5]
	v_add_f64_e32 v[16:17], v[16:17], v[42:43]
.LBB91_150:                             ;   in Loop: Header=BB91_3 Depth=1
	s_or_b32 exec_lo, exec_lo, s20
	s_barrier_signal -1
	s_barrier_wait -1
	s_and_saveexec_b32 s20, s76
; %bb.151:                              ;   in Loop: Header=BB91_3 Depth=1
	ds_store_b128 v49, v[14:17]
; %bb.152:                              ;   in Loop: Header=BB91_3 Depth=1
	s_or_b32 exec_lo, exec_lo, s20
	s_wait_dscnt 0x0
	s_barrier_signal -1
	s_barrier_wait -1
	s_and_saveexec_b32 s20, s77
	s_cbranch_execz .LBB91_154
; %bb.153:                              ;   in Loop: Header=BB91_3 Depth=1
	ds_load_b128 v[18:21], v49
	ds_load_b128 v[68:71], v48 offset:6848
	s_wait_dscnt 0x0
	v_mul_f64_e32 v[4:5], v[20:21], v[70:71]
	v_mul_f64_e32 v[42:43], v[18:19], v[70:71]
	s_delay_alu instid0(VALU_DEP_2) | instskip(NEXT) | instid1(VALU_DEP_2)
	v_fma_f64 v[4:5], v[18:19], v[68:69], -v[4:5]
	v_fmac_f64_e32 v[42:43], v[20:21], v[68:69]
	s_delay_alu instid0(VALU_DEP_2) | instskip(NEXT) | instid1(VALU_DEP_2)
	v_add_f64_e32 v[14:15], v[14:15], v[4:5]
	v_add_f64_e32 v[16:17], v[16:17], v[42:43]
.LBB91_154:                             ;   in Loop: Header=BB91_3 Depth=1
	s_or_b32 exec_lo, exec_lo, s20
	s_barrier_signal -1
	s_barrier_wait -1
	;; [unrolled: 26-line block ×3, first 2 shown]
	s_and_saveexec_b32 s20, s79
; %bb.159:                              ;   in Loop: Header=BB91_3 Depth=1
	ds_store_b128 v49, v[14:17]
; %bb.160:                              ;   in Loop: Header=BB91_3 Depth=1
	s_or_b32 exec_lo, exec_lo, s20
	s_wait_dscnt 0x0
	s_barrier_signal -1
	s_barrier_wait -1
	s_barrier_signal -1
	s_barrier_wait -1
	s_and_saveexec_b32 s20, s3
; %bb.161:                              ;   in Loop: Header=BB91_3 Depth=1
	v_xor_b32_e32 v17, 0x80000000, v17
	v_xor_b32_e32 v15, 0x80000000, v15
	ds_store_b128 v51, v[14:17] offset:4288
; %bb.162:                              ;   in Loop: Header=BB91_3 Depth=1
	s_or_b32 exec_lo, exec_lo, s20
	s_wait_dscnt 0x0
	s_barrier_signal -1
	s_barrier_wait -1
	s_barrier_signal -1
	s_barrier_wait -1
	s_and_saveexec_b32 s20, s8
	s_cbranch_execz .LBB91_164
; %bb.163:                              ;   in Loop: Header=BB91_3 Depth=1
	s_mov_b32 s48, s53
	s_mov_b32 s50, s53
	s_mov_b32 s51, s53
	v_mov_b64_e32 v[14:15], s[48:49]
	v_mov_b64_e32 v[16:17], s[50:51]
	ds_store_b128 v3, v[14:17] offset:6336
	ds_store_b128 v3, v[14:17] offset:6864
.LBB91_164:                             ;   in Loop: Header=BB91_3 Depth=1
	s_or_b32 exec_lo, exec_lo, s20
	v_mov_b64_e32 v[16:17], 0
	v_mov_b64_e32 v[14:15], 0
	s_wait_dscnt 0x0
	s_barrier_signal -1
	s_barrier_wait -1
	s_and_saveexec_b32 s35, s2
	s_cbranch_execz .LBB91_168
; %bb.165:                              ;   in Loop: Header=BB91_3 Depth=1
	ds_load_b128 v[14:17], v45 offset:6336
	ds_load_b128 v[18:21], v44 offset:6368
	s_wait_dscnt 0x0
	v_mul_f64_e32 v[4:5], v[16:17], v[20:21]
	v_mul_f64_e32 v[20:21], v[14:15], v[20:21]
	s_delay_alu instid0(VALU_DEP_2) | instskip(NEXT) | instid1(VALU_DEP_2)
	v_fma_f64 v[4:5], v[14:15], v[18:19], -v[4:5]
	v_fmac_f64_e32 v[20:21], v[16:17], v[18:19]
	s_delay_alu instid0(VALU_DEP_2) | instskip(NEXT) | instid1(VALU_DEP_2)
	v_add_f64_e32 v[14:15], 0, v[4:5]
	v_add_f64_e32 v[16:17], 0, v[20:21]
	s_and_saveexec_b32 s20, s9
	s_cbranch_execz .LBB91_167
; %bb.166:                              ;   in Loop: Header=BB91_3 Depth=1
	ds_load_b128 v[18:21], v3 offset:6352
	ds_load_b128 v[68:71], v47 offset:6880
	s_wait_dscnt 0x0
	v_mul_f64_e32 v[4:5], v[20:21], v[70:71]
	v_mul_f64_e32 v[42:43], v[18:19], v[70:71]
	s_delay_alu instid0(VALU_DEP_2) | instskip(NEXT) | instid1(VALU_DEP_2)
	v_fma_f64 v[4:5], v[18:19], v[68:69], -v[4:5]
	v_fmac_f64_e32 v[42:43], v[20:21], v[68:69]
	s_delay_alu instid0(VALU_DEP_2) | instskip(NEXT) | instid1(VALU_DEP_2)
	v_add_f64_e32 v[14:15], v[14:15], v[4:5]
	v_add_f64_e32 v[16:17], v[16:17], v[42:43]
.LBB91_167:                             ;   in Loop: Header=BB91_3 Depth=1
	s_or_b32 exec_lo, exec_lo, s20
	s_delay_alu instid0(VALU_DEP_2) | instskip(NEXT) | instid1(VALU_DEP_2)
	v_xor_b32_e32 v15, 0x80000000, v15
	v_xor_b32_e32 v17, 0x80000000, v17
.LBB91_168:                             ;   in Loop: Header=BB91_3 Depth=1
	s_or_b32 exec_lo, exec_lo, s35
	s_and_saveexec_b32 s20, s72
; %bb.169:                              ;   in Loop: Header=BB91_3 Depth=1
	ds_store_b128 v27, v[14:17]
; %bb.170:                              ;   in Loop: Header=BB91_3 Depth=1
	s_or_b32 exec_lo, exec_lo, s20
	s_wait_dscnt 0x0
	s_barrier_signal -1
	s_barrier_wait -1
	s_and_saveexec_b32 s20, s73
	s_cbranch_execz .LBB91_172
; %bb.171:                              ;   in Loop: Header=BB91_3 Depth=1
	ds_load_b128 v[18:21], v27
	ds_load_b128 v[68:71], v3 offset:7408
	s_wait_dscnt 0x0
	v_mul_f64_e32 v[4:5], v[20:21], v[70:71]
	v_mul_f64_e32 v[42:43], v[18:19], v[70:71]
	s_delay_alu instid0(VALU_DEP_2) | instskip(NEXT) | instid1(VALU_DEP_2)
	v_fma_f64 v[4:5], v[18:19], v[68:69], -v[4:5]
	v_fmac_f64_e32 v[42:43], v[20:21], v[68:69]
	s_delay_alu instid0(VALU_DEP_2) | instskip(NEXT) | instid1(VALU_DEP_2)
	v_add_f64_e32 v[14:15], v[14:15], v[4:5]
	v_add_f64_e32 v[16:17], v[16:17], v[42:43]
.LBB91_172:                             ;   in Loop: Header=BB91_3 Depth=1
	s_or_b32 exec_lo, exec_lo, s20
	s_barrier_signal -1
	s_barrier_wait -1
	s_and_saveexec_b32 s20, s73
; %bb.173:                              ;   in Loop: Header=BB91_3 Depth=1
	ds_store_b128 v27, v[14:17]
; %bb.174:                              ;   in Loop: Header=BB91_3 Depth=1
	s_or_b32 exec_lo, exec_lo, s20
	s_wait_dscnt 0x0
	s_barrier_signal -1
	s_barrier_wait -1
	s_barrier_signal -1
	s_barrier_wait -1
	s_and_saveexec_b32 s20, s2
; %bb.175:                              ;   in Loop: Header=BB91_3 Depth=1
	v_xor_b32_e32 v15, 0x80000000, v15
	v_xor_b32_e32 v17, 0x80000000, v17
	ds_store_b128 v44, v[14:17] offset:6368
; %bb.176:                              ;   in Loop: Header=BB91_3 Depth=1
	s_or_b32 exec_lo, exec_lo, s20
	s_wait_dscnt 0x0
	s_barrier_signal -1
	s_barrier_wait -1
	s_barrier_signal -1
	s_barrier_wait -1
	s_and_saveexec_b32 s20, s8
	s_cbranch_execz .LBB91_178
; %bb.177:                              ;   in Loop: Header=BB91_3 Depth=1
	s_mov_b32 s48, s53
	s_mov_b32 s50, s53
	;; [unrolled: 1-line block ×3, first 2 shown]
	v_mov_b64_e32 v[14:15], s[48:49]
	v_mov_b64_e32 v[16:17], s[50:51]
	ds_store_b128 v3, v[14:17] offset:7392
	ds_store_b128 v3, v[14:17] offset:7920
.LBB91_178:                             ;   in Loop: Header=BB91_3 Depth=1
	s_or_b32 exec_lo, exec_lo, s20
	v_mov_b64_e32 v[16:17], 0
	v_mov_b64_e32 v[14:15], 0
	s_wait_dscnt 0x0
	s_barrier_signal -1
	s_barrier_wait -1
	s_and_saveexec_b32 s35, s5
	s_cbranch_execz .LBB91_206
; %bb.179:                              ;   in Loop: Header=BB91_3 Depth=1
	v_add_nc_u32_e32 v2, v55, v54
	ds_load_b128 v[14:17], v61 offset:256
	ds_load_b128 v[18:21], v2
	s_wait_dscnt 0x0
	v_mul_f64_e32 v[4:5], v[20:21], v[16:17]
	v_mul_f64_e32 v[16:17], v[18:19], v[16:17]
	s_delay_alu instid0(VALU_DEP_2) | instskip(NEXT) | instid1(VALU_DEP_2)
	v_fma_f64 v[4:5], v[18:19], v[14:15], -v[4:5]
	v_fmac_f64_e32 v[16:17], v[20:21], v[14:15]
	s_delay_alu instid0(VALU_DEP_2) | instskip(NEXT) | instid1(VALU_DEP_2)
	v_add_f64_e32 v[14:15], 0, v[4:5]
	v_add_f64_e32 v[16:17], 0, v[16:17]
	s_mov_b32 s20, exec_lo
	v_readlane_b32 s21, v76, 18
	s_and_b32 s21, s20, s21
	s_delay_alu instid0(SALU_CYCLE_1)
	s_mov_b32 exec_lo, s21
	s_cbranch_execz .LBB91_181
; %bb.180:                              ;   in Loop: Header=BB91_3 Depth=1
	ds_load_b128 v[18:21], v2 offset:16
	ds_load_b128 v[68:71], v61 offset:768
	s_wait_dscnt 0x0
	v_mul_f64_e32 v[4:5], v[20:21], v[70:71]
	v_mul_f64_e32 v[42:43], v[18:19], v[70:71]
	s_delay_alu instid0(VALU_DEP_2) | instskip(NEXT) | instid1(VALU_DEP_2)
	v_fma_f64 v[4:5], v[18:19], v[68:69], -v[4:5]
	v_fmac_f64_e32 v[42:43], v[20:21], v[68:69]
	s_delay_alu instid0(VALU_DEP_2) | instskip(NEXT) | instid1(VALU_DEP_2)
	v_add_f64_e32 v[14:15], v[14:15], v[4:5]
	v_add_f64_e32 v[16:17], v[16:17], v[42:43]
.LBB91_181:                             ;   in Loop: Header=BB91_3 Depth=1
	s_or_b32 exec_lo, exec_lo, s20
	s_delay_alu instid0(SALU_CYCLE_1) | instskip(SKIP_2) | instid1(SALU_CYCLE_1)
	s_mov_b32 s20, exec_lo
	v_readlane_b32 s21, v76, 19
	s_and_b32 s21, s20, s21
	s_mov_b32 exec_lo, s21
	s_cbranch_execz .LBB91_183
; %bb.182:                              ;   in Loop: Header=BB91_3 Depth=1
	ds_load_b128 v[18:21], v2 offset:32
	ds_load_b128 v[68:71], v61 offset:1280
	s_wait_dscnt 0x0
	v_mul_f64_e32 v[4:5], v[20:21], v[70:71]
	v_mul_f64_e32 v[42:43], v[18:19], v[70:71]
	s_delay_alu instid0(VALU_DEP_2) | instskip(NEXT) | instid1(VALU_DEP_2)
	v_fma_f64 v[4:5], v[18:19], v[68:69], -v[4:5]
	v_fmac_f64_e32 v[42:43], v[20:21], v[68:69]
	s_delay_alu instid0(VALU_DEP_2) | instskip(NEXT) | instid1(VALU_DEP_2)
	v_add_f64_e32 v[14:15], v[14:15], v[4:5]
	v_add_f64_e32 v[16:17], v[16:17], v[42:43]
.LBB91_183:                             ;   in Loop: Header=BB91_3 Depth=1
	s_or_b32 exec_lo, exec_lo, s20
	s_delay_alu instid0(SALU_CYCLE_1) | instskip(SKIP_2) | instid1(SALU_CYCLE_1)
	s_mov_b32 s20, exec_lo
	v_readlane_b32 s21, v76, 20
	s_and_b32 s21, s20, s21
	;; [unrolled: 20-line block ×10, first 2 shown]
	s_mov_b32 exec_lo, s21
	s_cbranch_execnz .LBB91_498
; %bb.200:                              ;   in Loop: Header=BB91_3 Depth=1
	s_or_b32 exec_lo, exec_lo, s20
	s_and_saveexec_b32 s20, s4
	s_cbranch_execnz .LBB91_499
.LBB91_201:                             ;   in Loop: Header=BB91_3 Depth=1
	s_or_b32 exec_lo, exec_lo, s20
	s_and_saveexec_b32 s20, s13
	s_cbranch_execnz .LBB91_500
.LBB91_202:                             ;   in Loop: Header=BB91_3 Depth=1
	s_or_b32 exec_lo, exec_lo, s20
	s_and_saveexec_b32 s20, s15
	s_cbranch_execnz .LBB91_501
.LBB91_203:                             ;   in Loop: Header=BB91_3 Depth=1
	s_or_b32 exec_lo, exec_lo, s20
	s_and_saveexec_b32 s20, s3
	s_cbranch_execz .LBB91_205
.LBB91_204:                             ;   in Loop: Header=BB91_3 Depth=1
	ds_load_b128 v[18:21], v3 offset:240
	ds_load_b128 v[68:71], v47 offset:7936
	s_wait_dscnt 0x0
	v_mul_f64_e32 v[4:5], v[20:21], v[70:71]
	v_mul_f64_e32 v[42:43], v[18:19], v[70:71]
	s_delay_alu instid0(VALU_DEP_2) | instskip(NEXT) | instid1(VALU_DEP_2)
	v_fma_f64 v[4:5], v[18:19], v[68:69], -v[4:5]
	v_fmac_f64_e32 v[42:43], v[20:21], v[68:69]
	s_delay_alu instid0(VALU_DEP_2) | instskip(NEXT) | instid1(VALU_DEP_2)
	v_add_f64_e32 v[14:15], v[14:15], v[4:5]
	v_add_f64_e32 v[16:17], v[16:17], v[42:43]
.LBB91_205:                             ;   in Loop: Header=BB91_3 Depth=1
	s_or_b32 exec_lo, exec_lo, s20
	s_delay_alu instid0(VALU_DEP_2) | instskip(NEXT) | instid1(VALU_DEP_2)
	v_xor_b32_e32 v15, 0x80000000, v15
	v_xor_b32_e32 v17, 0x80000000, v17
.LBB91_206:                             ;   in Loop: Header=BB91_3 Depth=1
	s_or_b32 exec_lo, exec_lo, s35
	s_delay_alu instid0(SALU_CYCLE_1) | instskip(SKIP_2) | instid1(SALU_CYCLE_1)
	s_mov_b32 s20, exec_lo
	v_readlane_b32 s21, v76, 0
	s_and_b32 s21, s20, s21
	s_mov_b32 exec_lo, s21
; %bb.207:                              ;   in Loop: Header=BB91_3 Depth=1
	ds_store_b128 v60, v[14:17]
; %bb.208:                              ;   in Loop: Header=BB91_3 Depth=1
	s_or_b32 exec_lo, exec_lo, s20
	s_wait_dscnt 0x0
	s_barrier_signal -1
	s_barrier_wait -1
	s_mov_b32 s20, exec_lo
	v_readlane_b32 s21, v76, 1
	s_and_b32 s21, s20, s21
	s_delay_alu instid0(SALU_CYCLE_1)
	s_mov_b32 exec_lo, s21
	s_cbranch_execz .LBB91_210
; %bb.209:                              ;   in Loop: Header=BB91_3 Depth=1
	ds_load_b128 v[18:21], v60
	ds_load_b128 v[68:71], v56 offset:8448
	s_wait_dscnt 0x0
	v_mul_f64_e32 v[4:5], v[20:21], v[70:71]
	v_mul_f64_e32 v[42:43], v[18:19], v[70:71]
	s_delay_alu instid0(VALU_DEP_2) | instskip(NEXT) | instid1(VALU_DEP_2)
	v_fma_f64 v[4:5], v[18:19], v[68:69], -v[4:5]
	v_fmac_f64_e32 v[42:43], v[20:21], v[68:69]
	s_delay_alu instid0(VALU_DEP_2) | instskip(NEXT) | instid1(VALU_DEP_2)
	v_add_f64_e32 v[14:15], v[14:15], v[4:5]
	v_add_f64_e32 v[16:17], v[16:17], v[42:43]
.LBB91_210:                             ;   in Loop: Header=BB91_3 Depth=1
	s_or_b32 exec_lo, exec_lo, s20
	s_barrier_signal -1
	s_barrier_wait -1
	s_mov_b32 s20, exec_lo
	v_readlane_b32 s21, v76, 2
	s_and_b32 s21, s20, s21
	s_delay_alu instid0(SALU_CYCLE_1)
	s_mov_b32 exec_lo, s21
; %bb.211:                              ;   in Loop: Header=BB91_3 Depth=1
	ds_store_b128 v60, v[14:17]
; %bb.212:                              ;   in Loop: Header=BB91_3 Depth=1
	s_or_b32 exec_lo, exec_lo, s20
	s_wait_dscnt 0x0
	s_barrier_signal -1
	s_barrier_wait -1
	s_mov_b32 s20, exec_lo
	v_readlane_b32 s21, v76, 3
	s_and_b32 s21, s20, s21
	s_delay_alu instid0(SALU_CYCLE_1)
	s_mov_b32 exec_lo, s21
	s_cbranch_execz .LBB91_214
; %bb.213:                              ;   in Loop: Header=BB91_3 Depth=1
	ds_load_b128 v[18:21], v60
	ds_load_b128 v[68:71], v56 offset:8960
	s_wait_dscnt 0x0
	v_mul_f64_e32 v[4:5], v[20:21], v[70:71]
	v_mul_f64_e32 v[42:43], v[18:19], v[70:71]
	s_delay_alu instid0(VALU_DEP_2) | instskip(NEXT) | instid1(VALU_DEP_2)
	v_fma_f64 v[4:5], v[18:19], v[68:69], -v[4:5]
	v_fmac_f64_e32 v[42:43], v[20:21], v[68:69]
	s_delay_alu instid0(VALU_DEP_2) | instskip(NEXT) | instid1(VALU_DEP_2)
	v_add_f64_e32 v[14:15], v[14:15], v[4:5]
	v_add_f64_e32 v[16:17], v[16:17], v[42:43]
.LBB91_214:                             ;   in Loop: Header=BB91_3 Depth=1
	s_or_b32 exec_lo, exec_lo, s20
	s_barrier_signal -1
	s_barrier_wait -1
	s_mov_b32 s20, exec_lo
	v_readlane_b32 s21, v76, 4
	s_and_b32 s21, s20, s21
	s_delay_alu instid0(SALU_CYCLE_1)
	;; [unrolled: 34-line block ×8, first 2 shown]
	s_mov_b32 exec_lo, s21
; %bb.239:                              ;   in Loop: Header=BB91_3 Depth=1
	ds_store_b128 v60, v[14:17]
; %bb.240:                              ;   in Loop: Header=BB91_3 Depth=1
	s_or_b32 exec_lo, exec_lo, s20
	s_wait_dscnt 0x0
	s_barrier_signal -1
	s_barrier_wait -1
	s_and_saveexec_b32 s20, s23
	s_cbranch_execz .LBB91_242
; %bb.241:                              ;   in Loop: Header=BB91_3 Depth=1
	ds_load_b128 v[18:21], v60
	ds_load_b128 v[68:71], v56 offset:12544
	s_wait_dscnt 0x0
	v_mul_f64_e32 v[4:5], v[20:21], v[70:71]
	v_mul_f64_e32 v[42:43], v[18:19], v[70:71]
	s_delay_alu instid0(VALU_DEP_2) | instskip(NEXT) | instid1(VALU_DEP_2)
	v_fma_f64 v[4:5], v[18:19], v[68:69], -v[4:5]
	v_fmac_f64_e32 v[42:43], v[20:21], v[68:69]
	s_delay_alu instid0(VALU_DEP_2) | instskip(NEXT) | instid1(VALU_DEP_2)
	v_add_f64_e32 v[14:15], v[14:15], v[4:5]
	v_add_f64_e32 v[16:17], v[16:17], v[42:43]
.LBB91_242:                             ;   in Loop: Header=BB91_3 Depth=1
	s_or_b32 exec_lo, exec_lo, s20
	s_barrier_signal -1
	s_barrier_wait -1
	s_and_saveexec_b32 s20, s24
; %bb.243:                              ;   in Loop: Header=BB91_3 Depth=1
	ds_store_b128 v60, v[14:17]
; %bb.244:                              ;   in Loop: Header=BB91_3 Depth=1
	s_or_b32 exec_lo, exec_lo, s20
	s_wait_dscnt 0x0
	s_barrier_signal -1
	s_barrier_wait -1
	s_and_saveexec_b32 s20, s25
	s_cbranch_execz .LBB91_246
; %bb.245:                              ;   in Loop: Header=BB91_3 Depth=1
	ds_load_b128 v[18:21], v60
	ds_load_b128 v[68:71], v56 offset:13056
	s_wait_dscnt 0x0
	v_mul_f64_e32 v[4:5], v[20:21], v[70:71]
	v_mul_f64_e32 v[42:43], v[18:19], v[70:71]
	s_delay_alu instid0(VALU_DEP_2) | instskip(NEXT) | instid1(VALU_DEP_2)
	v_fma_f64 v[4:5], v[18:19], v[68:69], -v[4:5]
	v_fmac_f64_e32 v[42:43], v[20:21], v[68:69]
	s_delay_alu instid0(VALU_DEP_2) | instskip(NEXT) | instid1(VALU_DEP_2)
	v_add_f64_e32 v[14:15], v[14:15], v[4:5]
	v_add_f64_e32 v[16:17], v[16:17], v[42:43]
.LBB91_246:                             ;   in Loop: Header=BB91_3 Depth=1
	s_or_b32 exec_lo, exec_lo, s20
	s_barrier_signal -1
	s_barrier_wait -1
	s_and_saveexec_b32 s20, s26
	;; [unrolled: 26-line block ×7, first 2 shown]
; %bb.267:                              ;   in Loop: Header=BB91_3 Depth=1
	ds_store_b128 v60, v[14:17]
; %bb.268:                              ;   in Loop: Header=BB91_3 Depth=1
	s_or_b32 exec_lo, exec_lo, s20
	s_wait_dscnt 0x0
	s_barrier_signal -1
	s_barrier_wait -1
	s_barrier_signal -1
	s_barrier_wait -1
	s_and_saveexec_b32 s20, s5
; %bb.269:                              ;   in Loop: Header=BB91_3 Depth=1
	v_xor_b32_e32 v17, 0x80000000, v17
	v_xor_b32_e32 v15, 0x80000000, v15
	ds_store_b128 v61, v[14:17] offset:256
; %bb.270:                              ;   in Loop: Header=BB91_3 Depth=1
	s_or_b32 exec_lo, exec_lo, s20
	s_wait_dscnt 0x0
	s_barrier_signal -1
	s_barrier_wait -1
	s_barrier_signal -1
	s_barrier_wait -1
	s_and_saveexec_b32 s20, s8
	s_cbranch_execz .LBB91_272
; %bb.271:                              ;   in Loop: Header=BB91_3 Depth=1
	s_mov_b32 s48, s53
	s_mov_b32 s50, s53
	s_mov_b32 s51, s53
	v_mov_b64_e32 v[14:15], s[48:49]
	v_mov_b64_e32 v[16:17], s[50:51]
	ds_store_b128 v3, v[14:17] offset:8448
	ds_store_b128 v3, v[14:17] offset:8976
.LBB91_272:                             ;   in Loop: Header=BB91_3 Depth=1
	s_or_b32 exec_lo, exec_lo, s20
	v_mov_b64_e32 v[16:17], 0
	v_mov_b64_e32 v[14:15], 0
	s_wait_dscnt 0x0
	s_barrier_signal -1
	s_barrier_wait -1
	s_and_saveexec_b32 s35, s2
	s_cbranch_execz .LBB91_276
; %bb.273:                              ;   in Loop: Header=BB91_3 Depth=1
	ds_load_b128 v[14:17], v45 offset:8448
	ds_load_b128 v[18:21], v44 offset:8480
	s_wait_dscnt 0x0
	v_mul_f64_e32 v[4:5], v[16:17], v[20:21]
	v_mul_f64_e32 v[20:21], v[14:15], v[20:21]
	s_delay_alu instid0(VALU_DEP_2) | instskip(NEXT) | instid1(VALU_DEP_2)
	v_fma_f64 v[4:5], v[14:15], v[18:19], -v[4:5]
	v_fmac_f64_e32 v[20:21], v[16:17], v[18:19]
	s_delay_alu instid0(VALU_DEP_2) | instskip(NEXT) | instid1(VALU_DEP_2)
	v_add_f64_e32 v[14:15], 0, v[4:5]
	v_add_f64_e32 v[16:17], 0, v[20:21]
	s_and_saveexec_b32 s20, s9
	s_cbranch_execz .LBB91_275
; %bb.274:                              ;   in Loop: Header=BB91_3 Depth=1
	ds_load_b128 v[18:21], v3 offset:8464
	ds_load_b128 v[68:71], v47 offset:8992
	s_wait_dscnt 0x0
	v_mul_f64_e32 v[4:5], v[20:21], v[70:71]
	v_mul_f64_e32 v[42:43], v[18:19], v[70:71]
	s_delay_alu instid0(VALU_DEP_2) | instskip(NEXT) | instid1(VALU_DEP_2)
	v_fma_f64 v[4:5], v[18:19], v[68:69], -v[4:5]
	v_fmac_f64_e32 v[42:43], v[20:21], v[68:69]
	s_delay_alu instid0(VALU_DEP_2) | instskip(NEXT) | instid1(VALU_DEP_2)
	v_add_f64_e32 v[14:15], v[14:15], v[4:5]
	v_add_f64_e32 v[16:17], v[16:17], v[42:43]
.LBB91_275:                             ;   in Loop: Header=BB91_3 Depth=1
	s_or_b32 exec_lo, exec_lo, s20
	s_delay_alu instid0(VALU_DEP_2) | instskip(NEXT) | instid1(VALU_DEP_2)
	v_xor_b32_e32 v15, 0x80000000, v15
	v_xor_b32_e32 v17, 0x80000000, v17
.LBB91_276:                             ;   in Loop: Header=BB91_3 Depth=1
	s_or_b32 exec_lo, exec_lo, s35
	s_and_saveexec_b32 s20, s72
; %bb.277:                              ;   in Loop: Header=BB91_3 Depth=1
	ds_store_b128 v27, v[14:17]
; %bb.278:                              ;   in Loop: Header=BB91_3 Depth=1
	s_or_b32 exec_lo, exec_lo, s20
	s_wait_dscnt 0x0
	s_barrier_signal -1
	s_barrier_wait -1
	s_and_saveexec_b32 s20, s73
	s_cbranch_execz .LBB91_280
; %bb.279:                              ;   in Loop: Header=BB91_3 Depth=1
	ds_load_b128 v[18:21], v27
	ds_load_b128 v[68:71], v3 offset:9520
	s_wait_dscnt 0x0
	v_mul_f64_e32 v[4:5], v[20:21], v[70:71]
	v_mul_f64_e32 v[42:43], v[18:19], v[70:71]
	s_delay_alu instid0(VALU_DEP_2) | instskip(NEXT) | instid1(VALU_DEP_2)
	v_fma_f64 v[4:5], v[18:19], v[68:69], -v[4:5]
	v_fmac_f64_e32 v[42:43], v[20:21], v[68:69]
	s_delay_alu instid0(VALU_DEP_2) | instskip(NEXT) | instid1(VALU_DEP_2)
	v_add_f64_e32 v[14:15], v[14:15], v[4:5]
	v_add_f64_e32 v[16:17], v[16:17], v[42:43]
.LBB91_280:                             ;   in Loop: Header=BB91_3 Depth=1
	s_or_b32 exec_lo, exec_lo, s20
	s_barrier_signal -1
	s_barrier_wait -1
	s_and_saveexec_b32 s20, s73
; %bb.281:                              ;   in Loop: Header=BB91_3 Depth=1
	ds_store_b128 v27, v[14:17]
; %bb.282:                              ;   in Loop: Header=BB91_3 Depth=1
	s_or_b32 exec_lo, exec_lo, s20
	s_wait_dscnt 0x0
	s_barrier_signal -1
	s_barrier_wait -1
	s_barrier_signal -1
	s_barrier_wait -1
	s_and_saveexec_b32 s20, s2
; %bb.283:                              ;   in Loop: Header=BB91_3 Depth=1
	v_xor_b32_e32 v15, 0x80000000, v15
	v_xor_b32_e32 v17, 0x80000000, v17
	ds_store_b128 v44, v[14:17] offset:8480
; %bb.284:                              ;   in Loop: Header=BB91_3 Depth=1
	s_or_b32 exec_lo, exec_lo, s20
	s_wait_dscnt 0x0
	s_barrier_signal -1
	s_barrier_wait -1
	s_barrier_signal -1
	s_barrier_wait -1
	s_and_saveexec_b32 s20, s8
	s_cbranch_execz .LBB91_286
; %bb.285:                              ;   in Loop: Header=BB91_3 Depth=1
	s_mov_b32 s48, s53
	s_mov_b32 s50, s53
	;; [unrolled: 1-line block ×3, first 2 shown]
	v_mov_b64_e32 v[14:15], s[48:49]
	v_mov_b64_e32 v[16:17], s[50:51]
	ds_store_b128 v3, v[14:17] offset:9504
	ds_store_b128 v3, v[14:17] offset:10032
.LBB91_286:                             ;   in Loop: Header=BB91_3 Depth=1
	s_or_b32 exec_lo, exec_lo, s20
	v_mov_b64_e32 v[16:17], 0
	v_mov_b64_e32 v[14:15], 0
	s_wait_dscnt 0x0
	s_barrier_signal -1
	s_barrier_wait -1
	s_and_saveexec_b32 s35, s3
	s_cbranch_execz .LBB91_292
; %bb.287:                              ;   in Loop: Header=BB91_3 Depth=1
	ds_load_b128 v[14:17], v46 offset:8448
	ds_load_b128 v[18:21], v51 offset:8512
	s_wait_dscnt 0x0
	v_mul_f64_e32 v[4:5], v[16:17], v[20:21]
	v_mul_f64_e32 v[20:21], v[14:15], v[20:21]
	s_delay_alu instid0(VALU_DEP_2) | instskip(NEXT) | instid1(VALU_DEP_2)
	v_fma_f64 v[4:5], v[14:15], v[18:19], -v[4:5]
	v_fmac_f64_e32 v[20:21], v[16:17], v[18:19]
	s_delay_alu instid0(VALU_DEP_2) | instskip(NEXT) | instid1(VALU_DEP_2)
	v_add_f64_e32 v[14:15], 0, v[4:5]
	v_add_f64_e32 v[16:17], 0, v[20:21]
	s_and_saveexec_b32 s20, s10
	s_cbranch_execnz .LBB91_502
; %bb.288:                              ;   in Loop: Header=BB91_3 Depth=1
	s_or_b32 exec_lo, exec_lo, s20
	s_and_saveexec_b32 s20, s11
	s_cbranch_execnz .LBB91_503
.LBB91_289:                             ;   in Loop: Header=BB91_3 Depth=1
	s_or_b32 exec_lo, exec_lo, s20
	s_and_saveexec_b32 s20, s2
	s_cbranch_execz .LBB91_291
.LBB91_290:                             ;   in Loop: Header=BB91_3 Depth=1
	ds_load_b128 v[18:21], v3 offset:8496
	ds_load_b128 v[68:71], v47 offset:10048
	s_wait_dscnt 0x0
	v_mul_f64_e32 v[4:5], v[20:21], v[70:71]
	v_mul_f64_e32 v[42:43], v[18:19], v[70:71]
	s_delay_alu instid0(VALU_DEP_2) | instskip(NEXT) | instid1(VALU_DEP_2)
	v_fma_f64 v[4:5], v[18:19], v[68:69], -v[4:5]
	v_fmac_f64_e32 v[42:43], v[20:21], v[68:69]
	s_delay_alu instid0(VALU_DEP_2) | instskip(NEXT) | instid1(VALU_DEP_2)
	v_add_f64_e32 v[14:15], v[14:15], v[4:5]
	v_add_f64_e32 v[16:17], v[16:17], v[42:43]
.LBB91_291:                             ;   in Loop: Header=BB91_3 Depth=1
	s_or_b32 exec_lo, exec_lo, s20
	s_delay_alu instid0(VALU_DEP_2) | instskip(NEXT) | instid1(VALU_DEP_2)
	v_xor_b32_e32 v15, 0x80000000, v15
	v_xor_b32_e32 v17, 0x80000000, v17
.LBB91_292:                             ;   in Loop: Header=BB91_3 Depth=1
	s_or_b32 exec_lo, exec_lo, s35
	s_and_saveexec_b32 s20, s74
; %bb.293:                              ;   in Loop: Header=BB91_3 Depth=1
	ds_store_b128 v49, v[14:17]
; %bb.294:                              ;   in Loop: Header=BB91_3 Depth=1
	s_or_b32 exec_lo, exec_lo, s20
	s_wait_dscnt 0x0
	s_barrier_signal -1
	s_barrier_wait -1
	s_and_saveexec_b32 s20, s75
	s_cbranch_execz .LBB91_296
; %bb.295:                              ;   in Loop: Header=BB91_3 Depth=1
	ds_load_b128 v[18:21], v49
	ds_load_b128 v[68:71], v48 offset:10560
	s_wait_dscnt 0x0
	v_mul_f64_e32 v[4:5], v[20:21], v[70:71]
	v_mul_f64_e32 v[42:43], v[18:19], v[70:71]
	s_delay_alu instid0(VALU_DEP_2) | instskip(NEXT) | instid1(VALU_DEP_2)
	v_fma_f64 v[4:5], v[18:19], v[68:69], -v[4:5]
	v_fmac_f64_e32 v[42:43], v[20:21], v[68:69]
	s_delay_alu instid0(VALU_DEP_2) | instskip(NEXT) | instid1(VALU_DEP_2)
	v_add_f64_e32 v[14:15], v[14:15], v[4:5]
	v_add_f64_e32 v[16:17], v[16:17], v[42:43]
.LBB91_296:                             ;   in Loop: Header=BB91_3 Depth=1
	s_or_b32 exec_lo, exec_lo, s20
	s_barrier_signal -1
	s_barrier_wait -1
	s_and_saveexec_b32 s20, s76
; %bb.297:                              ;   in Loop: Header=BB91_3 Depth=1
	ds_store_b128 v49, v[14:17]
; %bb.298:                              ;   in Loop: Header=BB91_3 Depth=1
	s_or_b32 exec_lo, exec_lo, s20
	s_wait_dscnt 0x0
	s_barrier_signal -1
	s_barrier_wait -1
	s_and_saveexec_b32 s20, s77
	s_cbranch_execz .LBB91_300
; %bb.299:                              ;   in Loop: Header=BB91_3 Depth=1
	ds_load_b128 v[18:21], v49
	ds_load_b128 v[68:71], v48 offset:11072
	s_wait_dscnt 0x0
	v_mul_f64_e32 v[4:5], v[20:21], v[70:71]
	v_mul_f64_e32 v[42:43], v[18:19], v[70:71]
	s_delay_alu instid0(VALU_DEP_2) | instskip(NEXT) | instid1(VALU_DEP_2)
	v_fma_f64 v[4:5], v[18:19], v[68:69], -v[4:5]
	v_fmac_f64_e32 v[42:43], v[20:21], v[68:69]
	s_delay_alu instid0(VALU_DEP_2) | instskip(NEXT) | instid1(VALU_DEP_2)
	v_add_f64_e32 v[14:15], v[14:15], v[4:5]
	v_add_f64_e32 v[16:17], v[16:17], v[42:43]
.LBB91_300:                             ;   in Loop: Header=BB91_3 Depth=1
	s_or_b32 exec_lo, exec_lo, s20
	s_barrier_signal -1
	s_barrier_wait -1
	;; [unrolled: 26-line block ×3, first 2 shown]
	s_and_saveexec_b32 s20, s79
; %bb.305:                              ;   in Loop: Header=BB91_3 Depth=1
	ds_store_b128 v49, v[14:17]
; %bb.306:                              ;   in Loop: Header=BB91_3 Depth=1
	s_or_b32 exec_lo, exec_lo, s20
	s_wait_dscnt 0x0
	s_barrier_signal -1
	s_barrier_wait -1
	s_barrier_signal -1
	s_barrier_wait -1
	s_and_saveexec_b32 s20, s3
; %bb.307:                              ;   in Loop: Header=BB91_3 Depth=1
	v_xor_b32_e32 v17, 0x80000000, v17
	v_xor_b32_e32 v15, 0x80000000, v15
	ds_store_b128 v51, v[14:17] offset:8512
; %bb.308:                              ;   in Loop: Header=BB91_3 Depth=1
	s_or_b32 exec_lo, exec_lo, s20
	s_wait_dscnt 0x0
	s_barrier_signal -1
	s_barrier_wait -1
	s_barrier_signal -1
	s_barrier_wait -1
	s_and_saveexec_b32 s20, s8
	s_cbranch_execz .LBB91_310
; %bb.309:                              ;   in Loop: Header=BB91_3 Depth=1
	s_mov_b32 s48, s53
	s_mov_b32 s50, s53
	;; [unrolled: 1-line block ×3, first 2 shown]
	v_mov_b64_e32 v[14:15], s[48:49]
	v_mov_b64_e32 v[16:17], s[50:51]
	ds_store_b128 v3, v[14:17] offset:10560
	ds_store_b128 v3, v[14:17] offset:11088
.LBB91_310:                             ;   in Loop: Header=BB91_3 Depth=1
	s_or_b32 exec_lo, exec_lo, s20
	v_mov_b64_e32 v[16:17], 0
	v_mov_b64_e32 v[14:15], 0
	s_wait_dscnt 0x0
	s_barrier_signal -1
	s_barrier_wait -1
	s_and_saveexec_b32 s35, s2
	s_cbranch_execz .LBB91_314
; %bb.311:                              ;   in Loop: Header=BB91_3 Depth=1
	ds_load_b128 v[14:17], v45 offset:10560
	ds_load_b128 v[18:21], v44 offset:10592
	s_wait_dscnt 0x0
	v_mul_f64_e32 v[4:5], v[16:17], v[20:21]
	v_mul_f64_e32 v[20:21], v[14:15], v[20:21]
	s_delay_alu instid0(VALU_DEP_2) | instskip(NEXT) | instid1(VALU_DEP_2)
	v_fma_f64 v[4:5], v[14:15], v[18:19], -v[4:5]
	v_fmac_f64_e32 v[20:21], v[16:17], v[18:19]
	s_delay_alu instid0(VALU_DEP_2) | instskip(NEXT) | instid1(VALU_DEP_2)
	v_add_f64_e32 v[14:15], 0, v[4:5]
	v_add_f64_e32 v[16:17], 0, v[20:21]
	s_and_saveexec_b32 s20, s9
	s_cbranch_execz .LBB91_313
; %bb.312:                              ;   in Loop: Header=BB91_3 Depth=1
	ds_load_b128 v[18:21], v3 offset:10576
	ds_load_b128 v[68:71], v47 offset:11104
	s_wait_dscnt 0x0
	v_mul_f64_e32 v[4:5], v[20:21], v[70:71]
	v_mul_f64_e32 v[42:43], v[18:19], v[70:71]
	s_delay_alu instid0(VALU_DEP_2) | instskip(NEXT) | instid1(VALU_DEP_2)
	v_fma_f64 v[4:5], v[18:19], v[68:69], -v[4:5]
	v_fmac_f64_e32 v[42:43], v[20:21], v[68:69]
	s_delay_alu instid0(VALU_DEP_2) | instskip(NEXT) | instid1(VALU_DEP_2)
	v_add_f64_e32 v[14:15], v[14:15], v[4:5]
	v_add_f64_e32 v[16:17], v[16:17], v[42:43]
.LBB91_313:                             ;   in Loop: Header=BB91_3 Depth=1
	s_or_b32 exec_lo, exec_lo, s20
	s_delay_alu instid0(VALU_DEP_2) | instskip(NEXT) | instid1(VALU_DEP_2)
	v_xor_b32_e32 v15, 0x80000000, v15
	v_xor_b32_e32 v17, 0x80000000, v17
.LBB91_314:                             ;   in Loop: Header=BB91_3 Depth=1
	s_or_b32 exec_lo, exec_lo, s35
	s_and_saveexec_b32 s20, s72
; %bb.315:                              ;   in Loop: Header=BB91_3 Depth=1
	ds_store_b128 v27, v[14:17]
; %bb.316:                              ;   in Loop: Header=BB91_3 Depth=1
	s_or_b32 exec_lo, exec_lo, s20
	s_wait_dscnt 0x0
	s_barrier_signal -1
	s_barrier_wait -1
	s_and_saveexec_b32 s20, s73
	s_cbranch_execz .LBB91_318
; %bb.317:                              ;   in Loop: Header=BB91_3 Depth=1
	ds_load_b128 v[18:21], v27
	ds_load_b128 v[68:71], v3 offset:11632
	s_wait_dscnt 0x0
	v_mul_f64_e32 v[4:5], v[20:21], v[70:71]
	v_mul_f64_e32 v[42:43], v[18:19], v[70:71]
	s_delay_alu instid0(VALU_DEP_2) | instskip(NEXT) | instid1(VALU_DEP_2)
	v_fma_f64 v[4:5], v[18:19], v[68:69], -v[4:5]
	v_fmac_f64_e32 v[42:43], v[20:21], v[68:69]
	s_delay_alu instid0(VALU_DEP_2) | instskip(NEXT) | instid1(VALU_DEP_2)
	v_add_f64_e32 v[14:15], v[14:15], v[4:5]
	v_add_f64_e32 v[16:17], v[16:17], v[42:43]
.LBB91_318:                             ;   in Loop: Header=BB91_3 Depth=1
	s_or_b32 exec_lo, exec_lo, s20
	s_barrier_signal -1
	s_barrier_wait -1
	s_and_saveexec_b32 s20, s73
; %bb.319:                              ;   in Loop: Header=BB91_3 Depth=1
	ds_store_b128 v27, v[14:17]
; %bb.320:                              ;   in Loop: Header=BB91_3 Depth=1
	s_or_b32 exec_lo, exec_lo, s20
	s_wait_dscnt 0x0
	s_barrier_signal -1
	s_barrier_wait -1
	s_barrier_signal -1
	s_barrier_wait -1
	s_and_saveexec_b32 s20, s2
; %bb.321:                              ;   in Loop: Header=BB91_3 Depth=1
	v_xor_b32_e32 v15, 0x80000000, v15
	v_xor_b32_e32 v17, 0x80000000, v17
	ds_store_b128 v44, v[14:17] offset:10592
; %bb.322:                              ;   in Loop: Header=BB91_3 Depth=1
	s_or_b32 exec_lo, exec_lo, s20
	s_wait_dscnt 0x0
	s_barrier_signal -1
	s_barrier_wait -1
	s_barrier_signal -1
	s_barrier_wait -1
	s_and_saveexec_b32 s20, s8
	s_cbranch_execz .LBB91_324
; %bb.323:                              ;   in Loop: Header=BB91_3 Depth=1
	s_mov_b32 s48, s53
	s_mov_b32 s50, s53
	;; [unrolled: 1-line block ×3, first 2 shown]
	v_mov_b64_e32 v[14:15], s[48:49]
	v_mov_b64_e32 v[16:17], s[50:51]
	ds_store_b128 v3, v[14:17] offset:11616
	ds_store_b128 v3, v[14:17] offset:12144
.LBB91_324:                             ;   in Loop: Header=BB91_3 Depth=1
	s_or_b32 exec_lo, exec_lo, s20
	v_mov_b64_e32 v[16:17], 0
	v_mov_b64_e32 v[14:15], 0
	s_wait_dscnt 0x0
	s_barrier_signal -1
	s_barrier_wait -1
	s_and_saveexec_b32 s35, s4
	s_cbranch_execz .LBB91_334
; %bb.325:                              ;   in Loop: Header=BB91_3 Depth=1
	ds_load_b128 v[14:17], v50 offset:8448
	ds_load_b128 v[18:21], v58 offset:8576
	s_wait_dscnt 0x0
	v_mul_f64_e32 v[4:5], v[16:17], v[20:21]
	v_mul_f64_e32 v[20:21], v[14:15], v[20:21]
	s_delay_alu instid0(VALU_DEP_2) | instskip(NEXT) | instid1(VALU_DEP_2)
	v_fma_f64 v[4:5], v[14:15], v[18:19], -v[4:5]
	v_fmac_f64_e32 v[20:21], v[16:17], v[18:19]
	s_delay_alu instid0(VALU_DEP_2) | instskip(NEXT) | instid1(VALU_DEP_2)
	v_add_f64_e32 v[14:15], 0, v[4:5]
	v_add_f64_e32 v[16:17], 0, v[20:21]
	s_and_saveexec_b32 s20, s12
	s_cbranch_execnz .LBB91_504
; %bb.326:                              ;   in Loop: Header=BB91_3 Depth=1
	s_or_b32 exec_lo, exec_lo, s20
	s_and_saveexec_b32 s20, s13
	s_cbranch_execnz .LBB91_505
.LBB91_327:                             ;   in Loop: Header=BB91_3 Depth=1
	s_or_b32 exec_lo, exec_lo, s20
	s_and_saveexec_b32 s20, s14
	s_cbranch_execnz .LBB91_506
.LBB91_328:                             ;   in Loop: Header=BB91_3 Depth=1
	s_or_b32 exec_lo, exec_lo, s20
	s_and_saveexec_b32 s20, s15
	s_cbranch_execnz .LBB91_507
.LBB91_329:                             ;   in Loop: Header=BB91_3 Depth=1
	s_or_b32 exec_lo, exec_lo, s20
	s_and_saveexec_b32 s20, s16
	s_cbranch_execnz .LBB91_508
.LBB91_330:                             ;   in Loop: Header=BB91_3 Depth=1
	s_or_b32 exec_lo, exec_lo, s20
	s_and_saveexec_b32 s20, s3
	s_cbranch_execnz .LBB91_509
.LBB91_331:                             ;   in Loop: Header=BB91_3 Depth=1
	s_or_b32 exec_lo, exec_lo, s20
	s_and_saveexec_b32 s20, s11
	s_cbranch_execz .LBB91_333
.LBB91_332:                             ;   in Loop: Header=BB91_3 Depth=1
	ds_load_b128 v[18:21], v3 offset:8560
	ds_load_b128 v[68:71], v47 offset:12160
	s_wait_dscnt 0x0
	v_mul_f64_e32 v[4:5], v[20:21], v[70:71]
	v_mul_f64_e32 v[42:43], v[18:19], v[70:71]
	s_delay_alu instid0(VALU_DEP_2) | instskip(NEXT) | instid1(VALU_DEP_2)
	v_fma_f64 v[4:5], v[18:19], v[68:69], -v[4:5]
	v_fmac_f64_e32 v[42:43], v[20:21], v[68:69]
	s_delay_alu instid0(VALU_DEP_2) | instskip(NEXT) | instid1(VALU_DEP_2)
	v_add_f64_e32 v[14:15], v[14:15], v[4:5]
	v_add_f64_e32 v[16:17], v[16:17], v[42:43]
.LBB91_333:                             ;   in Loop: Header=BB91_3 Depth=1
	s_or_b32 exec_lo, exec_lo, s20
	s_delay_alu instid0(VALU_DEP_2) | instskip(NEXT) | instid1(VALU_DEP_2)
	v_xor_b32_e32 v15, 0x80000000, v15
	v_xor_b32_e32 v17, 0x80000000, v17
.LBB91_334:                             ;   in Loop: Header=BB91_3 Depth=1
	s_or_b32 exec_lo, exec_lo, s35
	s_and_saveexec_b32 s20, s80
; %bb.335:                              ;   in Loop: Header=BB91_3 Depth=1
	ds_store_b128 v57, v[14:17]
; %bb.336:                              ;   in Loop: Header=BB91_3 Depth=1
	s_or_b32 exec_lo, exec_lo, s20
	s_wait_dscnt 0x0
	s_barrier_signal -1
	s_barrier_wait -1
	s_and_saveexec_b32 s20, s81
	s_cbranch_execz .LBB91_338
; %bb.337:                              ;   in Loop: Header=BB91_3 Depth=1
	ds_load_b128 v[18:21], v57
	ds_load_b128 v[68:71], v53 offset:12672
	s_wait_dscnt 0x0
	v_mul_f64_e32 v[4:5], v[20:21], v[70:71]
	v_mul_f64_e32 v[42:43], v[18:19], v[70:71]
	s_delay_alu instid0(VALU_DEP_2) | instskip(NEXT) | instid1(VALU_DEP_2)
	v_fma_f64 v[4:5], v[18:19], v[68:69], -v[4:5]
	v_fmac_f64_e32 v[42:43], v[20:21], v[68:69]
	s_delay_alu instid0(VALU_DEP_2) | instskip(NEXT) | instid1(VALU_DEP_2)
	v_add_f64_e32 v[14:15], v[14:15], v[4:5]
	v_add_f64_e32 v[16:17], v[16:17], v[42:43]
.LBB91_338:                             ;   in Loop: Header=BB91_3 Depth=1
	s_or_b32 exec_lo, exec_lo, s20
	s_barrier_signal -1
	s_barrier_wait -1
	s_and_saveexec_b32 s20, s82
; %bb.339:                              ;   in Loop: Header=BB91_3 Depth=1
	ds_store_b128 v57, v[14:17]
; %bb.340:                              ;   in Loop: Header=BB91_3 Depth=1
	s_or_b32 exec_lo, exec_lo, s20
	s_wait_dscnt 0x0
	s_barrier_signal -1
	s_barrier_wait -1
	s_and_saveexec_b32 s20, s83
	s_cbranch_execz .LBB91_342
; %bb.341:                              ;   in Loop: Header=BB91_3 Depth=1
	ds_load_b128 v[18:21], v57
	ds_load_b128 v[68:71], v53 offset:13184
	s_wait_dscnt 0x0
	v_mul_f64_e32 v[4:5], v[20:21], v[70:71]
	v_mul_f64_e32 v[42:43], v[18:19], v[70:71]
	s_delay_alu instid0(VALU_DEP_2) | instskip(NEXT) | instid1(VALU_DEP_2)
	v_fma_f64 v[4:5], v[18:19], v[68:69], -v[4:5]
	v_fmac_f64_e32 v[42:43], v[20:21], v[68:69]
	s_delay_alu instid0(VALU_DEP_2) | instskip(NEXT) | instid1(VALU_DEP_2)
	v_add_f64_e32 v[14:15], v[14:15], v[4:5]
	v_add_f64_e32 v[16:17], v[16:17], v[42:43]
.LBB91_342:                             ;   in Loop: Header=BB91_3 Depth=1
	s_or_b32 exec_lo, exec_lo, s20
	s_barrier_signal -1
	s_barrier_wait -1
	;; [unrolled: 26-line block ×7, first 2 shown]
	s_and_saveexec_b32 s20, s93
; %bb.363:                              ;   in Loop: Header=BB91_3 Depth=1
	ds_store_b128 v57, v[14:17]
; %bb.364:                              ;   in Loop: Header=BB91_3 Depth=1
	s_or_b32 exec_lo, exec_lo, s20
	s_wait_dscnt 0x0
	s_barrier_signal -1
	s_barrier_wait -1
	s_barrier_signal -1
	s_barrier_wait -1
	s_and_saveexec_b32 s20, s4
; %bb.365:                              ;   in Loop: Header=BB91_3 Depth=1
	v_xor_b32_e32 v15, 0x80000000, v15
	v_xor_b32_e32 v17, 0x80000000, v17
	ds_store_b128 v58, v[14:17] offset:8576
; %bb.366:                              ;   in Loop: Header=BB91_3 Depth=1
	s_or_b32 exec_lo, exec_lo, s20
	s_wait_dscnt 0x0
	s_barrier_signal -1
	s_barrier_wait -1
	s_barrier_signal -1
	s_barrier_wait -1
	s_and_saveexec_b32 s20, s8
	s_cbranch_execz .LBB91_368
; %bb.367:                              ;   in Loop: Header=BB91_3 Depth=1
	s_mov_b32 s48, s53
	s_mov_b32 s50, s53
	;; [unrolled: 1-line block ×3, first 2 shown]
	v_mov_b64_e32 v[14:15], s[48:49]
	v_mov_b64_e32 v[16:17], s[50:51]
	ds_store_b128 v3, v[14:17] offset:12672
	ds_store_b128 v3, v[14:17] offset:13200
.LBB91_368:                             ;   in Loop: Header=BB91_3 Depth=1
	s_or_b32 exec_lo, exec_lo, s20
	v_mov_b64_e32 v[16:17], 0
	v_mov_b64_e32 v[14:15], 0
	s_wait_dscnt 0x0
	s_barrier_signal -1
	s_barrier_wait -1
	s_and_saveexec_b32 s35, s2
	s_cbranch_execz .LBB91_372
; %bb.369:                              ;   in Loop: Header=BB91_3 Depth=1
	ds_load_b128 v[14:17], v45 offset:12672
	ds_load_b128 v[18:21], v44 offset:12704
	s_wait_dscnt 0x0
	v_mul_f64_e32 v[4:5], v[16:17], v[20:21]
	v_mul_f64_e32 v[20:21], v[14:15], v[20:21]
	s_delay_alu instid0(VALU_DEP_2) | instskip(NEXT) | instid1(VALU_DEP_2)
	v_fma_f64 v[4:5], v[14:15], v[18:19], -v[4:5]
	v_fmac_f64_e32 v[20:21], v[16:17], v[18:19]
	s_delay_alu instid0(VALU_DEP_2) | instskip(NEXT) | instid1(VALU_DEP_2)
	v_add_f64_e32 v[14:15], 0, v[4:5]
	v_add_f64_e32 v[16:17], 0, v[20:21]
	s_and_saveexec_b32 s20, s9
	s_cbranch_execz .LBB91_371
; %bb.370:                              ;   in Loop: Header=BB91_3 Depth=1
	ds_load_b128 v[18:21], v3 offset:12688
	ds_load_b128 v[68:71], v47 offset:13216
	s_wait_dscnt 0x0
	v_mul_f64_e32 v[4:5], v[20:21], v[70:71]
	v_mul_f64_e32 v[42:43], v[18:19], v[70:71]
	s_delay_alu instid0(VALU_DEP_2) | instskip(NEXT) | instid1(VALU_DEP_2)
	v_fma_f64 v[4:5], v[18:19], v[68:69], -v[4:5]
	v_fmac_f64_e32 v[42:43], v[20:21], v[68:69]
	s_delay_alu instid0(VALU_DEP_2) | instskip(NEXT) | instid1(VALU_DEP_2)
	v_add_f64_e32 v[14:15], v[14:15], v[4:5]
	v_add_f64_e32 v[16:17], v[16:17], v[42:43]
.LBB91_371:                             ;   in Loop: Header=BB91_3 Depth=1
	s_or_b32 exec_lo, exec_lo, s20
	s_delay_alu instid0(VALU_DEP_2) | instskip(NEXT) | instid1(VALU_DEP_2)
	v_xor_b32_e32 v15, 0x80000000, v15
	v_xor_b32_e32 v17, 0x80000000, v17
.LBB91_372:                             ;   in Loop: Header=BB91_3 Depth=1
	s_or_b32 exec_lo, exec_lo, s35
	s_and_saveexec_b32 s20, s72
; %bb.373:                              ;   in Loop: Header=BB91_3 Depth=1
	ds_store_b128 v27, v[14:17]
; %bb.374:                              ;   in Loop: Header=BB91_3 Depth=1
	s_or_b32 exec_lo, exec_lo, s20
	s_wait_dscnt 0x0
	s_barrier_signal -1
	s_barrier_wait -1
	s_and_saveexec_b32 s20, s73
	s_cbranch_execz .LBB91_376
; %bb.375:                              ;   in Loop: Header=BB91_3 Depth=1
	ds_load_b128 v[18:21], v27
	ds_load_b128 v[68:71], v3 offset:13744
	s_wait_dscnt 0x0
	v_mul_f64_e32 v[4:5], v[20:21], v[70:71]
	v_mul_f64_e32 v[42:43], v[18:19], v[70:71]
	s_delay_alu instid0(VALU_DEP_2) | instskip(NEXT) | instid1(VALU_DEP_2)
	v_fma_f64 v[4:5], v[18:19], v[68:69], -v[4:5]
	v_fmac_f64_e32 v[42:43], v[20:21], v[68:69]
	s_delay_alu instid0(VALU_DEP_2) | instskip(NEXT) | instid1(VALU_DEP_2)
	v_add_f64_e32 v[14:15], v[14:15], v[4:5]
	v_add_f64_e32 v[16:17], v[16:17], v[42:43]
.LBB91_376:                             ;   in Loop: Header=BB91_3 Depth=1
	s_or_b32 exec_lo, exec_lo, s20
	s_barrier_signal -1
	s_barrier_wait -1
	s_and_saveexec_b32 s20, s73
; %bb.377:                              ;   in Loop: Header=BB91_3 Depth=1
	ds_store_b128 v27, v[14:17]
; %bb.378:                              ;   in Loop: Header=BB91_3 Depth=1
	s_or_b32 exec_lo, exec_lo, s20
	s_wait_dscnt 0x0
	s_barrier_signal -1
	s_barrier_wait -1
	s_barrier_signal -1
	s_barrier_wait -1
	s_and_saveexec_b32 s20, s2
; %bb.379:                              ;   in Loop: Header=BB91_3 Depth=1
	v_xor_b32_e32 v15, 0x80000000, v15
	v_xor_b32_e32 v17, 0x80000000, v17
	ds_store_b128 v44, v[14:17] offset:12704
; %bb.380:                              ;   in Loop: Header=BB91_3 Depth=1
	s_or_b32 exec_lo, exec_lo, s20
	s_wait_dscnt 0x0
	s_barrier_signal -1
	s_barrier_wait -1
	s_barrier_signal -1
	s_barrier_wait -1
	s_and_saveexec_b32 s20, s8
	s_cbranch_execz .LBB91_382
; %bb.381:                              ;   in Loop: Header=BB91_3 Depth=1
	s_mov_b32 s48, s53
	s_mov_b32 s50, s53
	;; [unrolled: 1-line block ×3, first 2 shown]
	v_mov_b64_e32 v[14:15], s[48:49]
	v_mov_b64_e32 v[16:17], s[50:51]
	ds_store_b128 v3, v[14:17] offset:13728
	ds_store_b128 v3, v[14:17] offset:14256
.LBB91_382:                             ;   in Loop: Header=BB91_3 Depth=1
	s_or_b32 exec_lo, exec_lo, s20
	v_mov_b64_e32 v[16:17], 0
	v_mov_b64_e32 v[14:15], 0
	s_wait_dscnt 0x0
	s_barrier_signal -1
	s_barrier_wait -1
	s_and_saveexec_b32 s35, s3
	s_cbranch_execz .LBB91_388
; %bb.383:                              ;   in Loop: Header=BB91_3 Depth=1
	ds_load_b128 v[14:17], v46 offset:12672
	ds_load_b128 v[18:21], v51 offset:12736
	s_wait_dscnt 0x0
	v_mul_f64_e32 v[4:5], v[16:17], v[20:21]
	v_mul_f64_e32 v[20:21], v[14:15], v[20:21]
	s_delay_alu instid0(VALU_DEP_2) | instskip(NEXT) | instid1(VALU_DEP_2)
	v_fma_f64 v[4:5], v[14:15], v[18:19], -v[4:5]
	v_fmac_f64_e32 v[20:21], v[16:17], v[18:19]
	s_delay_alu instid0(VALU_DEP_2) | instskip(NEXT) | instid1(VALU_DEP_2)
	v_add_f64_e32 v[14:15], 0, v[4:5]
	v_add_f64_e32 v[16:17], 0, v[20:21]
	s_and_saveexec_b32 s20, s10
	s_cbranch_execnz .LBB91_510
; %bb.384:                              ;   in Loop: Header=BB91_3 Depth=1
	s_or_b32 exec_lo, exec_lo, s20
	s_and_saveexec_b32 s20, s11
	s_cbranch_execnz .LBB91_511
.LBB91_385:                             ;   in Loop: Header=BB91_3 Depth=1
	s_or_b32 exec_lo, exec_lo, s20
	s_and_saveexec_b32 s20, s2
	s_cbranch_execz .LBB91_387
.LBB91_386:                             ;   in Loop: Header=BB91_3 Depth=1
	ds_load_b128 v[18:21], v3 offset:12720
	ds_load_b128 v[68:71], v47 offset:14272
	s_wait_dscnt 0x0
	v_mul_f64_e32 v[4:5], v[20:21], v[70:71]
	v_mul_f64_e32 v[42:43], v[18:19], v[70:71]
	s_delay_alu instid0(VALU_DEP_2) | instskip(NEXT) | instid1(VALU_DEP_2)
	v_fma_f64 v[4:5], v[18:19], v[68:69], -v[4:5]
	v_fmac_f64_e32 v[42:43], v[20:21], v[68:69]
	s_delay_alu instid0(VALU_DEP_2) | instskip(NEXT) | instid1(VALU_DEP_2)
	v_add_f64_e32 v[14:15], v[14:15], v[4:5]
	v_add_f64_e32 v[16:17], v[16:17], v[42:43]
.LBB91_387:                             ;   in Loop: Header=BB91_3 Depth=1
	s_or_b32 exec_lo, exec_lo, s20
	s_delay_alu instid0(VALU_DEP_2) | instskip(NEXT) | instid1(VALU_DEP_2)
	v_xor_b32_e32 v15, 0x80000000, v15
	v_xor_b32_e32 v17, 0x80000000, v17
.LBB91_388:                             ;   in Loop: Header=BB91_3 Depth=1
	s_or_b32 exec_lo, exec_lo, s35
	s_and_saveexec_b32 s20, s74
; %bb.389:                              ;   in Loop: Header=BB91_3 Depth=1
	ds_store_b128 v49, v[14:17]
; %bb.390:                              ;   in Loop: Header=BB91_3 Depth=1
	s_or_b32 exec_lo, exec_lo, s20
	s_wait_dscnt 0x0
	s_barrier_signal -1
	s_barrier_wait -1
	s_and_saveexec_b32 s20, s75
	s_cbranch_execz .LBB91_392
; %bb.391:                              ;   in Loop: Header=BB91_3 Depth=1
	ds_load_b128 v[18:21], v49
	ds_load_b128 v[68:71], v48 offset:14784
	s_wait_dscnt 0x0
	v_mul_f64_e32 v[4:5], v[20:21], v[70:71]
	v_mul_f64_e32 v[42:43], v[18:19], v[70:71]
	s_delay_alu instid0(VALU_DEP_2) | instskip(NEXT) | instid1(VALU_DEP_2)
	v_fma_f64 v[4:5], v[18:19], v[68:69], -v[4:5]
	v_fmac_f64_e32 v[42:43], v[20:21], v[68:69]
	s_delay_alu instid0(VALU_DEP_2) | instskip(NEXT) | instid1(VALU_DEP_2)
	v_add_f64_e32 v[14:15], v[14:15], v[4:5]
	v_add_f64_e32 v[16:17], v[16:17], v[42:43]
.LBB91_392:                             ;   in Loop: Header=BB91_3 Depth=1
	s_or_b32 exec_lo, exec_lo, s20
	s_barrier_signal -1
	s_barrier_wait -1
	s_and_saveexec_b32 s20, s76
; %bb.393:                              ;   in Loop: Header=BB91_3 Depth=1
	ds_store_b128 v49, v[14:17]
; %bb.394:                              ;   in Loop: Header=BB91_3 Depth=1
	s_or_b32 exec_lo, exec_lo, s20
	s_wait_dscnt 0x0
	s_barrier_signal -1
	s_barrier_wait -1
	s_and_saveexec_b32 s20, s77
	s_cbranch_execz .LBB91_396
; %bb.395:                              ;   in Loop: Header=BB91_3 Depth=1
	ds_load_b128 v[18:21], v49
	ds_load_b128 v[68:71], v48 offset:15296
	s_wait_dscnt 0x0
	v_mul_f64_e32 v[4:5], v[20:21], v[70:71]
	v_mul_f64_e32 v[42:43], v[18:19], v[70:71]
	s_delay_alu instid0(VALU_DEP_2) | instskip(NEXT) | instid1(VALU_DEP_2)
	v_fma_f64 v[4:5], v[18:19], v[68:69], -v[4:5]
	v_fmac_f64_e32 v[42:43], v[20:21], v[68:69]
	s_delay_alu instid0(VALU_DEP_2) | instskip(NEXT) | instid1(VALU_DEP_2)
	v_add_f64_e32 v[14:15], v[14:15], v[4:5]
	v_add_f64_e32 v[16:17], v[16:17], v[42:43]
.LBB91_396:                             ;   in Loop: Header=BB91_3 Depth=1
	s_or_b32 exec_lo, exec_lo, s20
	s_barrier_signal -1
	s_barrier_wait -1
	;; [unrolled: 26-line block ×3, first 2 shown]
	s_and_saveexec_b32 s20, s79
; %bb.401:                              ;   in Loop: Header=BB91_3 Depth=1
	ds_store_b128 v49, v[14:17]
; %bb.402:                              ;   in Loop: Header=BB91_3 Depth=1
	s_or_b32 exec_lo, exec_lo, s20
	s_wait_dscnt 0x0
	s_barrier_signal -1
	s_barrier_wait -1
	s_barrier_signal -1
	s_barrier_wait -1
	s_and_saveexec_b32 s20, s3
; %bb.403:                              ;   in Loop: Header=BB91_3 Depth=1
	v_xor_b32_e32 v17, 0x80000000, v17
	v_xor_b32_e32 v15, 0x80000000, v15
	ds_store_b128 v51, v[14:17] offset:12736
; %bb.404:                              ;   in Loop: Header=BB91_3 Depth=1
	s_or_b32 exec_lo, exec_lo, s20
	s_wait_dscnt 0x0
	s_barrier_signal -1
	s_barrier_wait -1
	s_barrier_signal -1
	s_barrier_wait -1
	s_and_saveexec_b32 s20, s8
	s_cbranch_execz .LBB91_406
; %bb.405:                              ;   in Loop: Header=BB91_3 Depth=1
	s_mov_b32 s48, s53
	s_mov_b32 s50, s53
	;; [unrolled: 1-line block ×3, first 2 shown]
	v_mov_b64_e32 v[14:15], s[48:49]
	v_mov_b64_e32 v[16:17], s[50:51]
	ds_store_b128 v3, v[14:17] offset:14784
	ds_store_b128 v3, v[14:17] offset:15312
.LBB91_406:                             ;   in Loop: Header=BB91_3 Depth=1
	s_or_b32 exec_lo, exec_lo, s20
	v_mov_b64_e32 v[16:17], 0
	v_mov_b64_e32 v[14:15], 0
	s_wait_dscnt 0x0
	s_barrier_signal -1
	s_barrier_wait -1
	s_and_saveexec_b32 s35, s2
	s_cbranch_execz .LBB91_410
; %bb.407:                              ;   in Loop: Header=BB91_3 Depth=1
	ds_load_b128 v[14:17], v45 offset:14784
	ds_load_b128 v[18:21], v44 offset:14816
	s_wait_dscnt 0x0
	v_mul_f64_e32 v[4:5], v[16:17], v[20:21]
	v_mul_f64_e32 v[20:21], v[14:15], v[20:21]
	s_delay_alu instid0(VALU_DEP_2) | instskip(NEXT) | instid1(VALU_DEP_2)
	v_fma_f64 v[4:5], v[14:15], v[18:19], -v[4:5]
	v_fmac_f64_e32 v[20:21], v[16:17], v[18:19]
	s_delay_alu instid0(VALU_DEP_2) | instskip(NEXT) | instid1(VALU_DEP_2)
	v_add_f64_e32 v[14:15], 0, v[4:5]
	v_add_f64_e32 v[16:17], 0, v[20:21]
	s_and_saveexec_b32 s20, s9
	s_cbranch_execz .LBB91_409
; %bb.408:                              ;   in Loop: Header=BB91_3 Depth=1
	ds_load_b128 v[18:21], v3 offset:14800
	ds_load_b128 v[68:71], v47 offset:15328
	s_wait_dscnt 0x0
	v_mul_f64_e32 v[4:5], v[20:21], v[70:71]
	v_mul_f64_e32 v[42:43], v[18:19], v[70:71]
	s_delay_alu instid0(VALU_DEP_2) | instskip(NEXT) | instid1(VALU_DEP_2)
	v_fma_f64 v[4:5], v[18:19], v[68:69], -v[4:5]
	v_fmac_f64_e32 v[42:43], v[20:21], v[68:69]
	s_delay_alu instid0(VALU_DEP_2) | instskip(NEXT) | instid1(VALU_DEP_2)
	v_add_f64_e32 v[14:15], v[14:15], v[4:5]
	v_add_f64_e32 v[16:17], v[16:17], v[42:43]
.LBB91_409:                             ;   in Loop: Header=BB91_3 Depth=1
	s_or_b32 exec_lo, exec_lo, s20
	s_delay_alu instid0(VALU_DEP_2) | instskip(NEXT) | instid1(VALU_DEP_2)
	v_xor_b32_e32 v15, 0x80000000, v15
	v_xor_b32_e32 v17, 0x80000000, v17
.LBB91_410:                             ;   in Loop: Header=BB91_3 Depth=1
	s_or_b32 exec_lo, exec_lo, s35
	s_and_saveexec_b32 s20, s72
; %bb.411:                              ;   in Loop: Header=BB91_3 Depth=1
	ds_store_b128 v27, v[14:17]
; %bb.412:                              ;   in Loop: Header=BB91_3 Depth=1
	s_or_b32 exec_lo, exec_lo, s20
	s_wait_dscnt 0x0
	s_barrier_signal -1
	s_barrier_wait -1
	s_and_saveexec_b32 s20, s73
	s_cbranch_execz .LBB91_414
; %bb.413:                              ;   in Loop: Header=BB91_3 Depth=1
	ds_load_b128 v[18:21], v27
	ds_load_b128 v[68:71], v3 offset:15856
	s_wait_dscnt 0x0
	v_mul_f64_e32 v[4:5], v[20:21], v[70:71]
	v_mul_f64_e32 v[42:43], v[18:19], v[70:71]
	s_delay_alu instid0(VALU_DEP_2) | instskip(NEXT) | instid1(VALU_DEP_2)
	v_fma_f64 v[4:5], v[18:19], v[68:69], -v[4:5]
	v_fmac_f64_e32 v[42:43], v[20:21], v[68:69]
	s_delay_alu instid0(VALU_DEP_2) | instskip(NEXT) | instid1(VALU_DEP_2)
	v_add_f64_e32 v[14:15], v[14:15], v[4:5]
	v_add_f64_e32 v[16:17], v[16:17], v[42:43]
.LBB91_414:                             ;   in Loop: Header=BB91_3 Depth=1
	s_or_b32 exec_lo, exec_lo, s20
	s_barrier_signal -1
	s_barrier_wait -1
	s_and_saveexec_b32 s20, s73
; %bb.415:                              ;   in Loop: Header=BB91_3 Depth=1
	ds_store_b128 v27, v[14:17]
; %bb.416:                              ;   in Loop: Header=BB91_3 Depth=1
	s_or_b32 exec_lo, exec_lo, s20
	s_wait_dscnt 0x0
	s_barrier_signal -1
	s_barrier_wait -1
	s_barrier_signal -1
	s_barrier_wait -1
	s_and_saveexec_b32 s20, s2
; %bb.417:                              ;   in Loop: Header=BB91_3 Depth=1
	v_xor_b32_e32 v15, 0x80000000, v15
	v_xor_b32_e32 v17, 0x80000000, v17
	ds_store_b128 v44, v[14:17] offset:14816
; %bb.418:                              ;   in Loop: Header=BB91_3 Depth=1
	s_or_b32 exec_lo, exec_lo, s20
	s_wait_dscnt 0x0
	s_barrier_signal -1
	s_barrier_wait -1
	s_barrier_signal -1
	s_barrier_wait -1
	s_and_saveexec_b32 s20, s8
	s_cbranch_execz .LBB91_420
; %bb.419:                              ;   in Loop: Header=BB91_3 Depth=1
	s_mov_b32 s48, s53
	s_mov_b32 s50, s53
	;; [unrolled: 1-line block ×3, first 2 shown]
	v_mov_b64_e32 v[14:15], s[48:49]
	v_mov_b64_e32 v[16:17], s[50:51]
	ds_store_b128 v3, v[14:17] offset:15840
	ds_store_b128 v3, v[14:17] offset:16368
.LBB91_420:                             ;   in Loop: Header=BB91_3 Depth=1
	s_or_b32 exec_lo, exec_lo, s20
.LBB91_421:                             ;   in Loop: Header=BB91_3 Depth=1
	v_mov_b64_e32 v[14:15], 0
	s_mul_u64 s[50:51], s[38:39], s[52:53]
	s_wait_dscnt 0x0
	s_lshl_b64 s[50:51], s[50:51], 4
	s_barrier_signal -1
	s_add_nc_u64 s[50:51], s[56:57], s[50:51]
	s_barrier_wait -1
	v_mov_b64_e32 v[16:17], v[14:15]
	s_and_saveexec_b32 s20, s103
	s_cbranch_execz .LBB91_423
; %bb.422:                              ;   in Loop: Header=BB91_3 Depth=1
	v_lshl_add_u64 v[4:5], v[0:1], 4, s[50:51]
	global_load_b128 v[16:19], v[4:5], off
	s_wait_loadcnt 0x0
	v_mul_f64_e32 v[4:5], s[44:45], v[16:17]
	v_mul_f64_e32 v[20:21], s[44:45], v[18:19]
	s_delay_alu instid0(VALU_DEP_2) | instskip(NEXT) | instid1(VALU_DEP_2)
	v_fma_f64 v[14:15], s[46:47], v[18:19], -v[4:5]
	v_fma_f64 v[16:17], v[16:17], -s[46:47], -v[20:21]
.LBB91_423:                             ;   in Loop: Header=BB91_3 Depth=1
	s_or_b32 exec_lo, exec_lo, s20
	s_delay_alu instid0(SALU_CYCLE_1)
	s_and_not1_b32 vcc_lo, exec_lo, s17
	s_cbranch_vccnz .LBB91_446
; %bb.424:                              ;   in Loop: Header=BB91_3 Depth=1
	v_lshl_add_u64 v[18:19], v[28:29], 4, s[64:65]
	v_mov_b32_e32 v68, -1
	s_lshl_b64 s[20:21], s[52:53], 2
	s_mov_b32 s48, 0
	s_add_nc_u64 s[64:65], s[58:59], s[20:21]
	s_branch .LBB91_427
.LBB91_425:                             ;   in Loop: Header=BB91_427 Depth=2
	ds_load_b128 v[70:73], v63 offset:256
	s_wait_loadcnt_dscnt 0x0
	v_mul_f64_e32 v[20:21], v[42:43], v[72:73]
	v_mul_f64_e32 v[72:73], v[4:5], v[72:73]
	s_delay_alu instid0(VALU_DEP_2) | instskip(NEXT) | instid1(VALU_DEP_2)
	v_fma_f64 v[4:5], v[4:5], v[70:71], -v[20:21]
	v_fmac_f64_e32 v[72:73], v[42:43], v[70:71]
	s_delay_alu instid0(VALU_DEP_2) | instskip(NEXT) | instid1(VALU_DEP_2)
	v_add_f64_e32 v[14:15], v[14:15], v[4:5]
	v_add_f64_e32 v[16:17], v[16:17], v[72:73]
.LBB91_426:                             ;   in Loop: Header=BB91_427 Depth=2
	s_or_b32 exec_lo, exec_lo, s35
	s_add_co_i32 s48, s48, 1
	s_delay_alu instid0(SALU_CYCLE_1)
	s_cmp_eq_u32 s48, s68
	s_cbranch_scc1 .LBB91_446
.LBB91_427:                             ;   Parent Loop BB91_3 Depth=1
                                        ; =>  This Loop Header: Depth=2
                                        ;       Child Loop BB91_429 Depth 3
	v_cmp_gt_i32_e32 vcc_lo, s48, v68
	s_and_b32 s21, s28, vcc_lo
	s_delay_alu instid0(SALU_CYCLE_1)
	s_and_saveexec_b32 s20, s21
	s_cbranch_execz .LBB91_430
; %bb.428:                              ;   in Loop: Header=BB91_427 Depth=2
	global_load_b32 v68, v3, s[64:65]
	s_wait_loadcnt 0x0
	v_cmp_le_i32_e32 vcc_lo, s48, v68
	s_cbranch_vccnz .LBB91_430
.LBB91_429:                             ;   Parent Loop BB91_3 Depth=1
                                        ;     Parent Loop BB91_427 Depth=2
                                        ; =>    This Inner Loop Header: Depth=3
	global_wb scope:SCOPE_DEV
	s_wait_storecnt 0x0
	global_inv scope:SCOPE_DEV
	global_load_b32 v68, v3, s[64:65]
	s_wait_loadcnt 0x0
	v_cmp_gt_i32_e32 vcc_lo, s48, v68
	s_cbranch_vccnz .LBB91_429
.LBB91_430:                             ;   in Loop: Header=BB91_427 Depth=2
	s_or_b32 exec_lo, exec_lo, s20
	s_lshl_b32 s35, s48, 5
	global_wb scope:SCOPE_DEV
	s_wait_storecnt 0x0
	global_inv scope:SCOPE_DEV
	s_wait_loadcnt 0x0
	s_barrier_signal -1
	s_barrier_wait -1
	s_and_saveexec_b32 s20, s29
	s_cbranch_execz .LBB91_435
; %bb.431:                              ;   in Loop: Header=BB91_427 Depth=2
	v_or_b32_e32 v2, s35, v26
	s_delay_alu instid0(VALU_DEP_1) | instskip(SKIP_1) | instid1(SALU_CYCLE_1)
	v_cmp_le_i32_e32 vcc_lo, s67, v2
	s_and_saveexec_b32 s21, vcc_lo
	s_xor_b32 vcc_lo, exec_lo, s21
; %bb.432:                              ;   in Loop: Header=BB91_427 Depth=2
	v_dual_mov_b32 v2, v3 :: v_dual_mov_b32 v4, v3
	v_mov_b32_e32 v5, v3
	ds_store_b128 v62, v[2:5]
; %bb.433:                              ;   in Loop: Header=BB91_427 Depth=2
	s_and_not1_saveexec_b32 s21, vcc_lo
	s_cbranch_execz .LBB91_435
; %bb.434:                              ;   in Loop: Header=BB91_427 Depth=2
	v_mul_u64_e32 v[4:5], s[36:37], v[2:3]
	s_delay_alu instid0(VALU_DEP_1)
	v_lshl_add_u64 v[4:5], v[4:5], 4, s[50:51]
	global_load_b128 v[70:73], v[4:5], off
	s_wait_loadcnt 0x0
	ds_store_2addr_b64 v62, v[70:71], v[72:73] offset1:1
.LBB91_435:                             ;   in Loop: Header=BB91_427 Depth=2
	s_or_b32 exec_lo, exec_lo, s20
	v_add_nc_u32_e32 v2, s35, v22
	v_cmp_ne_u32_e32 vcc_lo, s48, v25
	s_wait_dscnt 0x0
	s_barrier_signal -1
	s_barrier_wait -1
	v_mul_u64_e32 v[4:5], s[40:41], v[2:3]
	v_cmp_gt_i32_e64 s35, s67, v2
	v_cndmask_b32_e64 v69, 0, 1, vcc_lo
	s_and_b32 s20, s0, s35
	v_lshl_add_u64 v[4:5], v[4:5], 4, v[18:19]
	s_and_saveexec_b32 s35, s20
	s_cbranch_execz .LBB91_441
; %bb.436:                              ;   in Loop: Header=BB91_427 Depth=2
	v_mov_b64_e32 v[20:21], v[6:7]
	s_and_not1_b32 vcc_lo, exec_lo, vcc_lo
	s_cbranch_vccnz .LBB91_438
; %bb.437:                              ;   in Loop: Header=BB91_427 Depth=2
	global_load_b64 v[20:21], v[4:5], off
.LBB91_438:                             ;   in Loop: Header=BB91_427 Depth=2
	v_cmp_ne_u32_e32 vcc_lo, 1, v69
	v_mov_b64_e32 v[42:43], v[8:9]
	s_cbranch_vccnz .LBB91_440
; %bb.439:                              ;   in Loop: Header=BB91_427 Depth=2
	global_load_b64 v[42:43], v[4:5], off offset:8
.LBB91_440:                             ;   in Loop: Header=BB91_427 Depth=2
	ds_load_b128 v[70:73], v63
	s_wait_loadcnt_dscnt 0x0
	v_mul_f64_e32 v[74:75], v[42:43], v[72:73]
	v_mul_f64_e32 v[72:73], v[20:21], v[72:73]
	s_delay_alu instid0(VALU_DEP_2) | instskip(NEXT) | instid1(VALU_DEP_2)
	v_fma_f64 v[20:21], v[20:21], v[70:71], -v[74:75]
	v_fmac_f64_e32 v[72:73], v[42:43], v[70:71]
	s_delay_alu instid0(VALU_DEP_2) | instskip(NEXT) | instid1(VALU_DEP_2)
	v_add_f64_e32 v[14:15], v[14:15], v[20:21]
	v_add_f64_e32 v[16:17], v[16:17], v[72:73]
.LBB91_441:                             ;   in Loop: Header=BB91_427 Depth=2
	s_or_b32 exec_lo, exec_lo, s35
	v_add_nc_u32_e32 v2, 16, v2
	s_delay_alu instid0(VALU_DEP_1) | instskip(SKIP_1) | instid1(SALU_CYCLE_1)
	v_cmp_gt_i32_e32 vcc_lo, s67, v2
	s_and_b32 s20, s0, vcc_lo
	s_and_saveexec_b32 s35, s20
	s_cbranch_execz .LBB91_426
; %bb.442:                              ;   in Loop: Header=BB91_427 Depth=2
	v_cmp_ne_u32_e32 vcc_lo, 1, v69
	v_add_nc_u64_e32 v[20:21], s[62:63], v[4:5]
	v_mov_b64_e32 v[4:5], v[10:11]
	s_cbranch_vccnz .LBB91_444
; %bb.443:                              ;   in Loop: Header=BB91_427 Depth=2
	global_load_b64 v[4:5], v[20:21], off
.LBB91_444:                             ;   in Loop: Header=BB91_427 Depth=2
	v_cmp_ne_u32_e32 vcc_lo, 1, v69
	v_mov_b64_e32 v[42:43], v[12:13]
	s_cbranch_vccnz .LBB91_425
; %bb.445:                              ;   in Loop: Header=BB91_427 Depth=2
	global_load_b64 v[42:43], v[20:21], off offset:8
	s_branch .LBB91_425
.LBB91_446:                             ;   in Loop: Header=BB91_3 Depth=1
	ds_store_b128 v64, v[14:17]
	s_wait_dscnt 0x0
	s_barrier_signal -1
	s_barrier_wait -1
	s_and_saveexec_b32 s35, s6
	s_cbranch_execz .LBB91_448
; %bb.447:                              ;   in Loop: Header=BB91_3 Depth=1
	ds_load_b128 v[18:21], v65 offset:512
	ds_load_b128 v[68:71], v65 offset:1024
	s_wait_dscnt 0x1
	v_add_f64_e32 v[4:5], v[14:15], v[18:19]
	v_add_f64_e32 v[14:15], v[16:17], v[20:21]
	s_wait_dscnt 0x0
	s_delay_alu instid0(VALU_DEP_2) | instskip(NEXT) | instid1(VALU_DEP_2)
	v_add_f64_e32 v[4:5], v[4:5], v[68:69]
	v_add_f64_e32 v[42:43], v[14:15], v[70:71]
	ds_load_b128 v[14:17], v65 offset:1536
	ds_load_b128 v[18:21], v65 offset:2048
	s_wait_dscnt 0x1
	v_add_f64_e32 v[4:5], v[4:5], v[14:15]
	v_add_f64_e32 v[14:15], v[42:43], v[16:17]
	s_wait_dscnt 0x0
	s_delay_alu instid0(VALU_DEP_2) | instskip(NEXT) | instid1(VALU_DEP_2)
	v_add_f64_e32 v[4:5], v[4:5], v[18:19]
	v_add_f64_e32 v[42:43], v[14:15], v[20:21]
	;; [unrolled: 9-line block ×7, first 2 shown]
	ds_load_b128 v[14:17], v65 offset:7680
	s_wait_dscnt 0x0
	v_add_f64_e32 v[4:5], v[4:5], v[14:15]
	v_add_f64_e32 v[16:17], v[18:19], v[16:17]
	s_delay_alu instid0(VALU_DEP_2) | instskip(NEXT) | instid1(VALU_DEP_2)
	v_xor_b32_e32 v2, 0x80000000, v5
	v_xor_b32_e32 v5, 0x80000000, v17
	s_delay_alu instid0(VALU_DEP_4) | instskip(NEXT) | instid1(VALU_DEP_4)
	v_cndmask_b32_e64 v14, v4, 0, s100
	v_cndmask_b32_e64 v16, v16, 0, s100
	s_delay_alu instid0(VALU_DEP_4) | instskip(NEXT) | instid1(VALU_DEP_4)
	v_cndmask_b32_e64 v15, v2, 0, s100
	v_cndmask_b32_e64 v17, v5, 0, s100
.LBB91_448:                             ;   in Loop: Header=BB91_3 Depth=1
	s_or_b32 exec_lo, exec_lo, s35
	s_delay_alu instid0(SALU_CYCLE_1)
	s_and_not1_b32 vcc_lo, exec_lo, s71
	s_cbranch_vccnz .LBB91_457
; %bb.449:                              ;   in Loop: Header=BB91_3 Depth=1
	s_and_saveexec_b32 s20, s6
; %bb.450:                              ;   in Loop: Header=BB91_3 Depth=1
	ds_store_b128 v67, v[14:17]
; %bb.451:                              ;   in Loop: Header=BB91_3 Depth=1
	s_or_b32 exec_lo, exec_lo, s20
	v_mov_b64_e32 v[18:19], 0
	v_mov_b64_e32 v[20:21], 0
	s_wait_dscnt 0x0
	s_barrier_signal -1
	s_barrier_wait -1
	s_and_saveexec_b32 s20, s30
	s_cbranch_execz .LBB91_453
; %bb.452:                              ;   in Loop: Header=BB91_3 Depth=1
	ds_load_b128 v[18:21], v63
	ds_load_b128 v[68:71], v66
	s_wait_dscnt 0x0
	v_mul_f64_e32 v[4:5], v[20:21], v[70:71]
	v_mul_f64_e32 v[42:43], v[18:19], v[70:71]
	s_delay_alu instid0(VALU_DEP_2) | instskip(NEXT) | instid1(VALU_DEP_2)
	v_fma_f64 v[4:5], v[18:19], v[68:69], -v[4:5]
	v_fmac_f64_e32 v[42:43], v[20:21], v[68:69]
	s_delay_alu instid0(VALU_DEP_2) | instskip(NEXT) | instid1(VALU_DEP_2)
	v_add_f64_e32 v[18:19], 0, v[4:5]
	v_add_f64_e32 v[20:21], 0, v[42:43]
.LBB91_453:                             ;   in Loop: Header=BB91_3 Depth=1
	s_or_b32 exec_lo, exec_lo, s20
	s_and_saveexec_b32 s20, s31
	s_cbranch_execz .LBB91_455
; %bb.454:                              ;   in Loop: Header=BB91_3 Depth=1
	ds_load_b128 v[68:71], v63 offset:256
	ds_load_b128 v[72:75], v66 offset:8192
	s_wait_dscnt 0x0
	v_mul_f64_e32 v[4:5], v[70:71], v[74:75]
	v_mul_f64_e32 v[42:43], v[68:69], v[74:75]
	s_delay_alu instid0(VALU_DEP_2) | instskip(NEXT) | instid1(VALU_DEP_2)
	v_fma_f64 v[4:5], v[68:69], v[72:73], -v[4:5]
	v_fmac_f64_e32 v[42:43], v[70:71], v[72:73]
	s_delay_alu instid0(VALU_DEP_2) | instskip(NEXT) | instid1(VALU_DEP_2)
	v_add_f64_e32 v[18:19], v[18:19], v[4:5]
	v_add_f64_e32 v[20:21], v[20:21], v[42:43]
.LBB91_455:                             ;   in Loop: Header=BB91_3 Depth=1
	s_or_b32 exec_lo, exec_lo, s20
	s_mov_b32 s48, 0
	s_mov_b32 s35, 0
	ds_store_b128 v64, v[18:21]
	s_wait_dscnt 0x0
	s_barrier_signal -1
	s_barrier_wait -1
                                        ; implicit-def: $vgpr4_vgpr5
                                        ; implicit-def: $vgpr42_vgpr43
	s_and_saveexec_b32 s64, s6
	s_cbranch_execz .LBB91_483
; %bb.456:                              ;   in Loop: Header=BB91_3 Depth=1
	ds_load_b128 v[68:71], v65 offset:512
	ds_load_b128 v[72:75], v65 offset:1024
	s_mov_b32 s35, exec_lo
	s_wait_dscnt 0x1
	v_add_f64_e32 v[4:5], v[18:19], v[68:69]
	v_add_f64_e32 v[18:19], v[20:21], v[70:71]
	s_wait_dscnt 0x0
	s_delay_alu instid0(VALU_DEP_2) | instskip(NEXT) | instid1(VALU_DEP_2)
	v_add_f64_e32 v[4:5], v[4:5], v[72:73]
	v_add_f64_e32 v[42:43], v[18:19], v[74:75]
	ds_load_b128 v[18:21], v65 offset:1536
	ds_load_b128 v[68:71], v65 offset:2048
	s_wait_dscnt 0x1
	v_add_f64_e32 v[4:5], v[4:5], v[18:19]
	v_add_f64_e32 v[18:19], v[42:43], v[20:21]
	s_wait_dscnt 0x0
	s_delay_alu instid0(VALU_DEP_2) | instskip(NEXT) | instid1(VALU_DEP_2)
	v_add_f64_e32 v[4:5], v[4:5], v[68:69]
	v_add_f64_e32 v[42:43], v[18:19], v[70:71]
	ds_load_b128 v[18:21], v65 offset:2560
	ds_load_b128 v[68:71], v65 offset:3072
	;; [unrolled: 9-line block ×6, first 2 shown]
	s_wait_dscnt 0x1
	v_add_f64_e32 v[4:5], v[4:5], v[18:19]
	v_add_f64_e32 v[18:19], v[42:43], v[20:21]
	s_wait_dscnt 0x0
	s_delay_alu instid0(VALU_DEP_2) | instskip(NEXT) | instid1(VALU_DEP_2)
	v_add_f64_e32 v[4:5], v[4:5], v[68:69]
	v_add_f64_e32 v[68:69], v[18:19], v[70:71]
	ds_load_b128 v[18:21], v65 offset:7680
	s_wait_dscnt 0x0
	v_add_f64_e32 v[42:43], v[4:5], v[18:19]
	v_add_f64_e32 v[4:5], v[68:69], v[20:21]
	s_or_b32 exec_lo, exec_lo, s64
	s_delay_alu instid0(SALU_CYCLE_1)
	s_and_b32 vcc_lo, exec_lo, s48
	s_cbranch_vccnz .LBB91_458
	s_branch .LBB91_484
.LBB91_457:                             ;   in Loop: Header=BB91_3 Depth=1
	s_mov_b32 s35, 0
                                        ; implicit-def: $vgpr4_vgpr5
                                        ; implicit-def: $vgpr42_vgpr43
	s_cbranch_execz .LBB91_484
.LBB91_458:                             ;   in Loop: Header=BB91_3 Depth=1
	v_dual_mov_b32 v2, v24 :: v_dual_mov_b32 v4, v47
	s_mov_b32 s48, 0
	s_branch .LBB91_460
.LBB91_459:                             ;   in Loop: Header=BB91_460 Depth=2
	s_or_b32 exec_lo, exec_lo, s20
	v_add_nc_u32_e32 v4, 0x400, v4
	v_add_nc_u32_e32 v2, -2, v2
	s_add_co_i32 s48, s48, 2
	s_delay_alu instid0(SALU_CYCLE_1)
	s_cmp_lg_u32 s48, 32
	s_barrier_signal -1
	s_barrier_wait -1
	s_cbranch_scc0 .LBB91_468
.LBB91_460:                             ;   Parent Loop BB91_3 Depth=1
                                        ; =>  This Inner Loop Header: Depth=2
	s_delay_alu instid0(VALU_DEP_1) | instskip(SKIP_1) | instid1(SALU_CYCLE_1)
	v_cmp_eq_u32_e32 vcc_lo, 0, v2
	s_and_b32 s21, s6, vcc_lo
	s_and_saveexec_b32 s20, s21
; %bb.461:                              ;   in Loop: Header=BB91_460 Depth=2
	ds_store_b128 v3, v[14:17] offset:25088
; %bb.462:                              ;   in Loop: Header=BB91_460 Depth=2
	s_or_b32 exec_lo, exec_lo, s20
	v_cmp_lt_u32_e32 vcc_lo, s48, v24
	s_wait_dscnt 0x0
	s_barrier_signal -1
	s_barrier_wait -1
	s_and_b32 s21, s6, vcc_lo
	s_delay_alu instid0(SALU_CYCLE_1)
	s_and_saveexec_b32 s20, s21
	s_cbranch_execz .LBB91_464
; %bb.463:                              ;   in Loop: Header=BB91_460 Depth=2
	ds_load_b128 v[18:21], v3 offset:25088
	ds_load_b128 v[68:71], v4
	s_wait_dscnt 0x0
	v_mul_f64_e32 v[42:43], v[20:21], v[70:71]
	v_mul_f64_e32 v[70:71], v[18:19], v[70:71]
	s_delay_alu instid0(VALU_DEP_2) | instskip(NEXT) | instid1(VALU_DEP_2)
	v_fma_f64 v[18:19], v[18:19], v[68:69], -v[42:43]
	v_fmac_f64_e32 v[70:71], v[20:21], v[68:69]
	s_delay_alu instid0(VALU_DEP_2) | instskip(NEXT) | instid1(VALU_DEP_2)
	v_add_f64_e32 v[14:15], v[14:15], v[18:19]
	v_add_f64_e32 v[16:17], v[16:17], v[70:71]
.LBB91_464:                             ;   in Loop: Header=BB91_460 Depth=2
	s_or_b32 exec_lo, exec_lo, s20
	s_or_b32 s20, s48, 1
	s_delay_alu instid0(SALU_CYCLE_1) | instskip(SKIP_3) | instid1(SALU_CYCLE_1)
	v_cmp_eq_u32_e32 vcc_lo, s20, v24
	s_barrier_signal -1
	s_barrier_wait -1
	s_and_b32 s21, s6, vcc_lo
	s_and_saveexec_b32 s64, s21
; %bb.465:                              ;   in Loop: Header=BB91_460 Depth=2
	ds_store_b128 v3, v[14:17] offset:25088
; %bb.466:                              ;   in Loop: Header=BB91_460 Depth=2
	s_or_b32 exec_lo, exec_lo, s64
	v_cmp_lt_u32_e32 vcc_lo, s20, v24
	s_wait_dscnt 0x0
	s_barrier_signal -1
	s_barrier_wait -1
	s_and_b32 s21, s6, vcc_lo
	s_delay_alu instid0(SALU_CYCLE_1)
	s_and_saveexec_b32 s20, s21
	s_cbranch_execz .LBB91_459
; %bb.467:                              ;   in Loop: Header=BB91_460 Depth=2
	ds_load_b128 v[18:21], v3 offset:25088
	ds_load_b128 v[68:71], v4 offset:512
	s_wait_dscnt 0x0
	v_mul_f64_e32 v[42:43], v[20:21], v[70:71]
	v_mul_f64_e32 v[70:71], v[18:19], v[70:71]
	s_delay_alu instid0(VALU_DEP_2) | instskip(NEXT) | instid1(VALU_DEP_2)
	v_fma_f64 v[18:19], v[18:19], v[68:69], -v[42:43]
	v_fmac_f64_e32 v[70:71], v[20:21], v[68:69]
	s_delay_alu instid0(VALU_DEP_2) | instskip(NEXT) | instid1(VALU_DEP_2)
	v_add_f64_e32 v[14:15], v[14:15], v[18:19]
	v_add_f64_e32 v[16:17], v[16:17], v[70:71]
	s_branch .LBB91_459
.LBB91_468:                             ;   in Loop: Header=BB91_3 Depth=1
	s_and_b32 vcc_lo, exec_lo, s70
	s_mov_b32 s20, -1
	s_cbranch_vccz .LBB91_470
; %bb.469:                              ;   in Loop: Header=BB91_3 Depth=1
	s_and_not1_b32 s21, s35, exec_lo
	s_and_b32 s22, s6, exec_lo
	s_mov_b32 s20, 0
	s_or_b32 s35, s21, s22
.LBB91_470:                             ;   in Loop: Header=BB91_3 Depth=1
	s_and_not1_b32 vcc_lo, exec_lo, s20
	s_cbranch_vccnz .LBB91_472
; %bb.471:                              ;   in Loop: Header=BB91_3 Depth=1
	v_readlane_b32 s21, v76, 17
	s_and_not1_b32 s20, s35, exec_lo
	s_and_b32 s21, s21, exec_lo
	s_delay_alu instid0(SALU_CYCLE_1)
	s_or_b32 s35, s20, s21
.LBB91_472:                             ;   in Loop: Header=BB91_3 Depth=1
	v_mov_b64_e32 v[4:5], v[34:35]
	s_and_saveexec_b32 s20, s35
	s_cbranch_execnz .LBB91_485
	s_branch .LBB91_486
.LBB91_473:                             ;   in Loop: Header=BB91_3 Depth=1
	v_lshl_add_u64 v[4:5], v[36:37], 4, v[18:19]
	s_or_b32 s35, s35, exec_lo
	global_load_b128 v[14:17], v[4:5], off
	s_wait_loadcnt 0x0
	v_xor_b32_e32 v15, 0x80000000, v15
	v_xor_b32_e32 v17, 0x80000000, v17
	s_or_b32 exec_lo, exec_lo, s20
	s_and_saveexec_b32 s20, s35
	s_cbranch_execz .LBB91_14
.LBB91_474:                             ;   in Loop: Header=BB91_3 Depth=1
	ds_store_b128 v66, v[14:17]
	s_or_b32 exec_lo, exec_lo, s20
	s_and_saveexec_b32 s20, s7
	s_delay_alu instid0(SALU_CYCLE_1)
	s_xor_b32 s20, exec_lo, s20
	s_cbranch_execz .LBB91_15
.LBB91_475:                             ;   in Loop: Header=BB91_3 Depth=1
	s_and_saveexec_b32 s35, s34
; %bb.476:                              ;   in Loop: Header=BB91_3 Depth=1
	v_dual_mov_b32 v2, v3 :: v_dual_mov_b32 v4, v3
	v_mov_b32_e32 v5, v3
	ds_store_b128 v23, v[2:5]
; %bb.477:                              ;   in Loop: Header=BB91_3 Depth=1
	s_or_b32 exec_lo, exec_lo, s35
	s_and_not1_saveexec_b32 s20, s20
	s_cbranch_execnz .LBB91_16
	s_branch .LBB91_17
.LBB91_478:                             ;   in Loop: Header=BB91_3 Depth=1
	v_lshl_add_u64 v[4:5], v[36:37], 4, v[18:19]
	s_or_b32 s35, s35, exec_lo
	global_load_b128 v[14:17], v[4:5], off
	s_wait_loadcnt 0x0
	v_xor_b32_e32 v15, 0x80000000, v15
	v_xor_b32_e32 v17, 0x80000000, v17
	s_or_b32 exec_lo, exec_lo, s20
	s_and_saveexec_b32 s20, s35
	s_cbranch_execz .LBB91_23
.LBB91_479:                             ;   in Loop: Header=BB91_3 Depth=1
	ds_store_b128 v66, v[14:17]
	s_or_b32 exec_lo, exec_lo, s20
	s_and_saveexec_b32 s20, s19
	s_delay_alu instid0(SALU_CYCLE_1)
	s_xor_b32 s20, exec_lo, s20
	s_cbranch_execz .LBB91_24
.LBB91_480:                             ;   in Loop: Header=BB91_3 Depth=1
	s_and_saveexec_b32 s35, s34
; %bb.481:                              ;   in Loop: Header=BB91_3 Depth=1
	v_dual_mov_b32 v2, v3 :: v_dual_mov_b32 v4, v3
	v_mov_b32_e32 v5, v3
	ds_store_b128 v23, v[2:5]
; %bb.482:                              ;   in Loop: Header=BB91_3 Depth=1
	s_or_b32 exec_lo, exec_lo, s35
                                        ; implicit-def: $vgpr18_vgpr19
	s_and_not1_saveexec_b32 s20, s20
	s_cbranch_execnz .LBB91_25
	s_branch .LBB91_26
.LBB91_483:                             ;   in Loop: Header=BB91_3 Depth=1
	s_or_b32 exec_lo, exec_lo, s64
	s_delay_alu instid0(SALU_CYCLE_1)
	s_and_b32 vcc_lo, exec_lo, s48
	s_cbranch_vccnz .LBB91_458
.LBB91_484:                             ;   in Loop: Header=BB91_3 Depth=1
	s_delay_alu instid0(VALU_DEP_1) | instskip(NEXT) | instid1(VALU_DEP_3)
	v_mov_b64_e32 v[16:17], v[4:5]
	v_mov_b64_e32 v[14:15], v[42:43]
	;; [unrolled: 1-line block ×3, first 2 shown]
	s_and_saveexec_b32 s20, s35
	s_cbranch_execz .LBB91_486
.LBB91_485:                             ;   in Loop: Header=BB91_3 Depth=1
	s_delay_alu instid0(VALU_DEP_1)
	v_lshl_add_u64 v[4:5], v[4:5], 4, s[50:51]
	global_store_b128 v[4:5], v[14:17], off
.LBB91_486:                             ;   in Loop: Header=BB91_3 Depth=1
	s_wait_xcnt 0x0
	s_or_b32 exec_lo, exec_lo, s20
	global_wb scope:SCOPE_DEV
	s_wait_storecnt 0x0
	global_inv scope:SCOPE_DEV
	s_wait_loadcnt 0x0
	s_barrier_signal -1
	s_barrier_wait -1
	s_and_saveexec_b32 s20, s28
	s_cbranch_execz .LBB91_2
; %bb.487:                              ;   in Loop: Header=BB91_3 Depth=1
	s_lshl_b64 s[50:51], s[52:53], 2
	s_delay_alu instid0(SALU_CYCLE_1)
	s_add_nc_u64 s[50:51], s[58:59], s[50:51]
	global_load_b32 v2, v3, s[50:51]
	s_wait_loadcnt 0x0
	v_add_nc_u32_e32 v2, 1, v2
	global_store_b32 v3, v2, s[50:51]
	s_branch .LBB91_2
.LBB91_488:                             ;   in Loop: Header=BB91_3 Depth=1
	ds_load_b128 v[18:21], v46 offset:16
	ds_load_b128 v[68:71], v52 offset:576
	s_wait_dscnt 0x0
	v_mul_f64_e32 v[4:5], v[20:21], v[70:71]
	v_mul_f64_e32 v[42:43], v[18:19], v[70:71]
	s_delay_alu instid0(VALU_DEP_2) | instskip(NEXT) | instid1(VALU_DEP_2)
	v_fma_f64 v[4:5], v[18:19], v[68:69], -v[4:5]
	v_fmac_f64_e32 v[42:43], v[20:21], v[68:69]
	s_delay_alu instid0(VALU_DEP_2) | instskip(NEXT) | instid1(VALU_DEP_2)
	v_add_f64_e32 v[14:15], v[14:15], v[4:5]
	v_add_f64_e32 v[16:17], v[16:17], v[42:43]
	s_or_b32 exec_lo, exec_lo, s20
	s_and_saveexec_b32 s20, s11
	s_cbranch_execz .LBB91_47
.LBB91_489:                             ;   in Loop: Header=BB91_3 Depth=1
	ds_load_b128 v[18:21], v46 offset:32
	ds_load_b128 v[68:71], v51 offset:1088
	s_wait_dscnt 0x0
	v_mul_f64_e32 v[4:5], v[20:21], v[70:71]
	v_mul_f64_e32 v[42:43], v[18:19], v[70:71]
	s_delay_alu instid0(VALU_DEP_2) | instskip(NEXT) | instid1(VALU_DEP_2)
	v_fma_f64 v[4:5], v[18:19], v[68:69], -v[4:5]
	v_fmac_f64_e32 v[42:43], v[20:21], v[68:69]
	s_delay_alu instid0(VALU_DEP_2) | instskip(NEXT) | instid1(VALU_DEP_2)
	v_add_f64_e32 v[14:15], v[14:15], v[4:5]
	v_add_f64_e32 v[16:17], v[16:17], v[42:43]
	s_or_b32 exec_lo, exec_lo, s20
	s_and_saveexec_b32 s20, s2
	s_cbranch_execnz .LBB91_48
	s_branch .LBB91_49
.LBB91_490:                             ;   in Loop: Header=BB91_3 Depth=1
	ds_load_b128 v[18:21], v50 offset:16
	ds_load_b128 v[68:71], v59 offset:640
	s_wait_dscnt 0x0
	v_mul_f64_e32 v[4:5], v[20:21], v[70:71]
	v_mul_f64_e32 v[42:43], v[18:19], v[70:71]
	s_delay_alu instid0(VALU_DEP_2) | instskip(NEXT) | instid1(VALU_DEP_2)
	v_fma_f64 v[4:5], v[18:19], v[68:69], -v[4:5]
	v_fmac_f64_e32 v[42:43], v[20:21], v[68:69]
	s_delay_alu instid0(VALU_DEP_2) | instskip(NEXT) | instid1(VALU_DEP_2)
	v_add_f64_e32 v[14:15], v[14:15], v[4:5]
	v_add_f64_e32 v[16:17], v[16:17], v[42:43]
	s_or_b32 exec_lo, exec_lo, s20
	s_and_saveexec_b32 s20, s13
	s_cbranch_execz .LBB91_85
.LBB91_491:                             ;   in Loop: Header=BB91_3 Depth=1
	ds_load_b128 v[18:21], v50 offset:32
	ds_load_b128 v[68:71], v59 offset:1152
	s_wait_dscnt 0x0
	v_mul_f64_e32 v[4:5], v[20:21], v[70:71]
	v_mul_f64_e32 v[42:43], v[18:19], v[70:71]
	s_delay_alu instid0(VALU_DEP_2) | instskip(NEXT) | instid1(VALU_DEP_2)
	v_fma_f64 v[4:5], v[18:19], v[68:69], -v[4:5]
	v_fmac_f64_e32 v[42:43], v[20:21], v[68:69]
	s_delay_alu instid0(VALU_DEP_2) | instskip(NEXT) | instid1(VALU_DEP_2)
	v_add_f64_e32 v[14:15], v[14:15], v[4:5]
	v_add_f64_e32 v[16:17], v[16:17], v[42:43]
	s_or_b32 exec_lo, exec_lo, s20
	s_and_saveexec_b32 s20, s14
	s_cbranch_execz .LBB91_86
.LBB91_492:                             ;   in Loop: Header=BB91_3 Depth=1
	ds_load_b128 v[18:21], v50 offset:48
	ds_load_b128 v[68:71], v59 offset:1664
	s_wait_dscnt 0x0
	v_mul_f64_e32 v[4:5], v[20:21], v[70:71]
	v_mul_f64_e32 v[42:43], v[18:19], v[70:71]
	s_delay_alu instid0(VALU_DEP_2) | instskip(NEXT) | instid1(VALU_DEP_2)
	v_fma_f64 v[4:5], v[18:19], v[68:69], -v[4:5]
	v_fmac_f64_e32 v[42:43], v[20:21], v[68:69]
	s_delay_alu instid0(VALU_DEP_2) | instskip(NEXT) | instid1(VALU_DEP_2)
	v_add_f64_e32 v[14:15], v[14:15], v[4:5]
	v_add_f64_e32 v[16:17], v[16:17], v[42:43]
	s_or_b32 exec_lo, exec_lo, s20
	s_and_saveexec_b32 s20, s15
	s_cbranch_execz .LBB91_87
.LBB91_493:                             ;   in Loop: Header=BB91_3 Depth=1
	ds_load_b128 v[18:21], v50 offset:64
	ds_load_b128 v[68:71], v58 offset:2176
	s_wait_dscnt 0x0
	v_mul_f64_e32 v[4:5], v[20:21], v[70:71]
	v_mul_f64_e32 v[42:43], v[18:19], v[70:71]
	s_delay_alu instid0(VALU_DEP_2) | instskip(NEXT) | instid1(VALU_DEP_2)
	v_fma_f64 v[4:5], v[18:19], v[68:69], -v[4:5]
	v_fmac_f64_e32 v[42:43], v[20:21], v[68:69]
	s_delay_alu instid0(VALU_DEP_2) | instskip(NEXT) | instid1(VALU_DEP_2)
	v_add_f64_e32 v[14:15], v[14:15], v[4:5]
	v_add_f64_e32 v[16:17], v[16:17], v[42:43]
	s_or_b32 exec_lo, exec_lo, s20
	s_and_saveexec_b32 s20, s16
	s_cbranch_execz .LBB91_88
.LBB91_494:                             ;   in Loop: Header=BB91_3 Depth=1
	ds_load_b128 v[18:21], v50 offset:80
	ds_load_b128 v[68:71], v59 offset:2688
	s_wait_dscnt 0x0
	v_mul_f64_e32 v[4:5], v[20:21], v[70:71]
	v_mul_f64_e32 v[42:43], v[18:19], v[70:71]
	s_delay_alu instid0(VALU_DEP_2) | instskip(NEXT) | instid1(VALU_DEP_2)
	v_fma_f64 v[4:5], v[18:19], v[68:69], -v[4:5]
	v_fmac_f64_e32 v[42:43], v[20:21], v[68:69]
	s_delay_alu instid0(VALU_DEP_2) | instskip(NEXT) | instid1(VALU_DEP_2)
	v_add_f64_e32 v[14:15], v[14:15], v[4:5]
	v_add_f64_e32 v[16:17], v[16:17], v[42:43]
	s_or_b32 exec_lo, exec_lo, s20
	s_and_saveexec_b32 s20, s3
	s_cbranch_execz .LBB91_89
.LBB91_495:                             ;   in Loop: Header=BB91_3 Depth=1
	ds_load_b128 v[18:21], v50 offset:96
	ds_load_b128 v[68:71], v58 offset:3200
	s_wait_dscnt 0x0
	v_mul_f64_e32 v[4:5], v[20:21], v[70:71]
	v_mul_f64_e32 v[42:43], v[18:19], v[70:71]
	s_delay_alu instid0(VALU_DEP_2) | instskip(NEXT) | instid1(VALU_DEP_2)
	v_fma_f64 v[4:5], v[18:19], v[68:69], -v[4:5]
	v_fmac_f64_e32 v[42:43], v[20:21], v[68:69]
	s_delay_alu instid0(VALU_DEP_2) | instskip(NEXT) | instid1(VALU_DEP_2)
	v_add_f64_e32 v[14:15], v[14:15], v[4:5]
	v_add_f64_e32 v[16:17], v[16:17], v[42:43]
	s_or_b32 exec_lo, exec_lo, s20
	s_and_saveexec_b32 s20, s11
	s_cbranch_execnz .LBB91_90
	s_branch .LBB91_91
.LBB91_496:                             ;   in Loop: Header=BB91_3 Depth=1
	ds_load_b128 v[18:21], v46 offset:4240
	ds_load_b128 v[68:71], v52 offset:4800
	s_wait_dscnt 0x0
	v_mul_f64_e32 v[4:5], v[20:21], v[70:71]
	v_mul_f64_e32 v[42:43], v[18:19], v[70:71]
	s_delay_alu instid0(VALU_DEP_2) | instskip(NEXT) | instid1(VALU_DEP_2)
	v_fma_f64 v[4:5], v[18:19], v[68:69], -v[4:5]
	v_fmac_f64_e32 v[42:43], v[20:21], v[68:69]
	s_delay_alu instid0(VALU_DEP_2) | instskip(NEXT) | instid1(VALU_DEP_2)
	v_add_f64_e32 v[14:15], v[14:15], v[4:5]
	v_add_f64_e32 v[16:17], v[16:17], v[42:43]
	s_or_b32 exec_lo, exec_lo, s20
	s_and_saveexec_b32 s20, s11
	s_cbranch_execz .LBB91_143
.LBB91_497:                             ;   in Loop: Header=BB91_3 Depth=1
	ds_load_b128 v[18:21], v46 offset:4256
	ds_load_b128 v[68:71], v51 offset:5312
	s_wait_dscnt 0x0
	v_mul_f64_e32 v[4:5], v[20:21], v[70:71]
	v_mul_f64_e32 v[42:43], v[18:19], v[70:71]
	s_delay_alu instid0(VALU_DEP_2) | instskip(NEXT) | instid1(VALU_DEP_2)
	v_fma_f64 v[4:5], v[18:19], v[68:69], -v[4:5]
	v_fmac_f64_e32 v[42:43], v[20:21], v[68:69]
	s_delay_alu instid0(VALU_DEP_2) | instskip(NEXT) | instid1(VALU_DEP_2)
	v_add_f64_e32 v[14:15], v[14:15], v[4:5]
	v_add_f64_e32 v[16:17], v[16:17], v[42:43]
	s_or_b32 exec_lo, exec_lo, s20
	s_and_saveexec_b32 s20, s2
	s_cbranch_execnz .LBB91_144
	s_branch .LBB91_145
.LBB91_498:                             ;   in Loop: Header=BB91_3 Depth=1
	ds_load_b128 v[18:21], v2 offset:176
	ds_load_b128 v[68:71], v61 offset:5888
	s_wait_dscnt 0x0
	v_mul_f64_e32 v[4:5], v[20:21], v[70:71]
	v_mul_f64_e32 v[42:43], v[18:19], v[70:71]
	s_delay_alu instid0(VALU_DEP_2) | instskip(NEXT) | instid1(VALU_DEP_2)
	v_fma_f64 v[4:5], v[18:19], v[68:69], -v[4:5]
	v_fmac_f64_e32 v[42:43], v[20:21], v[68:69]
	s_delay_alu instid0(VALU_DEP_2) | instskip(NEXT) | instid1(VALU_DEP_2)
	v_add_f64_e32 v[14:15], v[14:15], v[4:5]
	v_add_f64_e32 v[16:17], v[16:17], v[42:43]
	s_or_b32 exec_lo, exec_lo, s20
	s_and_saveexec_b32 s20, s4
	s_cbranch_execz .LBB91_201
.LBB91_499:                             ;   in Loop: Header=BB91_3 Depth=1
	ds_load_b128 v[18:21], v2 offset:192
	ds_load_b128 v[68:71], v61 offset:6400
	s_wait_dscnt 0x0
	v_mul_f64_e32 v[4:5], v[20:21], v[70:71]
	v_mul_f64_e32 v[42:43], v[18:19], v[70:71]
	s_delay_alu instid0(VALU_DEP_2) | instskip(NEXT) | instid1(VALU_DEP_2)
	v_fma_f64 v[4:5], v[18:19], v[68:69], -v[4:5]
	v_fmac_f64_e32 v[42:43], v[20:21], v[68:69]
	s_delay_alu instid0(VALU_DEP_2) | instskip(NEXT) | instid1(VALU_DEP_2)
	v_add_f64_e32 v[14:15], v[14:15], v[4:5]
	v_add_f64_e32 v[16:17], v[16:17], v[42:43]
	s_or_b32 exec_lo, exec_lo, s20
	s_and_saveexec_b32 s20, s13
	s_cbranch_execz .LBB91_202
.LBB91_500:                             ;   in Loop: Header=BB91_3 Depth=1
	ds_load_b128 v[18:21], v2 offset:208
	ds_load_b128 v[68:71], v61 offset:6912
	s_wait_dscnt 0x0
	v_mul_f64_e32 v[4:5], v[20:21], v[70:71]
	v_mul_f64_e32 v[42:43], v[18:19], v[70:71]
	s_delay_alu instid0(VALU_DEP_2) | instskip(NEXT) | instid1(VALU_DEP_2)
	v_fma_f64 v[4:5], v[18:19], v[68:69], -v[4:5]
	v_fmac_f64_e32 v[42:43], v[20:21], v[68:69]
	s_delay_alu instid0(VALU_DEP_2) | instskip(NEXT) | instid1(VALU_DEP_2)
	v_add_f64_e32 v[14:15], v[14:15], v[4:5]
	v_add_f64_e32 v[16:17], v[16:17], v[42:43]
	s_or_b32 exec_lo, exec_lo, s20
	s_and_saveexec_b32 s20, s15
	s_cbranch_execz .LBB91_203
.LBB91_501:                             ;   in Loop: Header=BB91_3 Depth=1
	ds_load_b128 v[18:21], v2 offset:224
	ds_load_b128 v[68:71], v61 offset:7424
	s_wait_dscnt 0x0
	v_mul_f64_e32 v[4:5], v[20:21], v[70:71]
	v_mul_f64_e32 v[42:43], v[18:19], v[70:71]
	s_delay_alu instid0(VALU_DEP_2) | instskip(NEXT) | instid1(VALU_DEP_2)
	v_fma_f64 v[4:5], v[18:19], v[68:69], -v[4:5]
	v_fmac_f64_e32 v[42:43], v[20:21], v[68:69]
	s_delay_alu instid0(VALU_DEP_2) | instskip(NEXT) | instid1(VALU_DEP_2)
	v_add_f64_e32 v[14:15], v[14:15], v[4:5]
	v_add_f64_e32 v[16:17], v[16:17], v[42:43]
	s_or_b32 exec_lo, exec_lo, s20
	s_and_saveexec_b32 s20, s3
	s_cbranch_execnz .LBB91_204
	s_branch .LBB91_205
.LBB91_502:                             ;   in Loop: Header=BB91_3 Depth=1
	ds_load_b128 v[18:21], v46 offset:8464
	ds_load_b128 v[68:71], v52 offset:9024
	s_wait_dscnt 0x0
	v_mul_f64_e32 v[4:5], v[20:21], v[70:71]
	v_mul_f64_e32 v[42:43], v[18:19], v[70:71]
	s_delay_alu instid0(VALU_DEP_2) | instskip(NEXT) | instid1(VALU_DEP_2)
	v_fma_f64 v[4:5], v[18:19], v[68:69], -v[4:5]
	v_fmac_f64_e32 v[42:43], v[20:21], v[68:69]
	s_delay_alu instid0(VALU_DEP_2) | instskip(NEXT) | instid1(VALU_DEP_2)
	v_add_f64_e32 v[14:15], v[14:15], v[4:5]
	v_add_f64_e32 v[16:17], v[16:17], v[42:43]
	s_or_b32 exec_lo, exec_lo, s20
	s_and_saveexec_b32 s20, s11
	s_cbranch_execz .LBB91_289
.LBB91_503:                             ;   in Loop: Header=BB91_3 Depth=1
	ds_load_b128 v[18:21], v46 offset:8480
	ds_load_b128 v[68:71], v51 offset:9536
	s_wait_dscnt 0x0
	v_mul_f64_e32 v[4:5], v[20:21], v[70:71]
	v_mul_f64_e32 v[42:43], v[18:19], v[70:71]
	s_delay_alu instid0(VALU_DEP_2) | instskip(NEXT) | instid1(VALU_DEP_2)
	v_fma_f64 v[4:5], v[18:19], v[68:69], -v[4:5]
	v_fmac_f64_e32 v[42:43], v[20:21], v[68:69]
	s_delay_alu instid0(VALU_DEP_2) | instskip(NEXT) | instid1(VALU_DEP_2)
	v_add_f64_e32 v[14:15], v[14:15], v[4:5]
	v_add_f64_e32 v[16:17], v[16:17], v[42:43]
	s_or_b32 exec_lo, exec_lo, s20
	s_and_saveexec_b32 s20, s2
	s_cbranch_execnz .LBB91_290
	s_branch .LBB91_291
.LBB91_504:                             ;   in Loop: Header=BB91_3 Depth=1
	ds_load_b128 v[18:21], v50 offset:8464
	ds_load_b128 v[68:71], v59 offset:9088
	s_wait_dscnt 0x0
	v_mul_f64_e32 v[4:5], v[20:21], v[70:71]
	v_mul_f64_e32 v[42:43], v[18:19], v[70:71]
	s_delay_alu instid0(VALU_DEP_2) | instskip(NEXT) | instid1(VALU_DEP_2)
	v_fma_f64 v[4:5], v[18:19], v[68:69], -v[4:5]
	v_fmac_f64_e32 v[42:43], v[20:21], v[68:69]
	s_delay_alu instid0(VALU_DEP_2) | instskip(NEXT) | instid1(VALU_DEP_2)
	v_add_f64_e32 v[14:15], v[14:15], v[4:5]
	v_add_f64_e32 v[16:17], v[16:17], v[42:43]
	s_or_b32 exec_lo, exec_lo, s20
	s_and_saveexec_b32 s20, s13
	s_cbranch_execz .LBB91_327
.LBB91_505:                             ;   in Loop: Header=BB91_3 Depth=1
	ds_load_b128 v[18:21], v50 offset:8480
	ds_load_b128 v[68:71], v59 offset:9600
	s_wait_dscnt 0x0
	v_mul_f64_e32 v[4:5], v[20:21], v[70:71]
	v_mul_f64_e32 v[42:43], v[18:19], v[70:71]
	s_delay_alu instid0(VALU_DEP_2) | instskip(NEXT) | instid1(VALU_DEP_2)
	v_fma_f64 v[4:5], v[18:19], v[68:69], -v[4:5]
	v_fmac_f64_e32 v[42:43], v[20:21], v[68:69]
	s_delay_alu instid0(VALU_DEP_2) | instskip(NEXT) | instid1(VALU_DEP_2)
	v_add_f64_e32 v[14:15], v[14:15], v[4:5]
	v_add_f64_e32 v[16:17], v[16:17], v[42:43]
	s_or_b32 exec_lo, exec_lo, s20
	s_and_saveexec_b32 s20, s14
	s_cbranch_execz .LBB91_328
.LBB91_506:                             ;   in Loop: Header=BB91_3 Depth=1
	ds_load_b128 v[18:21], v50 offset:8496
	ds_load_b128 v[68:71], v59 offset:10112
	s_wait_dscnt 0x0
	v_mul_f64_e32 v[4:5], v[20:21], v[70:71]
	v_mul_f64_e32 v[42:43], v[18:19], v[70:71]
	s_delay_alu instid0(VALU_DEP_2) | instskip(NEXT) | instid1(VALU_DEP_2)
	v_fma_f64 v[4:5], v[18:19], v[68:69], -v[4:5]
	v_fmac_f64_e32 v[42:43], v[20:21], v[68:69]
	s_delay_alu instid0(VALU_DEP_2) | instskip(NEXT) | instid1(VALU_DEP_2)
	v_add_f64_e32 v[14:15], v[14:15], v[4:5]
	v_add_f64_e32 v[16:17], v[16:17], v[42:43]
	s_or_b32 exec_lo, exec_lo, s20
	s_and_saveexec_b32 s20, s15
	s_cbranch_execz .LBB91_329
.LBB91_507:                             ;   in Loop: Header=BB91_3 Depth=1
	ds_load_b128 v[18:21], v50 offset:8512
	ds_load_b128 v[68:71], v58 offset:10624
	s_wait_dscnt 0x0
	v_mul_f64_e32 v[4:5], v[20:21], v[70:71]
	v_mul_f64_e32 v[42:43], v[18:19], v[70:71]
	s_delay_alu instid0(VALU_DEP_2) | instskip(NEXT) | instid1(VALU_DEP_2)
	v_fma_f64 v[4:5], v[18:19], v[68:69], -v[4:5]
	v_fmac_f64_e32 v[42:43], v[20:21], v[68:69]
	s_delay_alu instid0(VALU_DEP_2) | instskip(NEXT) | instid1(VALU_DEP_2)
	v_add_f64_e32 v[14:15], v[14:15], v[4:5]
	v_add_f64_e32 v[16:17], v[16:17], v[42:43]
	s_or_b32 exec_lo, exec_lo, s20
	s_and_saveexec_b32 s20, s16
	s_cbranch_execz .LBB91_330
.LBB91_508:                             ;   in Loop: Header=BB91_3 Depth=1
	ds_load_b128 v[18:21], v50 offset:8528
	ds_load_b128 v[68:71], v59 offset:11136
	s_wait_dscnt 0x0
	v_mul_f64_e32 v[4:5], v[20:21], v[70:71]
	v_mul_f64_e32 v[42:43], v[18:19], v[70:71]
	s_delay_alu instid0(VALU_DEP_2) | instskip(NEXT) | instid1(VALU_DEP_2)
	v_fma_f64 v[4:5], v[18:19], v[68:69], -v[4:5]
	v_fmac_f64_e32 v[42:43], v[20:21], v[68:69]
	s_delay_alu instid0(VALU_DEP_2) | instskip(NEXT) | instid1(VALU_DEP_2)
	v_add_f64_e32 v[14:15], v[14:15], v[4:5]
	v_add_f64_e32 v[16:17], v[16:17], v[42:43]
	s_or_b32 exec_lo, exec_lo, s20
	s_and_saveexec_b32 s20, s3
	s_cbranch_execz .LBB91_331
.LBB91_509:                             ;   in Loop: Header=BB91_3 Depth=1
	ds_load_b128 v[18:21], v50 offset:8544
	ds_load_b128 v[68:71], v58 offset:11648
	s_wait_dscnt 0x0
	v_mul_f64_e32 v[4:5], v[20:21], v[70:71]
	v_mul_f64_e32 v[42:43], v[18:19], v[70:71]
	s_delay_alu instid0(VALU_DEP_2) | instskip(NEXT) | instid1(VALU_DEP_2)
	v_fma_f64 v[4:5], v[18:19], v[68:69], -v[4:5]
	v_fmac_f64_e32 v[42:43], v[20:21], v[68:69]
	s_delay_alu instid0(VALU_DEP_2) | instskip(NEXT) | instid1(VALU_DEP_2)
	v_add_f64_e32 v[14:15], v[14:15], v[4:5]
	v_add_f64_e32 v[16:17], v[16:17], v[42:43]
	s_or_b32 exec_lo, exec_lo, s20
	s_and_saveexec_b32 s20, s11
	s_cbranch_execnz .LBB91_332
	s_branch .LBB91_333
.LBB91_510:                             ;   in Loop: Header=BB91_3 Depth=1
	ds_load_b128 v[18:21], v46 offset:12688
	ds_load_b128 v[68:71], v52 offset:13248
	s_wait_dscnt 0x0
	v_mul_f64_e32 v[4:5], v[20:21], v[70:71]
	v_mul_f64_e32 v[42:43], v[18:19], v[70:71]
	s_delay_alu instid0(VALU_DEP_2) | instskip(NEXT) | instid1(VALU_DEP_2)
	v_fma_f64 v[4:5], v[18:19], v[68:69], -v[4:5]
	v_fmac_f64_e32 v[42:43], v[20:21], v[68:69]
	s_delay_alu instid0(VALU_DEP_2) | instskip(NEXT) | instid1(VALU_DEP_2)
	v_add_f64_e32 v[14:15], v[14:15], v[4:5]
	v_add_f64_e32 v[16:17], v[16:17], v[42:43]
	s_or_b32 exec_lo, exec_lo, s20
	s_and_saveexec_b32 s20, s11
	s_cbranch_execz .LBB91_385
.LBB91_511:                             ;   in Loop: Header=BB91_3 Depth=1
	ds_load_b128 v[18:21], v46 offset:12704
	ds_load_b128 v[68:71], v51 offset:13760
	s_wait_dscnt 0x0
	v_mul_f64_e32 v[4:5], v[20:21], v[70:71]
	v_mul_f64_e32 v[42:43], v[18:19], v[70:71]
	s_delay_alu instid0(VALU_DEP_2) | instskip(NEXT) | instid1(VALU_DEP_2)
	v_fma_f64 v[4:5], v[18:19], v[68:69], -v[4:5]
	v_fmac_f64_e32 v[42:43], v[20:21], v[68:69]
	s_delay_alu instid0(VALU_DEP_2) | instskip(NEXT) | instid1(VALU_DEP_2)
	v_add_f64_e32 v[14:15], v[14:15], v[4:5]
	v_add_f64_e32 v[16:17], v[16:17], v[42:43]
	s_or_b32 exec_lo, exec_lo, s20
	s_and_saveexec_b32 s20, s2
	s_cbranch_execnz .LBB91_386
	s_branch .LBB91_387
.LBB91_512:
	s_endpgm
	.section	.rodata,"a",@progbits
	.p2align	6, 0x0
	.amdhsa_kernel _ZL19rocblas_trsv_deviceILi32ELi16ELb1ELb0ELb0ELb1E19rocblas_complex_numIdES1_PKS1_PS1_EviT7_lllT6_T8_lllPii
		.amdhsa_group_segment_fixed_size 25104
		.amdhsa_private_segment_fixed_size 0
		.amdhsa_kernarg_size 360
		.amdhsa_user_sgpr_count 2
		.amdhsa_user_sgpr_dispatch_ptr 0
		.amdhsa_user_sgpr_queue_ptr 0
		.amdhsa_user_sgpr_kernarg_segment_ptr 1
		.amdhsa_user_sgpr_dispatch_id 0
		.amdhsa_user_sgpr_kernarg_preload_length 0
		.amdhsa_user_sgpr_kernarg_preload_offset 0
		.amdhsa_user_sgpr_private_segment_size 0
		.amdhsa_wavefront_size32 1
		.amdhsa_uses_dynamic_stack 0
		.amdhsa_enable_private_segment 0
		.amdhsa_system_sgpr_workgroup_id_x 1
		.amdhsa_system_sgpr_workgroup_id_y 0
		.amdhsa_system_sgpr_workgroup_id_z 1
		.amdhsa_system_sgpr_workgroup_info 0
		.amdhsa_system_vgpr_workitem_id 1
		.amdhsa_next_free_vgpr 77
		.amdhsa_next_free_sgpr 105
		.amdhsa_named_barrier_count 0
		.amdhsa_reserve_vcc 1
		.amdhsa_float_round_mode_32 0
		.amdhsa_float_round_mode_16_64 0
		.amdhsa_float_denorm_mode_32 3
		.amdhsa_float_denorm_mode_16_64 3
		.amdhsa_fp16_overflow 0
		.amdhsa_memory_ordered 1
		.amdhsa_forward_progress 1
		.amdhsa_inst_pref_size 141
		.amdhsa_round_robin_scheduling 0
		.amdhsa_exception_fp_ieee_invalid_op 0
		.amdhsa_exception_fp_denorm_src 0
		.amdhsa_exception_fp_ieee_div_zero 0
		.amdhsa_exception_fp_ieee_overflow 0
		.amdhsa_exception_fp_ieee_underflow 0
		.amdhsa_exception_fp_ieee_inexact 0
		.amdhsa_exception_int_div_zero 0
	.end_amdhsa_kernel
	.section	.text._ZL19rocblas_trsv_deviceILi32ELi16ELb1ELb0ELb0ELb1E19rocblas_complex_numIdES1_PKS1_PS1_EviT7_lllT6_T8_lllPii,"axG",@progbits,_ZL19rocblas_trsv_deviceILi32ELi16ELb1ELb0ELb0ELb1E19rocblas_complex_numIdES1_PKS1_PS1_EviT7_lllT6_T8_lllPii,comdat
.Lfunc_end91:
	.size	_ZL19rocblas_trsv_deviceILi32ELi16ELb1ELb0ELb0ELb1E19rocblas_complex_numIdES1_PKS1_PS1_EviT7_lllT6_T8_lllPii, .Lfunc_end91-_ZL19rocblas_trsv_deviceILi32ELi16ELb1ELb0ELb0ELb1E19rocblas_complex_numIdES1_PKS1_PS1_EviT7_lllT6_T8_lllPii
                                        ; -- End function
	.set _ZL19rocblas_trsv_deviceILi32ELi16ELb1ELb0ELb0ELb1E19rocblas_complex_numIdES1_PKS1_PS1_EviT7_lllT6_T8_lllPii.num_vgpr, 77
	.set _ZL19rocblas_trsv_deviceILi32ELi16ELb1ELb0ELb0ELb1E19rocblas_complex_numIdES1_PKS1_PS1_EviT7_lllT6_T8_lllPii.num_agpr, 0
	.set _ZL19rocblas_trsv_deviceILi32ELi16ELb1ELb0ELb0ELb1E19rocblas_complex_numIdES1_PKS1_PS1_EviT7_lllT6_T8_lllPii.numbered_sgpr, 105
	.set _ZL19rocblas_trsv_deviceILi32ELi16ELb1ELb0ELb0ELb1E19rocblas_complex_numIdES1_PKS1_PS1_EviT7_lllT6_T8_lllPii.num_named_barrier, 0
	.set _ZL19rocblas_trsv_deviceILi32ELi16ELb1ELb0ELb0ELb1E19rocblas_complex_numIdES1_PKS1_PS1_EviT7_lllT6_T8_lllPii.private_seg_size, 0
	.set _ZL19rocblas_trsv_deviceILi32ELi16ELb1ELb0ELb0ELb1E19rocblas_complex_numIdES1_PKS1_PS1_EviT7_lllT6_T8_lllPii.uses_vcc, 1
	.set _ZL19rocblas_trsv_deviceILi32ELi16ELb1ELb0ELb0ELb1E19rocblas_complex_numIdES1_PKS1_PS1_EviT7_lllT6_T8_lllPii.uses_flat_scratch, 0
	.set _ZL19rocblas_trsv_deviceILi32ELi16ELb1ELb0ELb0ELb1E19rocblas_complex_numIdES1_PKS1_PS1_EviT7_lllT6_T8_lllPii.has_dyn_sized_stack, 0
	.set _ZL19rocblas_trsv_deviceILi32ELi16ELb1ELb0ELb0ELb1E19rocblas_complex_numIdES1_PKS1_PS1_EviT7_lllT6_T8_lllPii.has_recursion, 0
	.set _ZL19rocblas_trsv_deviceILi32ELi16ELb1ELb0ELb0ELb1E19rocblas_complex_numIdES1_PKS1_PS1_EviT7_lllT6_T8_lllPii.has_indirect_call, 0
	.section	.AMDGPU.csdata,"",@progbits
; Kernel info:
; codeLenInByte = 17996
; TotalNumSgprs: 107
; NumVgprs: 77
; ScratchSize: 0
; MemoryBound: 1
; FloatMode: 240
; IeeeMode: 1
; LDSByteSize: 25104 bytes/workgroup (compile time only)
; SGPRBlocks: 0
; VGPRBlocks: 4
; NumSGPRsForWavesPerEU: 107
; NumVGPRsForWavesPerEU: 77
; NamedBarCnt: 0
; Occupancy: 12
; WaveLimiterHint : 0
; COMPUTE_PGM_RSRC2:SCRATCH_EN: 0
; COMPUTE_PGM_RSRC2:USER_SGPR: 2
; COMPUTE_PGM_RSRC2:TRAP_HANDLER: 0
; COMPUTE_PGM_RSRC2:TGID_X_EN: 1
; COMPUTE_PGM_RSRC2:TGID_Y_EN: 0
; COMPUTE_PGM_RSRC2:TGID_Z_EN: 1
; COMPUTE_PGM_RSRC2:TIDIG_COMP_CNT: 1
	.section	.text._ZL19rocblas_trsv_deviceILi32ELi16ELb1ELb1ELb0ELb1E19rocblas_complex_numIdES1_PKS1_PS1_EviT7_lllT6_T8_lllPii,"axG",@progbits,_ZL19rocblas_trsv_deviceILi32ELi16ELb1ELb1ELb0ELb1E19rocblas_complex_numIdES1_PKS1_PS1_EviT7_lllT6_T8_lllPii,comdat
	.globl	_ZL19rocblas_trsv_deviceILi32ELi16ELb1ELb1ELb0ELb1E19rocblas_complex_numIdES1_PKS1_PS1_EviT7_lllT6_T8_lllPii ; -- Begin function _ZL19rocblas_trsv_deviceILi32ELi16ELb1ELb1ELb0ELb1E19rocblas_complex_numIdES1_PKS1_PS1_EviT7_lllT6_T8_lllPii
	.p2align	8
	.type	_ZL19rocblas_trsv_deviceILi32ELi16ELb1ELb1ELb0ELb1E19rocblas_complex_numIdES1_PKS1_PS1_EviT7_lllT6_T8_lllPii,@function
_ZL19rocblas_trsv_deviceILi32ELi16ELb1ELb1ELb0ELb1E19rocblas_complex_numIdES1_PKS1_PS1_EviT7_lllT6_T8_lllPii: ; @_ZL19rocblas_trsv_deviceILi32ELi16ELb1ELb1ELb0ELb1E19rocblas_complex_numIdES1_PKS1_PS1_EviT7_lllT6_T8_lllPii
; %bb.0:
	s_load_b32 s33, s[0:1], 0x60
	s_bfe_u32 s2, ttmp6, 0x40014
	s_lshr_b32 s3, ttmp7, 16
	s_add_co_i32 s2, s2, 1
	s_bfe_u32 s5, ttmp6, 0x40008
	s_mul_i32 s4, s3, s2
	s_getreg_b32 s2, hwreg(HW_REG_IB_STS2, 6, 4)
	s_add_co_i32 s5, s5, s4
	s_cmp_eq_u32 s2, 0
	s_mov_b32 s35, 0
	s_cselect_b32 s34, s3, s5
	s_wait_kmcnt 0x0
	s_cmp_ge_u32 s34, s33
	s_cbranch_scc1 .LBB92_542
; %bb.1:
	s_clause 0x3
	s_load_b512 s[36:51], s[0:1], 0x8
	s_load_b32 s3, s[0:1], 0x74
	s_load_b32 s63, s[0:1], 0x68
	;; [unrolled: 1-line block ×3, first 2 shown]
	s_bfe_u32 s5, ttmp6, 0x4000c
	s_and_b32 s4, ttmp6, 15
	s_add_co_i32 s5, s5, 1
	v_and_b32_e32 v24, 0x3ff, v0
	s_mul_i32 s5, ttmp9, s5
	v_mov_b32_e32 v2, 0
	s_add_co_i32 s4, s4, s5
	v_bfe_u32 v22, v0, 10, 10
	v_lshlrev_b32_e32 v1, 5, v24
	v_dual_lshrrev_b32 v16, 10, v0 :: v_dual_bitop2_b32 v15, 7, v0 bitop3:0x40
	s_delay_alu instid0(VALU_DEP_3) | instskip(SKIP_1) | instid1(VALU_DEP_4)
	v_dual_mov_b32 v27, v2 :: v_dual_add_nc_u32 v4, 16, v22
	v_lshl_add_u32 v3, v22, 5, v24
	v_add_nc_u32_e32 v6, v22, v1
	s_delay_alu instid0(VALU_DEP_4)
	v_cmp_lt_u32_e64 s8, 1, v15
	s_wait_kmcnt 0x0
	s_lshl_b64 s[14:15], s[38:39], 4
	s_lshl_b64 s[12:13], s[50:51], 4
	s_cmp_eq_u32 s2, 0
	v_add_nc_u32_e32 v7, v4, v1
	s_cselect_b32 s62, ttmp9, s4
	s_and_b32 s2, s3, 0xffff
	s_add_co_i32 s3, s56, -1
	s_ashr_i32 s57, s56, 31
	s_ashr_i32 s4, s3, 31
	s_lshr_b32 s5, s57, 27
	s_lshr_b32 s4, s4, 27
	s_add_co_i32 s5, s56, s5
	s_add_co_i32 s63, s63, -1
	s_add_co_i32 s3, s3, s4
	s_and_not1_b32 s5, s5, 31
	s_sub_co_i32 s103, s63, s62
	s_ashr_i32 s3, s3, 5
	s_sub_co_i32 s11, s56, s5
	s_cmp_eq_u32 s3, s103
	v_lshl_add_u32 v9, v4, 5, v24
	s_cselect_b32 s3, -1, 0
	s_cmp_lg_u32 s11, 0
	v_mad_u32_u24 v26, v22, s2, v24
	s_cselect_b32 s4, -1, 0
	v_cmp_gt_u32_e64 s2, 4, v3
	s_and_b32 s20, s4, s3
	v_cmp_eq_u32_e64 s3, 0, v22
	s_xor_b32 s64, s20, -1
	s_cmp_lg_u32 s62, 0
	v_cmp_gt_u32_e64 s5, 2, v24
	s_cselect_b32 s65, -1, 0
	s_lshl_b32 s18, s103, 5
	s_cmp_lt_i32 s62, 5
	v_and_b32_e32 v14, 3, v0
	s_cselect_b32 vcc_lo, -1, 0
	s_delay_alu instid0(SALU_CYCLE_1) | instskip(SKIP_1) | instid1(VALU_DEP_2)
	v_dual_cndmask_b32 v12, v3, v6, vcc_lo :: v_dual_bitop2_b32 v1, 1, v0 bitop3:0x40
	s_or_b32 vcc_lo, vcc_lo, s20
	v_cmp_eq_u32_e64 s6, 0, v14
	v_cndmask_b32_e32 v13, v9, v7, vcc_lo
	s_xor_b32 s66, vcc_lo, -1
	v_cmp_eq_u32_e32 vcc_lo, 1, v1
	v_cmp_eq_u32_e64 s7, 1, v14
	s_and_b32 s69, s3, s5
	v_cmp_lt_u32_e64 s5, 1, v14
	v_dual_lshrrev_b32 v17, 1, v3 :: v_dual_bitop2_b32 v6, 15, v0 bitop3:0x40
	s_xor_b32 s4, vcc_lo, -1
	s_and_b32 s68, vcc_lo, s2
	s_and_b32 s67, s4, s2
	v_cmp_gt_u32_e64 s4, 16, v3
	v_cmp_ne_u32_e32 vcc_lo, 0, v14
	v_cmp_eq_u32_e64 s9, 2, v15
                                        ; implicit-def: $vgpr203 : SGPR spill to VGPR lane
	v_cmp_lt_u32_e64 s10, 2, v6
	v_dual_add_nc_u32 v5, s18, v22 :: v_dual_add_nc_u32 v8, s18, v24
	s_and_b32 s70, s6, s4
	s_and_b32 s71, vcc_lo, s4
	v_cmp_eq_u32_e32 vcc_lo, 2, v14
	v_cmp_eq_u32_e64 s6, 3, v14
	s_and_b32 s72, s7, s4
	v_cmp_gt_u32_e64 s7, 4, v24
	s_and_b32 s73, s5, s4
	s_and_b32 s74, vcc_lo, s4
	s_and_b32 s75, s6, s4
	v_cmp_gt_u32_e64 s5, 64, v3
	v_cmp_eq_u32_e32 vcc_lo, 0, v15
	v_cmp_ne_u32_e64 s6, 0, v15
	s_and_b32 s76, s3, s7
	v_cmp_eq_u32_e64 s7, 1, v15
	s_and_b32 s80, s8, s5
	s_and_b32 s77, vcc_lo, s5
	s_and_b32 s78, s6, s5
	v_cmp_lt_u32_e32 vcc_lo, 2, v15
	v_cmp_eq_u32_e64 s6, 3, v15
	s_and_b32 s79, s7, s5
	v_cmp_lt_u32_e64 s7, 3, v15
	v_cmp_eq_u32_e64 s8, 4, v15
	s_and_b32 s82, vcc_lo, s5
	s_and_b32 s83, s6, s5
	v_cmp_eq_u32_e32 vcc_lo, 5, v15
	v_cmp_lt_u32_e64 s6, 5, v15
	s_and_b32 s84, s7, s5
	s_and_b32 s85, s8, s5
	v_cmp_eq_u32_e64 s7, 6, v15
	v_cmp_eq_u32_e64 s8, 7, v15
	s_and_b32 s87, vcc_lo, s5
	s_and_b32 s88, s6, s5
	v_cmp_gt_u32_e64 s6, 0x100, v3
	v_cmp_eq_u32_e32 vcc_lo, 0, v6
	s_and_b32 s89, s7, s5
	s_and_b32 s90, s8, s5
	v_cmp_ne_u32_e64 s7, 0, v6
	s_and_b32 s81, s9, s5
	s_and_b32 s8, vcc_lo, s6
	v_cmp_lt_u32_e64 s9, 4, v15
	v_writelane_b32 v203, s8, 0
	v_cmp_eq_u32_e32 vcc_lo, 1, v6
	s_and_b32 s7, s7, s6
	v_cmp_lt_u32_e64 s8, 1, v6
	s_and_b32 s86, s9, s5
	v_writelane_b32 v203, s7, 1
	v_cmp_gt_u32_e64 s9, 8, v24
	s_and_b32 s7, vcc_lo, s6
	v_cmp_eq_u32_e32 vcc_lo, 3, v6
	v_dual_lshlrev_b32 v25, 4, v24 :: v_dual_add_nc_u32 v28, 32, v5
	v_writelane_b32 v203, s7, 2
	s_and_b32 s91, s3, s9
	v_cmp_eq_u32_e64 s9, 2, v6
	s_and_b32 s7, s8, s6
	s_and_b32 s16, vcc_lo, s6
	v_writelane_b32 v203, s7, 3
	v_cmp_eq_u32_e64 s8, 4, v6
	s_and_b32 s7, s9, s6
	v_cmp_lt_u32_e64 s9, 4, v6
	v_cmp_lt_u32_e32 vcc_lo, 5, v6
	v_writelane_b32 v203, s7, 4
	s_and_b32 s7, s10, s6
	v_cmp_eq_u32_e64 s10, 5, v6
	v_mad_u32_u24 v18, 0x1f0, v24, v25
	s_ashr_i32 s19, s18, 31
	v_writelane_b32 v203, s7, 5
	v_cmp_lt_u32_e64 s7, 3, v6
	v_add_nc_u64_e32 v[10:11], s[18:19], v[26:27]
	v_mad_i32_i24 v44, 0xfffffe10, v24, v18
	v_dual_ashrrev_i32 v9, 31, v8 :: v_dual_lshrrev_b32 v19, 2, v3
	v_writelane_b32 v203, s16, 6
	s_and_b32 s7, s7, s6
	s_and_b32 s16, vcc_lo, s6
	v_cmp_eq_u32_e32 vcc_lo, 8, v6
	v_mad_u32_u24 v23, 0x1f0, v24, v44
	v_writelane_b32 v203, s7, 7
	s_and_b32 s7, s8, s6
	v_cmp_lt_u32_e64 s8, 6, v6
	v_dual_lshrrev_b32 v20, 3, v3 :: v_dual_add_nc_u32 v45, 32, v18
	v_writelane_b32 v203, s7, 8
	s_and_b32 s7, s9, s6
	v_cmp_eq_u32_e64 s9, 7, v6
	v_mad_i32_i24 v71, 0xfffffe10, v24, v23
	v_dual_lshlrev_b32 v21, 4, v19 :: v_dual_lshlrev_b32 v34, 4, v20
	v_writelane_b32 v203, s7, 9
	s_and_b32 s7, s10, s6
	v_cmp_lt_u32_e64 s10, 7, v6
	v_mad_u32_u24 v37, 0x1f0, v24, v71
	v_mul_u32_u24_e32 v46, 0x210, v19
	v_writelane_b32 v203, s7, 10
	v_cmp_eq_u32_e64 s7, 6, v6
	v_dual_lshlrev_b32 v40, 9, v24 :: v_dual_lshlrev_b32 v42, 4, v22
	v_mad_i32_i24 v82, 0xfffffe10, v24, v37
	v_writelane_b32 v203, s16, 11
	s_and_b32 s7, s7, s6
	s_and_b32 s16, vcc_lo, s6
	v_cmp_lt_u32_e32 vcc_lo, 10, v6
	v_mad_u32_u24 v38, 0x1f0, v24, v82
	v_writelane_b32 v203, s7, 12
	s_and_b32 s7, s8, s6
	v_cmp_eq_u32_e64 s8, 9, v6
	s_and_b32 s92, vcc_lo, s6
	v_cmp_eq_u32_e32 vcc_lo, 13, v6
	v_writelane_b32 v203, s7, 13
	s_and_b32 s7, s9, s6
	v_cmp_lt_u32_e64 s9, 9, v6
	v_mul_u32_u24_e32 v47, 0x210, v20
	s_and_b32 s95, vcc_lo, s6
	v_writelane_b32 v203, s7, 14
	s_and_b32 s7, s10, s6
	v_cmp_le_i32_e32 vcc_lo, s11, v24
	v_cmp_eq_u32_e64 s10, 10, v6
	s_and_b32 s25, s9, s6
	v_writelane_b32 v203, s7, 15
	v_cmp_lt_u32_e64 s7, 8, v6
	v_cmp_eq_u32_e64 s9, 12, v6
	s_and_b32 s98, vcc_lo, s20
	s_and_b32 s26, s10, s6
	v_writelane_b32 v203, s16, 16
	s_and_b32 s7, s7, s6
	s_add_nc_u64 s[16:17], s[40:41], 1
	v_cmp_lt_u32_e64 s10, 12, v6
	s_mul_u64 s[16:17], s[16:17], s[18:19]
	v_writelane_b32 v203, s7, 17
	s_and_b32 s7, s8, s6
	v_cmp_lt_u32_e64 s8, 11, v6
	s_and_b32 s19, s9, s6
	v_cmp_eq_u32_e64 s9, 15, v6
	v_writelane_b32 v203, s7, 18
	v_cmp_eq_u32_e64 s7, 11, v6
	s_and_b32 s94, s8, s6
	v_cmp_eq_u32_e64 s8, 14, v6
	s_and_b32 s18, s10, s6
	s_and_b32 s99, s9, s6
	;; [unrolled: 1-line block ×3, first 2 shown]
	v_cmp_lt_u32_e64 s7, 13, v6
	s_and_b32 s97, s8, s6
	s_xor_b32 s8, s98, -1
	v_dual_add_nc_u32 v48, 48, v18 :: v_dual_sub_nc_u32 v35, v46, v21
	s_and_b32 s96, s7, s6
	v_cmp_gt_u32_e64 s7, 16, v24
	s_and_b32 s101, s3, s8
	v_cmp_le_i32_e64 s8, s11, v4
	v_dual_add_nc_u32 v49, 64, v23 :: v_dual_sub_nc_u32 v36, v47, v34
	s_and_b32 s100, s3, s7
	v_cmp_le_i32_e64 s7, s11, v22
	s_cmp_gt_i32 s62, 0
	v_add_nc_u32_e32 v50, 0x70, v23
	s_cselect_b32 s102, -1, 0
	s_or_b32 s8, s8, vcc_lo
	s_or_b32 s7, s7, vcc_lo
	v_cmp_gt_i32_e32 vcc_lo, s11, v24
	v_add_nc_u32_e32 v52, 0x90, v18
	v_add_nc_u32_e32 v70, 0x60, v23
	;; [unrolled: 1-line block ×10, first 2 shown]
	v_mad_i32_i24 v39, 0xfffffe10, v24, v38
	v_dual_lshlrev_b32 v181, 4, v14 :: v_dual_lshlrev_b32 v184, 4, v15
	v_add_nc_u32_e32 v192, 0x31b0, v23
	v_dual_add_nc_u32 v196, v40, v42 :: v_dual_add_nc_u32 v14, 48, v5
	v_dual_mov_b32 v5, v2 :: v_dual_mov_b32 v23, v2
	s_clause 0x1
	s_load_b64 s[50:51], s[0:1], 0x58
	s_load_b128 s[52:55], s[0:1], 0x48
	s_wait_xcnt 0x0
	s_and_b32 s0, s3, vcc_lo
	v_add_nc_u32_e32 v92, 0x18e0, v38
	v_add_nc_u32_e32 v93, 0x18f0, v38
	v_add_nc_u32_e32 v94, 0x39e0, v38
	v_add_nc_u32_e32 v95, 0x1cc0, v39
	v_add_nc_u32_e32 v96, 0x1ec0, v39
	v_add_nc_u32_e32 v97, 0x3dc0, v39
	v_mul_u64_e32 v[30:31], s[40:41], v[8:9]
	v_dual_add_nc_u32 v187, v35, v181 :: v_dual_add_nc_u32 v190, v36, v184
	v_add_nc_u32_e32 v188, 0x4000, v34
	v_add_nc_u32_e32 v194, 0x39f0, v38
	;; [unrolled: 1-line block ×3, first 2 shown]
	v_writelane_b32 v203, s0, 19
	v_mul_u64_e32 v[34:35], s[40:41], v[4:5]
	v_mul_u64_e32 v[38:39], s[40:41], v[22:23]
	s_lshl_b64 s[40:41], s[16:17], 4
	v_cmp_gt_u32_e64 s16, 0xf0, v3
	v_and_b32_e32 v148, -16, v3
	v_bitop3_b32 v16, v0, v16, 0x3ff bitop3:0xa8
	v_lshlrev_b32_e32 v0, 4, v1
	s_wait_kmcnt 0x0
	v_mul_u64_e32 v[32:33], s[52:53], v[8:9]
	v_writelane_b32 v203, s16, 20
	v_cmp_gt_u32_e64 s16, 0xe0, v3
	v_dual_lshlrev_b32 v7, 5, v3 :: v_dual_lshlrev_b32 v69, 4, v6
	v_lshl_or_b32 v182, v17, 9, v0
	v_mul_u64_e32 v[0:1], s[52:53], v[10:11]
	s_delay_alu instid0(VALU_DEP_4)
	v_writelane_b32 v203, s16, 21
	v_cmp_gt_u32_e64 s16, 0xd0, v3
	v_cmp_le_u32_e64 s1, v24, v22
	v_cmp_gt_i32_e64 s0, s56, v8
	v_cmp_gt_i32_e32 vcc_lo, s56, v28
	v_and_b32_e32 v68, 0xfffffe00, v7
	v_writelane_b32 v203, s16, 22
	v_cmp_gt_u32_e64 s16, 0xc0, v3
	v_mad_i32_i24 v41, 0xfffffe10, v24, v40
	v_add_nc_u32_e32 v113, 0x6000, v42
	v_or_b32_e32 v9, v4, v24
	s_or_b32 s20, s7, s1
	v_writelane_b32 v203, s16, 23
	v_cmp_gt_u32_e64 s16, 0xb0, v3
	v_cmp_le_u32_e64 s7, v24, v4
	s_and_b32 s104, vcc_lo, s0
	v_cmp_gt_i32_e32 vcc_lo, s56, v14
	v_lshl_add_u32 v27, v17, 4, 0x4000
	v_writelane_b32 v203, s16, 24
	v_cmp_gt_u32_e64 s16, 0xa0, v3
	v_add_nc_u32_e32 v51, 0x80, v18
	v_add_nc_u32_e32 v53, 0xa0, v18
	v_add_nc_u32_e32 v54, 0xb0, v18
	v_add_nc_u32_e32 v55, 0xc0, v18
	v_writelane_b32 v203, s16, 25
	v_cmp_gt_u32_e64 s16, 0x90, v3
	v_add_nc_u32_e32 v56, 0xd0, v18
	v_add_nc_u32_e32 v57, 0xe0, v18
	v_add_nc_u32_e32 v58, 0xf0, v18
	v_add_nc_u32_e32 v59, 0x2120, v18
	v_writelane_b32 v203, s16, 26
	v_cmp_gt_u32_e64 s16, 0x80, v3
	v_add_nc_u32_e32 v60, 0x2130, v18
	v_add_nc_u32_e32 v61, 0x2180, v18
	v_add_nc_u32_e32 v62, 0x2190, v18
	v_add_nc_u32_e32 v63, 0x21a0, v18
	v_writelane_b32 v203, s16, 27
	v_cmp_gt_u32_e64 s16, 0x70, v3
	v_add_nc_u32_e32 v64, 0x21b0, v18
	v_add_nc_u32_e32 v65, 0x21c0, v18
	v_add_nc_u32_e32 v66, 0x21d0, v18
	v_add_nc_u32_e32 v67, 0x21e0, v18
	v_writelane_b32 v203, s16, 28
	v_cmp_gt_u32_e64 s16, 0x60, v3
	v_add_nc_u32_e32 v80, 0x860, v37
	v_add_nc_u32_e32 v81, 0x870, v37
	v_add_nc_u32_e32 v83, 0x10c0, v37
	v_add_nc_u32_e32 v84, 0x10f0, v37
	v_add_nc_u32_e32 v85, 0x10e0, v37
	v_add_nc_u32_e32 v86, 0x10d0, v37
	;; [unrolled: 1-line block ×7, first 2 shown]
	v_or_b32_e32 v98, 0x100, v40
	v_or_b32_e32 v99, 0x110, v40
	;; [unrolled: 1-line block ×15, first 2 shown]
	v_add_nc_u32_e32 v114, 0x2000, v41
	v_add_nc_u32_e32 v115, 0x2200, v41
	;; [unrolled: 1-line block ×39, first 2 shown]
	v_dual_ashrrev_i32 v29, 31, v28 :: v_dual_bitop2_b32 v154, v68, v69 bitop3:0x54
	v_add_nc_u32_e32 v155, 0x2500, v44
	v_add_nc_u32_e32 v156, 0x2700, v44
	;; [unrolled: 1-line block ×22, first 2 shown]
	v_lshl_add_u32 v177, v26, 4, 0x6000
	v_lshl_add_u32 v178, v3, 4, 0x4000
	v_add_nc_u32_e32 v179, 0x4000, v25
	v_add_nc_u32_e32 v180, v113, v25
	s_add_nc_u64 s[58:59], s[36:37], s[14:15]
	s_add_nc_u64 s[48:49], s[48:49], s[12:13]
	v_mul_u32_u24_e32 v183, 0x210, v17
	v_add_nc_u32_e32 v185, 0x4000, v21
	v_lshl_or_b32 v186, v19, 9, v181
	v_lshl_or_b32 v189, v20, 9, v184
	v_add_nc_u32_e32 v191, 0x21f0, v18
	v_add_nc_u32_e32 v193, 0x31d0, v37
	v_or_b32_e32 v197, 0x1f0, v40
	v_lshl_add_u32 v198, v22, 9, v41
	v_dual_lshlrev_b32 v199, 4, v12 :: v_dual_lshlrev_b32 v200, 4, v13
	v_add_nc_u32_e32 v201, 0x3c00, v25
	v_subrev_nc_u32_e32 v202, 31, v24
	v_lshlrev_b32_e32 v36, 4, v24
	s_or_b32 s21, s8, s7
	v_mov_b32_e32 v37, v2
	v_cmp_gt_u32_e64 s8, 2, v3
	v_cmp_gt_u32_e64 s9, 12, v3
	;; [unrolled: 1-line block ×8, first 2 shown]
	v_writelane_b32 v203, s16, 29
	v_cmp_gt_u32_e64 s16, 0x50, v3
	v_cmp_eq_u32_e64 s27, 0, v16
	v_cmp_gt_u32_e64 s28, 32, v16
	v_cmp_gt_u32_e64 s29, 32, v9
	v_cmp_eq_u32_e64 s30, 0, v26
	v_cmp_gt_u32_e64 s31, 32, v26
	s_add_co_i32 s103, s103, 1
	s_and_b32 vcc_hi, vcc_lo, s0
	s_mov_b32 s37, 0x3ff00000
                                        ; implicit-def: $vgpr6_vgpr7
                                        ; implicit-def: $vgpr10_vgpr11
	v_writelane_b32 v203, s16, 30
	s_branch .LBB92_3
.LBB92_2:                               ;   in Loop: Header=BB92_3 Depth=1
	s_wait_xcnt 0x0
	s_or_b32 exec_lo, exec_lo, s16
	s_add_co_i32 s34, s34, 0x10000
	global_wb scope:SCOPE_DEV
	s_wait_storecnt 0x0
	global_inv scope:SCOPE_DEV
	s_cmp_lt_u32 s34, s33
	s_cbranch_scc0 .LBB92_542
.LBB92_3:                               ; =>This Loop Header: Depth=1
                                        ;     Child Loop BB92_453 Depth 2
                                        ;       Child Loop BB92_455 Depth 3
                                        ;     Child Loop BB92_486 Depth 2
	s_mul_u64 s[16:17], s[42:43], s[34:35]
	s_and_not1_b32 vcc_lo, exec_lo, s65
	s_lshl_b64 s[16:17], s[16:17], 4
	s_delay_alu instid0(SALU_CYCLE_1) | instskip(NEXT) | instid1(SALU_CYCLE_1)
	s_add_nc_u64 s[38:39], s[58:59], s[16:17]
	v_lshl_add_u64 v[18:19], v[30:31], 4, s[38:39]
	s_cbranch_vccnz .LBB92_9
; %bb.4:                                ;   in Loop: Header=BB92_3 Depth=1
	v_mov_b64_e32 v[12:13], 0
	v_mov_b64_e32 v[6:7], 0
	;; [unrolled: 1-line block ×3, first 2 shown]
	v_lshl_add_u64 v[4:5], v[28:29], 4, v[18:19]
	s_barrier_signal -1
	s_barrier_wait -1
	s_and_saveexec_b32 s16, s104
	s_cbranch_execz .LBB92_6
; %bb.5:                                ;   in Loop: Header=BB92_3 Depth=1
	global_load_b128 v[6:9], v[4:5], off
.LBB92_6:                               ;   in Loop: Header=BB92_3 Depth=1
	s_wait_xcnt 0x0
	s_or_b32 exec_lo, exec_lo, s16
	v_mov_b64_e32 v[10:11], 0
	s_wait_loadcnt 0x0
	s_barrier_signal -1
	s_barrier_wait -1
	s_and_saveexec_b32 s16, vcc_hi
	s_cbranch_execz .LBB92_8
; %bb.7:                                ;   in Loop: Header=BB92_3 Depth=1
	global_load_b128 v[10:13], v[4:5], off offset:256
.LBB92_8:                               ;   in Loop: Header=BB92_3 Depth=1
	s_wait_xcnt 0x0
	s_or_b32 exec_lo, exec_lo, s16
.LBB92_9:                               ;   in Loop: Header=BB92_3 Depth=1
	s_add_nc_u64 s[16:17], s[38:39], s[40:41]
	s_and_not1_b32 vcc_lo, exec_lo, s64
	v_add_nc_u64_e32 v[14:15], s[16:17], v[36:37]
	s_mov_b32 s16, -1
	s_cbranch_vccnz .LBB92_16
; %bb.10:                               ;   in Loop: Header=BB92_3 Depth=1
	s_and_saveexec_b32 s16, s1
	s_delay_alu instid0(SALU_CYCLE_1)
	s_xor_b32 s16, exec_lo, s16
	s_cbranch_execnz .LBB92_500
; %bb.11:                               ;   in Loop: Header=BB92_3 Depth=1
	s_and_not1_saveexec_b32 s16, s16
	s_cbranch_execnz .LBB92_503
.LBB92_12:                              ;   in Loop: Header=BB92_3 Depth=1
	s_or_b32 exec_lo, exec_lo, s16
	s_and_saveexec_b32 s16, s7
	s_delay_alu instid0(SALU_CYCLE_1)
	s_xor_b32 s16, exec_lo, s16
	s_cbranch_execnz .LBB92_504
.LBB92_13:                              ;   in Loop: Header=BB92_3 Depth=1
	s_and_not1_saveexec_b32 s16, s16
	s_cbranch_execz .LBB92_15
.LBB92_14:                              ;   in Loop: Header=BB92_3 Depth=1
	v_lshl_add_u64 v[4:5], v[34:35], 4, v[14:15]
	global_load_b128 v[40:43], v[4:5], off
	s_wait_loadcnt 0x0
	v_xor_b32_e32 v41, 0x80000000, v41
	v_xor_b32_e32 v43, 0x80000000, v43
	ds_store_b128 v200, v[40:43]
.LBB92_15:                              ;   in Loop: Header=BB92_3 Depth=1
	s_or_b32 exec_lo, exec_lo, s16
	s_mov_b32 s16, 0
.LBB92_16:                              ;   in Loop: Header=BB92_3 Depth=1
	s_delay_alu instid0(SALU_CYCLE_1)
	s_and_b32 vcc_lo, exec_lo, s16
	s_cbranch_vccz .LBB92_23
; %bb.17:                               ;   in Loop: Header=BB92_3 Depth=1
	s_and_saveexec_b32 s16, s20
	s_delay_alu instid0(SALU_CYCLE_1)
	s_xor_b32 s16, exec_lo, s16
	s_cbranch_execnz .LBB92_507
; %bb.18:                               ;   in Loop: Header=BB92_3 Depth=1
	s_and_not1_saveexec_b32 s16, s16
	s_cbranch_execnz .LBB92_510
.LBB92_19:                              ;   in Loop: Header=BB92_3 Depth=1
	s_or_b32 exec_lo, exec_lo, s16
	s_and_saveexec_b32 s16, s21
	s_delay_alu instid0(SALU_CYCLE_1)
	s_xor_b32 s16, exec_lo, s16
	s_cbranch_execnz .LBB92_511
.LBB92_20:                              ;   in Loop: Header=BB92_3 Depth=1
	s_and_not1_saveexec_b32 s16, s16
	s_cbranch_execz .LBB92_22
.LBB92_21:                              ;   in Loop: Header=BB92_3 Depth=1
	v_lshl_add_u64 v[4:5], v[34:35], 4, v[14:15]
	global_load_b128 v[14:17], v[4:5], off
	s_wait_loadcnt 0x0
	v_xor_b32_e32 v15, 0x80000000, v15
	v_xor_b32_e32 v17, 0x80000000, v17
	ds_store_b128 v200, v[14:17]
.LBB92_22:                              ;   in Loop: Header=BB92_3 Depth=1
	s_or_b32 exec_lo, exec_lo, s16
.LBB92_23:                              ;   in Loop: Header=BB92_3 Depth=1
	s_delay_alu instid0(SALU_CYCLE_1)
	s_and_not1_b32 vcc_lo, exec_lo, s66
	s_wait_loadcnt_dscnt 0x0
	s_barrier_signal -1
	s_barrier_wait -1
	s_cbranch_vccnz .LBB92_447
; %bb.24:                               ;   in Loop: Header=BB92_3 Depth=1
	s_and_saveexec_b32 s17, s27
	s_cbranch_execz .LBB92_26
; %bb.25:                               ;   in Loop: Header=BB92_3 Depth=1
	s_mov_b32 s36, s35
	s_mov_b32 s38, s35
	;; [unrolled: 1-line block ×3, first 2 shown]
	v_mov_b64_e32 v[14:15], s[36:37]
	v_mov_b64_e32 v[16:17], s[38:39]
	ds_store_b128 v2, v[14:17]
	ds_store_b128 v2, v[14:17] offset:528
	ds_load_b128 v[14:17], v2 offset:16
	s_wait_dscnt 0x0
	ds_store_b128 v2, v[14:17] offset:512
.LBB92_26:                              ;   in Loop: Header=BB92_3 Depth=1
	s_or_b32 exec_lo, exec_lo, s17
	v_mov_b64_e32 v[16:17], 0
	v_mov_b64_e32 v[14:15], 0
	s_wait_dscnt 0x0
	s_barrier_signal -1
	s_barrier_wait -1
	s_and_saveexec_b32 s36, s2
	s_cbranch_execz .LBB92_30
; %bb.27:                               ;   in Loop: Header=BB92_3 Depth=1
	ds_load_b128 v[14:17], v183
	ds_load_b128 v[40:43], v182 offset:32
	s_wait_dscnt 0x0
	v_mul_f64_e32 v[4:5], v[16:17], v[42:43]
	v_mul_f64_e32 v[20:21], v[14:15], v[42:43]
	s_delay_alu instid0(VALU_DEP_2) | instskip(NEXT) | instid1(VALU_DEP_2)
	v_fma_f64 v[4:5], v[14:15], v[40:41], -v[4:5]
	v_fmac_f64_e32 v[20:21], v[16:17], v[40:41]
	s_delay_alu instid0(VALU_DEP_2) | instskip(NEXT) | instid1(VALU_DEP_2)
	v_add_f64_e32 v[14:15], 0, v[4:5]
	v_add_f64_e32 v[16:17], 0, v[20:21]
	s_and_saveexec_b32 s16, s8
	s_cbranch_execz .LBB92_29
; %bb.28:                               ;   in Loop: Header=BB92_3 Depth=1
	ds_load_b128 v[40:43], v2 offset:16
	ds_load_b128 v[204:207], v25 offset:544
	s_wait_dscnt 0x0
	v_mul_f64_e32 v[4:5], v[42:43], v[206:207]
	v_mul_f64_e32 v[20:21], v[40:41], v[206:207]
	s_delay_alu instid0(VALU_DEP_2) | instskip(NEXT) | instid1(VALU_DEP_2)
	v_fma_f64 v[4:5], v[40:41], v[204:205], -v[4:5]
	v_fmac_f64_e32 v[20:21], v[42:43], v[204:205]
	s_delay_alu instid0(VALU_DEP_2) | instskip(NEXT) | instid1(VALU_DEP_2)
	v_add_f64_e32 v[14:15], v[14:15], v[4:5]
	v_add_f64_e32 v[16:17], v[16:17], v[20:21]
.LBB92_29:                              ;   in Loop: Header=BB92_3 Depth=1
	s_or_b32 exec_lo, exec_lo, s16
	s_delay_alu instid0(VALU_DEP_2) | instskip(NEXT) | instid1(VALU_DEP_2)
	v_xor_b32_e32 v15, 0x80000000, v15
	v_xor_b32_e32 v17, 0x80000000, v17
.LBB92_30:                              ;   in Loop: Header=BB92_3 Depth=1
	s_or_b32 exec_lo, exec_lo, s36
	s_and_saveexec_b32 s16, s67
; %bb.31:                               ;   in Loop: Header=BB92_3 Depth=1
	ds_store_b128 v27, v[14:17]
; %bb.32:                               ;   in Loop: Header=BB92_3 Depth=1
	s_or_b32 exec_lo, exec_lo, s16
	s_wait_dscnt 0x0
	s_barrier_signal -1
	s_barrier_wait -1
	s_and_saveexec_b32 s16, s68
	s_cbranch_execz .LBB92_34
; %bb.33:                               ;   in Loop: Header=BB92_3 Depth=1
	ds_load_b128 v[40:43], v27
	ds_load_b128 v[204:207], v2 offset:1072
	s_wait_dscnt 0x0
	v_mul_f64_e32 v[4:5], v[42:43], v[206:207]
	v_mul_f64_e32 v[20:21], v[40:41], v[206:207]
	s_delay_alu instid0(VALU_DEP_2) | instskip(NEXT) | instid1(VALU_DEP_2)
	v_fma_f64 v[4:5], v[40:41], v[204:205], -v[4:5]
	v_fmac_f64_e32 v[20:21], v[42:43], v[204:205]
	s_delay_alu instid0(VALU_DEP_2) | instskip(NEXT) | instid1(VALU_DEP_2)
	v_add_f64_e32 v[14:15], v[14:15], v[4:5]
	v_add_f64_e32 v[16:17], v[16:17], v[20:21]
.LBB92_34:                              ;   in Loop: Header=BB92_3 Depth=1
	s_or_b32 exec_lo, exec_lo, s16
	s_barrier_signal -1
	s_barrier_wait -1
	s_and_saveexec_b32 s16, s68
; %bb.35:                               ;   in Loop: Header=BB92_3 Depth=1
	ds_store_b128 v27, v[14:17]
; %bb.36:                               ;   in Loop: Header=BB92_3 Depth=1
	s_or_b32 exec_lo, exec_lo, s16
	s_wait_dscnt 0x0
	s_barrier_signal -1
	s_barrier_wait -1
	s_barrier_signal -1
	s_barrier_wait -1
	s_and_saveexec_b32 s16, s2
; %bb.37:                               ;   in Loop: Header=BB92_3 Depth=1
	v_xor_b32_e32 v15, 0x80000000, v15
	v_xor_b32_e32 v17, 0x80000000, v17
	ds_store_b128 v182, v[14:17] offset:32
; %bb.38:                               ;   in Loop: Header=BB92_3 Depth=1
	s_or_b32 exec_lo, exec_lo, s16
	s_wait_dscnt 0x0
	s_barrier_signal -1
	s_barrier_wait -1
	s_barrier_signal -1
	s_barrier_wait -1
	s_and_saveexec_b32 s16, s69
	s_cbranch_execz .LBB92_40
; %bb.39:                               ;   in Loop: Header=BB92_3 Depth=1
	ds_load_b128 v[14:17], v45
	s_wait_dscnt 0x0
	ds_store_b128 v130, v[14:17]
	ds_load_b128 v[14:17], v48
	s_wait_dscnt 0x0
	ds_store_b128 v131, v[14:17]
.LBB92_40:                              ;   in Loop: Header=BB92_3 Depth=1
	s_or_b32 exec_lo, exec_lo, s16
	s_wait_dscnt 0x0
	s_barrier_signal -1
	s_barrier_wait -1
	s_and_saveexec_b32 s17, s27
	s_cbranch_execz .LBB92_42
; %bb.41:                               ;   in Loop: Header=BB92_3 Depth=1
	s_mov_b32 s36, s35
	s_mov_b32 s38, s35
	;; [unrolled: 1-line block ×3, first 2 shown]
	v_mov_b64_e32 v[14:15], s[36:37]
	v_mov_b64_e32 v[16:17], s[38:39]
	ds_store_b128 v2, v[14:17] offset:1056
	ds_store_b128 v2, v[14:17] offset:1584
	ds_load_b128 v[14:17], v2 offset:1072
	s_wait_dscnt 0x0
	ds_store_b128 v2, v[14:17] offset:1568
.LBB92_42:                              ;   in Loop: Header=BB92_3 Depth=1
	s_or_b32 exec_lo, exec_lo, s17
	v_mov_b64_e32 v[16:17], 0
	v_mov_b64_e32 v[14:15], 0
	s_wait_dscnt 0x0
	s_barrier_signal -1
	s_barrier_wait -1
	s_and_saveexec_b32 s36, s4
	s_cbranch_execz .LBB92_48
; %bb.43:                               ;   in Loop: Header=BB92_3 Depth=1
	ds_load_b128 v[14:17], v46
	ds_load_b128 v[40:43], v186 offset:64
	s_wait_dscnt 0x0
	v_mul_f64_e32 v[4:5], v[16:17], v[42:43]
	v_mul_f64_e32 v[20:21], v[14:15], v[42:43]
	s_delay_alu instid0(VALU_DEP_2) | instskip(NEXT) | instid1(VALU_DEP_2)
	v_fma_f64 v[4:5], v[14:15], v[40:41], -v[4:5]
	v_fmac_f64_e32 v[20:21], v[16:17], v[40:41]
	s_delay_alu instid0(VALU_DEP_2) | instskip(NEXT) | instid1(VALU_DEP_2)
	v_add_f64_e32 v[14:15], 0, v[4:5]
	v_add_f64_e32 v[16:17], 0, v[20:21]
	s_and_saveexec_b32 s16, s9
	s_cbranch_execnz .LBB92_518
; %bb.44:                               ;   in Loop: Header=BB92_3 Depth=1
	s_or_b32 exec_lo, exec_lo, s16
	s_and_saveexec_b32 s16, s10
	s_cbranch_execnz .LBB92_519
.LBB92_45:                              ;   in Loop: Header=BB92_3 Depth=1
	s_or_b32 exec_lo, exec_lo, s16
	s_and_saveexec_b32 s16, s2
	s_cbranch_execz .LBB92_47
.LBB92_46:                              ;   in Loop: Header=BB92_3 Depth=1
	ds_load_b128 v[40:43], v2 offset:48
	ds_load_b128 v[204:207], v44 offset:1600
	s_wait_dscnt 0x0
	v_mul_f64_e32 v[4:5], v[42:43], v[206:207]
	v_mul_f64_e32 v[20:21], v[40:41], v[206:207]
	s_delay_alu instid0(VALU_DEP_2) | instskip(NEXT) | instid1(VALU_DEP_2)
	v_fma_f64 v[4:5], v[40:41], v[204:205], -v[4:5]
	v_fmac_f64_e32 v[20:21], v[42:43], v[204:205]
	s_delay_alu instid0(VALU_DEP_2) | instskip(NEXT) | instid1(VALU_DEP_2)
	v_add_f64_e32 v[14:15], v[14:15], v[4:5]
	v_add_f64_e32 v[16:17], v[16:17], v[20:21]
.LBB92_47:                              ;   in Loop: Header=BB92_3 Depth=1
	s_or_b32 exec_lo, exec_lo, s16
	s_delay_alu instid0(VALU_DEP_2) | instskip(NEXT) | instid1(VALU_DEP_2)
	v_xor_b32_e32 v15, 0x80000000, v15
	v_xor_b32_e32 v17, 0x80000000, v17
.LBB92_48:                              ;   in Loop: Header=BB92_3 Depth=1
	s_or_b32 exec_lo, exec_lo, s36
	s_and_saveexec_b32 s16, s70
; %bb.49:                               ;   in Loop: Header=BB92_3 Depth=1
	ds_store_b128 v185, v[14:17]
; %bb.50:                               ;   in Loop: Header=BB92_3 Depth=1
	s_or_b32 exec_lo, exec_lo, s16
	s_wait_dscnt 0x0
	s_barrier_signal -1
	s_barrier_wait -1
	s_and_saveexec_b32 s16, s71
	s_cbranch_execz .LBB92_52
; %bb.51:                               ;   in Loop: Header=BB92_3 Depth=1
	ds_load_b128 v[40:43], v185
	ds_load_b128 v[204:207], v181 offset:2112
	s_wait_dscnt 0x0
	v_mul_f64_e32 v[4:5], v[42:43], v[206:207]
	v_mul_f64_e32 v[20:21], v[40:41], v[206:207]
	s_delay_alu instid0(VALU_DEP_2) | instskip(NEXT) | instid1(VALU_DEP_2)
	v_fma_f64 v[4:5], v[40:41], v[204:205], -v[4:5]
	v_fmac_f64_e32 v[20:21], v[42:43], v[204:205]
	s_delay_alu instid0(VALU_DEP_2) | instskip(NEXT) | instid1(VALU_DEP_2)
	v_add_f64_e32 v[14:15], v[14:15], v[4:5]
	v_add_f64_e32 v[16:17], v[16:17], v[20:21]
.LBB92_52:                              ;   in Loop: Header=BB92_3 Depth=1
	s_or_b32 exec_lo, exec_lo, s16
	s_barrier_signal -1
	s_barrier_wait -1
	s_and_saveexec_b32 s16, s72
; %bb.53:                               ;   in Loop: Header=BB92_3 Depth=1
	ds_store_b128 v185, v[14:17]
; %bb.54:                               ;   in Loop: Header=BB92_3 Depth=1
	s_or_b32 exec_lo, exec_lo, s16
	s_wait_dscnt 0x0
	s_barrier_signal -1
	s_barrier_wait -1
	s_and_saveexec_b32 s16, s73
	s_cbranch_execz .LBB92_56
; %bb.55:                               ;   in Loop: Header=BB92_3 Depth=1
	ds_load_b128 v[40:43], v185
	ds_load_b128 v[204:207], v181 offset:2624
	s_wait_dscnt 0x0
	v_mul_f64_e32 v[4:5], v[42:43], v[206:207]
	v_mul_f64_e32 v[20:21], v[40:41], v[206:207]
	s_delay_alu instid0(VALU_DEP_2) | instskip(NEXT) | instid1(VALU_DEP_2)
	v_fma_f64 v[4:5], v[40:41], v[204:205], -v[4:5]
	v_fmac_f64_e32 v[20:21], v[42:43], v[204:205]
	s_delay_alu instid0(VALU_DEP_2) | instskip(NEXT) | instid1(VALU_DEP_2)
	v_add_f64_e32 v[14:15], v[14:15], v[4:5]
	v_add_f64_e32 v[16:17], v[16:17], v[20:21]
.LBB92_56:                              ;   in Loop: Header=BB92_3 Depth=1
	s_or_b32 exec_lo, exec_lo, s16
	s_barrier_signal -1
	s_barrier_wait -1
	s_and_saveexec_b32 s16, s74
; %bb.57:                               ;   in Loop: Header=BB92_3 Depth=1
	ds_store_b128 v185, v[14:17]
; %bb.58:                               ;   in Loop: Header=BB92_3 Depth=1
	s_or_b32 exec_lo, exec_lo, s16
	s_wait_dscnt 0x0
	s_barrier_signal -1
	s_barrier_wait -1
	s_and_saveexec_b32 s16, s75
	s_cbranch_execz .LBB92_60
; %bb.59:                               ;   in Loop: Header=BB92_3 Depth=1
	ds_load_b128 v[40:43], v185
	ds_load_b128 v[204:207], v2 offset:3184
	s_wait_dscnt 0x0
	v_mul_f64_e32 v[4:5], v[42:43], v[206:207]
	v_mul_f64_e32 v[20:21], v[40:41], v[206:207]
	s_delay_alu instid0(VALU_DEP_2) | instskip(NEXT) | instid1(VALU_DEP_2)
	v_fma_f64 v[4:5], v[40:41], v[204:205], -v[4:5]
	v_fmac_f64_e32 v[20:21], v[42:43], v[204:205]
	s_delay_alu instid0(VALU_DEP_2) | instskip(NEXT) | instid1(VALU_DEP_2)
	v_add_f64_e32 v[14:15], v[14:15], v[4:5]
	v_add_f64_e32 v[16:17], v[16:17], v[20:21]
.LBB92_60:                              ;   in Loop: Header=BB92_3 Depth=1
	s_or_b32 exec_lo, exec_lo, s16
	s_barrier_signal -1
	s_barrier_wait -1
	s_and_saveexec_b32 s16, s75
; %bb.61:                               ;   in Loop: Header=BB92_3 Depth=1
	ds_store_b128 v185, v[14:17]
; %bb.62:                               ;   in Loop: Header=BB92_3 Depth=1
	s_or_b32 exec_lo, exec_lo, s16
	s_wait_dscnt 0x0
	s_barrier_signal -1
	s_barrier_wait -1
	s_barrier_signal -1
	s_barrier_wait -1
	s_and_saveexec_b32 s16, s4
; %bb.63:                               ;   in Loop: Header=BB92_3 Depth=1
	v_xor_b32_e32 v17, 0x80000000, v17
	v_xor_b32_e32 v15, 0x80000000, v15
	ds_store_b128 v186, v[14:17] offset:64
; %bb.64:                               ;   in Loop: Header=BB92_3 Depth=1
	s_or_b32 exec_lo, exec_lo, s16
	s_wait_dscnt 0x0
	s_barrier_signal -1
	s_barrier_wait -1
	s_barrier_signal -1
	s_barrier_wait -1
	s_and_saveexec_b32 s16, s76
	s_cbranch_execz .LBB92_66
; %bb.65:                               ;   in Loop: Header=BB92_3 Depth=1
	ds_load_b128 v[14:17], v49
	s_wait_dscnt 0x0
	ds_store_b128 v132, v[14:17]
	ds_load_b128 v[14:17], v72
	s_wait_dscnt 0x0
	ds_store_b128 v135, v[14:17]
	;; [unrolled: 3-line block ×4, first 2 shown]
.LBB92_66:                              ;   in Loop: Header=BB92_3 Depth=1
	s_or_b32 exec_lo, exec_lo, s16
	s_wait_dscnt 0x0
	s_barrier_signal -1
	s_barrier_wait -1
	s_and_saveexec_b32 s17, s27
	s_cbranch_execz .LBB92_68
; %bb.67:                               ;   in Loop: Header=BB92_3 Depth=1
	s_mov_b32 s36, s35
	s_mov_b32 s38, s35
	;; [unrolled: 1-line block ×3, first 2 shown]
	v_mov_b64_e32 v[14:15], s[36:37]
	v_mov_b64_e32 v[16:17], s[38:39]
	ds_store_b128 v2, v[14:17] offset:2112
	ds_store_b128 v2, v[14:17] offset:2640
	ds_load_b128 v[14:17], v2 offset:2128
	s_wait_dscnt 0x0
	ds_store_b128 v2, v[14:17] offset:2624
.LBB92_68:                              ;   in Loop: Header=BB92_3 Depth=1
	s_or_b32 exec_lo, exec_lo, s17
	v_mov_b64_e32 v[16:17], 0
	v_mov_b64_e32 v[14:15], 0
	s_wait_dscnt 0x0
	s_barrier_signal -1
	s_barrier_wait -1
	s_and_saveexec_b32 s36, s2
	s_cbranch_execz .LBB92_72
; %bb.69:                               ;   in Loop: Header=BB92_3 Depth=1
	ds_load_b128 v[14:17], v183 offset:2112
	ds_load_b128 v[40:43], v182 offset:2144
	s_wait_dscnt 0x0
	v_mul_f64_e32 v[4:5], v[16:17], v[42:43]
	v_mul_f64_e32 v[20:21], v[14:15], v[42:43]
	s_delay_alu instid0(VALU_DEP_2) | instskip(NEXT) | instid1(VALU_DEP_2)
	v_fma_f64 v[4:5], v[14:15], v[40:41], -v[4:5]
	v_fmac_f64_e32 v[20:21], v[16:17], v[40:41]
	s_delay_alu instid0(VALU_DEP_2) | instskip(NEXT) | instid1(VALU_DEP_2)
	v_add_f64_e32 v[14:15], 0, v[4:5]
	v_add_f64_e32 v[16:17], 0, v[20:21]
	s_and_saveexec_b32 s16, s8
	s_cbranch_execz .LBB92_71
; %bb.70:                               ;   in Loop: Header=BB92_3 Depth=1
	ds_load_b128 v[40:43], v2 offset:2128
	ds_load_b128 v[204:207], v71 offset:2656
	s_wait_dscnt 0x0
	v_mul_f64_e32 v[4:5], v[42:43], v[206:207]
	v_mul_f64_e32 v[20:21], v[40:41], v[206:207]
	s_delay_alu instid0(VALU_DEP_2) | instskip(NEXT) | instid1(VALU_DEP_2)
	v_fma_f64 v[4:5], v[40:41], v[204:205], -v[4:5]
	v_fmac_f64_e32 v[20:21], v[42:43], v[204:205]
	s_delay_alu instid0(VALU_DEP_2) | instskip(NEXT) | instid1(VALU_DEP_2)
	v_add_f64_e32 v[14:15], v[14:15], v[4:5]
	v_add_f64_e32 v[16:17], v[16:17], v[20:21]
.LBB92_71:                              ;   in Loop: Header=BB92_3 Depth=1
	s_or_b32 exec_lo, exec_lo, s16
	s_delay_alu instid0(VALU_DEP_2) | instskip(NEXT) | instid1(VALU_DEP_2)
	v_xor_b32_e32 v15, 0x80000000, v15
	v_xor_b32_e32 v17, 0x80000000, v17
.LBB92_72:                              ;   in Loop: Header=BB92_3 Depth=1
	s_or_b32 exec_lo, exec_lo, s36
	s_and_saveexec_b32 s16, s67
; %bb.73:                               ;   in Loop: Header=BB92_3 Depth=1
	ds_store_b128 v27, v[14:17]
; %bb.74:                               ;   in Loop: Header=BB92_3 Depth=1
	s_or_b32 exec_lo, exec_lo, s16
	s_wait_dscnt 0x0
	s_barrier_signal -1
	s_barrier_wait -1
	s_and_saveexec_b32 s16, s68
	s_cbranch_execz .LBB92_76
; %bb.75:                               ;   in Loop: Header=BB92_3 Depth=1
	ds_load_b128 v[40:43], v27
	ds_load_b128 v[204:207], v2 offset:3184
	s_wait_dscnt 0x0
	v_mul_f64_e32 v[4:5], v[42:43], v[206:207]
	v_mul_f64_e32 v[20:21], v[40:41], v[206:207]
	s_delay_alu instid0(VALU_DEP_2) | instskip(NEXT) | instid1(VALU_DEP_2)
	v_fma_f64 v[4:5], v[40:41], v[204:205], -v[4:5]
	v_fmac_f64_e32 v[20:21], v[42:43], v[204:205]
	s_delay_alu instid0(VALU_DEP_2) | instskip(NEXT) | instid1(VALU_DEP_2)
	v_add_f64_e32 v[14:15], v[14:15], v[4:5]
	v_add_f64_e32 v[16:17], v[16:17], v[20:21]
.LBB92_76:                              ;   in Loop: Header=BB92_3 Depth=1
	s_or_b32 exec_lo, exec_lo, s16
	s_barrier_signal -1
	s_barrier_wait -1
	s_and_saveexec_b32 s16, s68
; %bb.77:                               ;   in Loop: Header=BB92_3 Depth=1
	ds_store_b128 v27, v[14:17]
; %bb.78:                               ;   in Loop: Header=BB92_3 Depth=1
	s_or_b32 exec_lo, exec_lo, s16
	s_wait_dscnt 0x0
	s_barrier_signal -1
	s_barrier_wait -1
	s_barrier_signal -1
	s_barrier_wait -1
	s_and_saveexec_b32 s16, s2
; %bb.79:                               ;   in Loop: Header=BB92_3 Depth=1
	v_xor_b32_e32 v15, 0x80000000, v15
	v_xor_b32_e32 v17, 0x80000000, v17
	ds_store_b128 v182, v[14:17] offset:2144
; %bb.80:                               ;   in Loop: Header=BB92_3 Depth=1
	s_or_b32 exec_lo, exec_lo, s16
	s_wait_dscnt 0x0
	s_barrier_signal -1
	s_barrier_wait -1
	s_barrier_signal -1
	s_barrier_wait -1
	s_and_saveexec_b32 s16, s69
	s_cbranch_execz .LBB92_82
; %bb.81:                               ;   in Loop: Header=BB92_3 Depth=1
	ds_load_b128 v[14:17], v80
	s_wait_dscnt 0x0
	ds_store_b128 v136, v[14:17]
	ds_load_b128 v[14:17], v81
	s_wait_dscnt 0x0
	ds_store_b128 v137, v[14:17]
.LBB92_82:                              ;   in Loop: Header=BB92_3 Depth=1
	s_or_b32 exec_lo, exec_lo, s16
	s_wait_dscnt 0x0
	s_barrier_signal -1
	s_barrier_wait -1
	s_and_saveexec_b32 s17, s27
	s_cbranch_execz .LBB92_84
; %bb.83:                               ;   in Loop: Header=BB92_3 Depth=1
	s_mov_b32 s36, s35
	s_mov_b32 s38, s35
	;; [unrolled: 1-line block ×3, first 2 shown]
	v_mov_b64_e32 v[14:15], s[36:37]
	v_mov_b64_e32 v[16:17], s[38:39]
	ds_store_b128 v2, v[14:17] offset:3168
	ds_store_b128 v2, v[14:17] offset:3696
	ds_load_b128 v[14:17], v2 offset:3184
	s_wait_dscnt 0x0
	ds_store_b128 v2, v[14:17] offset:3680
.LBB92_84:                              ;   in Loop: Header=BB92_3 Depth=1
	s_or_b32 exec_lo, exec_lo, s17
	v_mov_b64_e32 v[16:17], 0
	v_mov_b64_e32 v[14:15], 0
	s_wait_dscnt 0x0
	s_barrier_signal -1
	s_barrier_wait -1
	s_and_saveexec_b32 s36, s5
	s_cbranch_execz .LBB92_94
; %bb.85:                               ;   in Loop: Header=BB92_3 Depth=1
	ds_load_b128 v[14:17], v47
	ds_load_b128 v[40:43], v189 offset:128
	s_wait_dscnt 0x0
	v_mul_f64_e32 v[4:5], v[16:17], v[42:43]
	v_mul_f64_e32 v[20:21], v[14:15], v[42:43]
	s_delay_alu instid0(VALU_DEP_2) | instskip(NEXT) | instid1(VALU_DEP_2)
	v_fma_f64 v[4:5], v[14:15], v[40:41], -v[4:5]
	v_fmac_f64_e32 v[20:21], v[16:17], v[40:41]
	s_delay_alu instid0(VALU_DEP_2) | instskip(NEXT) | instid1(VALU_DEP_2)
	v_add_f64_e32 v[14:15], 0, v[4:5]
	v_add_f64_e32 v[16:17], 0, v[20:21]
	s_and_saveexec_b32 s16, s11
	s_cbranch_execnz .LBB92_520
; %bb.86:                               ;   in Loop: Header=BB92_3 Depth=1
	s_or_b32 exec_lo, exec_lo, s16
	s_and_saveexec_b32 s16, s12
	s_cbranch_execnz .LBB92_521
.LBB92_87:                              ;   in Loop: Header=BB92_3 Depth=1
	s_or_b32 exec_lo, exec_lo, s16
	s_and_saveexec_b32 s16, s13
	s_cbranch_execnz .LBB92_522
.LBB92_88:                              ;   in Loop: Header=BB92_3 Depth=1
	s_or_b32 exec_lo, exec_lo, s16
	s_and_saveexec_b32 s16, s14
	s_cbranch_execnz .LBB92_523
.LBB92_89:                              ;   in Loop: Header=BB92_3 Depth=1
	s_or_b32 exec_lo, exec_lo, s16
	s_and_saveexec_b32 s16, s15
	s_cbranch_execnz .LBB92_524
.LBB92_90:                              ;   in Loop: Header=BB92_3 Depth=1
	s_or_b32 exec_lo, exec_lo, s16
	s_and_saveexec_b32 s16, s4
	s_cbranch_execnz .LBB92_525
.LBB92_91:                              ;   in Loop: Header=BB92_3 Depth=1
	s_or_b32 exec_lo, exec_lo, s16
	s_and_saveexec_b32 s16, s10
	s_cbranch_execz .LBB92_93
.LBB92_92:                              ;   in Loop: Header=BB92_3 Depth=1
	ds_load_b128 v[40:43], v2 offset:112
	ds_load_b128 v[204:207], v25 offset:3712
	s_wait_dscnt 0x0
	v_mul_f64_e32 v[4:5], v[42:43], v[206:207]
	v_mul_f64_e32 v[20:21], v[40:41], v[206:207]
	s_delay_alu instid0(VALU_DEP_2) | instskip(NEXT) | instid1(VALU_DEP_2)
	v_fma_f64 v[4:5], v[40:41], v[204:205], -v[4:5]
	v_fmac_f64_e32 v[20:21], v[42:43], v[204:205]
	s_delay_alu instid0(VALU_DEP_2) | instskip(NEXT) | instid1(VALU_DEP_2)
	v_add_f64_e32 v[14:15], v[14:15], v[4:5]
	v_add_f64_e32 v[16:17], v[16:17], v[20:21]
.LBB92_93:                              ;   in Loop: Header=BB92_3 Depth=1
	s_or_b32 exec_lo, exec_lo, s16
	s_delay_alu instid0(VALU_DEP_2) | instskip(NEXT) | instid1(VALU_DEP_2)
	v_xor_b32_e32 v15, 0x80000000, v15
	v_xor_b32_e32 v17, 0x80000000, v17
.LBB92_94:                              ;   in Loop: Header=BB92_3 Depth=1
	s_or_b32 exec_lo, exec_lo, s36
	s_and_saveexec_b32 s16, s77
; %bb.95:                               ;   in Loop: Header=BB92_3 Depth=1
	ds_store_b128 v188, v[14:17]
; %bb.96:                               ;   in Loop: Header=BB92_3 Depth=1
	s_or_b32 exec_lo, exec_lo, s16
	s_wait_dscnt 0x0
	s_barrier_signal -1
	s_barrier_wait -1
	s_and_saveexec_b32 s16, s78
	s_cbranch_execz .LBB92_98
; %bb.97:                               ;   in Loop: Header=BB92_3 Depth=1
	ds_load_b128 v[40:43], v188
	ds_load_b128 v[204:207], v184 offset:4224
	s_wait_dscnt 0x0
	v_mul_f64_e32 v[4:5], v[42:43], v[206:207]
	v_mul_f64_e32 v[20:21], v[40:41], v[206:207]
	s_delay_alu instid0(VALU_DEP_2) | instskip(NEXT) | instid1(VALU_DEP_2)
	v_fma_f64 v[4:5], v[40:41], v[204:205], -v[4:5]
	v_fmac_f64_e32 v[20:21], v[42:43], v[204:205]
	s_delay_alu instid0(VALU_DEP_2) | instskip(NEXT) | instid1(VALU_DEP_2)
	v_add_f64_e32 v[14:15], v[14:15], v[4:5]
	v_add_f64_e32 v[16:17], v[16:17], v[20:21]
.LBB92_98:                              ;   in Loop: Header=BB92_3 Depth=1
	s_or_b32 exec_lo, exec_lo, s16
	s_barrier_signal -1
	s_barrier_wait -1
	s_and_saveexec_b32 s16, s79
; %bb.99:                               ;   in Loop: Header=BB92_3 Depth=1
	ds_store_b128 v188, v[14:17]
; %bb.100:                              ;   in Loop: Header=BB92_3 Depth=1
	s_or_b32 exec_lo, exec_lo, s16
	s_wait_dscnt 0x0
	s_barrier_signal -1
	s_barrier_wait -1
	s_and_saveexec_b32 s16, s80
	s_cbranch_execz .LBB92_102
; %bb.101:                              ;   in Loop: Header=BB92_3 Depth=1
	ds_load_b128 v[40:43], v188
	ds_load_b128 v[204:207], v184 offset:4736
	s_wait_dscnt 0x0
	v_mul_f64_e32 v[4:5], v[42:43], v[206:207]
	v_mul_f64_e32 v[20:21], v[40:41], v[206:207]
	s_delay_alu instid0(VALU_DEP_2) | instskip(NEXT) | instid1(VALU_DEP_2)
	v_fma_f64 v[4:5], v[40:41], v[204:205], -v[4:5]
	v_fmac_f64_e32 v[20:21], v[42:43], v[204:205]
	s_delay_alu instid0(VALU_DEP_2) | instskip(NEXT) | instid1(VALU_DEP_2)
	v_add_f64_e32 v[14:15], v[14:15], v[4:5]
	v_add_f64_e32 v[16:17], v[16:17], v[20:21]
.LBB92_102:                             ;   in Loop: Header=BB92_3 Depth=1
	s_or_b32 exec_lo, exec_lo, s16
	s_barrier_signal -1
	s_barrier_wait -1
	s_and_saveexec_b32 s16, s81
; %bb.103:                              ;   in Loop: Header=BB92_3 Depth=1
	ds_store_b128 v188, v[14:17]
; %bb.104:                              ;   in Loop: Header=BB92_3 Depth=1
	s_or_b32 exec_lo, exec_lo, s16
	s_wait_dscnt 0x0
	s_barrier_signal -1
	s_barrier_wait -1
	s_and_saveexec_b32 s16, s82
	s_cbranch_execz .LBB92_106
; %bb.105:                              ;   in Loop: Header=BB92_3 Depth=1
	ds_load_b128 v[40:43], v188
	ds_load_b128 v[204:207], v184 offset:5248
	s_wait_dscnt 0x0
	v_mul_f64_e32 v[4:5], v[42:43], v[206:207]
	v_mul_f64_e32 v[20:21], v[40:41], v[206:207]
	s_delay_alu instid0(VALU_DEP_2) | instskip(NEXT) | instid1(VALU_DEP_2)
	v_fma_f64 v[4:5], v[40:41], v[204:205], -v[4:5]
	v_fmac_f64_e32 v[20:21], v[42:43], v[204:205]
	s_delay_alu instid0(VALU_DEP_2) | instskip(NEXT) | instid1(VALU_DEP_2)
	v_add_f64_e32 v[14:15], v[14:15], v[4:5]
	v_add_f64_e32 v[16:17], v[16:17], v[20:21]
.LBB92_106:                             ;   in Loop: Header=BB92_3 Depth=1
	s_or_b32 exec_lo, exec_lo, s16
	s_barrier_signal -1
	s_barrier_wait -1
	s_and_saveexec_b32 s16, s83
; %bb.107:                              ;   in Loop: Header=BB92_3 Depth=1
	;; [unrolled: 26-line block ×6, first 2 shown]
	ds_store_b128 v188, v[14:17]
; %bb.124:                              ;   in Loop: Header=BB92_3 Depth=1
	s_or_b32 exec_lo, exec_lo, s16
	s_wait_dscnt 0x0
	s_barrier_signal -1
	s_barrier_wait -1
	s_barrier_signal -1
	s_barrier_wait -1
	s_and_saveexec_b32 s16, s5
; %bb.125:                              ;   in Loop: Header=BB92_3 Depth=1
	v_xor_b32_e32 v15, 0x80000000, v15
	v_xor_b32_e32 v17, 0x80000000, v17
	ds_store_b128 v189, v[14:17] offset:128
; %bb.126:                              ;   in Loop: Header=BB92_3 Depth=1
	s_or_b32 exec_lo, exec_lo, s16
	s_wait_dscnt 0x0
	s_barrier_signal -1
	s_barrier_wait -1
	s_barrier_signal -1
	s_barrier_wait -1
	s_and_saveexec_b32 s16, s91
	s_cbranch_execz .LBB92_128
; %bb.127:                              ;   in Loop: Header=BB92_3 Depth=1
	ds_load_b128 v[14:17], v51
	s_wait_dscnt 0x0
	ds_store_b128 v138, v[14:17]
	ds_load_b128 v[14:17], v52
	s_wait_dscnt 0x0
	ds_store_b128 v139, v[14:17]
	;; [unrolled: 3-line block ×8, first 2 shown]
.LBB92_128:                             ;   in Loop: Header=BB92_3 Depth=1
	s_or_b32 exec_lo, exec_lo, s16
	s_wait_dscnt 0x0
	s_barrier_signal -1
	s_barrier_wait -1
	s_and_saveexec_b32 s17, s27
	s_cbranch_execz .LBB92_130
; %bb.129:                              ;   in Loop: Header=BB92_3 Depth=1
	s_mov_b32 s36, s35
	s_mov_b32 s38, s35
	;; [unrolled: 1-line block ×3, first 2 shown]
	v_mov_b64_e32 v[14:15], s[36:37]
	v_mov_b64_e32 v[16:17], s[38:39]
	ds_store_b128 v2, v[14:17] offset:4224
	ds_store_b128 v2, v[14:17] offset:4752
	ds_load_b128 v[14:17], v2 offset:4240
	s_wait_dscnt 0x0
	ds_store_b128 v2, v[14:17] offset:4736
.LBB92_130:                             ;   in Loop: Header=BB92_3 Depth=1
	s_or_b32 exec_lo, exec_lo, s17
	v_mov_b64_e32 v[16:17], 0
	v_mov_b64_e32 v[14:15], 0
	s_wait_dscnt 0x0
	s_barrier_signal -1
	s_barrier_wait -1
	s_and_saveexec_b32 s36, s2
	s_cbranch_execz .LBB92_134
; %bb.131:                              ;   in Loop: Header=BB92_3 Depth=1
	ds_load_b128 v[14:17], v183 offset:4224
	ds_load_b128 v[40:43], v182 offset:4256
	s_wait_dscnt 0x0
	v_mul_f64_e32 v[4:5], v[16:17], v[42:43]
	v_mul_f64_e32 v[20:21], v[14:15], v[42:43]
	s_delay_alu instid0(VALU_DEP_2) | instskip(NEXT) | instid1(VALU_DEP_2)
	v_fma_f64 v[4:5], v[14:15], v[40:41], -v[4:5]
	v_fmac_f64_e32 v[20:21], v[16:17], v[40:41]
	s_delay_alu instid0(VALU_DEP_2) | instskip(NEXT) | instid1(VALU_DEP_2)
	v_add_f64_e32 v[14:15], 0, v[4:5]
	v_add_f64_e32 v[16:17], 0, v[20:21]
	s_and_saveexec_b32 s16, s8
	s_cbranch_execz .LBB92_133
; %bb.132:                              ;   in Loop: Header=BB92_3 Depth=1
	ds_load_b128 v[40:43], v2 offset:4240
	ds_load_b128 v[204:207], v44 offset:4768
	s_wait_dscnt 0x0
	v_mul_f64_e32 v[4:5], v[42:43], v[206:207]
	v_mul_f64_e32 v[20:21], v[40:41], v[206:207]
	s_delay_alu instid0(VALU_DEP_2) | instskip(NEXT) | instid1(VALU_DEP_2)
	v_fma_f64 v[4:5], v[40:41], v[204:205], -v[4:5]
	v_fmac_f64_e32 v[20:21], v[42:43], v[204:205]
	s_delay_alu instid0(VALU_DEP_2) | instskip(NEXT) | instid1(VALU_DEP_2)
	v_add_f64_e32 v[14:15], v[14:15], v[4:5]
	v_add_f64_e32 v[16:17], v[16:17], v[20:21]
.LBB92_133:                             ;   in Loop: Header=BB92_3 Depth=1
	s_or_b32 exec_lo, exec_lo, s16
	s_delay_alu instid0(VALU_DEP_2) | instskip(NEXT) | instid1(VALU_DEP_2)
	v_xor_b32_e32 v15, 0x80000000, v15
	v_xor_b32_e32 v17, 0x80000000, v17
.LBB92_134:                             ;   in Loop: Header=BB92_3 Depth=1
	s_or_b32 exec_lo, exec_lo, s36
	s_and_saveexec_b32 s16, s67
; %bb.135:                              ;   in Loop: Header=BB92_3 Depth=1
	ds_store_b128 v27, v[14:17]
; %bb.136:                              ;   in Loop: Header=BB92_3 Depth=1
	s_or_b32 exec_lo, exec_lo, s16
	s_wait_dscnt 0x0
	s_barrier_signal -1
	s_barrier_wait -1
	s_and_saveexec_b32 s16, s68
	s_cbranch_execz .LBB92_138
; %bb.137:                              ;   in Loop: Header=BB92_3 Depth=1
	ds_load_b128 v[40:43], v27
	ds_load_b128 v[204:207], v2 offset:5296
	s_wait_dscnt 0x0
	v_mul_f64_e32 v[4:5], v[42:43], v[206:207]
	v_mul_f64_e32 v[20:21], v[40:41], v[206:207]
	s_delay_alu instid0(VALU_DEP_2) | instskip(NEXT) | instid1(VALU_DEP_2)
	v_fma_f64 v[4:5], v[40:41], v[204:205], -v[4:5]
	v_fmac_f64_e32 v[20:21], v[42:43], v[204:205]
	s_delay_alu instid0(VALU_DEP_2) | instskip(NEXT) | instid1(VALU_DEP_2)
	v_add_f64_e32 v[14:15], v[14:15], v[4:5]
	v_add_f64_e32 v[16:17], v[16:17], v[20:21]
.LBB92_138:                             ;   in Loop: Header=BB92_3 Depth=1
	s_or_b32 exec_lo, exec_lo, s16
	s_barrier_signal -1
	s_barrier_wait -1
	s_and_saveexec_b32 s16, s68
; %bb.139:                              ;   in Loop: Header=BB92_3 Depth=1
	ds_store_b128 v27, v[14:17]
; %bb.140:                              ;   in Loop: Header=BB92_3 Depth=1
	s_or_b32 exec_lo, exec_lo, s16
	s_wait_dscnt 0x0
	s_barrier_signal -1
	s_barrier_wait -1
	s_barrier_signal -1
	s_barrier_wait -1
	s_and_saveexec_b32 s16, s2
; %bb.141:                              ;   in Loop: Header=BB92_3 Depth=1
	v_xor_b32_e32 v15, 0x80000000, v15
	v_xor_b32_e32 v17, 0x80000000, v17
	ds_store_b128 v182, v[14:17] offset:4256
; %bb.142:                              ;   in Loop: Header=BB92_3 Depth=1
	s_or_b32 exec_lo, exec_lo, s16
	s_wait_dscnt 0x0
	s_barrier_signal -1
	s_barrier_wait -1
	s_barrier_signal -1
	s_barrier_wait -1
	s_and_saveexec_b32 s16, s69
	s_cbranch_execz .LBB92_144
; %bb.143:                              ;   in Loop: Header=BB92_3 Depth=1
	ds_load_b128 v[14:17], v73
	s_wait_dscnt 0x0
	ds_store_b128 v146, v[14:17]
	ds_load_b128 v[14:17], v74
	s_wait_dscnt 0x0
	ds_store_b128 v147, v[14:17]
.LBB92_144:                             ;   in Loop: Header=BB92_3 Depth=1
	s_or_b32 exec_lo, exec_lo, s16
	s_wait_dscnt 0x0
	s_barrier_signal -1
	s_barrier_wait -1
	s_and_saveexec_b32 s17, s27
	s_cbranch_execz .LBB92_146
; %bb.145:                              ;   in Loop: Header=BB92_3 Depth=1
	s_mov_b32 s36, s35
	s_mov_b32 s38, s35
	;; [unrolled: 1-line block ×3, first 2 shown]
	v_mov_b64_e32 v[14:15], s[36:37]
	v_mov_b64_e32 v[16:17], s[38:39]
	ds_store_b128 v2, v[14:17] offset:5280
	ds_store_b128 v2, v[14:17] offset:5808
	ds_load_b128 v[14:17], v2 offset:5296
	s_wait_dscnt 0x0
	ds_store_b128 v2, v[14:17] offset:5792
.LBB92_146:                             ;   in Loop: Header=BB92_3 Depth=1
	s_or_b32 exec_lo, exec_lo, s17
	v_mov_b64_e32 v[16:17], 0
	v_mov_b64_e32 v[14:15], 0
	s_wait_dscnt 0x0
	s_barrier_signal -1
	s_barrier_wait -1
	s_and_saveexec_b32 s36, s4
	s_cbranch_execz .LBB92_152
; %bb.147:                              ;   in Loop: Header=BB92_3 Depth=1
	ds_load_b128 v[14:17], v46 offset:4224
	ds_load_b128 v[40:43], v186 offset:4288
	s_wait_dscnt 0x0
	v_mul_f64_e32 v[4:5], v[16:17], v[42:43]
	v_mul_f64_e32 v[20:21], v[14:15], v[42:43]
	s_delay_alu instid0(VALU_DEP_2) | instskip(NEXT) | instid1(VALU_DEP_2)
	v_fma_f64 v[4:5], v[14:15], v[40:41], -v[4:5]
	v_fmac_f64_e32 v[20:21], v[16:17], v[40:41]
	s_delay_alu instid0(VALU_DEP_2) | instskip(NEXT) | instid1(VALU_DEP_2)
	v_add_f64_e32 v[14:15], 0, v[4:5]
	v_add_f64_e32 v[16:17], 0, v[20:21]
	s_and_saveexec_b32 s16, s9
	s_cbranch_execnz .LBB92_526
; %bb.148:                              ;   in Loop: Header=BB92_3 Depth=1
	s_or_b32 exec_lo, exec_lo, s16
	s_and_saveexec_b32 s16, s10
	s_cbranch_execnz .LBB92_527
.LBB92_149:                             ;   in Loop: Header=BB92_3 Depth=1
	s_or_b32 exec_lo, exec_lo, s16
	s_and_saveexec_b32 s16, s2
	s_cbranch_execz .LBB92_151
.LBB92_150:                             ;   in Loop: Header=BB92_3 Depth=1
	ds_load_b128 v[40:43], v2 offset:4272
	ds_load_b128 v[204:207], v71 offset:5824
	s_wait_dscnt 0x0
	v_mul_f64_e32 v[4:5], v[42:43], v[206:207]
	v_mul_f64_e32 v[20:21], v[40:41], v[206:207]
	s_delay_alu instid0(VALU_DEP_2) | instskip(NEXT) | instid1(VALU_DEP_2)
	v_fma_f64 v[4:5], v[40:41], v[204:205], -v[4:5]
	v_fmac_f64_e32 v[20:21], v[42:43], v[204:205]
	s_delay_alu instid0(VALU_DEP_2) | instskip(NEXT) | instid1(VALU_DEP_2)
	v_add_f64_e32 v[14:15], v[14:15], v[4:5]
	v_add_f64_e32 v[16:17], v[16:17], v[20:21]
.LBB92_151:                             ;   in Loop: Header=BB92_3 Depth=1
	s_or_b32 exec_lo, exec_lo, s16
	s_delay_alu instid0(VALU_DEP_2) | instskip(NEXT) | instid1(VALU_DEP_2)
	v_xor_b32_e32 v15, 0x80000000, v15
	v_xor_b32_e32 v17, 0x80000000, v17
.LBB92_152:                             ;   in Loop: Header=BB92_3 Depth=1
	s_or_b32 exec_lo, exec_lo, s36
	s_and_saveexec_b32 s16, s70
; %bb.153:                              ;   in Loop: Header=BB92_3 Depth=1
	ds_store_b128 v185, v[14:17]
; %bb.154:                              ;   in Loop: Header=BB92_3 Depth=1
	s_or_b32 exec_lo, exec_lo, s16
	s_wait_dscnt 0x0
	s_barrier_signal -1
	s_barrier_wait -1
	s_and_saveexec_b32 s16, s71
	s_cbranch_execz .LBB92_156
; %bb.155:                              ;   in Loop: Header=BB92_3 Depth=1
	ds_load_b128 v[40:43], v185
	ds_load_b128 v[204:207], v181 offset:6336
	s_wait_dscnt 0x0
	v_mul_f64_e32 v[4:5], v[42:43], v[206:207]
	v_mul_f64_e32 v[20:21], v[40:41], v[206:207]
	s_delay_alu instid0(VALU_DEP_2) | instskip(NEXT) | instid1(VALU_DEP_2)
	v_fma_f64 v[4:5], v[40:41], v[204:205], -v[4:5]
	v_fmac_f64_e32 v[20:21], v[42:43], v[204:205]
	s_delay_alu instid0(VALU_DEP_2) | instskip(NEXT) | instid1(VALU_DEP_2)
	v_add_f64_e32 v[14:15], v[14:15], v[4:5]
	v_add_f64_e32 v[16:17], v[16:17], v[20:21]
.LBB92_156:                             ;   in Loop: Header=BB92_3 Depth=1
	s_or_b32 exec_lo, exec_lo, s16
	s_barrier_signal -1
	s_barrier_wait -1
	s_and_saveexec_b32 s16, s72
; %bb.157:                              ;   in Loop: Header=BB92_3 Depth=1
	ds_store_b128 v185, v[14:17]
; %bb.158:                              ;   in Loop: Header=BB92_3 Depth=1
	s_or_b32 exec_lo, exec_lo, s16
	s_wait_dscnt 0x0
	s_barrier_signal -1
	s_barrier_wait -1
	s_and_saveexec_b32 s16, s73
	s_cbranch_execz .LBB92_160
; %bb.159:                              ;   in Loop: Header=BB92_3 Depth=1
	ds_load_b128 v[40:43], v185
	ds_load_b128 v[204:207], v181 offset:6848
	s_wait_dscnt 0x0
	v_mul_f64_e32 v[4:5], v[42:43], v[206:207]
	v_mul_f64_e32 v[20:21], v[40:41], v[206:207]
	s_delay_alu instid0(VALU_DEP_2) | instskip(NEXT) | instid1(VALU_DEP_2)
	v_fma_f64 v[4:5], v[40:41], v[204:205], -v[4:5]
	v_fmac_f64_e32 v[20:21], v[42:43], v[204:205]
	s_delay_alu instid0(VALU_DEP_2) | instskip(NEXT) | instid1(VALU_DEP_2)
	v_add_f64_e32 v[14:15], v[14:15], v[4:5]
	v_add_f64_e32 v[16:17], v[16:17], v[20:21]
.LBB92_160:                             ;   in Loop: Header=BB92_3 Depth=1
	s_or_b32 exec_lo, exec_lo, s16
	s_barrier_signal -1
	s_barrier_wait -1
	;; [unrolled: 26-line block ×3, first 2 shown]
	s_and_saveexec_b32 s16, s75
; %bb.165:                              ;   in Loop: Header=BB92_3 Depth=1
	ds_store_b128 v185, v[14:17]
; %bb.166:                              ;   in Loop: Header=BB92_3 Depth=1
	s_or_b32 exec_lo, exec_lo, s16
	s_wait_dscnt 0x0
	s_barrier_signal -1
	s_barrier_wait -1
	s_barrier_signal -1
	s_barrier_wait -1
	s_and_saveexec_b32 s16, s4
; %bb.167:                              ;   in Loop: Header=BB92_3 Depth=1
	v_xor_b32_e32 v17, 0x80000000, v17
	v_xor_b32_e32 v15, 0x80000000, v15
	ds_store_b128 v186, v[14:17] offset:4288
; %bb.168:                              ;   in Loop: Header=BB92_3 Depth=1
	s_or_b32 exec_lo, exec_lo, s16
	s_wait_dscnt 0x0
	s_barrier_signal -1
	s_barrier_wait -1
	s_barrier_signal -1
	s_barrier_wait -1
	s_and_saveexec_b32 s16, s76
	s_cbranch_execz .LBB92_170
; %bb.169:                              ;   in Loop: Header=BB92_3 Depth=1
	ds_load_b128 v[14:17], v83
	s_wait_dscnt 0x0
	ds_store_b128 v149, v[14:17]
	ds_load_b128 v[14:17], v86
	s_wait_dscnt 0x0
	ds_store_b128 v152, v[14:17]
	;; [unrolled: 3-line block ×4, first 2 shown]
.LBB92_170:                             ;   in Loop: Header=BB92_3 Depth=1
	s_or_b32 exec_lo, exec_lo, s16
	s_wait_dscnt 0x0
	s_barrier_signal -1
	s_barrier_wait -1
	s_and_saveexec_b32 s17, s27
	s_cbranch_execz .LBB92_172
; %bb.171:                              ;   in Loop: Header=BB92_3 Depth=1
	s_mov_b32 s36, s35
	s_mov_b32 s38, s35
	;; [unrolled: 1-line block ×3, first 2 shown]
	v_mov_b64_e32 v[14:15], s[36:37]
	v_mov_b64_e32 v[16:17], s[38:39]
	ds_store_b128 v2, v[14:17] offset:6336
	ds_store_b128 v2, v[14:17] offset:6864
	ds_load_b128 v[14:17], v2 offset:6352
	s_wait_dscnt 0x0
	ds_store_b128 v2, v[14:17] offset:6848
.LBB92_172:                             ;   in Loop: Header=BB92_3 Depth=1
	s_or_b32 exec_lo, exec_lo, s17
	v_mov_b64_e32 v[16:17], 0
	v_mov_b64_e32 v[14:15], 0
	s_wait_dscnt 0x0
	s_barrier_signal -1
	s_barrier_wait -1
	s_and_saveexec_b32 s36, s2
	s_cbranch_execz .LBB92_176
; %bb.173:                              ;   in Loop: Header=BB92_3 Depth=1
	ds_load_b128 v[14:17], v183 offset:6336
	ds_load_b128 v[40:43], v182 offset:6368
	s_wait_dscnt 0x0
	v_mul_f64_e32 v[4:5], v[16:17], v[42:43]
	v_mul_f64_e32 v[20:21], v[14:15], v[42:43]
	s_delay_alu instid0(VALU_DEP_2) | instskip(NEXT) | instid1(VALU_DEP_2)
	v_fma_f64 v[4:5], v[14:15], v[40:41], -v[4:5]
	v_fmac_f64_e32 v[20:21], v[16:17], v[40:41]
	s_delay_alu instid0(VALU_DEP_2) | instskip(NEXT) | instid1(VALU_DEP_2)
	v_add_f64_e32 v[14:15], 0, v[4:5]
	v_add_f64_e32 v[16:17], 0, v[20:21]
	s_and_saveexec_b32 s16, s8
	s_cbranch_execz .LBB92_175
; %bb.174:                              ;   in Loop: Header=BB92_3 Depth=1
	ds_load_b128 v[40:43], v2 offset:6352
	ds_load_b128 v[204:207], v82 offset:6880
	s_wait_dscnt 0x0
	v_mul_f64_e32 v[4:5], v[42:43], v[206:207]
	v_mul_f64_e32 v[20:21], v[40:41], v[206:207]
	s_delay_alu instid0(VALU_DEP_2) | instskip(NEXT) | instid1(VALU_DEP_2)
	v_fma_f64 v[4:5], v[40:41], v[204:205], -v[4:5]
	v_fmac_f64_e32 v[20:21], v[42:43], v[204:205]
	s_delay_alu instid0(VALU_DEP_2) | instskip(NEXT) | instid1(VALU_DEP_2)
	v_add_f64_e32 v[14:15], v[14:15], v[4:5]
	v_add_f64_e32 v[16:17], v[16:17], v[20:21]
.LBB92_175:                             ;   in Loop: Header=BB92_3 Depth=1
	s_or_b32 exec_lo, exec_lo, s16
	s_delay_alu instid0(VALU_DEP_2) | instskip(NEXT) | instid1(VALU_DEP_2)
	v_xor_b32_e32 v15, 0x80000000, v15
	v_xor_b32_e32 v17, 0x80000000, v17
.LBB92_176:                             ;   in Loop: Header=BB92_3 Depth=1
	s_or_b32 exec_lo, exec_lo, s36
	s_and_saveexec_b32 s16, s67
; %bb.177:                              ;   in Loop: Header=BB92_3 Depth=1
	ds_store_b128 v27, v[14:17]
; %bb.178:                              ;   in Loop: Header=BB92_3 Depth=1
	s_or_b32 exec_lo, exec_lo, s16
	s_wait_dscnt 0x0
	s_barrier_signal -1
	s_barrier_wait -1
	s_and_saveexec_b32 s16, s68
	s_cbranch_execz .LBB92_180
; %bb.179:                              ;   in Loop: Header=BB92_3 Depth=1
	ds_load_b128 v[40:43], v27
	ds_load_b128 v[204:207], v2 offset:7408
	s_wait_dscnt 0x0
	v_mul_f64_e32 v[4:5], v[42:43], v[206:207]
	v_mul_f64_e32 v[20:21], v[40:41], v[206:207]
	s_delay_alu instid0(VALU_DEP_2) | instskip(NEXT) | instid1(VALU_DEP_2)
	v_fma_f64 v[4:5], v[40:41], v[204:205], -v[4:5]
	v_fmac_f64_e32 v[20:21], v[42:43], v[204:205]
	s_delay_alu instid0(VALU_DEP_2) | instskip(NEXT) | instid1(VALU_DEP_2)
	v_add_f64_e32 v[14:15], v[14:15], v[4:5]
	v_add_f64_e32 v[16:17], v[16:17], v[20:21]
.LBB92_180:                             ;   in Loop: Header=BB92_3 Depth=1
	s_or_b32 exec_lo, exec_lo, s16
	s_barrier_signal -1
	s_barrier_wait -1
	s_and_saveexec_b32 s16, s68
; %bb.181:                              ;   in Loop: Header=BB92_3 Depth=1
	ds_store_b128 v27, v[14:17]
; %bb.182:                              ;   in Loop: Header=BB92_3 Depth=1
	s_or_b32 exec_lo, exec_lo, s16
	s_wait_dscnt 0x0
	s_barrier_signal -1
	s_barrier_wait -1
	s_barrier_signal -1
	s_barrier_wait -1
	s_and_saveexec_b32 s16, s2
; %bb.183:                              ;   in Loop: Header=BB92_3 Depth=1
	v_xor_b32_e32 v15, 0x80000000, v15
	v_xor_b32_e32 v17, 0x80000000, v17
	ds_store_b128 v182, v[14:17] offset:6368
; %bb.184:                              ;   in Loop: Header=BB92_3 Depth=1
	s_or_b32 exec_lo, exec_lo, s16
	s_wait_dscnt 0x0
	s_barrier_signal -1
	s_barrier_wait -1
	s_barrier_signal -1
	s_barrier_wait -1
	s_and_saveexec_b32 s16, s69
	s_cbranch_execz .LBB92_186
; %bb.185:                              ;   in Loop: Header=BB92_3 Depth=1
	ds_load_b128 v[14:17], v92
	s_wait_dscnt 0x0
	ds_store_b128 v95, v[14:17]
	ds_load_b128 v[14:17], v93
	s_wait_dscnt 0x0
	ds_store_b128 v96, v[14:17]
.LBB92_186:                             ;   in Loop: Header=BB92_3 Depth=1
	s_or_b32 exec_lo, exec_lo, s16
	s_wait_dscnt 0x0
	s_barrier_signal -1
	s_barrier_wait -1
	s_and_saveexec_b32 s17, s27
	s_cbranch_execz .LBB92_188
; %bb.187:                              ;   in Loop: Header=BB92_3 Depth=1
	s_mov_b32 s36, s35
	s_mov_b32 s38, s35
	;; [unrolled: 1-line block ×3, first 2 shown]
	v_mov_b64_e32 v[14:15], s[36:37]
	v_mov_b64_e32 v[16:17], s[38:39]
	ds_store_b128 v2, v[14:17] offset:7392
	ds_store_b128 v2, v[14:17] offset:7920
	ds_load_b128 v[14:17], v2 offset:7408
	s_wait_dscnt 0x0
	ds_store_b128 v2, v[14:17] offset:7904
.LBB92_188:                             ;   in Loop: Header=BB92_3 Depth=1
	s_or_b32 exec_lo, exec_lo, s17
	v_mov_b64_e32 v[16:17], 0
	v_mov_b64_e32 v[14:15], 0
	s_wait_dscnt 0x0
	s_barrier_signal -1
	s_barrier_wait -1
	s_and_saveexec_b32 s36, s6
	s_cbranch_execz .LBB92_216
; %bb.189:                              ;   in Loop: Header=BB92_3 Depth=1
	v_add_nc_u32_e32 v3, v68, v148
	ds_load_b128 v[14:17], v3
	ds_load_b128 v[40:43], v154 offset:256
	s_wait_dscnt 0x0
	v_mul_f64_e32 v[4:5], v[16:17], v[42:43]
	v_mul_f64_e32 v[20:21], v[14:15], v[42:43]
	s_delay_alu instid0(VALU_DEP_2) | instskip(NEXT) | instid1(VALU_DEP_2)
	v_fma_f64 v[4:5], v[14:15], v[40:41], -v[4:5]
	v_fmac_f64_e32 v[20:21], v[16:17], v[40:41]
	s_delay_alu instid0(VALU_DEP_2) | instskip(NEXT) | instid1(VALU_DEP_2)
	v_add_f64_e32 v[14:15], 0, v[4:5]
	v_add_f64_e32 v[16:17], 0, v[20:21]
	s_mov_b32 s16, exec_lo
	v_readlane_b32 s17, v203, 20
	s_and_b32 s17, s16, s17
	s_delay_alu instid0(SALU_CYCLE_1)
	s_mov_b32 exec_lo, s17
	s_cbranch_execz .LBB92_191
; %bb.190:                              ;   in Loop: Header=BB92_3 Depth=1
	ds_load_b128 v[40:43], v3 offset:16
	ds_load_b128 v[204:207], v154 offset:768
	s_wait_dscnt 0x0
	v_mul_f64_e32 v[4:5], v[42:43], v[206:207]
	v_mul_f64_e32 v[20:21], v[40:41], v[206:207]
	s_delay_alu instid0(VALU_DEP_2) | instskip(NEXT) | instid1(VALU_DEP_2)
	v_fma_f64 v[4:5], v[40:41], v[204:205], -v[4:5]
	v_fmac_f64_e32 v[20:21], v[42:43], v[204:205]
	s_delay_alu instid0(VALU_DEP_2) | instskip(NEXT) | instid1(VALU_DEP_2)
	v_add_f64_e32 v[14:15], v[14:15], v[4:5]
	v_add_f64_e32 v[16:17], v[16:17], v[20:21]
.LBB92_191:                             ;   in Loop: Header=BB92_3 Depth=1
	s_or_b32 exec_lo, exec_lo, s16
	s_delay_alu instid0(SALU_CYCLE_1) | instskip(SKIP_2) | instid1(SALU_CYCLE_1)
	s_mov_b32 s16, exec_lo
	v_readlane_b32 s17, v203, 21
	s_and_b32 s17, s16, s17
	s_mov_b32 exec_lo, s17
	s_cbranch_execz .LBB92_193
; %bb.192:                              ;   in Loop: Header=BB92_3 Depth=1
	ds_load_b128 v[40:43], v3 offset:32
	ds_load_b128 v[204:207], v154 offset:1280
	s_wait_dscnt 0x0
	v_mul_f64_e32 v[4:5], v[42:43], v[206:207]
	v_mul_f64_e32 v[20:21], v[40:41], v[206:207]
	s_delay_alu instid0(VALU_DEP_2) | instskip(NEXT) | instid1(VALU_DEP_2)
	v_fma_f64 v[4:5], v[40:41], v[204:205], -v[4:5]
	v_fmac_f64_e32 v[20:21], v[42:43], v[204:205]
	s_delay_alu instid0(VALU_DEP_2) | instskip(NEXT) | instid1(VALU_DEP_2)
	v_add_f64_e32 v[14:15], v[14:15], v[4:5]
	v_add_f64_e32 v[16:17], v[16:17], v[20:21]
.LBB92_193:                             ;   in Loop: Header=BB92_3 Depth=1
	s_or_b32 exec_lo, exec_lo, s16
	s_delay_alu instid0(SALU_CYCLE_1) | instskip(SKIP_2) | instid1(SALU_CYCLE_1)
	s_mov_b32 s16, exec_lo
	v_readlane_b32 s17, v203, 22
	s_and_b32 s17, s16, s17
	;; [unrolled: 20-line block ×10, first 2 shown]
	s_mov_b32 exec_lo, s17
	s_cbranch_execnz .LBB92_528
; %bb.210:                              ;   in Loop: Header=BB92_3 Depth=1
	s_or_b32 exec_lo, exec_lo, s16
	s_and_saveexec_b32 s16, s5
	s_cbranch_execnz .LBB92_529
.LBB92_211:                             ;   in Loop: Header=BB92_3 Depth=1
	s_or_b32 exec_lo, exec_lo, s16
	s_and_saveexec_b32 s16, s12
	s_cbranch_execnz .LBB92_530
.LBB92_212:                             ;   in Loop: Header=BB92_3 Depth=1
	s_or_b32 exec_lo, exec_lo, s16
	s_and_saveexec_b32 s16, s14
	s_cbranch_execnz .LBB92_531
.LBB92_213:                             ;   in Loop: Header=BB92_3 Depth=1
	s_or_b32 exec_lo, exec_lo, s16
	s_and_saveexec_b32 s16, s4
	s_cbranch_execz .LBB92_215
.LBB92_214:                             ;   in Loop: Header=BB92_3 Depth=1
	ds_load_b128 v[40:43], v2 offset:240
	ds_load_b128 v[204:207], v25 offset:7936
	s_wait_dscnt 0x0
	v_mul_f64_e32 v[4:5], v[42:43], v[206:207]
	v_mul_f64_e32 v[20:21], v[40:41], v[206:207]
	s_delay_alu instid0(VALU_DEP_2) | instskip(NEXT) | instid1(VALU_DEP_2)
	v_fma_f64 v[4:5], v[40:41], v[204:205], -v[4:5]
	v_fmac_f64_e32 v[20:21], v[42:43], v[204:205]
	s_delay_alu instid0(VALU_DEP_2) | instskip(NEXT) | instid1(VALU_DEP_2)
	v_add_f64_e32 v[14:15], v[14:15], v[4:5]
	v_add_f64_e32 v[16:17], v[16:17], v[20:21]
.LBB92_215:                             ;   in Loop: Header=BB92_3 Depth=1
	s_or_b32 exec_lo, exec_lo, s16
	s_delay_alu instid0(VALU_DEP_2) | instskip(NEXT) | instid1(VALU_DEP_2)
	v_xor_b32_e32 v15, 0x80000000, v15
	v_xor_b32_e32 v17, 0x80000000, v17
.LBB92_216:                             ;   in Loop: Header=BB92_3 Depth=1
	s_or_b32 exec_lo, exec_lo, s36
	s_delay_alu instid0(SALU_CYCLE_1) | instskip(SKIP_2) | instid1(SALU_CYCLE_1)
	s_mov_b32 s16, exec_lo
	v_readlane_b32 s17, v203, 0
	s_and_b32 s17, s16, s17
	s_mov_b32 exec_lo, s17
; %bb.217:                              ;   in Loop: Header=BB92_3 Depth=1
	ds_store_b128 v153, v[14:17]
; %bb.218:                              ;   in Loop: Header=BB92_3 Depth=1
	s_or_b32 exec_lo, exec_lo, s16
	s_wait_dscnt 0x0
	s_barrier_signal -1
	s_barrier_wait -1
	s_mov_b32 s16, exec_lo
	v_readlane_b32 s17, v203, 1
	s_and_b32 s17, s16, s17
	s_delay_alu instid0(SALU_CYCLE_1)
	s_mov_b32 exec_lo, s17
	s_cbranch_execz .LBB92_220
; %bb.219:                              ;   in Loop: Header=BB92_3 Depth=1
	ds_load_b128 v[40:43], v153
	ds_load_b128 v[204:207], v69 offset:8448
	s_wait_dscnt 0x0
	v_mul_f64_e32 v[4:5], v[42:43], v[206:207]
	v_mul_f64_e32 v[20:21], v[40:41], v[206:207]
	s_delay_alu instid0(VALU_DEP_2) | instskip(NEXT) | instid1(VALU_DEP_2)
	v_fma_f64 v[4:5], v[40:41], v[204:205], -v[4:5]
	v_fmac_f64_e32 v[20:21], v[42:43], v[204:205]
	s_delay_alu instid0(VALU_DEP_2) | instskip(NEXT) | instid1(VALU_DEP_2)
	v_add_f64_e32 v[14:15], v[14:15], v[4:5]
	v_add_f64_e32 v[16:17], v[16:17], v[20:21]
.LBB92_220:                             ;   in Loop: Header=BB92_3 Depth=1
	s_or_b32 exec_lo, exec_lo, s16
	s_barrier_signal -1
	s_barrier_wait -1
	s_mov_b32 s16, exec_lo
	v_readlane_b32 s17, v203, 2
	s_and_b32 s17, s16, s17
	s_delay_alu instid0(SALU_CYCLE_1)
	s_mov_b32 exec_lo, s17
; %bb.221:                              ;   in Loop: Header=BB92_3 Depth=1
	ds_store_b128 v153, v[14:17]
; %bb.222:                              ;   in Loop: Header=BB92_3 Depth=1
	s_or_b32 exec_lo, exec_lo, s16
	s_wait_dscnt 0x0
	s_barrier_signal -1
	s_barrier_wait -1
	s_mov_b32 s16, exec_lo
	v_readlane_b32 s17, v203, 3
	s_and_b32 s17, s16, s17
	s_delay_alu instid0(SALU_CYCLE_1)
	s_mov_b32 exec_lo, s17
	s_cbranch_execz .LBB92_224
; %bb.223:                              ;   in Loop: Header=BB92_3 Depth=1
	ds_load_b128 v[40:43], v153
	ds_load_b128 v[204:207], v69 offset:8960
	s_wait_dscnt 0x0
	v_mul_f64_e32 v[4:5], v[42:43], v[206:207]
	v_mul_f64_e32 v[20:21], v[40:41], v[206:207]
	s_delay_alu instid0(VALU_DEP_2) | instskip(NEXT) | instid1(VALU_DEP_2)
	v_fma_f64 v[4:5], v[40:41], v[204:205], -v[4:5]
	v_fmac_f64_e32 v[20:21], v[42:43], v[204:205]
	s_delay_alu instid0(VALU_DEP_2) | instskip(NEXT) | instid1(VALU_DEP_2)
	v_add_f64_e32 v[14:15], v[14:15], v[4:5]
	v_add_f64_e32 v[16:17], v[16:17], v[20:21]
.LBB92_224:                             ;   in Loop: Header=BB92_3 Depth=1
	s_or_b32 exec_lo, exec_lo, s16
	s_barrier_signal -1
	s_barrier_wait -1
	s_mov_b32 s16, exec_lo
	v_readlane_b32 s17, v203, 4
	s_and_b32 s17, s16, s17
	s_delay_alu instid0(SALU_CYCLE_1)
	;; [unrolled: 34-line block ×9, first 2 shown]
	s_mov_b32 exec_lo, s17
; %bb.253:                              ;   in Loop: Header=BB92_3 Depth=1
	ds_store_b128 v153, v[14:17]
; %bb.254:                              ;   in Loop: Header=BB92_3 Depth=1
	s_or_b32 exec_lo, exec_lo, s16
	s_wait_dscnt 0x0
	s_barrier_signal -1
	s_barrier_wait -1
	s_and_saveexec_b32 s16, s25
	s_cbranch_execz .LBB92_256
; %bb.255:                              ;   in Loop: Header=BB92_3 Depth=1
	ds_load_b128 v[40:43], v153
	ds_load_b128 v[204:207], v69 offset:13056
	s_wait_dscnt 0x0
	v_mul_f64_e32 v[4:5], v[42:43], v[206:207]
	v_mul_f64_e32 v[20:21], v[40:41], v[206:207]
	s_delay_alu instid0(VALU_DEP_2) | instskip(NEXT) | instid1(VALU_DEP_2)
	v_fma_f64 v[4:5], v[40:41], v[204:205], -v[4:5]
	v_fmac_f64_e32 v[20:21], v[42:43], v[204:205]
	s_delay_alu instid0(VALU_DEP_2) | instskip(NEXT) | instid1(VALU_DEP_2)
	v_add_f64_e32 v[14:15], v[14:15], v[4:5]
	v_add_f64_e32 v[16:17], v[16:17], v[20:21]
.LBB92_256:                             ;   in Loop: Header=BB92_3 Depth=1
	s_or_b32 exec_lo, exec_lo, s16
	s_barrier_signal -1
	s_barrier_wait -1
	s_and_saveexec_b32 s16, s26
; %bb.257:                              ;   in Loop: Header=BB92_3 Depth=1
	ds_store_b128 v153, v[14:17]
; %bb.258:                              ;   in Loop: Header=BB92_3 Depth=1
	s_or_b32 exec_lo, exec_lo, s16
	s_wait_dscnt 0x0
	s_barrier_signal -1
	s_barrier_wait -1
	s_and_saveexec_b32 s16, s92
	s_cbranch_execz .LBB92_260
; %bb.259:                              ;   in Loop: Header=BB92_3 Depth=1
	ds_load_b128 v[40:43], v153
	ds_load_b128 v[204:207], v69 offset:13568
	s_wait_dscnt 0x0
	v_mul_f64_e32 v[4:5], v[42:43], v[206:207]
	v_mul_f64_e32 v[20:21], v[40:41], v[206:207]
	s_delay_alu instid0(VALU_DEP_2) | instskip(NEXT) | instid1(VALU_DEP_2)
	v_fma_f64 v[4:5], v[40:41], v[204:205], -v[4:5]
	v_fmac_f64_e32 v[20:21], v[42:43], v[204:205]
	s_delay_alu instid0(VALU_DEP_2) | instskip(NEXT) | instid1(VALU_DEP_2)
	v_add_f64_e32 v[14:15], v[14:15], v[4:5]
	v_add_f64_e32 v[16:17], v[16:17], v[20:21]
.LBB92_260:                             ;   in Loop: Header=BB92_3 Depth=1
	s_or_b32 exec_lo, exec_lo, s16
	s_barrier_signal -1
	s_barrier_wait -1
	s_and_saveexec_b32 s16, s93
	;; [unrolled: 26-line block ×6, first 2 shown]
; %bb.277:                              ;   in Loop: Header=BB92_3 Depth=1
	ds_store_b128 v153, v[14:17]
; %bb.278:                              ;   in Loop: Header=BB92_3 Depth=1
	s_or_b32 exec_lo, exec_lo, s16
	s_wait_dscnt 0x0
	s_barrier_signal -1
	s_barrier_wait -1
	s_barrier_signal -1
	s_barrier_wait -1
	s_and_saveexec_b32 s16, s6
; %bb.279:                              ;   in Loop: Header=BB92_3 Depth=1
	v_xor_b32_e32 v17, 0x80000000, v17
	v_xor_b32_e32 v15, 0x80000000, v15
	ds_store_b128 v154, v[14:17] offset:256
; %bb.280:                              ;   in Loop: Header=BB92_3 Depth=1
	s_or_b32 exec_lo, exec_lo, s16
	s_wait_dscnt 0x0
	s_barrier_signal -1
	s_barrier_wait -1
	s_barrier_signal -1
	s_barrier_wait -1
	s_and_saveexec_b32 s16, s100
	s_cbranch_execz .LBB92_282
; %bb.281:                              ;   in Loop: Header=BB92_3 Depth=1
	ds_load_b128 v[14:17], v98
	s_wait_dscnt 0x0
	ds_store_b128 v114, v[14:17]
	ds_load_b128 v[14:17], v99
	s_wait_dscnt 0x0
	ds_store_b128 v115, v[14:17]
	;; [unrolled: 3-line block ×16, first 2 shown]
.LBB92_282:                             ;   in Loop: Header=BB92_3 Depth=1
	s_or_b32 exec_lo, exec_lo, s16
	s_wait_dscnt 0x0
	s_barrier_signal -1
	s_barrier_wait -1
	s_and_saveexec_b32 s17, s27
	s_cbranch_execz .LBB92_284
; %bb.283:                              ;   in Loop: Header=BB92_3 Depth=1
	s_mov_b32 s36, s35
	s_mov_b32 s38, s35
	;; [unrolled: 1-line block ×3, first 2 shown]
	v_mov_b64_e32 v[14:15], s[36:37]
	v_mov_b64_e32 v[16:17], s[38:39]
	ds_store_b128 v2, v[14:17] offset:8448
	ds_store_b128 v2, v[14:17] offset:8976
	ds_load_b128 v[14:17], v2 offset:8464
	s_wait_dscnt 0x0
	ds_store_b128 v2, v[14:17] offset:8960
.LBB92_284:                             ;   in Loop: Header=BB92_3 Depth=1
	s_or_b32 exec_lo, exec_lo, s17
	v_mov_b64_e32 v[16:17], 0
	v_mov_b64_e32 v[14:15], 0
	s_wait_dscnt 0x0
	s_barrier_signal -1
	s_barrier_wait -1
	s_and_saveexec_b32 s36, s2
	s_cbranch_execz .LBB92_288
; %bb.285:                              ;   in Loop: Header=BB92_3 Depth=1
	ds_load_b128 v[14:17], v183 offset:8448
	ds_load_b128 v[40:43], v182 offset:8480
	s_wait_dscnt 0x0
	v_mul_f64_e32 v[4:5], v[16:17], v[42:43]
	v_mul_f64_e32 v[20:21], v[14:15], v[42:43]
	s_delay_alu instid0(VALU_DEP_2) | instskip(NEXT) | instid1(VALU_DEP_2)
	v_fma_f64 v[4:5], v[14:15], v[40:41], -v[4:5]
	v_fmac_f64_e32 v[20:21], v[16:17], v[40:41]
	s_delay_alu instid0(VALU_DEP_2) | instskip(NEXT) | instid1(VALU_DEP_2)
	v_add_f64_e32 v[14:15], 0, v[4:5]
	v_add_f64_e32 v[16:17], 0, v[20:21]
	s_and_saveexec_b32 s16, s8
	s_cbranch_execz .LBB92_287
; %bb.286:                              ;   in Loop: Header=BB92_3 Depth=1
	ds_load_b128 v[40:43], v2 offset:8464
	ds_load_b128 v[204:207], v25 offset:8992
	s_wait_dscnt 0x0
	v_mul_f64_e32 v[4:5], v[42:43], v[206:207]
	v_mul_f64_e32 v[20:21], v[40:41], v[206:207]
	s_delay_alu instid0(VALU_DEP_2) | instskip(NEXT) | instid1(VALU_DEP_2)
	v_fma_f64 v[4:5], v[40:41], v[204:205], -v[4:5]
	v_fmac_f64_e32 v[20:21], v[42:43], v[204:205]
	s_delay_alu instid0(VALU_DEP_2) | instskip(NEXT) | instid1(VALU_DEP_2)
	v_add_f64_e32 v[14:15], v[14:15], v[4:5]
	v_add_f64_e32 v[16:17], v[16:17], v[20:21]
.LBB92_287:                             ;   in Loop: Header=BB92_3 Depth=1
	s_or_b32 exec_lo, exec_lo, s16
	s_delay_alu instid0(VALU_DEP_2) | instskip(NEXT) | instid1(VALU_DEP_2)
	v_xor_b32_e32 v15, 0x80000000, v15
	v_xor_b32_e32 v17, 0x80000000, v17
.LBB92_288:                             ;   in Loop: Header=BB92_3 Depth=1
	s_or_b32 exec_lo, exec_lo, s36
	s_and_saveexec_b32 s16, s67
; %bb.289:                              ;   in Loop: Header=BB92_3 Depth=1
	ds_store_b128 v27, v[14:17]
; %bb.290:                              ;   in Loop: Header=BB92_3 Depth=1
	s_or_b32 exec_lo, exec_lo, s16
	s_wait_dscnt 0x0
	s_barrier_signal -1
	s_barrier_wait -1
	s_and_saveexec_b32 s16, s68
	s_cbranch_execz .LBB92_292
; %bb.291:                              ;   in Loop: Header=BB92_3 Depth=1
	ds_load_b128 v[40:43], v27
	ds_load_b128 v[204:207], v2 offset:9520
	s_wait_dscnt 0x0
	v_mul_f64_e32 v[4:5], v[42:43], v[206:207]
	v_mul_f64_e32 v[20:21], v[40:41], v[206:207]
	s_delay_alu instid0(VALU_DEP_2) | instskip(NEXT) | instid1(VALU_DEP_2)
	v_fma_f64 v[4:5], v[40:41], v[204:205], -v[4:5]
	v_fmac_f64_e32 v[20:21], v[42:43], v[204:205]
	s_delay_alu instid0(VALU_DEP_2) | instskip(NEXT) | instid1(VALU_DEP_2)
	v_add_f64_e32 v[14:15], v[14:15], v[4:5]
	v_add_f64_e32 v[16:17], v[16:17], v[20:21]
.LBB92_292:                             ;   in Loop: Header=BB92_3 Depth=1
	s_or_b32 exec_lo, exec_lo, s16
	s_barrier_signal -1
	s_barrier_wait -1
	s_and_saveexec_b32 s16, s68
; %bb.293:                              ;   in Loop: Header=BB92_3 Depth=1
	ds_store_b128 v27, v[14:17]
; %bb.294:                              ;   in Loop: Header=BB92_3 Depth=1
	s_or_b32 exec_lo, exec_lo, s16
	s_wait_dscnt 0x0
	s_barrier_signal -1
	s_barrier_wait -1
	s_barrier_signal -1
	s_barrier_wait -1
	s_and_saveexec_b32 s16, s2
; %bb.295:                              ;   in Loop: Header=BB92_3 Depth=1
	v_xor_b32_e32 v15, 0x80000000, v15
	v_xor_b32_e32 v17, 0x80000000, v17
	ds_store_b128 v182, v[14:17] offset:8480
; %bb.296:                              ;   in Loop: Header=BB92_3 Depth=1
	s_or_b32 exec_lo, exec_lo, s16
	s_wait_dscnt 0x0
	s_barrier_signal -1
	s_barrier_wait -1
	s_barrier_signal -1
	s_barrier_wait -1
	s_and_saveexec_b32 s16, s69
	s_cbranch_execz .LBB92_298
; %bb.297:                              ;   in Loop: Header=BB92_3 Depth=1
	ds_load_b128 v[14:17], v59
	s_wait_dscnt 0x0
	ds_store_b128 v155, v[14:17]
	ds_load_b128 v[14:17], v60
	s_wait_dscnt 0x0
	ds_store_b128 v156, v[14:17]
.LBB92_298:                             ;   in Loop: Header=BB92_3 Depth=1
	s_or_b32 exec_lo, exec_lo, s16
	s_wait_dscnt 0x0
	s_barrier_signal -1
	s_barrier_wait -1
	s_and_saveexec_b32 s17, s27
	s_cbranch_execz .LBB92_300
; %bb.299:                              ;   in Loop: Header=BB92_3 Depth=1
	s_mov_b32 s36, s35
	s_mov_b32 s38, s35
	;; [unrolled: 1-line block ×3, first 2 shown]
	v_mov_b64_e32 v[14:15], s[36:37]
	v_mov_b64_e32 v[16:17], s[38:39]
	ds_store_b128 v2, v[14:17] offset:9504
	ds_store_b128 v2, v[14:17] offset:10032
	ds_load_b128 v[14:17], v2 offset:9520
	s_wait_dscnt 0x0
	ds_store_b128 v2, v[14:17] offset:10016
.LBB92_300:                             ;   in Loop: Header=BB92_3 Depth=1
	s_or_b32 exec_lo, exec_lo, s17
	v_mov_b64_e32 v[16:17], 0
	v_mov_b64_e32 v[14:15], 0
	s_wait_dscnt 0x0
	s_barrier_signal -1
	s_barrier_wait -1
	s_and_saveexec_b32 s36, s4
	s_cbranch_execz .LBB92_306
; %bb.301:                              ;   in Loop: Header=BB92_3 Depth=1
	ds_load_b128 v[14:17], v46 offset:8448
	ds_load_b128 v[40:43], v186 offset:8512
	s_wait_dscnt 0x0
	v_mul_f64_e32 v[4:5], v[16:17], v[42:43]
	v_mul_f64_e32 v[20:21], v[14:15], v[42:43]
	s_delay_alu instid0(VALU_DEP_2) | instskip(NEXT) | instid1(VALU_DEP_2)
	v_fma_f64 v[4:5], v[14:15], v[40:41], -v[4:5]
	v_fmac_f64_e32 v[20:21], v[16:17], v[40:41]
	s_delay_alu instid0(VALU_DEP_2) | instskip(NEXT) | instid1(VALU_DEP_2)
	v_add_f64_e32 v[14:15], 0, v[4:5]
	v_add_f64_e32 v[16:17], 0, v[20:21]
	s_and_saveexec_b32 s16, s9
	s_cbranch_execnz .LBB92_532
; %bb.302:                              ;   in Loop: Header=BB92_3 Depth=1
	s_or_b32 exec_lo, exec_lo, s16
	s_and_saveexec_b32 s16, s10
	s_cbranch_execnz .LBB92_533
.LBB92_303:                             ;   in Loop: Header=BB92_3 Depth=1
	s_or_b32 exec_lo, exec_lo, s16
	s_and_saveexec_b32 s16, s2
	s_cbranch_execz .LBB92_305
.LBB92_304:                             ;   in Loop: Header=BB92_3 Depth=1
	ds_load_b128 v[40:43], v2 offset:8496
	ds_load_b128 v[204:207], v44 offset:10048
	s_wait_dscnt 0x0
	v_mul_f64_e32 v[4:5], v[42:43], v[206:207]
	v_mul_f64_e32 v[20:21], v[40:41], v[206:207]
	s_delay_alu instid0(VALU_DEP_2) | instskip(NEXT) | instid1(VALU_DEP_2)
	v_fma_f64 v[4:5], v[40:41], v[204:205], -v[4:5]
	v_fmac_f64_e32 v[20:21], v[42:43], v[204:205]
	s_delay_alu instid0(VALU_DEP_2) | instskip(NEXT) | instid1(VALU_DEP_2)
	v_add_f64_e32 v[14:15], v[14:15], v[4:5]
	v_add_f64_e32 v[16:17], v[16:17], v[20:21]
.LBB92_305:                             ;   in Loop: Header=BB92_3 Depth=1
	s_or_b32 exec_lo, exec_lo, s16
	s_delay_alu instid0(VALU_DEP_2) | instskip(NEXT) | instid1(VALU_DEP_2)
	v_xor_b32_e32 v15, 0x80000000, v15
	v_xor_b32_e32 v17, 0x80000000, v17
.LBB92_306:                             ;   in Loop: Header=BB92_3 Depth=1
	s_or_b32 exec_lo, exec_lo, s36
	s_and_saveexec_b32 s16, s70
; %bb.307:                              ;   in Loop: Header=BB92_3 Depth=1
	ds_store_b128 v185, v[14:17]
; %bb.308:                              ;   in Loop: Header=BB92_3 Depth=1
	s_or_b32 exec_lo, exec_lo, s16
	s_wait_dscnt 0x0
	s_barrier_signal -1
	s_barrier_wait -1
	s_and_saveexec_b32 s16, s71
	s_cbranch_execz .LBB92_310
; %bb.309:                              ;   in Loop: Header=BB92_3 Depth=1
	ds_load_b128 v[40:43], v185
	ds_load_b128 v[204:207], v181 offset:10560
	s_wait_dscnt 0x0
	v_mul_f64_e32 v[4:5], v[42:43], v[206:207]
	v_mul_f64_e32 v[20:21], v[40:41], v[206:207]
	s_delay_alu instid0(VALU_DEP_2) | instskip(NEXT) | instid1(VALU_DEP_2)
	v_fma_f64 v[4:5], v[40:41], v[204:205], -v[4:5]
	v_fmac_f64_e32 v[20:21], v[42:43], v[204:205]
	s_delay_alu instid0(VALU_DEP_2) | instskip(NEXT) | instid1(VALU_DEP_2)
	v_add_f64_e32 v[14:15], v[14:15], v[4:5]
	v_add_f64_e32 v[16:17], v[16:17], v[20:21]
.LBB92_310:                             ;   in Loop: Header=BB92_3 Depth=1
	s_or_b32 exec_lo, exec_lo, s16
	s_barrier_signal -1
	s_barrier_wait -1
	s_and_saveexec_b32 s16, s72
; %bb.311:                              ;   in Loop: Header=BB92_3 Depth=1
	ds_store_b128 v185, v[14:17]
; %bb.312:                              ;   in Loop: Header=BB92_3 Depth=1
	s_or_b32 exec_lo, exec_lo, s16
	s_wait_dscnt 0x0
	s_barrier_signal -1
	s_barrier_wait -1
	s_and_saveexec_b32 s16, s73
	s_cbranch_execz .LBB92_314
; %bb.313:                              ;   in Loop: Header=BB92_3 Depth=1
	ds_load_b128 v[40:43], v185
	ds_load_b128 v[204:207], v181 offset:11072
	s_wait_dscnt 0x0
	v_mul_f64_e32 v[4:5], v[42:43], v[206:207]
	v_mul_f64_e32 v[20:21], v[40:41], v[206:207]
	s_delay_alu instid0(VALU_DEP_2) | instskip(NEXT) | instid1(VALU_DEP_2)
	v_fma_f64 v[4:5], v[40:41], v[204:205], -v[4:5]
	v_fmac_f64_e32 v[20:21], v[42:43], v[204:205]
	s_delay_alu instid0(VALU_DEP_2) | instskip(NEXT) | instid1(VALU_DEP_2)
	v_add_f64_e32 v[14:15], v[14:15], v[4:5]
	v_add_f64_e32 v[16:17], v[16:17], v[20:21]
.LBB92_314:                             ;   in Loop: Header=BB92_3 Depth=1
	s_or_b32 exec_lo, exec_lo, s16
	s_barrier_signal -1
	s_barrier_wait -1
	;; [unrolled: 26-line block ×3, first 2 shown]
	s_and_saveexec_b32 s16, s75
; %bb.319:                              ;   in Loop: Header=BB92_3 Depth=1
	ds_store_b128 v185, v[14:17]
; %bb.320:                              ;   in Loop: Header=BB92_3 Depth=1
	s_or_b32 exec_lo, exec_lo, s16
	s_wait_dscnt 0x0
	s_barrier_signal -1
	s_barrier_wait -1
	s_barrier_signal -1
	s_barrier_wait -1
	s_and_saveexec_b32 s16, s4
; %bb.321:                              ;   in Loop: Header=BB92_3 Depth=1
	v_xor_b32_e32 v17, 0x80000000, v17
	v_xor_b32_e32 v15, 0x80000000, v15
	ds_store_b128 v186, v[14:17] offset:8512
; %bb.322:                              ;   in Loop: Header=BB92_3 Depth=1
	s_or_b32 exec_lo, exec_lo, s16
	s_wait_dscnt 0x0
	s_barrier_signal -1
	s_barrier_wait -1
	s_barrier_signal -1
	s_barrier_wait -1
	s_and_saveexec_b32 s16, s76
	s_cbranch_execz .LBB92_324
; %bb.323:                              ;   in Loop: Header=BB92_3 Depth=1
	ds_load_b128 v[14:17], v75
	s_wait_dscnt 0x0
	ds_store_b128 v157, v[14:17]
	ds_load_b128 v[14:17], v78
	s_wait_dscnt 0x0
	ds_store_b128 v160, v[14:17]
	;; [unrolled: 3-line block ×4, first 2 shown]
.LBB92_324:                             ;   in Loop: Header=BB92_3 Depth=1
	s_or_b32 exec_lo, exec_lo, s16
	s_wait_dscnt 0x0
	s_barrier_signal -1
	s_barrier_wait -1
	s_and_saveexec_b32 s17, s27
	s_cbranch_execz .LBB92_326
; %bb.325:                              ;   in Loop: Header=BB92_3 Depth=1
	s_mov_b32 s36, s35
	s_mov_b32 s38, s35
	;; [unrolled: 1-line block ×3, first 2 shown]
	v_mov_b64_e32 v[14:15], s[36:37]
	v_mov_b64_e32 v[16:17], s[38:39]
	ds_store_b128 v2, v[14:17] offset:10560
	ds_store_b128 v2, v[14:17] offset:11088
	ds_load_b128 v[14:17], v2 offset:10576
	s_wait_dscnt 0x0
	ds_store_b128 v2, v[14:17] offset:11072
.LBB92_326:                             ;   in Loop: Header=BB92_3 Depth=1
	s_or_b32 exec_lo, exec_lo, s17
	v_mov_b64_e32 v[16:17], 0
	v_mov_b64_e32 v[14:15], 0
	s_wait_dscnt 0x0
	s_barrier_signal -1
	s_barrier_wait -1
	s_and_saveexec_b32 s36, s2
	s_cbranch_execz .LBB92_330
; %bb.327:                              ;   in Loop: Header=BB92_3 Depth=1
	ds_load_b128 v[14:17], v183 offset:10560
	ds_load_b128 v[40:43], v182 offset:10592
	s_wait_dscnt 0x0
	v_mul_f64_e32 v[4:5], v[16:17], v[42:43]
	v_mul_f64_e32 v[20:21], v[14:15], v[42:43]
	s_delay_alu instid0(VALU_DEP_2) | instskip(NEXT) | instid1(VALU_DEP_2)
	v_fma_f64 v[4:5], v[14:15], v[40:41], -v[4:5]
	v_fmac_f64_e32 v[20:21], v[16:17], v[40:41]
	s_delay_alu instid0(VALU_DEP_2) | instskip(NEXT) | instid1(VALU_DEP_2)
	v_add_f64_e32 v[14:15], 0, v[4:5]
	v_add_f64_e32 v[16:17], 0, v[20:21]
	s_and_saveexec_b32 s16, s8
	s_cbranch_execz .LBB92_329
; %bb.328:                              ;   in Loop: Header=BB92_3 Depth=1
	ds_load_b128 v[40:43], v2 offset:10576
	ds_load_b128 v[204:207], v71 offset:11104
	s_wait_dscnt 0x0
	v_mul_f64_e32 v[4:5], v[42:43], v[206:207]
	v_mul_f64_e32 v[20:21], v[40:41], v[206:207]
	s_delay_alu instid0(VALU_DEP_2) | instskip(NEXT) | instid1(VALU_DEP_2)
	v_fma_f64 v[4:5], v[40:41], v[204:205], -v[4:5]
	v_fmac_f64_e32 v[20:21], v[42:43], v[204:205]
	s_delay_alu instid0(VALU_DEP_2) | instskip(NEXT) | instid1(VALU_DEP_2)
	v_add_f64_e32 v[14:15], v[14:15], v[4:5]
	v_add_f64_e32 v[16:17], v[16:17], v[20:21]
.LBB92_329:                             ;   in Loop: Header=BB92_3 Depth=1
	s_or_b32 exec_lo, exec_lo, s16
	s_delay_alu instid0(VALU_DEP_2) | instskip(NEXT) | instid1(VALU_DEP_2)
	v_xor_b32_e32 v15, 0x80000000, v15
	v_xor_b32_e32 v17, 0x80000000, v17
.LBB92_330:                             ;   in Loop: Header=BB92_3 Depth=1
	s_or_b32 exec_lo, exec_lo, s36
	s_and_saveexec_b32 s16, s67
; %bb.331:                              ;   in Loop: Header=BB92_3 Depth=1
	ds_store_b128 v27, v[14:17]
; %bb.332:                              ;   in Loop: Header=BB92_3 Depth=1
	s_or_b32 exec_lo, exec_lo, s16
	s_wait_dscnt 0x0
	s_barrier_signal -1
	s_barrier_wait -1
	s_and_saveexec_b32 s16, s68
	s_cbranch_execz .LBB92_334
; %bb.333:                              ;   in Loop: Header=BB92_3 Depth=1
	ds_load_b128 v[40:43], v27
	ds_load_b128 v[204:207], v2 offset:11632
	s_wait_dscnt 0x0
	v_mul_f64_e32 v[4:5], v[42:43], v[206:207]
	v_mul_f64_e32 v[20:21], v[40:41], v[206:207]
	s_delay_alu instid0(VALU_DEP_2) | instskip(NEXT) | instid1(VALU_DEP_2)
	v_fma_f64 v[4:5], v[40:41], v[204:205], -v[4:5]
	v_fmac_f64_e32 v[20:21], v[42:43], v[204:205]
	s_delay_alu instid0(VALU_DEP_2) | instskip(NEXT) | instid1(VALU_DEP_2)
	v_add_f64_e32 v[14:15], v[14:15], v[4:5]
	v_add_f64_e32 v[16:17], v[16:17], v[20:21]
.LBB92_334:                             ;   in Loop: Header=BB92_3 Depth=1
	s_or_b32 exec_lo, exec_lo, s16
	s_barrier_signal -1
	s_barrier_wait -1
	s_and_saveexec_b32 s16, s68
; %bb.335:                              ;   in Loop: Header=BB92_3 Depth=1
	ds_store_b128 v27, v[14:17]
; %bb.336:                              ;   in Loop: Header=BB92_3 Depth=1
	s_or_b32 exec_lo, exec_lo, s16
	s_wait_dscnt 0x0
	s_barrier_signal -1
	s_barrier_wait -1
	s_barrier_signal -1
	s_barrier_wait -1
	s_and_saveexec_b32 s16, s2
; %bb.337:                              ;   in Loop: Header=BB92_3 Depth=1
	v_xor_b32_e32 v15, 0x80000000, v15
	v_xor_b32_e32 v17, 0x80000000, v17
	ds_store_b128 v182, v[14:17] offset:10592
; %bb.338:                              ;   in Loop: Header=BB92_3 Depth=1
	s_or_b32 exec_lo, exec_lo, s16
	s_wait_dscnt 0x0
	s_barrier_signal -1
	s_barrier_wait -1
	s_barrier_signal -1
	s_barrier_wait -1
	s_and_saveexec_b32 s16, s69
	s_cbranch_execz .LBB92_340
; %bb.339:                              ;   in Loop: Header=BB92_3 Depth=1
	ds_load_b128 v[14:17], v87
	s_wait_dscnt 0x0
	ds_store_b128 v161, v[14:17]
	ds_load_b128 v[14:17], v88
	s_wait_dscnt 0x0
	ds_store_b128 v162, v[14:17]
.LBB92_340:                             ;   in Loop: Header=BB92_3 Depth=1
	s_or_b32 exec_lo, exec_lo, s16
	s_wait_dscnt 0x0
	s_barrier_signal -1
	s_barrier_wait -1
	s_and_saveexec_b32 s17, s27
	s_cbranch_execz .LBB92_342
; %bb.341:                              ;   in Loop: Header=BB92_3 Depth=1
	s_mov_b32 s36, s35
	s_mov_b32 s38, s35
	;; [unrolled: 1-line block ×3, first 2 shown]
	v_mov_b64_e32 v[14:15], s[36:37]
	v_mov_b64_e32 v[16:17], s[38:39]
	ds_store_b128 v2, v[14:17] offset:11616
	ds_store_b128 v2, v[14:17] offset:12144
	ds_load_b128 v[14:17], v2 offset:11632
	s_wait_dscnt 0x0
	ds_store_b128 v2, v[14:17] offset:12128
.LBB92_342:                             ;   in Loop: Header=BB92_3 Depth=1
	s_or_b32 exec_lo, exec_lo, s17
	v_mov_b64_e32 v[16:17], 0
	v_mov_b64_e32 v[14:15], 0
	s_wait_dscnt 0x0
	s_barrier_signal -1
	s_barrier_wait -1
	s_and_saveexec_b32 s36, s5
	s_cbranch_execz .LBB92_352
; %bb.343:                              ;   in Loop: Header=BB92_3 Depth=1
	ds_load_b128 v[14:17], v47 offset:8448
	ds_load_b128 v[40:43], v189 offset:8576
	s_wait_dscnt 0x0
	v_mul_f64_e32 v[4:5], v[16:17], v[42:43]
	v_mul_f64_e32 v[20:21], v[14:15], v[42:43]
	s_delay_alu instid0(VALU_DEP_2) | instskip(NEXT) | instid1(VALU_DEP_2)
	v_fma_f64 v[4:5], v[14:15], v[40:41], -v[4:5]
	v_fmac_f64_e32 v[20:21], v[16:17], v[40:41]
	s_delay_alu instid0(VALU_DEP_2) | instskip(NEXT) | instid1(VALU_DEP_2)
	v_add_f64_e32 v[14:15], 0, v[4:5]
	v_add_f64_e32 v[16:17], 0, v[20:21]
	s_and_saveexec_b32 s16, s11
	s_cbranch_execnz .LBB92_534
; %bb.344:                              ;   in Loop: Header=BB92_3 Depth=1
	s_or_b32 exec_lo, exec_lo, s16
	s_and_saveexec_b32 s16, s12
	s_cbranch_execnz .LBB92_535
.LBB92_345:                             ;   in Loop: Header=BB92_3 Depth=1
	s_or_b32 exec_lo, exec_lo, s16
	s_and_saveexec_b32 s16, s13
	s_cbranch_execnz .LBB92_536
.LBB92_346:                             ;   in Loop: Header=BB92_3 Depth=1
	s_or_b32 exec_lo, exec_lo, s16
	s_and_saveexec_b32 s16, s14
	s_cbranch_execnz .LBB92_537
.LBB92_347:                             ;   in Loop: Header=BB92_3 Depth=1
	s_or_b32 exec_lo, exec_lo, s16
	s_and_saveexec_b32 s16, s15
	s_cbranch_execnz .LBB92_538
.LBB92_348:                             ;   in Loop: Header=BB92_3 Depth=1
	s_or_b32 exec_lo, exec_lo, s16
	s_and_saveexec_b32 s16, s4
	s_cbranch_execnz .LBB92_539
.LBB92_349:                             ;   in Loop: Header=BB92_3 Depth=1
	s_or_b32 exec_lo, exec_lo, s16
	s_and_saveexec_b32 s16, s10
	s_cbranch_execz .LBB92_351
.LBB92_350:                             ;   in Loop: Header=BB92_3 Depth=1
	ds_load_b128 v[40:43], v2 offset:8560
	ds_load_b128 v[204:207], v25 offset:12160
	s_wait_dscnt 0x0
	v_mul_f64_e32 v[4:5], v[42:43], v[206:207]
	v_mul_f64_e32 v[20:21], v[40:41], v[206:207]
	s_delay_alu instid0(VALU_DEP_2) | instskip(NEXT) | instid1(VALU_DEP_2)
	v_fma_f64 v[4:5], v[40:41], v[204:205], -v[4:5]
	v_fmac_f64_e32 v[20:21], v[42:43], v[204:205]
	s_delay_alu instid0(VALU_DEP_2) | instskip(NEXT) | instid1(VALU_DEP_2)
	v_add_f64_e32 v[14:15], v[14:15], v[4:5]
	v_add_f64_e32 v[16:17], v[16:17], v[20:21]
.LBB92_351:                             ;   in Loop: Header=BB92_3 Depth=1
	s_or_b32 exec_lo, exec_lo, s16
	s_delay_alu instid0(VALU_DEP_2) | instskip(NEXT) | instid1(VALU_DEP_2)
	v_xor_b32_e32 v15, 0x80000000, v15
	v_xor_b32_e32 v17, 0x80000000, v17
.LBB92_352:                             ;   in Loop: Header=BB92_3 Depth=1
	s_or_b32 exec_lo, exec_lo, s36
	s_and_saveexec_b32 s16, s77
; %bb.353:                              ;   in Loop: Header=BB92_3 Depth=1
	ds_store_b128 v188, v[14:17]
; %bb.354:                              ;   in Loop: Header=BB92_3 Depth=1
	s_or_b32 exec_lo, exec_lo, s16
	s_wait_dscnt 0x0
	s_barrier_signal -1
	s_barrier_wait -1
	s_and_saveexec_b32 s16, s78
	s_cbranch_execz .LBB92_356
; %bb.355:                              ;   in Loop: Header=BB92_3 Depth=1
	ds_load_b128 v[40:43], v188
	ds_load_b128 v[204:207], v184 offset:12672
	s_wait_dscnt 0x0
	v_mul_f64_e32 v[4:5], v[42:43], v[206:207]
	v_mul_f64_e32 v[20:21], v[40:41], v[206:207]
	s_delay_alu instid0(VALU_DEP_2) | instskip(NEXT) | instid1(VALU_DEP_2)
	v_fma_f64 v[4:5], v[40:41], v[204:205], -v[4:5]
	v_fmac_f64_e32 v[20:21], v[42:43], v[204:205]
	s_delay_alu instid0(VALU_DEP_2) | instskip(NEXT) | instid1(VALU_DEP_2)
	v_add_f64_e32 v[14:15], v[14:15], v[4:5]
	v_add_f64_e32 v[16:17], v[16:17], v[20:21]
.LBB92_356:                             ;   in Loop: Header=BB92_3 Depth=1
	s_or_b32 exec_lo, exec_lo, s16
	s_barrier_signal -1
	s_barrier_wait -1
	s_and_saveexec_b32 s16, s79
; %bb.357:                              ;   in Loop: Header=BB92_3 Depth=1
	ds_store_b128 v188, v[14:17]
; %bb.358:                              ;   in Loop: Header=BB92_3 Depth=1
	s_or_b32 exec_lo, exec_lo, s16
	s_wait_dscnt 0x0
	s_barrier_signal -1
	s_barrier_wait -1
	s_and_saveexec_b32 s16, s80
	s_cbranch_execz .LBB92_360
; %bb.359:                              ;   in Loop: Header=BB92_3 Depth=1
	ds_load_b128 v[40:43], v188
	ds_load_b128 v[204:207], v184 offset:13184
	s_wait_dscnt 0x0
	v_mul_f64_e32 v[4:5], v[42:43], v[206:207]
	v_mul_f64_e32 v[20:21], v[40:41], v[206:207]
	s_delay_alu instid0(VALU_DEP_2) | instskip(NEXT) | instid1(VALU_DEP_2)
	v_fma_f64 v[4:5], v[40:41], v[204:205], -v[4:5]
	v_fmac_f64_e32 v[20:21], v[42:43], v[204:205]
	s_delay_alu instid0(VALU_DEP_2) | instskip(NEXT) | instid1(VALU_DEP_2)
	v_add_f64_e32 v[14:15], v[14:15], v[4:5]
	v_add_f64_e32 v[16:17], v[16:17], v[20:21]
.LBB92_360:                             ;   in Loop: Header=BB92_3 Depth=1
	s_or_b32 exec_lo, exec_lo, s16
	s_barrier_signal -1
	s_barrier_wait -1
	s_and_saveexec_b32 s16, s81
; %bb.361:                              ;   in Loop: Header=BB92_3 Depth=1
	ds_store_b128 v188, v[14:17]
; %bb.362:                              ;   in Loop: Header=BB92_3 Depth=1
	s_or_b32 exec_lo, exec_lo, s16
	s_wait_dscnt 0x0
	s_barrier_signal -1
	s_barrier_wait -1
	s_and_saveexec_b32 s16, s82
	s_cbranch_execz .LBB92_364
; %bb.363:                              ;   in Loop: Header=BB92_3 Depth=1
	ds_load_b128 v[40:43], v188
	ds_load_b128 v[204:207], v184 offset:13696
	s_wait_dscnt 0x0
	v_mul_f64_e32 v[4:5], v[42:43], v[206:207]
	v_mul_f64_e32 v[20:21], v[40:41], v[206:207]
	s_delay_alu instid0(VALU_DEP_2) | instskip(NEXT) | instid1(VALU_DEP_2)
	v_fma_f64 v[4:5], v[40:41], v[204:205], -v[4:5]
	v_fmac_f64_e32 v[20:21], v[42:43], v[204:205]
	s_delay_alu instid0(VALU_DEP_2) | instskip(NEXT) | instid1(VALU_DEP_2)
	v_add_f64_e32 v[14:15], v[14:15], v[4:5]
	v_add_f64_e32 v[16:17], v[16:17], v[20:21]
.LBB92_364:                             ;   in Loop: Header=BB92_3 Depth=1
	s_or_b32 exec_lo, exec_lo, s16
	s_barrier_signal -1
	s_barrier_wait -1
	s_and_saveexec_b32 s16, s83
; %bb.365:                              ;   in Loop: Header=BB92_3 Depth=1
	ds_store_b128 v188, v[14:17]
; %bb.366:                              ;   in Loop: Header=BB92_3 Depth=1
	s_or_b32 exec_lo, exec_lo, s16
	s_wait_dscnt 0x0
	s_barrier_signal -1
	s_barrier_wait -1
	s_and_saveexec_b32 s16, s84
	s_cbranch_execz .LBB92_368
; %bb.367:                              ;   in Loop: Header=BB92_3 Depth=1
	ds_load_b128 v[40:43], v188
	ds_load_b128 v[204:207], v184 offset:14208
	s_wait_dscnt 0x0
	v_mul_f64_e32 v[4:5], v[42:43], v[206:207]
	v_mul_f64_e32 v[20:21], v[40:41], v[206:207]
	s_delay_alu instid0(VALU_DEP_2) | instskip(NEXT) | instid1(VALU_DEP_2)
	v_fma_f64 v[4:5], v[40:41], v[204:205], -v[4:5]
	v_fmac_f64_e32 v[20:21], v[42:43], v[204:205]
	s_delay_alu instid0(VALU_DEP_2) | instskip(NEXT) | instid1(VALU_DEP_2)
	v_add_f64_e32 v[14:15], v[14:15], v[4:5]
	v_add_f64_e32 v[16:17], v[16:17], v[20:21]
.LBB92_368:                             ;   in Loop: Header=BB92_3 Depth=1
	s_or_b32 exec_lo, exec_lo, s16
	s_barrier_signal -1
	s_barrier_wait -1
	s_and_saveexec_b32 s16, s85
; %bb.369:                              ;   in Loop: Header=BB92_3 Depth=1
	ds_store_b128 v188, v[14:17]
; %bb.370:                              ;   in Loop: Header=BB92_3 Depth=1
	s_or_b32 exec_lo, exec_lo, s16
	s_wait_dscnt 0x0
	s_barrier_signal -1
	s_barrier_wait -1
	s_and_saveexec_b32 s16, s86
	s_cbranch_execz .LBB92_372
; %bb.371:                              ;   in Loop: Header=BB92_3 Depth=1
	ds_load_b128 v[40:43], v188
	ds_load_b128 v[204:207], v184 offset:14720
	s_wait_dscnt 0x0
	v_mul_f64_e32 v[4:5], v[42:43], v[206:207]
	v_mul_f64_e32 v[20:21], v[40:41], v[206:207]
	s_delay_alu instid0(VALU_DEP_2) | instskip(NEXT) | instid1(VALU_DEP_2)
	v_fma_f64 v[4:5], v[40:41], v[204:205], -v[4:5]
	v_fmac_f64_e32 v[20:21], v[42:43], v[204:205]
	s_delay_alu instid0(VALU_DEP_2) | instskip(NEXT) | instid1(VALU_DEP_2)
	v_add_f64_e32 v[14:15], v[14:15], v[4:5]
	v_add_f64_e32 v[16:17], v[16:17], v[20:21]
.LBB92_372:                             ;   in Loop: Header=BB92_3 Depth=1
	s_or_b32 exec_lo, exec_lo, s16
	s_barrier_signal -1
	s_barrier_wait -1
	s_and_saveexec_b32 s16, s87
; %bb.373:                              ;   in Loop: Header=BB92_3 Depth=1
	ds_store_b128 v188, v[14:17]
; %bb.374:                              ;   in Loop: Header=BB92_3 Depth=1
	s_or_b32 exec_lo, exec_lo, s16
	s_wait_dscnt 0x0
	s_barrier_signal -1
	s_barrier_wait -1
	s_and_saveexec_b32 s16, s88
	s_cbranch_execz .LBB92_376
; %bb.375:                              ;   in Loop: Header=BB92_3 Depth=1
	ds_load_b128 v[40:43], v188
	ds_load_b128 v[204:207], v184 offset:15232
	s_wait_dscnt 0x0
	v_mul_f64_e32 v[4:5], v[42:43], v[206:207]
	v_mul_f64_e32 v[20:21], v[40:41], v[206:207]
	s_delay_alu instid0(VALU_DEP_2) | instskip(NEXT) | instid1(VALU_DEP_2)
	v_fma_f64 v[4:5], v[40:41], v[204:205], -v[4:5]
	v_fmac_f64_e32 v[20:21], v[42:43], v[204:205]
	s_delay_alu instid0(VALU_DEP_2) | instskip(NEXT) | instid1(VALU_DEP_2)
	v_add_f64_e32 v[14:15], v[14:15], v[4:5]
	v_add_f64_e32 v[16:17], v[16:17], v[20:21]
.LBB92_376:                             ;   in Loop: Header=BB92_3 Depth=1
	s_or_b32 exec_lo, exec_lo, s16
	s_barrier_signal -1
	s_barrier_wait -1
	s_and_saveexec_b32 s16, s89
; %bb.377:                              ;   in Loop: Header=BB92_3 Depth=1
	ds_store_b128 v188, v[14:17]
; %bb.378:                              ;   in Loop: Header=BB92_3 Depth=1
	s_or_b32 exec_lo, exec_lo, s16
	s_wait_dscnt 0x0
	s_barrier_signal -1
	s_barrier_wait -1
	s_and_saveexec_b32 s16, s90
	s_cbranch_execz .LBB92_380
; %bb.379:                              ;   in Loop: Header=BB92_3 Depth=1
	ds_load_b128 v[40:43], v188
	ds_load_b128 v[204:207], v2 offset:15856
	s_wait_dscnt 0x0
	v_mul_f64_e32 v[4:5], v[42:43], v[206:207]
	v_mul_f64_e32 v[20:21], v[40:41], v[206:207]
	s_delay_alu instid0(VALU_DEP_2) | instskip(NEXT) | instid1(VALU_DEP_2)
	v_fma_f64 v[4:5], v[40:41], v[204:205], -v[4:5]
	v_fmac_f64_e32 v[20:21], v[42:43], v[204:205]
	s_delay_alu instid0(VALU_DEP_2) | instskip(NEXT) | instid1(VALU_DEP_2)
	v_add_f64_e32 v[14:15], v[14:15], v[4:5]
	v_add_f64_e32 v[16:17], v[16:17], v[20:21]
.LBB92_380:                             ;   in Loop: Header=BB92_3 Depth=1
	s_or_b32 exec_lo, exec_lo, s16
	s_barrier_signal -1
	s_barrier_wait -1
	s_and_saveexec_b32 s16, s90
; %bb.381:                              ;   in Loop: Header=BB92_3 Depth=1
	ds_store_b128 v188, v[14:17]
; %bb.382:                              ;   in Loop: Header=BB92_3 Depth=1
	s_or_b32 exec_lo, exec_lo, s16
	s_wait_dscnt 0x0
	s_barrier_signal -1
	s_barrier_wait -1
	s_barrier_signal -1
	s_barrier_wait -1
	s_and_saveexec_b32 s16, s5
; %bb.383:                              ;   in Loop: Header=BB92_3 Depth=1
	v_xor_b32_e32 v15, 0x80000000, v15
	v_xor_b32_e32 v17, 0x80000000, v17
	ds_store_b128 v189, v[14:17] offset:8576
; %bb.384:                              ;   in Loop: Header=BB92_3 Depth=1
	s_or_b32 exec_lo, exec_lo, s16
	s_wait_dscnt 0x0
	s_barrier_signal -1
	s_barrier_wait -1
	s_barrier_signal -1
	s_barrier_wait -1
	s_and_saveexec_b32 s16, s91
	s_cbranch_execz .LBB92_386
; %bb.385:                              ;   in Loop: Header=BB92_3 Depth=1
	ds_load_b128 v[14:17], v61
	s_wait_dscnt 0x0
	ds_store_b128 v163, v[14:17]
	ds_load_b128 v[14:17], v62
	s_wait_dscnt 0x0
	ds_store_b128 v164, v[14:17]
	ds_load_b128 v[14:17], v63
	s_wait_dscnt 0x0
	ds_store_b128 v165, v[14:17]
	ds_load_b128 v[14:17], v64
	s_wait_dscnt 0x0
	ds_store_b128 v166, v[14:17]
	ds_load_b128 v[14:17], v65
	s_wait_dscnt 0x0
	ds_store_b128 v167, v[14:17]
	ds_load_b128 v[14:17], v66
	s_wait_dscnt 0x0
	ds_store_b128 v168, v[14:17]
	ds_load_b128 v[14:17], v67
	s_wait_dscnt 0x0
	ds_store_b128 v169, v[14:17]
	ds_load_b128 v[14:17], v191
	s_wait_dscnt 0x0
	ds_store_b128 v170, v[14:17]
.LBB92_386:                             ;   in Loop: Header=BB92_3 Depth=1
	s_or_b32 exec_lo, exec_lo, s16
	s_wait_dscnt 0x0
	s_barrier_signal -1
	s_barrier_wait -1
	s_and_saveexec_b32 s17, s27
	s_cbranch_execz .LBB92_388
; %bb.387:                              ;   in Loop: Header=BB92_3 Depth=1
	s_mov_b32 s36, s35
	s_mov_b32 s38, s35
	s_mov_b32 s39, s35
	v_mov_b64_e32 v[14:15], s[36:37]
	v_mov_b64_e32 v[16:17], s[38:39]
	ds_store_b128 v2, v[14:17] offset:12672
	ds_store_b128 v2, v[14:17] offset:13200
	ds_load_b128 v[14:17], v2 offset:12688
	s_wait_dscnt 0x0
	ds_store_b128 v2, v[14:17] offset:13184
.LBB92_388:                             ;   in Loop: Header=BB92_3 Depth=1
	s_or_b32 exec_lo, exec_lo, s17
	v_mov_b64_e32 v[16:17], 0
	v_mov_b64_e32 v[14:15], 0
	s_wait_dscnt 0x0
	s_barrier_signal -1
	s_barrier_wait -1
	s_and_saveexec_b32 s36, s2
	s_cbranch_execz .LBB92_392
; %bb.389:                              ;   in Loop: Header=BB92_3 Depth=1
	ds_load_b128 v[14:17], v183 offset:12672
	ds_load_b128 v[40:43], v182 offset:12704
	s_wait_dscnt 0x0
	v_mul_f64_e32 v[4:5], v[16:17], v[42:43]
	v_mul_f64_e32 v[20:21], v[14:15], v[42:43]
	s_delay_alu instid0(VALU_DEP_2) | instskip(NEXT) | instid1(VALU_DEP_2)
	v_fma_f64 v[4:5], v[14:15], v[40:41], -v[4:5]
	v_fmac_f64_e32 v[20:21], v[16:17], v[40:41]
	s_delay_alu instid0(VALU_DEP_2) | instskip(NEXT) | instid1(VALU_DEP_2)
	v_add_f64_e32 v[14:15], 0, v[4:5]
	v_add_f64_e32 v[16:17], 0, v[20:21]
	s_and_saveexec_b32 s16, s8
	s_cbranch_execz .LBB92_391
; %bb.390:                              ;   in Loop: Header=BB92_3 Depth=1
	ds_load_b128 v[40:43], v2 offset:12688
	ds_load_b128 v[204:207], v44 offset:13216
	s_wait_dscnt 0x0
	v_mul_f64_e32 v[4:5], v[42:43], v[206:207]
	v_mul_f64_e32 v[20:21], v[40:41], v[206:207]
	s_delay_alu instid0(VALU_DEP_2) | instskip(NEXT) | instid1(VALU_DEP_2)
	v_fma_f64 v[4:5], v[40:41], v[204:205], -v[4:5]
	v_fmac_f64_e32 v[20:21], v[42:43], v[204:205]
	s_delay_alu instid0(VALU_DEP_2) | instskip(NEXT) | instid1(VALU_DEP_2)
	v_add_f64_e32 v[14:15], v[14:15], v[4:5]
	v_add_f64_e32 v[16:17], v[16:17], v[20:21]
.LBB92_391:                             ;   in Loop: Header=BB92_3 Depth=1
	s_or_b32 exec_lo, exec_lo, s16
	s_delay_alu instid0(VALU_DEP_2) | instskip(NEXT) | instid1(VALU_DEP_2)
	v_xor_b32_e32 v15, 0x80000000, v15
	v_xor_b32_e32 v17, 0x80000000, v17
.LBB92_392:                             ;   in Loop: Header=BB92_3 Depth=1
	s_or_b32 exec_lo, exec_lo, s36
	s_and_saveexec_b32 s16, s67
; %bb.393:                              ;   in Loop: Header=BB92_3 Depth=1
	ds_store_b128 v27, v[14:17]
; %bb.394:                              ;   in Loop: Header=BB92_3 Depth=1
	s_or_b32 exec_lo, exec_lo, s16
	s_wait_dscnt 0x0
	s_barrier_signal -1
	s_barrier_wait -1
	s_and_saveexec_b32 s16, s68
	s_cbranch_execz .LBB92_396
; %bb.395:                              ;   in Loop: Header=BB92_3 Depth=1
	ds_load_b128 v[40:43], v27
	ds_load_b128 v[204:207], v2 offset:13744
	s_wait_dscnt 0x0
	v_mul_f64_e32 v[4:5], v[42:43], v[206:207]
	v_mul_f64_e32 v[20:21], v[40:41], v[206:207]
	s_delay_alu instid0(VALU_DEP_2) | instskip(NEXT) | instid1(VALU_DEP_2)
	v_fma_f64 v[4:5], v[40:41], v[204:205], -v[4:5]
	v_fmac_f64_e32 v[20:21], v[42:43], v[204:205]
	s_delay_alu instid0(VALU_DEP_2) | instskip(NEXT) | instid1(VALU_DEP_2)
	v_add_f64_e32 v[14:15], v[14:15], v[4:5]
	v_add_f64_e32 v[16:17], v[16:17], v[20:21]
.LBB92_396:                             ;   in Loop: Header=BB92_3 Depth=1
	s_or_b32 exec_lo, exec_lo, s16
	s_barrier_signal -1
	s_barrier_wait -1
	s_and_saveexec_b32 s16, s68
; %bb.397:                              ;   in Loop: Header=BB92_3 Depth=1
	ds_store_b128 v27, v[14:17]
; %bb.398:                              ;   in Loop: Header=BB92_3 Depth=1
	s_or_b32 exec_lo, exec_lo, s16
	s_wait_dscnt 0x0
	s_barrier_signal -1
	s_barrier_wait -1
	s_barrier_signal -1
	s_barrier_wait -1
	s_and_saveexec_b32 s16, s2
; %bb.399:                              ;   in Loop: Header=BB92_3 Depth=1
	v_xor_b32_e32 v15, 0x80000000, v15
	v_xor_b32_e32 v17, 0x80000000, v17
	ds_store_b128 v182, v[14:17] offset:12704
; %bb.400:                              ;   in Loop: Header=BB92_3 Depth=1
	s_or_b32 exec_lo, exec_lo, s16
	s_wait_dscnt 0x0
	s_barrier_signal -1
	s_barrier_wait -1
	s_barrier_signal -1
	s_barrier_wait -1
	s_and_saveexec_b32 s16, s69
	s_cbranch_execz .LBB92_402
; %bb.401:                              ;   in Loop: Header=BB92_3 Depth=1
	ds_load_b128 v[14:17], v79
	s_wait_dscnt 0x0
	ds_store_b128 v171, v[14:17]
	ds_load_b128 v[14:17], v192
	s_wait_dscnt 0x0
	ds_store_b128 v172, v[14:17]
.LBB92_402:                             ;   in Loop: Header=BB92_3 Depth=1
	s_or_b32 exec_lo, exec_lo, s16
	s_wait_dscnt 0x0
	s_barrier_signal -1
	s_barrier_wait -1
	s_and_saveexec_b32 s17, s27
	s_cbranch_execz .LBB92_404
; %bb.403:                              ;   in Loop: Header=BB92_3 Depth=1
	s_mov_b32 s36, s35
	s_mov_b32 s38, s35
	;; [unrolled: 1-line block ×3, first 2 shown]
	v_mov_b64_e32 v[14:15], s[36:37]
	v_mov_b64_e32 v[16:17], s[38:39]
	ds_store_b128 v2, v[14:17] offset:13728
	ds_store_b128 v2, v[14:17] offset:14256
	ds_load_b128 v[14:17], v2 offset:13744
	s_wait_dscnt 0x0
	ds_store_b128 v2, v[14:17] offset:14240
.LBB92_404:                             ;   in Loop: Header=BB92_3 Depth=1
	s_or_b32 exec_lo, exec_lo, s17
	v_mov_b64_e32 v[16:17], 0
	v_mov_b64_e32 v[14:15], 0
	s_wait_dscnt 0x0
	s_barrier_signal -1
	s_barrier_wait -1
	s_and_saveexec_b32 s36, s4
	s_cbranch_execz .LBB92_410
; %bb.405:                              ;   in Loop: Header=BB92_3 Depth=1
	ds_load_b128 v[14:17], v46 offset:12672
	ds_load_b128 v[40:43], v186 offset:12736
	s_wait_dscnt 0x0
	v_mul_f64_e32 v[4:5], v[16:17], v[42:43]
	v_mul_f64_e32 v[20:21], v[14:15], v[42:43]
	s_delay_alu instid0(VALU_DEP_2) | instskip(NEXT) | instid1(VALU_DEP_2)
	v_fma_f64 v[4:5], v[14:15], v[40:41], -v[4:5]
	v_fmac_f64_e32 v[20:21], v[16:17], v[40:41]
	s_delay_alu instid0(VALU_DEP_2) | instskip(NEXT) | instid1(VALU_DEP_2)
	v_add_f64_e32 v[14:15], 0, v[4:5]
	v_add_f64_e32 v[16:17], 0, v[20:21]
	s_and_saveexec_b32 s16, s9
	s_cbranch_execnz .LBB92_540
; %bb.406:                              ;   in Loop: Header=BB92_3 Depth=1
	s_or_b32 exec_lo, exec_lo, s16
	s_and_saveexec_b32 s16, s10
	s_cbranch_execnz .LBB92_541
.LBB92_407:                             ;   in Loop: Header=BB92_3 Depth=1
	s_or_b32 exec_lo, exec_lo, s16
	s_and_saveexec_b32 s16, s2
	s_cbranch_execz .LBB92_409
.LBB92_408:                             ;   in Loop: Header=BB92_3 Depth=1
	ds_load_b128 v[40:43], v2 offset:12720
	ds_load_b128 v[204:207], v71 offset:14272
	s_wait_dscnt 0x0
	v_mul_f64_e32 v[4:5], v[42:43], v[206:207]
	v_mul_f64_e32 v[20:21], v[40:41], v[206:207]
	s_delay_alu instid0(VALU_DEP_2) | instskip(NEXT) | instid1(VALU_DEP_2)
	v_fma_f64 v[4:5], v[40:41], v[204:205], -v[4:5]
	v_fmac_f64_e32 v[20:21], v[42:43], v[204:205]
	s_delay_alu instid0(VALU_DEP_2) | instskip(NEXT) | instid1(VALU_DEP_2)
	v_add_f64_e32 v[14:15], v[14:15], v[4:5]
	v_add_f64_e32 v[16:17], v[16:17], v[20:21]
.LBB92_409:                             ;   in Loop: Header=BB92_3 Depth=1
	s_or_b32 exec_lo, exec_lo, s16
	s_delay_alu instid0(VALU_DEP_2) | instskip(NEXT) | instid1(VALU_DEP_2)
	v_xor_b32_e32 v15, 0x80000000, v15
	v_xor_b32_e32 v17, 0x80000000, v17
.LBB92_410:                             ;   in Loop: Header=BB92_3 Depth=1
	s_or_b32 exec_lo, exec_lo, s36
	s_and_saveexec_b32 s16, s70
; %bb.411:                              ;   in Loop: Header=BB92_3 Depth=1
	ds_store_b128 v185, v[14:17]
; %bb.412:                              ;   in Loop: Header=BB92_3 Depth=1
	s_or_b32 exec_lo, exec_lo, s16
	s_wait_dscnt 0x0
	s_barrier_signal -1
	s_barrier_wait -1
	s_and_saveexec_b32 s16, s71
	s_cbranch_execz .LBB92_414
; %bb.413:                              ;   in Loop: Header=BB92_3 Depth=1
	ds_load_b128 v[40:43], v185
	ds_load_b128 v[204:207], v181 offset:14784
	s_wait_dscnt 0x0
	v_mul_f64_e32 v[4:5], v[42:43], v[206:207]
	v_mul_f64_e32 v[20:21], v[40:41], v[206:207]
	s_delay_alu instid0(VALU_DEP_2) | instskip(NEXT) | instid1(VALU_DEP_2)
	v_fma_f64 v[4:5], v[40:41], v[204:205], -v[4:5]
	v_fmac_f64_e32 v[20:21], v[42:43], v[204:205]
	s_delay_alu instid0(VALU_DEP_2) | instskip(NEXT) | instid1(VALU_DEP_2)
	v_add_f64_e32 v[14:15], v[14:15], v[4:5]
	v_add_f64_e32 v[16:17], v[16:17], v[20:21]
.LBB92_414:                             ;   in Loop: Header=BB92_3 Depth=1
	s_or_b32 exec_lo, exec_lo, s16
	s_barrier_signal -1
	s_barrier_wait -1
	s_and_saveexec_b32 s16, s72
; %bb.415:                              ;   in Loop: Header=BB92_3 Depth=1
	ds_store_b128 v185, v[14:17]
; %bb.416:                              ;   in Loop: Header=BB92_3 Depth=1
	s_or_b32 exec_lo, exec_lo, s16
	s_wait_dscnt 0x0
	s_barrier_signal -1
	s_barrier_wait -1
	s_and_saveexec_b32 s16, s73
	s_cbranch_execz .LBB92_418
; %bb.417:                              ;   in Loop: Header=BB92_3 Depth=1
	ds_load_b128 v[40:43], v185
	ds_load_b128 v[204:207], v181 offset:15296
	s_wait_dscnt 0x0
	v_mul_f64_e32 v[4:5], v[42:43], v[206:207]
	v_mul_f64_e32 v[20:21], v[40:41], v[206:207]
	s_delay_alu instid0(VALU_DEP_2) | instskip(NEXT) | instid1(VALU_DEP_2)
	v_fma_f64 v[4:5], v[40:41], v[204:205], -v[4:5]
	v_fmac_f64_e32 v[20:21], v[42:43], v[204:205]
	s_delay_alu instid0(VALU_DEP_2) | instskip(NEXT) | instid1(VALU_DEP_2)
	v_add_f64_e32 v[14:15], v[14:15], v[4:5]
	v_add_f64_e32 v[16:17], v[16:17], v[20:21]
.LBB92_418:                             ;   in Loop: Header=BB92_3 Depth=1
	s_or_b32 exec_lo, exec_lo, s16
	s_barrier_signal -1
	s_barrier_wait -1
	;; [unrolled: 26-line block ×3, first 2 shown]
	s_and_saveexec_b32 s16, s75
; %bb.423:                              ;   in Loop: Header=BB92_3 Depth=1
	ds_store_b128 v185, v[14:17]
; %bb.424:                              ;   in Loop: Header=BB92_3 Depth=1
	s_or_b32 exec_lo, exec_lo, s16
	s_wait_dscnt 0x0
	s_barrier_signal -1
	s_barrier_wait -1
	s_barrier_signal -1
	s_barrier_wait -1
	s_and_saveexec_b32 s16, s4
; %bb.425:                              ;   in Loop: Header=BB92_3 Depth=1
	v_xor_b32_e32 v17, 0x80000000, v17
	v_xor_b32_e32 v15, 0x80000000, v15
	ds_store_b128 v186, v[14:17] offset:12736
; %bb.426:                              ;   in Loop: Header=BB92_3 Depth=1
	s_or_b32 exec_lo, exec_lo, s16
	s_wait_dscnt 0x0
	s_barrier_signal -1
	s_barrier_wait -1
	s_barrier_signal -1
	s_barrier_wait -1
	s_and_saveexec_b32 s16, s76
	s_cbranch_execz .LBB92_428
; %bb.427:                              ;   in Loop: Header=BB92_3 Depth=1
	ds_load_b128 v[14:17], v89
	s_wait_dscnt 0x0
	ds_store_b128 v173, v[14:17]
	ds_load_b128 v[14:17], v193
	s_wait_dscnt 0x0
	ds_store_b128 v176, v[14:17]
	;; [unrolled: 3-line block ×4, first 2 shown]
.LBB92_428:                             ;   in Loop: Header=BB92_3 Depth=1
	s_or_b32 exec_lo, exec_lo, s16
	s_wait_dscnt 0x0
	s_barrier_signal -1
	s_barrier_wait -1
	s_and_saveexec_b32 s17, s27
	s_cbranch_execz .LBB92_430
; %bb.429:                              ;   in Loop: Header=BB92_3 Depth=1
	s_mov_b32 s36, s35
	s_mov_b32 s38, s35
	;; [unrolled: 1-line block ×3, first 2 shown]
	v_mov_b64_e32 v[14:15], s[36:37]
	v_mov_b64_e32 v[16:17], s[38:39]
	ds_store_b128 v2, v[14:17] offset:14784
	ds_store_b128 v2, v[14:17] offset:15312
	ds_load_b128 v[14:17], v2 offset:14800
	s_wait_dscnt 0x0
	ds_store_b128 v2, v[14:17] offset:15296
.LBB92_430:                             ;   in Loop: Header=BB92_3 Depth=1
	s_or_b32 exec_lo, exec_lo, s17
	v_mov_b64_e32 v[16:17], 0
	v_mov_b64_e32 v[14:15], 0
	s_wait_dscnt 0x0
	s_barrier_signal -1
	s_barrier_wait -1
	s_and_saveexec_b32 s36, s2
	s_cbranch_execz .LBB92_434
; %bb.431:                              ;   in Loop: Header=BB92_3 Depth=1
	ds_load_b128 v[14:17], v183 offset:14784
	ds_load_b128 v[40:43], v182 offset:14816
	s_wait_dscnt 0x0
	v_mul_f64_e32 v[4:5], v[16:17], v[42:43]
	v_mul_f64_e32 v[20:21], v[14:15], v[42:43]
	s_delay_alu instid0(VALU_DEP_2) | instskip(NEXT) | instid1(VALU_DEP_2)
	v_fma_f64 v[4:5], v[14:15], v[40:41], -v[4:5]
	v_fmac_f64_e32 v[20:21], v[16:17], v[40:41]
	s_delay_alu instid0(VALU_DEP_2) | instskip(NEXT) | instid1(VALU_DEP_2)
	v_add_f64_e32 v[14:15], 0, v[4:5]
	v_add_f64_e32 v[16:17], 0, v[20:21]
	s_and_saveexec_b32 s16, s8
	s_cbranch_execz .LBB92_433
; %bb.432:                              ;   in Loop: Header=BB92_3 Depth=1
	ds_load_b128 v[40:43], v2 offset:14800
	ds_load_b128 v[204:207], v82 offset:15328
	s_wait_dscnt 0x0
	v_mul_f64_e32 v[4:5], v[42:43], v[206:207]
	v_mul_f64_e32 v[20:21], v[40:41], v[206:207]
	s_delay_alu instid0(VALU_DEP_2) | instskip(NEXT) | instid1(VALU_DEP_2)
	v_fma_f64 v[4:5], v[40:41], v[204:205], -v[4:5]
	v_fmac_f64_e32 v[20:21], v[42:43], v[204:205]
	s_delay_alu instid0(VALU_DEP_2) | instskip(NEXT) | instid1(VALU_DEP_2)
	v_add_f64_e32 v[14:15], v[14:15], v[4:5]
	v_add_f64_e32 v[16:17], v[16:17], v[20:21]
.LBB92_433:                             ;   in Loop: Header=BB92_3 Depth=1
	s_or_b32 exec_lo, exec_lo, s16
	s_delay_alu instid0(VALU_DEP_2) | instskip(NEXT) | instid1(VALU_DEP_2)
	v_xor_b32_e32 v15, 0x80000000, v15
	v_xor_b32_e32 v17, 0x80000000, v17
.LBB92_434:                             ;   in Loop: Header=BB92_3 Depth=1
	s_or_b32 exec_lo, exec_lo, s36
	s_and_saveexec_b32 s16, s67
; %bb.435:                              ;   in Loop: Header=BB92_3 Depth=1
	ds_store_b128 v27, v[14:17]
; %bb.436:                              ;   in Loop: Header=BB92_3 Depth=1
	s_or_b32 exec_lo, exec_lo, s16
	s_wait_dscnt 0x0
	s_barrier_signal -1
	s_barrier_wait -1
	s_and_saveexec_b32 s16, s68
	s_cbranch_execz .LBB92_438
; %bb.437:                              ;   in Loop: Header=BB92_3 Depth=1
	ds_load_b128 v[40:43], v27
	ds_load_b128 v[204:207], v2 offset:15856
	s_wait_dscnt 0x0
	v_mul_f64_e32 v[4:5], v[42:43], v[206:207]
	v_mul_f64_e32 v[20:21], v[40:41], v[206:207]
	s_delay_alu instid0(VALU_DEP_2) | instskip(NEXT) | instid1(VALU_DEP_2)
	v_fma_f64 v[4:5], v[40:41], v[204:205], -v[4:5]
	v_fmac_f64_e32 v[20:21], v[42:43], v[204:205]
	s_delay_alu instid0(VALU_DEP_2) | instskip(NEXT) | instid1(VALU_DEP_2)
	v_add_f64_e32 v[14:15], v[14:15], v[4:5]
	v_add_f64_e32 v[16:17], v[16:17], v[20:21]
.LBB92_438:                             ;   in Loop: Header=BB92_3 Depth=1
	s_or_b32 exec_lo, exec_lo, s16
	s_barrier_signal -1
	s_barrier_wait -1
	s_and_saveexec_b32 s16, s68
; %bb.439:                              ;   in Loop: Header=BB92_3 Depth=1
	ds_store_b128 v27, v[14:17]
; %bb.440:                              ;   in Loop: Header=BB92_3 Depth=1
	s_or_b32 exec_lo, exec_lo, s16
	s_wait_dscnt 0x0
	s_barrier_signal -1
	s_barrier_wait -1
	s_barrier_signal -1
	s_barrier_wait -1
	s_and_saveexec_b32 s16, s2
; %bb.441:                              ;   in Loop: Header=BB92_3 Depth=1
	v_xor_b32_e32 v15, 0x80000000, v15
	v_xor_b32_e32 v17, 0x80000000, v17
	ds_store_b128 v182, v[14:17] offset:14816
; %bb.442:                              ;   in Loop: Header=BB92_3 Depth=1
	s_or_b32 exec_lo, exec_lo, s16
	s_wait_dscnt 0x0
	s_barrier_signal -1
	s_barrier_wait -1
	s_barrier_signal -1
	s_barrier_wait -1
	s_and_saveexec_b32 s16, s69
	s_cbranch_execz .LBB92_444
; %bb.443:                              ;   in Loop: Header=BB92_3 Depth=1
	ds_load_b128 v[14:17], v94
	s_wait_dscnt 0x0
	ds_store_b128 v97, v[14:17]
	ds_load_b128 v[14:17], v194
	s_wait_dscnt 0x0
	ds_store_b128 v195, v[14:17]
.LBB92_444:                             ;   in Loop: Header=BB92_3 Depth=1
	s_or_b32 exec_lo, exec_lo, s16
	s_wait_dscnt 0x0
	s_barrier_signal -1
	s_barrier_wait -1
	s_and_saveexec_b32 s17, s27
	s_cbranch_execz .LBB92_446
; %bb.445:                              ;   in Loop: Header=BB92_3 Depth=1
	s_mov_b32 s36, s35
	s_mov_b32 s38, s35
	;; [unrolled: 1-line block ×3, first 2 shown]
	v_mov_b64_e32 v[14:15], s[36:37]
	v_mov_b64_e32 v[16:17], s[38:39]
	ds_store_b128 v2, v[14:17] offset:15840
	ds_store_b128 v2, v[14:17] offset:16368
	ds_load_b128 v[14:17], v2 offset:15856
	s_wait_dscnt 0x0
	ds_store_b128 v2, v[14:17] offset:16352
.LBB92_446:                             ;   in Loop: Header=BB92_3 Depth=1
	s_or_b32 exec_lo, exec_lo, s17
.LBB92_447:                             ;   in Loop: Header=BB92_3 Depth=1
	v_mov_b64_e32 v[14:15], 0
	s_mul_u64 s[16:17], s[54:55], s[34:35]
	s_wait_dscnt 0x0
	s_lshl_b64 s[16:17], s[16:17], 4
	s_barrier_signal -1
	s_add_nc_u64 s[38:39], s[48:49], s[16:17]
	s_barrier_wait -1
	v_mov_b64_e32 v[16:17], v[14:15]
	s_and_saveexec_b32 s16, s101
	s_cbranch_execz .LBB92_449
; %bb.448:                              ;   in Loop: Header=BB92_3 Depth=1
	v_lshl_add_u64 v[4:5], v[32:33], 4, s[38:39]
	global_load_b128 v[40:43], v[4:5], off
	s_wait_loadcnt 0x0
	v_mul_f64_e32 v[4:5], s[44:45], v[40:41]
	s_delay_alu instid0(VALU_DEP_1) | instskip(SKIP_1) | instid1(VALU_DEP_1)
	v_fma_f64 v[14:15], s[46:47], v[42:43], -v[4:5]
	v_mul_f64_e32 v[4:5], s[44:45], v[42:43]
	v_fma_f64 v[16:17], v[40:41], -s[46:47], -v[4:5]
.LBB92_449:                             ;   in Loop: Header=BB92_3 Depth=1
	s_or_b32 exec_lo, exec_lo, s16
	s_delay_alu instid0(SALU_CYCLE_1)
	s_and_not1_b32 vcc_lo, exec_lo, s102
	s_cbranch_vccnz .LBB92_472
; %bb.450:                              ;   in Loop: Header=BB92_3 Depth=1
	v_mov_b32_e32 v23, -1
	s_lshl_b64 s[16:17], s[34:35], 2
	s_mov_b32 s36, 0
	s_add_nc_u64 s[60:61], s[50:51], s[16:17]
	s_branch .LBB92_453
.LBB92_451:                             ;   in Loop: Header=BB92_453 Depth=2
	ds_load_b128 v[204:207], v113 offset:256
	s_wait_loadcnt_dscnt 0x0
	v_mul_f64_e32 v[4:5], v[40:41], v[206:207]
	s_delay_alu instid0(VALU_DEP_1) | instskip(SKIP_1) | instid1(VALU_DEP_2)
	v_fma_f64 v[4:5], v[20:21], v[204:205], -v[4:5]
	v_mul_f64_e32 v[20:21], v[20:21], v[206:207]
	v_add_f64_e32 v[14:15], v[14:15], v[4:5]
	s_delay_alu instid0(VALU_DEP_2) | instskip(NEXT) | instid1(VALU_DEP_1)
	v_fmac_f64_e32 v[20:21], v[40:41], v[204:205]
	v_add_f64_e32 v[16:17], v[16:17], v[20:21]
.LBB92_452:                             ;   in Loop: Header=BB92_453 Depth=2
	s_or_b32 exec_lo, exec_lo, s17
	s_add_co_i32 s36, s36, 1
	s_delay_alu instid0(SALU_CYCLE_1)
	s_cmp_eq_u32 s36, s62
	s_cbranch_scc1 .LBB92_472
.LBB92_453:                             ;   Parent Loop BB92_3 Depth=1
                                        ; =>  This Loop Header: Depth=2
                                        ;       Child Loop BB92_455 Depth 3
	v_cmp_gt_i32_e32 vcc_lo, s36, v23
	s_and_b32 s17, s30, vcc_lo
	s_delay_alu instid0(SALU_CYCLE_1)
	s_and_saveexec_b32 s16, s17
	s_cbranch_execz .LBB92_456
; %bb.454:                              ;   in Loop: Header=BB92_453 Depth=2
	global_load_b32 v23, v2, s[60:61]
	s_wait_loadcnt 0x0
	v_cmp_le_i32_e32 vcc_lo, s36, v23
	s_cbranch_vccnz .LBB92_456
.LBB92_455:                             ;   Parent Loop BB92_3 Depth=1
                                        ;     Parent Loop BB92_453 Depth=2
                                        ; =>    This Inner Loop Header: Depth=3
	global_wb scope:SCOPE_DEV
	s_wait_storecnt 0x0
	global_inv scope:SCOPE_DEV
	global_load_b32 v23, v2, s[60:61]
	s_wait_loadcnt 0x0
	v_cmp_gt_i32_e32 vcc_lo, s36, v23
	s_cbranch_vccnz .LBB92_455
.LBB92_456:                             ;   in Loop: Header=BB92_453 Depth=2
	s_or_b32 exec_lo, exec_lo, s16
	s_sub_co_i32 s17, s63, s36
	global_wb scope:SCOPE_DEV
	s_wait_storecnt 0x0
	global_inv scope:SCOPE_DEV
	s_lshl_b32 s16, s17, 5
	s_wait_loadcnt 0x0
	s_barrier_signal -1
	s_barrier_wait -1
	s_and_saveexec_b32 s22, s31
	s_cbranch_execz .LBB92_461
; %bb.457:                              ;   in Loop: Header=BB92_453 Depth=2
	s_ashr_i32 vcc_lo, s16, 31
	s_delay_alu instid0(SALU_CYCLE_1) | instskip(NEXT) | instid1(VALU_DEP_1)
	v_dual_mov_b32 v5, vcc_lo :: v_dual_bitop2_b32 v4, s16, v26 bitop3:0x54
	v_cmp_le_i64_e32 vcc_lo, s[56:57], v[4:5]
	s_and_saveexec_b32 s23, vcc_lo
	s_delay_alu instid0(SALU_CYCLE_1)
	s_xor_b32 vcc_lo, exec_lo, s23
; %bb.458:                              ;   in Loop: Header=BB92_453 Depth=2
	v_dual_mov_b32 v3, v2 :: v_dual_mov_b32 v4, v2
	v_mov_b32_e32 v5, v2
	ds_store_b128 v177, v[2:5]
                                        ; implicit-def: $vgpr4_vgpr5
; %bb.459:                              ;   in Loop: Header=BB92_453 Depth=2
	s_and_not1_saveexec_b32 s23, vcc_lo
	s_cbranch_execz .LBB92_461
; %bb.460:                              ;   in Loop: Header=BB92_453 Depth=2
	v_mul_u64_e32 v[4:5], s[52:53], v[4:5]
	s_delay_alu instid0(VALU_DEP_1)
	v_lshl_add_u64 v[4:5], v[4:5], 4, s[38:39]
	global_load_b128 v[40:43], v[4:5], off
	s_wait_loadcnt 0x0
	ds_store_2addr_b64 v177, v[40:41], v[42:43] offset1:1
.LBB92_461:                             ;   in Loop: Header=BB92_453 Depth=2
	s_or_b32 exec_lo, exec_lo, s22
	v_add_nc_u32_e32 v20, s16, v22
	s_cmp_lg_u32 s17, s103
	s_wait_dscnt 0x0
	s_cselect_b32 s16, -1, 0
	s_barrier_signal -1
	v_ashrrev_i32_e32 v21, 31, v20
	v_cmp_gt_i32_e32 vcc_lo, s56, v20
	v_cndmask_b32_e64 v3, 0, 1, s16
	s_barrier_wait -1
	s_delay_alu instid0(VALU_DEP_3) | instskip(SKIP_1) | instid1(SALU_CYCLE_1)
	v_lshl_add_u64 v[4:5], v[20:21], 4, v[18:19]
	s_and_b32 s22, vcc_lo, s0
	s_and_saveexec_b32 s17, s22
	s_cbranch_execz .LBB92_467
; %bb.462:                              ;   in Loop: Header=BB92_453 Depth=2
	v_mov_b64_e32 v[40:41], v[6:7]
	s_and_not1_b32 vcc_lo, exec_lo, s16
	s_cbranch_vccnz .LBB92_464
; %bb.463:                              ;   in Loop: Header=BB92_453 Depth=2
	global_load_b64 v[40:41], v[4:5], off
.LBB92_464:                             ;   in Loop: Header=BB92_453 Depth=2
	v_cmp_ne_u32_e32 vcc_lo, 1, v3
	v_mov_b64_e32 v[42:43], v[8:9]
	s_cbranch_vccnz .LBB92_466
; %bb.465:                              ;   in Loop: Header=BB92_453 Depth=2
	global_load_b64 v[42:43], v[4:5], off offset:8
.LBB92_466:                             ;   in Loop: Header=BB92_453 Depth=2
	ds_load_b128 v[204:207], v113
	s_wait_loadcnt_dscnt 0x0
	v_mul_f64_e32 v[208:209], v[42:43], v[206:207]
	s_delay_alu instid0(VALU_DEP_1) | instskip(SKIP_1) | instid1(VALU_DEP_2)
	v_fma_f64 v[208:209], v[40:41], v[204:205], -v[208:209]
	v_mul_f64_e32 v[40:41], v[40:41], v[206:207]
	v_add_f64_e32 v[14:15], v[14:15], v[208:209]
	s_delay_alu instid0(VALU_DEP_2) | instskip(NEXT) | instid1(VALU_DEP_1)
	v_fmac_f64_e32 v[40:41], v[42:43], v[204:205]
	v_add_f64_e32 v[16:17], v[16:17], v[40:41]
.LBB92_467:                             ;   in Loop: Header=BB92_453 Depth=2
	s_or_b32 exec_lo, exec_lo, s17
	v_add_nc_u32_e32 v20, 16, v20
	s_delay_alu instid0(VALU_DEP_1) | instskip(SKIP_1) | instid1(SALU_CYCLE_1)
	v_cmp_gt_i32_e32 vcc_lo, s56, v20
	s_and_b32 s16, vcc_lo, s0
	s_and_saveexec_b32 s17, s16
	s_cbranch_execz .LBB92_452
; %bb.468:                              ;   in Loop: Header=BB92_453 Depth=2
	v_cmp_ne_u32_e32 vcc_lo, 1, v3
	v_mov_b64_e32 v[20:21], v[10:11]
	s_cbranch_vccnz .LBB92_470
; %bb.469:                              ;   in Loop: Header=BB92_453 Depth=2
	global_load_b64 v[20:21], v[4:5], off offset:256
.LBB92_470:                             ;   in Loop: Header=BB92_453 Depth=2
	v_cmp_ne_u32_e32 vcc_lo, 1, v3
	v_mov_b64_e32 v[40:41], v[12:13]
	s_cbranch_vccnz .LBB92_451
; %bb.471:                              ;   in Loop: Header=BB92_453 Depth=2
	global_load_b64 v[40:41], v[4:5], off offset:264
	s_branch .LBB92_451
.LBB92_472:                             ;   in Loop: Header=BB92_3 Depth=1
	ds_store_b128 v178, v[14:17]
	s_wait_dscnt 0x0
	s_barrier_signal -1
	s_barrier_wait -1
	s_and_saveexec_b32 s36, s3
	s_cbranch_execz .LBB92_474
; %bb.473:                              ;   in Loop: Header=BB92_3 Depth=1
	ds_load_b128 v[18:21], v179 offset:512
	s_wait_dscnt 0x0
	v_add_f64_e32 v[4:5], v[14:15], v[18:19]
	v_add_f64_e32 v[18:19], v[16:17], v[20:21]
	ds_load_b128 v[14:17], v179 offset:1024
	s_wait_dscnt 0x0
	v_add_f64_e32 v[4:5], v[4:5], v[14:15]
	v_add_f64_e32 v[18:19], v[18:19], v[16:17]
	;; [unrolled: 4-line block ×15, first 2 shown]
	s_delay_alu instid0(VALU_DEP_2) | instskip(NEXT) | instid1(VALU_DEP_2)
	v_xor_b32_e32 v3, 0x80000000, v5
	v_xor_b32_e32 v5, 0x80000000, v17
	s_delay_alu instid0(VALU_DEP_4) | instskip(NEXT) | instid1(VALU_DEP_4)
	v_cndmask_b32_e64 v14, v4, 0, s98
	v_cndmask_b32_e64 v16, v16, 0, s98
	s_delay_alu instid0(VALU_DEP_4) | instskip(NEXT) | instid1(VALU_DEP_4)
	v_cndmask_b32_e64 v15, v3, 0, s98
	v_cndmask_b32_e64 v17, v5, 0, s98
.LBB92_474:                             ;   in Loop: Header=BB92_3 Depth=1
	s_or_b32 exec_lo, exec_lo, s36
	s_delay_alu instid0(SALU_CYCLE_1)
	s_and_not1_b32 vcc_lo, exec_lo, s66
	s_cbranch_vccnz .LBB92_483
; %bb.475:                              ;   in Loop: Header=BB92_3 Depth=1
	s_and_saveexec_b32 s16, s3
; %bb.476:                              ;   in Loop: Header=BB92_3 Depth=1
	ds_store_b128 v180, v[14:17]
; %bb.477:                              ;   in Loop: Header=BB92_3 Depth=1
	s_or_b32 exec_lo, exec_lo, s16
	v_mov_b64_e32 v[18:19], 0
	v_mov_b64_e32 v[20:21], 0
	s_wait_dscnt 0x0
	s_barrier_signal -1
	s_barrier_wait -1
	s_and_saveexec_b32 s16, s1
	s_cbranch_execz .LBB92_479
; %bb.478:                              ;   in Loop: Header=BB92_3 Depth=1
	ds_load_b128 v[18:21], v113
	ds_load_b128 v[40:43], v198
	s_wait_dscnt 0x0
	v_mul_f64_e32 v[4:5], v[20:21], v[42:43]
	v_mul_f64_e32 v[42:43], v[18:19], v[42:43]
	s_delay_alu instid0(VALU_DEP_2) | instskip(NEXT) | instid1(VALU_DEP_2)
	v_fma_f64 v[4:5], v[18:19], v[40:41], -v[4:5]
	v_fmac_f64_e32 v[42:43], v[20:21], v[40:41]
	s_delay_alu instid0(VALU_DEP_2) | instskip(NEXT) | instid1(VALU_DEP_2)
	v_add_f64_e32 v[18:19], 0, v[4:5]
	v_add_f64_e32 v[20:21], 0, v[42:43]
.LBB92_479:                             ;   in Loop: Header=BB92_3 Depth=1
	s_or_b32 exec_lo, exec_lo, s16
	s_and_saveexec_b32 s16, s7
	s_cbranch_execz .LBB92_481
; %bb.480:                              ;   in Loop: Header=BB92_3 Depth=1
	ds_load_b128 v[40:43], v113 offset:256
	ds_load_b128 v[204:207], v198 offset:8192
	s_wait_dscnt 0x0
	v_mul_f64_e32 v[4:5], v[42:43], v[206:207]
	s_delay_alu instid0(VALU_DEP_1) | instskip(SKIP_1) | instid1(VALU_DEP_2)
	v_fma_f64 v[4:5], v[40:41], v[204:205], -v[4:5]
	v_mul_f64_e32 v[40:41], v[40:41], v[206:207]
	v_add_f64_e32 v[18:19], v[18:19], v[4:5]
	s_delay_alu instid0(VALU_DEP_2) | instskip(NEXT) | instid1(VALU_DEP_1)
	v_fmac_f64_e32 v[40:41], v[42:43], v[204:205]
	v_add_f64_e32 v[20:21], v[20:21], v[40:41]
.LBB92_481:                             ;   in Loop: Header=BB92_3 Depth=1
	s_or_b32 exec_lo, exec_lo, s16
	s_mov_b32 s60, 0
	s_mov_b32 s36, 0
	ds_store_b128 v178, v[18:21]
	s_wait_dscnt 0x0
	s_barrier_signal -1
	s_barrier_wait -1
                                        ; implicit-def: $vgpr4_vgpr5
                                        ; implicit-def: $vgpr40_vgpr41
	s_and_saveexec_b32 s61, s3
	s_cbranch_execz .LBB92_514
; %bb.482:                              ;   in Loop: Header=BB92_3 Depth=1
	ds_load_b128 v[40:43], v179 offset:512
	s_mov_b32 s36, exec_lo
	s_wait_dscnt 0x0
	v_add_f64_e32 v[4:5], v[18:19], v[40:41]
	v_add_f64_e32 v[40:41], v[20:21], v[42:43]
	ds_load_b128 v[18:21], v179 offset:1024
	s_wait_dscnt 0x0
	v_add_f64_e32 v[4:5], v[4:5], v[18:19]
	v_add_f64_e32 v[40:41], v[40:41], v[20:21]
	ds_load_b128 v[18:21], v179 offset:1536
	;; [unrolled: 4-line block ×14, first 2 shown]
	s_wait_dscnt 0x0
	v_add_f64_e32 v[40:41], v[4:5], v[18:19]
	v_add_f64_e32 v[4:5], v[42:43], v[20:21]
	s_or_b32 exec_lo, exec_lo, s61
	s_delay_alu instid0(SALU_CYCLE_1)
	s_and_b32 vcc_lo, exec_lo, s60
	s_cbranch_vccnz .LBB92_484
	s_branch .LBB92_515
.LBB92_483:                             ;   in Loop: Header=BB92_3 Depth=1
	s_mov_b32 s36, 0
                                        ; implicit-def: $vgpr4_vgpr5
                                        ; implicit-def: $vgpr40_vgpr41
	s_cbranch_execz .LBB92_515
.LBB92_484:                             ;   in Loop: Header=BB92_3 Depth=1
	v_dual_mov_b32 v3, v202 :: v_dual_mov_b32 v4, v201
	s_mov_b32 s60, 31
	s_branch .LBB92_486
.LBB92_485:                             ;   in Loop: Header=BB92_486 Depth=2
	s_or_b32 exec_lo, exec_lo, s16
	v_add_nc_u32_e32 v4, 0xfffffc00, v4
	v_add_nc_u32_e32 v3, 2, v3
	s_add_co_i32 s60, s60, -2
	s_cmp_lg_u32 s61, 0
	s_barrier_signal -1
	s_barrier_wait -1
	s_cbranch_scc0 .LBB92_494
.LBB92_486:                             ;   Parent Loop BB92_3 Depth=1
                                        ; =>  This Inner Loop Header: Depth=2
	s_delay_alu instid0(VALU_DEP_1) | instskip(SKIP_1) | instid1(SALU_CYCLE_1)
	v_cmp_eq_u32_e32 vcc_lo, 0, v3
	s_and_b32 s17, s3, vcc_lo
	s_and_saveexec_b32 s16, s17
; %bb.487:                              ;   in Loop: Header=BB92_486 Depth=2
	ds_store_b128 v2, v[14:17] offset:25088
; %bb.488:                              ;   in Loop: Header=BB92_486 Depth=2
	s_or_b32 exec_lo, exec_lo, s16
	v_cmp_gt_u32_e32 vcc_lo, s60, v24
	s_wait_dscnt 0x0
	s_barrier_signal -1
	s_barrier_wait -1
	s_and_b32 s17, s3, vcc_lo
	s_delay_alu instid0(SALU_CYCLE_1)
	s_and_saveexec_b32 s16, s17
	s_cbranch_execz .LBB92_490
; %bb.489:                              ;   in Loop: Header=BB92_486 Depth=2
	ds_load_b128 v[18:21], v2 offset:25088
	ds_load_b128 v[40:43], v4 offset:512
	s_wait_dscnt 0x0
	v_mul_f64_e32 v[204:205], v[20:21], v[42:43]
	s_delay_alu instid0(VALU_DEP_1) | instskip(SKIP_1) | instid1(VALU_DEP_2)
	v_fma_f64 v[204:205], v[18:19], v[40:41], -v[204:205]
	v_mul_f64_e32 v[18:19], v[18:19], v[42:43]
	v_add_f64_e32 v[14:15], v[14:15], v[204:205]
	s_delay_alu instid0(VALU_DEP_2) | instskip(NEXT) | instid1(VALU_DEP_1)
	v_fmac_f64_e32 v[18:19], v[20:21], v[40:41]
	v_add_f64_e32 v[16:17], v[16:17], v[18:19]
.LBB92_490:                             ;   in Loop: Header=BB92_486 Depth=2
	s_or_b32 exec_lo, exec_lo, s16
	s_add_co_i32 s61, s60, -1
	s_delay_alu instid0(SALU_CYCLE_1) | instskip(SKIP_3) | instid1(SALU_CYCLE_1)
	v_cmp_eq_u32_e32 vcc_lo, s61, v24
	s_barrier_signal -1
	s_barrier_wait -1
	s_and_b32 s17, s3, vcc_lo
	s_and_saveexec_b32 s16, s17
; %bb.491:                              ;   in Loop: Header=BB92_486 Depth=2
	ds_store_b128 v2, v[14:17] offset:25088
; %bb.492:                              ;   in Loop: Header=BB92_486 Depth=2
	s_or_b32 exec_lo, exec_lo, s16
	v_cmp_gt_u32_e32 vcc_lo, s61, v24
	s_wait_dscnt 0x0
	s_barrier_signal -1
	s_barrier_wait -1
	s_and_b32 s17, s3, vcc_lo
	s_delay_alu instid0(SALU_CYCLE_1)
	s_and_saveexec_b32 s16, s17
	s_cbranch_execz .LBB92_485
; %bb.493:                              ;   in Loop: Header=BB92_486 Depth=2
	ds_load_b128 v[18:21], v2 offset:25088
	ds_load_b128 v[40:43], v4
	s_wait_dscnt 0x0
	v_mul_f64_e32 v[204:205], v[20:21], v[42:43]
	s_delay_alu instid0(VALU_DEP_1) | instskip(SKIP_1) | instid1(VALU_DEP_2)
	v_fma_f64 v[204:205], v[18:19], v[40:41], -v[204:205]
	v_mul_f64_e32 v[18:19], v[18:19], v[42:43]
	v_add_f64_e32 v[14:15], v[14:15], v[204:205]
	s_delay_alu instid0(VALU_DEP_2) | instskip(NEXT) | instid1(VALU_DEP_1)
	v_fmac_f64_e32 v[18:19], v[20:21], v[40:41]
	v_add_f64_e32 v[16:17], v[16:17], v[18:19]
	s_branch .LBB92_485
.LBB92_494:                             ;   in Loop: Header=BB92_3 Depth=1
	s_and_b32 vcc_lo, exec_lo, s64
	s_mov_b32 s16, -1
	s_cbranch_vccnz .LBB92_516
; %bb.495:                              ;   in Loop: Header=BB92_3 Depth=1
	s_and_not1_b32 vcc_lo, exec_lo, s16
	s_cbranch_vccz .LBB92_517
.LBB92_496:                             ;   in Loop: Header=BB92_3 Depth=1
	s_and_saveexec_b32 s16, s36
	s_cbranch_execz .LBB92_498
.LBB92_497:                             ;   in Loop: Header=BB92_3 Depth=1
	v_lshl_add_u64 v[4:5], v[0:1], 4, s[38:39]
	global_store_b128 v[4:5], v[14:17], off
.LBB92_498:                             ;   in Loop: Header=BB92_3 Depth=1
	s_wait_xcnt 0x0
	s_or_b32 exec_lo, exec_lo, s16
	global_wb scope:SCOPE_DEV
	s_wait_storecnt 0x0
	global_inv scope:SCOPE_DEV
	s_wait_loadcnt 0x0
	s_barrier_signal -1
	s_barrier_wait -1
	s_and_saveexec_b32 s16, s30
	s_cbranch_execz .LBB92_2
; %bb.499:                              ;   in Loop: Header=BB92_3 Depth=1
	s_lshl_b64 s[38:39], s[34:35], 2
	s_delay_alu instid0(SALU_CYCLE_1)
	s_add_nc_u64 s[38:39], s[50:51], s[38:39]
	global_load_b32 v3, v2, s[38:39]
	s_wait_loadcnt 0x0
	v_add_nc_u32_e32 v3, 1, v3
	global_store_b32 v2, v3, s[38:39]
	s_branch .LBB92_2
.LBB92_500:                             ;   in Loop: Header=BB92_3 Depth=1
	s_and_saveexec_b32 s17, s28
; %bb.501:                              ;   in Loop: Header=BB92_3 Depth=1
	v_dual_mov_b32 v3, v2 :: v_dual_mov_b32 v4, v2
	v_mov_b32_e32 v5, v2
	ds_store_b128 v199, v[2:5]
; %bb.502:                              ;   in Loop: Header=BB92_3 Depth=1
	s_or_b32 exec_lo, exec_lo, s17
	s_and_not1_saveexec_b32 s16, s16
	s_cbranch_execz .LBB92_12
.LBB92_503:                             ;   in Loop: Header=BB92_3 Depth=1
	v_lshl_add_u64 v[4:5], v[38:39], 4, v[14:15]
	global_load_b128 v[40:43], v[4:5], off
	s_wait_loadcnt 0x0
	v_xor_b32_e32 v41, 0x80000000, v41
	v_xor_b32_e32 v43, 0x80000000, v43
	ds_store_b128 v199, v[40:43]
	s_or_b32 exec_lo, exec_lo, s16
	s_and_saveexec_b32 s16, s7
	s_delay_alu instid0(SALU_CYCLE_1)
	s_xor_b32 s16, exec_lo, s16
	s_cbranch_execz .LBB92_13
.LBB92_504:                             ;   in Loop: Header=BB92_3 Depth=1
	s_and_saveexec_b32 s17, s29
; %bb.505:                              ;   in Loop: Header=BB92_3 Depth=1
	v_dual_mov_b32 v3, v2 :: v_dual_mov_b32 v4, v2
	v_mov_b32_e32 v5, v2
	ds_store_b128 v200, v[2:5]
; %bb.506:                              ;   in Loop: Header=BB92_3 Depth=1
	s_or_b32 exec_lo, exec_lo, s17
	s_and_not1_saveexec_b32 s16, s16
	s_cbranch_execnz .LBB92_14
	s_branch .LBB92_15
.LBB92_507:                             ;   in Loop: Header=BB92_3 Depth=1
	s_and_saveexec_b32 s17, s28
; %bb.508:                              ;   in Loop: Header=BB92_3 Depth=1
	v_dual_mov_b32 v3, v2 :: v_dual_mov_b32 v4, v2
	v_mov_b32_e32 v5, v2
	ds_store_b128 v196, v[2:5]
; %bb.509:                              ;   in Loop: Header=BB92_3 Depth=1
	s_or_b32 exec_lo, exec_lo, s17
	s_and_not1_saveexec_b32 s16, s16
	s_cbranch_execz .LBB92_19
.LBB92_510:                             ;   in Loop: Header=BB92_3 Depth=1
	v_lshl_add_u64 v[4:5], v[38:39], 4, v[14:15]
	global_load_b128 v[40:43], v[4:5], off
	s_wait_loadcnt 0x0
	v_xor_b32_e32 v41, 0x80000000, v41
	v_xor_b32_e32 v43, 0x80000000, v43
	ds_store_b128 v196, v[40:43]
	s_or_b32 exec_lo, exec_lo, s16
	s_and_saveexec_b32 s16, s21
	s_delay_alu instid0(SALU_CYCLE_1)
	s_xor_b32 s16, exec_lo, s16
	s_cbranch_execz .LBB92_20
.LBB92_511:                             ;   in Loop: Header=BB92_3 Depth=1
	s_and_saveexec_b32 s17, s29
; %bb.512:                              ;   in Loop: Header=BB92_3 Depth=1
	v_dual_mov_b32 v3, v2 :: v_dual_mov_b32 v4, v2
	v_mov_b32_e32 v5, v2
	ds_store_b128 v200, v[2:5]
; %bb.513:                              ;   in Loop: Header=BB92_3 Depth=1
	s_or_b32 exec_lo, exec_lo, s17
                                        ; implicit-def: $vgpr14_vgpr15
	s_and_not1_saveexec_b32 s16, s16
	s_cbranch_execnz .LBB92_21
	s_branch .LBB92_22
.LBB92_514:                             ;   in Loop: Header=BB92_3 Depth=1
	s_or_b32 exec_lo, exec_lo, s61
	s_delay_alu instid0(SALU_CYCLE_1)
	s_and_b32 vcc_lo, exec_lo, s60
	s_cbranch_vccnz .LBB92_484
.LBB92_515:                             ;   in Loop: Header=BB92_3 Depth=1
	s_delay_alu instid0(VALU_DEP_1) | instskip(NEXT) | instid1(VALU_DEP_3)
	v_mov_b64_e32 v[16:17], v[4:5]
	v_mov_b64_e32 v[14:15], v[40:41]
	s_and_saveexec_b32 s16, s36
	s_cbranch_execnz .LBB92_497
	s_branch .LBB92_498
.LBB92_516:                             ;   in Loop: Header=BB92_3 Depth=1
	s_and_not1_b32 s17, s36, exec_lo
	s_and_b32 s22, s3, exec_lo
	s_delay_alu instid0(SALU_CYCLE_1)
	s_or_b32 s36, s17, s22
	s_cbranch_execnz .LBB92_496
.LBB92_517:                             ;   in Loop: Header=BB92_3 Depth=1
	v_readlane_b32 s17, v203, 19
	s_and_not1_b32 s16, s36, exec_lo
	s_and_b32 s17, s17, exec_lo
	s_delay_alu instid0(SALU_CYCLE_1) | instskip(NEXT) | instid1(SALU_CYCLE_1)
	s_or_b32 s36, s16, s17
	s_and_saveexec_b32 s16, s36
	s_cbranch_execnz .LBB92_497
	s_branch .LBB92_498
.LBB92_518:                             ;   in Loop: Header=BB92_3 Depth=1
	ds_load_b128 v[40:43], v46 offset:16
	ds_load_b128 v[204:207], v187 offset:576
	s_wait_dscnt 0x0
	v_mul_f64_e32 v[4:5], v[42:43], v[206:207]
	v_mul_f64_e32 v[20:21], v[40:41], v[206:207]
	s_delay_alu instid0(VALU_DEP_2) | instskip(NEXT) | instid1(VALU_DEP_2)
	v_fma_f64 v[4:5], v[40:41], v[204:205], -v[4:5]
	v_fmac_f64_e32 v[20:21], v[42:43], v[204:205]
	s_delay_alu instid0(VALU_DEP_2) | instskip(NEXT) | instid1(VALU_DEP_2)
	v_add_f64_e32 v[14:15], v[14:15], v[4:5]
	v_add_f64_e32 v[16:17], v[16:17], v[20:21]
	s_or_b32 exec_lo, exec_lo, s16
	s_and_saveexec_b32 s16, s10
	s_cbranch_execz .LBB92_45
.LBB92_519:                             ;   in Loop: Header=BB92_3 Depth=1
	ds_load_b128 v[40:43], v46 offset:32
	ds_load_b128 v[204:207], v186 offset:1088
	s_wait_dscnt 0x0
	v_mul_f64_e32 v[4:5], v[42:43], v[206:207]
	v_mul_f64_e32 v[20:21], v[40:41], v[206:207]
	s_delay_alu instid0(VALU_DEP_2) | instskip(NEXT) | instid1(VALU_DEP_2)
	v_fma_f64 v[4:5], v[40:41], v[204:205], -v[4:5]
	v_fmac_f64_e32 v[20:21], v[42:43], v[204:205]
	s_delay_alu instid0(VALU_DEP_2) | instskip(NEXT) | instid1(VALU_DEP_2)
	v_add_f64_e32 v[14:15], v[14:15], v[4:5]
	v_add_f64_e32 v[16:17], v[16:17], v[20:21]
	s_or_b32 exec_lo, exec_lo, s16
	s_and_saveexec_b32 s16, s2
	s_cbranch_execnz .LBB92_46
	s_branch .LBB92_47
.LBB92_520:                             ;   in Loop: Header=BB92_3 Depth=1
	ds_load_b128 v[40:43], v47 offset:16
	ds_load_b128 v[204:207], v190 offset:640
	s_wait_dscnt 0x0
	v_mul_f64_e32 v[4:5], v[42:43], v[206:207]
	v_mul_f64_e32 v[20:21], v[40:41], v[206:207]
	s_delay_alu instid0(VALU_DEP_2) | instskip(NEXT) | instid1(VALU_DEP_2)
	v_fma_f64 v[4:5], v[40:41], v[204:205], -v[4:5]
	v_fmac_f64_e32 v[20:21], v[42:43], v[204:205]
	s_delay_alu instid0(VALU_DEP_2) | instskip(NEXT) | instid1(VALU_DEP_2)
	v_add_f64_e32 v[14:15], v[14:15], v[4:5]
	v_add_f64_e32 v[16:17], v[16:17], v[20:21]
	s_or_b32 exec_lo, exec_lo, s16
	s_and_saveexec_b32 s16, s12
	s_cbranch_execz .LBB92_87
.LBB92_521:                             ;   in Loop: Header=BB92_3 Depth=1
	ds_load_b128 v[40:43], v47 offset:32
	ds_load_b128 v[204:207], v190 offset:1152
	s_wait_dscnt 0x0
	v_mul_f64_e32 v[4:5], v[42:43], v[206:207]
	v_mul_f64_e32 v[20:21], v[40:41], v[206:207]
	s_delay_alu instid0(VALU_DEP_2) | instskip(NEXT) | instid1(VALU_DEP_2)
	v_fma_f64 v[4:5], v[40:41], v[204:205], -v[4:5]
	v_fmac_f64_e32 v[20:21], v[42:43], v[204:205]
	s_delay_alu instid0(VALU_DEP_2) | instskip(NEXT) | instid1(VALU_DEP_2)
	v_add_f64_e32 v[14:15], v[14:15], v[4:5]
	v_add_f64_e32 v[16:17], v[16:17], v[20:21]
	s_or_b32 exec_lo, exec_lo, s16
	s_and_saveexec_b32 s16, s13
	s_cbranch_execz .LBB92_88
.LBB92_522:                             ;   in Loop: Header=BB92_3 Depth=1
	ds_load_b128 v[40:43], v47 offset:48
	ds_load_b128 v[204:207], v190 offset:1664
	s_wait_dscnt 0x0
	v_mul_f64_e32 v[4:5], v[42:43], v[206:207]
	v_mul_f64_e32 v[20:21], v[40:41], v[206:207]
	s_delay_alu instid0(VALU_DEP_2) | instskip(NEXT) | instid1(VALU_DEP_2)
	v_fma_f64 v[4:5], v[40:41], v[204:205], -v[4:5]
	v_fmac_f64_e32 v[20:21], v[42:43], v[204:205]
	s_delay_alu instid0(VALU_DEP_2) | instskip(NEXT) | instid1(VALU_DEP_2)
	v_add_f64_e32 v[14:15], v[14:15], v[4:5]
	v_add_f64_e32 v[16:17], v[16:17], v[20:21]
	s_or_b32 exec_lo, exec_lo, s16
	s_and_saveexec_b32 s16, s14
	s_cbranch_execz .LBB92_89
.LBB92_523:                             ;   in Loop: Header=BB92_3 Depth=1
	ds_load_b128 v[40:43], v47 offset:64
	ds_load_b128 v[204:207], v189 offset:2176
	s_wait_dscnt 0x0
	v_mul_f64_e32 v[4:5], v[42:43], v[206:207]
	v_mul_f64_e32 v[20:21], v[40:41], v[206:207]
	s_delay_alu instid0(VALU_DEP_2) | instskip(NEXT) | instid1(VALU_DEP_2)
	v_fma_f64 v[4:5], v[40:41], v[204:205], -v[4:5]
	v_fmac_f64_e32 v[20:21], v[42:43], v[204:205]
	s_delay_alu instid0(VALU_DEP_2) | instskip(NEXT) | instid1(VALU_DEP_2)
	v_add_f64_e32 v[14:15], v[14:15], v[4:5]
	v_add_f64_e32 v[16:17], v[16:17], v[20:21]
	s_or_b32 exec_lo, exec_lo, s16
	s_and_saveexec_b32 s16, s15
	s_cbranch_execz .LBB92_90
.LBB92_524:                             ;   in Loop: Header=BB92_3 Depth=1
	ds_load_b128 v[40:43], v47 offset:80
	ds_load_b128 v[204:207], v190 offset:2688
	s_wait_dscnt 0x0
	v_mul_f64_e32 v[4:5], v[42:43], v[206:207]
	v_mul_f64_e32 v[20:21], v[40:41], v[206:207]
	s_delay_alu instid0(VALU_DEP_2) | instskip(NEXT) | instid1(VALU_DEP_2)
	v_fma_f64 v[4:5], v[40:41], v[204:205], -v[4:5]
	v_fmac_f64_e32 v[20:21], v[42:43], v[204:205]
	s_delay_alu instid0(VALU_DEP_2) | instskip(NEXT) | instid1(VALU_DEP_2)
	v_add_f64_e32 v[14:15], v[14:15], v[4:5]
	v_add_f64_e32 v[16:17], v[16:17], v[20:21]
	s_or_b32 exec_lo, exec_lo, s16
	s_and_saveexec_b32 s16, s4
	s_cbranch_execz .LBB92_91
.LBB92_525:                             ;   in Loop: Header=BB92_3 Depth=1
	ds_load_b128 v[40:43], v47 offset:96
	ds_load_b128 v[204:207], v189 offset:3200
	s_wait_dscnt 0x0
	v_mul_f64_e32 v[4:5], v[42:43], v[206:207]
	v_mul_f64_e32 v[20:21], v[40:41], v[206:207]
	s_delay_alu instid0(VALU_DEP_2) | instskip(NEXT) | instid1(VALU_DEP_2)
	v_fma_f64 v[4:5], v[40:41], v[204:205], -v[4:5]
	v_fmac_f64_e32 v[20:21], v[42:43], v[204:205]
	s_delay_alu instid0(VALU_DEP_2) | instskip(NEXT) | instid1(VALU_DEP_2)
	v_add_f64_e32 v[14:15], v[14:15], v[4:5]
	v_add_f64_e32 v[16:17], v[16:17], v[20:21]
	s_or_b32 exec_lo, exec_lo, s16
	s_and_saveexec_b32 s16, s10
	s_cbranch_execnz .LBB92_92
	s_branch .LBB92_93
.LBB92_526:                             ;   in Loop: Header=BB92_3 Depth=1
	ds_load_b128 v[40:43], v46 offset:4240
	ds_load_b128 v[204:207], v187 offset:4800
	s_wait_dscnt 0x0
	v_mul_f64_e32 v[4:5], v[42:43], v[206:207]
	v_mul_f64_e32 v[20:21], v[40:41], v[206:207]
	s_delay_alu instid0(VALU_DEP_2) | instskip(NEXT) | instid1(VALU_DEP_2)
	v_fma_f64 v[4:5], v[40:41], v[204:205], -v[4:5]
	v_fmac_f64_e32 v[20:21], v[42:43], v[204:205]
	s_delay_alu instid0(VALU_DEP_2) | instskip(NEXT) | instid1(VALU_DEP_2)
	v_add_f64_e32 v[14:15], v[14:15], v[4:5]
	v_add_f64_e32 v[16:17], v[16:17], v[20:21]
	s_or_b32 exec_lo, exec_lo, s16
	s_and_saveexec_b32 s16, s10
	s_cbranch_execz .LBB92_149
.LBB92_527:                             ;   in Loop: Header=BB92_3 Depth=1
	ds_load_b128 v[40:43], v46 offset:4256
	ds_load_b128 v[204:207], v186 offset:5312
	s_wait_dscnt 0x0
	v_mul_f64_e32 v[4:5], v[42:43], v[206:207]
	v_mul_f64_e32 v[20:21], v[40:41], v[206:207]
	s_delay_alu instid0(VALU_DEP_2) | instskip(NEXT) | instid1(VALU_DEP_2)
	v_fma_f64 v[4:5], v[40:41], v[204:205], -v[4:5]
	v_fmac_f64_e32 v[20:21], v[42:43], v[204:205]
	s_delay_alu instid0(VALU_DEP_2) | instskip(NEXT) | instid1(VALU_DEP_2)
	v_add_f64_e32 v[14:15], v[14:15], v[4:5]
	v_add_f64_e32 v[16:17], v[16:17], v[20:21]
	s_or_b32 exec_lo, exec_lo, s16
	s_and_saveexec_b32 s16, s2
	s_cbranch_execnz .LBB92_150
	s_branch .LBB92_151
.LBB92_528:                             ;   in Loop: Header=BB92_3 Depth=1
	ds_load_b128 v[40:43], v3 offset:176
	ds_load_b128 v[204:207], v154 offset:5888
	s_wait_dscnt 0x0
	v_mul_f64_e32 v[4:5], v[42:43], v[206:207]
	v_mul_f64_e32 v[20:21], v[40:41], v[206:207]
	s_delay_alu instid0(VALU_DEP_2) | instskip(NEXT) | instid1(VALU_DEP_2)
	v_fma_f64 v[4:5], v[40:41], v[204:205], -v[4:5]
	v_fmac_f64_e32 v[20:21], v[42:43], v[204:205]
	s_delay_alu instid0(VALU_DEP_2) | instskip(NEXT) | instid1(VALU_DEP_2)
	v_add_f64_e32 v[14:15], v[14:15], v[4:5]
	v_add_f64_e32 v[16:17], v[16:17], v[20:21]
	s_or_b32 exec_lo, exec_lo, s16
	s_and_saveexec_b32 s16, s5
	s_cbranch_execz .LBB92_211
.LBB92_529:                             ;   in Loop: Header=BB92_3 Depth=1
	ds_load_b128 v[40:43], v3 offset:192
	ds_load_b128 v[204:207], v154 offset:6400
	s_wait_dscnt 0x0
	v_mul_f64_e32 v[4:5], v[42:43], v[206:207]
	v_mul_f64_e32 v[20:21], v[40:41], v[206:207]
	s_delay_alu instid0(VALU_DEP_2) | instskip(NEXT) | instid1(VALU_DEP_2)
	v_fma_f64 v[4:5], v[40:41], v[204:205], -v[4:5]
	v_fmac_f64_e32 v[20:21], v[42:43], v[204:205]
	s_delay_alu instid0(VALU_DEP_2) | instskip(NEXT) | instid1(VALU_DEP_2)
	v_add_f64_e32 v[14:15], v[14:15], v[4:5]
	v_add_f64_e32 v[16:17], v[16:17], v[20:21]
	s_or_b32 exec_lo, exec_lo, s16
	s_and_saveexec_b32 s16, s12
	s_cbranch_execz .LBB92_212
.LBB92_530:                             ;   in Loop: Header=BB92_3 Depth=1
	ds_load_b128 v[40:43], v3 offset:208
	ds_load_b128 v[204:207], v154 offset:6912
	s_wait_dscnt 0x0
	v_mul_f64_e32 v[4:5], v[42:43], v[206:207]
	v_mul_f64_e32 v[20:21], v[40:41], v[206:207]
	s_delay_alu instid0(VALU_DEP_2) | instskip(NEXT) | instid1(VALU_DEP_2)
	v_fma_f64 v[4:5], v[40:41], v[204:205], -v[4:5]
	v_fmac_f64_e32 v[20:21], v[42:43], v[204:205]
	s_delay_alu instid0(VALU_DEP_2) | instskip(NEXT) | instid1(VALU_DEP_2)
	v_add_f64_e32 v[14:15], v[14:15], v[4:5]
	v_add_f64_e32 v[16:17], v[16:17], v[20:21]
	s_or_b32 exec_lo, exec_lo, s16
	s_and_saveexec_b32 s16, s14
	s_cbranch_execz .LBB92_213
.LBB92_531:                             ;   in Loop: Header=BB92_3 Depth=1
	ds_load_b128 v[40:43], v3 offset:224
	ds_load_b128 v[204:207], v154 offset:7424
	s_wait_dscnt 0x0
	v_mul_f64_e32 v[4:5], v[42:43], v[206:207]
	v_mul_f64_e32 v[20:21], v[40:41], v[206:207]
	s_delay_alu instid0(VALU_DEP_2) | instskip(NEXT) | instid1(VALU_DEP_2)
	v_fma_f64 v[4:5], v[40:41], v[204:205], -v[4:5]
	v_fmac_f64_e32 v[20:21], v[42:43], v[204:205]
	s_delay_alu instid0(VALU_DEP_2) | instskip(NEXT) | instid1(VALU_DEP_2)
	v_add_f64_e32 v[14:15], v[14:15], v[4:5]
	v_add_f64_e32 v[16:17], v[16:17], v[20:21]
	s_or_b32 exec_lo, exec_lo, s16
	s_and_saveexec_b32 s16, s4
	s_cbranch_execnz .LBB92_214
	s_branch .LBB92_215
.LBB92_532:                             ;   in Loop: Header=BB92_3 Depth=1
	ds_load_b128 v[40:43], v46 offset:8464
	ds_load_b128 v[204:207], v187 offset:9024
	s_wait_dscnt 0x0
	v_mul_f64_e32 v[4:5], v[42:43], v[206:207]
	v_mul_f64_e32 v[20:21], v[40:41], v[206:207]
	s_delay_alu instid0(VALU_DEP_2) | instskip(NEXT) | instid1(VALU_DEP_2)
	v_fma_f64 v[4:5], v[40:41], v[204:205], -v[4:5]
	v_fmac_f64_e32 v[20:21], v[42:43], v[204:205]
	s_delay_alu instid0(VALU_DEP_2) | instskip(NEXT) | instid1(VALU_DEP_2)
	v_add_f64_e32 v[14:15], v[14:15], v[4:5]
	v_add_f64_e32 v[16:17], v[16:17], v[20:21]
	s_or_b32 exec_lo, exec_lo, s16
	s_and_saveexec_b32 s16, s10
	s_cbranch_execz .LBB92_303
.LBB92_533:                             ;   in Loop: Header=BB92_3 Depth=1
	ds_load_b128 v[40:43], v46 offset:8480
	ds_load_b128 v[204:207], v186 offset:9536
	s_wait_dscnt 0x0
	v_mul_f64_e32 v[4:5], v[42:43], v[206:207]
	v_mul_f64_e32 v[20:21], v[40:41], v[206:207]
	s_delay_alu instid0(VALU_DEP_2) | instskip(NEXT) | instid1(VALU_DEP_2)
	v_fma_f64 v[4:5], v[40:41], v[204:205], -v[4:5]
	v_fmac_f64_e32 v[20:21], v[42:43], v[204:205]
	s_delay_alu instid0(VALU_DEP_2) | instskip(NEXT) | instid1(VALU_DEP_2)
	v_add_f64_e32 v[14:15], v[14:15], v[4:5]
	v_add_f64_e32 v[16:17], v[16:17], v[20:21]
	s_or_b32 exec_lo, exec_lo, s16
	s_and_saveexec_b32 s16, s2
	s_cbranch_execnz .LBB92_304
	s_branch .LBB92_305
.LBB92_534:                             ;   in Loop: Header=BB92_3 Depth=1
	ds_load_b128 v[40:43], v47 offset:8464
	ds_load_b128 v[204:207], v190 offset:9088
	s_wait_dscnt 0x0
	v_mul_f64_e32 v[4:5], v[42:43], v[206:207]
	v_mul_f64_e32 v[20:21], v[40:41], v[206:207]
	s_delay_alu instid0(VALU_DEP_2) | instskip(NEXT) | instid1(VALU_DEP_2)
	v_fma_f64 v[4:5], v[40:41], v[204:205], -v[4:5]
	v_fmac_f64_e32 v[20:21], v[42:43], v[204:205]
	s_delay_alu instid0(VALU_DEP_2) | instskip(NEXT) | instid1(VALU_DEP_2)
	v_add_f64_e32 v[14:15], v[14:15], v[4:5]
	v_add_f64_e32 v[16:17], v[16:17], v[20:21]
	s_or_b32 exec_lo, exec_lo, s16
	s_and_saveexec_b32 s16, s12
	s_cbranch_execz .LBB92_345
.LBB92_535:                             ;   in Loop: Header=BB92_3 Depth=1
	ds_load_b128 v[40:43], v47 offset:8480
	ds_load_b128 v[204:207], v190 offset:9600
	s_wait_dscnt 0x0
	v_mul_f64_e32 v[4:5], v[42:43], v[206:207]
	v_mul_f64_e32 v[20:21], v[40:41], v[206:207]
	s_delay_alu instid0(VALU_DEP_2) | instskip(NEXT) | instid1(VALU_DEP_2)
	v_fma_f64 v[4:5], v[40:41], v[204:205], -v[4:5]
	v_fmac_f64_e32 v[20:21], v[42:43], v[204:205]
	s_delay_alu instid0(VALU_DEP_2) | instskip(NEXT) | instid1(VALU_DEP_2)
	v_add_f64_e32 v[14:15], v[14:15], v[4:5]
	v_add_f64_e32 v[16:17], v[16:17], v[20:21]
	s_or_b32 exec_lo, exec_lo, s16
	s_and_saveexec_b32 s16, s13
	s_cbranch_execz .LBB92_346
.LBB92_536:                             ;   in Loop: Header=BB92_3 Depth=1
	ds_load_b128 v[40:43], v47 offset:8496
	ds_load_b128 v[204:207], v190 offset:10112
	s_wait_dscnt 0x0
	v_mul_f64_e32 v[4:5], v[42:43], v[206:207]
	v_mul_f64_e32 v[20:21], v[40:41], v[206:207]
	s_delay_alu instid0(VALU_DEP_2) | instskip(NEXT) | instid1(VALU_DEP_2)
	v_fma_f64 v[4:5], v[40:41], v[204:205], -v[4:5]
	v_fmac_f64_e32 v[20:21], v[42:43], v[204:205]
	s_delay_alu instid0(VALU_DEP_2) | instskip(NEXT) | instid1(VALU_DEP_2)
	v_add_f64_e32 v[14:15], v[14:15], v[4:5]
	v_add_f64_e32 v[16:17], v[16:17], v[20:21]
	s_or_b32 exec_lo, exec_lo, s16
	s_and_saveexec_b32 s16, s14
	s_cbranch_execz .LBB92_347
.LBB92_537:                             ;   in Loop: Header=BB92_3 Depth=1
	ds_load_b128 v[40:43], v47 offset:8512
	ds_load_b128 v[204:207], v189 offset:10624
	s_wait_dscnt 0x0
	v_mul_f64_e32 v[4:5], v[42:43], v[206:207]
	v_mul_f64_e32 v[20:21], v[40:41], v[206:207]
	s_delay_alu instid0(VALU_DEP_2) | instskip(NEXT) | instid1(VALU_DEP_2)
	v_fma_f64 v[4:5], v[40:41], v[204:205], -v[4:5]
	v_fmac_f64_e32 v[20:21], v[42:43], v[204:205]
	s_delay_alu instid0(VALU_DEP_2) | instskip(NEXT) | instid1(VALU_DEP_2)
	v_add_f64_e32 v[14:15], v[14:15], v[4:5]
	v_add_f64_e32 v[16:17], v[16:17], v[20:21]
	s_or_b32 exec_lo, exec_lo, s16
	s_and_saveexec_b32 s16, s15
	s_cbranch_execz .LBB92_348
.LBB92_538:                             ;   in Loop: Header=BB92_3 Depth=1
	ds_load_b128 v[40:43], v47 offset:8528
	ds_load_b128 v[204:207], v190 offset:11136
	s_wait_dscnt 0x0
	v_mul_f64_e32 v[4:5], v[42:43], v[206:207]
	v_mul_f64_e32 v[20:21], v[40:41], v[206:207]
	s_delay_alu instid0(VALU_DEP_2) | instskip(NEXT) | instid1(VALU_DEP_2)
	v_fma_f64 v[4:5], v[40:41], v[204:205], -v[4:5]
	v_fmac_f64_e32 v[20:21], v[42:43], v[204:205]
	s_delay_alu instid0(VALU_DEP_2) | instskip(NEXT) | instid1(VALU_DEP_2)
	v_add_f64_e32 v[14:15], v[14:15], v[4:5]
	v_add_f64_e32 v[16:17], v[16:17], v[20:21]
	s_or_b32 exec_lo, exec_lo, s16
	s_and_saveexec_b32 s16, s4
	s_cbranch_execz .LBB92_349
.LBB92_539:                             ;   in Loop: Header=BB92_3 Depth=1
	ds_load_b128 v[40:43], v47 offset:8544
	ds_load_b128 v[204:207], v189 offset:11648
	s_wait_dscnt 0x0
	v_mul_f64_e32 v[4:5], v[42:43], v[206:207]
	v_mul_f64_e32 v[20:21], v[40:41], v[206:207]
	s_delay_alu instid0(VALU_DEP_2) | instskip(NEXT) | instid1(VALU_DEP_2)
	v_fma_f64 v[4:5], v[40:41], v[204:205], -v[4:5]
	v_fmac_f64_e32 v[20:21], v[42:43], v[204:205]
	s_delay_alu instid0(VALU_DEP_2) | instskip(NEXT) | instid1(VALU_DEP_2)
	v_add_f64_e32 v[14:15], v[14:15], v[4:5]
	v_add_f64_e32 v[16:17], v[16:17], v[20:21]
	s_or_b32 exec_lo, exec_lo, s16
	s_and_saveexec_b32 s16, s10
	s_cbranch_execnz .LBB92_350
	s_branch .LBB92_351
.LBB92_540:                             ;   in Loop: Header=BB92_3 Depth=1
	ds_load_b128 v[40:43], v46 offset:12688
	ds_load_b128 v[204:207], v187 offset:13248
	s_wait_dscnt 0x0
	v_mul_f64_e32 v[4:5], v[42:43], v[206:207]
	v_mul_f64_e32 v[20:21], v[40:41], v[206:207]
	s_delay_alu instid0(VALU_DEP_2) | instskip(NEXT) | instid1(VALU_DEP_2)
	v_fma_f64 v[4:5], v[40:41], v[204:205], -v[4:5]
	v_fmac_f64_e32 v[20:21], v[42:43], v[204:205]
	s_delay_alu instid0(VALU_DEP_2) | instskip(NEXT) | instid1(VALU_DEP_2)
	v_add_f64_e32 v[14:15], v[14:15], v[4:5]
	v_add_f64_e32 v[16:17], v[16:17], v[20:21]
	s_or_b32 exec_lo, exec_lo, s16
	s_and_saveexec_b32 s16, s10
	s_cbranch_execz .LBB92_407
.LBB92_541:                             ;   in Loop: Header=BB92_3 Depth=1
	ds_load_b128 v[40:43], v46 offset:12704
	ds_load_b128 v[204:207], v186 offset:13760
	s_wait_dscnt 0x0
	v_mul_f64_e32 v[4:5], v[42:43], v[206:207]
	v_mul_f64_e32 v[20:21], v[40:41], v[206:207]
	s_delay_alu instid0(VALU_DEP_2) | instskip(NEXT) | instid1(VALU_DEP_2)
	v_fma_f64 v[4:5], v[40:41], v[204:205], -v[4:5]
	v_fmac_f64_e32 v[20:21], v[42:43], v[204:205]
	s_delay_alu instid0(VALU_DEP_2) | instskip(NEXT) | instid1(VALU_DEP_2)
	v_add_f64_e32 v[14:15], v[14:15], v[4:5]
	v_add_f64_e32 v[16:17], v[16:17], v[20:21]
	s_or_b32 exec_lo, exec_lo, s16
	s_and_saveexec_b32 s16, s2
	s_cbranch_execnz .LBB92_408
	s_branch .LBB92_409
.LBB92_542:
	s_endpgm
	.section	.rodata,"a",@progbits
	.p2align	6, 0x0
	.amdhsa_kernel _ZL19rocblas_trsv_deviceILi32ELi16ELb1ELb1ELb0ELb1E19rocblas_complex_numIdES1_PKS1_PS1_EviT7_lllT6_T8_lllPii
		.amdhsa_group_segment_fixed_size 25104
		.amdhsa_private_segment_fixed_size 0
		.amdhsa_kernarg_size 360
		.amdhsa_user_sgpr_count 2
		.amdhsa_user_sgpr_dispatch_ptr 0
		.amdhsa_user_sgpr_queue_ptr 0
		.amdhsa_user_sgpr_kernarg_segment_ptr 1
		.amdhsa_user_sgpr_dispatch_id 0
		.amdhsa_user_sgpr_kernarg_preload_length 0
		.amdhsa_user_sgpr_kernarg_preload_offset 0
		.amdhsa_user_sgpr_private_segment_size 0
		.amdhsa_wavefront_size32 1
		.amdhsa_uses_dynamic_stack 0
		.amdhsa_enable_private_segment 0
		.amdhsa_system_sgpr_workgroup_id_x 1
		.amdhsa_system_sgpr_workgroup_id_y 0
		.amdhsa_system_sgpr_workgroup_id_z 1
		.amdhsa_system_sgpr_workgroup_info 0
		.amdhsa_system_vgpr_workitem_id 1
		.amdhsa_next_free_vgpr 210
		.amdhsa_next_free_sgpr 105
		.amdhsa_named_barrier_count 0
		.amdhsa_reserve_vcc 1
		.amdhsa_float_round_mode_32 0
		.amdhsa_float_round_mode_16_64 0
		.amdhsa_float_denorm_mode_32 3
		.amdhsa_float_denorm_mode_16_64 3
		.amdhsa_fp16_overflow 0
		.amdhsa_memory_ordered 1
		.amdhsa_forward_progress 1
		.amdhsa_inst_pref_size 166
		.amdhsa_round_robin_scheduling 0
		.amdhsa_exception_fp_ieee_invalid_op 0
		.amdhsa_exception_fp_denorm_src 0
		.amdhsa_exception_fp_ieee_div_zero 0
		.amdhsa_exception_fp_ieee_overflow 0
		.amdhsa_exception_fp_ieee_underflow 0
		.amdhsa_exception_fp_ieee_inexact 0
		.amdhsa_exception_int_div_zero 0
	.end_amdhsa_kernel
	.section	.text._ZL19rocblas_trsv_deviceILi32ELi16ELb1ELb1ELb0ELb1E19rocblas_complex_numIdES1_PKS1_PS1_EviT7_lllT6_T8_lllPii,"axG",@progbits,_ZL19rocblas_trsv_deviceILi32ELi16ELb1ELb1ELb0ELb1E19rocblas_complex_numIdES1_PKS1_PS1_EviT7_lllT6_T8_lllPii,comdat
.Lfunc_end92:
	.size	_ZL19rocblas_trsv_deviceILi32ELi16ELb1ELb1ELb0ELb1E19rocblas_complex_numIdES1_PKS1_PS1_EviT7_lllT6_T8_lllPii, .Lfunc_end92-_ZL19rocblas_trsv_deviceILi32ELi16ELb1ELb1ELb0ELb1E19rocblas_complex_numIdES1_PKS1_PS1_EviT7_lllT6_T8_lllPii
                                        ; -- End function
	.set _ZL19rocblas_trsv_deviceILi32ELi16ELb1ELb1ELb0ELb1E19rocblas_complex_numIdES1_PKS1_PS1_EviT7_lllT6_T8_lllPii.num_vgpr, 210
	.set _ZL19rocblas_trsv_deviceILi32ELi16ELb1ELb1ELb0ELb1E19rocblas_complex_numIdES1_PKS1_PS1_EviT7_lllT6_T8_lllPii.num_agpr, 0
	.set _ZL19rocblas_trsv_deviceILi32ELi16ELb1ELb1ELb0ELb1E19rocblas_complex_numIdES1_PKS1_PS1_EviT7_lllT6_T8_lllPii.numbered_sgpr, 105
	.set _ZL19rocblas_trsv_deviceILi32ELi16ELb1ELb1ELb0ELb1E19rocblas_complex_numIdES1_PKS1_PS1_EviT7_lllT6_T8_lllPii.num_named_barrier, 0
	.set _ZL19rocblas_trsv_deviceILi32ELi16ELb1ELb1ELb0ELb1E19rocblas_complex_numIdES1_PKS1_PS1_EviT7_lllT6_T8_lllPii.private_seg_size, 0
	.set _ZL19rocblas_trsv_deviceILi32ELi16ELb1ELb1ELb0ELb1E19rocblas_complex_numIdES1_PKS1_PS1_EviT7_lllT6_T8_lllPii.uses_vcc, 1
	.set _ZL19rocblas_trsv_deviceILi32ELi16ELb1ELb1ELb0ELb1E19rocblas_complex_numIdES1_PKS1_PS1_EviT7_lllT6_T8_lllPii.uses_flat_scratch, 0
	.set _ZL19rocblas_trsv_deviceILi32ELi16ELb1ELb1ELb0ELb1E19rocblas_complex_numIdES1_PKS1_PS1_EviT7_lllT6_T8_lllPii.has_dyn_sized_stack, 0
	.set _ZL19rocblas_trsv_deviceILi32ELi16ELb1ELb1ELb0ELb1E19rocblas_complex_numIdES1_PKS1_PS1_EviT7_lllT6_T8_lllPii.has_recursion, 0
	.set _ZL19rocblas_trsv_deviceILi32ELi16ELb1ELb1ELb0ELb1E19rocblas_complex_numIdES1_PKS1_PS1_EviT7_lllT6_T8_lllPii.has_indirect_call, 0
	.section	.AMDGPU.csdata,"",@progbits
; Kernel info:
; codeLenInByte = 21152
; TotalNumSgprs: 107
; NumVgprs: 210
; ScratchSize: 0
; MemoryBound: 1
; FloatMode: 240
; IeeeMode: 1
; LDSByteSize: 25104 bytes/workgroup (compile time only)
; SGPRBlocks: 0
; VGPRBlocks: 13
; NumSGPRsForWavesPerEU: 107
; NumVGPRsForWavesPerEU: 210
; NamedBarCnt: 0
; Occupancy: 4
; WaveLimiterHint : 0
; COMPUTE_PGM_RSRC2:SCRATCH_EN: 0
; COMPUTE_PGM_RSRC2:USER_SGPR: 2
; COMPUTE_PGM_RSRC2:TRAP_HANDLER: 0
; COMPUTE_PGM_RSRC2:TGID_X_EN: 1
; COMPUTE_PGM_RSRC2:TGID_Y_EN: 0
; COMPUTE_PGM_RSRC2:TGID_Z_EN: 1
; COMPUTE_PGM_RSRC2:TIDIG_COMP_CNT: 1
	.section	.text._ZL19rocblas_trsv_deviceILi32ELi16ELb1ELb1ELb1ELb1E19rocblas_complex_numIdES1_PKS1_PS1_EviT7_lllT6_T8_lllPii,"axG",@progbits,_ZL19rocblas_trsv_deviceILi32ELi16ELb1ELb1ELb1ELb1E19rocblas_complex_numIdES1_PKS1_PS1_EviT7_lllT6_T8_lllPii,comdat
	.globl	_ZL19rocblas_trsv_deviceILi32ELi16ELb1ELb1ELb1ELb1E19rocblas_complex_numIdES1_PKS1_PS1_EviT7_lllT6_T8_lllPii ; -- Begin function _ZL19rocblas_trsv_deviceILi32ELi16ELb1ELb1ELb1ELb1E19rocblas_complex_numIdES1_PKS1_PS1_EviT7_lllT6_T8_lllPii
	.p2align	8
	.type	_ZL19rocblas_trsv_deviceILi32ELi16ELb1ELb1ELb1ELb1E19rocblas_complex_numIdES1_PKS1_PS1_EviT7_lllT6_T8_lllPii,@function
_ZL19rocblas_trsv_deviceILi32ELi16ELb1ELb1ELb1ELb1E19rocblas_complex_numIdES1_PKS1_PS1_EviT7_lllT6_T8_lllPii: ; @_ZL19rocblas_trsv_deviceILi32ELi16ELb1ELb1ELb1ELb1E19rocblas_complex_numIdES1_PKS1_PS1_EviT7_lllT6_T8_lllPii
; %bb.0:
	s_load_b32 s33, s[0:1], 0x60
	s_bfe_u32 s2, ttmp6, 0x40014
	s_lshr_b32 s3, ttmp7, 16
	s_add_co_i32 s2, s2, 1
	s_bfe_u32 s5, ttmp6, 0x40008
	s_mul_i32 s4, s3, s2
	s_getreg_b32 s2, hwreg(HW_REG_IB_STS2, 6, 4)
	s_add_co_i32 s5, s5, s4
	s_cmp_eq_u32 s2, 0
	s_mov_b32 s35, 0
	s_cselect_b32 s34, s3, s5
	s_wait_kmcnt 0x0
	s_cmp_ge_u32 s34, s33
	s_cbranch_scc1 .LBB93_542
; %bb.1:
	s_clause 0x3
	s_load_b512 s[36:51], s[0:1], 0x8
	s_load_b32 s3, s[0:1], 0x74
	s_load_b32 s63, s[0:1], 0x68
	;; [unrolled: 1-line block ×3, first 2 shown]
	s_bfe_u32 s5, ttmp6, 0x4000c
	s_and_b32 s4, ttmp6, 15
	s_add_co_i32 s5, s5, 1
	v_and_b32_e32 v24, 0x3ff, v0
	s_mul_i32 s5, ttmp9, s5
	v_mov_b32_e32 v2, 0
	s_add_co_i32 s4, s4, s5
	v_bfe_u32 v22, v0, 10, 10
	v_lshlrev_b32_e32 v1, 5, v24
	v_dual_lshrrev_b32 v16, 10, v0 :: v_dual_bitop2_b32 v15, 7, v0 bitop3:0x40
	s_delay_alu instid0(VALU_DEP_3) | instskip(SKIP_1) | instid1(VALU_DEP_4)
	v_dual_mov_b32 v27, v2 :: v_dual_add_nc_u32 v4, 16, v22
	v_lshl_add_u32 v3, v22, 5, v24
	v_add_nc_u32_e32 v6, v22, v1
	s_delay_alu instid0(VALU_DEP_4)
	v_cmp_lt_u32_e64 s8, 1, v15
	s_wait_kmcnt 0x0
	s_lshl_b64 s[14:15], s[38:39], 4
	s_lshl_b64 s[12:13], s[50:51], 4
	s_cmp_eq_u32 s2, 0
	v_add_nc_u32_e32 v7, v4, v1
	s_cselect_b32 s62, ttmp9, s4
	s_and_b32 s2, s3, 0xffff
	s_add_co_i32 s3, s56, -1
	s_ashr_i32 s57, s56, 31
	s_ashr_i32 s4, s3, 31
	s_lshr_b32 s5, s57, 27
	s_lshr_b32 s4, s4, 27
	s_add_co_i32 s5, s56, s5
	s_add_co_i32 s63, s63, -1
	s_add_co_i32 s3, s3, s4
	s_and_not1_b32 s5, s5, 31
	s_sub_co_i32 s103, s63, s62
	s_ashr_i32 s3, s3, 5
	s_sub_co_i32 s11, s56, s5
	s_cmp_eq_u32 s3, s103
	v_lshl_add_u32 v9, v4, 5, v24
	s_cselect_b32 s3, -1, 0
	s_cmp_lg_u32 s11, 0
	v_mad_u32_u24 v26, v22, s2, v24
	s_cselect_b32 s4, -1, 0
	v_cmp_gt_u32_e64 s2, 4, v3
	s_and_b32 s20, s4, s3
	v_cmp_eq_u32_e64 s3, 0, v22
	s_xor_b32 s64, s20, -1
	s_cmp_lg_u32 s62, 0
	v_cmp_gt_u32_e64 s5, 2, v24
	s_cselect_b32 s65, -1, 0
	s_lshl_b32 s18, s103, 5
	s_cmp_lt_i32 s62, 5
	v_and_b32_e32 v14, 3, v0
	s_cselect_b32 vcc_lo, -1, 0
	s_delay_alu instid0(SALU_CYCLE_1) | instskip(SKIP_1) | instid1(VALU_DEP_2)
	v_dual_cndmask_b32 v12, v3, v6, vcc_lo :: v_dual_bitop2_b32 v1, 1, v0 bitop3:0x40
	s_or_b32 vcc_lo, vcc_lo, s20
	v_cmp_eq_u32_e64 s6, 0, v14
	v_cndmask_b32_e32 v13, v9, v7, vcc_lo
	s_xor_b32 s66, vcc_lo, -1
	v_cmp_eq_u32_e32 vcc_lo, 1, v1
	v_cmp_eq_u32_e64 s7, 1, v14
	s_and_b32 s69, s3, s5
	v_cmp_lt_u32_e64 s5, 1, v14
	v_dual_lshrrev_b32 v17, 1, v3 :: v_dual_bitop2_b32 v6, 15, v0 bitop3:0x40
	s_xor_b32 s4, vcc_lo, -1
	s_and_b32 s68, vcc_lo, s2
	s_and_b32 s67, s4, s2
	v_cmp_gt_u32_e64 s4, 16, v3
	v_cmp_ne_u32_e32 vcc_lo, 0, v14
	v_cmp_eq_u32_e64 s9, 2, v15
                                        ; implicit-def: $vgpr203 : SGPR spill to VGPR lane
	v_cmp_lt_u32_e64 s10, 2, v6
	v_dual_add_nc_u32 v5, s18, v22 :: v_dual_add_nc_u32 v8, s18, v24
	s_and_b32 s70, s6, s4
	s_and_b32 s71, vcc_lo, s4
	v_cmp_eq_u32_e32 vcc_lo, 2, v14
	v_cmp_eq_u32_e64 s6, 3, v14
	s_and_b32 s72, s7, s4
	v_cmp_gt_u32_e64 s7, 4, v24
	s_and_b32 s73, s5, s4
	s_and_b32 s74, vcc_lo, s4
	s_and_b32 s75, s6, s4
	v_cmp_gt_u32_e64 s5, 64, v3
	v_cmp_eq_u32_e32 vcc_lo, 0, v15
	v_cmp_ne_u32_e64 s6, 0, v15
	s_and_b32 s76, s3, s7
	v_cmp_eq_u32_e64 s7, 1, v15
	s_and_b32 s80, s8, s5
	s_and_b32 s77, vcc_lo, s5
	s_and_b32 s78, s6, s5
	v_cmp_lt_u32_e32 vcc_lo, 2, v15
	v_cmp_eq_u32_e64 s6, 3, v15
	s_and_b32 s79, s7, s5
	v_cmp_lt_u32_e64 s7, 3, v15
	v_cmp_eq_u32_e64 s8, 4, v15
	s_and_b32 s82, vcc_lo, s5
	s_and_b32 s83, s6, s5
	v_cmp_eq_u32_e32 vcc_lo, 5, v15
	v_cmp_lt_u32_e64 s6, 5, v15
	s_and_b32 s84, s7, s5
	s_and_b32 s85, s8, s5
	v_cmp_eq_u32_e64 s7, 6, v15
	v_cmp_eq_u32_e64 s8, 7, v15
	s_and_b32 s87, vcc_lo, s5
	s_and_b32 s88, s6, s5
	v_cmp_gt_u32_e64 s6, 0x100, v3
	v_cmp_eq_u32_e32 vcc_lo, 0, v6
	s_and_b32 s89, s7, s5
	s_and_b32 s90, s8, s5
	v_cmp_ne_u32_e64 s7, 0, v6
	s_and_b32 s81, s9, s5
	s_and_b32 s8, vcc_lo, s6
	v_cmp_lt_u32_e64 s9, 4, v15
	v_writelane_b32 v203, s8, 0
	v_cmp_eq_u32_e32 vcc_lo, 1, v6
	s_and_b32 s7, s7, s6
	v_cmp_lt_u32_e64 s8, 1, v6
	s_and_b32 s86, s9, s5
	v_writelane_b32 v203, s7, 1
	v_cmp_gt_u32_e64 s9, 8, v24
	s_and_b32 s7, vcc_lo, s6
	v_cmp_eq_u32_e32 vcc_lo, 3, v6
	v_dual_lshlrev_b32 v25, 4, v24 :: v_dual_add_nc_u32 v28, 32, v5
	v_writelane_b32 v203, s7, 2
	s_and_b32 s91, s3, s9
	v_cmp_eq_u32_e64 s9, 2, v6
	s_and_b32 s7, s8, s6
	s_and_b32 s16, vcc_lo, s6
	v_writelane_b32 v203, s7, 3
	v_cmp_eq_u32_e64 s8, 4, v6
	s_and_b32 s7, s9, s6
	v_cmp_lt_u32_e64 s9, 4, v6
	v_cmp_lt_u32_e32 vcc_lo, 5, v6
	v_writelane_b32 v203, s7, 4
	s_and_b32 s7, s10, s6
	v_cmp_eq_u32_e64 s10, 5, v6
	v_mad_u32_u24 v18, 0x1f0, v24, v25
	s_ashr_i32 s19, s18, 31
	v_writelane_b32 v203, s7, 5
	v_cmp_lt_u32_e64 s7, 3, v6
	v_add_nc_u64_e32 v[10:11], s[18:19], v[26:27]
	v_mad_i32_i24 v44, 0xfffffe10, v24, v18
	v_dual_ashrrev_i32 v9, 31, v8 :: v_dual_lshrrev_b32 v19, 2, v3
	v_writelane_b32 v203, s16, 6
	s_and_b32 s7, s7, s6
	s_and_b32 s16, vcc_lo, s6
	v_cmp_eq_u32_e32 vcc_lo, 8, v6
	v_mad_u32_u24 v23, 0x1f0, v24, v44
	v_writelane_b32 v203, s7, 7
	s_and_b32 s7, s8, s6
	v_cmp_lt_u32_e64 s8, 6, v6
	v_dual_lshrrev_b32 v20, 3, v3 :: v_dual_add_nc_u32 v45, 32, v18
	v_writelane_b32 v203, s7, 8
	s_and_b32 s7, s9, s6
	v_cmp_eq_u32_e64 s9, 7, v6
	v_mad_i32_i24 v71, 0xfffffe10, v24, v23
	v_dual_lshlrev_b32 v21, 4, v19 :: v_dual_lshlrev_b32 v34, 4, v20
	v_writelane_b32 v203, s7, 9
	s_and_b32 s7, s10, s6
	v_cmp_lt_u32_e64 s10, 7, v6
	v_mad_u32_u24 v37, 0x1f0, v24, v71
	v_mul_u32_u24_e32 v46, 0x210, v19
	v_writelane_b32 v203, s7, 10
	v_cmp_eq_u32_e64 s7, 6, v6
	v_dual_lshlrev_b32 v40, 9, v24 :: v_dual_lshlrev_b32 v42, 4, v22
	v_mad_i32_i24 v82, 0xfffffe10, v24, v37
	v_writelane_b32 v203, s16, 11
	s_and_b32 s7, s7, s6
	s_and_b32 s16, vcc_lo, s6
	v_cmp_lt_u32_e32 vcc_lo, 10, v6
	v_mad_u32_u24 v38, 0x1f0, v24, v82
	v_writelane_b32 v203, s7, 12
	s_and_b32 s7, s8, s6
	v_cmp_eq_u32_e64 s8, 9, v6
	s_and_b32 s92, vcc_lo, s6
	v_cmp_eq_u32_e32 vcc_lo, 13, v6
	v_writelane_b32 v203, s7, 13
	s_and_b32 s7, s9, s6
	v_cmp_lt_u32_e64 s9, 9, v6
	v_mul_u32_u24_e32 v47, 0x210, v20
	s_and_b32 s95, vcc_lo, s6
	v_writelane_b32 v203, s7, 14
	s_and_b32 s7, s10, s6
	v_cmp_le_i32_e32 vcc_lo, s11, v24
	v_cmp_eq_u32_e64 s10, 10, v6
	s_and_b32 s25, s9, s6
	v_writelane_b32 v203, s7, 15
	v_cmp_lt_u32_e64 s7, 8, v6
	v_cmp_eq_u32_e64 s9, 12, v6
	s_and_b32 s98, vcc_lo, s20
	s_and_b32 s26, s10, s6
	v_writelane_b32 v203, s16, 16
	s_and_b32 s7, s7, s6
	s_add_nc_u64 s[16:17], s[40:41], 1
	v_cmp_lt_u32_e64 s10, 12, v6
	s_mul_u64 s[16:17], s[16:17], s[18:19]
	v_writelane_b32 v203, s7, 17
	s_and_b32 s7, s8, s6
	v_cmp_lt_u32_e64 s8, 11, v6
	s_and_b32 s19, s9, s6
	v_cmp_eq_u32_e64 s9, 15, v6
	v_writelane_b32 v203, s7, 18
	v_cmp_eq_u32_e64 s7, 11, v6
	s_and_b32 s94, s8, s6
	v_cmp_eq_u32_e64 s8, 14, v6
	s_and_b32 s18, s10, s6
	s_and_b32 s99, s9, s6
	;; [unrolled: 1-line block ×3, first 2 shown]
	v_cmp_lt_u32_e64 s7, 13, v6
	s_and_b32 s97, s8, s6
	s_xor_b32 s8, s98, -1
	v_dual_add_nc_u32 v48, 48, v18 :: v_dual_sub_nc_u32 v35, v46, v21
	s_and_b32 s96, s7, s6
	v_cmp_gt_u32_e64 s7, 16, v24
	s_and_b32 s101, s3, s8
	v_cmp_le_i32_e64 s8, s11, v4
	v_dual_add_nc_u32 v49, 64, v23 :: v_dual_sub_nc_u32 v36, v47, v34
	s_and_b32 s100, s3, s7
	v_cmp_le_i32_e64 s7, s11, v22
	s_cmp_gt_i32 s62, 0
	v_add_nc_u32_e32 v50, 0x70, v23
	s_cselect_b32 s102, -1, 0
	s_or_b32 s8, s8, vcc_lo
	s_or_b32 s7, s7, vcc_lo
	v_cmp_gt_i32_e32 vcc_lo, s11, v24
	v_add_nc_u32_e32 v52, 0x90, v18
	v_add_nc_u32_e32 v70, 0x60, v23
	;; [unrolled: 1-line block ×10, first 2 shown]
	v_mad_i32_i24 v39, 0xfffffe10, v24, v38
	v_dual_lshlrev_b32 v181, 4, v14 :: v_dual_lshlrev_b32 v184, 4, v15
	v_add_nc_u32_e32 v192, 0x31b0, v23
	v_dual_add_nc_u32 v196, v40, v42 :: v_dual_add_nc_u32 v14, 48, v5
	v_dual_mov_b32 v5, v2 :: v_dual_mov_b32 v23, v2
	s_clause 0x1
	s_load_b64 s[50:51], s[0:1], 0x58
	s_load_b128 s[52:55], s[0:1], 0x48
	s_wait_xcnt 0x0
	s_and_b32 s0, s3, vcc_lo
	v_add_nc_u32_e32 v92, 0x18e0, v38
	v_add_nc_u32_e32 v93, 0x18f0, v38
	;; [unrolled: 1-line block ×6, first 2 shown]
	v_mul_u64_e32 v[30:31], s[40:41], v[8:9]
	v_dual_add_nc_u32 v187, v35, v181 :: v_dual_add_nc_u32 v190, v36, v184
	v_add_nc_u32_e32 v188, 0x4000, v34
	v_add_nc_u32_e32 v194, 0x39f0, v38
	;; [unrolled: 1-line block ×3, first 2 shown]
	v_writelane_b32 v203, s0, 19
	v_mul_u64_e32 v[34:35], s[40:41], v[4:5]
	v_mul_u64_e32 v[38:39], s[40:41], v[22:23]
	s_lshl_b64 s[40:41], s[16:17], 4
	v_cmp_gt_u32_e64 s16, 0xf0, v3
	v_and_b32_e32 v148, -16, v3
	v_bitop3_b32 v16, v0, v16, 0x3ff bitop3:0xa8
	v_lshlrev_b32_e32 v0, 4, v1
	s_wait_kmcnt 0x0
	v_mul_u64_e32 v[32:33], s[52:53], v[8:9]
	v_writelane_b32 v203, s16, 20
	v_cmp_gt_u32_e64 s16, 0xe0, v3
	v_dual_lshlrev_b32 v7, 5, v3 :: v_dual_lshlrev_b32 v69, 4, v6
	v_lshl_or_b32 v182, v17, 9, v0
	v_mul_u64_e32 v[0:1], s[52:53], v[10:11]
	s_delay_alu instid0(VALU_DEP_4)
	v_writelane_b32 v203, s16, 21
	v_cmp_gt_u32_e64 s16, 0xd0, v3
	v_cmp_le_u32_e64 s1, v24, v22
	v_cmp_gt_i32_e64 s0, s56, v8
	v_cmp_gt_i32_e32 vcc_lo, s56, v28
	v_and_b32_e32 v68, 0xfffffe00, v7
	v_writelane_b32 v203, s16, 22
	v_cmp_gt_u32_e64 s16, 0xc0, v3
	v_mad_i32_i24 v41, 0xfffffe10, v24, v40
	v_add_nc_u32_e32 v113, 0x6000, v42
	v_or_b32_e32 v9, v4, v24
	s_or_b32 s20, s7, s1
	v_writelane_b32 v203, s16, 23
	v_cmp_gt_u32_e64 s16, 0xb0, v3
	v_cmp_le_u32_e64 s7, v24, v4
	s_and_b32 s104, vcc_lo, s0
	v_cmp_gt_i32_e32 vcc_lo, s56, v14
	v_lshl_add_u32 v27, v17, 4, 0x4000
	v_writelane_b32 v203, s16, 24
	v_cmp_gt_u32_e64 s16, 0xa0, v3
	v_add_nc_u32_e32 v51, 0x80, v18
	v_add_nc_u32_e32 v53, 0xa0, v18
	v_add_nc_u32_e32 v54, 0xb0, v18
	v_add_nc_u32_e32 v55, 0xc0, v18
	v_writelane_b32 v203, s16, 25
	v_cmp_gt_u32_e64 s16, 0x90, v3
	v_add_nc_u32_e32 v56, 0xd0, v18
	v_add_nc_u32_e32 v57, 0xe0, v18
	v_add_nc_u32_e32 v58, 0xf0, v18
	v_add_nc_u32_e32 v59, 0x2120, v18
	;; [unrolled: 6-line block ×5, first 2 shown]
	v_add_nc_u32_e32 v85, 0x10e0, v37
	v_add_nc_u32_e32 v86, 0x10d0, v37
	;; [unrolled: 1-line block ×7, first 2 shown]
	v_or_b32_e32 v98, 0x100, v40
	v_or_b32_e32 v99, 0x110, v40
	;; [unrolled: 1-line block ×15, first 2 shown]
	v_add_nc_u32_e32 v114, 0x2000, v41
	v_add_nc_u32_e32 v115, 0x2200, v41
	;; [unrolled: 1-line block ×39, first 2 shown]
	v_dual_ashrrev_i32 v29, 31, v28 :: v_dual_bitop2_b32 v154, v68, v69 bitop3:0x54
	v_add_nc_u32_e32 v155, 0x2500, v44
	v_add_nc_u32_e32 v156, 0x2700, v44
	;; [unrolled: 1-line block ×22, first 2 shown]
	v_lshl_add_u32 v177, v26, 4, 0x6000
	v_lshl_add_u32 v178, v3, 4, 0x4000
	v_add_nc_u32_e32 v179, 0x4000, v25
	v_add_nc_u32_e32 v180, v113, v25
	s_add_nc_u64 s[58:59], s[36:37], s[14:15]
	s_add_nc_u64 s[48:49], s[48:49], s[12:13]
	v_mul_u32_u24_e32 v183, 0x210, v17
	v_add_nc_u32_e32 v185, 0x4000, v21
	v_lshl_or_b32 v186, v19, 9, v181
	v_lshl_or_b32 v189, v20, 9, v184
	v_add_nc_u32_e32 v191, 0x21f0, v18
	v_add_nc_u32_e32 v193, 0x31d0, v37
	v_or_b32_e32 v197, 0x1f0, v40
	v_lshl_add_u32 v198, v22, 9, v41
	v_dual_lshlrev_b32 v199, 4, v12 :: v_dual_lshlrev_b32 v200, 4, v13
	v_add_nc_u32_e32 v201, 0x3c00, v25
	v_subrev_nc_u32_e32 v202, 31, v24
	v_lshlrev_b32_e32 v36, 4, v24
	s_or_b32 s21, s8, s7
	v_mov_b32_e32 v37, v2
	v_cmp_gt_u32_e64 s8, 2, v3
	v_cmp_gt_u32_e64 s9, 12, v3
	;; [unrolled: 1-line block ×8, first 2 shown]
	v_writelane_b32 v203, s16, 29
	v_cmp_gt_u32_e64 s16, 0x50, v3
	v_cmp_eq_u32_e64 s27, 0, v16
	v_cmp_gt_u32_e64 s28, 32, v16
	v_cmp_gt_u32_e64 s29, 32, v9
	v_cmp_eq_u32_e64 s30, 0, v26
	v_cmp_gt_u32_e64 s31, 32, v26
	s_add_co_i32 s103, s103, 1
	s_and_b32 vcc_hi, vcc_lo, s0
	s_mov_b32 s37, 0x3ff00000
                                        ; implicit-def: $vgpr6_vgpr7
                                        ; implicit-def: $vgpr10_vgpr11
	v_writelane_b32 v203, s16, 30
	s_branch .LBB93_3
.LBB93_2:                               ;   in Loop: Header=BB93_3 Depth=1
	s_wait_xcnt 0x0
	s_or_b32 exec_lo, exec_lo, s16
	s_add_co_i32 s34, s34, 0x10000
	global_wb scope:SCOPE_DEV
	s_wait_storecnt 0x0
	global_inv scope:SCOPE_DEV
	s_cmp_lt_u32 s34, s33
	s_cbranch_scc0 .LBB93_542
.LBB93_3:                               ; =>This Loop Header: Depth=1
                                        ;     Child Loop BB93_453 Depth 2
                                        ;       Child Loop BB93_455 Depth 3
                                        ;     Child Loop BB93_486 Depth 2
	s_mul_u64 s[16:17], s[42:43], s[34:35]
	s_and_not1_b32 vcc_lo, exec_lo, s65
	s_lshl_b64 s[16:17], s[16:17], 4
	s_delay_alu instid0(SALU_CYCLE_1) | instskip(NEXT) | instid1(SALU_CYCLE_1)
	s_add_nc_u64 s[38:39], s[58:59], s[16:17]
	v_lshl_add_u64 v[18:19], v[30:31], 4, s[38:39]
	s_cbranch_vccnz .LBB93_9
; %bb.4:                                ;   in Loop: Header=BB93_3 Depth=1
	v_mov_b64_e32 v[12:13], 0
	v_mov_b64_e32 v[6:7], 0
	;; [unrolled: 1-line block ×3, first 2 shown]
	v_lshl_add_u64 v[4:5], v[28:29], 4, v[18:19]
	s_barrier_signal -1
	s_barrier_wait -1
	s_and_saveexec_b32 s16, s104
	s_cbranch_execz .LBB93_6
; %bb.5:                                ;   in Loop: Header=BB93_3 Depth=1
	global_load_b128 v[6:9], v[4:5], off
.LBB93_6:                               ;   in Loop: Header=BB93_3 Depth=1
	s_wait_xcnt 0x0
	s_or_b32 exec_lo, exec_lo, s16
	v_mov_b64_e32 v[10:11], 0
	s_wait_loadcnt 0x0
	s_barrier_signal -1
	s_barrier_wait -1
	s_and_saveexec_b32 s16, vcc_hi
	s_cbranch_execz .LBB93_8
; %bb.7:                                ;   in Loop: Header=BB93_3 Depth=1
	global_load_b128 v[10:13], v[4:5], off offset:256
.LBB93_8:                               ;   in Loop: Header=BB93_3 Depth=1
	s_wait_xcnt 0x0
	s_or_b32 exec_lo, exec_lo, s16
.LBB93_9:                               ;   in Loop: Header=BB93_3 Depth=1
	s_add_nc_u64 s[16:17], s[38:39], s[40:41]
	s_and_not1_b32 vcc_lo, exec_lo, s64
	v_add_nc_u64_e32 v[14:15], s[16:17], v[36:37]
	s_mov_b32 s16, -1
	s_cbranch_vccnz .LBB93_16
; %bb.10:                               ;   in Loop: Header=BB93_3 Depth=1
	s_and_saveexec_b32 s16, s1
	s_delay_alu instid0(SALU_CYCLE_1)
	s_xor_b32 s16, exec_lo, s16
	s_cbranch_execnz .LBB93_500
; %bb.11:                               ;   in Loop: Header=BB93_3 Depth=1
	s_and_not1_saveexec_b32 s16, s16
	s_cbranch_execnz .LBB93_503
.LBB93_12:                              ;   in Loop: Header=BB93_3 Depth=1
	s_or_b32 exec_lo, exec_lo, s16
	s_and_saveexec_b32 s16, s7
	s_delay_alu instid0(SALU_CYCLE_1)
	s_xor_b32 s16, exec_lo, s16
	s_cbranch_execnz .LBB93_504
.LBB93_13:                              ;   in Loop: Header=BB93_3 Depth=1
	s_and_not1_saveexec_b32 s16, s16
	s_cbranch_execz .LBB93_15
.LBB93_14:                              ;   in Loop: Header=BB93_3 Depth=1
	v_lshl_add_u64 v[4:5], v[34:35], 4, v[14:15]
	global_load_b128 v[40:43], v[4:5], off
	s_wait_loadcnt 0x0
	v_xor_b32_e32 v41, 0x80000000, v41
	ds_store_b128 v200, v[40:43]
.LBB93_15:                              ;   in Loop: Header=BB93_3 Depth=1
	s_or_b32 exec_lo, exec_lo, s16
	s_mov_b32 s16, 0
.LBB93_16:                              ;   in Loop: Header=BB93_3 Depth=1
	s_delay_alu instid0(SALU_CYCLE_1)
	s_and_b32 vcc_lo, exec_lo, s16
	s_cbranch_vccz .LBB93_23
; %bb.17:                               ;   in Loop: Header=BB93_3 Depth=1
	s_and_saveexec_b32 s16, s20
	s_delay_alu instid0(SALU_CYCLE_1)
	s_xor_b32 s16, exec_lo, s16
	s_cbranch_execnz .LBB93_507
; %bb.18:                               ;   in Loop: Header=BB93_3 Depth=1
	s_and_not1_saveexec_b32 s16, s16
	s_cbranch_execnz .LBB93_510
.LBB93_19:                              ;   in Loop: Header=BB93_3 Depth=1
	s_or_b32 exec_lo, exec_lo, s16
	s_and_saveexec_b32 s16, s21
	s_delay_alu instid0(SALU_CYCLE_1)
	s_xor_b32 s16, exec_lo, s16
	s_cbranch_execnz .LBB93_511
.LBB93_20:                              ;   in Loop: Header=BB93_3 Depth=1
	s_and_not1_saveexec_b32 s16, s16
	s_cbranch_execz .LBB93_22
.LBB93_21:                              ;   in Loop: Header=BB93_3 Depth=1
	v_lshl_add_u64 v[4:5], v[34:35], 4, v[14:15]
	global_load_b128 v[14:17], v[4:5], off
	s_wait_loadcnt 0x0
	v_xor_b32_e32 v15, 0x80000000, v15
	ds_store_b128 v200, v[14:17]
.LBB93_22:                              ;   in Loop: Header=BB93_3 Depth=1
	s_or_b32 exec_lo, exec_lo, s16
.LBB93_23:                              ;   in Loop: Header=BB93_3 Depth=1
	s_delay_alu instid0(SALU_CYCLE_1)
	s_and_not1_b32 vcc_lo, exec_lo, s66
	s_wait_loadcnt_dscnt 0x0
	s_barrier_signal -1
	s_barrier_wait -1
	s_cbranch_vccnz .LBB93_447
; %bb.24:                               ;   in Loop: Header=BB93_3 Depth=1
	s_and_saveexec_b32 s17, s27
	s_cbranch_execz .LBB93_26
; %bb.25:                               ;   in Loop: Header=BB93_3 Depth=1
	s_mov_b32 s36, s35
	s_mov_b32 s38, s35
	;; [unrolled: 1-line block ×3, first 2 shown]
	v_mov_b64_e32 v[14:15], s[36:37]
	v_mov_b64_e32 v[16:17], s[38:39]
	ds_store_b128 v2, v[14:17]
	ds_store_b128 v2, v[14:17] offset:528
	ds_load_b128 v[14:17], v2 offset:16
	s_wait_dscnt 0x0
	ds_store_b128 v2, v[14:17] offset:512
.LBB93_26:                              ;   in Loop: Header=BB93_3 Depth=1
	s_or_b32 exec_lo, exec_lo, s17
	v_mov_b64_e32 v[16:17], 0
	v_mov_b64_e32 v[14:15], 0
	s_wait_dscnt 0x0
	s_barrier_signal -1
	s_barrier_wait -1
	s_and_saveexec_b32 s36, s2
	s_cbranch_execz .LBB93_30
; %bb.27:                               ;   in Loop: Header=BB93_3 Depth=1
	ds_load_b128 v[14:17], v183
	ds_load_b128 v[40:43], v182 offset:32
	s_wait_dscnt 0x0
	v_mul_f64_e32 v[4:5], v[16:17], v[42:43]
	v_mul_f64_e32 v[20:21], v[14:15], v[42:43]
	s_delay_alu instid0(VALU_DEP_2) | instskip(NEXT) | instid1(VALU_DEP_2)
	v_fma_f64 v[4:5], v[14:15], v[40:41], -v[4:5]
	v_fmac_f64_e32 v[20:21], v[16:17], v[40:41]
	s_delay_alu instid0(VALU_DEP_2) | instskip(NEXT) | instid1(VALU_DEP_2)
	v_add_f64_e32 v[14:15], 0, v[4:5]
	v_add_f64_e32 v[16:17], 0, v[20:21]
	s_and_saveexec_b32 s16, s8
	s_cbranch_execz .LBB93_29
; %bb.28:                               ;   in Loop: Header=BB93_3 Depth=1
	ds_load_b128 v[40:43], v2 offset:16
	ds_load_b128 v[204:207], v25 offset:544
	s_wait_dscnt 0x0
	v_mul_f64_e32 v[4:5], v[42:43], v[206:207]
	v_mul_f64_e32 v[20:21], v[40:41], v[206:207]
	s_delay_alu instid0(VALU_DEP_2) | instskip(NEXT) | instid1(VALU_DEP_2)
	v_fma_f64 v[4:5], v[40:41], v[204:205], -v[4:5]
	v_fmac_f64_e32 v[20:21], v[42:43], v[204:205]
	s_delay_alu instid0(VALU_DEP_2) | instskip(NEXT) | instid1(VALU_DEP_2)
	v_add_f64_e32 v[14:15], v[14:15], v[4:5]
	v_add_f64_e32 v[16:17], v[16:17], v[20:21]
.LBB93_29:                              ;   in Loop: Header=BB93_3 Depth=1
	s_or_b32 exec_lo, exec_lo, s16
	s_delay_alu instid0(VALU_DEP_2) | instskip(NEXT) | instid1(VALU_DEP_2)
	v_xor_b32_e32 v15, 0x80000000, v15
	v_xor_b32_e32 v17, 0x80000000, v17
.LBB93_30:                              ;   in Loop: Header=BB93_3 Depth=1
	s_or_b32 exec_lo, exec_lo, s36
	s_and_saveexec_b32 s16, s67
; %bb.31:                               ;   in Loop: Header=BB93_3 Depth=1
	ds_store_b128 v27, v[14:17]
; %bb.32:                               ;   in Loop: Header=BB93_3 Depth=1
	s_or_b32 exec_lo, exec_lo, s16
	s_wait_dscnt 0x0
	s_barrier_signal -1
	s_barrier_wait -1
	s_and_saveexec_b32 s16, s68
	s_cbranch_execz .LBB93_34
; %bb.33:                               ;   in Loop: Header=BB93_3 Depth=1
	ds_load_b128 v[40:43], v27
	ds_load_b128 v[204:207], v2 offset:1072
	s_wait_dscnt 0x0
	v_mul_f64_e32 v[4:5], v[42:43], v[206:207]
	v_mul_f64_e32 v[20:21], v[40:41], v[206:207]
	s_delay_alu instid0(VALU_DEP_2) | instskip(NEXT) | instid1(VALU_DEP_2)
	v_fma_f64 v[4:5], v[40:41], v[204:205], -v[4:5]
	v_fmac_f64_e32 v[20:21], v[42:43], v[204:205]
	s_delay_alu instid0(VALU_DEP_2) | instskip(NEXT) | instid1(VALU_DEP_2)
	v_add_f64_e32 v[14:15], v[14:15], v[4:5]
	v_add_f64_e32 v[16:17], v[16:17], v[20:21]
.LBB93_34:                              ;   in Loop: Header=BB93_3 Depth=1
	s_or_b32 exec_lo, exec_lo, s16
	s_barrier_signal -1
	s_barrier_wait -1
	s_and_saveexec_b32 s16, s68
; %bb.35:                               ;   in Loop: Header=BB93_3 Depth=1
	ds_store_b128 v27, v[14:17]
; %bb.36:                               ;   in Loop: Header=BB93_3 Depth=1
	s_or_b32 exec_lo, exec_lo, s16
	s_wait_dscnt 0x0
	s_barrier_signal -1
	s_barrier_wait -1
	s_barrier_signal -1
	s_barrier_wait -1
	s_and_saveexec_b32 s16, s2
; %bb.37:                               ;   in Loop: Header=BB93_3 Depth=1
	v_xor_b32_e32 v15, 0x80000000, v15
	v_xor_b32_e32 v17, 0x80000000, v17
	ds_store_b128 v182, v[14:17] offset:32
; %bb.38:                               ;   in Loop: Header=BB93_3 Depth=1
	s_or_b32 exec_lo, exec_lo, s16
	s_wait_dscnt 0x0
	s_barrier_signal -1
	s_barrier_wait -1
	s_barrier_signal -1
	s_barrier_wait -1
	s_and_saveexec_b32 s16, s69
	s_cbranch_execz .LBB93_40
; %bb.39:                               ;   in Loop: Header=BB93_3 Depth=1
	ds_load_b128 v[14:17], v45
	s_wait_dscnt 0x0
	ds_store_b128 v130, v[14:17]
	ds_load_b128 v[14:17], v48
	s_wait_dscnt 0x0
	ds_store_b128 v131, v[14:17]
.LBB93_40:                              ;   in Loop: Header=BB93_3 Depth=1
	s_or_b32 exec_lo, exec_lo, s16
	s_wait_dscnt 0x0
	s_barrier_signal -1
	s_barrier_wait -1
	s_and_saveexec_b32 s17, s27
	s_cbranch_execz .LBB93_42
; %bb.41:                               ;   in Loop: Header=BB93_3 Depth=1
	s_mov_b32 s36, s35
	s_mov_b32 s38, s35
	;; [unrolled: 1-line block ×3, first 2 shown]
	v_mov_b64_e32 v[14:15], s[36:37]
	v_mov_b64_e32 v[16:17], s[38:39]
	ds_store_b128 v2, v[14:17] offset:1056
	ds_store_b128 v2, v[14:17] offset:1584
	ds_load_b128 v[14:17], v2 offset:1072
	s_wait_dscnt 0x0
	ds_store_b128 v2, v[14:17] offset:1568
.LBB93_42:                              ;   in Loop: Header=BB93_3 Depth=1
	s_or_b32 exec_lo, exec_lo, s17
	v_mov_b64_e32 v[16:17], 0
	v_mov_b64_e32 v[14:15], 0
	s_wait_dscnt 0x0
	s_barrier_signal -1
	s_barrier_wait -1
	s_and_saveexec_b32 s36, s4
	s_cbranch_execz .LBB93_48
; %bb.43:                               ;   in Loop: Header=BB93_3 Depth=1
	ds_load_b128 v[14:17], v46
	ds_load_b128 v[40:43], v186 offset:64
	s_wait_dscnt 0x0
	v_mul_f64_e32 v[4:5], v[16:17], v[42:43]
	v_mul_f64_e32 v[20:21], v[14:15], v[42:43]
	s_delay_alu instid0(VALU_DEP_2) | instskip(NEXT) | instid1(VALU_DEP_2)
	v_fma_f64 v[4:5], v[14:15], v[40:41], -v[4:5]
	v_fmac_f64_e32 v[20:21], v[16:17], v[40:41]
	s_delay_alu instid0(VALU_DEP_2) | instskip(NEXT) | instid1(VALU_DEP_2)
	v_add_f64_e32 v[14:15], 0, v[4:5]
	v_add_f64_e32 v[16:17], 0, v[20:21]
	s_and_saveexec_b32 s16, s9
	s_cbranch_execnz .LBB93_518
; %bb.44:                               ;   in Loop: Header=BB93_3 Depth=1
	s_or_b32 exec_lo, exec_lo, s16
	s_and_saveexec_b32 s16, s10
	s_cbranch_execnz .LBB93_519
.LBB93_45:                              ;   in Loop: Header=BB93_3 Depth=1
	s_or_b32 exec_lo, exec_lo, s16
	s_and_saveexec_b32 s16, s2
	s_cbranch_execz .LBB93_47
.LBB93_46:                              ;   in Loop: Header=BB93_3 Depth=1
	ds_load_b128 v[40:43], v2 offset:48
	ds_load_b128 v[204:207], v44 offset:1600
	s_wait_dscnt 0x0
	v_mul_f64_e32 v[4:5], v[42:43], v[206:207]
	v_mul_f64_e32 v[20:21], v[40:41], v[206:207]
	s_delay_alu instid0(VALU_DEP_2) | instskip(NEXT) | instid1(VALU_DEP_2)
	v_fma_f64 v[4:5], v[40:41], v[204:205], -v[4:5]
	v_fmac_f64_e32 v[20:21], v[42:43], v[204:205]
	s_delay_alu instid0(VALU_DEP_2) | instskip(NEXT) | instid1(VALU_DEP_2)
	v_add_f64_e32 v[14:15], v[14:15], v[4:5]
	v_add_f64_e32 v[16:17], v[16:17], v[20:21]
.LBB93_47:                              ;   in Loop: Header=BB93_3 Depth=1
	s_or_b32 exec_lo, exec_lo, s16
	s_delay_alu instid0(VALU_DEP_2) | instskip(NEXT) | instid1(VALU_DEP_2)
	v_xor_b32_e32 v15, 0x80000000, v15
	v_xor_b32_e32 v17, 0x80000000, v17
.LBB93_48:                              ;   in Loop: Header=BB93_3 Depth=1
	s_or_b32 exec_lo, exec_lo, s36
	s_and_saveexec_b32 s16, s70
; %bb.49:                               ;   in Loop: Header=BB93_3 Depth=1
	ds_store_b128 v185, v[14:17]
; %bb.50:                               ;   in Loop: Header=BB93_3 Depth=1
	s_or_b32 exec_lo, exec_lo, s16
	s_wait_dscnt 0x0
	s_barrier_signal -1
	s_barrier_wait -1
	s_and_saveexec_b32 s16, s71
	s_cbranch_execz .LBB93_52
; %bb.51:                               ;   in Loop: Header=BB93_3 Depth=1
	ds_load_b128 v[40:43], v185
	ds_load_b128 v[204:207], v181 offset:2112
	s_wait_dscnt 0x0
	v_mul_f64_e32 v[4:5], v[42:43], v[206:207]
	v_mul_f64_e32 v[20:21], v[40:41], v[206:207]
	s_delay_alu instid0(VALU_DEP_2) | instskip(NEXT) | instid1(VALU_DEP_2)
	v_fma_f64 v[4:5], v[40:41], v[204:205], -v[4:5]
	v_fmac_f64_e32 v[20:21], v[42:43], v[204:205]
	s_delay_alu instid0(VALU_DEP_2) | instskip(NEXT) | instid1(VALU_DEP_2)
	v_add_f64_e32 v[14:15], v[14:15], v[4:5]
	v_add_f64_e32 v[16:17], v[16:17], v[20:21]
.LBB93_52:                              ;   in Loop: Header=BB93_3 Depth=1
	s_or_b32 exec_lo, exec_lo, s16
	s_barrier_signal -1
	s_barrier_wait -1
	s_and_saveexec_b32 s16, s72
; %bb.53:                               ;   in Loop: Header=BB93_3 Depth=1
	ds_store_b128 v185, v[14:17]
; %bb.54:                               ;   in Loop: Header=BB93_3 Depth=1
	s_or_b32 exec_lo, exec_lo, s16
	s_wait_dscnt 0x0
	s_barrier_signal -1
	s_barrier_wait -1
	s_and_saveexec_b32 s16, s73
	s_cbranch_execz .LBB93_56
; %bb.55:                               ;   in Loop: Header=BB93_3 Depth=1
	ds_load_b128 v[40:43], v185
	ds_load_b128 v[204:207], v181 offset:2624
	s_wait_dscnt 0x0
	v_mul_f64_e32 v[4:5], v[42:43], v[206:207]
	v_mul_f64_e32 v[20:21], v[40:41], v[206:207]
	s_delay_alu instid0(VALU_DEP_2) | instskip(NEXT) | instid1(VALU_DEP_2)
	v_fma_f64 v[4:5], v[40:41], v[204:205], -v[4:5]
	v_fmac_f64_e32 v[20:21], v[42:43], v[204:205]
	s_delay_alu instid0(VALU_DEP_2) | instskip(NEXT) | instid1(VALU_DEP_2)
	v_add_f64_e32 v[14:15], v[14:15], v[4:5]
	v_add_f64_e32 v[16:17], v[16:17], v[20:21]
.LBB93_56:                              ;   in Loop: Header=BB93_3 Depth=1
	s_or_b32 exec_lo, exec_lo, s16
	s_barrier_signal -1
	s_barrier_wait -1
	;; [unrolled: 26-line block ×3, first 2 shown]
	s_and_saveexec_b32 s16, s75
; %bb.61:                               ;   in Loop: Header=BB93_3 Depth=1
	ds_store_b128 v185, v[14:17]
; %bb.62:                               ;   in Loop: Header=BB93_3 Depth=1
	s_or_b32 exec_lo, exec_lo, s16
	s_wait_dscnt 0x0
	s_barrier_signal -1
	s_barrier_wait -1
	s_barrier_signal -1
	s_barrier_wait -1
	s_and_saveexec_b32 s16, s4
; %bb.63:                               ;   in Loop: Header=BB93_3 Depth=1
	v_xor_b32_e32 v17, 0x80000000, v17
	v_xor_b32_e32 v15, 0x80000000, v15
	ds_store_b128 v186, v[14:17] offset:64
; %bb.64:                               ;   in Loop: Header=BB93_3 Depth=1
	s_or_b32 exec_lo, exec_lo, s16
	s_wait_dscnt 0x0
	s_barrier_signal -1
	s_barrier_wait -1
	s_barrier_signal -1
	s_barrier_wait -1
	s_and_saveexec_b32 s16, s76
	s_cbranch_execz .LBB93_66
; %bb.65:                               ;   in Loop: Header=BB93_3 Depth=1
	ds_load_b128 v[14:17], v49
	s_wait_dscnt 0x0
	ds_store_b128 v132, v[14:17]
	ds_load_b128 v[14:17], v72
	s_wait_dscnt 0x0
	ds_store_b128 v135, v[14:17]
	ds_load_b128 v[14:17], v70
	s_wait_dscnt 0x0
	ds_store_b128 v134, v[14:17]
	ds_load_b128 v[14:17], v50
	s_wait_dscnt 0x0
	ds_store_b128 v133, v[14:17]
.LBB93_66:                              ;   in Loop: Header=BB93_3 Depth=1
	s_or_b32 exec_lo, exec_lo, s16
	s_wait_dscnt 0x0
	s_barrier_signal -1
	s_barrier_wait -1
	s_and_saveexec_b32 s17, s27
	s_cbranch_execz .LBB93_68
; %bb.67:                               ;   in Loop: Header=BB93_3 Depth=1
	s_mov_b32 s36, s35
	s_mov_b32 s38, s35
	;; [unrolled: 1-line block ×3, first 2 shown]
	v_mov_b64_e32 v[14:15], s[36:37]
	v_mov_b64_e32 v[16:17], s[38:39]
	ds_store_b128 v2, v[14:17] offset:2112
	ds_store_b128 v2, v[14:17] offset:2640
	ds_load_b128 v[14:17], v2 offset:2128
	s_wait_dscnt 0x0
	ds_store_b128 v2, v[14:17] offset:2624
.LBB93_68:                              ;   in Loop: Header=BB93_3 Depth=1
	s_or_b32 exec_lo, exec_lo, s17
	v_mov_b64_e32 v[16:17], 0
	v_mov_b64_e32 v[14:15], 0
	s_wait_dscnt 0x0
	s_barrier_signal -1
	s_barrier_wait -1
	s_and_saveexec_b32 s36, s2
	s_cbranch_execz .LBB93_72
; %bb.69:                               ;   in Loop: Header=BB93_3 Depth=1
	ds_load_b128 v[14:17], v183 offset:2112
	ds_load_b128 v[40:43], v182 offset:2144
	s_wait_dscnt 0x0
	v_mul_f64_e32 v[4:5], v[16:17], v[42:43]
	v_mul_f64_e32 v[20:21], v[14:15], v[42:43]
	s_delay_alu instid0(VALU_DEP_2) | instskip(NEXT) | instid1(VALU_DEP_2)
	v_fma_f64 v[4:5], v[14:15], v[40:41], -v[4:5]
	v_fmac_f64_e32 v[20:21], v[16:17], v[40:41]
	s_delay_alu instid0(VALU_DEP_2) | instskip(NEXT) | instid1(VALU_DEP_2)
	v_add_f64_e32 v[14:15], 0, v[4:5]
	v_add_f64_e32 v[16:17], 0, v[20:21]
	s_and_saveexec_b32 s16, s8
	s_cbranch_execz .LBB93_71
; %bb.70:                               ;   in Loop: Header=BB93_3 Depth=1
	ds_load_b128 v[40:43], v2 offset:2128
	ds_load_b128 v[204:207], v71 offset:2656
	s_wait_dscnt 0x0
	v_mul_f64_e32 v[4:5], v[42:43], v[206:207]
	v_mul_f64_e32 v[20:21], v[40:41], v[206:207]
	s_delay_alu instid0(VALU_DEP_2) | instskip(NEXT) | instid1(VALU_DEP_2)
	v_fma_f64 v[4:5], v[40:41], v[204:205], -v[4:5]
	v_fmac_f64_e32 v[20:21], v[42:43], v[204:205]
	s_delay_alu instid0(VALU_DEP_2) | instskip(NEXT) | instid1(VALU_DEP_2)
	v_add_f64_e32 v[14:15], v[14:15], v[4:5]
	v_add_f64_e32 v[16:17], v[16:17], v[20:21]
.LBB93_71:                              ;   in Loop: Header=BB93_3 Depth=1
	s_or_b32 exec_lo, exec_lo, s16
	s_delay_alu instid0(VALU_DEP_2) | instskip(NEXT) | instid1(VALU_DEP_2)
	v_xor_b32_e32 v15, 0x80000000, v15
	v_xor_b32_e32 v17, 0x80000000, v17
.LBB93_72:                              ;   in Loop: Header=BB93_3 Depth=1
	s_or_b32 exec_lo, exec_lo, s36
	s_and_saveexec_b32 s16, s67
; %bb.73:                               ;   in Loop: Header=BB93_3 Depth=1
	ds_store_b128 v27, v[14:17]
; %bb.74:                               ;   in Loop: Header=BB93_3 Depth=1
	s_or_b32 exec_lo, exec_lo, s16
	s_wait_dscnt 0x0
	s_barrier_signal -1
	s_barrier_wait -1
	s_and_saveexec_b32 s16, s68
	s_cbranch_execz .LBB93_76
; %bb.75:                               ;   in Loop: Header=BB93_3 Depth=1
	ds_load_b128 v[40:43], v27
	ds_load_b128 v[204:207], v2 offset:3184
	s_wait_dscnt 0x0
	v_mul_f64_e32 v[4:5], v[42:43], v[206:207]
	v_mul_f64_e32 v[20:21], v[40:41], v[206:207]
	s_delay_alu instid0(VALU_DEP_2) | instskip(NEXT) | instid1(VALU_DEP_2)
	v_fma_f64 v[4:5], v[40:41], v[204:205], -v[4:5]
	v_fmac_f64_e32 v[20:21], v[42:43], v[204:205]
	s_delay_alu instid0(VALU_DEP_2) | instskip(NEXT) | instid1(VALU_DEP_2)
	v_add_f64_e32 v[14:15], v[14:15], v[4:5]
	v_add_f64_e32 v[16:17], v[16:17], v[20:21]
.LBB93_76:                              ;   in Loop: Header=BB93_3 Depth=1
	s_or_b32 exec_lo, exec_lo, s16
	s_barrier_signal -1
	s_barrier_wait -1
	s_and_saveexec_b32 s16, s68
; %bb.77:                               ;   in Loop: Header=BB93_3 Depth=1
	ds_store_b128 v27, v[14:17]
; %bb.78:                               ;   in Loop: Header=BB93_3 Depth=1
	s_or_b32 exec_lo, exec_lo, s16
	s_wait_dscnt 0x0
	s_barrier_signal -1
	s_barrier_wait -1
	s_barrier_signal -1
	s_barrier_wait -1
	s_and_saveexec_b32 s16, s2
; %bb.79:                               ;   in Loop: Header=BB93_3 Depth=1
	v_xor_b32_e32 v15, 0x80000000, v15
	v_xor_b32_e32 v17, 0x80000000, v17
	ds_store_b128 v182, v[14:17] offset:2144
; %bb.80:                               ;   in Loop: Header=BB93_3 Depth=1
	s_or_b32 exec_lo, exec_lo, s16
	s_wait_dscnt 0x0
	s_barrier_signal -1
	s_barrier_wait -1
	s_barrier_signal -1
	s_barrier_wait -1
	s_and_saveexec_b32 s16, s69
	s_cbranch_execz .LBB93_82
; %bb.81:                               ;   in Loop: Header=BB93_3 Depth=1
	ds_load_b128 v[14:17], v80
	s_wait_dscnt 0x0
	ds_store_b128 v136, v[14:17]
	ds_load_b128 v[14:17], v81
	s_wait_dscnt 0x0
	ds_store_b128 v137, v[14:17]
.LBB93_82:                              ;   in Loop: Header=BB93_3 Depth=1
	s_or_b32 exec_lo, exec_lo, s16
	s_wait_dscnt 0x0
	s_barrier_signal -1
	s_barrier_wait -1
	s_and_saveexec_b32 s17, s27
	s_cbranch_execz .LBB93_84
; %bb.83:                               ;   in Loop: Header=BB93_3 Depth=1
	s_mov_b32 s36, s35
	s_mov_b32 s38, s35
	;; [unrolled: 1-line block ×3, first 2 shown]
	v_mov_b64_e32 v[14:15], s[36:37]
	v_mov_b64_e32 v[16:17], s[38:39]
	ds_store_b128 v2, v[14:17] offset:3168
	ds_store_b128 v2, v[14:17] offset:3696
	ds_load_b128 v[14:17], v2 offset:3184
	s_wait_dscnt 0x0
	ds_store_b128 v2, v[14:17] offset:3680
.LBB93_84:                              ;   in Loop: Header=BB93_3 Depth=1
	s_or_b32 exec_lo, exec_lo, s17
	v_mov_b64_e32 v[16:17], 0
	v_mov_b64_e32 v[14:15], 0
	s_wait_dscnt 0x0
	s_barrier_signal -1
	s_barrier_wait -1
	s_and_saveexec_b32 s36, s5
	s_cbranch_execz .LBB93_94
; %bb.85:                               ;   in Loop: Header=BB93_3 Depth=1
	ds_load_b128 v[14:17], v47
	ds_load_b128 v[40:43], v189 offset:128
	s_wait_dscnt 0x0
	v_mul_f64_e32 v[4:5], v[16:17], v[42:43]
	v_mul_f64_e32 v[20:21], v[14:15], v[42:43]
	s_delay_alu instid0(VALU_DEP_2) | instskip(NEXT) | instid1(VALU_DEP_2)
	v_fma_f64 v[4:5], v[14:15], v[40:41], -v[4:5]
	v_fmac_f64_e32 v[20:21], v[16:17], v[40:41]
	s_delay_alu instid0(VALU_DEP_2) | instskip(NEXT) | instid1(VALU_DEP_2)
	v_add_f64_e32 v[14:15], 0, v[4:5]
	v_add_f64_e32 v[16:17], 0, v[20:21]
	s_and_saveexec_b32 s16, s11
	s_cbranch_execnz .LBB93_520
; %bb.86:                               ;   in Loop: Header=BB93_3 Depth=1
	s_or_b32 exec_lo, exec_lo, s16
	s_and_saveexec_b32 s16, s12
	s_cbranch_execnz .LBB93_521
.LBB93_87:                              ;   in Loop: Header=BB93_3 Depth=1
	s_or_b32 exec_lo, exec_lo, s16
	s_and_saveexec_b32 s16, s13
	s_cbranch_execnz .LBB93_522
.LBB93_88:                              ;   in Loop: Header=BB93_3 Depth=1
	s_or_b32 exec_lo, exec_lo, s16
	s_and_saveexec_b32 s16, s14
	s_cbranch_execnz .LBB93_523
.LBB93_89:                              ;   in Loop: Header=BB93_3 Depth=1
	s_or_b32 exec_lo, exec_lo, s16
	s_and_saveexec_b32 s16, s15
	s_cbranch_execnz .LBB93_524
.LBB93_90:                              ;   in Loop: Header=BB93_3 Depth=1
	s_or_b32 exec_lo, exec_lo, s16
	s_and_saveexec_b32 s16, s4
	s_cbranch_execnz .LBB93_525
.LBB93_91:                              ;   in Loop: Header=BB93_3 Depth=1
	s_or_b32 exec_lo, exec_lo, s16
	s_and_saveexec_b32 s16, s10
	s_cbranch_execz .LBB93_93
.LBB93_92:                              ;   in Loop: Header=BB93_3 Depth=1
	ds_load_b128 v[40:43], v2 offset:112
	ds_load_b128 v[204:207], v25 offset:3712
	s_wait_dscnt 0x0
	v_mul_f64_e32 v[4:5], v[42:43], v[206:207]
	v_mul_f64_e32 v[20:21], v[40:41], v[206:207]
	s_delay_alu instid0(VALU_DEP_2) | instskip(NEXT) | instid1(VALU_DEP_2)
	v_fma_f64 v[4:5], v[40:41], v[204:205], -v[4:5]
	v_fmac_f64_e32 v[20:21], v[42:43], v[204:205]
	s_delay_alu instid0(VALU_DEP_2) | instskip(NEXT) | instid1(VALU_DEP_2)
	v_add_f64_e32 v[14:15], v[14:15], v[4:5]
	v_add_f64_e32 v[16:17], v[16:17], v[20:21]
.LBB93_93:                              ;   in Loop: Header=BB93_3 Depth=1
	s_or_b32 exec_lo, exec_lo, s16
	s_delay_alu instid0(VALU_DEP_2) | instskip(NEXT) | instid1(VALU_DEP_2)
	v_xor_b32_e32 v15, 0x80000000, v15
	v_xor_b32_e32 v17, 0x80000000, v17
.LBB93_94:                              ;   in Loop: Header=BB93_3 Depth=1
	s_or_b32 exec_lo, exec_lo, s36
	s_and_saveexec_b32 s16, s77
; %bb.95:                               ;   in Loop: Header=BB93_3 Depth=1
	ds_store_b128 v188, v[14:17]
; %bb.96:                               ;   in Loop: Header=BB93_3 Depth=1
	s_or_b32 exec_lo, exec_lo, s16
	s_wait_dscnt 0x0
	s_barrier_signal -1
	s_barrier_wait -1
	s_and_saveexec_b32 s16, s78
	s_cbranch_execz .LBB93_98
; %bb.97:                               ;   in Loop: Header=BB93_3 Depth=1
	ds_load_b128 v[40:43], v188
	ds_load_b128 v[204:207], v184 offset:4224
	s_wait_dscnt 0x0
	v_mul_f64_e32 v[4:5], v[42:43], v[206:207]
	v_mul_f64_e32 v[20:21], v[40:41], v[206:207]
	s_delay_alu instid0(VALU_DEP_2) | instskip(NEXT) | instid1(VALU_DEP_2)
	v_fma_f64 v[4:5], v[40:41], v[204:205], -v[4:5]
	v_fmac_f64_e32 v[20:21], v[42:43], v[204:205]
	s_delay_alu instid0(VALU_DEP_2) | instskip(NEXT) | instid1(VALU_DEP_2)
	v_add_f64_e32 v[14:15], v[14:15], v[4:5]
	v_add_f64_e32 v[16:17], v[16:17], v[20:21]
.LBB93_98:                              ;   in Loop: Header=BB93_3 Depth=1
	s_or_b32 exec_lo, exec_lo, s16
	s_barrier_signal -1
	s_barrier_wait -1
	s_and_saveexec_b32 s16, s79
; %bb.99:                               ;   in Loop: Header=BB93_3 Depth=1
	ds_store_b128 v188, v[14:17]
; %bb.100:                              ;   in Loop: Header=BB93_3 Depth=1
	s_or_b32 exec_lo, exec_lo, s16
	s_wait_dscnt 0x0
	s_barrier_signal -1
	s_barrier_wait -1
	s_and_saveexec_b32 s16, s80
	s_cbranch_execz .LBB93_102
; %bb.101:                              ;   in Loop: Header=BB93_3 Depth=1
	ds_load_b128 v[40:43], v188
	ds_load_b128 v[204:207], v184 offset:4736
	s_wait_dscnt 0x0
	v_mul_f64_e32 v[4:5], v[42:43], v[206:207]
	v_mul_f64_e32 v[20:21], v[40:41], v[206:207]
	s_delay_alu instid0(VALU_DEP_2) | instskip(NEXT) | instid1(VALU_DEP_2)
	v_fma_f64 v[4:5], v[40:41], v[204:205], -v[4:5]
	v_fmac_f64_e32 v[20:21], v[42:43], v[204:205]
	s_delay_alu instid0(VALU_DEP_2) | instskip(NEXT) | instid1(VALU_DEP_2)
	v_add_f64_e32 v[14:15], v[14:15], v[4:5]
	v_add_f64_e32 v[16:17], v[16:17], v[20:21]
.LBB93_102:                             ;   in Loop: Header=BB93_3 Depth=1
	s_or_b32 exec_lo, exec_lo, s16
	s_barrier_signal -1
	s_barrier_wait -1
	s_and_saveexec_b32 s16, s81
; %bb.103:                              ;   in Loop: Header=BB93_3 Depth=1
	ds_store_b128 v188, v[14:17]
; %bb.104:                              ;   in Loop: Header=BB93_3 Depth=1
	s_or_b32 exec_lo, exec_lo, s16
	s_wait_dscnt 0x0
	s_barrier_signal -1
	s_barrier_wait -1
	s_and_saveexec_b32 s16, s82
	s_cbranch_execz .LBB93_106
; %bb.105:                              ;   in Loop: Header=BB93_3 Depth=1
	ds_load_b128 v[40:43], v188
	ds_load_b128 v[204:207], v184 offset:5248
	s_wait_dscnt 0x0
	v_mul_f64_e32 v[4:5], v[42:43], v[206:207]
	v_mul_f64_e32 v[20:21], v[40:41], v[206:207]
	s_delay_alu instid0(VALU_DEP_2) | instskip(NEXT) | instid1(VALU_DEP_2)
	v_fma_f64 v[4:5], v[40:41], v[204:205], -v[4:5]
	v_fmac_f64_e32 v[20:21], v[42:43], v[204:205]
	s_delay_alu instid0(VALU_DEP_2) | instskip(NEXT) | instid1(VALU_DEP_2)
	v_add_f64_e32 v[14:15], v[14:15], v[4:5]
	v_add_f64_e32 v[16:17], v[16:17], v[20:21]
.LBB93_106:                             ;   in Loop: Header=BB93_3 Depth=1
	s_or_b32 exec_lo, exec_lo, s16
	s_barrier_signal -1
	s_barrier_wait -1
	s_and_saveexec_b32 s16, s83
; %bb.107:                              ;   in Loop: Header=BB93_3 Depth=1
	;; [unrolled: 26-line block ×6, first 2 shown]
	ds_store_b128 v188, v[14:17]
; %bb.124:                              ;   in Loop: Header=BB93_3 Depth=1
	s_or_b32 exec_lo, exec_lo, s16
	s_wait_dscnt 0x0
	s_barrier_signal -1
	s_barrier_wait -1
	s_barrier_signal -1
	s_barrier_wait -1
	s_and_saveexec_b32 s16, s5
; %bb.125:                              ;   in Loop: Header=BB93_3 Depth=1
	v_xor_b32_e32 v15, 0x80000000, v15
	v_xor_b32_e32 v17, 0x80000000, v17
	ds_store_b128 v189, v[14:17] offset:128
; %bb.126:                              ;   in Loop: Header=BB93_3 Depth=1
	s_or_b32 exec_lo, exec_lo, s16
	s_wait_dscnt 0x0
	s_barrier_signal -1
	s_barrier_wait -1
	s_barrier_signal -1
	s_barrier_wait -1
	s_and_saveexec_b32 s16, s91
	s_cbranch_execz .LBB93_128
; %bb.127:                              ;   in Loop: Header=BB93_3 Depth=1
	ds_load_b128 v[14:17], v51
	s_wait_dscnt 0x0
	ds_store_b128 v138, v[14:17]
	ds_load_b128 v[14:17], v52
	s_wait_dscnt 0x0
	ds_store_b128 v139, v[14:17]
	;; [unrolled: 3-line block ×8, first 2 shown]
.LBB93_128:                             ;   in Loop: Header=BB93_3 Depth=1
	s_or_b32 exec_lo, exec_lo, s16
	s_wait_dscnt 0x0
	s_barrier_signal -1
	s_barrier_wait -1
	s_and_saveexec_b32 s17, s27
	s_cbranch_execz .LBB93_130
; %bb.129:                              ;   in Loop: Header=BB93_3 Depth=1
	s_mov_b32 s36, s35
	s_mov_b32 s38, s35
	;; [unrolled: 1-line block ×3, first 2 shown]
	v_mov_b64_e32 v[14:15], s[36:37]
	v_mov_b64_e32 v[16:17], s[38:39]
	ds_store_b128 v2, v[14:17] offset:4224
	ds_store_b128 v2, v[14:17] offset:4752
	ds_load_b128 v[14:17], v2 offset:4240
	s_wait_dscnt 0x0
	ds_store_b128 v2, v[14:17] offset:4736
.LBB93_130:                             ;   in Loop: Header=BB93_3 Depth=1
	s_or_b32 exec_lo, exec_lo, s17
	v_mov_b64_e32 v[16:17], 0
	v_mov_b64_e32 v[14:15], 0
	s_wait_dscnt 0x0
	s_barrier_signal -1
	s_barrier_wait -1
	s_and_saveexec_b32 s36, s2
	s_cbranch_execz .LBB93_134
; %bb.131:                              ;   in Loop: Header=BB93_3 Depth=1
	ds_load_b128 v[14:17], v183 offset:4224
	ds_load_b128 v[40:43], v182 offset:4256
	s_wait_dscnt 0x0
	v_mul_f64_e32 v[4:5], v[16:17], v[42:43]
	v_mul_f64_e32 v[20:21], v[14:15], v[42:43]
	s_delay_alu instid0(VALU_DEP_2) | instskip(NEXT) | instid1(VALU_DEP_2)
	v_fma_f64 v[4:5], v[14:15], v[40:41], -v[4:5]
	v_fmac_f64_e32 v[20:21], v[16:17], v[40:41]
	s_delay_alu instid0(VALU_DEP_2) | instskip(NEXT) | instid1(VALU_DEP_2)
	v_add_f64_e32 v[14:15], 0, v[4:5]
	v_add_f64_e32 v[16:17], 0, v[20:21]
	s_and_saveexec_b32 s16, s8
	s_cbranch_execz .LBB93_133
; %bb.132:                              ;   in Loop: Header=BB93_3 Depth=1
	ds_load_b128 v[40:43], v2 offset:4240
	ds_load_b128 v[204:207], v44 offset:4768
	s_wait_dscnt 0x0
	v_mul_f64_e32 v[4:5], v[42:43], v[206:207]
	v_mul_f64_e32 v[20:21], v[40:41], v[206:207]
	s_delay_alu instid0(VALU_DEP_2) | instskip(NEXT) | instid1(VALU_DEP_2)
	v_fma_f64 v[4:5], v[40:41], v[204:205], -v[4:5]
	v_fmac_f64_e32 v[20:21], v[42:43], v[204:205]
	s_delay_alu instid0(VALU_DEP_2) | instskip(NEXT) | instid1(VALU_DEP_2)
	v_add_f64_e32 v[14:15], v[14:15], v[4:5]
	v_add_f64_e32 v[16:17], v[16:17], v[20:21]
.LBB93_133:                             ;   in Loop: Header=BB93_3 Depth=1
	s_or_b32 exec_lo, exec_lo, s16
	s_delay_alu instid0(VALU_DEP_2) | instskip(NEXT) | instid1(VALU_DEP_2)
	v_xor_b32_e32 v15, 0x80000000, v15
	v_xor_b32_e32 v17, 0x80000000, v17
.LBB93_134:                             ;   in Loop: Header=BB93_3 Depth=1
	s_or_b32 exec_lo, exec_lo, s36
	s_and_saveexec_b32 s16, s67
; %bb.135:                              ;   in Loop: Header=BB93_3 Depth=1
	ds_store_b128 v27, v[14:17]
; %bb.136:                              ;   in Loop: Header=BB93_3 Depth=1
	s_or_b32 exec_lo, exec_lo, s16
	s_wait_dscnt 0x0
	s_barrier_signal -1
	s_barrier_wait -1
	s_and_saveexec_b32 s16, s68
	s_cbranch_execz .LBB93_138
; %bb.137:                              ;   in Loop: Header=BB93_3 Depth=1
	ds_load_b128 v[40:43], v27
	ds_load_b128 v[204:207], v2 offset:5296
	s_wait_dscnt 0x0
	v_mul_f64_e32 v[4:5], v[42:43], v[206:207]
	v_mul_f64_e32 v[20:21], v[40:41], v[206:207]
	s_delay_alu instid0(VALU_DEP_2) | instskip(NEXT) | instid1(VALU_DEP_2)
	v_fma_f64 v[4:5], v[40:41], v[204:205], -v[4:5]
	v_fmac_f64_e32 v[20:21], v[42:43], v[204:205]
	s_delay_alu instid0(VALU_DEP_2) | instskip(NEXT) | instid1(VALU_DEP_2)
	v_add_f64_e32 v[14:15], v[14:15], v[4:5]
	v_add_f64_e32 v[16:17], v[16:17], v[20:21]
.LBB93_138:                             ;   in Loop: Header=BB93_3 Depth=1
	s_or_b32 exec_lo, exec_lo, s16
	s_barrier_signal -1
	s_barrier_wait -1
	s_and_saveexec_b32 s16, s68
; %bb.139:                              ;   in Loop: Header=BB93_3 Depth=1
	ds_store_b128 v27, v[14:17]
; %bb.140:                              ;   in Loop: Header=BB93_3 Depth=1
	s_or_b32 exec_lo, exec_lo, s16
	s_wait_dscnt 0x0
	s_barrier_signal -1
	s_barrier_wait -1
	s_barrier_signal -1
	s_barrier_wait -1
	s_and_saveexec_b32 s16, s2
; %bb.141:                              ;   in Loop: Header=BB93_3 Depth=1
	v_xor_b32_e32 v15, 0x80000000, v15
	v_xor_b32_e32 v17, 0x80000000, v17
	ds_store_b128 v182, v[14:17] offset:4256
; %bb.142:                              ;   in Loop: Header=BB93_3 Depth=1
	s_or_b32 exec_lo, exec_lo, s16
	s_wait_dscnt 0x0
	s_barrier_signal -1
	s_barrier_wait -1
	s_barrier_signal -1
	s_barrier_wait -1
	s_and_saveexec_b32 s16, s69
	s_cbranch_execz .LBB93_144
; %bb.143:                              ;   in Loop: Header=BB93_3 Depth=1
	ds_load_b128 v[14:17], v73
	s_wait_dscnt 0x0
	ds_store_b128 v146, v[14:17]
	ds_load_b128 v[14:17], v74
	s_wait_dscnt 0x0
	ds_store_b128 v147, v[14:17]
.LBB93_144:                             ;   in Loop: Header=BB93_3 Depth=1
	s_or_b32 exec_lo, exec_lo, s16
	s_wait_dscnt 0x0
	s_barrier_signal -1
	s_barrier_wait -1
	s_and_saveexec_b32 s17, s27
	s_cbranch_execz .LBB93_146
; %bb.145:                              ;   in Loop: Header=BB93_3 Depth=1
	s_mov_b32 s36, s35
	s_mov_b32 s38, s35
	s_mov_b32 s39, s35
	v_mov_b64_e32 v[14:15], s[36:37]
	v_mov_b64_e32 v[16:17], s[38:39]
	ds_store_b128 v2, v[14:17] offset:5280
	ds_store_b128 v2, v[14:17] offset:5808
	ds_load_b128 v[14:17], v2 offset:5296
	s_wait_dscnt 0x0
	ds_store_b128 v2, v[14:17] offset:5792
.LBB93_146:                             ;   in Loop: Header=BB93_3 Depth=1
	s_or_b32 exec_lo, exec_lo, s17
	v_mov_b64_e32 v[16:17], 0
	v_mov_b64_e32 v[14:15], 0
	s_wait_dscnt 0x0
	s_barrier_signal -1
	s_barrier_wait -1
	s_and_saveexec_b32 s36, s4
	s_cbranch_execz .LBB93_152
; %bb.147:                              ;   in Loop: Header=BB93_3 Depth=1
	ds_load_b128 v[14:17], v46 offset:4224
	ds_load_b128 v[40:43], v186 offset:4288
	s_wait_dscnt 0x0
	v_mul_f64_e32 v[4:5], v[16:17], v[42:43]
	v_mul_f64_e32 v[20:21], v[14:15], v[42:43]
	s_delay_alu instid0(VALU_DEP_2) | instskip(NEXT) | instid1(VALU_DEP_2)
	v_fma_f64 v[4:5], v[14:15], v[40:41], -v[4:5]
	v_fmac_f64_e32 v[20:21], v[16:17], v[40:41]
	s_delay_alu instid0(VALU_DEP_2) | instskip(NEXT) | instid1(VALU_DEP_2)
	v_add_f64_e32 v[14:15], 0, v[4:5]
	v_add_f64_e32 v[16:17], 0, v[20:21]
	s_and_saveexec_b32 s16, s9
	s_cbranch_execnz .LBB93_526
; %bb.148:                              ;   in Loop: Header=BB93_3 Depth=1
	s_or_b32 exec_lo, exec_lo, s16
	s_and_saveexec_b32 s16, s10
	s_cbranch_execnz .LBB93_527
.LBB93_149:                             ;   in Loop: Header=BB93_3 Depth=1
	s_or_b32 exec_lo, exec_lo, s16
	s_and_saveexec_b32 s16, s2
	s_cbranch_execz .LBB93_151
.LBB93_150:                             ;   in Loop: Header=BB93_3 Depth=1
	ds_load_b128 v[40:43], v2 offset:4272
	ds_load_b128 v[204:207], v71 offset:5824
	s_wait_dscnt 0x0
	v_mul_f64_e32 v[4:5], v[42:43], v[206:207]
	v_mul_f64_e32 v[20:21], v[40:41], v[206:207]
	s_delay_alu instid0(VALU_DEP_2) | instskip(NEXT) | instid1(VALU_DEP_2)
	v_fma_f64 v[4:5], v[40:41], v[204:205], -v[4:5]
	v_fmac_f64_e32 v[20:21], v[42:43], v[204:205]
	s_delay_alu instid0(VALU_DEP_2) | instskip(NEXT) | instid1(VALU_DEP_2)
	v_add_f64_e32 v[14:15], v[14:15], v[4:5]
	v_add_f64_e32 v[16:17], v[16:17], v[20:21]
.LBB93_151:                             ;   in Loop: Header=BB93_3 Depth=1
	s_or_b32 exec_lo, exec_lo, s16
	s_delay_alu instid0(VALU_DEP_2) | instskip(NEXT) | instid1(VALU_DEP_2)
	v_xor_b32_e32 v15, 0x80000000, v15
	v_xor_b32_e32 v17, 0x80000000, v17
.LBB93_152:                             ;   in Loop: Header=BB93_3 Depth=1
	s_or_b32 exec_lo, exec_lo, s36
	s_and_saveexec_b32 s16, s70
; %bb.153:                              ;   in Loop: Header=BB93_3 Depth=1
	ds_store_b128 v185, v[14:17]
; %bb.154:                              ;   in Loop: Header=BB93_3 Depth=1
	s_or_b32 exec_lo, exec_lo, s16
	s_wait_dscnt 0x0
	s_barrier_signal -1
	s_barrier_wait -1
	s_and_saveexec_b32 s16, s71
	s_cbranch_execz .LBB93_156
; %bb.155:                              ;   in Loop: Header=BB93_3 Depth=1
	ds_load_b128 v[40:43], v185
	ds_load_b128 v[204:207], v181 offset:6336
	s_wait_dscnt 0x0
	v_mul_f64_e32 v[4:5], v[42:43], v[206:207]
	v_mul_f64_e32 v[20:21], v[40:41], v[206:207]
	s_delay_alu instid0(VALU_DEP_2) | instskip(NEXT) | instid1(VALU_DEP_2)
	v_fma_f64 v[4:5], v[40:41], v[204:205], -v[4:5]
	v_fmac_f64_e32 v[20:21], v[42:43], v[204:205]
	s_delay_alu instid0(VALU_DEP_2) | instskip(NEXT) | instid1(VALU_DEP_2)
	v_add_f64_e32 v[14:15], v[14:15], v[4:5]
	v_add_f64_e32 v[16:17], v[16:17], v[20:21]
.LBB93_156:                             ;   in Loop: Header=BB93_3 Depth=1
	s_or_b32 exec_lo, exec_lo, s16
	s_barrier_signal -1
	s_barrier_wait -1
	s_and_saveexec_b32 s16, s72
; %bb.157:                              ;   in Loop: Header=BB93_3 Depth=1
	ds_store_b128 v185, v[14:17]
; %bb.158:                              ;   in Loop: Header=BB93_3 Depth=1
	s_or_b32 exec_lo, exec_lo, s16
	s_wait_dscnt 0x0
	s_barrier_signal -1
	s_barrier_wait -1
	s_and_saveexec_b32 s16, s73
	s_cbranch_execz .LBB93_160
; %bb.159:                              ;   in Loop: Header=BB93_3 Depth=1
	ds_load_b128 v[40:43], v185
	ds_load_b128 v[204:207], v181 offset:6848
	s_wait_dscnt 0x0
	v_mul_f64_e32 v[4:5], v[42:43], v[206:207]
	v_mul_f64_e32 v[20:21], v[40:41], v[206:207]
	s_delay_alu instid0(VALU_DEP_2) | instskip(NEXT) | instid1(VALU_DEP_2)
	v_fma_f64 v[4:5], v[40:41], v[204:205], -v[4:5]
	v_fmac_f64_e32 v[20:21], v[42:43], v[204:205]
	s_delay_alu instid0(VALU_DEP_2) | instskip(NEXT) | instid1(VALU_DEP_2)
	v_add_f64_e32 v[14:15], v[14:15], v[4:5]
	v_add_f64_e32 v[16:17], v[16:17], v[20:21]
.LBB93_160:                             ;   in Loop: Header=BB93_3 Depth=1
	s_or_b32 exec_lo, exec_lo, s16
	s_barrier_signal -1
	s_barrier_wait -1
	;; [unrolled: 26-line block ×3, first 2 shown]
	s_and_saveexec_b32 s16, s75
; %bb.165:                              ;   in Loop: Header=BB93_3 Depth=1
	ds_store_b128 v185, v[14:17]
; %bb.166:                              ;   in Loop: Header=BB93_3 Depth=1
	s_or_b32 exec_lo, exec_lo, s16
	s_wait_dscnt 0x0
	s_barrier_signal -1
	s_barrier_wait -1
	s_barrier_signal -1
	s_barrier_wait -1
	s_and_saveexec_b32 s16, s4
; %bb.167:                              ;   in Loop: Header=BB93_3 Depth=1
	v_xor_b32_e32 v17, 0x80000000, v17
	v_xor_b32_e32 v15, 0x80000000, v15
	ds_store_b128 v186, v[14:17] offset:4288
; %bb.168:                              ;   in Loop: Header=BB93_3 Depth=1
	s_or_b32 exec_lo, exec_lo, s16
	s_wait_dscnt 0x0
	s_barrier_signal -1
	s_barrier_wait -1
	s_barrier_signal -1
	s_barrier_wait -1
	s_and_saveexec_b32 s16, s76
	s_cbranch_execz .LBB93_170
; %bb.169:                              ;   in Loop: Header=BB93_3 Depth=1
	ds_load_b128 v[14:17], v83
	s_wait_dscnt 0x0
	ds_store_b128 v149, v[14:17]
	ds_load_b128 v[14:17], v86
	s_wait_dscnt 0x0
	ds_store_b128 v152, v[14:17]
	;; [unrolled: 3-line block ×4, first 2 shown]
.LBB93_170:                             ;   in Loop: Header=BB93_3 Depth=1
	s_or_b32 exec_lo, exec_lo, s16
	s_wait_dscnt 0x0
	s_barrier_signal -1
	s_barrier_wait -1
	s_and_saveexec_b32 s17, s27
	s_cbranch_execz .LBB93_172
; %bb.171:                              ;   in Loop: Header=BB93_3 Depth=1
	s_mov_b32 s36, s35
	s_mov_b32 s38, s35
	;; [unrolled: 1-line block ×3, first 2 shown]
	v_mov_b64_e32 v[14:15], s[36:37]
	v_mov_b64_e32 v[16:17], s[38:39]
	ds_store_b128 v2, v[14:17] offset:6336
	ds_store_b128 v2, v[14:17] offset:6864
	ds_load_b128 v[14:17], v2 offset:6352
	s_wait_dscnt 0x0
	ds_store_b128 v2, v[14:17] offset:6848
.LBB93_172:                             ;   in Loop: Header=BB93_3 Depth=1
	s_or_b32 exec_lo, exec_lo, s17
	v_mov_b64_e32 v[16:17], 0
	v_mov_b64_e32 v[14:15], 0
	s_wait_dscnt 0x0
	s_barrier_signal -1
	s_barrier_wait -1
	s_and_saveexec_b32 s36, s2
	s_cbranch_execz .LBB93_176
; %bb.173:                              ;   in Loop: Header=BB93_3 Depth=1
	ds_load_b128 v[14:17], v183 offset:6336
	ds_load_b128 v[40:43], v182 offset:6368
	s_wait_dscnt 0x0
	v_mul_f64_e32 v[4:5], v[16:17], v[42:43]
	v_mul_f64_e32 v[20:21], v[14:15], v[42:43]
	s_delay_alu instid0(VALU_DEP_2) | instskip(NEXT) | instid1(VALU_DEP_2)
	v_fma_f64 v[4:5], v[14:15], v[40:41], -v[4:5]
	v_fmac_f64_e32 v[20:21], v[16:17], v[40:41]
	s_delay_alu instid0(VALU_DEP_2) | instskip(NEXT) | instid1(VALU_DEP_2)
	v_add_f64_e32 v[14:15], 0, v[4:5]
	v_add_f64_e32 v[16:17], 0, v[20:21]
	s_and_saveexec_b32 s16, s8
	s_cbranch_execz .LBB93_175
; %bb.174:                              ;   in Loop: Header=BB93_3 Depth=1
	ds_load_b128 v[40:43], v2 offset:6352
	ds_load_b128 v[204:207], v82 offset:6880
	s_wait_dscnt 0x0
	v_mul_f64_e32 v[4:5], v[42:43], v[206:207]
	v_mul_f64_e32 v[20:21], v[40:41], v[206:207]
	s_delay_alu instid0(VALU_DEP_2) | instskip(NEXT) | instid1(VALU_DEP_2)
	v_fma_f64 v[4:5], v[40:41], v[204:205], -v[4:5]
	v_fmac_f64_e32 v[20:21], v[42:43], v[204:205]
	s_delay_alu instid0(VALU_DEP_2) | instskip(NEXT) | instid1(VALU_DEP_2)
	v_add_f64_e32 v[14:15], v[14:15], v[4:5]
	v_add_f64_e32 v[16:17], v[16:17], v[20:21]
.LBB93_175:                             ;   in Loop: Header=BB93_3 Depth=1
	s_or_b32 exec_lo, exec_lo, s16
	s_delay_alu instid0(VALU_DEP_2) | instskip(NEXT) | instid1(VALU_DEP_2)
	v_xor_b32_e32 v15, 0x80000000, v15
	v_xor_b32_e32 v17, 0x80000000, v17
.LBB93_176:                             ;   in Loop: Header=BB93_3 Depth=1
	s_or_b32 exec_lo, exec_lo, s36
	s_and_saveexec_b32 s16, s67
; %bb.177:                              ;   in Loop: Header=BB93_3 Depth=1
	ds_store_b128 v27, v[14:17]
; %bb.178:                              ;   in Loop: Header=BB93_3 Depth=1
	s_or_b32 exec_lo, exec_lo, s16
	s_wait_dscnt 0x0
	s_barrier_signal -1
	s_barrier_wait -1
	s_and_saveexec_b32 s16, s68
	s_cbranch_execz .LBB93_180
; %bb.179:                              ;   in Loop: Header=BB93_3 Depth=1
	ds_load_b128 v[40:43], v27
	ds_load_b128 v[204:207], v2 offset:7408
	s_wait_dscnt 0x0
	v_mul_f64_e32 v[4:5], v[42:43], v[206:207]
	v_mul_f64_e32 v[20:21], v[40:41], v[206:207]
	s_delay_alu instid0(VALU_DEP_2) | instskip(NEXT) | instid1(VALU_DEP_2)
	v_fma_f64 v[4:5], v[40:41], v[204:205], -v[4:5]
	v_fmac_f64_e32 v[20:21], v[42:43], v[204:205]
	s_delay_alu instid0(VALU_DEP_2) | instskip(NEXT) | instid1(VALU_DEP_2)
	v_add_f64_e32 v[14:15], v[14:15], v[4:5]
	v_add_f64_e32 v[16:17], v[16:17], v[20:21]
.LBB93_180:                             ;   in Loop: Header=BB93_3 Depth=1
	s_or_b32 exec_lo, exec_lo, s16
	s_barrier_signal -1
	s_barrier_wait -1
	s_and_saveexec_b32 s16, s68
; %bb.181:                              ;   in Loop: Header=BB93_3 Depth=1
	ds_store_b128 v27, v[14:17]
; %bb.182:                              ;   in Loop: Header=BB93_3 Depth=1
	s_or_b32 exec_lo, exec_lo, s16
	s_wait_dscnt 0x0
	s_barrier_signal -1
	s_barrier_wait -1
	s_barrier_signal -1
	s_barrier_wait -1
	s_and_saveexec_b32 s16, s2
; %bb.183:                              ;   in Loop: Header=BB93_3 Depth=1
	v_xor_b32_e32 v15, 0x80000000, v15
	v_xor_b32_e32 v17, 0x80000000, v17
	ds_store_b128 v182, v[14:17] offset:6368
; %bb.184:                              ;   in Loop: Header=BB93_3 Depth=1
	s_or_b32 exec_lo, exec_lo, s16
	s_wait_dscnt 0x0
	s_barrier_signal -1
	s_barrier_wait -1
	s_barrier_signal -1
	s_barrier_wait -1
	s_and_saveexec_b32 s16, s69
	s_cbranch_execz .LBB93_186
; %bb.185:                              ;   in Loop: Header=BB93_3 Depth=1
	ds_load_b128 v[14:17], v92
	s_wait_dscnt 0x0
	ds_store_b128 v95, v[14:17]
	ds_load_b128 v[14:17], v93
	s_wait_dscnt 0x0
	ds_store_b128 v96, v[14:17]
.LBB93_186:                             ;   in Loop: Header=BB93_3 Depth=1
	s_or_b32 exec_lo, exec_lo, s16
	s_wait_dscnt 0x0
	s_barrier_signal -1
	s_barrier_wait -1
	s_and_saveexec_b32 s17, s27
	s_cbranch_execz .LBB93_188
; %bb.187:                              ;   in Loop: Header=BB93_3 Depth=1
	s_mov_b32 s36, s35
	s_mov_b32 s38, s35
	;; [unrolled: 1-line block ×3, first 2 shown]
	v_mov_b64_e32 v[14:15], s[36:37]
	v_mov_b64_e32 v[16:17], s[38:39]
	ds_store_b128 v2, v[14:17] offset:7392
	ds_store_b128 v2, v[14:17] offset:7920
	ds_load_b128 v[14:17], v2 offset:7408
	s_wait_dscnt 0x0
	ds_store_b128 v2, v[14:17] offset:7904
.LBB93_188:                             ;   in Loop: Header=BB93_3 Depth=1
	s_or_b32 exec_lo, exec_lo, s17
	v_mov_b64_e32 v[16:17], 0
	v_mov_b64_e32 v[14:15], 0
	s_wait_dscnt 0x0
	s_barrier_signal -1
	s_barrier_wait -1
	s_and_saveexec_b32 s36, s6
	s_cbranch_execz .LBB93_216
; %bb.189:                              ;   in Loop: Header=BB93_3 Depth=1
	v_add_nc_u32_e32 v3, v68, v148
	ds_load_b128 v[14:17], v3
	ds_load_b128 v[40:43], v154 offset:256
	s_wait_dscnt 0x0
	v_mul_f64_e32 v[4:5], v[16:17], v[42:43]
	v_mul_f64_e32 v[20:21], v[14:15], v[42:43]
	s_delay_alu instid0(VALU_DEP_2) | instskip(NEXT) | instid1(VALU_DEP_2)
	v_fma_f64 v[4:5], v[14:15], v[40:41], -v[4:5]
	v_fmac_f64_e32 v[20:21], v[16:17], v[40:41]
	s_delay_alu instid0(VALU_DEP_2) | instskip(NEXT) | instid1(VALU_DEP_2)
	v_add_f64_e32 v[14:15], 0, v[4:5]
	v_add_f64_e32 v[16:17], 0, v[20:21]
	s_mov_b32 s16, exec_lo
	v_readlane_b32 s17, v203, 20
	s_and_b32 s17, s16, s17
	s_delay_alu instid0(SALU_CYCLE_1)
	s_mov_b32 exec_lo, s17
	s_cbranch_execz .LBB93_191
; %bb.190:                              ;   in Loop: Header=BB93_3 Depth=1
	ds_load_b128 v[40:43], v3 offset:16
	ds_load_b128 v[204:207], v154 offset:768
	s_wait_dscnt 0x0
	v_mul_f64_e32 v[4:5], v[42:43], v[206:207]
	v_mul_f64_e32 v[20:21], v[40:41], v[206:207]
	s_delay_alu instid0(VALU_DEP_2) | instskip(NEXT) | instid1(VALU_DEP_2)
	v_fma_f64 v[4:5], v[40:41], v[204:205], -v[4:5]
	v_fmac_f64_e32 v[20:21], v[42:43], v[204:205]
	s_delay_alu instid0(VALU_DEP_2) | instskip(NEXT) | instid1(VALU_DEP_2)
	v_add_f64_e32 v[14:15], v[14:15], v[4:5]
	v_add_f64_e32 v[16:17], v[16:17], v[20:21]
.LBB93_191:                             ;   in Loop: Header=BB93_3 Depth=1
	s_or_b32 exec_lo, exec_lo, s16
	s_delay_alu instid0(SALU_CYCLE_1) | instskip(SKIP_2) | instid1(SALU_CYCLE_1)
	s_mov_b32 s16, exec_lo
	v_readlane_b32 s17, v203, 21
	s_and_b32 s17, s16, s17
	s_mov_b32 exec_lo, s17
	s_cbranch_execz .LBB93_193
; %bb.192:                              ;   in Loop: Header=BB93_3 Depth=1
	ds_load_b128 v[40:43], v3 offset:32
	ds_load_b128 v[204:207], v154 offset:1280
	s_wait_dscnt 0x0
	v_mul_f64_e32 v[4:5], v[42:43], v[206:207]
	v_mul_f64_e32 v[20:21], v[40:41], v[206:207]
	s_delay_alu instid0(VALU_DEP_2) | instskip(NEXT) | instid1(VALU_DEP_2)
	v_fma_f64 v[4:5], v[40:41], v[204:205], -v[4:5]
	v_fmac_f64_e32 v[20:21], v[42:43], v[204:205]
	s_delay_alu instid0(VALU_DEP_2) | instskip(NEXT) | instid1(VALU_DEP_2)
	v_add_f64_e32 v[14:15], v[14:15], v[4:5]
	v_add_f64_e32 v[16:17], v[16:17], v[20:21]
.LBB93_193:                             ;   in Loop: Header=BB93_3 Depth=1
	s_or_b32 exec_lo, exec_lo, s16
	s_delay_alu instid0(SALU_CYCLE_1) | instskip(SKIP_2) | instid1(SALU_CYCLE_1)
	s_mov_b32 s16, exec_lo
	v_readlane_b32 s17, v203, 22
	s_and_b32 s17, s16, s17
	;; [unrolled: 20-line block ×10, first 2 shown]
	s_mov_b32 exec_lo, s17
	s_cbranch_execnz .LBB93_528
; %bb.210:                              ;   in Loop: Header=BB93_3 Depth=1
	s_or_b32 exec_lo, exec_lo, s16
	s_and_saveexec_b32 s16, s5
	s_cbranch_execnz .LBB93_529
.LBB93_211:                             ;   in Loop: Header=BB93_3 Depth=1
	s_or_b32 exec_lo, exec_lo, s16
	s_and_saveexec_b32 s16, s12
	s_cbranch_execnz .LBB93_530
.LBB93_212:                             ;   in Loop: Header=BB93_3 Depth=1
	s_or_b32 exec_lo, exec_lo, s16
	s_and_saveexec_b32 s16, s14
	s_cbranch_execnz .LBB93_531
.LBB93_213:                             ;   in Loop: Header=BB93_3 Depth=1
	s_or_b32 exec_lo, exec_lo, s16
	s_and_saveexec_b32 s16, s4
	s_cbranch_execz .LBB93_215
.LBB93_214:                             ;   in Loop: Header=BB93_3 Depth=1
	ds_load_b128 v[40:43], v2 offset:240
	ds_load_b128 v[204:207], v25 offset:7936
	s_wait_dscnt 0x0
	v_mul_f64_e32 v[4:5], v[42:43], v[206:207]
	v_mul_f64_e32 v[20:21], v[40:41], v[206:207]
	s_delay_alu instid0(VALU_DEP_2) | instskip(NEXT) | instid1(VALU_DEP_2)
	v_fma_f64 v[4:5], v[40:41], v[204:205], -v[4:5]
	v_fmac_f64_e32 v[20:21], v[42:43], v[204:205]
	s_delay_alu instid0(VALU_DEP_2) | instskip(NEXT) | instid1(VALU_DEP_2)
	v_add_f64_e32 v[14:15], v[14:15], v[4:5]
	v_add_f64_e32 v[16:17], v[16:17], v[20:21]
.LBB93_215:                             ;   in Loop: Header=BB93_3 Depth=1
	s_or_b32 exec_lo, exec_lo, s16
	s_delay_alu instid0(VALU_DEP_2) | instskip(NEXT) | instid1(VALU_DEP_2)
	v_xor_b32_e32 v15, 0x80000000, v15
	v_xor_b32_e32 v17, 0x80000000, v17
.LBB93_216:                             ;   in Loop: Header=BB93_3 Depth=1
	s_or_b32 exec_lo, exec_lo, s36
	s_delay_alu instid0(SALU_CYCLE_1) | instskip(SKIP_2) | instid1(SALU_CYCLE_1)
	s_mov_b32 s16, exec_lo
	v_readlane_b32 s17, v203, 0
	s_and_b32 s17, s16, s17
	s_mov_b32 exec_lo, s17
; %bb.217:                              ;   in Loop: Header=BB93_3 Depth=1
	ds_store_b128 v153, v[14:17]
; %bb.218:                              ;   in Loop: Header=BB93_3 Depth=1
	s_or_b32 exec_lo, exec_lo, s16
	s_wait_dscnt 0x0
	s_barrier_signal -1
	s_barrier_wait -1
	s_mov_b32 s16, exec_lo
	v_readlane_b32 s17, v203, 1
	s_and_b32 s17, s16, s17
	s_delay_alu instid0(SALU_CYCLE_1)
	s_mov_b32 exec_lo, s17
	s_cbranch_execz .LBB93_220
; %bb.219:                              ;   in Loop: Header=BB93_3 Depth=1
	ds_load_b128 v[40:43], v153
	ds_load_b128 v[204:207], v69 offset:8448
	s_wait_dscnt 0x0
	v_mul_f64_e32 v[4:5], v[42:43], v[206:207]
	v_mul_f64_e32 v[20:21], v[40:41], v[206:207]
	s_delay_alu instid0(VALU_DEP_2) | instskip(NEXT) | instid1(VALU_DEP_2)
	v_fma_f64 v[4:5], v[40:41], v[204:205], -v[4:5]
	v_fmac_f64_e32 v[20:21], v[42:43], v[204:205]
	s_delay_alu instid0(VALU_DEP_2) | instskip(NEXT) | instid1(VALU_DEP_2)
	v_add_f64_e32 v[14:15], v[14:15], v[4:5]
	v_add_f64_e32 v[16:17], v[16:17], v[20:21]
.LBB93_220:                             ;   in Loop: Header=BB93_3 Depth=1
	s_or_b32 exec_lo, exec_lo, s16
	s_barrier_signal -1
	s_barrier_wait -1
	s_mov_b32 s16, exec_lo
	v_readlane_b32 s17, v203, 2
	s_and_b32 s17, s16, s17
	s_delay_alu instid0(SALU_CYCLE_1)
	s_mov_b32 exec_lo, s17
; %bb.221:                              ;   in Loop: Header=BB93_3 Depth=1
	ds_store_b128 v153, v[14:17]
; %bb.222:                              ;   in Loop: Header=BB93_3 Depth=1
	s_or_b32 exec_lo, exec_lo, s16
	s_wait_dscnt 0x0
	s_barrier_signal -1
	s_barrier_wait -1
	s_mov_b32 s16, exec_lo
	v_readlane_b32 s17, v203, 3
	s_and_b32 s17, s16, s17
	s_delay_alu instid0(SALU_CYCLE_1)
	s_mov_b32 exec_lo, s17
	s_cbranch_execz .LBB93_224
; %bb.223:                              ;   in Loop: Header=BB93_3 Depth=1
	ds_load_b128 v[40:43], v153
	ds_load_b128 v[204:207], v69 offset:8960
	s_wait_dscnt 0x0
	v_mul_f64_e32 v[4:5], v[42:43], v[206:207]
	v_mul_f64_e32 v[20:21], v[40:41], v[206:207]
	s_delay_alu instid0(VALU_DEP_2) | instskip(NEXT) | instid1(VALU_DEP_2)
	v_fma_f64 v[4:5], v[40:41], v[204:205], -v[4:5]
	v_fmac_f64_e32 v[20:21], v[42:43], v[204:205]
	s_delay_alu instid0(VALU_DEP_2) | instskip(NEXT) | instid1(VALU_DEP_2)
	v_add_f64_e32 v[14:15], v[14:15], v[4:5]
	v_add_f64_e32 v[16:17], v[16:17], v[20:21]
.LBB93_224:                             ;   in Loop: Header=BB93_3 Depth=1
	s_or_b32 exec_lo, exec_lo, s16
	s_barrier_signal -1
	s_barrier_wait -1
	s_mov_b32 s16, exec_lo
	v_readlane_b32 s17, v203, 4
	s_and_b32 s17, s16, s17
	s_delay_alu instid0(SALU_CYCLE_1)
	s_mov_b32 exec_lo, s17
; %bb.225:                              ;   in Loop: Header=BB93_3 Depth=1
	ds_store_b128 v153, v[14:17]
; %bb.226:                              ;   in Loop: Header=BB93_3 Depth=1
	s_or_b32 exec_lo, exec_lo, s16
	s_wait_dscnt 0x0
	s_barrier_signal -1
	s_barrier_wait -1
	s_mov_b32 s16, exec_lo
	v_readlane_b32 s17, v203, 5
	s_and_b32 s17, s16, s17
	s_delay_alu instid0(SALU_CYCLE_1)
	s_mov_b32 exec_lo, s17
	s_cbranch_execz .LBB93_228
; %bb.227:                              ;   in Loop: Header=BB93_3 Depth=1
	ds_load_b128 v[40:43], v153
	ds_load_b128 v[204:207], v69 offset:9472
	s_wait_dscnt 0x0
	v_mul_f64_e32 v[4:5], v[42:43], v[206:207]
	v_mul_f64_e32 v[20:21], v[40:41], v[206:207]
	s_delay_alu instid0(VALU_DEP_2) | instskip(NEXT) | instid1(VALU_DEP_2)
	v_fma_f64 v[4:5], v[40:41], v[204:205], -v[4:5]
	v_fmac_f64_e32 v[20:21], v[42:43], v[204:205]
	s_delay_alu instid0(VALU_DEP_2) | instskip(NEXT) | instid1(VALU_DEP_2)
	v_add_f64_e32 v[14:15], v[14:15], v[4:5]
	v_add_f64_e32 v[16:17], v[16:17], v[20:21]
.LBB93_228:                             ;   in Loop: Header=BB93_3 Depth=1
	s_or_b32 exec_lo, exec_lo, s16
	s_barrier_signal -1
	s_barrier_wait -1
	s_mov_b32 s16, exec_lo
	v_readlane_b32 s17, v203, 6
	s_and_b32 s17, s16, s17
	s_delay_alu instid0(SALU_CYCLE_1)
	s_mov_b32 exec_lo, s17
; %bb.229:                              ;   in Loop: Header=BB93_3 Depth=1
	ds_store_b128 v153, v[14:17]
; %bb.230:                              ;   in Loop: Header=BB93_3 Depth=1
	s_or_b32 exec_lo, exec_lo, s16
	s_wait_dscnt 0x0
	s_barrier_signal -1
	s_barrier_wait -1
	s_mov_b32 s16, exec_lo
	v_readlane_b32 s17, v203, 7
	s_and_b32 s17, s16, s17
	s_delay_alu instid0(SALU_CYCLE_1)
	s_mov_b32 exec_lo, s17
	s_cbranch_execz .LBB93_232
; %bb.231:                              ;   in Loop: Header=BB93_3 Depth=1
	ds_load_b128 v[40:43], v153
	ds_load_b128 v[204:207], v69 offset:9984
	s_wait_dscnt 0x0
	v_mul_f64_e32 v[4:5], v[42:43], v[206:207]
	v_mul_f64_e32 v[20:21], v[40:41], v[206:207]
	s_delay_alu instid0(VALU_DEP_2) | instskip(NEXT) | instid1(VALU_DEP_2)
	v_fma_f64 v[4:5], v[40:41], v[204:205], -v[4:5]
	v_fmac_f64_e32 v[20:21], v[42:43], v[204:205]
	s_delay_alu instid0(VALU_DEP_2) | instskip(NEXT) | instid1(VALU_DEP_2)
	v_add_f64_e32 v[14:15], v[14:15], v[4:5]
	v_add_f64_e32 v[16:17], v[16:17], v[20:21]
.LBB93_232:                             ;   in Loop: Header=BB93_3 Depth=1
	s_or_b32 exec_lo, exec_lo, s16
	s_barrier_signal -1
	s_barrier_wait -1
	s_mov_b32 s16, exec_lo
	v_readlane_b32 s17, v203, 8
	s_and_b32 s17, s16, s17
	s_delay_alu instid0(SALU_CYCLE_1)
	s_mov_b32 exec_lo, s17
; %bb.233:                              ;   in Loop: Header=BB93_3 Depth=1
	ds_store_b128 v153, v[14:17]
; %bb.234:                              ;   in Loop: Header=BB93_3 Depth=1
	s_or_b32 exec_lo, exec_lo, s16
	s_wait_dscnt 0x0
	s_barrier_signal -1
	s_barrier_wait -1
	s_mov_b32 s16, exec_lo
	v_readlane_b32 s17, v203, 9
	s_and_b32 s17, s16, s17
	s_delay_alu instid0(SALU_CYCLE_1)
	s_mov_b32 exec_lo, s17
	s_cbranch_execz .LBB93_236
; %bb.235:                              ;   in Loop: Header=BB93_3 Depth=1
	ds_load_b128 v[40:43], v153
	ds_load_b128 v[204:207], v69 offset:10496
	s_wait_dscnt 0x0
	v_mul_f64_e32 v[4:5], v[42:43], v[206:207]
	v_mul_f64_e32 v[20:21], v[40:41], v[206:207]
	s_delay_alu instid0(VALU_DEP_2) | instskip(NEXT) | instid1(VALU_DEP_2)
	v_fma_f64 v[4:5], v[40:41], v[204:205], -v[4:5]
	v_fmac_f64_e32 v[20:21], v[42:43], v[204:205]
	s_delay_alu instid0(VALU_DEP_2) | instskip(NEXT) | instid1(VALU_DEP_2)
	v_add_f64_e32 v[14:15], v[14:15], v[4:5]
	v_add_f64_e32 v[16:17], v[16:17], v[20:21]
.LBB93_236:                             ;   in Loop: Header=BB93_3 Depth=1
	s_or_b32 exec_lo, exec_lo, s16
	s_barrier_signal -1
	s_barrier_wait -1
	s_mov_b32 s16, exec_lo
	v_readlane_b32 s17, v203, 10
	s_and_b32 s17, s16, s17
	s_delay_alu instid0(SALU_CYCLE_1)
	s_mov_b32 exec_lo, s17
; %bb.237:                              ;   in Loop: Header=BB93_3 Depth=1
	ds_store_b128 v153, v[14:17]
; %bb.238:                              ;   in Loop: Header=BB93_3 Depth=1
	s_or_b32 exec_lo, exec_lo, s16
	s_wait_dscnt 0x0
	s_barrier_signal -1
	s_barrier_wait -1
	s_mov_b32 s16, exec_lo
	v_readlane_b32 s17, v203, 11
	s_and_b32 s17, s16, s17
	s_delay_alu instid0(SALU_CYCLE_1)
	s_mov_b32 exec_lo, s17
	s_cbranch_execz .LBB93_240
; %bb.239:                              ;   in Loop: Header=BB93_3 Depth=1
	ds_load_b128 v[40:43], v153
	ds_load_b128 v[204:207], v69 offset:11008
	s_wait_dscnt 0x0
	v_mul_f64_e32 v[4:5], v[42:43], v[206:207]
	v_mul_f64_e32 v[20:21], v[40:41], v[206:207]
	s_delay_alu instid0(VALU_DEP_2) | instskip(NEXT) | instid1(VALU_DEP_2)
	v_fma_f64 v[4:5], v[40:41], v[204:205], -v[4:5]
	v_fmac_f64_e32 v[20:21], v[42:43], v[204:205]
	s_delay_alu instid0(VALU_DEP_2) | instskip(NEXT) | instid1(VALU_DEP_2)
	v_add_f64_e32 v[14:15], v[14:15], v[4:5]
	v_add_f64_e32 v[16:17], v[16:17], v[20:21]
.LBB93_240:                             ;   in Loop: Header=BB93_3 Depth=1
	s_or_b32 exec_lo, exec_lo, s16
	s_barrier_signal -1
	s_barrier_wait -1
	s_mov_b32 s16, exec_lo
	v_readlane_b32 s17, v203, 12
	s_and_b32 s17, s16, s17
	s_delay_alu instid0(SALU_CYCLE_1)
	s_mov_b32 exec_lo, s17
; %bb.241:                              ;   in Loop: Header=BB93_3 Depth=1
	ds_store_b128 v153, v[14:17]
; %bb.242:                              ;   in Loop: Header=BB93_3 Depth=1
	s_or_b32 exec_lo, exec_lo, s16
	s_wait_dscnt 0x0
	s_barrier_signal -1
	s_barrier_wait -1
	s_mov_b32 s16, exec_lo
	v_readlane_b32 s17, v203, 13
	s_and_b32 s17, s16, s17
	s_delay_alu instid0(SALU_CYCLE_1)
	s_mov_b32 exec_lo, s17
	s_cbranch_execz .LBB93_244
; %bb.243:                              ;   in Loop: Header=BB93_3 Depth=1
	ds_load_b128 v[40:43], v153
	ds_load_b128 v[204:207], v69 offset:11520
	s_wait_dscnt 0x0
	v_mul_f64_e32 v[4:5], v[42:43], v[206:207]
	v_mul_f64_e32 v[20:21], v[40:41], v[206:207]
	s_delay_alu instid0(VALU_DEP_2) | instskip(NEXT) | instid1(VALU_DEP_2)
	v_fma_f64 v[4:5], v[40:41], v[204:205], -v[4:5]
	v_fmac_f64_e32 v[20:21], v[42:43], v[204:205]
	s_delay_alu instid0(VALU_DEP_2) | instskip(NEXT) | instid1(VALU_DEP_2)
	v_add_f64_e32 v[14:15], v[14:15], v[4:5]
	v_add_f64_e32 v[16:17], v[16:17], v[20:21]
.LBB93_244:                             ;   in Loop: Header=BB93_3 Depth=1
	s_or_b32 exec_lo, exec_lo, s16
	s_barrier_signal -1
	s_barrier_wait -1
	s_mov_b32 s16, exec_lo
	v_readlane_b32 s17, v203, 14
	s_and_b32 s17, s16, s17
	s_delay_alu instid0(SALU_CYCLE_1)
	s_mov_b32 exec_lo, s17
; %bb.245:                              ;   in Loop: Header=BB93_3 Depth=1
	ds_store_b128 v153, v[14:17]
; %bb.246:                              ;   in Loop: Header=BB93_3 Depth=1
	s_or_b32 exec_lo, exec_lo, s16
	s_wait_dscnt 0x0
	s_barrier_signal -1
	s_barrier_wait -1
	s_mov_b32 s16, exec_lo
	v_readlane_b32 s17, v203, 15
	s_and_b32 s17, s16, s17
	s_delay_alu instid0(SALU_CYCLE_1)
	s_mov_b32 exec_lo, s17
	s_cbranch_execz .LBB93_248
; %bb.247:                              ;   in Loop: Header=BB93_3 Depth=1
	ds_load_b128 v[40:43], v153
	ds_load_b128 v[204:207], v69 offset:12032
	s_wait_dscnt 0x0
	v_mul_f64_e32 v[4:5], v[42:43], v[206:207]
	v_mul_f64_e32 v[20:21], v[40:41], v[206:207]
	s_delay_alu instid0(VALU_DEP_2) | instskip(NEXT) | instid1(VALU_DEP_2)
	v_fma_f64 v[4:5], v[40:41], v[204:205], -v[4:5]
	v_fmac_f64_e32 v[20:21], v[42:43], v[204:205]
	s_delay_alu instid0(VALU_DEP_2) | instskip(NEXT) | instid1(VALU_DEP_2)
	v_add_f64_e32 v[14:15], v[14:15], v[4:5]
	v_add_f64_e32 v[16:17], v[16:17], v[20:21]
.LBB93_248:                             ;   in Loop: Header=BB93_3 Depth=1
	s_or_b32 exec_lo, exec_lo, s16
	s_barrier_signal -1
	s_barrier_wait -1
	s_mov_b32 s16, exec_lo
	v_readlane_b32 s17, v203, 16
	s_and_b32 s17, s16, s17
	s_delay_alu instid0(SALU_CYCLE_1)
	s_mov_b32 exec_lo, s17
; %bb.249:                              ;   in Loop: Header=BB93_3 Depth=1
	ds_store_b128 v153, v[14:17]
; %bb.250:                              ;   in Loop: Header=BB93_3 Depth=1
	s_or_b32 exec_lo, exec_lo, s16
	s_wait_dscnt 0x0
	s_barrier_signal -1
	s_barrier_wait -1
	s_mov_b32 s16, exec_lo
	v_readlane_b32 s17, v203, 17
	s_and_b32 s17, s16, s17
	s_delay_alu instid0(SALU_CYCLE_1)
	s_mov_b32 exec_lo, s17
	s_cbranch_execz .LBB93_252
; %bb.251:                              ;   in Loop: Header=BB93_3 Depth=1
	ds_load_b128 v[40:43], v153
	ds_load_b128 v[204:207], v69 offset:12544
	s_wait_dscnt 0x0
	v_mul_f64_e32 v[4:5], v[42:43], v[206:207]
	v_mul_f64_e32 v[20:21], v[40:41], v[206:207]
	s_delay_alu instid0(VALU_DEP_2) | instskip(NEXT) | instid1(VALU_DEP_2)
	v_fma_f64 v[4:5], v[40:41], v[204:205], -v[4:5]
	v_fmac_f64_e32 v[20:21], v[42:43], v[204:205]
	s_delay_alu instid0(VALU_DEP_2) | instskip(NEXT) | instid1(VALU_DEP_2)
	v_add_f64_e32 v[14:15], v[14:15], v[4:5]
	v_add_f64_e32 v[16:17], v[16:17], v[20:21]
.LBB93_252:                             ;   in Loop: Header=BB93_3 Depth=1
	s_or_b32 exec_lo, exec_lo, s16
	s_barrier_signal -1
	s_barrier_wait -1
	s_mov_b32 s16, exec_lo
	v_readlane_b32 s17, v203, 18
	s_and_b32 s17, s16, s17
	s_delay_alu instid0(SALU_CYCLE_1)
	s_mov_b32 exec_lo, s17
; %bb.253:                              ;   in Loop: Header=BB93_3 Depth=1
	ds_store_b128 v153, v[14:17]
; %bb.254:                              ;   in Loop: Header=BB93_3 Depth=1
	s_or_b32 exec_lo, exec_lo, s16
	s_wait_dscnt 0x0
	s_barrier_signal -1
	s_barrier_wait -1
	s_and_saveexec_b32 s16, s25
	s_cbranch_execz .LBB93_256
; %bb.255:                              ;   in Loop: Header=BB93_3 Depth=1
	ds_load_b128 v[40:43], v153
	ds_load_b128 v[204:207], v69 offset:13056
	s_wait_dscnt 0x0
	v_mul_f64_e32 v[4:5], v[42:43], v[206:207]
	v_mul_f64_e32 v[20:21], v[40:41], v[206:207]
	s_delay_alu instid0(VALU_DEP_2) | instskip(NEXT) | instid1(VALU_DEP_2)
	v_fma_f64 v[4:5], v[40:41], v[204:205], -v[4:5]
	v_fmac_f64_e32 v[20:21], v[42:43], v[204:205]
	s_delay_alu instid0(VALU_DEP_2) | instskip(NEXT) | instid1(VALU_DEP_2)
	v_add_f64_e32 v[14:15], v[14:15], v[4:5]
	v_add_f64_e32 v[16:17], v[16:17], v[20:21]
.LBB93_256:                             ;   in Loop: Header=BB93_3 Depth=1
	s_or_b32 exec_lo, exec_lo, s16
	s_barrier_signal -1
	s_barrier_wait -1
	s_and_saveexec_b32 s16, s26
; %bb.257:                              ;   in Loop: Header=BB93_3 Depth=1
	ds_store_b128 v153, v[14:17]
; %bb.258:                              ;   in Loop: Header=BB93_3 Depth=1
	s_or_b32 exec_lo, exec_lo, s16
	s_wait_dscnt 0x0
	s_barrier_signal -1
	s_barrier_wait -1
	s_and_saveexec_b32 s16, s92
	s_cbranch_execz .LBB93_260
; %bb.259:                              ;   in Loop: Header=BB93_3 Depth=1
	ds_load_b128 v[40:43], v153
	ds_load_b128 v[204:207], v69 offset:13568
	s_wait_dscnt 0x0
	v_mul_f64_e32 v[4:5], v[42:43], v[206:207]
	v_mul_f64_e32 v[20:21], v[40:41], v[206:207]
	s_delay_alu instid0(VALU_DEP_2) | instskip(NEXT) | instid1(VALU_DEP_2)
	v_fma_f64 v[4:5], v[40:41], v[204:205], -v[4:5]
	v_fmac_f64_e32 v[20:21], v[42:43], v[204:205]
	s_delay_alu instid0(VALU_DEP_2) | instskip(NEXT) | instid1(VALU_DEP_2)
	v_add_f64_e32 v[14:15], v[14:15], v[4:5]
	v_add_f64_e32 v[16:17], v[16:17], v[20:21]
.LBB93_260:                             ;   in Loop: Header=BB93_3 Depth=1
	s_or_b32 exec_lo, exec_lo, s16
	s_barrier_signal -1
	s_barrier_wait -1
	s_and_saveexec_b32 s16, s93
	;; [unrolled: 26-line block ×6, first 2 shown]
; %bb.277:                              ;   in Loop: Header=BB93_3 Depth=1
	ds_store_b128 v153, v[14:17]
; %bb.278:                              ;   in Loop: Header=BB93_3 Depth=1
	s_or_b32 exec_lo, exec_lo, s16
	s_wait_dscnt 0x0
	s_barrier_signal -1
	s_barrier_wait -1
	s_barrier_signal -1
	s_barrier_wait -1
	s_and_saveexec_b32 s16, s6
; %bb.279:                              ;   in Loop: Header=BB93_3 Depth=1
	v_xor_b32_e32 v17, 0x80000000, v17
	v_xor_b32_e32 v15, 0x80000000, v15
	ds_store_b128 v154, v[14:17] offset:256
; %bb.280:                              ;   in Loop: Header=BB93_3 Depth=1
	s_or_b32 exec_lo, exec_lo, s16
	s_wait_dscnt 0x0
	s_barrier_signal -1
	s_barrier_wait -1
	s_barrier_signal -1
	s_barrier_wait -1
	s_and_saveexec_b32 s16, s100
	s_cbranch_execz .LBB93_282
; %bb.281:                              ;   in Loop: Header=BB93_3 Depth=1
	ds_load_b128 v[14:17], v98
	s_wait_dscnt 0x0
	ds_store_b128 v114, v[14:17]
	ds_load_b128 v[14:17], v99
	s_wait_dscnt 0x0
	ds_store_b128 v115, v[14:17]
	;; [unrolled: 3-line block ×16, first 2 shown]
.LBB93_282:                             ;   in Loop: Header=BB93_3 Depth=1
	s_or_b32 exec_lo, exec_lo, s16
	s_wait_dscnt 0x0
	s_barrier_signal -1
	s_barrier_wait -1
	s_and_saveexec_b32 s17, s27
	s_cbranch_execz .LBB93_284
; %bb.283:                              ;   in Loop: Header=BB93_3 Depth=1
	s_mov_b32 s36, s35
	s_mov_b32 s38, s35
	;; [unrolled: 1-line block ×3, first 2 shown]
	v_mov_b64_e32 v[14:15], s[36:37]
	v_mov_b64_e32 v[16:17], s[38:39]
	ds_store_b128 v2, v[14:17] offset:8448
	ds_store_b128 v2, v[14:17] offset:8976
	ds_load_b128 v[14:17], v2 offset:8464
	s_wait_dscnt 0x0
	ds_store_b128 v2, v[14:17] offset:8960
.LBB93_284:                             ;   in Loop: Header=BB93_3 Depth=1
	s_or_b32 exec_lo, exec_lo, s17
	v_mov_b64_e32 v[16:17], 0
	v_mov_b64_e32 v[14:15], 0
	s_wait_dscnt 0x0
	s_barrier_signal -1
	s_barrier_wait -1
	s_and_saveexec_b32 s36, s2
	s_cbranch_execz .LBB93_288
; %bb.285:                              ;   in Loop: Header=BB93_3 Depth=1
	ds_load_b128 v[14:17], v183 offset:8448
	ds_load_b128 v[40:43], v182 offset:8480
	s_wait_dscnt 0x0
	v_mul_f64_e32 v[4:5], v[16:17], v[42:43]
	v_mul_f64_e32 v[20:21], v[14:15], v[42:43]
	s_delay_alu instid0(VALU_DEP_2) | instskip(NEXT) | instid1(VALU_DEP_2)
	v_fma_f64 v[4:5], v[14:15], v[40:41], -v[4:5]
	v_fmac_f64_e32 v[20:21], v[16:17], v[40:41]
	s_delay_alu instid0(VALU_DEP_2) | instskip(NEXT) | instid1(VALU_DEP_2)
	v_add_f64_e32 v[14:15], 0, v[4:5]
	v_add_f64_e32 v[16:17], 0, v[20:21]
	s_and_saveexec_b32 s16, s8
	s_cbranch_execz .LBB93_287
; %bb.286:                              ;   in Loop: Header=BB93_3 Depth=1
	ds_load_b128 v[40:43], v2 offset:8464
	ds_load_b128 v[204:207], v25 offset:8992
	s_wait_dscnt 0x0
	v_mul_f64_e32 v[4:5], v[42:43], v[206:207]
	v_mul_f64_e32 v[20:21], v[40:41], v[206:207]
	s_delay_alu instid0(VALU_DEP_2) | instskip(NEXT) | instid1(VALU_DEP_2)
	v_fma_f64 v[4:5], v[40:41], v[204:205], -v[4:5]
	v_fmac_f64_e32 v[20:21], v[42:43], v[204:205]
	s_delay_alu instid0(VALU_DEP_2) | instskip(NEXT) | instid1(VALU_DEP_2)
	v_add_f64_e32 v[14:15], v[14:15], v[4:5]
	v_add_f64_e32 v[16:17], v[16:17], v[20:21]
.LBB93_287:                             ;   in Loop: Header=BB93_3 Depth=1
	s_or_b32 exec_lo, exec_lo, s16
	s_delay_alu instid0(VALU_DEP_2) | instskip(NEXT) | instid1(VALU_DEP_2)
	v_xor_b32_e32 v15, 0x80000000, v15
	v_xor_b32_e32 v17, 0x80000000, v17
.LBB93_288:                             ;   in Loop: Header=BB93_3 Depth=1
	s_or_b32 exec_lo, exec_lo, s36
	s_and_saveexec_b32 s16, s67
; %bb.289:                              ;   in Loop: Header=BB93_3 Depth=1
	ds_store_b128 v27, v[14:17]
; %bb.290:                              ;   in Loop: Header=BB93_3 Depth=1
	s_or_b32 exec_lo, exec_lo, s16
	s_wait_dscnt 0x0
	s_barrier_signal -1
	s_barrier_wait -1
	s_and_saveexec_b32 s16, s68
	s_cbranch_execz .LBB93_292
; %bb.291:                              ;   in Loop: Header=BB93_3 Depth=1
	ds_load_b128 v[40:43], v27
	ds_load_b128 v[204:207], v2 offset:9520
	s_wait_dscnt 0x0
	v_mul_f64_e32 v[4:5], v[42:43], v[206:207]
	v_mul_f64_e32 v[20:21], v[40:41], v[206:207]
	s_delay_alu instid0(VALU_DEP_2) | instskip(NEXT) | instid1(VALU_DEP_2)
	v_fma_f64 v[4:5], v[40:41], v[204:205], -v[4:5]
	v_fmac_f64_e32 v[20:21], v[42:43], v[204:205]
	s_delay_alu instid0(VALU_DEP_2) | instskip(NEXT) | instid1(VALU_DEP_2)
	v_add_f64_e32 v[14:15], v[14:15], v[4:5]
	v_add_f64_e32 v[16:17], v[16:17], v[20:21]
.LBB93_292:                             ;   in Loop: Header=BB93_3 Depth=1
	s_or_b32 exec_lo, exec_lo, s16
	s_barrier_signal -1
	s_barrier_wait -1
	s_and_saveexec_b32 s16, s68
; %bb.293:                              ;   in Loop: Header=BB93_3 Depth=1
	ds_store_b128 v27, v[14:17]
; %bb.294:                              ;   in Loop: Header=BB93_3 Depth=1
	s_or_b32 exec_lo, exec_lo, s16
	s_wait_dscnt 0x0
	s_barrier_signal -1
	s_barrier_wait -1
	s_barrier_signal -1
	s_barrier_wait -1
	s_and_saveexec_b32 s16, s2
; %bb.295:                              ;   in Loop: Header=BB93_3 Depth=1
	v_xor_b32_e32 v15, 0x80000000, v15
	v_xor_b32_e32 v17, 0x80000000, v17
	ds_store_b128 v182, v[14:17] offset:8480
; %bb.296:                              ;   in Loop: Header=BB93_3 Depth=1
	s_or_b32 exec_lo, exec_lo, s16
	s_wait_dscnt 0x0
	s_barrier_signal -1
	s_barrier_wait -1
	s_barrier_signal -1
	s_barrier_wait -1
	s_and_saveexec_b32 s16, s69
	s_cbranch_execz .LBB93_298
; %bb.297:                              ;   in Loop: Header=BB93_3 Depth=1
	ds_load_b128 v[14:17], v59
	s_wait_dscnt 0x0
	ds_store_b128 v155, v[14:17]
	ds_load_b128 v[14:17], v60
	s_wait_dscnt 0x0
	ds_store_b128 v156, v[14:17]
.LBB93_298:                             ;   in Loop: Header=BB93_3 Depth=1
	s_or_b32 exec_lo, exec_lo, s16
	s_wait_dscnt 0x0
	s_barrier_signal -1
	s_barrier_wait -1
	s_and_saveexec_b32 s17, s27
	s_cbranch_execz .LBB93_300
; %bb.299:                              ;   in Loop: Header=BB93_3 Depth=1
	s_mov_b32 s36, s35
	s_mov_b32 s38, s35
	;; [unrolled: 1-line block ×3, first 2 shown]
	v_mov_b64_e32 v[14:15], s[36:37]
	v_mov_b64_e32 v[16:17], s[38:39]
	ds_store_b128 v2, v[14:17] offset:9504
	ds_store_b128 v2, v[14:17] offset:10032
	ds_load_b128 v[14:17], v2 offset:9520
	s_wait_dscnt 0x0
	ds_store_b128 v2, v[14:17] offset:10016
.LBB93_300:                             ;   in Loop: Header=BB93_3 Depth=1
	s_or_b32 exec_lo, exec_lo, s17
	v_mov_b64_e32 v[16:17], 0
	v_mov_b64_e32 v[14:15], 0
	s_wait_dscnt 0x0
	s_barrier_signal -1
	s_barrier_wait -1
	s_and_saveexec_b32 s36, s4
	s_cbranch_execz .LBB93_306
; %bb.301:                              ;   in Loop: Header=BB93_3 Depth=1
	ds_load_b128 v[14:17], v46 offset:8448
	ds_load_b128 v[40:43], v186 offset:8512
	s_wait_dscnt 0x0
	v_mul_f64_e32 v[4:5], v[16:17], v[42:43]
	v_mul_f64_e32 v[20:21], v[14:15], v[42:43]
	s_delay_alu instid0(VALU_DEP_2) | instskip(NEXT) | instid1(VALU_DEP_2)
	v_fma_f64 v[4:5], v[14:15], v[40:41], -v[4:5]
	v_fmac_f64_e32 v[20:21], v[16:17], v[40:41]
	s_delay_alu instid0(VALU_DEP_2) | instskip(NEXT) | instid1(VALU_DEP_2)
	v_add_f64_e32 v[14:15], 0, v[4:5]
	v_add_f64_e32 v[16:17], 0, v[20:21]
	s_and_saveexec_b32 s16, s9
	s_cbranch_execnz .LBB93_532
; %bb.302:                              ;   in Loop: Header=BB93_3 Depth=1
	s_or_b32 exec_lo, exec_lo, s16
	s_and_saveexec_b32 s16, s10
	s_cbranch_execnz .LBB93_533
.LBB93_303:                             ;   in Loop: Header=BB93_3 Depth=1
	s_or_b32 exec_lo, exec_lo, s16
	s_and_saveexec_b32 s16, s2
	s_cbranch_execz .LBB93_305
.LBB93_304:                             ;   in Loop: Header=BB93_3 Depth=1
	ds_load_b128 v[40:43], v2 offset:8496
	ds_load_b128 v[204:207], v44 offset:10048
	s_wait_dscnt 0x0
	v_mul_f64_e32 v[4:5], v[42:43], v[206:207]
	v_mul_f64_e32 v[20:21], v[40:41], v[206:207]
	s_delay_alu instid0(VALU_DEP_2) | instskip(NEXT) | instid1(VALU_DEP_2)
	v_fma_f64 v[4:5], v[40:41], v[204:205], -v[4:5]
	v_fmac_f64_e32 v[20:21], v[42:43], v[204:205]
	s_delay_alu instid0(VALU_DEP_2) | instskip(NEXT) | instid1(VALU_DEP_2)
	v_add_f64_e32 v[14:15], v[14:15], v[4:5]
	v_add_f64_e32 v[16:17], v[16:17], v[20:21]
.LBB93_305:                             ;   in Loop: Header=BB93_3 Depth=1
	s_or_b32 exec_lo, exec_lo, s16
	s_delay_alu instid0(VALU_DEP_2) | instskip(NEXT) | instid1(VALU_DEP_2)
	v_xor_b32_e32 v15, 0x80000000, v15
	v_xor_b32_e32 v17, 0x80000000, v17
.LBB93_306:                             ;   in Loop: Header=BB93_3 Depth=1
	s_or_b32 exec_lo, exec_lo, s36
	s_and_saveexec_b32 s16, s70
; %bb.307:                              ;   in Loop: Header=BB93_3 Depth=1
	ds_store_b128 v185, v[14:17]
; %bb.308:                              ;   in Loop: Header=BB93_3 Depth=1
	s_or_b32 exec_lo, exec_lo, s16
	s_wait_dscnt 0x0
	s_barrier_signal -1
	s_barrier_wait -1
	s_and_saveexec_b32 s16, s71
	s_cbranch_execz .LBB93_310
; %bb.309:                              ;   in Loop: Header=BB93_3 Depth=1
	ds_load_b128 v[40:43], v185
	ds_load_b128 v[204:207], v181 offset:10560
	s_wait_dscnt 0x0
	v_mul_f64_e32 v[4:5], v[42:43], v[206:207]
	v_mul_f64_e32 v[20:21], v[40:41], v[206:207]
	s_delay_alu instid0(VALU_DEP_2) | instskip(NEXT) | instid1(VALU_DEP_2)
	v_fma_f64 v[4:5], v[40:41], v[204:205], -v[4:5]
	v_fmac_f64_e32 v[20:21], v[42:43], v[204:205]
	s_delay_alu instid0(VALU_DEP_2) | instskip(NEXT) | instid1(VALU_DEP_2)
	v_add_f64_e32 v[14:15], v[14:15], v[4:5]
	v_add_f64_e32 v[16:17], v[16:17], v[20:21]
.LBB93_310:                             ;   in Loop: Header=BB93_3 Depth=1
	s_or_b32 exec_lo, exec_lo, s16
	s_barrier_signal -1
	s_barrier_wait -1
	s_and_saveexec_b32 s16, s72
; %bb.311:                              ;   in Loop: Header=BB93_3 Depth=1
	ds_store_b128 v185, v[14:17]
; %bb.312:                              ;   in Loop: Header=BB93_3 Depth=1
	s_or_b32 exec_lo, exec_lo, s16
	s_wait_dscnt 0x0
	s_barrier_signal -1
	s_barrier_wait -1
	s_and_saveexec_b32 s16, s73
	s_cbranch_execz .LBB93_314
; %bb.313:                              ;   in Loop: Header=BB93_3 Depth=1
	ds_load_b128 v[40:43], v185
	ds_load_b128 v[204:207], v181 offset:11072
	s_wait_dscnt 0x0
	v_mul_f64_e32 v[4:5], v[42:43], v[206:207]
	v_mul_f64_e32 v[20:21], v[40:41], v[206:207]
	s_delay_alu instid0(VALU_DEP_2) | instskip(NEXT) | instid1(VALU_DEP_2)
	v_fma_f64 v[4:5], v[40:41], v[204:205], -v[4:5]
	v_fmac_f64_e32 v[20:21], v[42:43], v[204:205]
	s_delay_alu instid0(VALU_DEP_2) | instskip(NEXT) | instid1(VALU_DEP_2)
	v_add_f64_e32 v[14:15], v[14:15], v[4:5]
	v_add_f64_e32 v[16:17], v[16:17], v[20:21]
.LBB93_314:                             ;   in Loop: Header=BB93_3 Depth=1
	s_or_b32 exec_lo, exec_lo, s16
	s_barrier_signal -1
	s_barrier_wait -1
	;; [unrolled: 26-line block ×3, first 2 shown]
	s_and_saveexec_b32 s16, s75
; %bb.319:                              ;   in Loop: Header=BB93_3 Depth=1
	ds_store_b128 v185, v[14:17]
; %bb.320:                              ;   in Loop: Header=BB93_3 Depth=1
	s_or_b32 exec_lo, exec_lo, s16
	s_wait_dscnt 0x0
	s_barrier_signal -1
	s_barrier_wait -1
	s_barrier_signal -1
	s_barrier_wait -1
	s_and_saveexec_b32 s16, s4
; %bb.321:                              ;   in Loop: Header=BB93_3 Depth=1
	v_xor_b32_e32 v17, 0x80000000, v17
	v_xor_b32_e32 v15, 0x80000000, v15
	ds_store_b128 v186, v[14:17] offset:8512
; %bb.322:                              ;   in Loop: Header=BB93_3 Depth=1
	s_or_b32 exec_lo, exec_lo, s16
	s_wait_dscnt 0x0
	s_barrier_signal -1
	s_barrier_wait -1
	s_barrier_signal -1
	s_barrier_wait -1
	s_and_saveexec_b32 s16, s76
	s_cbranch_execz .LBB93_324
; %bb.323:                              ;   in Loop: Header=BB93_3 Depth=1
	ds_load_b128 v[14:17], v75
	s_wait_dscnt 0x0
	ds_store_b128 v157, v[14:17]
	ds_load_b128 v[14:17], v78
	s_wait_dscnt 0x0
	ds_store_b128 v160, v[14:17]
	;; [unrolled: 3-line block ×4, first 2 shown]
.LBB93_324:                             ;   in Loop: Header=BB93_3 Depth=1
	s_or_b32 exec_lo, exec_lo, s16
	s_wait_dscnt 0x0
	s_barrier_signal -1
	s_barrier_wait -1
	s_and_saveexec_b32 s17, s27
	s_cbranch_execz .LBB93_326
; %bb.325:                              ;   in Loop: Header=BB93_3 Depth=1
	s_mov_b32 s36, s35
	s_mov_b32 s38, s35
	;; [unrolled: 1-line block ×3, first 2 shown]
	v_mov_b64_e32 v[14:15], s[36:37]
	v_mov_b64_e32 v[16:17], s[38:39]
	ds_store_b128 v2, v[14:17] offset:10560
	ds_store_b128 v2, v[14:17] offset:11088
	ds_load_b128 v[14:17], v2 offset:10576
	s_wait_dscnt 0x0
	ds_store_b128 v2, v[14:17] offset:11072
.LBB93_326:                             ;   in Loop: Header=BB93_3 Depth=1
	s_or_b32 exec_lo, exec_lo, s17
	v_mov_b64_e32 v[16:17], 0
	v_mov_b64_e32 v[14:15], 0
	s_wait_dscnt 0x0
	s_barrier_signal -1
	s_barrier_wait -1
	s_and_saveexec_b32 s36, s2
	s_cbranch_execz .LBB93_330
; %bb.327:                              ;   in Loop: Header=BB93_3 Depth=1
	ds_load_b128 v[14:17], v183 offset:10560
	ds_load_b128 v[40:43], v182 offset:10592
	s_wait_dscnt 0x0
	v_mul_f64_e32 v[4:5], v[16:17], v[42:43]
	v_mul_f64_e32 v[20:21], v[14:15], v[42:43]
	s_delay_alu instid0(VALU_DEP_2) | instskip(NEXT) | instid1(VALU_DEP_2)
	v_fma_f64 v[4:5], v[14:15], v[40:41], -v[4:5]
	v_fmac_f64_e32 v[20:21], v[16:17], v[40:41]
	s_delay_alu instid0(VALU_DEP_2) | instskip(NEXT) | instid1(VALU_DEP_2)
	v_add_f64_e32 v[14:15], 0, v[4:5]
	v_add_f64_e32 v[16:17], 0, v[20:21]
	s_and_saveexec_b32 s16, s8
	s_cbranch_execz .LBB93_329
; %bb.328:                              ;   in Loop: Header=BB93_3 Depth=1
	ds_load_b128 v[40:43], v2 offset:10576
	ds_load_b128 v[204:207], v71 offset:11104
	s_wait_dscnt 0x0
	v_mul_f64_e32 v[4:5], v[42:43], v[206:207]
	v_mul_f64_e32 v[20:21], v[40:41], v[206:207]
	s_delay_alu instid0(VALU_DEP_2) | instskip(NEXT) | instid1(VALU_DEP_2)
	v_fma_f64 v[4:5], v[40:41], v[204:205], -v[4:5]
	v_fmac_f64_e32 v[20:21], v[42:43], v[204:205]
	s_delay_alu instid0(VALU_DEP_2) | instskip(NEXT) | instid1(VALU_DEP_2)
	v_add_f64_e32 v[14:15], v[14:15], v[4:5]
	v_add_f64_e32 v[16:17], v[16:17], v[20:21]
.LBB93_329:                             ;   in Loop: Header=BB93_3 Depth=1
	s_or_b32 exec_lo, exec_lo, s16
	s_delay_alu instid0(VALU_DEP_2) | instskip(NEXT) | instid1(VALU_DEP_2)
	v_xor_b32_e32 v15, 0x80000000, v15
	v_xor_b32_e32 v17, 0x80000000, v17
.LBB93_330:                             ;   in Loop: Header=BB93_3 Depth=1
	s_or_b32 exec_lo, exec_lo, s36
	s_and_saveexec_b32 s16, s67
; %bb.331:                              ;   in Loop: Header=BB93_3 Depth=1
	ds_store_b128 v27, v[14:17]
; %bb.332:                              ;   in Loop: Header=BB93_3 Depth=1
	s_or_b32 exec_lo, exec_lo, s16
	s_wait_dscnt 0x0
	s_barrier_signal -1
	s_barrier_wait -1
	s_and_saveexec_b32 s16, s68
	s_cbranch_execz .LBB93_334
; %bb.333:                              ;   in Loop: Header=BB93_3 Depth=1
	ds_load_b128 v[40:43], v27
	ds_load_b128 v[204:207], v2 offset:11632
	s_wait_dscnt 0x0
	v_mul_f64_e32 v[4:5], v[42:43], v[206:207]
	v_mul_f64_e32 v[20:21], v[40:41], v[206:207]
	s_delay_alu instid0(VALU_DEP_2) | instskip(NEXT) | instid1(VALU_DEP_2)
	v_fma_f64 v[4:5], v[40:41], v[204:205], -v[4:5]
	v_fmac_f64_e32 v[20:21], v[42:43], v[204:205]
	s_delay_alu instid0(VALU_DEP_2) | instskip(NEXT) | instid1(VALU_DEP_2)
	v_add_f64_e32 v[14:15], v[14:15], v[4:5]
	v_add_f64_e32 v[16:17], v[16:17], v[20:21]
.LBB93_334:                             ;   in Loop: Header=BB93_3 Depth=1
	s_or_b32 exec_lo, exec_lo, s16
	s_barrier_signal -1
	s_barrier_wait -1
	s_and_saveexec_b32 s16, s68
; %bb.335:                              ;   in Loop: Header=BB93_3 Depth=1
	ds_store_b128 v27, v[14:17]
; %bb.336:                              ;   in Loop: Header=BB93_3 Depth=1
	s_or_b32 exec_lo, exec_lo, s16
	s_wait_dscnt 0x0
	s_barrier_signal -1
	s_barrier_wait -1
	s_barrier_signal -1
	s_barrier_wait -1
	s_and_saveexec_b32 s16, s2
; %bb.337:                              ;   in Loop: Header=BB93_3 Depth=1
	v_xor_b32_e32 v15, 0x80000000, v15
	v_xor_b32_e32 v17, 0x80000000, v17
	ds_store_b128 v182, v[14:17] offset:10592
; %bb.338:                              ;   in Loop: Header=BB93_3 Depth=1
	s_or_b32 exec_lo, exec_lo, s16
	s_wait_dscnt 0x0
	s_barrier_signal -1
	s_barrier_wait -1
	s_barrier_signal -1
	s_barrier_wait -1
	s_and_saveexec_b32 s16, s69
	s_cbranch_execz .LBB93_340
; %bb.339:                              ;   in Loop: Header=BB93_3 Depth=1
	ds_load_b128 v[14:17], v87
	s_wait_dscnt 0x0
	ds_store_b128 v161, v[14:17]
	ds_load_b128 v[14:17], v88
	s_wait_dscnt 0x0
	ds_store_b128 v162, v[14:17]
.LBB93_340:                             ;   in Loop: Header=BB93_3 Depth=1
	s_or_b32 exec_lo, exec_lo, s16
	s_wait_dscnt 0x0
	s_barrier_signal -1
	s_barrier_wait -1
	s_and_saveexec_b32 s17, s27
	s_cbranch_execz .LBB93_342
; %bb.341:                              ;   in Loop: Header=BB93_3 Depth=1
	s_mov_b32 s36, s35
	s_mov_b32 s38, s35
	;; [unrolled: 1-line block ×3, first 2 shown]
	v_mov_b64_e32 v[14:15], s[36:37]
	v_mov_b64_e32 v[16:17], s[38:39]
	ds_store_b128 v2, v[14:17] offset:11616
	ds_store_b128 v2, v[14:17] offset:12144
	ds_load_b128 v[14:17], v2 offset:11632
	s_wait_dscnt 0x0
	ds_store_b128 v2, v[14:17] offset:12128
.LBB93_342:                             ;   in Loop: Header=BB93_3 Depth=1
	s_or_b32 exec_lo, exec_lo, s17
	v_mov_b64_e32 v[16:17], 0
	v_mov_b64_e32 v[14:15], 0
	s_wait_dscnt 0x0
	s_barrier_signal -1
	s_barrier_wait -1
	s_and_saveexec_b32 s36, s5
	s_cbranch_execz .LBB93_352
; %bb.343:                              ;   in Loop: Header=BB93_3 Depth=1
	ds_load_b128 v[14:17], v47 offset:8448
	ds_load_b128 v[40:43], v189 offset:8576
	s_wait_dscnt 0x0
	v_mul_f64_e32 v[4:5], v[16:17], v[42:43]
	v_mul_f64_e32 v[20:21], v[14:15], v[42:43]
	s_delay_alu instid0(VALU_DEP_2) | instskip(NEXT) | instid1(VALU_DEP_2)
	v_fma_f64 v[4:5], v[14:15], v[40:41], -v[4:5]
	v_fmac_f64_e32 v[20:21], v[16:17], v[40:41]
	s_delay_alu instid0(VALU_DEP_2) | instskip(NEXT) | instid1(VALU_DEP_2)
	v_add_f64_e32 v[14:15], 0, v[4:5]
	v_add_f64_e32 v[16:17], 0, v[20:21]
	s_and_saveexec_b32 s16, s11
	s_cbranch_execnz .LBB93_534
; %bb.344:                              ;   in Loop: Header=BB93_3 Depth=1
	s_or_b32 exec_lo, exec_lo, s16
	s_and_saveexec_b32 s16, s12
	s_cbranch_execnz .LBB93_535
.LBB93_345:                             ;   in Loop: Header=BB93_3 Depth=1
	s_or_b32 exec_lo, exec_lo, s16
	s_and_saveexec_b32 s16, s13
	s_cbranch_execnz .LBB93_536
.LBB93_346:                             ;   in Loop: Header=BB93_3 Depth=1
	s_or_b32 exec_lo, exec_lo, s16
	s_and_saveexec_b32 s16, s14
	s_cbranch_execnz .LBB93_537
.LBB93_347:                             ;   in Loop: Header=BB93_3 Depth=1
	s_or_b32 exec_lo, exec_lo, s16
	s_and_saveexec_b32 s16, s15
	s_cbranch_execnz .LBB93_538
.LBB93_348:                             ;   in Loop: Header=BB93_3 Depth=1
	s_or_b32 exec_lo, exec_lo, s16
	s_and_saveexec_b32 s16, s4
	s_cbranch_execnz .LBB93_539
.LBB93_349:                             ;   in Loop: Header=BB93_3 Depth=1
	s_or_b32 exec_lo, exec_lo, s16
	s_and_saveexec_b32 s16, s10
	s_cbranch_execz .LBB93_351
.LBB93_350:                             ;   in Loop: Header=BB93_3 Depth=1
	ds_load_b128 v[40:43], v2 offset:8560
	ds_load_b128 v[204:207], v25 offset:12160
	s_wait_dscnt 0x0
	v_mul_f64_e32 v[4:5], v[42:43], v[206:207]
	v_mul_f64_e32 v[20:21], v[40:41], v[206:207]
	s_delay_alu instid0(VALU_DEP_2) | instskip(NEXT) | instid1(VALU_DEP_2)
	v_fma_f64 v[4:5], v[40:41], v[204:205], -v[4:5]
	v_fmac_f64_e32 v[20:21], v[42:43], v[204:205]
	s_delay_alu instid0(VALU_DEP_2) | instskip(NEXT) | instid1(VALU_DEP_2)
	v_add_f64_e32 v[14:15], v[14:15], v[4:5]
	v_add_f64_e32 v[16:17], v[16:17], v[20:21]
.LBB93_351:                             ;   in Loop: Header=BB93_3 Depth=1
	s_or_b32 exec_lo, exec_lo, s16
	s_delay_alu instid0(VALU_DEP_2) | instskip(NEXT) | instid1(VALU_DEP_2)
	v_xor_b32_e32 v15, 0x80000000, v15
	v_xor_b32_e32 v17, 0x80000000, v17
.LBB93_352:                             ;   in Loop: Header=BB93_3 Depth=1
	s_or_b32 exec_lo, exec_lo, s36
	s_and_saveexec_b32 s16, s77
; %bb.353:                              ;   in Loop: Header=BB93_3 Depth=1
	ds_store_b128 v188, v[14:17]
; %bb.354:                              ;   in Loop: Header=BB93_3 Depth=1
	s_or_b32 exec_lo, exec_lo, s16
	s_wait_dscnt 0x0
	s_barrier_signal -1
	s_barrier_wait -1
	s_and_saveexec_b32 s16, s78
	s_cbranch_execz .LBB93_356
; %bb.355:                              ;   in Loop: Header=BB93_3 Depth=1
	ds_load_b128 v[40:43], v188
	ds_load_b128 v[204:207], v184 offset:12672
	s_wait_dscnt 0x0
	v_mul_f64_e32 v[4:5], v[42:43], v[206:207]
	v_mul_f64_e32 v[20:21], v[40:41], v[206:207]
	s_delay_alu instid0(VALU_DEP_2) | instskip(NEXT) | instid1(VALU_DEP_2)
	v_fma_f64 v[4:5], v[40:41], v[204:205], -v[4:5]
	v_fmac_f64_e32 v[20:21], v[42:43], v[204:205]
	s_delay_alu instid0(VALU_DEP_2) | instskip(NEXT) | instid1(VALU_DEP_2)
	v_add_f64_e32 v[14:15], v[14:15], v[4:5]
	v_add_f64_e32 v[16:17], v[16:17], v[20:21]
.LBB93_356:                             ;   in Loop: Header=BB93_3 Depth=1
	s_or_b32 exec_lo, exec_lo, s16
	s_barrier_signal -1
	s_barrier_wait -1
	s_and_saveexec_b32 s16, s79
; %bb.357:                              ;   in Loop: Header=BB93_3 Depth=1
	ds_store_b128 v188, v[14:17]
; %bb.358:                              ;   in Loop: Header=BB93_3 Depth=1
	s_or_b32 exec_lo, exec_lo, s16
	s_wait_dscnt 0x0
	s_barrier_signal -1
	s_barrier_wait -1
	s_and_saveexec_b32 s16, s80
	s_cbranch_execz .LBB93_360
; %bb.359:                              ;   in Loop: Header=BB93_3 Depth=1
	ds_load_b128 v[40:43], v188
	ds_load_b128 v[204:207], v184 offset:13184
	s_wait_dscnt 0x0
	v_mul_f64_e32 v[4:5], v[42:43], v[206:207]
	v_mul_f64_e32 v[20:21], v[40:41], v[206:207]
	s_delay_alu instid0(VALU_DEP_2) | instskip(NEXT) | instid1(VALU_DEP_2)
	v_fma_f64 v[4:5], v[40:41], v[204:205], -v[4:5]
	v_fmac_f64_e32 v[20:21], v[42:43], v[204:205]
	s_delay_alu instid0(VALU_DEP_2) | instskip(NEXT) | instid1(VALU_DEP_2)
	v_add_f64_e32 v[14:15], v[14:15], v[4:5]
	v_add_f64_e32 v[16:17], v[16:17], v[20:21]
.LBB93_360:                             ;   in Loop: Header=BB93_3 Depth=1
	s_or_b32 exec_lo, exec_lo, s16
	s_barrier_signal -1
	s_barrier_wait -1
	;; [unrolled: 26-line block ×7, first 2 shown]
	s_and_saveexec_b32 s16, s90
; %bb.381:                              ;   in Loop: Header=BB93_3 Depth=1
	ds_store_b128 v188, v[14:17]
; %bb.382:                              ;   in Loop: Header=BB93_3 Depth=1
	s_or_b32 exec_lo, exec_lo, s16
	s_wait_dscnt 0x0
	s_barrier_signal -1
	s_barrier_wait -1
	s_barrier_signal -1
	s_barrier_wait -1
	s_and_saveexec_b32 s16, s5
; %bb.383:                              ;   in Loop: Header=BB93_3 Depth=1
	v_xor_b32_e32 v15, 0x80000000, v15
	v_xor_b32_e32 v17, 0x80000000, v17
	ds_store_b128 v189, v[14:17] offset:8576
; %bb.384:                              ;   in Loop: Header=BB93_3 Depth=1
	s_or_b32 exec_lo, exec_lo, s16
	s_wait_dscnt 0x0
	s_barrier_signal -1
	s_barrier_wait -1
	s_barrier_signal -1
	s_barrier_wait -1
	s_and_saveexec_b32 s16, s91
	s_cbranch_execz .LBB93_386
; %bb.385:                              ;   in Loop: Header=BB93_3 Depth=1
	ds_load_b128 v[14:17], v61
	s_wait_dscnt 0x0
	ds_store_b128 v163, v[14:17]
	ds_load_b128 v[14:17], v62
	s_wait_dscnt 0x0
	ds_store_b128 v164, v[14:17]
	;; [unrolled: 3-line block ×8, first 2 shown]
.LBB93_386:                             ;   in Loop: Header=BB93_3 Depth=1
	s_or_b32 exec_lo, exec_lo, s16
	s_wait_dscnt 0x0
	s_barrier_signal -1
	s_barrier_wait -1
	s_and_saveexec_b32 s17, s27
	s_cbranch_execz .LBB93_388
; %bb.387:                              ;   in Loop: Header=BB93_3 Depth=1
	s_mov_b32 s36, s35
	s_mov_b32 s38, s35
	s_mov_b32 s39, s35
	v_mov_b64_e32 v[14:15], s[36:37]
	v_mov_b64_e32 v[16:17], s[38:39]
	ds_store_b128 v2, v[14:17] offset:12672
	ds_store_b128 v2, v[14:17] offset:13200
	ds_load_b128 v[14:17], v2 offset:12688
	s_wait_dscnt 0x0
	ds_store_b128 v2, v[14:17] offset:13184
.LBB93_388:                             ;   in Loop: Header=BB93_3 Depth=1
	s_or_b32 exec_lo, exec_lo, s17
	v_mov_b64_e32 v[16:17], 0
	v_mov_b64_e32 v[14:15], 0
	s_wait_dscnt 0x0
	s_barrier_signal -1
	s_barrier_wait -1
	s_and_saveexec_b32 s36, s2
	s_cbranch_execz .LBB93_392
; %bb.389:                              ;   in Loop: Header=BB93_3 Depth=1
	ds_load_b128 v[14:17], v183 offset:12672
	ds_load_b128 v[40:43], v182 offset:12704
	s_wait_dscnt 0x0
	v_mul_f64_e32 v[4:5], v[16:17], v[42:43]
	v_mul_f64_e32 v[20:21], v[14:15], v[42:43]
	s_delay_alu instid0(VALU_DEP_2) | instskip(NEXT) | instid1(VALU_DEP_2)
	v_fma_f64 v[4:5], v[14:15], v[40:41], -v[4:5]
	v_fmac_f64_e32 v[20:21], v[16:17], v[40:41]
	s_delay_alu instid0(VALU_DEP_2) | instskip(NEXT) | instid1(VALU_DEP_2)
	v_add_f64_e32 v[14:15], 0, v[4:5]
	v_add_f64_e32 v[16:17], 0, v[20:21]
	s_and_saveexec_b32 s16, s8
	s_cbranch_execz .LBB93_391
; %bb.390:                              ;   in Loop: Header=BB93_3 Depth=1
	ds_load_b128 v[40:43], v2 offset:12688
	ds_load_b128 v[204:207], v44 offset:13216
	s_wait_dscnt 0x0
	v_mul_f64_e32 v[4:5], v[42:43], v[206:207]
	v_mul_f64_e32 v[20:21], v[40:41], v[206:207]
	s_delay_alu instid0(VALU_DEP_2) | instskip(NEXT) | instid1(VALU_DEP_2)
	v_fma_f64 v[4:5], v[40:41], v[204:205], -v[4:5]
	v_fmac_f64_e32 v[20:21], v[42:43], v[204:205]
	s_delay_alu instid0(VALU_DEP_2) | instskip(NEXT) | instid1(VALU_DEP_2)
	v_add_f64_e32 v[14:15], v[14:15], v[4:5]
	v_add_f64_e32 v[16:17], v[16:17], v[20:21]
.LBB93_391:                             ;   in Loop: Header=BB93_3 Depth=1
	s_or_b32 exec_lo, exec_lo, s16
	s_delay_alu instid0(VALU_DEP_2) | instskip(NEXT) | instid1(VALU_DEP_2)
	v_xor_b32_e32 v15, 0x80000000, v15
	v_xor_b32_e32 v17, 0x80000000, v17
.LBB93_392:                             ;   in Loop: Header=BB93_3 Depth=1
	s_or_b32 exec_lo, exec_lo, s36
	s_and_saveexec_b32 s16, s67
; %bb.393:                              ;   in Loop: Header=BB93_3 Depth=1
	ds_store_b128 v27, v[14:17]
; %bb.394:                              ;   in Loop: Header=BB93_3 Depth=1
	s_or_b32 exec_lo, exec_lo, s16
	s_wait_dscnt 0x0
	s_barrier_signal -1
	s_barrier_wait -1
	s_and_saveexec_b32 s16, s68
	s_cbranch_execz .LBB93_396
; %bb.395:                              ;   in Loop: Header=BB93_3 Depth=1
	ds_load_b128 v[40:43], v27
	ds_load_b128 v[204:207], v2 offset:13744
	s_wait_dscnt 0x0
	v_mul_f64_e32 v[4:5], v[42:43], v[206:207]
	v_mul_f64_e32 v[20:21], v[40:41], v[206:207]
	s_delay_alu instid0(VALU_DEP_2) | instskip(NEXT) | instid1(VALU_DEP_2)
	v_fma_f64 v[4:5], v[40:41], v[204:205], -v[4:5]
	v_fmac_f64_e32 v[20:21], v[42:43], v[204:205]
	s_delay_alu instid0(VALU_DEP_2) | instskip(NEXT) | instid1(VALU_DEP_2)
	v_add_f64_e32 v[14:15], v[14:15], v[4:5]
	v_add_f64_e32 v[16:17], v[16:17], v[20:21]
.LBB93_396:                             ;   in Loop: Header=BB93_3 Depth=1
	s_or_b32 exec_lo, exec_lo, s16
	s_barrier_signal -1
	s_barrier_wait -1
	s_and_saveexec_b32 s16, s68
; %bb.397:                              ;   in Loop: Header=BB93_3 Depth=1
	ds_store_b128 v27, v[14:17]
; %bb.398:                              ;   in Loop: Header=BB93_3 Depth=1
	s_or_b32 exec_lo, exec_lo, s16
	s_wait_dscnt 0x0
	s_barrier_signal -1
	s_barrier_wait -1
	s_barrier_signal -1
	s_barrier_wait -1
	s_and_saveexec_b32 s16, s2
; %bb.399:                              ;   in Loop: Header=BB93_3 Depth=1
	v_xor_b32_e32 v15, 0x80000000, v15
	v_xor_b32_e32 v17, 0x80000000, v17
	ds_store_b128 v182, v[14:17] offset:12704
; %bb.400:                              ;   in Loop: Header=BB93_3 Depth=1
	s_or_b32 exec_lo, exec_lo, s16
	s_wait_dscnt 0x0
	s_barrier_signal -1
	s_barrier_wait -1
	s_barrier_signal -1
	s_barrier_wait -1
	s_and_saveexec_b32 s16, s69
	s_cbranch_execz .LBB93_402
; %bb.401:                              ;   in Loop: Header=BB93_3 Depth=1
	ds_load_b128 v[14:17], v79
	s_wait_dscnt 0x0
	ds_store_b128 v171, v[14:17]
	ds_load_b128 v[14:17], v192
	s_wait_dscnt 0x0
	ds_store_b128 v172, v[14:17]
.LBB93_402:                             ;   in Loop: Header=BB93_3 Depth=1
	s_or_b32 exec_lo, exec_lo, s16
	s_wait_dscnt 0x0
	s_barrier_signal -1
	s_barrier_wait -1
	s_and_saveexec_b32 s17, s27
	s_cbranch_execz .LBB93_404
; %bb.403:                              ;   in Loop: Header=BB93_3 Depth=1
	s_mov_b32 s36, s35
	s_mov_b32 s38, s35
	;; [unrolled: 1-line block ×3, first 2 shown]
	v_mov_b64_e32 v[14:15], s[36:37]
	v_mov_b64_e32 v[16:17], s[38:39]
	ds_store_b128 v2, v[14:17] offset:13728
	ds_store_b128 v2, v[14:17] offset:14256
	ds_load_b128 v[14:17], v2 offset:13744
	s_wait_dscnt 0x0
	ds_store_b128 v2, v[14:17] offset:14240
.LBB93_404:                             ;   in Loop: Header=BB93_3 Depth=1
	s_or_b32 exec_lo, exec_lo, s17
	v_mov_b64_e32 v[16:17], 0
	v_mov_b64_e32 v[14:15], 0
	s_wait_dscnt 0x0
	s_barrier_signal -1
	s_barrier_wait -1
	s_and_saveexec_b32 s36, s4
	s_cbranch_execz .LBB93_410
; %bb.405:                              ;   in Loop: Header=BB93_3 Depth=1
	ds_load_b128 v[14:17], v46 offset:12672
	ds_load_b128 v[40:43], v186 offset:12736
	s_wait_dscnt 0x0
	v_mul_f64_e32 v[4:5], v[16:17], v[42:43]
	v_mul_f64_e32 v[20:21], v[14:15], v[42:43]
	s_delay_alu instid0(VALU_DEP_2) | instskip(NEXT) | instid1(VALU_DEP_2)
	v_fma_f64 v[4:5], v[14:15], v[40:41], -v[4:5]
	v_fmac_f64_e32 v[20:21], v[16:17], v[40:41]
	s_delay_alu instid0(VALU_DEP_2) | instskip(NEXT) | instid1(VALU_DEP_2)
	v_add_f64_e32 v[14:15], 0, v[4:5]
	v_add_f64_e32 v[16:17], 0, v[20:21]
	s_and_saveexec_b32 s16, s9
	s_cbranch_execnz .LBB93_540
; %bb.406:                              ;   in Loop: Header=BB93_3 Depth=1
	s_or_b32 exec_lo, exec_lo, s16
	s_and_saveexec_b32 s16, s10
	s_cbranch_execnz .LBB93_541
.LBB93_407:                             ;   in Loop: Header=BB93_3 Depth=1
	s_or_b32 exec_lo, exec_lo, s16
	s_and_saveexec_b32 s16, s2
	s_cbranch_execz .LBB93_409
.LBB93_408:                             ;   in Loop: Header=BB93_3 Depth=1
	ds_load_b128 v[40:43], v2 offset:12720
	ds_load_b128 v[204:207], v71 offset:14272
	s_wait_dscnt 0x0
	v_mul_f64_e32 v[4:5], v[42:43], v[206:207]
	v_mul_f64_e32 v[20:21], v[40:41], v[206:207]
	s_delay_alu instid0(VALU_DEP_2) | instskip(NEXT) | instid1(VALU_DEP_2)
	v_fma_f64 v[4:5], v[40:41], v[204:205], -v[4:5]
	v_fmac_f64_e32 v[20:21], v[42:43], v[204:205]
	s_delay_alu instid0(VALU_DEP_2) | instskip(NEXT) | instid1(VALU_DEP_2)
	v_add_f64_e32 v[14:15], v[14:15], v[4:5]
	v_add_f64_e32 v[16:17], v[16:17], v[20:21]
.LBB93_409:                             ;   in Loop: Header=BB93_3 Depth=1
	s_or_b32 exec_lo, exec_lo, s16
	s_delay_alu instid0(VALU_DEP_2) | instskip(NEXT) | instid1(VALU_DEP_2)
	v_xor_b32_e32 v15, 0x80000000, v15
	v_xor_b32_e32 v17, 0x80000000, v17
.LBB93_410:                             ;   in Loop: Header=BB93_3 Depth=1
	s_or_b32 exec_lo, exec_lo, s36
	s_and_saveexec_b32 s16, s70
; %bb.411:                              ;   in Loop: Header=BB93_3 Depth=1
	ds_store_b128 v185, v[14:17]
; %bb.412:                              ;   in Loop: Header=BB93_3 Depth=1
	s_or_b32 exec_lo, exec_lo, s16
	s_wait_dscnt 0x0
	s_barrier_signal -1
	s_barrier_wait -1
	s_and_saveexec_b32 s16, s71
	s_cbranch_execz .LBB93_414
; %bb.413:                              ;   in Loop: Header=BB93_3 Depth=1
	ds_load_b128 v[40:43], v185
	ds_load_b128 v[204:207], v181 offset:14784
	s_wait_dscnt 0x0
	v_mul_f64_e32 v[4:5], v[42:43], v[206:207]
	v_mul_f64_e32 v[20:21], v[40:41], v[206:207]
	s_delay_alu instid0(VALU_DEP_2) | instskip(NEXT) | instid1(VALU_DEP_2)
	v_fma_f64 v[4:5], v[40:41], v[204:205], -v[4:5]
	v_fmac_f64_e32 v[20:21], v[42:43], v[204:205]
	s_delay_alu instid0(VALU_DEP_2) | instskip(NEXT) | instid1(VALU_DEP_2)
	v_add_f64_e32 v[14:15], v[14:15], v[4:5]
	v_add_f64_e32 v[16:17], v[16:17], v[20:21]
.LBB93_414:                             ;   in Loop: Header=BB93_3 Depth=1
	s_or_b32 exec_lo, exec_lo, s16
	s_barrier_signal -1
	s_barrier_wait -1
	s_and_saveexec_b32 s16, s72
; %bb.415:                              ;   in Loop: Header=BB93_3 Depth=1
	ds_store_b128 v185, v[14:17]
; %bb.416:                              ;   in Loop: Header=BB93_3 Depth=1
	s_or_b32 exec_lo, exec_lo, s16
	s_wait_dscnt 0x0
	s_barrier_signal -1
	s_barrier_wait -1
	s_and_saveexec_b32 s16, s73
	s_cbranch_execz .LBB93_418
; %bb.417:                              ;   in Loop: Header=BB93_3 Depth=1
	ds_load_b128 v[40:43], v185
	ds_load_b128 v[204:207], v181 offset:15296
	s_wait_dscnt 0x0
	v_mul_f64_e32 v[4:5], v[42:43], v[206:207]
	v_mul_f64_e32 v[20:21], v[40:41], v[206:207]
	s_delay_alu instid0(VALU_DEP_2) | instskip(NEXT) | instid1(VALU_DEP_2)
	v_fma_f64 v[4:5], v[40:41], v[204:205], -v[4:5]
	v_fmac_f64_e32 v[20:21], v[42:43], v[204:205]
	s_delay_alu instid0(VALU_DEP_2) | instskip(NEXT) | instid1(VALU_DEP_2)
	v_add_f64_e32 v[14:15], v[14:15], v[4:5]
	v_add_f64_e32 v[16:17], v[16:17], v[20:21]
.LBB93_418:                             ;   in Loop: Header=BB93_3 Depth=1
	s_or_b32 exec_lo, exec_lo, s16
	s_barrier_signal -1
	s_barrier_wait -1
	;; [unrolled: 26-line block ×3, first 2 shown]
	s_and_saveexec_b32 s16, s75
; %bb.423:                              ;   in Loop: Header=BB93_3 Depth=1
	ds_store_b128 v185, v[14:17]
; %bb.424:                              ;   in Loop: Header=BB93_3 Depth=1
	s_or_b32 exec_lo, exec_lo, s16
	s_wait_dscnt 0x0
	s_barrier_signal -1
	s_barrier_wait -1
	s_barrier_signal -1
	s_barrier_wait -1
	s_and_saveexec_b32 s16, s4
; %bb.425:                              ;   in Loop: Header=BB93_3 Depth=1
	v_xor_b32_e32 v17, 0x80000000, v17
	v_xor_b32_e32 v15, 0x80000000, v15
	ds_store_b128 v186, v[14:17] offset:12736
; %bb.426:                              ;   in Loop: Header=BB93_3 Depth=1
	s_or_b32 exec_lo, exec_lo, s16
	s_wait_dscnt 0x0
	s_barrier_signal -1
	s_barrier_wait -1
	s_barrier_signal -1
	s_barrier_wait -1
	s_and_saveexec_b32 s16, s76
	s_cbranch_execz .LBB93_428
; %bb.427:                              ;   in Loop: Header=BB93_3 Depth=1
	ds_load_b128 v[14:17], v89
	s_wait_dscnt 0x0
	ds_store_b128 v173, v[14:17]
	ds_load_b128 v[14:17], v193
	s_wait_dscnt 0x0
	ds_store_b128 v176, v[14:17]
	;; [unrolled: 3-line block ×4, first 2 shown]
.LBB93_428:                             ;   in Loop: Header=BB93_3 Depth=1
	s_or_b32 exec_lo, exec_lo, s16
	s_wait_dscnt 0x0
	s_barrier_signal -1
	s_barrier_wait -1
	s_and_saveexec_b32 s17, s27
	s_cbranch_execz .LBB93_430
; %bb.429:                              ;   in Loop: Header=BB93_3 Depth=1
	s_mov_b32 s36, s35
	s_mov_b32 s38, s35
	;; [unrolled: 1-line block ×3, first 2 shown]
	v_mov_b64_e32 v[14:15], s[36:37]
	v_mov_b64_e32 v[16:17], s[38:39]
	ds_store_b128 v2, v[14:17] offset:14784
	ds_store_b128 v2, v[14:17] offset:15312
	ds_load_b128 v[14:17], v2 offset:14800
	s_wait_dscnt 0x0
	ds_store_b128 v2, v[14:17] offset:15296
.LBB93_430:                             ;   in Loop: Header=BB93_3 Depth=1
	s_or_b32 exec_lo, exec_lo, s17
	v_mov_b64_e32 v[16:17], 0
	v_mov_b64_e32 v[14:15], 0
	s_wait_dscnt 0x0
	s_barrier_signal -1
	s_barrier_wait -1
	s_and_saveexec_b32 s36, s2
	s_cbranch_execz .LBB93_434
; %bb.431:                              ;   in Loop: Header=BB93_3 Depth=1
	ds_load_b128 v[14:17], v183 offset:14784
	ds_load_b128 v[40:43], v182 offset:14816
	s_wait_dscnt 0x0
	v_mul_f64_e32 v[4:5], v[16:17], v[42:43]
	v_mul_f64_e32 v[20:21], v[14:15], v[42:43]
	s_delay_alu instid0(VALU_DEP_2) | instskip(NEXT) | instid1(VALU_DEP_2)
	v_fma_f64 v[4:5], v[14:15], v[40:41], -v[4:5]
	v_fmac_f64_e32 v[20:21], v[16:17], v[40:41]
	s_delay_alu instid0(VALU_DEP_2) | instskip(NEXT) | instid1(VALU_DEP_2)
	v_add_f64_e32 v[14:15], 0, v[4:5]
	v_add_f64_e32 v[16:17], 0, v[20:21]
	s_and_saveexec_b32 s16, s8
	s_cbranch_execz .LBB93_433
; %bb.432:                              ;   in Loop: Header=BB93_3 Depth=1
	ds_load_b128 v[40:43], v2 offset:14800
	ds_load_b128 v[204:207], v82 offset:15328
	s_wait_dscnt 0x0
	v_mul_f64_e32 v[4:5], v[42:43], v[206:207]
	v_mul_f64_e32 v[20:21], v[40:41], v[206:207]
	s_delay_alu instid0(VALU_DEP_2) | instskip(NEXT) | instid1(VALU_DEP_2)
	v_fma_f64 v[4:5], v[40:41], v[204:205], -v[4:5]
	v_fmac_f64_e32 v[20:21], v[42:43], v[204:205]
	s_delay_alu instid0(VALU_DEP_2) | instskip(NEXT) | instid1(VALU_DEP_2)
	v_add_f64_e32 v[14:15], v[14:15], v[4:5]
	v_add_f64_e32 v[16:17], v[16:17], v[20:21]
.LBB93_433:                             ;   in Loop: Header=BB93_3 Depth=1
	s_or_b32 exec_lo, exec_lo, s16
	s_delay_alu instid0(VALU_DEP_2) | instskip(NEXT) | instid1(VALU_DEP_2)
	v_xor_b32_e32 v15, 0x80000000, v15
	v_xor_b32_e32 v17, 0x80000000, v17
.LBB93_434:                             ;   in Loop: Header=BB93_3 Depth=1
	s_or_b32 exec_lo, exec_lo, s36
	s_and_saveexec_b32 s16, s67
; %bb.435:                              ;   in Loop: Header=BB93_3 Depth=1
	ds_store_b128 v27, v[14:17]
; %bb.436:                              ;   in Loop: Header=BB93_3 Depth=1
	s_or_b32 exec_lo, exec_lo, s16
	s_wait_dscnt 0x0
	s_barrier_signal -1
	s_barrier_wait -1
	s_and_saveexec_b32 s16, s68
	s_cbranch_execz .LBB93_438
; %bb.437:                              ;   in Loop: Header=BB93_3 Depth=1
	ds_load_b128 v[40:43], v27
	ds_load_b128 v[204:207], v2 offset:15856
	s_wait_dscnt 0x0
	v_mul_f64_e32 v[4:5], v[42:43], v[206:207]
	v_mul_f64_e32 v[20:21], v[40:41], v[206:207]
	s_delay_alu instid0(VALU_DEP_2) | instskip(NEXT) | instid1(VALU_DEP_2)
	v_fma_f64 v[4:5], v[40:41], v[204:205], -v[4:5]
	v_fmac_f64_e32 v[20:21], v[42:43], v[204:205]
	s_delay_alu instid0(VALU_DEP_2) | instskip(NEXT) | instid1(VALU_DEP_2)
	v_add_f64_e32 v[14:15], v[14:15], v[4:5]
	v_add_f64_e32 v[16:17], v[16:17], v[20:21]
.LBB93_438:                             ;   in Loop: Header=BB93_3 Depth=1
	s_or_b32 exec_lo, exec_lo, s16
	s_barrier_signal -1
	s_barrier_wait -1
	s_and_saveexec_b32 s16, s68
; %bb.439:                              ;   in Loop: Header=BB93_3 Depth=1
	ds_store_b128 v27, v[14:17]
; %bb.440:                              ;   in Loop: Header=BB93_3 Depth=1
	s_or_b32 exec_lo, exec_lo, s16
	s_wait_dscnt 0x0
	s_barrier_signal -1
	s_barrier_wait -1
	s_barrier_signal -1
	s_barrier_wait -1
	s_and_saveexec_b32 s16, s2
; %bb.441:                              ;   in Loop: Header=BB93_3 Depth=1
	v_xor_b32_e32 v15, 0x80000000, v15
	v_xor_b32_e32 v17, 0x80000000, v17
	ds_store_b128 v182, v[14:17] offset:14816
; %bb.442:                              ;   in Loop: Header=BB93_3 Depth=1
	s_or_b32 exec_lo, exec_lo, s16
	s_wait_dscnt 0x0
	s_barrier_signal -1
	s_barrier_wait -1
	s_barrier_signal -1
	s_barrier_wait -1
	s_and_saveexec_b32 s16, s69
	s_cbranch_execz .LBB93_444
; %bb.443:                              ;   in Loop: Header=BB93_3 Depth=1
	ds_load_b128 v[14:17], v94
	s_wait_dscnt 0x0
	ds_store_b128 v97, v[14:17]
	ds_load_b128 v[14:17], v194
	s_wait_dscnt 0x0
	ds_store_b128 v195, v[14:17]
.LBB93_444:                             ;   in Loop: Header=BB93_3 Depth=1
	s_or_b32 exec_lo, exec_lo, s16
	s_wait_dscnt 0x0
	s_barrier_signal -1
	s_barrier_wait -1
	s_and_saveexec_b32 s17, s27
	s_cbranch_execz .LBB93_446
; %bb.445:                              ;   in Loop: Header=BB93_3 Depth=1
	s_mov_b32 s36, s35
	s_mov_b32 s38, s35
	s_mov_b32 s39, s35
	v_mov_b64_e32 v[14:15], s[36:37]
	v_mov_b64_e32 v[16:17], s[38:39]
	ds_store_b128 v2, v[14:17] offset:15840
	ds_store_b128 v2, v[14:17] offset:16368
	ds_load_b128 v[14:17], v2 offset:15856
	s_wait_dscnt 0x0
	ds_store_b128 v2, v[14:17] offset:16352
.LBB93_446:                             ;   in Loop: Header=BB93_3 Depth=1
	s_or_b32 exec_lo, exec_lo, s17
.LBB93_447:                             ;   in Loop: Header=BB93_3 Depth=1
	v_mov_b64_e32 v[14:15], 0
	s_mul_u64 s[16:17], s[54:55], s[34:35]
	s_wait_dscnt 0x0
	s_lshl_b64 s[16:17], s[16:17], 4
	s_barrier_signal -1
	s_add_nc_u64 s[38:39], s[48:49], s[16:17]
	s_barrier_wait -1
	v_mov_b64_e32 v[16:17], v[14:15]
	s_and_saveexec_b32 s16, s101
	s_cbranch_execz .LBB93_449
; %bb.448:                              ;   in Loop: Header=BB93_3 Depth=1
	v_lshl_add_u64 v[4:5], v[32:33], 4, s[38:39]
	global_load_b128 v[40:43], v[4:5], off
	s_wait_loadcnt 0x0
	v_mul_f64_e32 v[4:5], s[44:45], v[40:41]
	s_delay_alu instid0(VALU_DEP_1) | instskip(SKIP_1) | instid1(VALU_DEP_1)
	v_fma_f64 v[14:15], s[46:47], v[42:43], -v[4:5]
	v_mul_f64_e32 v[4:5], s[44:45], v[42:43]
	v_fma_f64 v[16:17], v[40:41], -s[46:47], -v[4:5]
.LBB93_449:                             ;   in Loop: Header=BB93_3 Depth=1
	s_or_b32 exec_lo, exec_lo, s16
	s_delay_alu instid0(SALU_CYCLE_1)
	s_and_not1_b32 vcc_lo, exec_lo, s102
	s_cbranch_vccnz .LBB93_472
; %bb.450:                              ;   in Loop: Header=BB93_3 Depth=1
	v_mov_b32_e32 v23, -1
	s_lshl_b64 s[16:17], s[34:35], 2
	s_mov_b32 s36, 0
	s_add_nc_u64 s[60:61], s[50:51], s[16:17]
	s_branch .LBB93_453
.LBB93_451:                             ;   in Loop: Header=BB93_453 Depth=2
	ds_load_b128 v[204:207], v113 offset:256
	s_wait_loadcnt_dscnt 0x0
	v_mul_f64_e32 v[4:5], v[40:41], v[206:207]
	v_mul_f64_e32 v[40:41], v[40:41], v[204:205]
	s_delay_alu instid0(VALU_DEP_2) | instskip(NEXT) | instid1(VALU_DEP_2)
	v_fmac_f64_e32 v[4:5], v[20:21], v[204:205]
	v_fma_f64 v[20:21], v[20:21], v[206:207], -v[40:41]
	s_delay_alu instid0(VALU_DEP_2) | instskip(NEXT) | instid1(VALU_DEP_2)
	v_add_f64_e32 v[14:15], v[14:15], v[4:5]
	v_add_f64_e32 v[16:17], v[16:17], v[20:21]
.LBB93_452:                             ;   in Loop: Header=BB93_453 Depth=2
	s_or_b32 exec_lo, exec_lo, s17
	s_add_co_i32 s36, s36, 1
	s_delay_alu instid0(SALU_CYCLE_1)
	s_cmp_eq_u32 s36, s62
	s_cbranch_scc1 .LBB93_472
.LBB93_453:                             ;   Parent Loop BB93_3 Depth=1
                                        ; =>  This Loop Header: Depth=2
                                        ;       Child Loop BB93_455 Depth 3
	v_cmp_gt_i32_e32 vcc_lo, s36, v23
	s_and_b32 s17, s30, vcc_lo
	s_delay_alu instid0(SALU_CYCLE_1)
	s_and_saveexec_b32 s16, s17
	s_cbranch_execz .LBB93_456
; %bb.454:                              ;   in Loop: Header=BB93_453 Depth=2
	global_load_b32 v23, v2, s[60:61]
	s_wait_loadcnt 0x0
	v_cmp_le_i32_e32 vcc_lo, s36, v23
	s_cbranch_vccnz .LBB93_456
.LBB93_455:                             ;   Parent Loop BB93_3 Depth=1
                                        ;     Parent Loop BB93_453 Depth=2
                                        ; =>    This Inner Loop Header: Depth=3
	global_wb scope:SCOPE_DEV
	s_wait_storecnt 0x0
	global_inv scope:SCOPE_DEV
	global_load_b32 v23, v2, s[60:61]
	s_wait_loadcnt 0x0
	v_cmp_gt_i32_e32 vcc_lo, s36, v23
	s_cbranch_vccnz .LBB93_455
.LBB93_456:                             ;   in Loop: Header=BB93_453 Depth=2
	s_or_b32 exec_lo, exec_lo, s16
	s_sub_co_i32 s17, s63, s36
	global_wb scope:SCOPE_DEV
	s_wait_storecnt 0x0
	global_inv scope:SCOPE_DEV
	s_lshl_b32 s16, s17, 5
	s_wait_loadcnt 0x0
	s_barrier_signal -1
	s_barrier_wait -1
	s_and_saveexec_b32 s22, s31
	s_cbranch_execz .LBB93_461
; %bb.457:                              ;   in Loop: Header=BB93_453 Depth=2
	s_ashr_i32 vcc_lo, s16, 31
	s_delay_alu instid0(SALU_CYCLE_1) | instskip(NEXT) | instid1(VALU_DEP_1)
	v_dual_mov_b32 v5, vcc_lo :: v_dual_bitop2_b32 v4, s16, v26 bitop3:0x54
	v_cmp_le_i64_e32 vcc_lo, s[56:57], v[4:5]
	s_and_saveexec_b32 s23, vcc_lo
	s_delay_alu instid0(SALU_CYCLE_1)
	s_xor_b32 vcc_lo, exec_lo, s23
; %bb.458:                              ;   in Loop: Header=BB93_453 Depth=2
	v_dual_mov_b32 v3, v2 :: v_dual_mov_b32 v4, v2
	v_mov_b32_e32 v5, v2
	ds_store_b128 v177, v[2:5]
                                        ; implicit-def: $vgpr4_vgpr5
; %bb.459:                              ;   in Loop: Header=BB93_453 Depth=2
	s_and_not1_saveexec_b32 s23, vcc_lo
	s_cbranch_execz .LBB93_461
; %bb.460:                              ;   in Loop: Header=BB93_453 Depth=2
	v_mul_u64_e32 v[4:5], s[52:53], v[4:5]
	s_delay_alu instid0(VALU_DEP_1)
	v_lshl_add_u64 v[4:5], v[4:5], 4, s[38:39]
	global_load_b128 v[40:43], v[4:5], off
	s_wait_loadcnt 0x0
	ds_store_2addr_b64 v177, v[40:41], v[42:43] offset1:1
.LBB93_461:                             ;   in Loop: Header=BB93_453 Depth=2
	s_or_b32 exec_lo, exec_lo, s22
	v_add_nc_u32_e32 v20, s16, v22
	s_cmp_lg_u32 s17, s103
	s_wait_dscnt 0x0
	s_cselect_b32 s16, -1, 0
	s_barrier_signal -1
	v_ashrrev_i32_e32 v21, 31, v20
	v_cmp_gt_i32_e32 vcc_lo, s56, v20
	v_cndmask_b32_e64 v3, 0, 1, s16
	s_barrier_wait -1
	s_delay_alu instid0(VALU_DEP_3) | instskip(SKIP_1) | instid1(SALU_CYCLE_1)
	v_lshl_add_u64 v[4:5], v[20:21], 4, v[18:19]
	s_and_b32 s22, vcc_lo, s0
	s_and_saveexec_b32 s17, s22
	s_cbranch_execz .LBB93_467
; %bb.462:                              ;   in Loop: Header=BB93_453 Depth=2
	v_mov_b64_e32 v[40:41], v[6:7]
	s_and_not1_b32 vcc_lo, exec_lo, s16
	s_cbranch_vccnz .LBB93_464
; %bb.463:                              ;   in Loop: Header=BB93_453 Depth=2
	global_load_b64 v[40:41], v[4:5], off
.LBB93_464:                             ;   in Loop: Header=BB93_453 Depth=2
	v_cmp_ne_u32_e32 vcc_lo, 1, v3
	v_mov_b64_e32 v[42:43], v[8:9]
	s_cbranch_vccnz .LBB93_466
; %bb.465:                              ;   in Loop: Header=BB93_453 Depth=2
	global_load_b64 v[42:43], v[4:5], off offset:8
.LBB93_466:                             ;   in Loop: Header=BB93_453 Depth=2
	ds_load_b128 v[204:207], v113
	s_wait_loadcnt_dscnt 0x0
	v_mul_f64_e32 v[208:209], v[42:43], v[206:207]
	v_mul_f64_e32 v[42:43], v[42:43], v[204:205]
	s_delay_alu instid0(VALU_DEP_2) | instskip(NEXT) | instid1(VALU_DEP_2)
	v_fmac_f64_e32 v[208:209], v[40:41], v[204:205]
	v_fma_f64 v[40:41], v[40:41], v[206:207], -v[42:43]
	s_delay_alu instid0(VALU_DEP_2) | instskip(NEXT) | instid1(VALU_DEP_2)
	v_add_f64_e32 v[14:15], v[14:15], v[208:209]
	v_add_f64_e32 v[16:17], v[16:17], v[40:41]
.LBB93_467:                             ;   in Loop: Header=BB93_453 Depth=2
	s_or_b32 exec_lo, exec_lo, s17
	v_add_nc_u32_e32 v20, 16, v20
	s_delay_alu instid0(VALU_DEP_1) | instskip(SKIP_1) | instid1(SALU_CYCLE_1)
	v_cmp_gt_i32_e32 vcc_lo, s56, v20
	s_and_b32 s16, vcc_lo, s0
	s_and_saveexec_b32 s17, s16
	s_cbranch_execz .LBB93_452
; %bb.468:                              ;   in Loop: Header=BB93_453 Depth=2
	v_cmp_ne_u32_e32 vcc_lo, 1, v3
	v_mov_b64_e32 v[20:21], v[10:11]
	s_cbranch_vccnz .LBB93_470
; %bb.469:                              ;   in Loop: Header=BB93_453 Depth=2
	global_load_b64 v[20:21], v[4:5], off offset:256
.LBB93_470:                             ;   in Loop: Header=BB93_453 Depth=2
	v_cmp_ne_u32_e32 vcc_lo, 1, v3
	v_mov_b64_e32 v[40:41], v[12:13]
	s_cbranch_vccnz .LBB93_451
; %bb.471:                              ;   in Loop: Header=BB93_453 Depth=2
	global_load_b64 v[40:41], v[4:5], off offset:264
	s_branch .LBB93_451
.LBB93_472:                             ;   in Loop: Header=BB93_3 Depth=1
	ds_store_b128 v178, v[14:17]
	s_wait_dscnt 0x0
	s_barrier_signal -1
	s_barrier_wait -1
	s_and_saveexec_b32 s36, s3
	s_cbranch_execz .LBB93_474
; %bb.473:                              ;   in Loop: Header=BB93_3 Depth=1
	ds_load_b128 v[18:21], v179 offset:512
	s_wait_dscnt 0x0
	v_add_f64_e32 v[4:5], v[14:15], v[18:19]
	v_add_f64_e32 v[18:19], v[16:17], v[20:21]
	ds_load_b128 v[14:17], v179 offset:1024
	s_wait_dscnt 0x0
	v_add_f64_e32 v[4:5], v[4:5], v[14:15]
	v_add_f64_e32 v[18:19], v[18:19], v[16:17]
	;; [unrolled: 4-line block ×15, first 2 shown]
	s_delay_alu instid0(VALU_DEP_2) | instskip(NEXT) | instid1(VALU_DEP_2)
	v_xor_b32_e32 v3, 0x80000000, v5
	v_xor_b32_e32 v5, 0x80000000, v17
	s_delay_alu instid0(VALU_DEP_4) | instskip(NEXT) | instid1(VALU_DEP_4)
	v_cndmask_b32_e64 v14, v4, 0, s98
	v_cndmask_b32_e64 v16, v16, 0, s98
	s_delay_alu instid0(VALU_DEP_4) | instskip(NEXT) | instid1(VALU_DEP_4)
	v_cndmask_b32_e64 v15, v3, 0, s98
	v_cndmask_b32_e64 v17, v5, 0, s98
.LBB93_474:                             ;   in Loop: Header=BB93_3 Depth=1
	s_or_b32 exec_lo, exec_lo, s36
	s_delay_alu instid0(SALU_CYCLE_1)
	s_and_not1_b32 vcc_lo, exec_lo, s66
	s_cbranch_vccnz .LBB93_483
; %bb.475:                              ;   in Loop: Header=BB93_3 Depth=1
	s_and_saveexec_b32 s16, s3
; %bb.476:                              ;   in Loop: Header=BB93_3 Depth=1
	ds_store_b128 v180, v[14:17]
; %bb.477:                              ;   in Loop: Header=BB93_3 Depth=1
	s_or_b32 exec_lo, exec_lo, s16
	v_mov_b64_e32 v[18:19], 0
	v_mov_b64_e32 v[20:21], 0
	s_wait_dscnt 0x0
	s_barrier_signal -1
	s_barrier_wait -1
	s_and_saveexec_b32 s16, s1
	s_cbranch_execz .LBB93_479
; %bb.478:                              ;   in Loop: Header=BB93_3 Depth=1
	ds_load_b128 v[18:21], v113
	ds_load_b128 v[40:43], v198
	s_wait_dscnt 0x0
	v_mul_f64_e32 v[4:5], v[20:21], v[42:43]
	v_mul_f64_e32 v[42:43], v[18:19], v[42:43]
	s_delay_alu instid0(VALU_DEP_2) | instskip(NEXT) | instid1(VALU_DEP_2)
	v_fma_f64 v[4:5], v[18:19], v[40:41], -v[4:5]
	v_fmac_f64_e32 v[42:43], v[20:21], v[40:41]
	s_delay_alu instid0(VALU_DEP_2) | instskip(NEXT) | instid1(VALU_DEP_2)
	v_add_f64_e32 v[18:19], 0, v[4:5]
	v_add_f64_e32 v[20:21], 0, v[42:43]
.LBB93_479:                             ;   in Loop: Header=BB93_3 Depth=1
	s_or_b32 exec_lo, exec_lo, s16
	s_and_saveexec_b32 s16, s7
	s_cbranch_execz .LBB93_481
; %bb.480:                              ;   in Loop: Header=BB93_3 Depth=1
	ds_load_b128 v[40:43], v113 offset:256
	ds_load_b128 v[204:207], v198 offset:8192
	s_wait_dscnt 0x0
	v_mul_f64_e32 v[4:5], v[42:43], v[206:207]
	s_delay_alu instid0(VALU_DEP_1) | instskip(SKIP_1) | instid1(VALU_DEP_2)
	v_fma_f64 v[4:5], v[40:41], v[204:205], -v[4:5]
	v_mul_f64_e32 v[40:41], v[40:41], v[206:207]
	v_add_f64_e32 v[18:19], v[18:19], v[4:5]
	s_delay_alu instid0(VALU_DEP_2) | instskip(NEXT) | instid1(VALU_DEP_1)
	v_fmac_f64_e32 v[40:41], v[42:43], v[204:205]
	v_add_f64_e32 v[20:21], v[20:21], v[40:41]
.LBB93_481:                             ;   in Loop: Header=BB93_3 Depth=1
	s_or_b32 exec_lo, exec_lo, s16
	s_mov_b32 s60, 0
	s_mov_b32 s36, 0
	ds_store_b128 v178, v[18:21]
	s_wait_dscnt 0x0
	s_barrier_signal -1
	s_barrier_wait -1
                                        ; implicit-def: $vgpr4_vgpr5
                                        ; implicit-def: $vgpr40_vgpr41
	s_and_saveexec_b32 s61, s3
	s_cbranch_execz .LBB93_514
; %bb.482:                              ;   in Loop: Header=BB93_3 Depth=1
	ds_load_b128 v[40:43], v179 offset:512
	s_mov_b32 s36, exec_lo
	s_wait_dscnt 0x0
	v_add_f64_e32 v[4:5], v[18:19], v[40:41]
	v_add_f64_e32 v[40:41], v[20:21], v[42:43]
	ds_load_b128 v[18:21], v179 offset:1024
	s_wait_dscnt 0x0
	v_add_f64_e32 v[4:5], v[4:5], v[18:19]
	v_add_f64_e32 v[40:41], v[40:41], v[20:21]
	ds_load_b128 v[18:21], v179 offset:1536
	;; [unrolled: 4-line block ×14, first 2 shown]
	s_wait_dscnt 0x0
	v_add_f64_e32 v[40:41], v[4:5], v[18:19]
	v_add_f64_e32 v[4:5], v[42:43], v[20:21]
	s_or_b32 exec_lo, exec_lo, s61
	s_delay_alu instid0(SALU_CYCLE_1)
	s_and_b32 vcc_lo, exec_lo, s60
	s_cbranch_vccnz .LBB93_484
	s_branch .LBB93_515
.LBB93_483:                             ;   in Loop: Header=BB93_3 Depth=1
	s_mov_b32 s36, 0
                                        ; implicit-def: $vgpr4_vgpr5
                                        ; implicit-def: $vgpr40_vgpr41
	s_cbranch_execz .LBB93_515
.LBB93_484:                             ;   in Loop: Header=BB93_3 Depth=1
	v_dual_mov_b32 v3, v202 :: v_dual_mov_b32 v4, v201
	s_mov_b32 s60, 31
	s_branch .LBB93_486
.LBB93_485:                             ;   in Loop: Header=BB93_486 Depth=2
	s_or_b32 exec_lo, exec_lo, s16
	v_add_nc_u32_e32 v4, 0xfffffc00, v4
	v_add_nc_u32_e32 v3, 2, v3
	s_add_co_i32 s60, s60, -2
	s_cmp_lg_u32 s61, 0
	s_barrier_signal -1
	s_barrier_wait -1
	s_cbranch_scc0 .LBB93_494
.LBB93_486:                             ;   Parent Loop BB93_3 Depth=1
                                        ; =>  This Inner Loop Header: Depth=2
	s_delay_alu instid0(VALU_DEP_1) | instskip(SKIP_1) | instid1(SALU_CYCLE_1)
	v_cmp_eq_u32_e32 vcc_lo, 0, v3
	s_and_b32 s17, s3, vcc_lo
	s_and_saveexec_b32 s16, s17
; %bb.487:                              ;   in Loop: Header=BB93_486 Depth=2
	ds_store_b128 v2, v[14:17] offset:25088
; %bb.488:                              ;   in Loop: Header=BB93_486 Depth=2
	s_or_b32 exec_lo, exec_lo, s16
	v_cmp_gt_u32_e32 vcc_lo, s60, v24
	s_wait_dscnt 0x0
	s_barrier_signal -1
	s_barrier_wait -1
	s_and_b32 s17, s3, vcc_lo
	s_delay_alu instid0(SALU_CYCLE_1)
	s_and_saveexec_b32 s16, s17
	s_cbranch_execz .LBB93_490
; %bb.489:                              ;   in Loop: Header=BB93_486 Depth=2
	ds_load_b128 v[18:21], v2 offset:25088
	ds_load_b128 v[40:43], v4 offset:512
	s_wait_dscnt 0x0
	v_mul_f64_e32 v[204:205], v[20:21], v[42:43]
	s_delay_alu instid0(VALU_DEP_1) | instskip(SKIP_1) | instid1(VALU_DEP_2)
	v_fma_f64 v[204:205], v[18:19], v[40:41], -v[204:205]
	v_mul_f64_e32 v[18:19], v[18:19], v[42:43]
	v_add_f64_e32 v[14:15], v[14:15], v[204:205]
	s_delay_alu instid0(VALU_DEP_2) | instskip(NEXT) | instid1(VALU_DEP_1)
	v_fmac_f64_e32 v[18:19], v[20:21], v[40:41]
	v_add_f64_e32 v[16:17], v[16:17], v[18:19]
.LBB93_490:                             ;   in Loop: Header=BB93_486 Depth=2
	s_or_b32 exec_lo, exec_lo, s16
	s_add_co_i32 s61, s60, -1
	s_delay_alu instid0(SALU_CYCLE_1) | instskip(SKIP_3) | instid1(SALU_CYCLE_1)
	v_cmp_eq_u32_e32 vcc_lo, s61, v24
	s_barrier_signal -1
	s_barrier_wait -1
	s_and_b32 s17, s3, vcc_lo
	s_and_saveexec_b32 s16, s17
; %bb.491:                              ;   in Loop: Header=BB93_486 Depth=2
	ds_store_b128 v2, v[14:17] offset:25088
; %bb.492:                              ;   in Loop: Header=BB93_486 Depth=2
	s_or_b32 exec_lo, exec_lo, s16
	v_cmp_gt_u32_e32 vcc_lo, s61, v24
	s_wait_dscnt 0x0
	s_barrier_signal -1
	s_barrier_wait -1
	s_and_b32 s17, s3, vcc_lo
	s_delay_alu instid0(SALU_CYCLE_1)
	s_and_saveexec_b32 s16, s17
	s_cbranch_execz .LBB93_485
; %bb.493:                              ;   in Loop: Header=BB93_486 Depth=2
	ds_load_b128 v[18:21], v2 offset:25088
	ds_load_b128 v[40:43], v4
	s_wait_dscnt 0x0
	v_mul_f64_e32 v[204:205], v[20:21], v[42:43]
	s_delay_alu instid0(VALU_DEP_1) | instskip(SKIP_1) | instid1(VALU_DEP_2)
	v_fma_f64 v[204:205], v[18:19], v[40:41], -v[204:205]
	v_mul_f64_e32 v[18:19], v[18:19], v[42:43]
	v_add_f64_e32 v[14:15], v[14:15], v[204:205]
	s_delay_alu instid0(VALU_DEP_2) | instskip(NEXT) | instid1(VALU_DEP_1)
	v_fmac_f64_e32 v[18:19], v[20:21], v[40:41]
	v_add_f64_e32 v[16:17], v[16:17], v[18:19]
	s_branch .LBB93_485
.LBB93_494:                             ;   in Loop: Header=BB93_3 Depth=1
	s_and_b32 vcc_lo, exec_lo, s64
	s_mov_b32 s16, -1
	s_cbranch_vccnz .LBB93_516
; %bb.495:                              ;   in Loop: Header=BB93_3 Depth=1
	s_and_not1_b32 vcc_lo, exec_lo, s16
	s_cbranch_vccz .LBB93_517
.LBB93_496:                             ;   in Loop: Header=BB93_3 Depth=1
	s_and_saveexec_b32 s16, s36
	s_cbranch_execz .LBB93_498
.LBB93_497:                             ;   in Loop: Header=BB93_3 Depth=1
	v_lshl_add_u64 v[4:5], v[0:1], 4, s[38:39]
	global_store_b128 v[4:5], v[14:17], off
.LBB93_498:                             ;   in Loop: Header=BB93_3 Depth=1
	s_wait_xcnt 0x0
	s_or_b32 exec_lo, exec_lo, s16
	global_wb scope:SCOPE_DEV
	s_wait_storecnt 0x0
	global_inv scope:SCOPE_DEV
	s_wait_loadcnt 0x0
	s_barrier_signal -1
	s_barrier_wait -1
	s_and_saveexec_b32 s16, s30
	s_cbranch_execz .LBB93_2
; %bb.499:                              ;   in Loop: Header=BB93_3 Depth=1
	s_lshl_b64 s[38:39], s[34:35], 2
	s_delay_alu instid0(SALU_CYCLE_1)
	s_add_nc_u64 s[38:39], s[50:51], s[38:39]
	global_load_b32 v3, v2, s[38:39]
	s_wait_loadcnt 0x0
	v_add_nc_u32_e32 v3, 1, v3
	global_store_b32 v2, v3, s[38:39]
	s_branch .LBB93_2
.LBB93_500:                             ;   in Loop: Header=BB93_3 Depth=1
	s_and_saveexec_b32 s17, s28
; %bb.501:                              ;   in Loop: Header=BB93_3 Depth=1
	v_dual_mov_b32 v3, v2 :: v_dual_mov_b32 v4, v2
	v_mov_b32_e32 v5, v2
	ds_store_b128 v199, v[2:5]
; %bb.502:                              ;   in Loop: Header=BB93_3 Depth=1
	s_or_b32 exec_lo, exec_lo, s17
	s_and_not1_saveexec_b32 s16, s16
	s_cbranch_execz .LBB93_12
.LBB93_503:                             ;   in Loop: Header=BB93_3 Depth=1
	v_lshl_add_u64 v[4:5], v[38:39], 4, v[14:15]
	global_load_b128 v[40:43], v[4:5], off
	s_wait_loadcnt 0x0
	v_xor_b32_e32 v41, 0x80000000, v41
	ds_store_b128 v199, v[40:43]
	s_or_b32 exec_lo, exec_lo, s16
	s_and_saveexec_b32 s16, s7
	s_delay_alu instid0(SALU_CYCLE_1)
	s_xor_b32 s16, exec_lo, s16
	s_cbranch_execz .LBB93_13
.LBB93_504:                             ;   in Loop: Header=BB93_3 Depth=1
	s_and_saveexec_b32 s17, s29
; %bb.505:                              ;   in Loop: Header=BB93_3 Depth=1
	v_dual_mov_b32 v3, v2 :: v_dual_mov_b32 v4, v2
	v_mov_b32_e32 v5, v2
	ds_store_b128 v200, v[2:5]
; %bb.506:                              ;   in Loop: Header=BB93_3 Depth=1
	s_or_b32 exec_lo, exec_lo, s17
	s_and_not1_saveexec_b32 s16, s16
	s_cbranch_execnz .LBB93_14
	s_branch .LBB93_15
.LBB93_507:                             ;   in Loop: Header=BB93_3 Depth=1
	s_and_saveexec_b32 s17, s28
; %bb.508:                              ;   in Loop: Header=BB93_3 Depth=1
	v_dual_mov_b32 v3, v2 :: v_dual_mov_b32 v4, v2
	v_mov_b32_e32 v5, v2
	ds_store_b128 v196, v[2:5]
; %bb.509:                              ;   in Loop: Header=BB93_3 Depth=1
	s_or_b32 exec_lo, exec_lo, s17
	s_and_not1_saveexec_b32 s16, s16
	s_cbranch_execz .LBB93_19
.LBB93_510:                             ;   in Loop: Header=BB93_3 Depth=1
	v_lshl_add_u64 v[4:5], v[38:39], 4, v[14:15]
	global_load_b128 v[40:43], v[4:5], off
	s_wait_loadcnt 0x0
	v_xor_b32_e32 v41, 0x80000000, v41
	ds_store_b128 v196, v[40:43]
	s_or_b32 exec_lo, exec_lo, s16
	s_and_saveexec_b32 s16, s21
	s_delay_alu instid0(SALU_CYCLE_1)
	s_xor_b32 s16, exec_lo, s16
	s_cbranch_execz .LBB93_20
.LBB93_511:                             ;   in Loop: Header=BB93_3 Depth=1
	s_and_saveexec_b32 s17, s29
; %bb.512:                              ;   in Loop: Header=BB93_3 Depth=1
	v_dual_mov_b32 v3, v2 :: v_dual_mov_b32 v4, v2
	v_mov_b32_e32 v5, v2
	ds_store_b128 v200, v[2:5]
; %bb.513:                              ;   in Loop: Header=BB93_3 Depth=1
	s_or_b32 exec_lo, exec_lo, s17
                                        ; implicit-def: $vgpr14_vgpr15
	s_and_not1_saveexec_b32 s16, s16
	s_cbranch_execnz .LBB93_21
	s_branch .LBB93_22
.LBB93_514:                             ;   in Loop: Header=BB93_3 Depth=1
	s_or_b32 exec_lo, exec_lo, s61
	s_delay_alu instid0(SALU_CYCLE_1)
	s_and_b32 vcc_lo, exec_lo, s60
	s_cbranch_vccnz .LBB93_484
.LBB93_515:                             ;   in Loop: Header=BB93_3 Depth=1
	s_delay_alu instid0(VALU_DEP_1) | instskip(NEXT) | instid1(VALU_DEP_3)
	v_mov_b64_e32 v[16:17], v[4:5]
	v_mov_b64_e32 v[14:15], v[40:41]
	s_and_saveexec_b32 s16, s36
	s_cbranch_execnz .LBB93_497
	s_branch .LBB93_498
.LBB93_516:                             ;   in Loop: Header=BB93_3 Depth=1
	s_and_not1_b32 s17, s36, exec_lo
	s_and_b32 s22, s3, exec_lo
	s_delay_alu instid0(SALU_CYCLE_1)
	s_or_b32 s36, s17, s22
	s_cbranch_execnz .LBB93_496
.LBB93_517:                             ;   in Loop: Header=BB93_3 Depth=1
	v_readlane_b32 s17, v203, 19
	s_and_not1_b32 s16, s36, exec_lo
	s_and_b32 s17, s17, exec_lo
	s_delay_alu instid0(SALU_CYCLE_1) | instskip(NEXT) | instid1(SALU_CYCLE_1)
	s_or_b32 s36, s16, s17
	s_and_saveexec_b32 s16, s36
	s_cbranch_execnz .LBB93_497
	s_branch .LBB93_498
.LBB93_518:                             ;   in Loop: Header=BB93_3 Depth=1
	ds_load_b128 v[40:43], v46 offset:16
	ds_load_b128 v[204:207], v187 offset:576
	s_wait_dscnt 0x0
	v_mul_f64_e32 v[4:5], v[42:43], v[206:207]
	v_mul_f64_e32 v[20:21], v[40:41], v[206:207]
	s_delay_alu instid0(VALU_DEP_2) | instskip(NEXT) | instid1(VALU_DEP_2)
	v_fma_f64 v[4:5], v[40:41], v[204:205], -v[4:5]
	v_fmac_f64_e32 v[20:21], v[42:43], v[204:205]
	s_delay_alu instid0(VALU_DEP_2) | instskip(NEXT) | instid1(VALU_DEP_2)
	v_add_f64_e32 v[14:15], v[14:15], v[4:5]
	v_add_f64_e32 v[16:17], v[16:17], v[20:21]
	s_or_b32 exec_lo, exec_lo, s16
	s_and_saveexec_b32 s16, s10
	s_cbranch_execz .LBB93_45
.LBB93_519:                             ;   in Loop: Header=BB93_3 Depth=1
	ds_load_b128 v[40:43], v46 offset:32
	ds_load_b128 v[204:207], v186 offset:1088
	s_wait_dscnt 0x0
	v_mul_f64_e32 v[4:5], v[42:43], v[206:207]
	v_mul_f64_e32 v[20:21], v[40:41], v[206:207]
	s_delay_alu instid0(VALU_DEP_2) | instskip(NEXT) | instid1(VALU_DEP_2)
	v_fma_f64 v[4:5], v[40:41], v[204:205], -v[4:5]
	v_fmac_f64_e32 v[20:21], v[42:43], v[204:205]
	s_delay_alu instid0(VALU_DEP_2) | instskip(NEXT) | instid1(VALU_DEP_2)
	v_add_f64_e32 v[14:15], v[14:15], v[4:5]
	v_add_f64_e32 v[16:17], v[16:17], v[20:21]
	s_or_b32 exec_lo, exec_lo, s16
	s_and_saveexec_b32 s16, s2
	s_cbranch_execnz .LBB93_46
	s_branch .LBB93_47
.LBB93_520:                             ;   in Loop: Header=BB93_3 Depth=1
	ds_load_b128 v[40:43], v47 offset:16
	ds_load_b128 v[204:207], v190 offset:640
	s_wait_dscnt 0x0
	v_mul_f64_e32 v[4:5], v[42:43], v[206:207]
	v_mul_f64_e32 v[20:21], v[40:41], v[206:207]
	s_delay_alu instid0(VALU_DEP_2) | instskip(NEXT) | instid1(VALU_DEP_2)
	v_fma_f64 v[4:5], v[40:41], v[204:205], -v[4:5]
	v_fmac_f64_e32 v[20:21], v[42:43], v[204:205]
	s_delay_alu instid0(VALU_DEP_2) | instskip(NEXT) | instid1(VALU_DEP_2)
	v_add_f64_e32 v[14:15], v[14:15], v[4:5]
	v_add_f64_e32 v[16:17], v[16:17], v[20:21]
	s_or_b32 exec_lo, exec_lo, s16
	s_and_saveexec_b32 s16, s12
	s_cbranch_execz .LBB93_87
.LBB93_521:                             ;   in Loop: Header=BB93_3 Depth=1
	ds_load_b128 v[40:43], v47 offset:32
	ds_load_b128 v[204:207], v190 offset:1152
	s_wait_dscnt 0x0
	v_mul_f64_e32 v[4:5], v[42:43], v[206:207]
	v_mul_f64_e32 v[20:21], v[40:41], v[206:207]
	s_delay_alu instid0(VALU_DEP_2) | instskip(NEXT) | instid1(VALU_DEP_2)
	v_fma_f64 v[4:5], v[40:41], v[204:205], -v[4:5]
	v_fmac_f64_e32 v[20:21], v[42:43], v[204:205]
	s_delay_alu instid0(VALU_DEP_2) | instskip(NEXT) | instid1(VALU_DEP_2)
	v_add_f64_e32 v[14:15], v[14:15], v[4:5]
	v_add_f64_e32 v[16:17], v[16:17], v[20:21]
	s_or_b32 exec_lo, exec_lo, s16
	s_and_saveexec_b32 s16, s13
	s_cbranch_execz .LBB93_88
.LBB93_522:                             ;   in Loop: Header=BB93_3 Depth=1
	ds_load_b128 v[40:43], v47 offset:48
	ds_load_b128 v[204:207], v190 offset:1664
	s_wait_dscnt 0x0
	v_mul_f64_e32 v[4:5], v[42:43], v[206:207]
	v_mul_f64_e32 v[20:21], v[40:41], v[206:207]
	s_delay_alu instid0(VALU_DEP_2) | instskip(NEXT) | instid1(VALU_DEP_2)
	v_fma_f64 v[4:5], v[40:41], v[204:205], -v[4:5]
	v_fmac_f64_e32 v[20:21], v[42:43], v[204:205]
	s_delay_alu instid0(VALU_DEP_2) | instskip(NEXT) | instid1(VALU_DEP_2)
	v_add_f64_e32 v[14:15], v[14:15], v[4:5]
	v_add_f64_e32 v[16:17], v[16:17], v[20:21]
	s_or_b32 exec_lo, exec_lo, s16
	s_and_saveexec_b32 s16, s14
	s_cbranch_execz .LBB93_89
.LBB93_523:                             ;   in Loop: Header=BB93_3 Depth=1
	ds_load_b128 v[40:43], v47 offset:64
	ds_load_b128 v[204:207], v189 offset:2176
	s_wait_dscnt 0x0
	v_mul_f64_e32 v[4:5], v[42:43], v[206:207]
	v_mul_f64_e32 v[20:21], v[40:41], v[206:207]
	s_delay_alu instid0(VALU_DEP_2) | instskip(NEXT) | instid1(VALU_DEP_2)
	v_fma_f64 v[4:5], v[40:41], v[204:205], -v[4:5]
	v_fmac_f64_e32 v[20:21], v[42:43], v[204:205]
	s_delay_alu instid0(VALU_DEP_2) | instskip(NEXT) | instid1(VALU_DEP_2)
	v_add_f64_e32 v[14:15], v[14:15], v[4:5]
	v_add_f64_e32 v[16:17], v[16:17], v[20:21]
	s_or_b32 exec_lo, exec_lo, s16
	s_and_saveexec_b32 s16, s15
	s_cbranch_execz .LBB93_90
.LBB93_524:                             ;   in Loop: Header=BB93_3 Depth=1
	ds_load_b128 v[40:43], v47 offset:80
	ds_load_b128 v[204:207], v190 offset:2688
	s_wait_dscnt 0x0
	v_mul_f64_e32 v[4:5], v[42:43], v[206:207]
	v_mul_f64_e32 v[20:21], v[40:41], v[206:207]
	s_delay_alu instid0(VALU_DEP_2) | instskip(NEXT) | instid1(VALU_DEP_2)
	v_fma_f64 v[4:5], v[40:41], v[204:205], -v[4:5]
	v_fmac_f64_e32 v[20:21], v[42:43], v[204:205]
	s_delay_alu instid0(VALU_DEP_2) | instskip(NEXT) | instid1(VALU_DEP_2)
	v_add_f64_e32 v[14:15], v[14:15], v[4:5]
	v_add_f64_e32 v[16:17], v[16:17], v[20:21]
	s_or_b32 exec_lo, exec_lo, s16
	s_and_saveexec_b32 s16, s4
	s_cbranch_execz .LBB93_91
.LBB93_525:                             ;   in Loop: Header=BB93_3 Depth=1
	ds_load_b128 v[40:43], v47 offset:96
	ds_load_b128 v[204:207], v189 offset:3200
	s_wait_dscnt 0x0
	v_mul_f64_e32 v[4:5], v[42:43], v[206:207]
	v_mul_f64_e32 v[20:21], v[40:41], v[206:207]
	s_delay_alu instid0(VALU_DEP_2) | instskip(NEXT) | instid1(VALU_DEP_2)
	v_fma_f64 v[4:5], v[40:41], v[204:205], -v[4:5]
	v_fmac_f64_e32 v[20:21], v[42:43], v[204:205]
	s_delay_alu instid0(VALU_DEP_2) | instskip(NEXT) | instid1(VALU_DEP_2)
	v_add_f64_e32 v[14:15], v[14:15], v[4:5]
	v_add_f64_e32 v[16:17], v[16:17], v[20:21]
	s_or_b32 exec_lo, exec_lo, s16
	s_and_saveexec_b32 s16, s10
	s_cbranch_execnz .LBB93_92
	s_branch .LBB93_93
.LBB93_526:                             ;   in Loop: Header=BB93_3 Depth=1
	ds_load_b128 v[40:43], v46 offset:4240
	ds_load_b128 v[204:207], v187 offset:4800
	s_wait_dscnt 0x0
	v_mul_f64_e32 v[4:5], v[42:43], v[206:207]
	v_mul_f64_e32 v[20:21], v[40:41], v[206:207]
	s_delay_alu instid0(VALU_DEP_2) | instskip(NEXT) | instid1(VALU_DEP_2)
	v_fma_f64 v[4:5], v[40:41], v[204:205], -v[4:5]
	v_fmac_f64_e32 v[20:21], v[42:43], v[204:205]
	s_delay_alu instid0(VALU_DEP_2) | instskip(NEXT) | instid1(VALU_DEP_2)
	v_add_f64_e32 v[14:15], v[14:15], v[4:5]
	v_add_f64_e32 v[16:17], v[16:17], v[20:21]
	s_or_b32 exec_lo, exec_lo, s16
	s_and_saveexec_b32 s16, s10
	s_cbranch_execz .LBB93_149
.LBB93_527:                             ;   in Loop: Header=BB93_3 Depth=1
	ds_load_b128 v[40:43], v46 offset:4256
	ds_load_b128 v[204:207], v186 offset:5312
	s_wait_dscnt 0x0
	v_mul_f64_e32 v[4:5], v[42:43], v[206:207]
	v_mul_f64_e32 v[20:21], v[40:41], v[206:207]
	s_delay_alu instid0(VALU_DEP_2) | instskip(NEXT) | instid1(VALU_DEP_2)
	v_fma_f64 v[4:5], v[40:41], v[204:205], -v[4:5]
	v_fmac_f64_e32 v[20:21], v[42:43], v[204:205]
	s_delay_alu instid0(VALU_DEP_2) | instskip(NEXT) | instid1(VALU_DEP_2)
	v_add_f64_e32 v[14:15], v[14:15], v[4:5]
	v_add_f64_e32 v[16:17], v[16:17], v[20:21]
	s_or_b32 exec_lo, exec_lo, s16
	s_and_saveexec_b32 s16, s2
	s_cbranch_execnz .LBB93_150
	s_branch .LBB93_151
.LBB93_528:                             ;   in Loop: Header=BB93_3 Depth=1
	ds_load_b128 v[40:43], v3 offset:176
	ds_load_b128 v[204:207], v154 offset:5888
	s_wait_dscnt 0x0
	v_mul_f64_e32 v[4:5], v[42:43], v[206:207]
	v_mul_f64_e32 v[20:21], v[40:41], v[206:207]
	s_delay_alu instid0(VALU_DEP_2) | instskip(NEXT) | instid1(VALU_DEP_2)
	v_fma_f64 v[4:5], v[40:41], v[204:205], -v[4:5]
	v_fmac_f64_e32 v[20:21], v[42:43], v[204:205]
	s_delay_alu instid0(VALU_DEP_2) | instskip(NEXT) | instid1(VALU_DEP_2)
	v_add_f64_e32 v[14:15], v[14:15], v[4:5]
	v_add_f64_e32 v[16:17], v[16:17], v[20:21]
	s_or_b32 exec_lo, exec_lo, s16
	s_and_saveexec_b32 s16, s5
	s_cbranch_execz .LBB93_211
.LBB93_529:                             ;   in Loop: Header=BB93_3 Depth=1
	ds_load_b128 v[40:43], v3 offset:192
	ds_load_b128 v[204:207], v154 offset:6400
	s_wait_dscnt 0x0
	v_mul_f64_e32 v[4:5], v[42:43], v[206:207]
	v_mul_f64_e32 v[20:21], v[40:41], v[206:207]
	s_delay_alu instid0(VALU_DEP_2) | instskip(NEXT) | instid1(VALU_DEP_2)
	v_fma_f64 v[4:5], v[40:41], v[204:205], -v[4:5]
	v_fmac_f64_e32 v[20:21], v[42:43], v[204:205]
	s_delay_alu instid0(VALU_DEP_2) | instskip(NEXT) | instid1(VALU_DEP_2)
	v_add_f64_e32 v[14:15], v[14:15], v[4:5]
	v_add_f64_e32 v[16:17], v[16:17], v[20:21]
	s_or_b32 exec_lo, exec_lo, s16
	s_and_saveexec_b32 s16, s12
	s_cbranch_execz .LBB93_212
.LBB93_530:                             ;   in Loop: Header=BB93_3 Depth=1
	ds_load_b128 v[40:43], v3 offset:208
	ds_load_b128 v[204:207], v154 offset:6912
	s_wait_dscnt 0x0
	v_mul_f64_e32 v[4:5], v[42:43], v[206:207]
	v_mul_f64_e32 v[20:21], v[40:41], v[206:207]
	s_delay_alu instid0(VALU_DEP_2) | instskip(NEXT) | instid1(VALU_DEP_2)
	v_fma_f64 v[4:5], v[40:41], v[204:205], -v[4:5]
	v_fmac_f64_e32 v[20:21], v[42:43], v[204:205]
	s_delay_alu instid0(VALU_DEP_2) | instskip(NEXT) | instid1(VALU_DEP_2)
	v_add_f64_e32 v[14:15], v[14:15], v[4:5]
	v_add_f64_e32 v[16:17], v[16:17], v[20:21]
	s_or_b32 exec_lo, exec_lo, s16
	s_and_saveexec_b32 s16, s14
	s_cbranch_execz .LBB93_213
.LBB93_531:                             ;   in Loop: Header=BB93_3 Depth=1
	ds_load_b128 v[40:43], v3 offset:224
	ds_load_b128 v[204:207], v154 offset:7424
	s_wait_dscnt 0x0
	v_mul_f64_e32 v[4:5], v[42:43], v[206:207]
	v_mul_f64_e32 v[20:21], v[40:41], v[206:207]
	s_delay_alu instid0(VALU_DEP_2) | instskip(NEXT) | instid1(VALU_DEP_2)
	v_fma_f64 v[4:5], v[40:41], v[204:205], -v[4:5]
	v_fmac_f64_e32 v[20:21], v[42:43], v[204:205]
	s_delay_alu instid0(VALU_DEP_2) | instskip(NEXT) | instid1(VALU_DEP_2)
	v_add_f64_e32 v[14:15], v[14:15], v[4:5]
	v_add_f64_e32 v[16:17], v[16:17], v[20:21]
	s_or_b32 exec_lo, exec_lo, s16
	s_and_saveexec_b32 s16, s4
	s_cbranch_execnz .LBB93_214
	s_branch .LBB93_215
.LBB93_532:                             ;   in Loop: Header=BB93_3 Depth=1
	ds_load_b128 v[40:43], v46 offset:8464
	ds_load_b128 v[204:207], v187 offset:9024
	s_wait_dscnt 0x0
	v_mul_f64_e32 v[4:5], v[42:43], v[206:207]
	v_mul_f64_e32 v[20:21], v[40:41], v[206:207]
	s_delay_alu instid0(VALU_DEP_2) | instskip(NEXT) | instid1(VALU_DEP_2)
	v_fma_f64 v[4:5], v[40:41], v[204:205], -v[4:5]
	v_fmac_f64_e32 v[20:21], v[42:43], v[204:205]
	s_delay_alu instid0(VALU_DEP_2) | instskip(NEXT) | instid1(VALU_DEP_2)
	v_add_f64_e32 v[14:15], v[14:15], v[4:5]
	v_add_f64_e32 v[16:17], v[16:17], v[20:21]
	s_or_b32 exec_lo, exec_lo, s16
	s_and_saveexec_b32 s16, s10
	s_cbranch_execz .LBB93_303
.LBB93_533:                             ;   in Loop: Header=BB93_3 Depth=1
	ds_load_b128 v[40:43], v46 offset:8480
	ds_load_b128 v[204:207], v186 offset:9536
	s_wait_dscnt 0x0
	v_mul_f64_e32 v[4:5], v[42:43], v[206:207]
	v_mul_f64_e32 v[20:21], v[40:41], v[206:207]
	s_delay_alu instid0(VALU_DEP_2) | instskip(NEXT) | instid1(VALU_DEP_2)
	v_fma_f64 v[4:5], v[40:41], v[204:205], -v[4:5]
	v_fmac_f64_e32 v[20:21], v[42:43], v[204:205]
	s_delay_alu instid0(VALU_DEP_2) | instskip(NEXT) | instid1(VALU_DEP_2)
	v_add_f64_e32 v[14:15], v[14:15], v[4:5]
	v_add_f64_e32 v[16:17], v[16:17], v[20:21]
	s_or_b32 exec_lo, exec_lo, s16
	s_and_saveexec_b32 s16, s2
	s_cbranch_execnz .LBB93_304
	s_branch .LBB93_305
.LBB93_534:                             ;   in Loop: Header=BB93_3 Depth=1
	ds_load_b128 v[40:43], v47 offset:8464
	ds_load_b128 v[204:207], v190 offset:9088
	s_wait_dscnt 0x0
	v_mul_f64_e32 v[4:5], v[42:43], v[206:207]
	v_mul_f64_e32 v[20:21], v[40:41], v[206:207]
	s_delay_alu instid0(VALU_DEP_2) | instskip(NEXT) | instid1(VALU_DEP_2)
	v_fma_f64 v[4:5], v[40:41], v[204:205], -v[4:5]
	v_fmac_f64_e32 v[20:21], v[42:43], v[204:205]
	s_delay_alu instid0(VALU_DEP_2) | instskip(NEXT) | instid1(VALU_DEP_2)
	v_add_f64_e32 v[14:15], v[14:15], v[4:5]
	v_add_f64_e32 v[16:17], v[16:17], v[20:21]
	s_or_b32 exec_lo, exec_lo, s16
	s_and_saveexec_b32 s16, s12
	s_cbranch_execz .LBB93_345
.LBB93_535:                             ;   in Loop: Header=BB93_3 Depth=1
	ds_load_b128 v[40:43], v47 offset:8480
	ds_load_b128 v[204:207], v190 offset:9600
	s_wait_dscnt 0x0
	v_mul_f64_e32 v[4:5], v[42:43], v[206:207]
	v_mul_f64_e32 v[20:21], v[40:41], v[206:207]
	s_delay_alu instid0(VALU_DEP_2) | instskip(NEXT) | instid1(VALU_DEP_2)
	v_fma_f64 v[4:5], v[40:41], v[204:205], -v[4:5]
	v_fmac_f64_e32 v[20:21], v[42:43], v[204:205]
	s_delay_alu instid0(VALU_DEP_2) | instskip(NEXT) | instid1(VALU_DEP_2)
	v_add_f64_e32 v[14:15], v[14:15], v[4:5]
	v_add_f64_e32 v[16:17], v[16:17], v[20:21]
	s_or_b32 exec_lo, exec_lo, s16
	s_and_saveexec_b32 s16, s13
	s_cbranch_execz .LBB93_346
.LBB93_536:                             ;   in Loop: Header=BB93_3 Depth=1
	ds_load_b128 v[40:43], v47 offset:8496
	ds_load_b128 v[204:207], v190 offset:10112
	s_wait_dscnt 0x0
	v_mul_f64_e32 v[4:5], v[42:43], v[206:207]
	v_mul_f64_e32 v[20:21], v[40:41], v[206:207]
	s_delay_alu instid0(VALU_DEP_2) | instskip(NEXT) | instid1(VALU_DEP_2)
	v_fma_f64 v[4:5], v[40:41], v[204:205], -v[4:5]
	v_fmac_f64_e32 v[20:21], v[42:43], v[204:205]
	s_delay_alu instid0(VALU_DEP_2) | instskip(NEXT) | instid1(VALU_DEP_2)
	v_add_f64_e32 v[14:15], v[14:15], v[4:5]
	v_add_f64_e32 v[16:17], v[16:17], v[20:21]
	s_or_b32 exec_lo, exec_lo, s16
	s_and_saveexec_b32 s16, s14
	s_cbranch_execz .LBB93_347
.LBB93_537:                             ;   in Loop: Header=BB93_3 Depth=1
	ds_load_b128 v[40:43], v47 offset:8512
	ds_load_b128 v[204:207], v189 offset:10624
	s_wait_dscnt 0x0
	v_mul_f64_e32 v[4:5], v[42:43], v[206:207]
	v_mul_f64_e32 v[20:21], v[40:41], v[206:207]
	s_delay_alu instid0(VALU_DEP_2) | instskip(NEXT) | instid1(VALU_DEP_2)
	v_fma_f64 v[4:5], v[40:41], v[204:205], -v[4:5]
	v_fmac_f64_e32 v[20:21], v[42:43], v[204:205]
	s_delay_alu instid0(VALU_DEP_2) | instskip(NEXT) | instid1(VALU_DEP_2)
	v_add_f64_e32 v[14:15], v[14:15], v[4:5]
	v_add_f64_e32 v[16:17], v[16:17], v[20:21]
	s_or_b32 exec_lo, exec_lo, s16
	s_and_saveexec_b32 s16, s15
	s_cbranch_execz .LBB93_348
.LBB93_538:                             ;   in Loop: Header=BB93_3 Depth=1
	ds_load_b128 v[40:43], v47 offset:8528
	ds_load_b128 v[204:207], v190 offset:11136
	s_wait_dscnt 0x0
	v_mul_f64_e32 v[4:5], v[42:43], v[206:207]
	v_mul_f64_e32 v[20:21], v[40:41], v[206:207]
	s_delay_alu instid0(VALU_DEP_2) | instskip(NEXT) | instid1(VALU_DEP_2)
	v_fma_f64 v[4:5], v[40:41], v[204:205], -v[4:5]
	v_fmac_f64_e32 v[20:21], v[42:43], v[204:205]
	s_delay_alu instid0(VALU_DEP_2) | instskip(NEXT) | instid1(VALU_DEP_2)
	v_add_f64_e32 v[14:15], v[14:15], v[4:5]
	v_add_f64_e32 v[16:17], v[16:17], v[20:21]
	s_or_b32 exec_lo, exec_lo, s16
	s_and_saveexec_b32 s16, s4
	s_cbranch_execz .LBB93_349
.LBB93_539:                             ;   in Loop: Header=BB93_3 Depth=1
	ds_load_b128 v[40:43], v47 offset:8544
	ds_load_b128 v[204:207], v189 offset:11648
	s_wait_dscnt 0x0
	v_mul_f64_e32 v[4:5], v[42:43], v[206:207]
	v_mul_f64_e32 v[20:21], v[40:41], v[206:207]
	s_delay_alu instid0(VALU_DEP_2) | instskip(NEXT) | instid1(VALU_DEP_2)
	v_fma_f64 v[4:5], v[40:41], v[204:205], -v[4:5]
	v_fmac_f64_e32 v[20:21], v[42:43], v[204:205]
	s_delay_alu instid0(VALU_DEP_2) | instskip(NEXT) | instid1(VALU_DEP_2)
	v_add_f64_e32 v[14:15], v[14:15], v[4:5]
	v_add_f64_e32 v[16:17], v[16:17], v[20:21]
	s_or_b32 exec_lo, exec_lo, s16
	s_and_saveexec_b32 s16, s10
	s_cbranch_execnz .LBB93_350
	s_branch .LBB93_351
.LBB93_540:                             ;   in Loop: Header=BB93_3 Depth=1
	ds_load_b128 v[40:43], v46 offset:12688
	ds_load_b128 v[204:207], v187 offset:13248
	s_wait_dscnt 0x0
	v_mul_f64_e32 v[4:5], v[42:43], v[206:207]
	v_mul_f64_e32 v[20:21], v[40:41], v[206:207]
	s_delay_alu instid0(VALU_DEP_2) | instskip(NEXT) | instid1(VALU_DEP_2)
	v_fma_f64 v[4:5], v[40:41], v[204:205], -v[4:5]
	v_fmac_f64_e32 v[20:21], v[42:43], v[204:205]
	s_delay_alu instid0(VALU_DEP_2) | instskip(NEXT) | instid1(VALU_DEP_2)
	v_add_f64_e32 v[14:15], v[14:15], v[4:5]
	v_add_f64_e32 v[16:17], v[16:17], v[20:21]
	s_or_b32 exec_lo, exec_lo, s16
	s_and_saveexec_b32 s16, s10
	s_cbranch_execz .LBB93_407
.LBB93_541:                             ;   in Loop: Header=BB93_3 Depth=1
	ds_load_b128 v[40:43], v46 offset:12704
	ds_load_b128 v[204:207], v186 offset:13760
	s_wait_dscnt 0x0
	v_mul_f64_e32 v[4:5], v[42:43], v[206:207]
	v_mul_f64_e32 v[20:21], v[40:41], v[206:207]
	s_delay_alu instid0(VALU_DEP_2) | instskip(NEXT) | instid1(VALU_DEP_2)
	v_fma_f64 v[4:5], v[40:41], v[204:205], -v[4:5]
	v_fmac_f64_e32 v[20:21], v[42:43], v[204:205]
	s_delay_alu instid0(VALU_DEP_2) | instskip(NEXT) | instid1(VALU_DEP_2)
	v_add_f64_e32 v[14:15], v[14:15], v[4:5]
	v_add_f64_e32 v[16:17], v[16:17], v[20:21]
	s_or_b32 exec_lo, exec_lo, s16
	s_and_saveexec_b32 s16, s2
	s_cbranch_execnz .LBB93_408
	s_branch .LBB93_409
.LBB93_542:
	s_endpgm
	.section	.rodata,"a",@progbits
	.p2align	6, 0x0
	.amdhsa_kernel _ZL19rocblas_trsv_deviceILi32ELi16ELb1ELb1ELb1ELb1E19rocblas_complex_numIdES1_PKS1_PS1_EviT7_lllT6_T8_lllPii
		.amdhsa_group_segment_fixed_size 25104
		.amdhsa_private_segment_fixed_size 0
		.amdhsa_kernarg_size 360
		.amdhsa_user_sgpr_count 2
		.amdhsa_user_sgpr_dispatch_ptr 0
		.amdhsa_user_sgpr_queue_ptr 0
		.amdhsa_user_sgpr_kernarg_segment_ptr 1
		.amdhsa_user_sgpr_dispatch_id 0
		.amdhsa_user_sgpr_kernarg_preload_length 0
		.amdhsa_user_sgpr_kernarg_preload_offset 0
		.amdhsa_user_sgpr_private_segment_size 0
		.amdhsa_wavefront_size32 1
		.amdhsa_uses_dynamic_stack 0
		.amdhsa_enable_private_segment 0
		.amdhsa_system_sgpr_workgroup_id_x 1
		.amdhsa_system_sgpr_workgroup_id_y 0
		.amdhsa_system_sgpr_workgroup_id_z 1
		.amdhsa_system_sgpr_workgroup_info 0
		.amdhsa_system_vgpr_workitem_id 1
		.amdhsa_next_free_vgpr 210
		.amdhsa_next_free_sgpr 105
		.amdhsa_named_barrier_count 0
		.amdhsa_reserve_vcc 1
		.amdhsa_float_round_mode_32 0
		.amdhsa_float_round_mode_16_64 0
		.amdhsa_float_denorm_mode_32 3
		.amdhsa_float_denorm_mode_16_64 3
		.amdhsa_fp16_overflow 0
		.amdhsa_memory_ordered 1
		.amdhsa_forward_progress 1
		.amdhsa_inst_pref_size 165
		.amdhsa_round_robin_scheduling 0
		.amdhsa_exception_fp_ieee_invalid_op 0
		.amdhsa_exception_fp_denorm_src 0
		.amdhsa_exception_fp_ieee_div_zero 0
		.amdhsa_exception_fp_ieee_overflow 0
		.amdhsa_exception_fp_ieee_underflow 0
		.amdhsa_exception_fp_ieee_inexact 0
		.amdhsa_exception_int_div_zero 0
	.end_amdhsa_kernel
	.section	.text._ZL19rocblas_trsv_deviceILi32ELi16ELb1ELb1ELb1ELb1E19rocblas_complex_numIdES1_PKS1_PS1_EviT7_lllT6_T8_lllPii,"axG",@progbits,_ZL19rocblas_trsv_deviceILi32ELi16ELb1ELb1ELb1ELb1E19rocblas_complex_numIdES1_PKS1_PS1_EviT7_lllT6_T8_lllPii,comdat
.Lfunc_end93:
	.size	_ZL19rocblas_trsv_deviceILi32ELi16ELb1ELb1ELb1ELb1E19rocblas_complex_numIdES1_PKS1_PS1_EviT7_lllT6_T8_lllPii, .Lfunc_end93-_ZL19rocblas_trsv_deviceILi32ELi16ELb1ELb1ELb1ELb1E19rocblas_complex_numIdES1_PKS1_PS1_EviT7_lllT6_T8_lllPii
                                        ; -- End function
	.set _ZL19rocblas_trsv_deviceILi32ELi16ELb1ELb1ELb1ELb1E19rocblas_complex_numIdES1_PKS1_PS1_EviT7_lllT6_T8_lllPii.num_vgpr, 210
	.set _ZL19rocblas_trsv_deviceILi32ELi16ELb1ELb1ELb1ELb1E19rocblas_complex_numIdES1_PKS1_PS1_EviT7_lllT6_T8_lllPii.num_agpr, 0
	.set _ZL19rocblas_trsv_deviceILi32ELi16ELb1ELb1ELb1ELb1E19rocblas_complex_numIdES1_PKS1_PS1_EviT7_lllT6_T8_lllPii.numbered_sgpr, 105
	.set _ZL19rocblas_trsv_deviceILi32ELi16ELb1ELb1ELb1ELb1E19rocblas_complex_numIdES1_PKS1_PS1_EviT7_lllT6_T8_lllPii.num_named_barrier, 0
	.set _ZL19rocblas_trsv_deviceILi32ELi16ELb1ELb1ELb1ELb1E19rocblas_complex_numIdES1_PKS1_PS1_EviT7_lllT6_T8_lllPii.private_seg_size, 0
	.set _ZL19rocblas_trsv_deviceILi32ELi16ELb1ELb1ELb1ELb1E19rocblas_complex_numIdES1_PKS1_PS1_EviT7_lllT6_T8_lllPii.uses_vcc, 1
	.set _ZL19rocblas_trsv_deviceILi32ELi16ELb1ELb1ELb1ELb1E19rocblas_complex_numIdES1_PKS1_PS1_EviT7_lllT6_T8_lllPii.uses_flat_scratch, 0
	.set _ZL19rocblas_trsv_deviceILi32ELi16ELb1ELb1ELb1ELb1E19rocblas_complex_numIdES1_PKS1_PS1_EviT7_lllT6_T8_lllPii.has_dyn_sized_stack, 0
	.set _ZL19rocblas_trsv_deviceILi32ELi16ELb1ELb1ELb1ELb1E19rocblas_complex_numIdES1_PKS1_PS1_EviT7_lllT6_T8_lllPii.has_recursion, 0
	.set _ZL19rocblas_trsv_deviceILi32ELi16ELb1ELb1ELb1ELb1E19rocblas_complex_numIdES1_PKS1_PS1_EviT7_lllT6_T8_lllPii.has_indirect_call, 0
	.section	.AMDGPU.csdata,"",@progbits
; Kernel info:
; codeLenInByte = 21120
; TotalNumSgprs: 107
; NumVgprs: 210
; ScratchSize: 0
; MemoryBound: 1
; FloatMode: 240
; IeeeMode: 1
; LDSByteSize: 25104 bytes/workgroup (compile time only)
; SGPRBlocks: 0
; VGPRBlocks: 13
; NumSGPRsForWavesPerEU: 107
; NumVGPRsForWavesPerEU: 210
; NamedBarCnt: 0
; Occupancy: 4
; WaveLimiterHint : 0
; COMPUTE_PGM_RSRC2:SCRATCH_EN: 0
; COMPUTE_PGM_RSRC2:USER_SGPR: 2
; COMPUTE_PGM_RSRC2:TRAP_HANDLER: 0
; COMPUTE_PGM_RSRC2:TGID_X_EN: 1
; COMPUTE_PGM_RSRC2:TGID_Y_EN: 0
; COMPUTE_PGM_RSRC2:TGID_Z_EN: 1
; COMPUTE_PGM_RSRC2:TIDIG_COMP_CNT: 1
	.section	.text._ZL19rocblas_trsv_deviceILi32ELi16ELb1ELb0ELb0ELb0E19rocblas_complex_numIdES1_PKS1_PS1_EviT7_lllT6_T8_lllPii,"axG",@progbits,_ZL19rocblas_trsv_deviceILi32ELi16ELb1ELb0ELb0ELb0E19rocblas_complex_numIdES1_PKS1_PS1_EviT7_lllT6_T8_lllPii,comdat
	.globl	_ZL19rocblas_trsv_deviceILi32ELi16ELb1ELb0ELb0ELb0E19rocblas_complex_numIdES1_PKS1_PS1_EviT7_lllT6_T8_lllPii ; -- Begin function _ZL19rocblas_trsv_deviceILi32ELi16ELb1ELb0ELb0ELb0E19rocblas_complex_numIdES1_PKS1_PS1_EviT7_lllT6_T8_lllPii
	.p2align	8
	.type	_ZL19rocblas_trsv_deviceILi32ELi16ELb1ELb0ELb0ELb0E19rocblas_complex_numIdES1_PKS1_PS1_EviT7_lllT6_T8_lllPii,@function
_ZL19rocblas_trsv_deviceILi32ELi16ELb1ELb0ELb0ELb0E19rocblas_complex_numIdES1_PKS1_PS1_EviT7_lllT6_T8_lllPii: ; @_ZL19rocblas_trsv_deviceILi32ELi16ELb1ELb0ELb0ELb0E19rocblas_complex_numIdES1_PKS1_PS1_EviT7_lllT6_T8_lllPii
; %bb.0:
	s_load_b32 s64, s[0:1], 0x60
	s_bfe_u32 s2, ttmp6, 0x40014
	s_lshr_b32 s3, ttmp7, 16
	s_add_co_i32 s2, s2, 1
	s_bfe_u32 s5, ttmp6, 0x40008
	s_mul_i32 s4, s3, s2
	s_getreg_b32 s2, hwreg(HW_REG_IB_STS2, 6, 4)
	s_add_co_i32 s5, s5, s4
	s_cmp_eq_u32 s2, 0
	s_mov_b32 s57, 0
	s_cselect_b32 s56, s3, s5
	s_wait_kmcnt 0x0
	s_cmp_ge_u32 s56, s64
	s_cbranch_scc1 .LBB94_544
; %bb.1:
	s_clause 0x4
	s_load_b512 s[36:51], s[0:1], 0x8
	s_load_b32 s3, s[0:1], 0x74
	s_load_b32 s65, s[0:1], 0x0
	s_load_b64 s[58:59], s[0:1], 0x58
	s_load_b128 s[52:55], s[0:1], 0x48
	s_wait_xcnt 0x0
	s_bfe_u32 s1, ttmp6, 0x4000c
	s_and_b32 s0, ttmp6, 15
	s_add_co_i32 s1, s1, 1
	v_bfe_u32 v40, v0, 10, 10
	s_mul_i32 s1, ttmp9, s1
	v_mov_b32_e32 v1, 0
	s_add_co_i32 s6, s0, s1
	v_and_b32_e32 v20, 0x3ff, v0
	v_lshlrev_b32_e32 v6, 5, v40
	v_dual_lshrrev_b32 v7, 10, v0 :: v_dual_bitop2_b32 v9, 1, v0 bitop3:0x40
	v_dual_mov_b32 v23, v1 :: v_dual_mov_b32 v21, v1
	s_delay_alu instid0(VALU_DEP_4) | instskip(NEXT) | instid1(VALU_DEP_3)
	v_mul_u32_u24_e32 v65, 0x210, v20
	v_bitop3_b32 v11, v0, v7, 0x3ff bitop3:0xa8
	s_wait_kmcnt 0x0
	s_lshl_b64 s[0:1], s[38:39], 4
	s_lshl_b64 s[4:5], s[50:51], 4
	s_cmp_eq_u32 s2, 0
	s_add_nc_u64 s[38:39], s[36:37], s[0:1]
	s_cselect_b32 s66, ttmp9, s6
	s_add_co_i32 s2, s65, -1
	s_and_b32 s6, s3, 0xffff
	s_ashr_i32 s3, s65, 31
	s_ashr_i32 s7, s2, 31
	s_lshr_b32 s3, s3, 27
	s_lshr_b32 s7, s7, 27
	s_add_co_i32 s3, s65, s3
	s_add_co_i32 s2, s2, s7
	s_and_not1_b32 s3, s3, 31
	s_ashr_i32 s2, s2, 5
	s_sub_co_i32 s11, s65, s3
	s_cmp_eq_u32 s2, s66
	s_add_nc_u64 s[2:3], s[40:41], 1
	s_cselect_b32 s7, -1, 0
	s_cmp_lg_u32 s11, 0
	v_add_nc_u32_e32 v10, v6, v20
	s_cselect_b32 s0, -1, 0
	s_lshl_b32 s8, s66, 5
	v_sub_co_u32 v41, s1, s66, 1
	v_add_nc_u32_e32 v8, s8, v40
	v_add_nc_u32_e32 v24, s8, v20
	v_mad_nc_u64_u32 v[4:5], s2, s8, v[20:21]
	s_and_b32 s12, s0, s7
	s_ashr_i32 s9, s8, 31
	v_subrev_nc_u32_e32 v2, 32, v8
	v_ashrrev_i32_e32 v25, 31, v24
	s_xor_b32 s67, s1, -1
	s_xor_b32 s68, s12, -1
	s_mul_i32 s0, s3, s8
	v_ashrrev_i32_e32 v3, 31, v2
	s_mul_i32 s1, s2, s9
	s_cmp_gt_i32 s66, 4
	v_add3_u32 v5, s1, s0, v5
	s_cselect_b32 s0, -1, 0
	v_mul_u64_e32 v[26:27], s[40:41], v[2:3]
	v_add_nc_u16 v3, v6, v20
	v_lshlrev_b32_e32 v6, 4, v9
	v_cmp_eq_u32_e64 s1, 1, v9
	s_and_b32 s69, s0, s68
	v_cmp_gt_u32_e64 s0, 4, v10
	v_lshrrev_b16 v3, 1, v3
	s_add_nc_u64 s[48:49], s[48:49], s[4:5]
	s_xor_b32 s2, s1, -1
	v_mad_u32_u24 v22, v40, s6, v20
	s_and_b32 s70, s2, s0
	v_and_b32_e32 v3, 0xffff, v3
	s_and_b32 s71, s1, s0
	v_cmp_gt_u32_e64 s1, 16, v10
                                        ; implicit-def: $vgpr76 : SGPR spill to VGPR lane
	v_cmp_le_i32_e64 s10, s11, v20
	v_cmp_gt_i32_e32 vcc_lo, s11, v20
	v_lshl_add_u32 v21, v3, 4, 0x4000
	v_lshl_or_b32 v42, v3, 9, v6
	v_mul_u32_u24_e32 v43, 0x210, v3
	v_dual_lshrrev_b32 v3, 2, v10 :: v_dual_bitop2_b32 v6, 3, v0 bitop3:0x40
	v_lshlrev_b32_e32 v44, 4, v20
	v_add_nc_u32_e32 v8, -16, v8
	v_cmp_gt_u32_e64 s30, 0xf0, v10
	s_delay_alu instid0(VALU_DEP_4)
	v_lshlrev_b32_e32 v7, 4, v3
	v_mul_u32_u24_e32 v45, 0x210, v3
	v_lshlrev_b32_e32 v46, 4, v6
	v_cmp_eq_u32_e64 s2, 0, v6
	v_cmp_ne_u32_e64 s3, 0, v6
	v_add_nc_u32_e32 v47, 0x4000, v7
	v_sub_nc_u32_e32 v7, v45, v7
	v_cmp_eq_u32_e64 s4, 1, v6
	v_cmp_lt_u32_e64 s5, 1, v6
	s_and_b32 s72, s2, s1
	s_and_b32 s73, s3, s1
	v_add_nc_u32_e32 v49, v7, v46
	v_cmp_eq_u32_e64 s2, 2, v6
	v_cmp_eq_u32_e64 s3, 3, v6
	v_and_b32_e32 v6, 7, v0
	v_lshl_or_b32 v48, v3, 9, v46
	v_lshrrev_b32_e32 v3, 3, v10
	s_and_b32 s76, s2, s1
	s_and_b32 s77, s3, s1
	v_cmp_gt_u32_e64 s2, 64, v10
	v_cmp_eq_u32_e64 s3, 0, v6
	s_and_b32 s74, s4, s1
	v_dual_lshlrev_b32 v7, 4, v3 :: v_dual_lshlrev_b32 v51, 4, v6
	v_mul_u32_u24_e32 v50, 0x210, v3
	v_cmp_ne_u32_e64 s4, 0, v6
	s_and_b32 s78, s3, s2
	v_cmp_eq_u32_e64 s3, 1, v6
	s_and_b32 s75, s5, s1
	v_sub_nc_u32_e32 v9, v50, v7
	s_and_b32 s79, s4, s2
	v_cmp_eq_u32_e64 s4, 2, v6
	s_and_b32 s80, s3, s2
	v_cmp_eq_u32_e64 s3, 3, v6
	v_lshl_or_b32 v53, v3, 9, v51
	v_dual_add_nc_u32 v54, v9, v51 :: v_dual_lshlrev_b32 v3, 5, v10
	v_cmp_lt_u32_e64 s5, 1, v6
	s_and_b32 s82, s4, s2
	v_cmp_lt_u32_e64 s4, 3, v6
	s_and_b32 s84, s3, s2
	;; [unrolled: 2-line block ×3, first 2 shown]
	v_cmp_eq_u32_e64 s5, 4, v6
	s_and_b32 s85, s4, s2
	v_cmp_lt_u32_e64 s4, 5, v6
	s_and_b32 s87, s3, s2
	v_cmp_eq_u32_e64 s3, 6, v6
	v_and_b32_e32 v56, 0xfffffe00, v3
	v_add_nc_u32_e32 v3, 16, v40
	v_lshlrev_b32_e32 v9, 9, v20
	v_and_b32_e32 v0, 15, v0
	v_cmp_lt_u32_e64 s6, 2, v6
	s_and_b32 s86, s5, s2
	v_cmp_eq_u32_e64 s5, 7, v6
	s_and_b32 s89, s4, s2
	s_and_b32 s90, s3, s2
	v_cmp_gt_u32_e64 s3, 0x100, v10
	v_sub_nc_u32_e32 v66, v65, v9
	v_cmp_eq_u32_e64 s4, 0, v0
	s_and_b32 s83, s6, s2
	v_cmp_eq_u32_e64 s6, 5, v6
	s_and_b32 s91, s5, s2
	v_cmp_ne_u32_e64 s5, 0, v0
	s_and_b32 s4, s4, s3
	v_cmp_eq_u32_e64 s7, 3, v0
	v_writelane_b32 v76, s4, 0
	s_and_b32 s88, s6, s2
	v_cmp_eq_u32_e64 s6, 1, v0
	s_and_b32 s4, s5, s3
	v_cmp_eq_u32_e64 s5, 2, v0
	v_writelane_b32 v76, s4, 1
	v_cmp_lt_u32_e64 s4, 1, v0
	s_and_b32 s6, s6, s3
	v_add_nc_u32_e32 v52, 0x4000, v7
	v_add_nc_u64_e32 v[6:7], s[8:9], v[22:23]
	v_writelane_b32 v76, s6, 2
	s_and_b32 s4, s4, s3
	v_cmp_lt_u32_e64 s6, 2, v0
	s_and_b32 s9, s10, s12
	v_lshlrev_b32_e32 v57, 4, v0
	v_writelane_b32 v76, s4, 3
	s_and_b32 s4, s5, s3
	s_and_b32 s5, s6, s3
	v_cmp_lt_u32_e64 s6, 4, v0
	v_mul_u64_e32 v[28:29], s[52:53], v[24:25]
	v_writelane_b32 v76, s4, 4
	v_cmp_lt_u32_e64 s4, 3, v0
	v_mul_u64_e32 v[36:37], s[52:53], v[6:7]
	v_mad_nc_u64_u32 v[30:31], s40, v40, v[4:5]
	v_mad_nc_u64_u32 v[34:35], s40, v3, v[4:5]
	v_writelane_b32 v76, s5, 5
	s_and_b32 s5, s7, s3
	s_and_b32 s4, s4, s3
	v_cmp_lt_u32_e64 s7, 5, v0
	v_and_b32_e32 v55, 0x7ff0, v10
	v_writelane_b32 v76, s5, 6
	v_cmp_eq_u32_e64 s5, 4, v0
	v_lshl_add_u32 v23, v40, 4, 0x6000
	v_cmp_gt_u32_e64 s37, 32, v11
	v_mad_u32 v31, s41, v40, v31
	v_writelane_b32 v76, s4, 7
	s_and_b32 s5, s5, s3
	v_cmp_eq_u32_e64 s4, 5, v0
	v_mad_u32 v35, s41, v3, v35
	v_add_nc_u32_e32 v58, 0x4000, v55
	v_writelane_b32 v76, s5, 8
	s_and_b32 s5, s6, s3
	s_and_b32 s4, s4, s3
	v_cmp_eq_u32_e64 s6, 7, v0
	v_lshl_add_u32 v60, v22, 4, 0x6000
	v_writelane_b32 v76, s5, 9
	v_cmp_eq_u32_e64 s5, 6, v0
	v_lshl_add_u32 v61, v10, 4, 0x4000
	s_and_b32 s19, s6, s3
	v_cmp_lt_u32_e64 s6, 9, v0
	v_writelane_b32 v76, s4, 10
	s_and_b32 s4, s7, s3
	s_and_b32 s104, s5, s3
	v_cmp_lt_u32_e64 s5, 7, v0
	v_cmp_eq_u32_e64 s7, 8, v0
	v_writelane_b32 v76, s4, 11
	v_cmp_lt_u32_e64 s4, 6, v0
	s_and_b32 s24, s6, s3
	s_and_b32 s20, s5, s3
	v_cmp_eq_u32_e64 s5, 9, v0
	s_and_b32 s21, s7, s3
	s_and_b32 vcc_hi, s4, s3
	v_cmp_lt_u32_e64 s4, 8, v0
	v_cmp_lt_u32_e64 s7, 10, v0
	s_and_b32 s23, s5, s3
	v_cmp_eq_u32_e64 s5, 11, v0
	v_cmp_eq_u32_e64 s6, 12, v0
	s_and_b32 s22, s4, s3
	v_cmp_eq_u32_e64 s4, 10, v0
	s_and_b32 s26, s7, s3
	s_and_b32 s27, s5, s3
	v_cmp_lt_u32_e64 s5, 12, v0
	v_cmp_eq_u32_e64 s7, 13, v0
	s_and_b32 s25, s4, s3
	v_cmp_lt_u32_e64 s4, 11, v0
	s_and_b32 s29, s6, s3
	s_and_b32 s35, s5, s3
	v_cmp_eq_u32_e64 s5, 14, v0
	v_cmp_eq_u32_e64 s6, 15, v0
	s_and_b32 s28, s4, s3
	v_cmp_lt_u32_e64 s4, 13, v0
	s_and_b32 s36, s7, s3
	s_and_b32 s93, s5, s3
	s_xor_b32 s5, s9, -1
	s_and_b32 s94, s6, s3
	s_and_b32 s92, s4, s3
	v_cmp_eq_u32_e64 s4, 0, v40
	v_cmp_gt_i32_e64 s6, s65, v2
	v_add_nc_u32_e32 v0, s8, v22
	v_cmp_gt_i32_e64 s7, s65, v8
	v_dual_add_nc_u32 v64, v23, v44 :: v_dual_bitop2_b32 v59, v56, v57 bitop3:0x54
	s_and_b32 s95, s4, s5
	v_cmp_gt_i32_e64 s5, s65, v24
	s_cmp_gt_i32 s66, 0
	v_mul_u64_e32 v[32:33], s[52:53], v[0:1]
	s_cselect_b32 s96, -1, 0
	s_and_b32 s8, s4, vcc_lo
	v_cmp_le_i32_e32 vcc_lo, s11, v40
	v_writelane_b32 v76, s8, 12
	s_and_b32 s97, s5, s6
	v_cmp_le_i32_e64 s8, s11, v3
	v_cmp_le_u32_e64 s6, v20, v40
	s_or_b32 s11, vcc_lo, s10
	s_and_b32 s98, s5, s7
	v_cmp_le_u32_e64 s7, v20, v3
	s_or_b32 s12, s8, s10
	s_or_b32 s8, s11, s6
	v_cmp_ne_u32_e64 s11, v20, v40
	v_or_b32_e32 v0, v3, v20
	s_or_b32 s99, s12, s7
	v_cmp_ne_u32_e64 s12, v20, v3
	v_add_nc_u32_e32 v62, 0x4000, v44
	v_writelane_b32 v76, s11, 13
	s_or_b32 s11, s10, s11
	v_lshl_add_u32 v63, v40, 9, v44
	s_or_b32 s10, s10, s12
	v_lshl_add_u32 v67, v3, 9, v66
	v_writelane_b32 v76, s11, 14
	v_cmp_gt_u32_e64 s11, 2, v10
	v_cmp_gt_u32_e64 s13, 8, v10
	;; [unrolled: 1-line block ×4, first 2 shown]
	v_writelane_b32 v76, s12, 15
	v_cmp_gt_u32_e64 s12, 12, v10
	v_cmp_gt_u32_e64 s16, 40, v10
	;; [unrolled: 1-line block ×4, first 2 shown]
	v_writelane_b32 v76, s10, 16
	v_cmp_eq_u32_e64 s10, 0, v11
	v_cmp_gt_u32_e64 s31, 32, v22
	v_cmp_ge_u32_e64 s33, v20, v40
	v_cmp_ge_u32_e64 s34, v20, v3
	v_writelane_b32 v76, s30, 17
	v_cmp_gt_u32_e64 s30, 0xe0, v10
	s_lshl_b64 s[50:51], s[40:41], 8
                                        ; implicit-def: $vgpr4_vgpr5
                                        ; implicit-def: $vgpr8_vgpr9
	v_writelane_b32 v76, s30, 18
	v_cmp_gt_u32_e64 s30, 0xd0, v10
	s_delay_alu instid0(VALU_DEP_1) | instskip(SKIP_1) | instid1(VALU_DEP_1)
	v_writelane_b32 v76, s30, 19
	v_cmp_gt_u32_e64 s30, 0xc0, v10
	v_writelane_b32 v76, s30, 20
	v_cmp_gt_u32_e64 s30, 0xb0, v10
	s_delay_alu instid0(VALU_DEP_1) | instskip(SKIP_1) | instid1(VALU_DEP_1)
	v_writelane_b32 v76, s30, 21
	v_cmp_gt_u32_e64 s30, 0xa0, v10
	;; [unrolled: 5-line block ×4, first 2 shown]
	v_writelane_b32 v76, s30, 26
	v_cmp_gt_u32_e64 s30, 0x50, v10
	s_delay_alu instid0(VALU_DEP_1) | instskip(SKIP_3) | instid1(VALU_DEP_1)
	v_writelane_b32 v76, s30, 27
	v_cmp_eq_u32_e64 s30, 0, v22
	v_writelane_b32 v76, s37, 28
	v_cmp_gt_u32_e64 s37, 32, v0
	v_writelane_b32 v76, s37, 29
	s_branch .LBB94_3
.LBB94_2:                               ;   in Loop: Header=BB94_3 Depth=1
	s_wait_xcnt 0x0
	s_or_b32 exec_lo, exec_lo, s37
	s_add_co_i32 s56, s56, 0x10000
	global_wb scope:SCOPE_DEV
	s_wait_storecnt 0x0
	global_inv scope:SCOPE_DEV
	s_cmp_lt_u32 s56, s64
	s_cbranch_scc0 .LBB94_544
.LBB94_3:                               ; =>This Loop Header: Depth=1
                                        ;     Child Loop BB94_425 Depth 2
                                        ;       Child Loop BB94_427 Depth 3
                                        ;     Child Loop BB94_458 Depth 2
	s_mul_u64 s[60:61], s[42:43], s[56:57]
	s_and_not1_b32 vcc_lo, exec_lo, s67
	s_lshl_b64 s[60:61], s[60:61], 4
	s_delay_alu instid0(SALU_CYCLE_1)
	s_add_nc_u64 s[60:61], s[38:39], s[60:61]
	s_cbranch_vccz .LBB94_6
; %bb.4:                                ;   in Loop: Header=BB94_3 Depth=1
	s_and_not1_b32 vcc_lo, exec_lo, s68
	s_mov_b32 s37, -1
	s_cbranch_vccz .LBB94_11
.LBB94_5:                               ;   in Loop: Header=BB94_3 Depth=1
	s_and_b32 vcc_lo, exec_lo, s37
	s_cbranch_vccnz .LBB94_18
	s_branch .LBB94_25
.LBB94_6:                               ;   in Loop: Header=BB94_3 Depth=1
	v_lshl_add_u64 v[2:3], v[26:27], 4, s[60:61]
	v_mov_b64_e32 v[10:11], 0
	v_mov_b64_e32 v[4:5], 0
	;; [unrolled: 1-line block ×3, first 2 shown]
	s_delay_alu instid0(VALU_DEP_4)
	v_lshl_add_u64 v[2:3], v[24:25], 4, v[2:3]
	s_barrier_signal -1
	s_barrier_wait -1
	s_and_saveexec_b32 s37, s97
	s_cbranch_execz .LBB94_8
; %bb.7:                                ;   in Loop: Header=BB94_3 Depth=1
	global_load_b128 v[4:7], v[2:3], off
.LBB94_8:                               ;   in Loop: Header=BB94_3 Depth=1
	s_wait_xcnt 0x0
	s_or_b32 exec_lo, exec_lo, s37
	v_mov_b64_e32 v[8:9], 0
	s_wait_loadcnt 0x0
	s_barrier_signal -1
	s_barrier_wait -1
	s_and_saveexec_b32 s37, s98
	s_cbranch_execz .LBB94_10
; %bb.9:                                ;   in Loop: Header=BB94_3 Depth=1
	v_add_nc_u64_e32 v[2:3], s[50:51], v[2:3]
	global_load_b128 v[8:11], v[2:3], off
.LBB94_10:                              ;   in Loop: Header=BB94_3 Depth=1
	s_wait_xcnt 0x0
	s_or_b32 exec_lo, exec_lo, s37
	s_delay_alu instid0(SALU_CYCLE_1)
	s_and_not1_b32 vcc_lo, exec_lo, s68
	s_mov_b32 s37, -1
	s_cbranch_vccnz .LBB94_5
.LBB94_11:                              ;   in Loop: Header=BB94_3 Depth=1
	s_mov_b32 s62, 0
                                        ; implicit-def: $vgpr14_vgpr15
	s_and_saveexec_b32 s37, s6
	s_delay_alu instid0(SALU_CYCLE_1)
	s_xor_b32 s37, exec_lo, s37
	s_cbranch_execnz .LBB94_471
; %bb.12:                               ;   in Loop: Header=BB94_3 Depth=1
	s_and_not1_saveexec_b32 s37, s37
	s_cbranch_execnz .LBB94_480
.LBB94_13:                              ;   in Loop: Header=BB94_3 Depth=1
	s_or_b32 exec_lo, exec_lo, s37
	s_and_saveexec_b32 s37, s62
	s_cbranch_execnz .LBB94_481
.LBB94_14:                              ;   in Loop: Header=BB94_3 Depth=1
	s_or_b32 exec_lo, exec_lo, s37
	s_and_saveexec_b32 s37, s7
	s_delay_alu instid0(SALU_CYCLE_1)
	s_xor_b32 s37, exec_lo, s37
	s_cbranch_execnz .LBB94_482
.LBB94_15:                              ;   in Loop: Header=BB94_3 Depth=1
	s_and_not1_saveexec_b32 s37, s37
	s_cbranch_execz .LBB94_17
.LBB94_16:                              ;   in Loop: Header=BB94_3 Depth=1
	v_lshl_add_u64 v[2:3], v[34:35], 4, s[60:61]
	global_load_b128 v[12:15], v[2:3], off
	s_wait_loadcnt 0x0
	v_xor_b32_e32 v13, 0x80000000, v13
	v_xor_b32_e32 v15, 0x80000000, v15
	ds_store_b128 v67, v[12:15]
.LBB94_17:                              ;   in Loop: Header=BB94_3 Depth=1
	s_or_b32 exec_lo, exec_lo, s37
	s_branch .LBB94_25
.LBB94_18:                              ;   in Loop: Header=BB94_3 Depth=1
	s_mov_b32 s62, 0
                                        ; implicit-def: $vgpr14_vgpr15
	s_and_saveexec_b32 s37, s8
	s_delay_alu instid0(SALU_CYCLE_1)
	s_xor_b32 s37, exec_lo, s37
	s_cbranch_execnz .LBB94_493
; %bb.19:                               ;   in Loop: Header=BB94_3 Depth=1
	s_and_not1_saveexec_b32 s37, s37
	s_cbranch_execnz .LBB94_502
.LBB94_20:                              ;   in Loop: Header=BB94_3 Depth=1
	s_or_b32 exec_lo, exec_lo, s37
	s_and_saveexec_b32 s37, s62
	s_cbranch_execnz .LBB94_503
.LBB94_21:                              ;   in Loop: Header=BB94_3 Depth=1
	s_or_b32 exec_lo, exec_lo, s37
	s_and_saveexec_b32 s37, s99
	s_delay_alu instid0(SALU_CYCLE_1)
	s_xor_b32 s37, exec_lo, s37
	s_cbranch_execnz .LBB94_504
.LBB94_22:                              ;   in Loop: Header=BB94_3 Depth=1
	s_and_not1_saveexec_b32 s37, s37
	s_cbranch_execz .LBB94_24
.LBB94_23:                              ;   in Loop: Header=BB94_3 Depth=1
	v_lshl_add_u64 v[2:3], v[34:35], 4, s[60:61]
	global_load_b128 v[12:15], v[2:3], off
	s_wait_loadcnt 0x0
	v_xor_b32_e32 v13, 0x80000000, v13
	v_xor_b32_e32 v15, 0x80000000, v15
	ds_store_b128 v67, v[12:15]
.LBB94_24:                              ;   in Loop: Header=BB94_3 Depth=1
	s_or_b32 exec_lo, exec_lo, s37
.LBB94_25:                              ;   in Loop: Header=BB94_3 Depth=1
	s_delay_alu instid0(SALU_CYCLE_1)
	s_and_not1_b32 vcc_lo, exec_lo, s69
	s_wait_loadcnt_dscnt 0x0
	s_barrier_signal -1
	s_barrier_wait -1
	s_cbranch_vccnz .LBB94_419
; %bb.26:                               ;   in Loop: Header=BB94_3 Depth=1
	s_and_saveexec_b32 s37, s10
	s_cbranch_execz .LBB94_28
; %bb.27:                               ;   in Loop: Header=BB94_3 Depth=1
	ds_load_b128 v[12:15], v1 offset:528
	ds_load_b128 v[16:19], v1
	ds_load_b128 v[68:71], v1 offset:16
	s_wait_dscnt 0x1
	v_mul_f64_e32 v[2:3], v[12:13], v[18:19]
	v_mul_f64_e32 v[18:19], v[14:15], v[18:19]
	s_delay_alu instid0(VALU_DEP_2) | instskip(NEXT) | instid1(VALU_DEP_2)
	v_fmac_f64_e32 v[2:3], v[14:15], v[16:17]
	v_fma_f64 v[12:13], v[12:13], v[16:17], -v[18:19]
	s_wait_dscnt 0x0
	s_delay_alu instid0(VALU_DEP_2) | instskip(NEXT) | instid1(VALU_DEP_2)
	v_mul_f64_e32 v[16:17], v[2:3], v[70:71]
	v_mul_f64_e32 v[14:15], v[12:13], v[70:71]
	s_delay_alu instid0(VALU_DEP_2) | instskip(NEXT) | instid1(VALU_DEP_2)
	v_fma_f64 v[12:13], v[68:69], v[12:13], -v[16:17]
	v_fmac_f64_e32 v[14:15], v[68:69], v[2:3]
	ds_store_b128 v1, v[12:15] offset:16
.LBB94_28:                              ;   in Loop: Header=BB94_3 Depth=1
	s_or_b32 exec_lo, exec_lo, s37
	v_mov_b64_e32 v[14:15], 0
	v_mov_b64_e32 v[12:13], 0
	s_wait_dscnt 0x0
	s_barrier_signal -1
	s_barrier_wait -1
	s_and_saveexec_b32 s37, s0
	s_cbranch_execz .LBB94_32
; %bb.29:                               ;   in Loop: Header=BB94_3 Depth=1
	ds_load_b128 v[12:15], v43
	ds_load_b128 v[16:19], v42 offset:32
	s_wait_dscnt 0x0
	v_mul_f64_e32 v[2:3], v[14:15], v[18:19]
	v_mul_f64_e32 v[18:19], v[12:13], v[18:19]
	s_delay_alu instid0(VALU_DEP_2) | instskip(NEXT) | instid1(VALU_DEP_2)
	v_fma_f64 v[2:3], v[12:13], v[16:17], -v[2:3]
	v_fmac_f64_e32 v[18:19], v[14:15], v[16:17]
	s_delay_alu instid0(VALU_DEP_2) | instskip(NEXT) | instid1(VALU_DEP_2)
	v_add_f64_e32 v[12:13], 0, v[2:3]
	v_add_f64_e32 v[14:15], 0, v[18:19]
	s_and_saveexec_b32 s62, s11
	s_cbranch_execz .LBB94_31
; %bb.30:                               ;   in Loop: Header=BB94_3 Depth=1
	ds_load_b128 v[16:19], v1 offset:16
	ds_load_b128 v[68:71], v44 offset:544
	s_wait_dscnt 0x0
	v_mul_f64_e32 v[2:3], v[18:19], v[70:71]
	v_mul_f64_e32 v[38:39], v[16:17], v[70:71]
	s_delay_alu instid0(VALU_DEP_2) | instskip(NEXT) | instid1(VALU_DEP_2)
	v_fma_f64 v[2:3], v[16:17], v[68:69], -v[2:3]
	v_fmac_f64_e32 v[38:39], v[18:19], v[68:69]
	s_delay_alu instid0(VALU_DEP_2) | instskip(NEXT) | instid1(VALU_DEP_2)
	v_add_f64_e32 v[12:13], v[12:13], v[2:3]
	v_add_f64_e32 v[14:15], v[14:15], v[38:39]
.LBB94_31:                              ;   in Loop: Header=BB94_3 Depth=1
	s_or_b32 exec_lo, exec_lo, s62
	s_delay_alu instid0(VALU_DEP_2) | instskip(NEXT) | instid1(VALU_DEP_2)
	v_xor_b32_e32 v13, 0x80000000, v13
	v_xor_b32_e32 v15, 0x80000000, v15
.LBB94_32:                              ;   in Loop: Header=BB94_3 Depth=1
	s_or_b32 exec_lo, exec_lo, s37
	s_and_saveexec_b32 s37, s70
	s_cbranch_execz .LBB94_34
; %bb.33:                               ;   in Loop: Header=BB94_3 Depth=1
	ds_load_b128 v[16:19], v1 offset:1056
	s_wait_dscnt 0x0
	v_mul_f64_e32 v[2:3], v[14:15], v[18:19]
	v_mul_f64_e32 v[70:71], v[12:13], v[18:19]
	s_delay_alu instid0(VALU_DEP_2) | instskip(NEXT) | instid1(VALU_DEP_2)
	v_fma_f64 v[68:69], v[12:13], v[16:17], -v[2:3]
	v_fmac_f64_e32 v[70:71], v[14:15], v[16:17]
	s_delay_alu instid0(VALU_DEP_2) | instskip(NEXT) | instid1(VALU_DEP_2)
	v_mov_b64_e32 v[12:13], v[68:69]
	v_mov_b64_e32 v[14:15], v[70:71]
	ds_store_b128 v21, v[68:71]
.LBB94_34:                              ;   in Loop: Header=BB94_3 Depth=1
	s_or_b32 exec_lo, exec_lo, s37
	s_wait_dscnt 0x0
	s_barrier_signal -1
	s_barrier_wait -1
	s_and_saveexec_b32 s37, s71
	s_cbranch_execz .LBB94_36
; %bb.35:                               ;   in Loop: Header=BB94_3 Depth=1
	ds_load_b128 v[16:19], v21
	ds_load_b128 v[68:71], v1 offset:1072
	s_wait_dscnt 0x0
	v_mul_f64_e32 v[2:3], v[18:19], v[70:71]
	v_mul_f64_e32 v[38:39], v[16:17], v[70:71]
	s_delay_alu instid0(VALU_DEP_2) | instskip(NEXT) | instid1(VALU_DEP_2)
	v_fma_f64 v[2:3], v[16:17], v[68:69], -v[2:3]
	v_fmac_f64_e32 v[38:39], v[18:19], v[68:69]
	s_delay_alu instid0(VALU_DEP_2) | instskip(NEXT) | instid1(VALU_DEP_2)
	v_add_f64_e32 v[12:13], v[12:13], v[2:3]
	v_add_f64_e32 v[14:15], v[14:15], v[38:39]
.LBB94_36:                              ;   in Loop: Header=BB94_3 Depth=1
	s_or_b32 exec_lo, exec_lo, s37
	s_barrier_signal -1
	s_barrier_wait -1
	s_and_saveexec_b32 s37, s71
	s_cbranch_execz .LBB94_38
; %bb.37:                               ;   in Loop: Header=BB94_3 Depth=1
	ds_load_b128 v[16:19], v1 offset:1584
	s_wait_dscnt 0x0
	v_mul_f64_e32 v[2:3], v[14:15], v[18:19]
	v_mul_f64_e32 v[70:71], v[12:13], v[18:19]
	s_delay_alu instid0(VALU_DEP_2) | instskip(NEXT) | instid1(VALU_DEP_2)
	v_fma_f64 v[68:69], v[12:13], v[16:17], -v[2:3]
	v_fmac_f64_e32 v[70:71], v[14:15], v[16:17]
	s_delay_alu instid0(VALU_DEP_2) | instskip(NEXT) | instid1(VALU_DEP_2)
	v_mov_b64_e32 v[12:13], v[68:69]
	v_mov_b64_e32 v[14:15], v[70:71]
	ds_store_b128 v21, v[68:71]
.LBB94_38:                              ;   in Loop: Header=BB94_3 Depth=1
	s_or_b32 exec_lo, exec_lo, s37
	s_wait_dscnt 0x0
	s_barrier_signal -1
	s_barrier_wait -1
	s_barrier_signal -1
	s_barrier_wait -1
	s_and_saveexec_b32 s37, s0
; %bb.39:                               ;   in Loop: Header=BB94_3 Depth=1
	s_delay_alu instid0(VALU_DEP_2) | instskip(NEXT) | instid1(VALU_DEP_2)
	v_xor_b32_e32 v13, 0x80000000, v13
	v_xor_b32_e32 v15, 0x80000000, v15
	ds_store_b128 v42, v[12:15] offset:32
; %bb.40:                               ;   in Loop: Header=BB94_3 Depth=1
	s_or_b32 exec_lo, exec_lo, s37
	s_wait_dscnt 0x0
	s_barrier_signal -1
	s_barrier_wait -1
	s_barrier_signal -1
	s_barrier_wait -1
	s_and_saveexec_b32 s37, s10
	s_cbranch_execz .LBB94_42
; %bb.41:                               ;   in Loop: Header=BB94_3 Depth=1
	ds_load_b128 v[12:15], v1 offset:1584
	ds_load_b128 v[16:19], v1 offset:1056
	;; [unrolled: 1-line block ×3, first 2 shown]
	s_wait_dscnt 0x1
	v_mul_f64_e32 v[2:3], v[12:13], v[18:19]
	v_mul_f64_e32 v[18:19], v[14:15], v[18:19]
	s_delay_alu instid0(VALU_DEP_2) | instskip(NEXT) | instid1(VALU_DEP_2)
	v_fmac_f64_e32 v[2:3], v[14:15], v[16:17]
	v_fma_f64 v[12:13], v[12:13], v[16:17], -v[18:19]
	s_wait_dscnt 0x0
	s_delay_alu instid0(VALU_DEP_2) | instskip(NEXT) | instid1(VALU_DEP_2)
	v_mul_f64_e32 v[16:17], v[2:3], v[70:71]
	v_mul_f64_e32 v[14:15], v[12:13], v[70:71]
	s_delay_alu instid0(VALU_DEP_2) | instskip(NEXT) | instid1(VALU_DEP_2)
	v_fma_f64 v[12:13], v[68:69], v[12:13], -v[16:17]
	v_fmac_f64_e32 v[14:15], v[68:69], v[2:3]
	ds_store_b128 v1, v[12:15] offset:1072
.LBB94_42:                              ;   in Loop: Header=BB94_3 Depth=1
	s_or_b32 exec_lo, exec_lo, s37
	v_mov_b64_e32 v[14:15], 0
	v_mov_b64_e32 v[12:13], 0
	s_wait_dscnt 0x0
	s_barrier_signal -1
	s_barrier_wait -1
	s_and_saveexec_b32 s37, s1
	s_cbranch_execz .LBB94_48
; %bb.43:                               ;   in Loop: Header=BB94_3 Depth=1
	ds_load_b128 v[12:15], v45
	ds_load_b128 v[16:19], v48 offset:64
	s_wait_dscnt 0x0
	v_mul_f64_e32 v[2:3], v[14:15], v[18:19]
	v_mul_f64_e32 v[18:19], v[12:13], v[18:19]
	s_delay_alu instid0(VALU_DEP_2) | instskip(NEXT) | instid1(VALU_DEP_2)
	v_fma_f64 v[2:3], v[12:13], v[16:17], -v[2:3]
	v_fmac_f64_e32 v[18:19], v[14:15], v[16:17]
	s_delay_alu instid0(VALU_DEP_2) | instskip(NEXT) | instid1(VALU_DEP_2)
	v_add_f64_e32 v[12:13], 0, v[2:3]
	v_add_f64_e32 v[14:15], 0, v[18:19]
	s_and_saveexec_b32 s62, s12
	s_cbranch_execnz .LBB94_520
; %bb.44:                               ;   in Loop: Header=BB94_3 Depth=1
	s_or_b32 exec_lo, exec_lo, s62
	s_and_saveexec_b32 s62, s13
	s_cbranch_execnz .LBB94_521
.LBB94_45:                              ;   in Loop: Header=BB94_3 Depth=1
	s_or_b32 exec_lo, exec_lo, s62
	s_and_saveexec_b32 s62, s0
	s_cbranch_execz .LBB94_47
.LBB94_46:                              ;   in Loop: Header=BB94_3 Depth=1
	ds_load_b128 v[16:19], v1 offset:48
	ds_load_b128 v[68:71], v44 offset:1600
	s_wait_dscnt 0x0
	v_mul_f64_e32 v[2:3], v[18:19], v[70:71]
	v_mul_f64_e32 v[38:39], v[16:17], v[70:71]
	s_delay_alu instid0(VALU_DEP_2) | instskip(NEXT) | instid1(VALU_DEP_2)
	v_fma_f64 v[2:3], v[16:17], v[68:69], -v[2:3]
	v_fmac_f64_e32 v[38:39], v[18:19], v[68:69]
	s_delay_alu instid0(VALU_DEP_2) | instskip(NEXT) | instid1(VALU_DEP_2)
	v_add_f64_e32 v[12:13], v[12:13], v[2:3]
	v_add_f64_e32 v[14:15], v[14:15], v[38:39]
.LBB94_47:                              ;   in Loop: Header=BB94_3 Depth=1
	s_or_b32 exec_lo, exec_lo, s62
	s_delay_alu instid0(VALU_DEP_2) | instskip(NEXT) | instid1(VALU_DEP_2)
	v_xor_b32_e32 v13, 0x80000000, v13
	v_xor_b32_e32 v15, 0x80000000, v15
.LBB94_48:                              ;   in Loop: Header=BB94_3 Depth=1
	s_or_b32 exec_lo, exec_lo, s37
	s_and_saveexec_b32 s37, s72
	s_cbranch_execz .LBB94_50
; %bb.49:                               ;   in Loop: Header=BB94_3 Depth=1
	ds_load_b128 v[16:19], v1 offset:2112
	s_wait_dscnt 0x0
	v_mul_f64_e32 v[2:3], v[14:15], v[18:19]
	v_mul_f64_e32 v[70:71], v[12:13], v[18:19]
	s_delay_alu instid0(VALU_DEP_2) | instskip(NEXT) | instid1(VALU_DEP_2)
	v_fma_f64 v[68:69], v[12:13], v[16:17], -v[2:3]
	v_fmac_f64_e32 v[70:71], v[14:15], v[16:17]
	s_delay_alu instid0(VALU_DEP_2) | instskip(NEXT) | instid1(VALU_DEP_2)
	v_mov_b64_e32 v[12:13], v[68:69]
	v_mov_b64_e32 v[14:15], v[70:71]
	ds_store_b128 v47, v[68:71]
.LBB94_50:                              ;   in Loop: Header=BB94_3 Depth=1
	s_or_b32 exec_lo, exec_lo, s37
	s_wait_dscnt 0x0
	s_barrier_signal -1
	s_barrier_wait -1
	s_and_saveexec_b32 s37, s73
	s_cbranch_execz .LBB94_52
; %bb.51:                               ;   in Loop: Header=BB94_3 Depth=1
	ds_load_b128 v[16:19], v47
	ds_load_b128 v[68:71], v46 offset:2112
	s_wait_dscnt 0x0
	v_mul_f64_e32 v[2:3], v[18:19], v[70:71]
	v_mul_f64_e32 v[38:39], v[16:17], v[70:71]
	s_delay_alu instid0(VALU_DEP_2) | instskip(NEXT) | instid1(VALU_DEP_2)
	v_fma_f64 v[2:3], v[16:17], v[68:69], -v[2:3]
	v_fmac_f64_e32 v[38:39], v[18:19], v[68:69]
	s_delay_alu instid0(VALU_DEP_2) | instskip(NEXT) | instid1(VALU_DEP_2)
	v_add_f64_e32 v[12:13], v[12:13], v[2:3]
	v_add_f64_e32 v[14:15], v[14:15], v[38:39]
.LBB94_52:                              ;   in Loop: Header=BB94_3 Depth=1
	s_or_b32 exec_lo, exec_lo, s37
	s_barrier_signal -1
	s_barrier_wait -1
	s_and_saveexec_b32 s37, s74
	s_cbranch_execz .LBB94_54
; %bb.53:                               ;   in Loop: Header=BB94_3 Depth=1
	ds_load_b128 v[16:19], v1 offset:2640
	s_wait_dscnt 0x0
	v_mul_f64_e32 v[2:3], v[14:15], v[18:19]
	v_mul_f64_e32 v[70:71], v[12:13], v[18:19]
	s_delay_alu instid0(VALU_DEP_2) | instskip(NEXT) | instid1(VALU_DEP_2)
	v_fma_f64 v[68:69], v[12:13], v[16:17], -v[2:3]
	v_fmac_f64_e32 v[70:71], v[14:15], v[16:17]
	s_delay_alu instid0(VALU_DEP_2) | instskip(NEXT) | instid1(VALU_DEP_2)
	v_mov_b64_e32 v[12:13], v[68:69]
	v_mov_b64_e32 v[14:15], v[70:71]
	ds_store_b128 v47, v[68:71]
.LBB94_54:                              ;   in Loop: Header=BB94_3 Depth=1
	s_or_b32 exec_lo, exec_lo, s37
	s_wait_dscnt 0x0
	s_barrier_signal -1
	s_barrier_wait -1
	s_and_saveexec_b32 s37, s75
	s_cbranch_execz .LBB94_56
; %bb.55:                               ;   in Loop: Header=BB94_3 Depth=1
	ds_load_b128 v[16:19], v47
	ds_load_b128 v[68:71], v46 offset:2624
	s_wait_dscnt 0x0
	v_mul_f64_e32 v[2:3], v[18:19], v[70:71]
	v_mul_f64_e32 v[38:39], v[16:17], v[70:71]
	s_delay_alu instid0(VALU_DEP_2) | instskip(NEXT) | instid1(VALU_DEP_2)
	v_fma_f64 v[2:3], v[16:17], v[68:69], -v[2:3]
	v_fmac_f64_e32 v[38:39], v[18:19], v[68:69]
	s_delay_alu instid0(VALU_DEP_2) | instskip(NEXT) | instid1(VALU_DEP_2)
	v_add_f64_e32 v[12:13], v[12:13], v[2:3]
	v_add_f64_e32 v[14:15], v[14:15], v[38:39]
.LBB94_56:                              ;   in Loop: Header=BB94_3 Depth=1
	s_or_b32 exec_lo, exec_lo, s37
	s_barrier_signal -1
	s_barrier_wait -1
	;; [unrolled: 37-line block ×3, first 2 shown]
	s_and_saveexec_b32 s37, s77
	s_cbranch_execz .LBB94_62
; %bb.61:                               ;   in Loop: Header=BB94_3 Depth=1
	ds_load_b128 v[16:19], v1 offset:3696
	s_wait_dscnt 0x0
	v_mul_f64_e32 v[2:3], v[14:15], v[18:19]
	v_mul_f64_e32 v[70:71], v[12:13], v[18:19]
	s_delay_alu instid0(VALU_DEP_2) | instskip(NEXT) | instid1(VALU_DEP_2)
	v_fma_f64 v[68:69], v[12:13], v[16:17], -v[2:3]
	v_fmac_f64_e32 v[70:71], v[14:15], v[16:17]
	s_delay_alu instid0(VALU_DEP_2) | instskip(NEXT) | instid1(VALU_DEP_2)
	v_mov_b64_e32 v[12:13], v[68:69]
	v_mov_b64_e32 v[14:15], v[70:71]
	ds_store_b128 v47, v[68:71]
.LBB94_62:                              ;   in Loop: Header=BB94_3 Depth=1
	s_or_b32 exec_lo, exec_lo, s37
	s_wait_dscnt 0x0
	s_barrier_signal -1
	s_barrier_wait -1
	s_barrier_signal -1
	s_barrier_wait -1
	s_and_saveexec_b32 s37, s1
; %bb.63:                               ;   in Loop: Header=BB94_3 Depth=1
	s_delay_alu instid0(VALU_DEP_1) | instskip(NEXT) | instid1(VALU_DEP_3)
	v_xor_b32_e32 v15, 0x80000000, v15
	v_xor_b32_e32 v13, 0x80000000, v13
	ds_store_b128 v48, v[12:15] offset:64
; %bb.64:                               ;   in Loop: Header=BB94_3 Depth=1
	s_or_b32 exec_lo, exec_lo, s37
	s_wait_dscnt 0x0
	s_barrier_signal -1
	s_barrier_wait -1
	s_barrier_signal -1
	s_barrier_wait -1
	s_and_saveexec_b32 s37, s10
	s_cbranch_execz .LBB94_66
; %bb.65:                               ;   in Loop: Header=BB94_3 Depth=1
	ds_load_b128 v[12:15], v1 offset:2640
	ds_load_b128 v[16:19], v1 offset:2112
	ds_load_b128 v[68:71], v1 offset:2128
	s_wait_dscnt 0x1
	v_mul_f64_e32 v[2:3], v[12:13], v[18:19]
	v_mul_f64_e32 v[18:19], v[14:15], v[18:19]
	s_delay_alu instid0(VALU_DEP_2) | instskip(NEXT) | instid1(VALU_DEP_2)
	v_fmac_f64_e32 v[2:3], v[14:15], v[16:17]
	v_fma_f64 v[12:13], v[12:13], v[16:17], -v[18:19]
	s_wait_dscnt 0x0
	s_delay_alu instid0(VALU_DEP_2) | instskip(NEXT) | instid1(VALU_DEP_2)
	v_mul_f64_e32 v[16:17], v[2:3], v[70:71]
	v_mul_f64_e32 v[14:15], v[12:13], v[70:71]
	s_delay_alu instid0(VALU_DEP_2) | instskip(NEXT) | instid1(VALU_DEP_2)
	v_fma_f64 v[12:13], v[68:69], v[12:13], -v[16:17]
	v_fmac_f64_e32 v[14:15], v[68:69], v[2:3]
	ds_store_b128 v1, v[12:15] offset:2128
.LBB94_66:                              ;   in Loop: Header=BB94_3 Depth=1
	s_or_b32 exec_lo, exec_lo, s37
	v_mov_b64_e32 v[14:15], 0
	v_mov_b64_e32 v[12:13], 0
	s_wait_dscnt 0x0
	s_barrier_signal -1
	s_barrier_wait -1
	s_and_saveexec_b32 s37, s0
	s_cbranch_execz .LBB94_70
; %bb.67:                               ;   in Loop: Header=BB94_3 Depth=1
	ds_load_b128 v[12:15], v43 offset:2112
	ds_load_b128 v[16:19], v42 offset:2144
	s_wait_dscnt 0x0
	v_mul_f64_e32 v[2:3], v[14:15], v[18:19]
	v_mul_f64_e32 v[18:19], v[12:13], v[18:19]
	s_delay_alu instid0(VALU_DEP_2) | instskip(NEXT) | instid1(VALU_DEP_2)
	v_fma_f64 v[2:3], v[12:13], v[16:17], -v[2:3]
	v_fmac_f64_e32 v[18:19], v[14:15], v[16:17]
	s_delay_alu instid0(VALU_DEP_2) | instskip(NEXT) | instid1(VALU_DEP_2)
	v_add_f64_e32 v[12:13], 0, v[2:3]
	v_add_f64_e32 v[14:15], 0, v[18:19]
	s_and_saveexec_b32 s62, s11
	s_cbranch_execz .LBB94_69
; %bb.68:                               ;   in Loop: Header=BB94_3 Depth=1
	ds_load_b128 v[16:19], v1 offset:2128
	ds_load_b128 v[68:71], v44 offset:2656
	s_wait_dscnt 0x0
	v_mul_f64_e32 v[2:3], v[18:19], v[70:71]
	v_mul_f64_e32 v[38:39], v[16:17], v[70:71]
	s_delay_alu instid0(VALU_DEP_2) | instskip(NEXT) | instid1(VALU_DEP_2)
	v_fma_f64 v[2:3], v[16:17], v[68:69], -v[2:3]
	v_fmac_f64_e32 v[38:39], v[18:19], v[68:69]
	s_delay_alu instid0(VALU_DEP_2) | instskip(NEXT) | instid1(VALU_DEP_2)
	v_add_f64_e32 v[12:13], v[12:13], v[2:3]
	v_add_f64_e32 v[14:15], v[14:15], v[38:39]
.LBB94_69:                              ;   in Loop: Header=BB94_3 Depth=1
	s_or_b32 exec_lo, exec_lo, s62
	s_delay_alu instid0(VALU_DEP_2) | instskip(NEXT) | instid1(VALU_DEP_2)
	v_xor_b32_e32 v13, 0x80000000, v13
	v_xor_b32_e32 v15, 0x80000000, v15
.LBB94_70:                              ;   in Loop: Header=BB94_3 Depth=1
	s_or_b32 exec_lo, exec_lo, s37
	s_and_saveexec_b32 s37, s70
	s_cbranch_execz .LBB94_72
; %bb.71:                               ;   in Loop: Header=BB94_3 Depth=1
	ds_load_b128 v[16:19], v1 offset:3168
	s_wait_dscnt 0x0
	v_mul_f64_e32 v[2:3], v[14:15], v[18:19]
	v_mul_f64_e32 v[70:71], v[12:13], v[18:19]
	s_delay_alu instid0(VALU_DEP_2) | instskip(NEXT) | instid1(VALU_DEP_2)
	v_fma_f64 v[68:69], v[12:13], v[16:17], -v[2:3]
	v_fmac_f64_e32 v[70:71], v[14:15], v[16:17]
	s_delay_alu instid0(VALU_DEP_2) | instskip(NEXT) | instid1(VALU_DEP_2)
	v_mov_b64_e32 v[12:13], v[68:69]
	v_mov_b64_e32 v[14:15], v[70:71]
	ds_store_b128 v21, v[68:71]
.LBB94_72:                              ;   in Loop: Header=BB94_3 Depth=1
	s_or_b32 exec_lo, exec_lo, s37
	s_wait_dscnt 0x0
	s_barrier_signal -1
	s_barrier_wait -1
	s_and_saveexec_b32 s37, s71
	s_cbranch_execz .LBB94_74
; %bb.73:                               ;   in Loop: Header=BB94_3 Depth=1
	ds_load_b128 v[16:19], v21
	ds_load_b128 v[68:71], v1 offset:3184
	s_wait_dscnt 0x0
	v_mul_f64_e32 v[2:3], v[18:19], v[70:71]
	v_mul_f64_e32 v[38:39], v[16:17], v[70:71]
	s_delay_alu instid0(VALU_DEP_2) | instskip(NEXT) | instid1(VALU_DEP_2)
	v_fma_f64 v[2:3], v[16:17], v[68:69], -v[2:3]
	v_fmac_f64_e32 v[38:39], v[18:19], v[68:69]
	s_delay_alu instid0(VALU_DEP_2) | instskip(NEXT) | instid1(VALU_DEP_2)
	v_add_f64_e32 v[12:13], v[12:13], v[2:3]
	v_add_f64_e32 v[14:15], v[14:15], v[38:39]
.LBB94_74:                              ;   in Loop: Header=BB94_3 Depth=1
	s_or_b32 exec_lo, exec_lo, s37
	s_barrier_signal -1
	s_barrier_wait -1
	s_and_saveexec_b32 s37, s71
	s_cbranch_execz .LBB94_76
; %bb.75:                               ;   in Loop: Header=BB94_3 Depth=1
	ds_load_b128 v[16:19], v1 offset:3696
	s_wait_dscnt 0x0
	v_mul_f64_e32 v[2:3], v[14:15], v[18:19]
	v_mul_f64_e32 v[70:71], v[12:13], v[18:19]
	s_delay_alu instid0(VALU_DEP_2) | instskip(NEXT) | instid1(VALU_DEP_2)
	v_fma_f64 v[68:69], v[12:13], v[16:17], -v[2:3]
	v_fmac_f64_e32 v[70:71], v[14:15], v[16:17]
	s_delay_alu instid0(VALU_DEP_2) | instskip(NEXT) | instid1(VALU_DEP_2)
	v_mov_b64_e32 v[12:13], v[68:69]
	v_mov_b64_e32 v[14:15], v[70:71]
	ds_store_b128 v21, v[68:71]
.LBB94_76:                              ;   in Loop: Header=BB94_3 Depth=1
	s_or_b32 exec_lo, exec_lo, s37
	s_wait_dscnt 0x0
	s_barrier_signal -1
	s_barrier_wait -1
	s_barrier_signal -1
	s_barrier_wait -1
	s_and_saveexec_b32 s37, s0
; %bb.77:                               ;   in Loop: Header=BB94_3 Depth=1
	s_delay_alu instid0(VALU_DEP_2) | instskip(NEXT) | instid1(VALU_DEP_2)
	v_xor_b32_e32 v13, 0x80000000, v13
	v_xor_b32_e32 v15, 0x80000000, v15
	ds_store_b128 v42, v[12:15] offset:2144
; %bb.78:                               ;   in Loop: Header=BB94_3 Depth=1
	s_or_b32 exec_lo, exec_lo, s37
	s_wait_dscnt 0x0
	s_barrier_signal -1
	s_barrier_wait -1
	s_barrier_signal -1
	s_barrier_wait -1
	s_and_saveexec_b32 s37, s10
	s_cbranch_execz .LBB94_80
; %bb.79:                               ;   in Loop: Header=BB94_3 Depth=1
	ds_load_b128 v[12:15], v1 offset:3696
	ds_load_b128 v[16:19], v1 offset:3168
	;; [unrolled: 1-line block ×3, first 2 shown]
	s_wait_dscnt 0x1
	v_mul_f64_e32 v[2:3], v[12:13], v[18:19]
	v_mul_f64_e32 v[18:19], v[14:15], v[18:19]
	s_delay_alu instid0(VALU_DEP_2) | instskip(NEXT) | instid1(VALU_DEP_2)
	v_fmac_f64_e32 v[2:3], v[14:15], v[16:17]
	v_fma_f64 v[12:13], v[12:13], v[16:17], -v[18:19]
	s_wait_dscnt 0x0
	s_delay_alu instid0(VALU_DEP_2) | instskip(NEXT) | instid1(VALU_DEP_2)
	v_mul_f64_e32 v[16:17], v[2:3], v[70:71]
	v_mul_f64_e32 v[14:15], v[12:13], v[70:71]
	s_delay_alu instid0(VALU_DEP_2) | instskip(NEXT) | instid1(VALU_DEP_2)
	v_fma_f64 v[12:13], v[68:69], v[12:13], -v[16:17]
	v_fmac_f64_e32 v[14:15], v[68:69], v[2:3]
	ds_store_b128 v1, v[12:15] offset:3184
.LBB94_80:                              ;   in Loop: Header=BB94_3 Depth=1
	s_or_b32 exec_lo, exec_lo, s37
	v_mov_b64_e32 v[14:15], 0
	v_mov_b64_e32 v[12:13], 0
	s_wait_dscnt 0x0
	s_barrier_signal -1
	s_barrier_wait -1
	s_and_saveexec_b32 s37, s2
	s_cbranch_execz .LBB94_90
; %bb.81:                               ;   in Loop: Header=BB94_3 Depth=1
	ds_load_b128 v[12:15], v50
	ds_load_b128 v[16:19], v53 offset:128
	s_wait_dscnt 0x0
	v_mul_f64_e32 v[2:3], v[14:15], v[18:19]
	v_mul_f64_e32 v[18:19], v[12:13], v[18:19]
	s_delay_alu instid0(VALU_DEP_2) | instskip(NEXT) | instid1(VALU_DEP_2)
	v_fma_f64 v[2:3], v[12:13], v[16:17], -v[2:3]
	v_fmac_f64_e32 v[18:19], v[14:15], v[16:17]
	s_delay_alu instid0(VALU_DEP_2) | instskip(NEXT) | instid1(VALU_DEP_2)
	v_add_f64_e32 v[12:13], 0, v[2:3]
	v_add_f64_e32 v[14:15], 0, v[18:19]
	s_and_saveexec_b32 s62, s14
	s_cbranch_execnz .LBB94_522
; %bb.82:                               ;   in Loop: Header=BB94_3 Depth=1
	s_or_b32 exec_lo, exec_lo, s62
	s_and_saveexec_b32 s62, s15
	s_cbranch_execnz .LBB94_523
.LBB94_83:                              ;   in Loop: Header=BB94_3 Depth=1
	s_or_b32 exec_lo, exec_lo, s62
	s_and_saveexec_b32 s62, s16
	s_cbranch_execnz .LBB94_524
.LBB94_84:                              ;   in Loop: Header=BB94_3 Depth=1
	s_or_b32 exec_lo, exec_lo, s62
	s_and_saveexec_b32 s62, s17
	s_cbranch_execnz .LBB94_525
.LBB94_85:                              ;   in Loop: Header=BB94_3 Depth=1
	s_or_b32 exec_lo, exec_lo, s62
	s_and_saveexec_b32 s62, s18
	s_cbranch_execnz .LBB94_526
.LBB94_86:                              ;   in Loop: Header=BB94_3 Depth=1
	s_or_b32 exec_lo, exec_lo, s62
	s_and_saveexec_b32 s62, s1
	s_cbranch_execnz .LBB94_527
.LBB94_87:                              ;   in Loop: Header=BB94_3 Depth=1
	s_or_b32 exec_lo, exec_lo, s62
	s_and_saveexec_b32 s62, s13
	s_cbranch_execz .LBB94_89
.LBB94_88:                              ;   in Loop: Header=BB94_3 Depth=1
	ds_load_b128 v[16:19], v1 offset:112
	ds_load_b128 v[68:71], v44 offset:3712
	s_wait_dscnt 0x0
	v_mul_f64_e32 v[2:3], v[18:19], v[70:71]
	v_mul_f64_e32 v[38:39], v[16:17], v[70:71]
	s_delay_alu instid0(VALU_DEP_2) | instskip(NEXT) | instid1(VALU_DEP_2)
	v_fma_f64 v[2:3], v[16:17], v[68:69], -v[2:3]
	v_fmac_f64_e32 v[38:39], v[18:19], v[68:69]
	s_delay_alu instid0(VALU_DEP_2) | instskip(NEXT) | instid1(VALU_DEP_2)
	v_add_f64_e32 v[12:13], v[12:13], v[2:3]
	v_add_f64_e32 v[14:15], v[14:15], v[38:39]
.LBB94_89:                              ;   in Loop: Header=BB94_3 Depth=1
	s_or_b32 exec_lo, exec_lo, s62
	s_delay_alu instid0(VALU_DEP_2) | instskip(NEXT) | instid1(VALU_DEP_2)
	v_xor_b32_e32 v13, 0x80000000, v13
	v_xor_b32_e32 v15, 0x80000000, v15
.LBB94_90:                              ;   in Loop: Header=BB94_3 Depth=1
	s_or_b32 exec_lo, exec_lo, s37
	s_and_saveexec_b32 s37, s78
	s_cbranch_execz .LBB94_92
; %bb.91:                               ;   in Loop: Header=BB94_3 Depth=1
	ds_load_b128 v[16:19], v1 offset:4224
	s_wait_dscnt 0x0
	v_mul_f64_e32 v[2:3], v[14:15], v[18:19]
	v_mul_f64_e32 v[70:71], v[12:13], v[18:19]
	s_delay_alu instid0(VALU_DEP_2) | instskip(NEXT) | instid1(VALU_DEP_2)
	v_fma_f64 v[68:69], v[12:13], v[16:17], -v[2:3]
	v_fmac_f64_e32 v[70:71], v[14:15], v[16:17]
	s_delay_alu instid0(VALU_DEP_2) | instskip(NEXT) | instid1(VALU_DEP_2)
	v_mov_b64_e32 v[12:13], v[68:69]
	v_mov_b64_e32 v[14:15], v[70:71]
	ds_store_b128 v52, v[68:71]
.LBB94_92:                              ;   in Loop: Header=BB94_3 Depth=1
	s_or_b32 exec_lo, exec_lo, s37
	s_wait_dscnt 0x0
	s_barrier_signal -1
	s_barrier_wait -1
	s_and_saveexec_b32 s37, s79
	s_cbranch_execz .LBB94_94
; %bb.93:                               ;   in Loop: Header=BB94_3 Depth=1
	ds_load_b128 v[16:19], v52
	ds_load_b128 v[68:71], v51 offset:4224
	s_wait_dscnt 0x0
	v_mul_f64_e32 v[2:3], v[18:19], v[70:71]
	v_mul_f64_e32 v[38:39], v[16:17], v[70:71]
	s_delay_alu instid0(VALU_DEP_2) | instskip(NEXT) | instid1(VALU_DEP_2)
	v_fma_f64 v[2:3], v[16:17], v[68:69], -v[2:3]
	v_fmac_f64_e32 v[38:39], v[18:19], v[68:69]
	s_delay_alu instid0(VALU_DEP_2) | instskip(NEXT) | instid1(VALU_DEP_2)
	v_add_f64_e32 v[12:13], v[12:13], v[2:3]
	v_add_f64_e32 v[14:15], v[14:15], v[38:39]
.LBB94_94:                              ;   in Loop: Header=BB94_3 Depth=1
	s_or_b32 exec_lo, exec_lo, s37
	s_barrier_signal -1
	s_barrier_wait -1
	s_and_saveexec_b32 s37, s80
	s_cbranch_execz .LBB94_96
; %bb.95:                               ;   in Loop: Header=BB94_3 Depth=1
	ds_load_b128 v[16:19], v1 offset:4752
	s_wait_dscnt 0x0
	v_mul_f64_e32 v[2:3], v[14:15], v[18:19]
	v_mul_f64_e32 v[70:71], v[12:13], v[18:19]
	s_delay_alu instid0(VALU_DEP_2) | instskip(NEXT) | instid1(VALU_DEP_2)
	v_fma_f64 v[68:69], v[12:13], v[16:17], -v[2:3]
	v_fmac_f64_e32 v[70:71], v[14:15], v[16:17]
	s_delay_alu instid0(VALU_DEP_2) | instskip(NEXT) | instid1(VALU_DEP_2)
	v_mov_b64_e32 v[12:13], v[68:69]
	v_mov_b64_e32 v[14:15], v[70:71]
	ds_store_b128 v52, v[68:71]
.LBB94_96:                              ;   in Loop: Header=BB94_3 Depth=1
	s_or_b32 exec_lo, exec_lo, s37
	s_wait_dscnt 0x0
	s_barrier_signal -1
	s_barrier_wait -1
	s_and_saveexec_b32 s37, s81
	s_cbranch_execz .LBB94_98
; %bb.97:                               ;   in Loop: Header=BB94_3 Depth=1
	ds_load_b128 v[16:19], v52
	ds_load_b128 v[68:71], v51 offset:4736
	s_wait_dscnt 0x0
	v_mul_f64_e32 v[2:3], v[18:19], v[70:71]
	v_mul_f64_e32 v[38:39], v[16:17], v[70:71]
	s_delay_alu instid0(VALU_DEP_2) | instskip(NEXT) | instid1(VALU_DEP_2)
	v_fma_f64 v[2:3], v[16:17], v[68:69], -v[2:3]
	v_fmac_f64_e32 v[38:39], v[18:19], v[68:69]
	s_delay_alu instid0(VALU_DEP_2) | instskip(NEXT) | instid1(VALU_DEP_2)
	v_add_f64_e32 v[12:13], v[12:13], v[2:3]
	v_add_f64_e32 v[14:15], v[14:15], v[38:39]
.LBB94_98:                              ;   in Loop: Header=BB94_3 Depth=1
	s_or_b32 exec_lo, exec_lo, s37
	s_barrier_signal -1
	s_barrier_wait -1
	s_and_saveexec_b32 s37, s82
	s_cbranch_execz .LBB94_100
; %bb.99:                               ;   in Loop: Header=BB94_3 Depth=1
	ds_load_b128 v[16:19], v1 offset:5280
	s_wait_dscnt 0x0
	v_mul_f64_e32 v[2:3], v[14:15], v[18:19]
	v_mul_f64_e32 v[70:71], v[12:13], v[18:19]
	s_delay_alu instid0(VALU_DEP_2) | instskip(NEXT) | instid1(VALU_DEP_2)
	v_fma_f64 v[68:69], v[12:13], v[16:17], -v[2:3]
	v_fmac_f64_e32 v[70:71], v[14:15], v[16:17]
	s_delay_alu instid0(VALU_DEP_2) | instskip(NEXT) | instid1(VALU_DEP_2)
	v_mov_b64_e32 v[12:13], v[68:69]
	v_mov_b64_e32 v[14:15], v[70:71]
	ds_store_b128 v52, v[68:71]
.LBB94_100:                             ;   in Loop: Header=BB94_3 Depth=1
	s_or_b32 exec_lo, exec_lo, s37
	s_wait_dscnt 0x0
	s_barrier_signal -1
	s_barrier_wait -1
	s_and_saveexec_b32 s37, s83
	s_cbranch_execz .LBB94_102
; %bb.101:                              ;   in Loop: Header=BB94_3 Depth=1
	ds_load_b128 v[16:19], v52
	ds_load_b128 v[68:71], v51 offset:5248
	s_wait_dscnt 0x0
	v_mul_f64_e32 v[2:3], v[18:19], v[70:71]
	v_mul_f64_e32 v[38:39], v[16:17], v[70:71]
	s_delay_alu instid0(VALU_DEP_2) | instskip(NEXT) | instid1(VALU_DEP_2)
	v_fma_f64 v[2:3], v[16:17], v[68:69], -v[2:3]
	v_fmac_f64_e32 v[38:39], v[18:19], v[68:69]
	s_delay_alu instid0(VALU_DEP_2) | instskip(NEXT) | instid1(VALU_DEP_2)
	v_add_f64_e32 v[12:13], v[12:13], v[2:3]
	v_add_f64_e32 v[14:15], v[14:15], v[38:39]
.LBB94_102:                             ;   in Loop: Header=BB94_3 Depth=1
	s_or_b32 exec_lo, exec_lo, s37
	s_barrier_signal -1
	s_barrier_wait -1
	s_and_saveexec_b32 s37, s84
	s_cbranch_execz .LBB94_104
; %bb.103:                              ;   in Loop: Header=BB94_3 Depth=1
	ds_load_b128 v[16:19], v1 offset:5808
	s_wait_dscnt 0x0
	v_mul_f64_e32 v[2:3], v[14:15], v[18:19]
	v_mul_f64_e32 v[70:71], v[12:13], v[18:19]
	s_delay_alu instid0(VALU_DEP_2) | instskip(NEXT) | instid1(VALU_DEP_2)
	v_fma_f64 v[68:69], v[12:13], v[16:17], -v[2:3]
	v_fmac_f64_e32 v[70:71], v[14:15], v[16:17]
	s_delay_alu instid0(VALU_DEP_2) | instskip(NEXT) | instid1(VALU_DEP_2)
	v_mov_b64_e32 v[12:13], v[68:69]
	v_mov_b64_e32 v[14:15], v[70:71]
	ds_store_b128 v52, v[68:71]
.LBB94_104:                             ;   in Loop: Header=BB94_3 Depth=1
	s_or_b32 exec_lo, exec_lo, s37
	s_wait_dscnt 0x0
	s_barrier_signal -1
	s_barrier_wait -1
	s_and_saveexec_b32 s37, s85
	s_cbranch_execz .LBB94_106
; %bb.105:                              ;   in Loop: Header=BB94_3 Depth=1
	ds_load_b128 v[16:19], v52
	ds_load_b128 v[68:71], v51 offset:5760
	s_wait_dscnt 0x0
	v_mul_f64_e32 v[2:3], v[18:19], v[70:71]
	v_mul_f64_e32 v[38:39], v[16:17], v[70:71]
	s_delay_alu instid0(VALU_DEP_2) | instskip(NEXT) | instid1(VALU_DEP_2)
	v_fma_f64 v[2:3], v[16:17], v[68:69], -v[2:3]
	v_fmac_f64_e32 v[38:39], v[18:19], v[68:69]
	s_delay_alu instid0(VALU_DEP_2) | instskip(NEXT) | instid1(VALU_DEP_2)
	v_add_f64_e32 v[12:13], v[12:13], v[2:3]
	v_add_f64_e32 v[14:15], v[14:15], v[38:39]
.LBB94_106:                             ;   in Loop: Header=BB94_3 Depth=1
	s_or_b32 exec_lo, exec_lo, s37
	s_barrier_signal -1
	s_barrier_wait -1
	s_and_saveexec_b32 s37, s86
	s_cbranch_execz .LBB94_108
; %bb.107:                              ;   in Loop: Header=BB94_3 Depth=1
	ds_load_b128 v[16:19], v1 offset:6336
	s_wait_dscnt 0x0
	v_mul_f64_e32 v[2:3], v[14:15], v[18:19]
	v_mul_f64_e32 v[70:71], v[12:13], v[18:19]
	s_delay_alu instid0(VALU_DEP_2) | instskip(NEXT) | instid1(VALU_DEP_2)
	v_fma_f64 v[68:69], v[12:13], v[16:17], -v[2:3]
	v_fmac_f64_e32 v[70:71], v[14:15], v[16:17]
	s_delay_alu instid0(VALU_DEP_2) | instskip(NEXT) | instid1(VALU_DEP_2)
	v_mov_b64_e32 v[12:13], v[68:69]
	v_mov_b64_e32 v[14:15], v[70:71]
	ds_store_b128 v52, v[68:71]
.LBB94_108:                             ;   in Loop: Header=BB94_3 Depth=1
	;; [unrolled: 37-line block ×5, first 2 shown]
	s_or_b32 exec_lo, exec_lo, s37
	s_wait_dscnt 0x0
	s_barrier_signal -1
	s_barrier_wait -1
	s_barrier_signal -1
	s_barrier_wait -1
	s_and_saveexec_b32 s37, s2
; %bb.121:                              ;   in Loop: Header=BB94_3 Depth=1
	s_delay_alu instid0(VALU_DEP_2) | instskip(NEXT) | instid1(VALU_DEP_2)
	v_xor_b32_e32 v13, 0x80000000, v13
	v_xor_b32_e32 v15, 0x80000000, v15
	ds_store_b128 v53, v[12:15] offset:128
; %bb.122:                              ;   in Loop: Header=BB94_3 Depth=1
	s_or_b32 exec_lo, exec_lo, s37
	s_wait_dscnt 0x0
	s_barrier_signal -1
	s_barrier_wait -1
	s_barrier_signal -1
	s_barrier_wait -1
	s_and_saveexec_b32 s37, s10
	s_cbranch_execz .LBB94_124
; %bb.123:                              ;   in Loop: Header=BB94_3 Depth=1
	ds_load_b128 v[12:15], v1 offset:4752
	ds_load_b128 v[16:19], v1 offset:4224
	;; [unrolled: 1-line block ×3, first 2 shown]
	s_wait_dscnt 0x1
	v_mul_f64_e32 v[2:3], v[12:13], v[18:19]
	v_mul_f64_e32 v[18:19], v[14:15], v[18:19]
	s_delay_alu instid0(VALU_DEP_2) | instskip(NEXT) | instid1(VALU_DEP_2)
	v_fmac_f64_e32 v[2:3], v[14:15], v[16:17]
	v_fma_f64 v[12:13], v[12:13], v[16:17], -v[18:19]
	s_wait_dscnt 0x0
	s_delay_alu instid0(VALU_DEP_2) | instskip(NEXT) | instid1(VALU_DEP_2)
	v_mul_f64_e32 v[16:17], v[2:3], v[70:71]
	v_mul_f64_e32 v[14:15], v[12:13], v[70:71]
	s_delay_alu instid0(VALU_DEP_2) | instskip(NEXT) | instid1(VALU_DEP_2)
	v_fma_f64 v[12:13], v[68:69], v[12:13], -v[16:17]
	v_fmac_f64_e32 v[14:15], v[68:69], v[2:3]
	ds_store_b128 v1, v[12:15] offset:4240
.LBB94_124:                             ;   in Loop: Header=BB94_3 Depth=1
	s_or_b32 exec_lo, exec_lo, s37
	v_mov_b64_e32 v[14:15], 0
	v_mov_b64_e32 v[12:13], 0
	s_wait_dscnt 0x0
	s_barrier_signal -1
	s_barrier_wait -1
	s_and_saveexec_b32 s37, s0
	s_cbranch_execz .LBB94_128
; %bb.125:                              ;   in Loop: Header=BB94_3 Depth=1
	ds_load_b128 v[12:15], v43 offset:4224
	ds_load_b128 v[16:19], v42 offset:4256
	s_wait_dscnt 0x0
	v_mul_f64_e32 v[2:3], v[14:15], v[18:19]
	v_mul_f64_e32 v[18:19], v[12:13], v[18:19]
	s_delay_alu instid0(VALU_DEP_2) | instskip(NEXT) | instid1(VALU_DEP_2)
	v_fma_f64 v[2:3], v[12:13], v[16:17], -v[2:3]
	v_fmac_f64_e32 v[18:19], v[14:15], v[16:17]
	s_delay_alu instid0(VALU_DEP_2) | instskip(NEXT) | instid1(VALU_DEP_2)
	v_add_f64_e32 v[12:13], 0, v[2:3]
	v_add_f64_e32 v[14:15], 0, v[18:19]
	s_and_saveexec_b32 s62, s11
	s_cbranch_execz .LBB94_127
; %bb.126:                              ;   in Loop: Header=BB94_3 Depth=1
	ds_load_b128 v[16:19], v1 offset:4240
	ds_load_b128 v[68:71], v44 offset:4768
	s_wait_dscnt 0x0
	v_mul_f64_e32 v[2:3], v[18:19], v[70:71]
	v_mul_f64_e32 v[38:39], v[16:17], v[70:71]
	s_delay_alu instid0(VALU_DEP_2) | instskip(NEXT) | instid1(VALU_DEP_2)
	v_fma_f64 v[2:3], v[16:17], v[68:69], -v[2:3]
	v_fmac_f64_e32 v[38:39], v[18:19], v[68:69]
	s_delay_alu instid0(VALU_DEP_2) | instskip(NEXT) | instid1(VALU_DEP_2)
	v_add_f64_e32 v[12:13], v[12:13], v[2:3]
	v_add_f64_e32 v[14:15], v[14:15], v[38:39]
.LBB94_127:                             ;   in Loop: Header=BB94_3 Depth=1
	s_or_b32 exec_lo, exec_lo, s62
	s_delay_alu instid0(VALU_DEP_2) | instskip(NEXT) | instid1(VALU_DEP_2)
	v_xor_b32_e32 v13, 0x80000000, v13
	v_xor_b32_e32 v15, 0x80000000, v15
.LBB94_128:                             ;   in Loop: Header=BB94_3 Depth=1
	s_or_b32 exec_lo, exec_lo, s37
	s_and_saveexec_b32 s37, s70
	s_cbranch_execz .LBB94_130
; %bb.129:                              ;   in Loop: Header=BB94_3 Depth=1
	ds_load_b128 v[16:19], v1 offset:5280
	s_wait_dscnt 0x0
	v_mul_f64_e32 v[2:3], v[14:15], v[18:19]
	v_mul_f64_e32 v[70:71], v[12:13], v[18:19]
	s_delay_alu instid0(VALU_DEP_2) | instskip(NEXT) | instid1(VALU_DEP_2)
	v_fma_f64 v[68:69], v[12:13], v[16:17], -v[2:3]
	v_fmac_f64_e32 v[70:71], v[14:15], v[16:17]
	s_delay_alu instid0(VALU_DEP_2) | instskip(NEXT) | instid1(VALU_DEP_2)
	v_mov_b64_e32 v[12:13], v[68:69]
	v_mov_b64_e32 v[14:15], v[70:71]
	ds_store_b128 v21, v[68:71]
.LBB94_130:                             ;   in Loop: Header=BB94_3 Depth=1
	s_or_b32 exec_lo, exec_lo, s37
	s_wait_dscnt 0x0
	s_barrier_signal -1
	s_barrier_wait -1
	s_and_saveexec_b32 s37, s71
	s_cbranch_execz .LBB94_132
; %bb.131:                              ;   in Loop: Header=BB94_3 Depth=1
	ds_load_b128 v[16:19], v21
	ds_load_b128 v[68:71], v1 offset:5296
	s_wait_dscnt 0x0
	v_mul_f64_e32 v[2:3], v[18:19], v[70:71]
	v_mul_f64_e32 v[38:39], v[16:17], v[70:71]
	s_delay_alu instid0(VALU_DEP_2) | instskip(NEXT) | instid1(VALU_DEP_2)
	v_fma_f64 v[2:3], v[16:17], v[68:69], -v[2:3]
	v_fmac_f64_e32 v[38:39], v[18:19], v[68:69]
	s_delay_alu instid0(VALU_DEP_2) | instskip(NEXT) | instid1(VALU_DEP_2)
	v_add_f64_e32 v[12:13], v[12:13], v[2:3]
	v_add_f64_e32 v[14:15], v[14:15], v[38:39]
.LBB94_132:                             ;   in Loop: Header=BB94_3 Depth=1
	s_or_b32 exec_lo, exec_lo, s37
	s_barrier_signal -1
	s_barrier_wait -1
	s_and_saveexec_b32 s37, s71
	s_cbranch_execz .LBB94_134
; %bb.133:                              ;   in Loop: Header=BB94_3 Depth=1
	ds_load_b128 v[16:19], v1 offset:5808
	s_wait_dscnt 0x0
	v_mul_f64_e32 v[2:3], v[14:15], v[18:19]
	v_mul_f64_e32 v[70:71], v[12:13], v[18:19]
	s_delay_alu instid0(VALU_DEP_2) | instskip(NEXT) | instid1(VALU_DEP_2)
	v_fma_f64 v[68:69], v[12:13], v[16:17], -v[2:3]
	v_fmac_f64_e32 v[70:71], v[14:15], v[16:17]
	s_delay_alu instid0(VALU_DEP_2) | instskip(NEXT) | instid1(VALU_DEP_2)
	v_mov_b64_e32 v[12:13], v[68:69]
	v_mov_b64_e32 v[14:15], v[70:71]
	ds_store_b128 v21, v[68:71]
.LBB94_134:                             ;   in Loop: Header=BB94_3 Depth=1
	s_or_b32 exec_lo, exec_lo, s37
	s_wait_dscnt 0x0
	s_barrier_signal -1
	s_barrier_wait -1
	s_barrier_signal -1
	s_barrier_wait -1
	s_and_saveexec_b32 s37, s0
; %bb.135:                              ;   in Loop: Header=BB94_3 Depth=1
	s_delay_alu instid0(VALU_DEP_2) | instskip(NEXT) | instid1(VALU_DEP_2)
	v_xor_b32_e32 v13, 0x80000000, v13
	v_xor_b32_e32 v15, 0x80000000, v15
	ds_store_b128 v42, v[12:15] offset:4256
; %bb.136:                              ;   in Loop: Header=BB94_3 Depth=1
	s_or_b32 exec_lo, exec_lo, s37
	s_wait_dscnt 0x0
	s_barrier_signal -1
	s_barrier_wait -1
	s_barrier_signal -1
	s_barrier_wait -1
	s_and_saveexec_b32 s37, s10
	s_cbranch_execz .LBB94_138
; %bb.137:                              ;   in Loop: Header=BB94_3 Depth=1
	ds_load_b128 v[12:15], v1 offset:5808
	ds_load_b128 v[16:19], v1 offset:5280
	;; [unrolled: 1-line block ×3, first 2 shown]
	s_wait_dscnt 0x1
	v_mul_f64_e32 v[2:3], v[12:13], v[18:19]
	v_mul_f64_e32 v[18:19], v[14:15], v[18:19]
	s_delay_alu instid0(VALU_DEP_2) | instskip(NEXT) | instid1(VALU_DEP_2)
	v_fmac_f64_e32 v[2:3], v[14:15], v[16:17]
	v_fma_f64 v[12:13], v[12:13], v[16:17], -v[18:19]
	s_wait_dscnt 0x0
	s_delay_alu instid0(VALU_DEP_2) | instskip(NEXT) | instid1(VALU_DEP_2)
	v_mul_f64_e32 v[16:17], v[2:3], v[70:71]
	v_mul_f64_e32 v[14:15], v[12:13], v[70:71]
	s_delay_alu instid0(VALU_DEP_2) | instskip(NEXT) | instid1(VALU_DEP_2)
	v_fma_f64 v[12:13], v[68:69], v[12:13], -v[16:17]
	v_fmac_f64_e32 v[14:15], v[68:69], v[2:3]
	ds_store_b128 v1, v[12:15] offset:5296
.LBB94_138:                             ;   in Loop: Header=BB94_3 Depth=1
	s_or_b32 exec_lo, exec_lo, s37
	v_mov_b64_e32 v[14:15], 0
	v_mov_b64_e32 v[12:13], 0
	s_wait_dscnt 0x0
	s_barrier_signal -1
	s_barrier_wait -1
	s_and_saveexec_b32 s37, s1
	s_cbranch_execz .LBB94_144
; %bb.139:                              ;   in Loop: Header=BB94_3 Depth=1
	ds_load_b128 v[12:15], v45 offset:4224
	ds_load_b128 v[16:19], v48 offset:4288
	s_wait_dscnt 0x0
	v_mul_f64_e32 v[2:3], v[14:15], v[18:19]
	v_mul_f64_e32 v[18:19], v[12:13], v[18:19]
	s_delay_alu instid0(VALU_DEP_2) | instskip(NEXT) | instid1(VALU_DEP_2)
	v_fma_f64 v[2:3], v[12:13], v[16:17], -v[2:3]
	v_fmac_f64_e32 v[18:19], v[14:15], v[16:17]
	s_delay_alu instid0(VALU_DEP_2) | instskip(NEXT) | instid1(VALU_DEP_2)
	v_add_f64_e32 v[12:13], 0, v[2:3]
	v_add_f64_e32 v[14:15], 0, v[18:19]
	s_and_saveexec_b32 s62, s12
	s_cbranch_execnz .LBB94_528
; %bb.140:                              ;   in Loop: Header=BB94_3 Depth=1
	s_or_b32 exec_lo, exec_lo, s62
	s_and_saveexec_b32 s62, s13
	s_cbranch_execnz .LBB94_529
.LBB94_141:                             ;   in Loop: Header=BB94_3 Depth=1
	s_or_b32 exec_lo, exec_lo, s62
	s_and_saveexec_b32 s62, s0
	s_cbranch_execz .LBB94_143
.LBB94_142:                             ;   in Loop: Header=BB94_3 Depth=1
	ds_load_b128 v[16:19], v1 offset:4272
	ds_load_b128 v[68:71], v44 offset:5824
	s_wait_dscnt 0x0
	v_mul_f64_e32 v[2:3], v[18:19], v[70:71]
	v_mul_f64_e32 v[38:39], v[16:17], v[70:71]
	s_delay_alu instid0(VALU_DEP_2) | instskip(NEXT) | instid1(VALU_DEP_2)
	v_fma_f64 v[2:3], v[16:17], v[68:69], -v[2:3]
	v_fmac_f64_e32 v[38:39], v[18:19], v[68:69]
	s_delay_alu instid0(VALU_DEP_2) | instskip(NEXT) | instid1(VALU_DEP_2)
	v_add_f64_e32 v[12:13], v[12:13], v[2:3]
	v_add_f64_e32 v[14:15], v[14:15], v[38:39]
.LBB94_143:                             ;   in Loop: Header=BB94_3 Depth=1
	s_or_b32 exec_lo, exec_lo, s62
	s_delay_alu instid0(VALU_DEP_2) | instskip(NEXT) | instid1(VALU_DEP_2)
	v_xor_b32_e32 v13, 0x80000000, v13
	v_xor_b32_e32 v15, 0x80000000, v15
.LBB94_144:                             ;   in Loop: Header=BB94_3 Depth=1
	s_or_b32 exec_lo, exec_lo, s37
	s_and_saveexec_b32 s37, s72
	s_cbranch_execz .LBB94_146
; %bb.145:                              ;   in Loop: Header=BB94_3 Depth=1
	ds_load_b128 v[16:19], v1 offset:6336
	s_wait_dscnt 0x0
	v_mul_f64_e32 v[2:3], v[14:15], v[18:19]
	v_mul_f64_e32 v[70:71], v[12:13], v[18:19]
	s_delay_alu instid0(VALU_DEP_2) | instskip(NEXT) | instid1(VALU_DEP_2)
	v_fma_f64 v[68:69], v[12:13], v[16:17], -v[2:3]
	v_fmac_f64_e32 v[70:71], v[14:15], v[16:17]
	s_delay_alu instid0(VALU_DEP_2) | instskip(NEXT) | instid1(VALU_DEP_2)
	v_mov_b64_e32 v[12:13], v[68:69]
	v_mov_b64_e32 v[14:15], v[70:71]
	ds_store_b128 v47, v[68:71]
.LBB94_146:                             ;   in Loop: Header=BB94_3 Depth=1
	s_or_b32 exec_lo, exec_lo, s37
	s_wait_dscnt 0x0
	s_barrier_signal -1
	s_barrier_wait -1
	s_and_saveexec_b32 s37, s73
	s_cbranch_execz .LBB94_148
; %bb.147:                              ;   in Loop: Header=BB94_3 Depth=1
	ds_load_b128 v[16:19], v47
	ds_load_b128 v[68:71], v46 offset:6336
	s_wait_dscnt 0x0
	v_mul_f64_e32 v[2:3], v[18:19], v[70:71]
	v_mul_f64_e32 v[38:39], v[16:17], v[70:71]
	s_delay_alu instid0(VALU_DEP_2) | instskip(NEXT) | instid1(VALU_DEP_2)
	v_fma_f64 v[2:3], v[16:17], v[68:69], -v[2:3]
	v_fmac_f64_e32 v[38:39], v[18:19], v[68:69]
	s_delay_alu instid0(VALU_DEP_2) | instskip(NEXT) | instid1(VALU_DEP_2)
	v_add_f64_e32 v[12:13], v[12:13], v[2:3]
	v_add_f64_e32 v[14:15], v[14:15], v[38:39]
.LBB94_148:                             ;   in Loop: Header=BB94_3 Depth=1
	s_or_b32 exec_lo, exec_lo, s37
	s_barrier_signal -1
	s_barrier_wait -1
	s_and_saveexec_b32 s37, s74
	s_cbranch_execz .LBB94_150
; %bb.149:                              ;   in Loop: Header=BB94_3 Depth=1
	ds_load_b128 v[16:19], v1 offset:6864
	s_wait_dscnt 0x0
	v_mul_f64_e32 v[2:3], v[14:15], v[18:19]
	v_mul_f64_e32 v[70:71], v[12:13], v[18:19]
	s_delay_alu instid0(VALU_DEP_2) | instskip(NEXT) | instid1(VALU_DEP_2)
	v_fma_f64 v[68:69], v[12:13], v[16:17], -v[2:3]
	v_fmac_f64_e32 v[70:71], v[14:15], v[16:17]
	s_delay_alu instid0(VALU_DEP_2) | instskip(NEXT) | instid1(VALU_DEP_2)
	v_mov_b64_e32 v[12:13], v[68:69]
	v_mov_b64_e32 v[14:15], v[70:71]
	ds_store_b128 v47, v[68:71]
.LBB94_150:                             ;   in Loop: Header=BB94_3 Depth=1
	s_or_b32 exec_lo, exec_lo, s37
	s_wait_dscnt 0x0
	s_barrier_signal -1
	s_barrier_wait -1
	s_and_saveexec_b32 s37, s75
	s_cbranch_execz .LBB94_152
; %bb.151:                              ;   in Loop: Header=BB94_3 Depth=1
	ds_load_b128 v[16:19], v47
	ds_load_b128 v[68:71], v46 offset:6848
	s_wait_dscnt 0x0
	v_mul_f64_e32 v[2:3], v[18:19], v[70:71]
	v_mul_f64_e32 v[38:39], v[16:17], v[70:71]
	s_delay_alu instid0(VALU_DEP_2) | instskip(NEXT) | instid1(VALU_DEP_2)
	v_fma_f64 v[2:3], v[16:17], v[68:69], -v[2:3]
	v_fmac_f64_e32 v[38:39], v[18:19], v[68:69]
	s_delay_alu instid0(VALU_DEP_2) | instskip(NEXT) | instid1(VALU_DEP_2)
	v_add_f64_e32 v[12:13], v[12:13], v[2:3]
	v_add_f64_e32 v[14:15], v[14:15], v[38:39]
.LBB94_152:                             ;   in Loop: Header=BB94_3 Depth=1
	s_or_b32 exec_lo, exec_lo, s37
	s_barrier_signal -1
	s_barrier_wait -1
	;; [unrolled: 37-line block ×3, first 2 shown]
	s_and_saveexec_b32 s37, s77
	s_cbranch_execz .LBB94_158
; %bb.157:                              ;   in Loop: Header=BB94_3 Depth=1
	ds_load_b128 v[16:19], v1 offset:7920
	s_wait_dscnt 0x0
	v_mul_f64_e32 v[2:3], v[14:15], v[18:19]
	v_mul_f64_e32 v[70:71], v[12:13], v[18:19]
	s_delay_alu instid0(VALU_DEP_2) | instskip(NEXT) | instid1(VALU_DEP_2)
	v_fma_f64 v[68:69], v[12:13], v[16:17], -v[2:3]
	v_fmac_f64_e32 v[70:71], v[14:15], v[16:17]
	s_delay_alu instid0(VALU_DEP_2) | instskip(NEXT) | instid1(VALU_DEP_2)
	v_mov_b64_e32 v[12:13], v[68:69]
	v_mov_b64_e32 v[14:15], v[70:71]
	ds_store_b128 v47, v[68:71]
.LBB94_158:                             ;   in Loop: Header=BB94_3 Depth=1
	s_or_b32 exec_lo, exec_lo, s37
	s_wait_dscnt 0x0
	s_barrier_signal -1
	s_barrier_wait -1
	s_barrier_signal -1
	s_barrier_wait -1
	s_and_saveexec_b32 s37, s1
; %bb.159:                              ;   in Loop: Header=BB94_3 Depth=1
	s_delay_alu instid0(VALU_DEP_1) | instskip(NEXT) | instid1(VALU_DEP_3)
	v_xor_b32_e32 v15, 0x80000000, v15
	v_xor_b32_e32 v13, 0x80000000, v13
	ds_store_b128 v48, v[12:15] offset:4288
; %bb.160:                              ;   in Loop: Header=BB94_3 Depth=1
	s_or_b32 exec_lo, exec_lo, s37
	s_wait_dscnt 0x0
	s_barrier_signal -1
	s_barrier_wait -1
	s_barrier_signal -1
	s_barrier_wait -1
	s_and_saveexec_b32 s37, s10
	s_cbranch_execz .LBB94_162
; %bb.161:                              ;   in Loop: Header=BB94_3 Depth=1
	ds_load_b128 v[12:15], v1 offset:6864
	ds_load_b128 v[16:19], v1 offset:6336
	;; [unrolled: 1-line block ×3, first 2 shown]
	s_wait_dscnt 0x1
	v_mul_f64_e32 v[2:3], v[12:13], v[18:19]
	v_mul_f64_e32 v[18:19], v[14:15], v[18:19]
	s_delay_alu instid0(VALU_DEP_2) | instskip(NEXT) | instid1(VALU_DEP_2)
	v_fmac_f64_e32 v[2:3], v[14:15], v[16:17]
	v_fma_f64 v[12:13], v[12:13], v[16:17], -v[18:19]
	s_wait_dscnt 0x0
	s_delay_alu instid0(VALU_DEP_2) | instskip(NEXT) | instid1(VALU_DEP_2)
	v_mul_f64_e32 v[16:17], v[2:3], v[70:71]
	v_mul_f64_e32 v[14:15], v[12:13], v[70:71]
	s_delay_alu instid0(VALU_DEP_2) | instskip(NEXT) | instid1(VALU_DEP_2)
	v_fma_f64 v[12:13], v[68:69], v[12:13], -v[16:17]
	v_fmac_f64_e32 v[14:15], v[68:69], v[2:3]
	ds_store_b128 v1, v[12:15] offset:6352
.LBB94_162:                             ;   in Loop: Header=BB94_3 Depth=1
	s_or_b32 exec_lo, exec_lo, s37
	v_mov_b64_e32 v[14:15], 0
	v_mov_b64_e32 v[12:13], 0
	s_wait_dscnt 0x0
	s_barrier_signal -1
	s_barrier_wait -1
	s_and_saveexec_b32 s37, s0
	s_cbranch_execz .LBB94_166
; %bb.163:                              ;   in Loop: Header=BB94_3 Depth=1
	ds_load_b128 v[12:15], v43 offset:6336
	ds_load_b128 v[16:19], v42 offset:6368
	s_wait_dscnt 0x0
	v_mul_f64_e32 v[2:3], v[14:15], v[18:19]
	v_mul_f64_e32 v[18:19], v[12:13], v[18:19]
	s_delay_alu instid0(VALU_DEP_2) | instskip(NEXT) | instid1(VALU_DEP_2)
	v_fma_f64 v[2:3], v[12:13], v[16:17], -v[2:3]
	v_fmac_f64_e32 v[18:19], v[14:15], v[16:17]
	s_delay_alu instid0(VALU_DEP_2) | instskip(NEXT) | instid1(VALU_DEP_2)
	v_add_f64_e32 v[12:13], 0, v[2:3]
	v_add_f64_e32 v[14:15], 0, v[18:19]
	s_and_saveexec_b32 s62, s11
	s_cbranch_execz .LBB94_165
; %bb.164:                              ;   in Loop: Header=BB94_3 Depth=1
	ds_load_b128 v[16:19], v1 offset:6352
	ds_load_b128 v[68:71], v44 offset:6880
	s_wait_dscnt 0x0
	v_mul_f64_e32 v[2:3], v[18:19], v[70:71]
	v_mul_f64_e32 v[38:39], v[16:17], v[70:71]
	s_delay_alu instid0(VALU_DEP_2) | instskip(NEXT) | instid1(VALU_DEP_2)
	v_fma_f64 v[2:3], v[16:17], v[68:69], -v[2:3]
	v_fmac_f64_e32 v[38:39], v[18:19], v[68:69]
	s_delay_alu instid0(VALU_DEP_2) | instskip(NEXT) | instid1(VALU_DEP_2)
	v_add_f64_e32 v[12:13], v[12:13], v[2:3]
	v_add_f64_e32 v[14:15], v[14:15], v[38:39]
.LBB94_165:                             ;   in Loop: Header=BB94_3 Depth=1
	s_or_b32 exec_lo, exec_lo, s62
	s_delay_alu instid0(VALU_DEP_2) | instskip(NEXT) | instid1(VALU_DEP_2)
	v_xor_b32_e32 v13, 0x80000000, v13
	v_xor_b32_e32 v15, 0x80000000, v15
.LBB94_166:                             ;   in Loop: Header=BB94_3 Depth=1
	s_or_b32 exec_lo, exec_lo, s37
	s_and_saveexec_b32 s37, s70
	s_cbranch_execz .LBB94_168
; %bb.167:                              ;   in Loop: Header=BB94_3 Depth=1
	ds_load_b128 v[16:19], v1 offset:7392
	s_wait_dscnt 0x0
	v_mul_f64_e32 v[2:3], v[14:15], v[18:19]
	v_mul_f64_e32 v[70:71], v[12:13], v[18:19]
	s_delay_alu instid0(VALU_DEP_2) | instskip(NEXT) | instid1(VALU_DEP_2)
	v_fma_f64 v[68:69], v[12:13], v[16:17], -v[2:3]
	v_fmac_f64_e32 v[70:71], v[14:15], v[16:17]
	s_delay_alu instid0(VALU_DEP_2) | instskip(NEXT) | instid1(VALU_DEP_2)
	v_mov_b64_e32 v[12:13], v[68:69]
	v_mov_b64_e32 v[14:15], v[70:71]
	ds_store_b128 v21, v[68:71]
.LBB94_168:                             ;   in Loop: Header=BB94_3 Depth=1
	s_or_b32 exec_lo, exec_lo, s37
	s_wait_dscnt 0x0
	s_barrier_signal -1
	s_barrier_wait -1
	s_and_saveexec_b32 s37, s71
	s_cbranch_execz .LBB94_170
; %bb.169:                              ;   in Loop: Header=BB94_3 Depth=1
	ds_load_b128 v[16:19], v21
	ds_load_b128 v[68:71], v1 offset:7408
	s_wait_dscnt 0x0
	v_mul_f64_e32 v[2:3], v[18:19], v[70:71]
	v_mul_f64_e32 v[38:39], v[16:17], v[70:71]
	s_delay_alu instid0(VALU_DEP_2) | instskip(NEXT) | instid1(VALU_DEP_2)
	v_fma_f64 v[2:3], v[16:17], v[68:69], -v[2:3]
	v_fmac_f64_e32 v[38:39], v[18:19], v[68:69]
	s_delay_alu instid0(VALU_DEP_2) | instskip(NEXT) | instid1(VALU_DEP_2)
	v_add_f64_e32 v[12:13], v[12:13], v[2:3]
	v_add_f64_e32 v[14:15], v[14:15], v[38:39]
.LBB94_170:                             ;   in Loop: Header=BB94_3 Depth=1
	s_or_b32 exec_lo, exec_lo, s37
	s_barrier_signal -1
	s_barrier_wait -1
	s_and_saveexec_b32 s37, s71
	s_cbranch_execz .LBB94_172
; %bb.171:                              ;   in Loop: Header=BB94_3 Depth=1
	ds_load_b128 v[16:19], v1 offset:7920
	s_wait_dscnt 0x0
	v_mul_f64_e32 v[2:3], v[14:15], v[18:19]
	v_mul_f64_e32 v[70:71], v[12:13], v[18:19]
	s_delay_alu instid0(VALU_DEP_2) | instskip(NEXT) | instid1(VALU_DEP_2)
	v_fma_f64 v[68:69], v[12:13], v[16:17], -v[2:3]
	v_fmac_f64_e32 v[70:71], v[14:15], v[16:17]
	s_delay_alu instid0(VALU_DEP_2) | instskip(NEXT) | instid1(VALU_DEP_2)
	v_mov_b64_e32 v[12:13], v[68:69]
	v_mov_b64_e32 v[14:15], v[70:71]
	ds_store_b128 v21, v[68:71]
.LBB94_172:                             ;   in Loop: Header=BB94_3 Depth=1
	s_or_b32 exec_lo, exec_lo, s37
	s_wait_dscnt 0x0
	s_barrier_signal -1
	s_barrier_wait -1
	s_barrier_signal -1
	s_barrier_wait -1
	s_and_saveexec_b32 s37, s0
; %bb.173:                              ;   in Loop: Header=BB94_3 Depth=1
	s_delay_alu instid0(VALU_DEP_2) | instskip(NEXT) | instid1(VALU_DEP_2)
	v_xor_b32_e32 v13, 0x80000000, v13
	v_xor_b32_e32 v15, 0x80000000, v15
	ds_store_b128 v42, v[12:15] offset:6368
; %bb.174:                              ;   in Loop: Header=BB94_3 Depth=1
	s_or_b32 exec_lo, exec_lo, s37
	s_wait_dscnt 0x0
	s_barrier_signal -1
	s_barrier_wait -1
	s_barrier_signal -1
	s_barrier_wait -1
	s_and_saveexec_b32 s37, s10
	s_cbranch_execz .LBB94_176
; %bb.175:                              ;   in Loop: Header=BB94_3 Depth=1
	ds_load_b128 v[12:15], v1 offset:7920
	ds_load_b128 v[16:19], v1 offset:7392
	;; [unrolled: 1-line block ×3, first 2 shown]
	s_wait_dscnt 0x1
	v_mul_f64_e32 v[2:3], v[12:13], v[18:19]
	v_mul_f64_e32 v[18:19], v[14:15], v[18:19]
	s_delay_alu instid0(VALU_DEP_2) | instskip(NEXT) | instid1(VALU_DEP_2)
	v_fmac_f64_e32 v[2:3], v[14:15], v[16:17]
	v_fma_f64 v[12:13], v[12:13], v[16:17], -v[18:19]
	s_wait_dscnt 0x0
	s_delay_alu instid0(VALU_DEP_2) | instskip(NEXT) | instid1(VALU_DEP_2)
	v_mul_f64_e32 v[16:17], v[2:3], v[70:71]
	v_mul_f64_e32 v[14:15], v[12:13], v[70:71]
	s_delay_alu instid0(VALU_DEP_2) | instskip(NEXT) | instid1(VALU_DEP_2)
	v_fma_f64 v[12:13], v[68:69], v[12:13], -v[16:17]
	v_fmac_f64_e32 v[14:15], v[68:69], v[2:3]
	ds_store_b128 v1, v[12:15] offset:7408
.LBB94_176:                             ;   in Loop: Header=BB94_3 Depth=1
	s_or_b32 exec_lo, exec_lo, s37
	v_mov_b64_e32 v[14:15], 0
	v_mov_b64_e32 v[12:13], 0
	s_wait_dscnt 0x0
	s_barrier_signal -1
	s_barrier_wait -1
	s_and_saveexec_b32 s37, s3
	s_cbranch_execz .LBB94_204
; %bb.177:                              ;   in Loop: Header=BB94_3 Depth=1
	v_add_nc_u32_e32 v0, v56, v55
	ds_load_b128 v[12:15], v59 offset:256
	ds_load_b128 v[16:19], v0
	s_wait_dscnt 0x0
	v_mul_f64_e32 v[2:3], v[18:19], v[14:15]
	v_mul_f64_e32 v[14:15], v[16:17], v[14:15]
	s_delay_alu instid0(VALU_DEP_2) | instskip(NEXT) | instid1(VALU_DEP_2)
	v_fma_f64 v[2:3], v[16:17], v[12:13], -v[2:3]
	v_fmac_f64_e32 v[14:15], v[18:19], v[12:13]
	s_delay_alu instid0(VALU_DEP_2) | instskip(NEXT) | instid1(VALU_DEP_2)
	v_add_f64_e32 v[12:13], 0, v[2:3]
	v_add_f64_e32 v[14:15], 0, v[14:15]
	s_mov_b32 s62, exec_lo
	v_readlane_b32 s63, v76, 17
	s_and_b32 s63, s62, s63
	s_delay_alu instid0(SALU_CYCLE_1)
	s_mov_b32 exec_lo, s63
	s_cbranch_execz .LBB94_179
; %bb.178:                              ;   in Loop: Header=BB94_3 Depth=1
	ds_load_b128 v[16:19], v0 offset:16
	ds_load_b128 v[68:71], v59 offset:768
	s_wait_dscnt 0x0
	v_mul_f64_e32 v[2:3], v[18:19], v[70:71]
	v_mul_f64_e32 v[38:39], v[16:17], v[70:71]
	s_delay_alu instid0(VALU_DEP_2) | instskip(NEXT) | instid1(VALU_DEP_2)
	v_fma_f64 v[2:3], v[16:17], v[68:69], -v[2:3]
	v_fmac_f64_e32 v[38:39], v[18:19], v[68:69]
	s_delay_alu instid0(VALU_DEP_2) | instskip(NEXT) | instid1(VALU_DEP_2)
	v_add_f64_e32 v[12:13], v[12:13], v[2:3]
	v_add_f64_e32 v[14:15], v[14:15], v[38:39]
.LBB94_179:                             ;   in Loop: Header=BB94_3 Depth=1
	s_or_b32 exec_lo, exec_lo, s62
	s_delay_alu instid0(SALU_CYCLE_1) | instskip(SKIP_2) | instid1(SALU_CYCLE_1)
	s_mov_b32 s62, exec_lo
	v_readlane_b32 s63, v76, 18
	s_and_b32 s63, s62, s63
	s_mov_b32 exec_lo, s63
	s_cbranch_execz .LBB94_181
; %bb.180:                              ;   in Loop: Header=BB94_3 Depth=1
	ds_load_b128 v[16:19], v0 offset:32
	ds_load_b128 v[68:71], v59 offset:1280
	s_wait_dscnt 0x0
	v_mul_f64_e32 v[2:3], v[18:19], v[70:71]
	v_mul_f64_e32 v[38:39], v[16:17], v[70:71]
	s_delay_alu instid0(VALU_DEP_2) | instskip(NEXT) | instid1(VALU_DEP_2)
	v_fma_f64 v[2:3], v[16:17], v[68:69], -v[2:3]
	v_fmac_f64_e32 v[38:39], v[18:19], v[68:69]
	s_delay_alu instid0(VALU_DEP_2) | instskip(NEXT) | instid1(VALU_DEP_2)
	v_add_f64_e32 v[12:13], v[12:13], v[2:3]
	v_add_f64_e32 v[14:15], v[14:15], v[38:39]
.LBB94_181:                             ;   in Loop: Header=BB94_3 Depth=1
	s_or_b32 exec_lo, exec_lo, s62
	s_delay_alu instid0(SALU_CYCLE_1) | instskip(SKIP_2) | instid1(SALU_CYCLE_1)
	s_mov_b32 s62, exec_lo
	v_readlane_b32 s63, v76, 19
	s_and_b32 s63, s62, s63
	;; [unrolled: 20-line block ×10, first 2 shown]
	s_mov_b32 exec_lo, s63
	s_cbranch_execnz .LBB94_530
; %bb.198:                              ;   in Loop: Header=BB94_3 Depth=1
	s_or_b32 exec_lo, exec_lo, s62
	s_and_saveexec_b32 s62, s2
	s_cbranch_execnz .LBB94_531
.LBB94_199:                             ;   in Loop: Header=BB94_3 Depth=1
	s_or_b32 exec_lo, exec_lo, s62
	s_and_saveexec_b32 s62, s15
	s_cbranch_execnz .LBB94_532
.LBB94_200:                             ;   in Loop: Header=BB94_3 Depth=1
	s_or_b32 exec_lo, exec_lo, s62
	s_and_saveexec_b32 s62, s17
	s_cbranch_execnz .LBB94_533
.LBB94_201:                             ;   in Loop: Header=BB94_3 Depth=1
	s_or_b32 exec_lo, exec_lo, s62
	s_and_saveexec_b32 s62, s1
	s_cbranch_execz .LBB94_203
.LBB94_202:                             ;   in Loop: Header=BB94_3 Depth=1
	ds_load_b128 v[16:19], v1 offset:240
	ds_load_b128 v[68:71], v44 offset:7936
	s_wait_dscnt 0x0
	v_mul_f64_e32 v[2:3], v[18:19], v[70:71]
	v_mul_f64_e32 v[38:39], v[16:17], v[70:71]
	s_delay_alu instid0(VALU_DEP_2) | instskip(NEXT) | instid1(VALU_DEP_2)
	v_fma_f64 v[2:3], v[16:17], v[68:69], -v[2:3]
	v_fmac_f64_e32 v[38:39], v[18:19], v[68:69]
	s_delay_alu instid0(VALU_DEP_2) | instskip(NEXT) | instid1(VALU_DEP_2)
	v_add_f64_e32 v[12:13], v[12:13], v[2:3]
	v_add_f64_e32 v[14:15], v[14:15], v[38:39]
.LBB94_203:                             ;   in Loop: Header=BB94_3 Depth=1
	s_or_b32 exec_lo, exec_lo, s62
	s_delay_alu instid0(VALU_DEP_2) | instskip(NEXT) | instid1(VALU_DEP_2)
	v_xor_b32_e32 v13, 0x80000000, v13
	v_xor_b32_e32 v15, 0x80000000, v15
.LBB94_204:                             ;   in Loop: Header=BB94_3 Depth=1
	s_or_b32 exec_lo, exec_lo, s37
	s_delay_alu instid0(SALU_CYCLE_1) | instskip(SKIP_2) | instid1(SALU_CYCLE_1)
	s_mov_b32 s37, exec_lo
	v_readlane_b32 s62, v76, 0
	s_and_b32 s62, s37, s62
	s_mov_b32 exec_lo, s62
	s_cbranch_execz .LBB94_206
; %bb.205:                              ;   in Loop: Header=BB94_3 Depth=1
	ds_load_b128 v[16:19], v1 offset:8448
	s_wait_dscnt 0x0
	v_mul_f64_e32 v[2:3], v[14:15], v[18:19]
	v_mul_f64_e32 v[70:71], v[12:13], v[18:19]
	s_delay_alu instid0(VALU_DEP_2) | instskip(NEXT) | instid1(VALU_DEP_2)
	v_fma_f64 v[68:69], v[12:13], v[16:17], -v[2:3]
	v_fmac_f64_e32 v[70:71], v[14:15], v[16:17]
	s_delay_alu instid0(VALU_DEP_2) | instskip(NEXT) | instid1(VALU_DEP_2)
	v_mov_b64_e32 v[12:13], v[68:69]
	v_mov_b64_e32 v[14:15], v[70:71]
	ds_store_b128 v58, v[68:71]
.LBB94_206:                             ;   in Loop: Header=BB94_3 Depth=1
	s_or_b32 exec_lo, exec_lo, s37
	s_wait_dscnt 0x0
	s_barrier_signal -1
	s_barrier_wait -1
	s_mov_b32 s37, exec_lo
	v_readlane_b32 s62, v76, 1
	s_and_b32 s62, s37, s62
	s_delay_alu instid0(SALU_CYCLE_1)
	s_mov_b32 exec_lo, s62
	s_cbranch_execz .LBB94_208
; %bb.207:                              ;   in Loop: Header=BB94_3 Depth=1
	ds_load_b128 v[16:19], v58
	ds_load_b128 v[68:71], v57 offset:8448
	s_wait_dscnt 0x0
	v_mul_f64_e32 v[2:3], v[18:19], v[70:71]
	v_mul_f64_e32 v[38:39], v[16:17], v[70:71]
	s_delay_alu instid0(VALU_DEP_2) | instskip(NEXT) | instid1(VALU_DEP_2)
	v_fma_f64 v[2:3], v[16:17], v[68:69], -v[2:3]
	v_fmac_f64_e32 v[38:39], v[18:19], v[68:69]
	s_delay_alu instid0(VALU_DEP_2) | instskip(NEXT) | instid1(VALU_DEP_2)
	v_add_f64_e32 v[12:13], v[12:13], v[2:3]
	v_add_f64_e32 v[14:15], v[14:15], v[38:39]
.LBB94_208:                             ;   in Loop: Header=BB94_3 Depth=1
	s_or_b32 exec_lo, exec_lo, s37
	s_barrier_signal -1
	s_barrier_wait -1
	s_mov_b32 s37, exec_lo
	v_readlane_b32 s62, v76, 2
	s_and_b32 s62, s37, s62
	s_delay_alu instid0(SALU_CYCLE_1)
	s_mov_b32 exec_lo, s62
	s_cbranch_execz .LBB94_210
; %bb.209:                              ;   in Loop: Header=BB94_3 Depth=1
	ds_load_b128 v[16:19], v1 offset:8976
	s_wait_dscnt 0x0
	v_mul_f64_e32 v[2:3], v[14:15], v[18:19]
	v_mul_f64_e32 v[70:71], v[12:13], v[18:19]
	s_delay_alu instid0(VALU_DEP_2) | instskip(NEXT) | instid1(VALU_DEP_2)
	v_fma_f64 v[68:69], v[12:13], v[16:17], -v[2:3]
	v_fmac_f64_e32 v[70:71], v[14:15], v[16:17]
	s_delay_alu instid0(VALU_DEP_2) | instskip(NEXT) | instid1(VALU_DEP_2)
	v_mov_b64_e32 v[12:13], v[68:69]
	v_mov_b64_e32 v[14:15], v[70:71]
	ds_store_b128 v58, v[68:71]
.LBB94_210:                             ;   in Loop: Header=BB94_3 Depth=1
	s_or_b32 exec_lo, exec_lo, s37
	s_wait_dscnt 0x0
	s_barrier_signal -1
	s_barrier_wait -1
	s_mov_b32 s37, exec_lo
	v_readlane_b32 s62, v76, 3
	s_and_b32 s62, s37, s62
	s_delay_alu instid0(SALU_CYCLE_1)
	s_mov_b32 exec_lo, s62
	s_cbranch_execz .LBB94_212
; %bb.211:                              ;   in Loop: Header=BB94_3 Depth=1
	ds_load_b128 v[16:19], v58
	ds_load_b128 v[68:71], v57 offset:8960
	s_wait_dscnt 0x0
	v_mul_f64_e32 v[2:3], v[18:19], v[70:71]
	v_mul_f64_e32 v[38:39], v[16:17], v[70:71]
	s_delay_alu instid0(VALU_DEP_2) | instskip(NEXT) | instid1(VALU_DEP_2)
	v_fma_f64 v[2:3], v[16:17], v[68:69], -v[2:3]
	v_fmac_f64_e32 v[38:39], v[18:19], v[68:69]
	s_delay_alu instid0(VALU_DEP_2) | instskip(NEXT) | instid1(VALU_DEP_2)
	v_add_f64_e32 v[12:13], v[12:13], v[2:3]
	v_add_f64_e32 v[14:15], v[14:15], v[38:39]
.LBB94_212:                             ;   in Loop: Header=BB94_3 Depth=1
	s_or_b32 exec_lo, exec_lo, s37
	s_barrier_signal -1
	s_barrier_wait -1
	s_mov_b32 s37, exec_lo
	v_readlane_b32 s62, v76, 4
	s_and_b32 s62, s37, s62
	s_delay_alu instid0(SALU_CYCLE_1)
	;; [unrolled: 45-line block ×5, first 2 shown]
	s_mov_b32 exec_lo, s62
	s_cbranch_execz .LBB94_226
; %bb.225:                              ;   in Loop: Header=BB94_3 Depth=1
	ds_load_b128 v[16:19], v1 offset:11088
	s_wait_dscnt 0x0
	v_mul_f64_e32 v[2:3], v[14:15], v[18:19]
	v_mul_f64_e32 v[70:71], v[12:13], v[18:19]
	s_delay_alu instid0(VALU_DEP_2) | instskip(NEXT) | instid1(VALU_DEP_2)
	v_fma_f64 v[68:69], v[12:13], v[16:17], -v[2:3]
	v_fmac_f64_e32 v[70:71], v[14:15], v[16:17]
	s_delay_alu instid0(VALU_DEP_2) | instskip(NEXT) | instid1(VALU_DEP_2)
	v_mov_b64_e32 v[12:13], v[68:69]
	v_mov_b64_e32 v[14:15], v[70:71]
	ds_store_b128 v58, v[68:71]
.LBB94_226:                             ;   in Loop: Header=BB94_3 Depth=1
	s_or_b32 exec_lo, exec_lo, s37
	s_wait_dscnt 0x0
	s_barrier_signal -1
	s_barrier_wait -1
	s_mov_b32 s37, exec_lo
	v_readlane_b32 s62, v76, 11
	s_and_b32 s62, s37, s62
	s_delay_alu instid0(SALU_CYCLE_1)
	s_mov_b32 exec_lo, s62
	s_cbranch_execz .LBB94_228
; %bb.227:                              ;   in Loop: Header=BB94_3 Depth=1
	ds_load_b128 v[16:19], v58
	ds_load_b128 v[68:71], v57 offset:11008
	s_wait_dscnt 0x0
	v_mul_f64_e32 v[2:3], v[18:19], v[70:71]
	v_mul_f64_e32 v[38:39], v[16:17], v[70:71]
	s_delay_alu instid0(VALU_DEP_2) | instskip(NEXT) | instid1(VALU_DEP_2)
	v_fma_f64 v[2:3], v[16:17], v[68:69], -v[2:3]
	v_fmac_f64_e32 v[38:39], v[18:19], v[68:69]
	s_delay_alu instid0(VALU_DEP_2) | instskip(NEXT) | instid1(VALU_DEP_2)
	v_add_f64_e32 v[12:13], v[12:13], v[2:3]
	v_add_f64_e32 v[14:15], v[14:15], v[38:39]
.LBB94_228:                             ;   in Loop: Header=BB94_3 Depth=1
	s_or_b32 exec_lo, exec_lo, s37
	s_barrier_signal -1
	s_barrier_wait -1
	s_and_saveexec_b32 s37, s104
	s_cbranch_execz .LBB94_230
; %bb.229:                              ;   in Loop: Header=BB94_3 Depth=1
	ds_load_b128 v[16:19], v1 offset:11616
	s_wait_dscnt 0x0
	v_mul_f64_e32 v[2:3], v[14:15], v[18:19]
	v_mul_f64_e32 v[70:71], v[12:13], v[18:19]
	s_delay_alu instid0(VALU_DEP_2) | instskip(NEXT) | instid1(VALU_DEP_2)
	v_fma_f64 v[68:69], v[12:13], v[16:17], -v[2:3]
	v_fmac_f64_e32 v[70:71], v[14:15], v[16:17]
	s_delay_alu instid0(VALU_DEP_2) | instskip(NEXT) | instid1(VALU_DEP_2)
	v_mov_b64_e32 v[12:13], v[68:69]
	v_mov_b64_e32 v[14:15], v[70:71]
	ds_store_b128 v58, v[68:71]
.LBB94_230:                             ;   in Loop: Header=BB94_3 Depth=1
	s_or_b32 exec_lo, exec_lo, s37
	s_wait_dscnt 0x0
	s_barrier_signal -1
	s_barrier_wait -1
	s_and_saveexec_b32 s37, vcc_hi
	s_cbranch_execz .LBB94_232
; %bb.231:                              ;   in Loop: Header=BB94_3 Depth=1
	ds_load_b128 v[16:19], v58
	ds_load_b128 v[68:71], v57 offset:11520
	s_wait_dscnt 0x0
	v_mul_f64_e32 v[2:3], v[18:19], v[70:71]
	v_mul_f64_e32 v[38:39], v[16:17], v[70:71]
	s_delay_alu instid0(VALU_DEP_2) | instskip(NEXT) | instid1(VALU_DEP_2)
	v_fma_f64 v[2:3], v[16:17], v[68:69], -v[2:3]
	v_fmac_f64_e32 v[38:39], v[18:19], v[68:69]
	s_delay_alu instid0(VALU_DEP_2) | instskip(NEXT) | instid1(VALU_DEP_2)
	v_add_f64_e32 v[12:13], v[12:13], v[2:3]
	v_add_f64_e32 v[14:15], v[14:15], v[38:39]
.LBB94_232:                             ;   in Loop: Header=BB94_3 Depth=1
	s_or_b32 exec_lo, exec_lo, s37
	s_barrier_signal -1
	s_barrier_wait -1
	s_and_saveexec_b32 s37, s19
	s_cbranch_execz .LBB94_234
; %bb.233:                              ;   in Loop: Header=BB94_3 Depth=1
	ds_load_b128 v[16:19], v1 offset:12144
	s_wait_dscnt 0x0
	v_mul_f64_e32 v[2:3], v[14:15], v[18:19]
	v_mul_f64_e32 v[70:71], v[12:13], v[18:19]
	s_delay_alu instid0(VALU_DEP_2) | instskip(NEXT) | instid1(VALU_DEP_2)
	v_fma_f64 v[68:69], v[12:13], v[16:17], -v[2:3]
	v_fmac_f64_e32 v[70:71], v[14:15], v[16:17]
	s_delay_alu instid0(VALU_DEP_2) | instskip(NEXT) | instid1(VALU_DEP_2)
	v_mov_b64_e32 v[12:13], v[68:69]
	v_mov_b64_e32 v[14:15], v[70:71]
	ds_store_b128 v58, v[68:71]
.LBB94_234:                             ;   in Loop: Header=BB94_3 Depth=1
	s_or_b32 exec_lo, exec_lo, s37
	s_wait_dscnt 0x0
	s_barrier_signal -1
	s_barrier_wait -1
	s_and_saveexec_b32 s37, s20
	s_cbranch_execz .LBB94_236
; %bb.235:                              ;   in Loop: Header=BB94_3 Depth=1
	ds_load_b128 v[16:19], v58
	ds_load_b128 v[68:71], v57 offset:12032
	s_wait_dscnt 0x0
	v_mul_f64_e32 v[2:3], v[18:19], v[70:71]
	v_mul_f64_e32 v[38:39], v[16:17], v[70:71]
	s_delay_alu instid0(VALU_DEP_2) | instskip(NEXT) | instid1(VALU_DEP_2)
	v_fma_f64 v[2:3], v[16:17], v[68:69], -v[2:3]
	v_fmac_f64_e32 v[38:39], v[18:19], v[68:69]
	s_delay_alu instid0(VALU_DEP_2) | instskip(NEXT) | instid1(VALU_DEP_2)
	v_add_f64_e32 v[12:13], v[12:13], v[2:3]
	v_add_f64_e32 v[14:15], v[14:15], v[38:39]
.LBB94_236:                             ;   in Loop: Header=BB94_3 Depth=1
	s_or_b32 exec_lo, exec_lo, s37
	s_barrier_signal -1
	s_barrier_wait -1
	s_and_saveexec_b32 s37, s21
	s_cbranch_execz .LBB94_238
; %bb.237:                              ;   in Loop: Header=BB94_3 Depth=1
	ds_load_b128 v[16:19], v1 offset:12672
	s_wait_dscnt 0x0
	v_mul_f64_e32 v[2:3], v[14:15], v[18:19]
	v_mul_f64_e32 v[70:71], v[12:13], v[18:19]
	s_delay_alu instid0(VALU_DEP_2) | instskip(NEXT) | instid1(VALU_DEP_2)
	v_fma_f64 v[68:69], v[12:13], v[16:17], -v[2:3]
	v_fmac_f64_e32 v[70:71], v[14:15], v[16:17]
	s_delay_alu instid0(VALU_DEP_2) | instskip(NEXT) | instid1(VALU_DEP_2)
	v_mov_b64_e32 v[12:13], v[68:69]
	v_mov_b64_e32 v[14:15], v[70:71]
	ds_store_b128 v58, v[68:71]
.LBB94_238:                             ;   in Loop: Header=BB94_3 Depth=1
	s_or_b32 exec_lo, exec_lo, s37
	s_wait_dscnt 0x0
	s_barrier_signal -1
	s_barrier_wait -1
	s_and_saveexec_b32 s37, s22
	;; [unrolled: 37-line block ×8, first 2 shown]
	s_cbranch_execz .LBB94_264
; %bb.263:                              ;   in Loop: Header=BB94_3 Depth=1
	ds_load_b128 v[16:19], v58
	ds_load_b128 v[68:71], v1 offset:15856
	s_wait_dscnt 0x0
	v_mul_f64_e32 v[2:3], v[18:19], v[70:71]
	v_mul_f64_e32 v[38:39], v[16:17], v[70:71]
	s_delay_alu instid0(VALU_DEP_2) | instskip(NEXT) | instid1(VALU_DEP_2)
	v_fma_f64 v[2:3], v[16:17], v[68:69], -v[2:3]
	v_fmac_f64_e32 v[38:39], v[18:19], v[68:69]
	s_delay_alu instid0(VALU_DEP_2) | instskip(NEXT) | instid1(VALU_DEP_2)
	v_add_f64_e32 v[12:13], v[12:13], v[2:3]
	v_add_f64_e32 v[14:15], v[14:15], v[38:39]
.LBB94_264:                             ;   in Loop: Header=BB94_3 Depth=1
	s_or_b32 exec_lo, exec_lo, s37
	s_barrier_signal -1
	s_barrier_wait -1
	s_and_saveexec_b32 s37, s94
	s_cbranch_execz .LBB94_266
; %bb.265:                              ;   in Loop: Header=BB94_3 Depth=1
	ds_load_b128 v[16:19], v1 offset:16368
	s_wait_dscnt 0x0
	v_mul_f64_e32 v[2:3], v[14:15], v[18:19]
	v_mul_f64_e32 v[70:71], v[12:13], v[18:19]
	s_delay_alu instid0(VALU_DEP_2) | instskip(NEXT) | instid1(VALU_DEP_2)
	v_fma_f64 v[68:69], v[12:13], v[16:17], -v[2:3]
	v_fmac_f64_e32 v[70:71], v[14:15], v[16:17]
	s_delay_alu instid0(VALU_DEP_2) | instskip(NEXT) | instid1(VALU_DEP_2)
	v_mov_b64_e32 v[12:13], v[68:69]
	v_mov_b64_e32 v[14:15], v[70:71]
	ds_store_b128 v58, v[68:71]
.LBB94_266:                             ;   in Loop: Header=BB94_3 Depth=1
	s_or_b32 exec_lo, exec_lo, s37
	s_wait_dscnt 0x0
	s_barrier_signal -1
	s_barrier_wait -1
	s_barrier_signal -1
	s_barrier_wait -1
	s_and_saveexec_b32 s37, s3
; %bb.267:                              ;   in Loop: Header=BB94_3 Depth=1
	s_delay_alu instid0(VALU_DEP_1) | instskip(NEXT) | instid1(VALU_DEP_3)
	v_xor_b32_e32 v15, 0x80000000, v15
	v_xor_b32_e32 v13, 0x80000000, v13
	ds_store_b128 v59, v[12:15] offset:256
; %bb.268:                              ;   in Loop: Header=BB94_3 Depth=1
	s_or_b32 exec_lo, exec_lo, s37
	s_wait_dscnt 0x0
	s_barrier_signal -1
	s_barrier_wait -1
	s_barrier_signal -1
	s_barrier_wait -1
	s_and_saveexec_b32 s37, s10
	s_cbranch_execz .LBB94_270
; %bb.269:                              ;   in Loop: Header=BB94_3 Depth=1
	ds_load_b128 v[12:15], v1 offset:8976
	ds_load_b128 v[16:19], v1 offset:8448
	;; [unrolled: 1-line block ×3, first 2 shown]
	s_wait_dscnt 0x1
	v_mul_f64_e32 v[2:3], v[12:13], v[18:19]
	v_mul_f64_e32 v[18:19], v[14:15], v[18:19]
	s_delay_alu instid0(VALU_DEP_2) | instskip(NEXT) | instid1(VALU_DEP_2)
	v_fmac_f64_e32 v[2:3], v[14:15], v[16:17]
	v_fma_f64 v[12:13], v[12:13], v[16:17], -v[18:19]
	s_wait_dscnt 0x0
	s_delay_alu instid0(VALU_DEP_2) | instskip(NEXT) | instid1(VALU_DEP_2)
	v_mul_f64_e32 v[16:17], v[2:3], v[70:71]
	v_mul_f64_e32 v[14:15], v[12:13], v[70:71]
	s_delay_alu instid0(VALU_DEP_2) | instskip(NEXT) | instid1(VALU_DEP_2)
	v_fma_f64 v[12:13], v[68:69], v[12:13], -v[16:17]
	v_fmac_f64_e32 v[14:15], v[68:69], v[2:3]
	ds_store_b128 v1, v[12:15] offset:8464
.LBB94_270:                             ;   in Loop: Header=BB94_3 Depth=1
	s_or_b32 exec_lo, exec_lo, s37
	v_mov_b64_e32 v[14:15], 0
	v_mov_b64_e32 v[12:13], 0
	s_wait_dscnt 0x0
	s_barrier_signal -1
	s_barrier_wait -1
	s_and_saveexec_b32 s37, s0
	s_cbranch_execz .LBB94_274
; %bb.271:                              ;   in Loop: Header=BB94_3 Depth=1
	ds_load_b128 v[12:15], v43 offset:8448
	ds_load_b128 v[16:19], v42 offset:8480
	s_wait_dscnt 0x0
	v_mul_f64_e32 v[2:3], v[14:15], v[18:19]
	v_mul_f64_e32 v[18:19], v[12:13], v[18:19]
	s_delay_alu instid0(VALU_DEP_2) | instskip(NEXT) | instid1(VALU_DEP_2)
	v_fma_f64 v[2:3], v[12:13], v[16:17], -v[2:3]
	v_fmac_f64_e32 v[18:19], v[14:15], v[16:17]
	s_delay_alu instid0(VALU_DEP_2) | instskip(NEXT) | instid1(VALU_DEP_2)
	v_add_f64_e32 v[12:13], 0, v[2:3]
	v_add_f64_e32 v[14:15], 0, v[18:19]
	s_and_saveexec_b32 s62, s11
	s_cbranch_execz .LBB94_273
; %bb.272:                              ;   in Loop: Header=BB94_3 Depth=1
	ds_load_b128 v[16:19], v1 offset:8464
	ds_load_b128 v[68:71], v44 offset:8992
	s_wait_dscnt 0x0
	v_mul_f64_e32 v[2:3], v[18:19], v[70:71]
	v_mul_f64_e32 v[38:39], v[16:17], v[70:71]
	s_delay_alu instid0(VALU_DEP_2) | instskip(NEXT) | instid1(VALU_DEP_2)
	v_fma_f64 v[2:3], v[16:17], v[68:69], -v[2:3]
	v_fmac_f64_e32 v[38:39], v[18:19], v[68:69]
	s_delay_alu instid0(VALU_DEP_2) | instskip(NEXT) | instid1(VALU_DEP_2)
	v_add_f64_e32 v[12:13], v[12:13], v[2:3]
	v_add_f64_e32 v[14:15], v[14:15], v[38:39]
.LBB94_273:                             ;   in Loop: Header=BB94_3 Depth=1
	s_or_b32 exec_lo, exec_lo, s62
	s_delay_alu instid0(VALU_DEP_2) | instskip(NEXT) | instid1(VALU_DEP_2)
	v_xor_b32_e32 v13, 0x80000000, v13
	v_xor_b32_e32 v15, 0x80000000, v15
.LBB94_274:                             ;   in Loop: Header=BB94_3 Depth=1
	s_or_b32 exec_lo, exec_lo, s37
	s_and_saveexec_b32 s37, s70
	s_cbranch_execz .LBB94_276
; %bb.275:                              ;   in Loop: Header=BB94_3 Depth=1
	ds_load_b128 v[16:19], v1 offset:9504
	s_wait_dscnt 0x0
	v_mul_f64_e32 v[2:3], v[14:15], v[18:19]
	v_mul_f64_e32 v[70:71], v[12:13], v[18:19]
	s_delay_alu instid0(VALU_DEP_2) | instskip(NEXT) | instid1(VALU_DEP_2)
	v_fma_f64 v[68:69], v[12:13], v[16:17], -v[2:3]
	v_fmac_f64_e32 v[70:71], v[14:15], v[16:17]
	s_delay_alu instid0(VALU_DEP_2) | instskip(NEXT) | instid1(VALU_DEP_2)
	v_mov_b64_e32 v[12:13], v[68:69]
	v_mov_b64_e32 v[14:15], v[70:71]
	ds_store_b128 v21, v[68:71]
.LBB94_276:                             ;   in Loop: Header=BB94_3 Depth=1
	s_or_b32 exec_lo, exec_lo, s37
	s_wait_dscnt 0x0
	s_barrier_signal -1
	s_barrier_wait -1
	s_and_saveexec_b32 s37, s71
	s_cbranch_execz .LBB94_278
; %bb.277:                              ;   in Loop: Header=BB94_3 Depth=1
	ds_load_b128 v[16:19], v21
	ds_load_b128 v[68:71], v1 offset:9520
	s_wait_dscnt 0x0
	v_mul_f64_e32 v[2:3], v[18:19], v[70:71]
	v_mul_f64_e32 v[38:39], v[16:17], v[70:71]
	s_delay_alu instid0(VALU_DEP_2) | instskip(NEXT) | instid1(VALU_DEP_2)
	v_fma_f64 v[2:3], v[16:17], v[68:69], -v[2:3]
	v_fmac_f64_e32 v[38:39], v[18:19], v[68:69]
	s_delay_alu instid0(VALU_DEP_2) | instskip(NEXT) | instid1(VALU_DEP_2)
	v_add_f64_e32 v[12:13], v[12:13], v[2:3]
	v_add_f64_e32 v[14:15], v[14:15], v[38:39]
.LBB94_278:                             ;   in Loop: Header=BB94_3 Depth=1
	s_or_b32 exec_lo, exec_lo, s37
	s_barrier_signal -1
	s_barrier_wait -1
	s_and_saveexec_b32 s37, s71
	s_cbranch_execz .LBB94_280
; %bb.279:                              ;   in Loop: Header=BB94_3 Depth=1
	ds_load_b128 v[16:19], v1 offset:10032
	s_wait_dscnt 0x0
	v_mul_f64_e32 v[2:3], v[14:15], v[18:19]
	v_mul_f64_e32 v[70:71], v[12:13], v[18:19]
	s_delay_alu instid0(VALU_DEP_2) | instskip(NEXT) | instid1(VALU_DEP_2)
	v_fma_f64 v[68:69], v[12:13], v[16:17], -v[2:3]
	v_fmac_f64_e32 v[70:71], v[14:15], v[16:17]
	s_delay_alu instid0(VALU_DEP_2) | instskip(NEXT) | instid1(VALU_DEP_2)
	v_mov_b64_e32 v[12:13], v[68:69]
	v_mov_b64_e32 v[14:15], v[70:71]
	ds_store_b128 v21, v[68:71]
.LBB94_280:                             ;   in Loop: Header=BB94_3 Depth=1
	s_or_b32 exec_lo, exec_lo, s37
	s_wait_dscnt 0x0
	s_barrier_signal -1
	s_barrier_wait -1
	s_barrier_signal -1
	s_barrier_wait -1
	s_and_saveexec_b32 s37, s0
; %bb.281:                              ;   in Loop: Header=BB94_3 Depth=1
	s_delay_alu instid0(VALU_DEP_2) | instskip(NEXT) | instid1(VALU_DEP_2)
	v_xor_b32_e32 v13, 0x80000000, v13
	v_xor_b32_e32 v15, 0x80000000, v15
	ds_store_b128 v42, v[12:15] offset:8480
; %bb.282:                              ;   in Loop: Header=BB94_3 Depth=1
	s_or_b32 exec_lo, exec_lo, s37
	s_wait_dscnt 0x0
	s_barrier_signal -1
	s_barrier_wait -1
	s_barrier_signal -1
	s_barrier_wait -1
	s_and_saveexec_b32 s37, s10
	s_cbranch_execz .LBB94_284
; %bb.283:                              ;   in Loop: Header=BB94_3 Depth=1
	ds_load_b128 v[12:15], v1 offset:10032
	ds_load_b128 v[16:19], v1 offset:9504
	;; [unrolled: 1-line block ×3, first 2 shown]
	s_wait_dscnt 0x1
	v_mul_f64_e32 v[2:3], v[12:13], v[18:19]
	v_mul_f64_e32 v[18:19], v[14:15], v[18:19]
	s_delay_alu instid0(VALU_DEP_2) | instskip(NEXT) | instid1(VALU_DEP_2)
	v_fmac_f64_e32 v[2:3], v[14:15], v[16:17]
	v_fma_f64 v[12:13], v[12:13], v[16:17], -v[18:19]
	s_wait_dscnt 0x0
	s_delay_alu instid0(VALU_DEP_2) | instskip(NEXT) | instid1(VALU_DEP_2)
	v_mul_f64_e32 v[16:17], v[2:3], v[70:71]
	v_mul_f64_e32 v[14:15], v[12:13], v[70:71]
	s_delay_alu instid0(VALU_DEP_2) | instskip(NEXT) | instid1(VALU_DEP_2)
	v_fma_f64 v[12:13], v[68:69], v[12:13], -v[16:17]
	v_fmac_f64_e32 v[14:15], v[68:69], v[2:3]
	ds_store_b128 v1, v[12:15] offset:9520
.LBB94_284:                             ;   in Loop: Header=BB94_3 Depth=1
	s_or_b32 exec_lo, exec_lo, s37
	v_mov_b64_e32 v[14:15], 0
	v_mov_b64_e32 v[12:13], 0
	s_wait_dscnt 0x0
	s_barrier_signal -1
	s_barrier_wait -1
	s_and_saveexec_b32 s37, s1
	s_cbranch_execz .LBB94_290
; %bb.285:                              ;   in Loop: Header=BB94_3 Depth=1
	ds_load_b128 v[12:15], v45 offset:8448
	ds_load_b128 v[16:19], v48 offset:8512
	s_wait_dscnt 0x0
	v_mul_f64_e32 v[2:3], v[14:15], v[18:19]
	v_mul_f64_e32 v[18:19], v[12:13], v[18:19]
	s_delay_alu instid0(VALU_DEP_2) | instskip(NEXT) | instid1(VALU_DEP_2)
	v_fma_f64 v[2:3], v[12:13], v[16:17], -v[2:3]
	v_fmac_f64_e32 v[18:19], v[14:15], v[16:17]
	s_delay_alu instid0(VALU_DEP_2) | instskip(NEXT) | instid1(VALU_DEP_2)
	v_add_f64_e32 v[12:13], 0, v[2:3]
	v_add_f64_e32 v[14:15], 0, v[18:19]
	s_and_saveexec_b32 s62, s12
	s_cbranch_execnz .LBB94_534
; %bb.286:                              ;   in Loop: Header=BB94_3 Depth=1
	s_or_b32 exec_lo, exec_lo, s62
	s_and_saveexec_b32 s62, s13
	s_cbranch_execnz .LBB94_535
.LBB94_287:                             ;   in Loop: Header=BB94_3 Depth=1
	s_or_b32 exec_lo, exec_lo, s62
	s_and_saveexec_b32 s62, s0
	s_cbranch_execz .LBB94_289
.LBB94_288:                             ;   in Loop: Header=BB94_3 Depth=1
	ds_load_b128 v[16:19], v1 offset:8496
	ds_load_b128 v[68:71], v44 offset:10048
	s_wait_dscnt 0x0
	v_mul_f64_e32 v[2:3], v[18:19], v[70:71]
	v_mul_f64_e32 v[38:39], v[16:17], v[70:71]
	s_delay_alu instid0(VALU_DEP_2) | instskip(NEXT) | instid1(VALU_DEP_2)
	v_fma_f64 v[2:3], v[16:17], v[68:69], -v[2:3]
	v_fmac_f64_e32 v[38:39], v[18:19], v[68:69]
	s_delay_alu instid0(VALU_DEP_2) | instskip(NEXT) | instid1(VALU_DEP_2)
	v_add_f64_e32 v[12:13], v[12:13], v[2:3]
	v_add_f64_e32 v[14:15], v[14:15], v[38:39]
.LBB94_289:                             ;   in Loop: Header=BB94_3 Depth=1
	s_or_b32 exec_lo, exec_lo, s62
	s_delay_alu instid0(VALU_DEP_2) | instskip(NEXT) | instid1(VALU_DEP_2)
	v_xor_b32_e32 v13, 0x80000000, v13
	v_xor_b32_e32 v15, 0x80000000, v15
.LBB94_290:                             ;   in Loop: Header=BB94_3 Depth=1
	s_or_b32 exec_lo, exec_lo, s37
	s_and_saveexec_b32 s37, s72
	s_cbranch_execz .LBB94_292
; %bb.291:                              ;   in Loop: Header=BB94_3 Depth=1
	ds_load_b128 v[16:19], v1 offset:10560
	s_wait_dscnt 0x0
	v_mul_f64_e32 v[2:3], v[14:15], v[18:19]
	v_mul_f64_e32 v[70:71], v[12:13], v[18:19]
	s_delay_alu instid0(VALU_DEP_2) | instskip(NEXT) | instid1(VALU_DEP_2)
	v_fma_f64 v[68:69], v[12:13], v[16:17], -v[2:3]
	v_fmac_f64_e32 v[70:71], v[14:15], v[16:17]
	s_delay_alu instid0(VALU_DEP_2) | instskip(NEXT) | instid1(VALU_DEP_2)
	v_mov_b64_e32 v[12:13], v[68:69]
	v_mov_b64_e32 v[14:15], v[70:71]
	ds_store_b128 v47, v[68:71]
.LBB94_292:                             ;   in Loop: Header=BB94_3 Depth=1
	s_or_b32 exec_lo, exec_lo, s37
	s_wait_dscnt 0x0
	s_barrier_signal -1
	s_barrier_wait -1
	s_and_saveexec_b32 s37, s73
	s_cbranch_execz .LBB94_294
; %bb.293:                              ;   in Loop: Header=BB94_3 Depth=1
	ds_load_b128 v[16:19], v47
	ds_load_b128 v[68:71], v46 offset:10560
	s_wait_dscnt 0x0
	v_mul_f64_e32 v[2:3], v[18:19], v[70:71]
	v_mul_f64_e32 v[38:39], v[16:17], v[70:71]
	s_delay_alu instid0(VALU_DEP_2) | instskip(NEXT) | instid1(VALU_DEP_2)
	v_fma_f64 v[2:3], v[16:17], v[68:69], -v[2:3]
	v_fmac_f64_e32 v[38:39], v[18:19], v[68:69]
	s_delay_alu instid0(VALU_DEP_2) | instskip(NEXT) | instid1(VALU_DEP_2)
	v_add_f64_e32 v[12:13], v[12:13], v[2:3]
	v_add_f64_e32 v[14:15], v[14:15], v[38:39]
.LBB94_294:                             ;   in Loop: Header=BB94_3 Depth=1
	s_or_b32 exec_lo, exec_lo, s37
	s_barrier_signal -1
	s_barrier_wait -1
	s_and_saveexec_b32 s37, s74
	s_cbranch_execz .LBB94_296
; %bb.295:                              ;   in Loop: Header=BB94_3 Depth=1
	ds_load_b128 v[16:19], v1 offset:11088
	s_wait_dscnt 0x0
	v_mul_f64_e32 v[2:3], v[14:15], v[18:19]
	v_mul_f64_e32 v[70:71], v[12:13], v[18:19]
	s_delay_alu instid0(VALU_DEP_2) | instskip(NEXT) | instid1(VALU_DEP_2)
	v_fma_f64 v[68:69], v[12:13], v[16:17], -v[2:3]
	v_fmac_f64_e32 v[70:71], v[14:15], v[16:17]
	s_delay_alu instid0(VALU_DEP_2) | instskip(NEXT) | instid1(VALU_DEP_2)
	v_mov_b64_e32 v[12:13], v[68:69]
	v_mov_b64_e32 v[14:15], v[70:71]
	ds_store_b128 v47, v[68:71]
.LBB94_296:                             ;   in Loop: Header=BB94_3 Depth=1
	s_or_b32 exec_lo, exec_lo, s37
	s_wait_dscnt 0x0
	s_barrier_signal -1
	s_barrier_wait -1
	s_and_saveexec_b32 s37, s75
	s_cbranch_execz .LBB94_298
; %bb.297:                              ;   in Loop: Header=BB94_3 Depth=1
	ds_load_b128 v[16:19], v47
	ds_load_b128 v[68:71], v46 offset:11072
	s_wait_dscnt 0x0
	v_mul_f64_e32 v[2:3], v[18:19], v[70:71]
	v_mul_f64_e32 v[38:39], v[16:17], v[70:71]
	s_delay_alu instid0(VALU_DEP_2) | instskip(NEXT) | instid1(VALU_DEP_2)
	v_fma_f64 v[2:3], v[16:17], v[68:69], -v[2:3]
	v_fmac_f64_e32 v[38:39], v[18:19], v[68:69]
	s_delay_alu instid0(VALU_DEP_2) | instskip(NEXT) | instid1(VALU_DEP_2)
	v_add_f64_e32 v[12:13], v[12:13], v[2:3]
	v_add_f64_e32 v[14:15], v[14:15], v[38:39]
.LBB94_298:                             ;   in Loop: Header=BB94_3 Depth=1
	s_or_b32 exec_lo, exec_lo, s37
	s_barrier_signal -1
	s_barrier_wait -1
	;; [unrolled: 37-line block ×3, first 2 shown]
	s_and_saveexec_b32 s37, s77
	s_cbranch_execz .LBB94_304
; %bb.303:                              ;   in Loop: Header=BB94_3 Depth=1
	ds_load_b128 v[16:19], v1 offset:12144
	s_wait_dscnt 0x0
	v_mul_f64_e32 v[2:3], v[14:15], v[18:19]
	v_mul_f64_e32 v[70:71], v[12:13], v[18:19]
	s_delay_alu instid0(VALU_DEP_2) | instskip(NEXT) | instid1(VALU_DEP_2)
	v_fma_f64 v[68:69], v[12:13], v[16:17], -v[2:3]
	v_fmac_f64_e32 v[70:71], v[14:15], v[16:17]
	s_delay_alu instid0(VALU_DEP_2) | instskip(NEXT) | instid1(VALU_DEP_2)
	v_mov_b64_e32 v[12:13], v[68:69]
	v_mov_b64_e32 v[14:15], v[70:71]
	ds_store_b128 v47, v[68:71]
.LBB94_304:                             ;   in Loop: Header=BB94_3 Depth=1
	s_or_b32 exec_lo, exec_lo, s37
	s_wait_dscnt 0x0
	s_barrier_signal -1
	s_barrier_wait -1
	s_barrier_signal -1
	s_barrier_wait -1
	s_and_saveexec_b32 s37, s1
; %bb.305:                              ;   in Loop: Header=BB94_3 Depth=1
	s_delay_alu instid0(VALU_DEP_1) | instskip(NEXT) | instid1(VALU_DEP_3)
	v_xor_b32_e32 v15, 0x80000000, v15
	v_xor_b32_e32 v13, 0x80000000, v13
	ds_store_b128 v48, v[12:15] offset:8512
; %bb.306:                              ;   in Loop: Header=BB94_3 Depth=1
	s_or_b32 exec_lo, exec_lo, s37
	s_wait_dscnt 0x0
	s_barrier_signal -1
	s_barrier_wait -1
	s_barrier_signal -1
	s_barrier_wait -1
	s_and_saveexec_b32 s37, s10
	s_cbranch_execz .LBB94_308
; %bb.307:                              ;   in Loop: Header=BB94_3 Depth=1
	ds_load_b128 v[12:15], v1 offset:11088
	ds_load_b128 v[16:19], v1 offset:10560
	;; [unrolled: 1-line block ×3, first 2 shown]
	s_wait_dscnt 0x1
	v_mul_f64_e32 v[2:3], v[12:13], v[18:19]
	v_mul_f64_e32 v[18:19], v[14:15], v[18:19]
	s_delay_alu instid0(VALU_DEP_2) | instskip(NEXT) | instid1(VALU_DEP_2)
	v_fmac_f64_e32 v[2:3], v[14:15], v[16:17]
	v_fma_f64 v[12:13], v[12:13], v[16:17], -v[18:19]
	s_wait_dscnt 0x0
	s_delay_alu instid0(VALU_DEP_2) | instskip(NEXT) | instid1(VALU_DEP_2)
	v_mul_f64_e32 v[16:17], v[2:3], v[70:71]
	v_mul_f64_e32 v[14:15], v[12:13], v[70:71]
	s_delay_alu instid0(VALU_DEP_2) | instskip(NEXT) | instid1(VALU_DEP_2)
	v_fma_f64 v[12:13], v[68:69], v[12:13], -v[16:17]
	v_fmac_f64_e32 v[14:15], v[68:69], v[2:3]
	ds_store_b128 v1, v[12:15] offset:10576
.LBB94_308:                             ;   in Loop: Header=BB94_3 Depth=1
	s_or_b32 exec_lo, exec_lo, s37
	v_mov_b64_e32 v[14:15], 0
	v_mov_b64_e32 v[12:13], 0
	s_wait_dscnt 0x0
	s_barrier_signal -1
	s_barrier_wait -1
	s_and_saveexec_b32 s37, s0
	s_cbranch_execz .LBB94_312
; %bb.309:                              ;   in Loop: Header=BB94_3 Depth=1
	ds_load_b128 v[12:15], v43 offset:10560
	ds_load_b128 v[16:19], v42 offset:10592
	s_wait_dscnt 0x0
	v_mul_f64_e32 v[2:3], v[14:15], v[18:19]
	v_mul_f64_e32 v[18:19], v[12:13], v[18:19]
	s_delay_alu instid0(VALU_DEP_2) | instskip(NEXT) | instid1(VALU_DEP_2)
	v_fma_f64 v[2:3], v[12:13], v[16:17], -v[2:3]
	v_fmac_f64_e32 v[18:19], v[14:15], v[16:17]
	s_delay_alu instid0(VALU_DEP_2) | instskip(NEXT) | instid1(VALU_DEP_2)
	v_add_f64_e32 v[12:13], 0, v[2:3]
	v_add_f64_e32 v[14:15], 0, v[18:19]
	s_and_saveexec_b32 s62, s11
	s_cbranch_execz .LBB94_311
; %bb.310:                              ;   in Loop: Header=BB94_3 Depth=1
	ds_load_b128 v[16:19], v1 offset:10576
	ds_load_b128 v[68:71], v44 offset:11104
	s_wait_dscnt 0x0
	v_mul_f64_e32 v[2:3], v[18:19], v[70:71]
	v_mul_f64_e32 v[38:39], v[16:17], v[70:71]
	s_delay_alu instid0(VALU_DEP_2) | instskip(NEXT) | instid1(VALU_DEP_2)
	v_fma_f64 v[2:3], v[16:17], v[68:69], -v[2:3]
	v_fmac_f64_e32 v[38:39], v[18:19], v[68:69]
	s_delay_alu instid0(VALU_DEP_2) | instskip(NEXT) | instid1(VALU_DEP_2)
	v_add_f64_e32 v[12:13], v[12:13], v[2:3]
	v_add_f64_e32 v[14:15], v[14:15], v[38:39]
.LBB94_311:                             ;   in Loop: Header=BB94_3 Depth=1
	s_or_b32 exec_lo, exec_lo, s62
	s_delay_alu instid0(VALU_DEP_2) | instskip(NEXT) | instid1(VALU_DEP_2)
	v_xor_b32_e32 v13, 0x80000000, v13
	v_xor_b32_e32 v15, 0x80000000, v15
.LBB94_312:                             ;   in Loop: Header=BB94_3 Depth=1
	s_or_b32 exec_lo, exec_lo, s37
	s_and_saveexec_b32 s37, s70
	s_cbranch_execz .LBB94_314
; %bb.313:                              ;   in Loop: Header=BB94_3 Depth=1
	ds_load_b128 v[16:19], v1 offset:11616
	s_wait_dscnt 0x0
	v_mul_f64_e32 v[2:3], v[14:15], v[18:19]
	v_mul_f64_e32 v[70:71], v[12:13], v[18:19]
	s_delay_alu instid0(VALU_DEP_2) | instskip(NEXT) | instid1(VALU_DEP_2)
	v_fma_f64 v[68:69], v[12:13], v[16:17], -v[2:3]
	v_fmac_f64_e32 v[70:71], v[14:15], v[16:17]
	s_delay_alu instid0(VALU_DEP_2) | instskip(NEXT) | instid1(VALU_DEP_2)
	v_mov_b64_e32 v[12:13], v[68:69]
	v_mov_b64_e32 v[14:15], v[70:71]
	ds_store_b128 v21, v[68:71]
.LBB94_314:                             ;   in Loop: Header=BB94_3 Depth=1
	s_or_b32 exec_lo, exec_lo, s37
	s_wait_dscnt 0x0
	s_barrier_signal -1
	s_barrier_wait -1
	s_and_saveexec_b32 s37, s71
	s_cbranch_execz .LBB94_316
; %bb.315:                              ;   in Loop: Header=BB94_3 Depth=1
	ds_load_b128 v[16:19], v21
	ds_load_b128 v[68:71], v1 offset:11632
	s_wait_dscnt 0x0
	v_mul_f64_e32 v[2:3], v[18:19], v[70:71]
	v_mul_f64_e32 v[38:39], v[16:17], v[70:71]
	s_delay_alu instid0(VALU_DEP_2) | instskip(NEXT) | instid1(VALU_DEP_2)
	v_fma_f64 v[2:3], v[16:17], v[68:69], -v[2:3]
	v_fmac_f64_e32 v[38:39], v[18:19], v[68:69]
	s_delay_alu instid0(VALU_DEP_2) | instskip(NEXT) | instid1(VALU_DEP_2)
	v_add_f64_e32 v[12:13], v[12:13], v[2:3]
	v_add_f64_e32 v[14:15], v[14:15], v[38:39]
.LBB94_316:                             ;   in Loop: Header=BB94_3 Depth=1
	s_or_b32 exec_lo, exec_lo, s37
	s_barrier_signal -1
	s_barrier_wait -1
	s_and_saveexec_b32 s37, s71
	s_cbranch_execz .LBB94_318
; %bb.317:                              ;   in Loop: Header=BB94_3 Depth=1
	ds_load_b128 v[16:19], v1 offset:12144
	s_wait_dscnt 0x0
	v_mul_f64_e32 v[2:3], v[14:15], v[18:19]
	v_mul_f64_e32 v[70:71], v[12:13], v[18:19]
	s_delay_alu instid0(VALU_DEP_2) | instskip(NEXT) | instid1(VALU_DEP_2)
	v_fma_f64 v[68:69], v[12:13], v[16:17], -v[2:3]
	v_fmac_f64_e32 v[70:71], v[14:15], v[16:17]
	s_delay_alu instid0(VALU_DEP_2) | instskip(NEXT) | instid1(VALU_DEP_2)
	v_mov_b64_e32 v[12:13], v[68:69]
	v_mov_b64_e32 v[14:15], v[70:71]
	ds_store_b128 v21, v[68:71]
.LBB94_318:                             ;   in Loop: Header=BB94_3 Depth=1
	s_or_b32 exec_lo, exec_lo, s37
	s_wait_dscnt 0x0
	s_barrier_signal -1
	s_barrier_wait -1
	s_barrier_signal -1
	s_barrier_wait -1
	s_and_saveexec_b32 s37, s0
; %bb.319:                              ;   in Loop: Header=BB94_3 Depth=1
	s_delay_alu instid0(VALU_DEP_2) | instskip(NEXT) | instid1(VALU_DEP_2)
	v_xor_b32_e32 v13, 0x80000000, v13
	v_xor_b32_e32 v15, 0x80000000, v15
	ds_store_b128 v42, v[12:15] offset:10592
; %bb.320:                              ;   in Loop: Header=BB94_3 Depth=1
	s_or_b32 exec_lo, exec_lo, s37
	s_wait_dscnt 0x0
	s_barrier_signal -1
	s_barrier_wait -1
	s_barrier_signal -1
	s_barrier_wait -1
	s_and_saveexec_b32 s37, s10
	s_cbranch_execz .LBB94_322
; %bb.321:                              ;   in Loop: Header=BB94_3 Depth=1
	ds_load_b128 v[12:15], v1 offset:12144
	ds_load_b128 v[16:19], v1 offset:11616
	;; [unrolled: 1-line block ×3, first 2 shown]
	s_wait_dscnt 0x1
	v_mul_f64_e32 v[2:3], v[12:13], v[18:19]
	v_mul_f64_e32 v[18:19], v[14:15], v[18:19]
	s_delay_alu instid0(VALU_DEP_2) | instskip(NEXT) | instid1(VALU_DEP_2)
	v_fmac_f64_e32 v[2:3], v[14:15], v[16:17]
	v_fma_f64 v[12:13], v[12:13], v[16:17], -v[18:19]
	s_wait_dscnt 0x0
	s_delay_alu instid0(VALU_DEP_2) | instskip(NEXT) | instid1(VALU_DEP_2)
	v_mul_f64_e32 v[16:17], v[2:3], v[70:71]
	v_mul_f64_e32 v[14:15], v[12:13], v[70:71]
	s_delay_alu instid0(VALU_DEP_2) | instskip(NEXT) | instid1(VALU_DEP_2)
	v_fma_f64 v[12:13], v[68:69], v[12:13], -v[16:17]
	v_fmac_f64_e32 v[14:15], v[68:69], v[2:3]
	ds_store_b128 v1, v[12:15] offset:11632
.LBB94_322:                             ;   in Loop: Header=BB94_3 Depth=1
	s_or_b32 exec_lo, exec_lo, s37
	v_mov_b64_e32 v[14:15], 0
	v_mov_b64_e32 v[12:13], 0
	s_wait_dscnt 0x0
	s_barrier_signal -1
	s_barrier_wait -1
	s_and_saveexec_b32 s37, s2
	s_cbranch_execz .LBB94_332
; %bb.323:                              ;   in Loop: Header=BB94_3 Depth=1
	ds_load_b128 v[12:15], v50 offset:8448
	ds_load_b128 v[16:19], v53 offset:8576
	s_wait_dscnt 0x0
	v_mul_f64_e32 v[2:3], v[14:15], v[18:19]
	v_mul_f64_e32 v[18:19], v[12:13], v[18:19]
	s_delay_alu instid0(VALU_DEP_2) | instskip(NEXT) | instid1(VALU_DEP_2)
	v_fma_f64 v[2:3], v[12:13], v[16:17], -v[2:3]
	v_fmac_f64_e32 v[18:19], v[14:15], v[16:17]
	s_delay_alu instid0(VALU_DEP_2) | instskip(NEXT) | instid1(VALU_DEP_2)
	v_add_f64_e32 v[12:13], 0, v[2:3]
	v_add_f64_e32 v[14:15], 0, v[18:19]
	s_and_saveexec_b32 s62, s14
	s_cbranch_execnz .LBB94_536
; %bb.324:                              ;   in Loop: Header=BB94_3 Depth=1
	s_or_b32 exec_lo, exec_lo, s62
	s_and_saveexec_b32 s62, s15
	s_cbranch_execnz .LBB94_537
.LBB94_325:                             ;   in Loop: Header=BB94_3 Depth=1
	s_or_b32 exec_lo, exec_lo, s62
	s_and_saveexec_b32 s62, s16
	s_cbranch_execnz .LBB94_538
.LBB94_326:                             ;   in Loop: Header=BB94_3 Depth=1
	s_or_b32 exec_lo, exec_lo, s62
	s_and_saveexec_b32 s62, s17
	s_cbranch_execnz .LBB94_539
.LBB94_327:                             ;   in Loop: Header=BB94_3 Depth=1
	s_or_b32 exec_lo, exec_lo, s62
	s_and_saveexec_b32 s62, s18
	s_cbranch_execnz .LBB94_540
.LBB94_328:                             ;   in Loop: Header=BB94_3 Depth=1
	s_or_b32 exec_lo, exec_lo, s62
	s_and_saveexec_b32 s62, s1
	s_cbranch_execnz .LBB94_541
.LBB94_329:                             ;   in Loop: Header=BB94_3 Depth=1
	s_or_b32 exec_lo, exec_lo, s62
	s_and_saveexec_b32 s62, s13
	s_cbranch_execz .LBB94_331
.LBB94_330:                             ;   in Loop: Header=BB94_3 Depth=1
	ds_load_b128 v[16:19], v1 offset:8560
	ds_load_b128 v[68:71], v44 offset:12160
	s_wait_dscnt 0x0
	v_mul_f64_e32 v[2:3], v[18:19], v[70:71]
	v_mul_f64_e32 v[38:39], v[16:17], v[70:71]
	s_delay_alu instid0(VALU_DEP_2) | instskip(NEXT) | instid1(VALU_DEP_2)
	v_fma_f64 v[2:3], v[16:17], v[68:69], -v[2:3]
	v_fmac_f64_e32 v[38:39], v[18:19], v[68:69]
	s_delay_alu instid0(VALU_DEP_2) | instskip(NEXT) | instid1(VALU_DEP_2)
	v_add_f64_e32 v[12:13], v[12:13], v[2:3]
	v_add_f64_e32 v[14:15], v[14:15], v[38:39]
.LBB94_331:                             ;   in Loop: Header=BB94_3 Depth=1
	s_or_b32 exec_lo, exec_lo, s62
	s_delay_alu instid0(VALU_DEP_2) | instskip(NEXT) | instid1(VALU_DEP_2)
	v_xor_b32_e32 v13, 0x80000000, v13
	v_xor_b32_e32 v15, 0x80000000, v15
.LBB94_332:                             ;   in Loop: Header=BB94_3 Depth=1
	s_or_b32 exec_lo, exec_lo, s37
	s_and_saveexec_b32 s37, s78
	s_cbranch_execz .LBB94_334
; %bb.333:                              ;   in Loop: Header=BB94_3 Depth=1
	ds_load_b128 v[16:19], v1 offset:12672
	s_wait_dscnt 0x0
	v_mul_f64_e32 v[2:3], v[14:15], v[18:19]
	v_mul_f64_e32 v[70:71], v[12:13], v[18:19]
	s_delay_alu instid0(VALU_DEP_2) | instskip(NEXT) | instid1(VALU_DEP_2)
	v_fma_f64 v[68:69], v[12:13], v[16:17], -v[2:3]
	v_fmac_f64_e32 v[70:71], v[14:15], v[16:17]
	s_delay_alu instid0(VALU_DEP_2) | instskip(NEXT) | instid1(VALU_DEP_2)
	v_mov_b64_e32 v[12:13], v[68:69]
	v_mov_b64_e32 v[14:15], v[70:71]
	ds_store_b128 v52, v[68:71]
.LBB94_334:                             ;   in Loop: Header=BB94_3 Depth=1
	s_or_b32 exec_lo, exec_lo, s37
	s_wait_dscnt 0x0
	s_barrier_signal -1
	s_barrier_wait -1
	s_and_saveexec_b32 s37, s79
	s_cbranch_execz .LBB94_336
; %bb.335:                              ;   in Loop: Header=BB94_3 Depth=1
	ds_load_b128 v[16:19], v52
	ds_load_b128 v[68:71], v51 offset:12672
	s_wait_dscnt 0x0
	v_mul_f64_e32 v[2:3], v[18:19], v[70:71]
	v_mul_f64_e32 v[38:39], v[16:17], v[70:71]
	s_delay_alu instid0(VALU_DEP_2) | instskip(NEXT) | instid1(VALU_DEP_2)
	v_fma_f64 v[2:3], v[16:17], v[68:69], -v[2:3]
	v_fmac_f64_e32 v[38:39], v[18:19], v[68:69]
	s_delay_alu instid0(VALU_DEP_2) | instskip(NEXT) | instid1(VALU_DEP_2)
	v_add_f64_e32 v[12:13], v[12:13], v[2:3]
	v_add_f64_e32 v[14:15], v[14:15], v[38:39]
.LBB94_336:                             ;   in Loop: Header=BB94_3 Depth=1
	s_or_b32 exec_lo, exec_lo, s37
	s_barrier_signal -1
	s_barrier_wait -1
	s_and_saveexec_b32 s37, s80
	s_cbranch_execz .LBB94_338
; %bb.337:                              ;   in Loop: Header=BB94_3 Depth=1
	ds_load_b128 v[16:19], v1 offset:13200
	s_wait_dscnt 0x0
	v_mul_f64_e32 v[2:3], v[14:15], v[18:19]
	v_mul_f64_e32 v[70:71], v[12:13], v[18:19]
	s_delay_alu instid0(VALU_DEP_2) | instskip(NEXT) | instid1(VALU_DEP_2)
	v_fma_f64 v[68:69], v[12:13], v[16:17], -v[2:3]
	v_fmac_f64_e32 v[70:71], v[14:15], v[16:17]
	s_delay_alu instid0(VALU_DEP_2) | instskip(NEXT) | instid1(VALU_DEP_2)
	v_mov_b64_e32 v[12:13], v[68:69]
	v_mov_b64_e32 v[14:15], v[70:71]
	ds_store_b128 v52, v[68:71]
.LBB94_338:                             ;   in Loop: Header=BB94_3 Depth=1
	s_or_b32 exec_lo, exec_lo, s37
	s_wait_dscnt 0x0
	s_barrier_signal -1
	s_barrier_wait -1
	s_and_saveexec_b32 s37, s81
	s_cbranch_execz .LBB94_340
; %bb.339:                              ;   in Loop: Header=BB94_3 Depth=1
	ds_load_b128 v[16:19], v52
	ds_load_b128 v[68:71], v51 offset:13184
	s_wait_dscnt 0x0
	v_mul_f64_e32 v[2:3], v[18:19], v[70:71]
	v_mul_f64_e32 v[38:39], v[16:17], v[70:71]
	s_delay_alu instid0(VALU_DEP_2) | instskip(NEXT) | instid1(VALU_DEP_2)
	v_fma_f64 v[2:3], v[16:17], v[68:69], -v[2:3]
	v_fmac_f64_e32 v[38:39], v[18:19], v[68:69]
	s_delay_alu instid0(VALU_DEP_2) | instskip(NEXT) | instid1(VALU_DEP_2)
	v_add_f64_e32 v[12:13], v[12:13], v[2:3]
	v_add_f64_e32 v[14:15], v[14:15], v[38:39]
.LBB94_340:                             ;   in Loop: Header=BB94_3 Depth=1
	s_or_b32 exec_lo, exec_lo, s37
	s_barrier_signal -1
	s_barrier_wait -1
	;; [unrolled: 37-line block ×7, first 2 shown]
	s_and_saveexec_b32 s37, s91
	s_cbranch_execz .LBB94_362
; %bb.361:                              ;   in Loop: Header=BB94_3 Depth=1
	ds_load_b128 v[16:19], v1 offset:16368
	s_wait_dscnt 0x0
	v_mul_f64_e32 v[2:3], v[14:15], v[18:19]
	v_mul_f64_e32 v[70:71], v[12:13], v[18:19]
	s_delay_alu instid0(VALU_DEP_2) | instskip(NEXT) | instid1(VALU_DEP_2)
	v_fma_f64 v[68:69], v[12:13], v[16:17], -v[2:3]
	v_fmac_f64_e32 v[70:71], v[14:15], v[16:17]
	s_delay_alu instid0(VALU_DEP_2) | instskip(NEXT) | instid1(VALU_DEP_2)
	v_mov_b64_e32 v[12:13], v[68:69]
	v_mov_b64_e32 v[14:15], v[70:71]
	ds_store_b128 v52, v[68:71]
.LBB94_362:                             ;   in Loop: Header=BB94_3 Depth=1
	s_or_b32 exec_lo, exec_lo, s37
	s_wait_dscnt 0x0
	s_barrier_signal -1
	s_barrier_wait -1
	s_barrier_signal -1
	s_barrier_wait -1
	s_and_saveexec_b32 s37, s2
; %bb.363:                              ;   in Loop: Header=BB94_3 Depth=1
	s_delay_alu instid0(VALU_DEP_2) | instskip(NEXT) | instid1(VALU_DEP_2)
	v_xor_b32_e32 v13, 0x80000000, v13
	v_xor_b32_e32 v15, 0x80000000, v15
	ds_store_b128 v53, v[12:15] offset:8576
; %bb.364:                              ;   in Loop: Header=BB94_3 Depth=1
	s_or_b32 exec_lo, exec_lo, s37
	s_wait_dscnt 0x0
	s_barrier_signal -1
	s_barrier_wait -1
	s_barrier_signal -1
	s_barrier_wait -1
	s_and_saveexec_b32 s37, s10
	s_cbranch_execz .LBB94_366
; %bb.365:                              ;   in Loop: Header=BB94_3 Depth=1
	ds_load_b128 v[12:15], v1 offset:13200
	ds_load_b128 v[16:19], v1 offset:12672
	;; [unrolled: 1-line block ×3, first 2 shown]
	s_wait_dscnt 0x1
	v_mul_f64_e32 v[2:3], v[12:13], v[18:19]
	v_mul_f64_e32 v[18:19], v[14:15], v[18:19]
	s_delay_alu instid0(VALU_DEP_2) | instskip(NEXT) | instid1(VALU_DEP_2)
	v_fmac_f64_e32 v[2:3], v[14:15], v[16:17]
	v_fma_f64 v[12:13], v[12:13], v[16:17], -v[18:19]
	s_wait_dscnt 0x0
	s_delay_alu instid0(VALU_DEP_2) | instskip(NEXT) | instid1(VALU_DEP_2)
	v_mul_f64_e32 v[16:17], v[2:3], v[70:71]
	v_mul_f64_e32 v[14:15], v[12:13], v[70:71]
	s_delay_alu instid0(VALU_DEP_2) | instskip(NEXT) | instid1(VALU_DEP_2)
	v_fma_f64 v[12:13], v[68:69], v[12:13], -v[16:17]
	v_fmac_f64_e32 v[14:15], v[68:69], v[2:3]
	ds_store_b128 v1, v[12:15] offset:12688
.LBB94_366:                             ;   in Loop: Header=BB94_3 Depth=1
	s_or_b32 exec_lo, exec_lo, s37
	v_mov_b64_e32 v[14:15], 0
	v_mov_b64_e32 v[12:13], 0
	s_wait_dscnt 0x0
	s_barrier_signal -1
	s_barrier_wait -1
	s_and_saveexec_b32 s37, s0
	s_cbranch_execz .LBB94_370
; %bb.367:                              ;   in Loop: Header=BB94_3 Depth=1
	ds_load_b128 v[12:15], v43 offset:12672
	ds_load_b128 v[16:19], v42 offset:12704
	s_wait_dscnt 0x0
	v_mul_f64_e32 v[2:3], v[14:15], v[18:19]
	v_mul_f64_e32 v[18:19], v[12:13], v[18:19]
	s_delay_alu instid0(VALU_DEP_2) | instskip(NEXT) | instid1(VALU_DEP_2)
	v_fma_f64 v[2:3], v[12:13], v[16:17], -v[2:3]
	v_fmac_f64_e32 v[18:19], v[14:15], v[16:17]
	s_delay_alu instid0(VALU_DEP_2) | instskip(NEXT) | instid1(VALU_DEP_2)
	v_add_f64_e32 v[12:13], 0, v[2:3]
	v_add_f64_e32 v[14:15], 0, v[18:19]
	s_and_saveexec_b32 s62, s11
	s_cbranch_execz .LBB94_369
; %bb.368:                              ;   in Loop: Header=BB94_3 Depth=1
	ds_load_b128 v[16:19], v1 offset:12688
	ds_load_b128 v[68:71], v44 offset:13216
	s_wait_dscnt 0x0
	v_mul_f64_e32 v[2:3], v[18:19], v[70:71]
	v_mul_f64_e32 v[38:39], v[16:17], v[70:71]
	s_delay_alu instid0(VALU_DEP_2) | instskip(NEXT) | instid1(VALU_DEP_2)
	v_fma_f64 v[2:3], v[16:17], v[68:69], -v[2:3]
	v_fmac_f64_e32 v[38:39], v[18:19], v[68:69]
	s_delay_alu instid0(VALU_DEP_2) | instskip(NEXT) | instid1(VALU_DEP_2)
	v_add_f64_e32 v[12:13], v[12:13], v[2:3]
	v_add_f64_e32 v[14:15], v[14:15], v[38:39]
.LBB94_369:                             ;   in Loop: Header=BB94_3 Depth=1
	s_or_b32 exec_lo, exec_lo, s62
	s_delay_alu instid0(VALU_DEP_2) | instskip(NEXT) | instid1(VALU_DEP_2)
	v_xor_b32_e32 v13, 0x80000000, v13
	v_xor_b32_e32 v15, 0x80000000, v15
.LBB94_370:                             ;   in Loop: Header=BB94_3 Depth=1
	s_or_b32 exec_lo, exec_lo, s37
	s_and_saveexec_b32 s37, s70
	s_cbranch_execz .LBB94_372
; %bb.371:                              ;   in Loop: Header=BB94_3 Depth=1
	ds_load_b128 v[16:19], v1 offset:13728
	s_wait_dscnt 0x0
	v_mul_f64_e32 v[2:3], v[14:15], v[18:19]
	v_mul_f64_e32 v[70:71], v[12:13], v[18:19]
	s_delay_alu instid0(VALU_DEP_2) | instskip(NEXT) | instid1(VALU_DEP_2)
	v_fma_f64 v[68:69], v[12:13], v[16:17], -v[2:3]
	v_fmac_f64_e32 v[70:71], v[14:15], v[16:17]
	s_delay_alu instid0(VALU_DEP_2) | instskip(NEXT) | instid1(VALU_DEP_2)
	v_mov_b64_e32 v[12:13], v[68:69]
	v_mov_b64_e32 v[14:15], v[70:71]
	ds_store_b128 v21, v[68:71]
.LBB94_372:                             ;   in Loop: Header=BB94_3 Depth=1
	s_or_b32 exec_lo, exec_lo, s37
	s_wait_dscnt 0x0
	s_barrier_signal -1
	s_barrier_wait -1
	s_and_saveexec_b32 s37, s71
	s_cbranch_execz .LBB94_374
; %bb.373:                              ;   in Loop: Header=BB94_3 Depth=1
	ds_load_b128 v[16:19], v21
	ds_load_b128 v[68:71], v1 offset:13744
	s_wait_dscnt 0x0
	v_mul_f64_e32 v[2:3], v[18:19], v[70:71]
	v_mul_f64_e32 v[38:39], v[16:17], v[70:71]
	s_delay_alu instid0(VALU_DEP_2) | instskip(NEXT) | instid1(VALU_DEP_2)
	v_fma_f64 v[2:3], v[16:17], v[68:69], -v[2:3]
	v_fmac_f64_e32 v[38:39], v[18:19], v[68:69]
	s_delay_alu instid0(VALU_DEP_2) | instskip(NEXT) | instid1(VALU_DEP_2)
	v_add_f64_e32 v[12:13], v[12:13], v[2:3]
	v_add_f64_e32 v[14:15], v[14:15], v[38:39]
.LBB94_374:                             ;   in Loop: Header=BB94_3 Depth=1
	s_or_b32 exec_lo, exec_lo, s37
	s_barrier_signal -1
	s_barrier_wait -1
	s_and_saveexec_b32 s37, s71
	s_cbranch_execz .LBB94_376
; %bb.375:                              ;   in Loop: Header=BB94_3 Depth=1
	ds_load_b128 v[16:19], v1 offset:14256
	s_wait_dscnt 0x0
	v_mul_f64_e32 v[2:3], v[14:15], v[18:19]
	v_mul_f64_e32 v[70:71], v[12:13], v[18:19]
	s_delay_alu instid0(VALU_DEP_2) | instskip(NEXT) | instid1(VALU_DEP_2)
	v_fma_f64 v[68:69], v[12:13], v[16:17], -v[2:3]
	v_fmac_f64_e32 v[70:71], v[14:15], v[16:17]
	s_delay_alu instid0(VALU_DEP_2) | instskip(NEXT) | instid1(VALU_DEP_2)
	v_mov_b64_e32 v[12:13], v[68:69]
	v_mov_b64_e32 v[14:15], v[70:71]
	ds_store_b128 v21, v[68:71]
.LBB94_376:                             ;   in Loop: Header=BB94_3 Depth=1
	s_or_b32 exec_lo, exec_lo, s37
	s_wait_dscnt 0x0
	s_barrier_signal -1
	s_barrier_wait -1
	s_barrier_signal -1
	s_barrier_wait -1
	s_and_saveexec_b32 s37, s0
; %bb.377:                              ;   in Loop: Header=BB94_3 Depth=1
	s_delay_alu instid0(VALU_DEP_2) | instskip(NEXT) | instid1(VALU_DEP_2)
	v_xor_b32_e32 v13, 0x80000000, v13
	v_xor_b32_e32 v15, 0x80000000, v15
	ds_store_b128 v42, v[12:15] offset:12704
; %bb.378:                              ;   in Loop: Header=BB94_3 Depth=1
	s_or_b32 exec_lo, exec_lo, s37
	s_wait_dscnt 0x0
	s_barrier_signal -1
	s_barrier_wait -1
	s_barrier_signal -1
	s_barrier_wait -1
	s_and_saveexec_b32 s37, s10
	s_cbranch_execz .LBB94_380
; %bb.379:                              ;   in Loop: Header=BB94_3 Depth=1
	ds_load_b128 v[12:15], v1 offset:14256
	ds_load_b128 v[16:19], v1 offset:13728
	;; [unrolled: 1-line block ×3, first 2 shown]
	s_wait_dscnt 0x1
	v_mul_f64_e32 v[2:3], v[12:13], v[18:19]
	v_mul_f64_e32 v[18:19], v[14:15], v[18:19]
	s_delay_alu instid0(VALU_DEP_2) | instskip(NEXT) | instid1(VALU_DEP_2)
	v_fmac_f64_e32 v[2:3], v[14:15], v[16:17]
	v_fma_f64 v[12:13], v[12:13], v[16:17], -v[18:19]
	s_wait_dscnt 0x0
	s_delay_alu instid0(VALU_DEP_2) | instskip(NEXT) | instid1(VALU_DEP_2)
	v_mul_f64_e32 v[16:17], v[2:3], v[70:71]
	v_mul_f64_e32 v[14:15], v[12:13], v[70:71]
	s_delay_alu instid0(VALU_DEP_2) | instskip(NEXT) | instid1(VALU_DEP_2)
	v_fma_f64 v[12:13], v[68:69], v[12:13], -v[16:17]
	v_fmac_f64_e32 v[14:15], v[68:69], v[2:3]
	ds_store_b128 v1, v[12:15] offset:13744
.LBB94_380:                             ;   in Loop: Header=BB94_3 Depth=1
	s_or_b32 exec_lo, exec_lo, s37
	v_mov_b64_e32 v[14:15], 0
	v_mov_b64_e32 v[12:13], 0
	s_wait_dscnt 0x0
	s_barrier_signal -1
	s_barrier_wait -1
	s_and_saveexec_b32 s37, s1
	s_cbranch_execz .LBB94_386
; %bb.381:                              ;   in Loop: Header=BB94_3 Depth=1
	ds_load_b128 v[12:15], v45 offset:12672
	ds_load_b128 v[16:19], v48 offset:12736
	s_wait_dscnt 0x0
	v_mul_f64_e32 v[2:3], v[14:15], v[18:19]
	v_mul_f64_e32 v[18:19], v[12:13], v[18:19]
	s_delay_alu instid0(VALU_DEP_2) | instskip(NEXT) | instid1(VALU_DEP_2)
	v_fma_f64 v[2:3], v[12:13], v[16:17], -v[2:3]
	v_fmac_f64_e32 v[18:19], v[14:15], v[16:17]
	s_delay_alu instid0(VALU_DEP_2) | instskip(NEXT) | instid1(VALU_DEP_2)
	v_add_f64_e32 v[12:13], 0, v[2:3]
	v_add_f64_e32 v[14:15], 0, v[18:19]
	s_and_saveexec_b32 s62, s12
	s_cbranch_execnz .LBB94_542
; %bb.382:                              ;   in Loop: Header=BB94_3 Depth=1
	s_or_b32 exec_lo, exec_lo, s62
	s_and_saveexec_b32 s62, s13
	s_cbranch_execnz .LBB94_543
.LBB94_383:                             ;   in Loop: Header=BB94_3 Depth=1
	s_or_b32 exec_lo, exec_lo, s62
	s_and_saveexec_b32 s62, s0
	s_cbranch_execz .LBB94_385
.LBB94_384:                             ;   in Loop: Header=BB94_3 Depth=1
	ds_load_b128 v[16:19], v1 offset:12720
	ds_load_b128 v[68:71], v44 offset:14272
	s_wait_dscnt 0x0
	v_mul_f64_e32 v[2:3], v[18:19], v[70:71]
	v_mul_f64_e32 v[38:39], v[16:17], v[70:71]
	s_delay_alu instid0(VALU_DEP_2) | instskip(NEXT) | instid1(VALU_DEP_2)
	v_fma_f64 v[2:3], v[16:17], v[68:69], -v[2:3]
	v_fmac_f64_e32 v[38:39], v[18:19], v[68:69]
	s_delay_alu instid0(VALU_DEP_2) | instskip(NEXT) | instid1(VALU_DEP_2)
	v_add_f64_e32 v[12:13], v[12:13], v[2:3]
	v_add_f64_e32 v[14:15], v[14:15], v[38:39]
.LBB94_385:                             ;   in Loop: Header=BB94_3 Depth=1
	s_or_b32 exec_lo, exec_lo, s62
	s_delay_alu instid0(VALU_DEP_2) | instskip(NEXT) | instid1(VALU_DEP_2)
	v_xor_b32_e32 v13, 0x80000000, v13
	v_xor_b32_e32 v15, 0x80000000, v15
.LBB94_386:                             ;   in Loop: Header=BB94_3 Depth=1
	s_or_b32 exec_lo, exec_lo, s37
	s_and_saveexec_b32 s37, s72
	s_cbranch_execz .LBB94_388
; %bb.387:                              ;   in Loop: Header=BB94_3 Depth=1
	ds_load_b128 v[16:19], v1 offset:14784
	s_wait_dscnt 0x0
	v_mul_f64_e32 v[2:3], v[14:15], v[18:19]
	v_mul_f64_e32 v[70:71], v[12:13], v[18:19]
	s_delay_alu instid0(VALU_DEP_2) | instskip(NEXT) | instid1(VALU_DEP_2)
	v_fma_f64 v[68:69], v[12:13], v[16:17], -v[2:3]
	v_fmac_f64_e32 v[70:71], v[14:15], v[16:17]
	s_delay_alu instid0(VALU_DEP_2) | instskip(NEXT) | instid1(VALU_DEP_2)
	v_mov_b64_e32 v[12:13], v[68:69]
	v_mov_b64_e32 v[14:15], v[70:71]
	ds_store_b128 v47, v[68:71]
.LBB94_388:                             ;   in Loop: Header=BB94_3 Depth=1
	s_or_b32 exec_lo, exec_lo, s37
	s_wait_dscnt 0x0
	s_barrier_signal -1
	s_barrier_wait -1
	s_and_saveexec_b32 s37, s73
	s_cbranch_execz .LBB94_390
; %bb.389:                              ;   in Loop: Header=BB94_3 Depth=1
	ds_load_b128 v[16:19], v47
	ds_load_b128 v[68:71], v46 offset:14784
	s_wait_dscnt 0x0
	v_mul_f64_e32 v[2:3], v[18:19], v[70:71]
	v_mul_f64_e32 v[38:39], v[16:17], v[70:71]
	s_delay_alu instid0(VALU_DEP_2) | instskip(NEXT) | instid1(VALU_DEP_2)
	v_fma_f64 v[2:3], v[16:17], v[68:69], -v[2:3]
	v_fmac_f64_e32 v[38:39], v[18:19], v[68:69]
	s_delay_alu instid0(VALU_DEP_2) | instskip(NEXT) | instid1(VALU_DEP_2)
	v_add_f64_e32 v[12:13], v[12:13], v[2:3]
	v_add_f64_e32 v[14:15], v[14:15], v[38:39]
.LBB94_390:                             ;   in Loop: Header=BB94_3 Depth=1
	s_or_b32 exec_lo, exec_lo, s37
	s_barrier_signal -1
	s_barrier_wait -1
	s_and_saveexec_b32 s37, s74
	s_cbranch_execz .LBB94_392
; %bb.391:                              ;   in Loop: Header=BB94_3 Depth=1
	ds_load_b128 v[16:19], v1 offset:15312
	s_wait_dscnt 0x0
	v_mul_f64_e32 v[2:3], v[14:15], v[18:19]
	v_mul_f64_e32 v[70:71], v[12:13], v[18:19]
	s_delay_alu instid0(VALU_DEP_2) | instskip(NEXT) | instid1(VALU_DEP_2)
	v_fma_f64 v[68:69], v[12:13], v[16:17], -v[2:3]
	v_fmac_f64_e32 v[70:71], v[14:15], v[16:17]
	s_delay_alu instid0(VALU_DEP_2) | instskip(NEXT) | instid1(VALU_DEP_2)
	v_mov_b64_e32 v[12:13], v[68:69]
	v_mov_b64_e32 v[14:15], v[70:71]
	ds_store_b128 v47, v[68:71]
.LBB94_392:                             ;   in Loop: Header=BB94_3 Depth=1
	s_or_b32 exec_lo, exec_lo, s37
	s_wait_dscnt 0x0
	s_barrier_signal -1
	s_barrier_wait -1
	s_and_saveexec_b32 s37, s75
	s_cbranch_execz .LBB94_394
; %bb.393:                              ;   in Loop: Header=BB94_3 Depth=1
	ds_load_b128 v[16:19], v47
	ds_load_b128 v[68:71], v46 offset:15296
	s_wait_dscnt 0x0
	v_mul_f64_e32 v[2:3], v[18:19], v[70:71]
	v_mul_f64_e32 v[38:39], v[16:17], v[70:71]
	s_delay_alu instid0(VALU_DEP_2) | instskip(NEXT) | instid1(VALU_DEP_2)
	v_fma_f64 v[2:3], v[16:17], v[68:69], -v[2:3]
	v_fmac_f64_e32 v[38:39], v[18:19], v[68:69]
	s_delay_alu instid0(VALU_DEP_2) | instskip(NEXT) | instid1(VALU_DEP_2)
	v_add_f64_e32 v[12:13], v[12:13], v[2:3]
	v_add_f64_e32 v[14:15], v[14:15], v[38:39]
.LBB94_394:                             ;   in Loop: Header=BB94_3 Depth=1
	s_or_b32 exec_lo, exec_lo, s37
	s_barrier_signal -1
	s_barrier_wait -1
	;; [unrolled: 37-line block ×3, first 2 shown]
	s_and_saveexec_b32 s37, s77
	s_cbranch_execz .LBB94_400
; %bb.399:                              ;   in Loop: Header=BB94_3 Depth=1
	ds_load_b128 v[16:19], v1 offset:16368
	s_wait_dscnt 0x0
	v_mul_f64_e32 v[2:3], v[14:15], v[18:19]
	v_mul_f64_e32 v[70:71], v[12:13], v[18:19]
	s_delay_alu instid0(VALU_DEP_2) | instskip(NEXT) | instid1(VALU_DEP_2)
	v_fma_f64 v[68:69], v[12:13], v[16:17], -v[2:3]
	v_fmac_f64_e32 v[70:71], v[14:15], v[16:17]
	s_delay_alu instid0(VALU_DEP_2) | instskip(NEXT) | instid1(VALU_DEP_2)
	v_mov_b64_e32 v[12:13], v[68:69]
	v_mov_b64_e32 v[14:15], v[70:71]
	ds_store_b128 v47, v[68:71]
.LBB94_400:                             ;   in Loop: Header=BB94_3 Depth=1
	s_or_b32 exec_lo, exec_lo, s37
	s_wait_dscnt 0x0
	s_barrier_signal -1
	s_barrier_wait -1
	s_barrier_signal -1
	s_barrier_wait -1
	s_and_saveexec_b32 s37, s1
; %bb.401:                              ;   in Loop: Header=BB94_3 Depth=1
	s_delay_alu instid0(VALU_DEP_1) | instskip(NEXT) | instid1(VALU_DEP_3)
	v_xor_b32_e32 v15, 0x80000000, v15
	v_xor_b32_e32 v13, 0x80000000, v13
	ds_store_b128 v48, v[12:15] offset:12736
; %bb.402:                              ;   in Loop: Header=BB94_3 Depth=1
	s_or_b32 exec_lo, exec_lo, s37
	s_wait_dscnt 0x0
	s_barrier_signal -1
	s_barrier_wait -1
	s_barrier_signal -1
	s_barrier_wait -1
	s_and_saveexec_b32 s37, s10
	s_cbranch_execz .LBB94_404
; %bb.403:                              ;   in Loop: Header=BB94_3 Depth=1
	ds_load_b128 v[12:15], v1 offset:15312
	ds_load_b128 v[16:19], v1 offset:14784
	;; [unrolled: 1-line block ×3, first 2 shown]
	s_wait_dscnt 0x1
	v_mul_f64_e32 v[2:3], v[12:13], v[18:19]
	v_mul_f64_e32 v[18:19], v[14:15], v[18:19]
	s_delay_alu instid0(VALU_DEP_2) | instskip(NEXT) | instid1(VALU_DEP_2)
	v_fmac_f64_e32 v[2:3], v[14:15], v[16:17]
	v_fma_f64 v[12:13], v[12:13], v[16:17], -v[18:19]
	s_wait_dscnt 0x0
	s_delay_alu instid0(VALU_DEP_2) | instskip(NEXT) | instid1(VALU_DEP_2)
	v_mul_f64_e32 v[16:17], v[2:3], v[70:71]
	v_mul_f64_e32 v[14:15], v[12:13], v[70:71]
	s_delay_alu instid0(VALU_DEP_2) | instskip(NEXT) | instid1(VALU_DEP_2)
	v_fma_f64 v[12:13], v[68:69], v[12:13], -v[16:17]
	v_fmac_f64_e32 v[14:15], v[68:69], v[2:3]
	ds_store_b128 v1, v[12:15] offset:14800
.LBB94_404:                             ;   in Loop: Header=BB94_3 Depth=1
	s_or_b32 exec_lo, exec_lo, s37
	v_mov_b64_e32 v[14:15], 0
	v_mov_b64_e32 v[12:13], 0
	s_wait_dscnt 0x0
	s_barrier_signal -1
	s_barrier_wait -1
	s_and_saveexec_b32 s37, s0
	s_cbranch_execz .LBB94_408
; %bb.405:                              ;   in Loop: Header=BB94_3 Depth=1
	ds_load_b128 v[12:15], v43 offset:14784
	ds_load_b128 v[16:19], v42 offset:14816
	s_wait_dscnt 0x0
	v_mul_f64_e32 v[2:3], v[14:15], v[18:19]
	v_mul_f64_e32 v[18:19], v[12:13], v[18:19]
	s_delay_alu instid0(VALU_DEP_2) | instskip(NEXT) | instid1(VALU_DEP_2)
	v_fma_f64 v[2:3], v[12:13], v[16:17], -v[2:3]
	v_fmac_f64_e32 v[18:19], v[14:15], v[16:17]
	s_delay_alu instid0(VALU_DEP_2) | instskip(NEXT) | instid1(VALU_DEP_2)
	v_add_f64_e32 v[12:13], 0, v[2:3]
	v_add_f64_e32 v[14:15], 0, v[18:19]
	s_and_saveexec_b32 s62, s11
	s_cbranch_execz .LBB94_407
; %bb.406:                              ;   in Loop: Header=BB94_3 Depth=1
	ds_load_b128 v[16:19], v1 offset:14800
	ds_load_b128 v[68:71], v44 offset:15328
	s_wait_dscnt 0x0
	v_mul_f64_e32 v[2:3], v[18:19], v[70:71]
	v_mul_f64_e32 v[38:39], v[16:17], v[70:71]
	s_delay_alu instid0(VALU_DEP_2) | instskip(NEXT) | instid1(VALU_DEP_2)
	v_fma_f64 v[2:3], v[16:17], v[68:69], -v[2:3]
	v_fmac_f64_e32 v[38:39], v[18:19], v[68:69]
	s_delay_alu instid0(VALU_DEP_2) | instskip(NEXT) | instid1(VALU_DEP_2)
	v_add_f64_e32 v[12:13], v[12:13], v[2:3]
	v_add_f64_e32 v[14:15], v[14:15], v[38:39]
.LBB94_407:                             ;   in Loop: Header=BB94_3 Depth=1
	s_or_b32 exec_lo, exec_lo, s62
	s_delay_alu instid0(VALU_DEP_2) | instskip(NEXT) | instid1(VALU_DEP_2)
	v_xor_b32_e32 v13, 0x80000000, v13
	v_xor_b32_e32 v15, 0x80000000, v15
.LBB94_408:                             ;   in Loop: Header=BB94_3 Depth=1
	s_or_b32 exec_lo, exec_lo, s37
	s_and_saveexec_b32 s37, s70
	s_cbranch_execz .LBB94_410
; %bb.409:                              ;   in Loop: Header=BB94_3 Depth=1
	ds_load_b128 v[16:19], v1 offset:15840
	s_wait_dscnt 0x0
	v_mul_f64_e32 v[2:3], v[14:15], v[18:19]
	v_mul_f64_e32 v[70:71], v[12:13], v[18:19]
	s_delay_alu instid0(VALU_DEP_2) | instskip(NEXT) | instid1(VALU_DEP_2)
	v_fma_f64 v[68:69], v[12:13], v[16:17], -v[2:3]
	v_fmac_f64_e32 v[70:71], v[14:15], v[16:17]
	s_delay_alu instid0(VALU_DEP_2) | instskip(NEXT) | instid1(VALU_DEP_2)
	v_mov_b64_e32 v[12:13], v[68:69]
	v_mov_b64_e32 v[14:15], v[70:71]
	ds_store_b128 v21, v[68:71]
.LBB94_410:                             ;   in Loop: Header=BB94_3 Depth=1
	s_or_b32 exec_lo, exec_lo, s37
	s_wait_dscnt 0x0
	s_barrier_signal -1
	s_barrier_wait -1
	s_and_saveexec_b32 s37, s71
	s_cbranch_execz .LBB94_412
; %bb.411:                              ;   in Loop: Header=BB94_3 Depth=1
	ds_load_b128 v[16:19], v21
	ds_load_b128 v[68:71], v1 offset:15856
	s_wait_dscnt 0x0
	v_mul_f64_e32 v[2:3], v[18:19], v[70:71]
	v_mul_f64_e32 v[38:39], v[16:17], v[70:71]
	s_delay_alu instid0(VALU_DEP_2) | instskip(NEXT) | instid1(VALU_DEP_2)
	v_fma_f64 v[2:3], v[16:17], v[68:69], -v[2:3]
	v_fmac_f64_e32 v[38:39], v[18:19], v[68:69]
	s_delay_alu instid0(VALU_DEP_2) | instskip(NEXT) | instid1(VALU_DEP_2)
	v_add_f64_e32 v[12:13], v[12:13], v[2:3]
	v_add_f64_e32 v[14:15], v[14:15], v[38:39]
.LBB94_412:                             ;   in Loop: Header=BB94_3 Depth=1
	s_or_b32 exec_lo, exec_lo, s37
	s_barrier_signal -1
	s_barrier_wait -1
	s_and_saveexec_b32 s37, s71
	s_cbranch_execz .LBB94_414
; %bb.413:                              ;   in Loop: Header=BB94_3 Depth=1
	ds_load_b128 v[16:19], v1 offset:16368
	s_wait_dscnt 0x0
	v_mul_f64_e32 v[2:3], v[14:15], v[18:19]
	v_mul_f64_e32 v[70:71], v[12:13], v[18:19]
	s_delay_alu instid0(VALU_DEP_2) | instskip(NEXT) | instid1(VALU_DEP_2)
	v_fma_f64 v[68:69], v[12:13], v[16:17], -v[2:3]
	v_fmac_f64_e32 v[70:71], v[14:15], v[16:17]
	s_delay_alu instid0(VALU_DEP_2) | instskip(NEXT) | instid1(VALU_DEP_2)
	v_mov_b64_e32 v[12:13], v[68:69]
	v_mov_b64_e32 v[14:15], v[70:71]
	ds_store_b128 v21, v[68:71]
.LBB94_414:                             ;   in Loop: Header=BB94_3 Depth=1
	s_or_b32 exec_lo, exec_lo, s37
	s_wait_dscnt 0x0
	s_barrier_signal -1
	s_barrier_wait -1
	s_barrier_signal -1
	s_barrier_wait -1
	s_and_saveexec_b32 s37, s0
; %bb.415:                              ;   in Loop: Header=BB94_3 Depth=1
	s_delay_alu instid0(VALU_DEP_2) | instskip(NEXT) | instid1(VALU_DEP_2)
	v_xor_b32_e32 v13, 0x80000000, v13
	v_xor_b32_e32 v15, 0x80000000, v15
	ds_store_b128 v42, v[12:15] offset:14816
; %bb.416:                              ;   in Loop: Header=BB94_3 Depth=1
	s_or_b32 exec_lo, exec_lo, s37
	s_wait_dscnt 0x0
	s_barrier_signal -1
	s_barrier_wait -1
	s_barrier_signal -1
	s_barrier_wait -1
	s_and_saveexec_b32 s37, s10
	s_cbranch_execz .LBB94_418
; %bb.417:                              ;   in Loop: Header=BB94_3 Depth=1
	ds_load_b128 v[12:15], v1 offset:16368
	ds_load_b128 v[16:19], v1 offset:15840
	;; [unrolled: 1-line block ×3, first 2 shown]
	s_wait_dscnt 0x1
	v_mul_f64_e32 v[2:3], v[12:13], v[18:19]
	v_mul_f64_e32 v[18:19], v[14:15], v[18:19]
	s_delay_alu instid0(VALU_DEP_2) | instskip(NEXT) | instid1(VALU_DEP_2)
	v_fmac_f64_e32 v[2:3], v[14:15], v[16:17]
	v_fma_f64 v[12:13], v[12:13], v[16:17], -v[18:19]
	s_wait_dscnt 0x0
	s_delay_alu instid0(VALU_DEP_2) | instskip(NEXT) | instid1(VALU_DEP_2)
	v_mul_f64_e32 v[16:17], v[2:3], v[70:71]
	v_mul_f64_e32 v[14:15], v[12:13], v[70:71]
	s_delay_alu instid0(VALU_DEP_2) | instskip(NEXT) | instid1(VALU_DEP_2)
	v_fma_f64 v[12:13], v[68:69], v[12:13], -v[16:17]
	v_fmac_f64_e32 v[14:15], v[68:69], v[2:3]
	ds_store_b128 v1, v[12:15] offset:15856
.LBB94_418:                             ;   in Loop: Header=BB94_3 Depth=1
	s_or_b32 exec_lo, exec_lo, s37
.LBB94_419:                             ;   in Loop: Header=BB94_3 Depth=1
	v_mov_b64_e32 v[12:13], 0
	v_mov_b64_e32 v[14:15], 0
	s_mul_u64 s[62:63], s[54:55], s[56:57]
	s_wait_dscnt 0x0
	s_lshl_b64 s[62:63], s[62:63], 4
	s_barrier_signal -1
	s_add_nc_u64 s[62:63], s[48:49], s[62:63]
	s_barrier_wait -1
	s_and_saveexec_b32 s37, s95
	s_cbranch_execz .LBB94_421
; %bb.420:                              ;   in Loop: Header=BB94_3 Depth=1
	v_lshl_add_u64 v[2:3], v[28:29], 4, s[62:63]
	global_load_b128 v[14:17], v[2:3], off
	s_wait_loadcnt 0x0
	v_mul_f64_e32 v[2:3], s[44:45], v[14:15]
	v_mul_f64_e32 v[18:19], s[44:45], v[16:17]
	s_delay_alu instid0(VALU_DEP_2) | instskip(NEXT) | instid1(VALU_DEP_2)
	v_fma_f64 v[12:13], s[46:47], v[16:17], -v[2:3]
	v_fma_f64 v[14:15], v[14:15], -s[46:47], -v[18:19]
.LBB94_421:                             ;   in Loop: Header=BB94_3 Depth=1
	s_or_b32 exec_lo, exec_lo, s37
	s_delay_alu instid0(SALU_CYCLE_1)
	s_and_not1_b32 vcc_lo, exec_lo, s96
	s_cbranch_vccnz .LBB94_444
; %bb.422:                              ;   in Loop: Header=BB94_3 Depth=1
	v_lshl_add_u64 v[16:17], v[24:25], 4, s[60:61]
	v_mov_b32_e32 v68, -1
	s_lshl_b64 s[100:101], s[56:57], 2
	s_delay_alu instid0(SALU_CYCLE_1)
	s_add_nc_u64 s[60:61], s[58:59], s[100:101]
	s_mov_b32 s100, 0
	s_branch .LBB94_425
.LBB94_423:                             ;   in Loop: Header=BB94_425 Depth=2
	ds_load_b128 v[70:73], v23 offset:256
	s_wait_loadcnt_dscnt 0x0
	v_mul_f64_e32 v[18:19], v[38:39], v[72:73]
	v_mul_f64_e32 v[72:73], v[2:3], v[72:73]
	s_delay_alu instid0(VALU_DEP_2) | instskip(NEXT) | instid1(VALU_DEP_2)
	v_fma_f64 v[2:3], v[2:3], v[70:71], -v[18:19]
	v_fmac_f64_e32 v[72:73], v[38:39], v[70:71]
	s_delay_alu instid0(VALU_DEP_2) | instskip(NEXT) | instid1(VALU_DEP_2)
	v_add_f64_e32 v[12:13], v[12:13], v[2:3]
	v_add_f64_e32 v[14:15], v[14:15], v[72:73]
.LBB94_424:                             ;   in Loop: Header=BB94_425 Depth=2
	s_or_b32 exec_lo, exec_lo, s37
	s_add_co_i32 s100, s100, 1
	s_delay_alu instid0(SALU_CYCLE_1)
	s_cmp_eq_u32 s100, s66
	s_cbranch_scc1 .LBB94_444
.LBB94_425:                             ;   Parent Loop BB94_3 Depth=1
                                        ; =>  This Loop Header: Depth=2
                                        ;       Child Loop BB94_427 Depth 3
	v_cmp_gt_i32_e32 vcc_lo, s100, v68
	s_and_b32 s101, s30, vcc_lo
	s_delay_alu instid0(SALU_CYCLE_1)
	s_and_saveexec_b32 s37, s101
	s_cbranch_execz .LBB94_428
; %bb.426:                              ;   in Loop: Header=BB94_425 Depth=2
	global_load_b32 v68, v1, s[60:61]
	s_wait_loadcnt 0x0
	v_cmp_le_i32_e32 vcc_lo, s100, v68
	s_cbranch_vccnz .LBB94_428
.LBB94_427:                             ;   Parent Loop BB94_3 Depth=1
                                        ;     Parent Loop BB94_425 Depth=2
                                        ; =>    This Inner Loop Header: Depth=3
	global_wb scope:SCOPE_DEV
	s_wait_storecnt 0x0
	global_inv scope:SCOPE_DEV
	global_load_b32 v68, v1, s[60:61]
	s_wait_loadcnt 0x0
	v_cmp_gt_i32_e32 vcc_lo, s100, v68
	s_cbranch_vccnz .LBB94_427
.LBB94_428:                             ;   in Loop: Header=BB94_425 Depth=2
	s_or_b32 exec_lo, exec_lo, s37
	s_lshl_b32 s37, s100, 5
	global_wb scope:SCOPE_DEV
	s_wait_storecnt 0x0
	global_inv scope:SCOPE_DEV
	s_wait_loadcnt 0x0
	s_barrier_signal -1
	s_barrier_wait -1
	s_and_saveexec_b32 s101, s31
	s_cbranch_execz .LBB94_433
; %bb.429:                              ;   in Loop: Header=BB94_425 Depth=2
	v_or_b32_e32 v0, s37, v22
	s_delay_alu instid0(VALU_DEP_1) | instskip(SKIP_1) | instid1(SALU_CYCLE_1)
	v_cmp_le_i32_e32 vcc_lo, s65, v0
	s_and_saveexec_b32 s102, vcc_lo
	s_xor_b32 vcc_lo, exec_lo, s102
; %bb.430:                              ;   in Loop: Header=BB94_425 Depth=2
	v_dual_mov_b32 v0, v1 :: v_dual_mov_b32 v2, v1
	v_mov_b32_e32 v3, v1
	ds_store_b128 v60, v[0:3]
; %bb.431:                              ;   in Loop: Header=BB94_425 Depth=2
	s_and_not1_saveexec_b32 s102, vcc_lo
	s_cbranch_execz .LBB94_433
; %bb.432:                              ;   in Loop: Header=BB94_425 Depth=2
	v_mul_u64_e32 v[2:3], s[52:53], v[0:1]
	s_delay_alu instid0(VALU_DEP_1)
	v_lshl_add_u64 v[2:3], v[2:3], 4, s[62:63]
	global_load_b128 v[70:73], v[2:3], off
	s_wait_loadcnt 0x0
	ds_store_2addr_b64 v60, v[70:71], v[72:73] offset1:1
.LBB94_433:                             ;   in Loop: Header=BB94_425 Depth=2
	s_or_b32 exec_lo, exec_lo, s101
	v_add_nc_u32_e32 v0, s37, v40
	v_cmp_ne_u32_e32 vcc_lo, s100, v41
	s_wait_dscnt 0x0
	s_barrier_signal -1
	s_barrier_wait -1
	v_mul_u64_e32 v[2:3], s[40:41], v[0:1]
	v_cmp_gt_i32_e64 s37, s65, v0
	v_cndmask_b32_e64 v69, 0, 1, vcc_lo
	s_and_b32 s101, s5, s37
	v_lshl_add_u64 v[2:3], v[2:3], 4, v[16:17]
	s_and_saveexec_b32 s37, s101
	s_cbranch_execz .LBB94_439
; %bb.434:                              ;   in Loop: Header=BB94_425 Depth=2
	v_mov_b64_e32 v[18:19], v[4:5]
	s_and_not1_b32 vcc_lo, exec_lo, vcc_lo
	s_cbranch_vccnz .LBB94_436
; %bb.435:                              ;   in Loop: Header=BB94_425 Depth=2
	global_load_b64 v[18:19], v[2:3], off
.LBB94_436:                             ;   in Loop: Header=BB94_425 Depth=2
	v_cmp_ne_u32_e32 vcc_lo, 1, v69
	v_mov_b64_e32 v[38:39], v[6:7]
	s_cbranch_vccnz .LBB94_438
; %bb.437:                              ;   in Loop: Header=BB94_425 Depth=2
	global_load_b64 v[38:39], v[2:3], off offset:8
.LBB94_438:                             ;   in Loop: Header=BB94_425 Depth=2
	ds_load_b128 v[70:73], v23
	s_wait_loadcnt_dscnt 0x0
	v_mul_f64_e32 v[74:75], v[38:39], v[72:73]
	v_mul_f64_e32 v[72:73], v[18:19], v[72:73]
	s_delay_alu instid0(VALU_DEP_2) | instskip(NEXT) | instid1(VALU_DEP_2)
	v_fma_f64 v[18:19], v[18:19], v[70:71], -v[74:75]
	v_fmac_f64_e32 v[72:73], v[38:39], v[70:71]
	s_delay_alu instid0(VALU_DEP_2) | instskip(NEXT) | instid1(VALU_DEP_2)
	v_add_f64_e32 v[12:13], v[12:13], v[18:19]
	v_add_f64_e32 v[14:15], v[14:15], v[72:73]
.LBB94_439:                             ;   in Loop: Header=BB94_425 Depth=2
	s_or_b32 exec_lo, exec_lo, s37
	v_add_nc_u32_e32 v0, 16, v0
	s_delay_alu instid0(VALU_DEP_1) | instskip(SKIP_1) | instid1(SALU_CYCLE_1)
	v_cmp_gt_i32_e32 vcc_lo, s65, v0
	s_and_b32 s101, s5, vcc_lo
	s_and_saveexec_b32 s37, s101
	s_cbranch_execz .LBB94_424
; %bb.440:                              ;   in Loop: Header=BB94_425 Depth=2
	v_cmp_ne_u32_e32 vcc_lo, 1, v69
	v_add_nc_u64_e32 v[18:19], s[50:51], v[2:3]
	v_mov_b64_e32 v[2:3], v[8:9]
	s_cbranch_vccnz .LBB94_442
; %bb.441:                              ;   in Loop: Header=BB94_425 Depth=2
	global_load_b64 v[2:3], v[18:19], off
.LBB94_442:                             ;   in Loop: Header=BB94_425 Depth=2
	v_cmp_ne_u32_e32 vcc_lo, 1, v69
	v_mov_b64_e32 v[38:39], v[10:11]
	s_cbranch_vccnz .LBB94_423
; %bb.443:                              ;   in Loop: Header=BB94_425 Depth=2
	global_load_b64 v[38:39], v[18:19], off offset:8
	s_branch .LBB94_423
.LBB94_444:                             ;   in Loop: Header=BB94_3 Depth=1
	ds_store_b128 v61, v[12:15]
	s_wait_dscnt 0x0
	s_barrier_signal -1
	s_barrier_wait -1
	s_and_saveexec_b32 s37, s4
	s_cbranch_execz .LBB94_446
; %bb.445:                              ;   in Loop: Header=BB94_3 Depth=1
	ds_load_b128 v[16:19], v62 offset:512
	ds_load_b128 v[68:71], v62 offset:1024
	s_wait_dscnt 0x1
	v_add_f64_e32 v[2:3], v[12:13], v[16:17]
	v_add_f64_e32 v[12:13], v[14:15], v[18:19]
	s_wait_dscnt 0x0
	s_delay_alu instid0(VALU_DEP_2) | instskip(NEXT) | instid1(VALU_DEP_2)
	v_add_f64_e32 v[2:3], v[2:3], v[68:69]
	v_add_f64_e32 v[38:39], v[12:13], v[70:71]
	ds_load_b128 v[12:15], v62 offset:1536
	ds_load_b128 v[16:19], v62 offset:2048
	s_wait_dscnt 0x1
	v_add_f64_e32 v[2:3], v[2:3], v[12:13]
	v_add_f64_e32 v[12:13], v[38:39], v[14:15]
	s_wait_dscnt 0x0
	s_delay_alu instid0(VALU_DEP_2) | instskip(NEXT) | instid1(VALU_DEP_2)
	v_add_f64_e32 v[2:3], v[2:3], v[16:17]
	v_add_f64_e32 v[38:39], v[12:13], v[18:19]
	;; [unrolled: 9-line block ×7, first 2 shown]
	ds_load_b128 v[12:15], v62 offset:7680
	s_wait_dscnt 0x0
	v_add_f64_e32 v[2:3], v[2:3], v[12:13]
	v_add_f64_e32 v[14:15], v[16:17], v[14:15]
	s_delay_alu instid0(VALU_DEP_2) | instskip(NEXT) | instid1(VALU_DEP_2)
	v_xor_b32_e32 v0, 0x80000000, v3
	v_xor_b32_e32 v3, 0x80000000, v15
	s_delay_alu instid0(VALU_DEP_4) | instskip(NEXT) | instid1(VALU_DEP_4)
	v_cndmask_b32_e64 v12, v2, 0, s9
	v_cndmask_b32_e64 v14, v14, 0, s9
	s_delay_alu instid0(VALU_DEP_4) | instskip(NEXT) | instid1(VALU_DEP_4)
	v_cndmask_b32_e64 v13, v0, 0, s9
	v_cndmask_b32_e64 v15, v3, 0, s9
.LBB94_446:                             ;   in Loop: Header=BB94_3 Depth=1
	s_or_b32 exec_lo, exec_lo, s37
	s_delay_alu instid0(SALU_CYCLE_1)
	s_and_not1_b32 vcc_lo, exec_lo, s69
	s_cbranch_vccnz .LBB94_455
; %bb.447:                              ;   in Loop: Header=BB94_3 Depth=1
	s_and_saveexec_b32 s37, s4
; %bb.448:                              ;   in Loop: Header=BB94_3 Depth=1
	ds_store_b128 v64, v[12:15]
; %bb.449:                              ;   in Loop: Header=BB94_3 Depth=1
	s_or_b32 exec_lo, exec_lo, s37
	v_mov_b64_e32 v[16:17], 0
	v_mov_b64_e32 v[18:19], 0
	s_wait_dscnt 0x0
	s_barrier_signal -1
	s_barrier_wait -1
	s_and_saveexec_b32 s37, s33
	s_cbranch_execz .LBB94_451
; %bb.450:                              ;   in Loop: Header=BB94_3 Depth=1
	ds_load_b128 v[16:19], v23
	ds_load_b128 v[68:71], v63
	s_wait_dscnt 0x0
	v_mul_f64_e32 v[2:3], v[18:19], v[70:71]
	v_mul_f64_e32 v[38:39], v[16:17], v[70:71]
	s_delay_alu instid0(VALU_DEP_2) | instskip(NEXT) | instid1(VALU_DEP_2)
	v_fma_f64 v[2:3], v[16:17], v[68:69], -v[2:3]
	v_fmac_f64_e32 v[38:39], v[18:19], v[68:69]
	s_delay_alu instid0(VALU_DEP_2) | instskip(NEXT) | instid1(VALU_DEP_2)
	v_add_f64_e32 v[16:17], 0, v[2:3]
	v_add_f64_e32 v[18:19], 0, v[38:39]
.LBB94_451:                             ;   in Loop: Header=BB94_3 Depth=1
	s_or_b32 exec_lo, exec_lo, s37
	s_and_saveexec_b32 s37, s34
	s_cbranch_execz .LBB94_453
; %bb.452:                              ;   in Loop: Header=BB94_3 Depth=1
	ds_load_b128 v[68:71], v23 offset:256
	ds_load_b128 v[72:75], v63 offset:8192
	s_wait_dscnt 0x0
	v_mul_f64_e32 v[2:3], v[70:71], v[74:75]
	v_mul_f64_e32 v[38:39], v[68:69], v[74:75]
	s_delay_alu instid0(VALU_DEP_2) | instskip(NEXT) | instid1(VALU_DEP_2)
	v_fma_f64 v[2:3], v[68:69], v[72:73], -v[2:3]
	v_fmac_f64_e32 v[38:39], v[70:71], v[72:73]
	s_delay_alu instid0(VALU_DEP_2) | instskip(NEXT) | instid1(VALU_DEP_2)
	v_add_f64_e32 v[16:17], v[16:17], v[2:3]
	v_add_f64_e32 v[18:19], v[18:19], v[38:39]
.LBB94_453:                             ;   in Loop: Header=BB94_3 Depth=1
	s_or_b32 exec_lo, exec_lo, s37
	s_mov_b32 s60, 0
	s_mov_b32 s37, 0
	ds_store_b128 v61, v[16:19]
	s_wait_dscnt 0x0
	s_barrier_signal -1
	s_barrier_wait -1
                                        ; implicit-def: $vgpr2_vgpr3
                                        ; implicit-def: $vgpr38_vgpr39
	s_and_saveexec_b32 s61, s4
	s_cbranch_execz .LBB94_515
; %bb.454:                              ;   in Loop: Header=BB94_3 Depth=1
	ds_load_b128 v[68:71], v62 offset:512
	ds_load_b128 v[72:75], v62 offset:1024
	s_mov_b32 s37, exec_lo
	s_wait_dscnt 0x1
	v_add_f64_e32 v[2:3], v[16:17], v[68:69]
	v_add_f64_e32 v[16:17], v[18:19], v[70:71]
	s_wait_dscnt 0x0
	s_delay_alu instid0(VALU_DEP_2) | instskip(NEXT) | instid1(VALU_DEP_2)
	v_add_f64_e32 v[2:3], v[2:3], v[72:73]
	v_add_f64_e32 v[38:39], v[16:17], v[74:75]
	ds_load_b128 v[16:19], v62 offset:1536
	ds_load_b128 v[68:71], v62 offset:2048
	s_wait_dscnt 0x1
	v_add_f64_e32 v[2:3], v[2:3], v[16:17]
	v_add_f64_e32 v[16:17], v[38:39], v[18:19]
	s_wait_dscnt 0x0
	s_delay_alu instid0(VALU_DEP_2) | instskip(NEXT) | instid1(VALU_DEP_2)
	v_add_f64_e32 v[2:3], v[2:3], v[68:69]
	v_add_f64_e32 v[38:39], v[16:17], v[70:71]
	ds_load_b128 v[16:19], v62 offset:2560
	ds_load_b128 v[68:71], v62 offset:3072
	;; [unrolled: 9-line block ×6, first 2 shown]
	s_wait_dscnt 0x1
	v_add_f64_e32 v[2:3], v[2:3], v[16:17]
	v_add_f64_e32 v[16:17], v[38:39], v[18:19]
	s_wait_dscnt 0x0
	s_delay_alu instid0(VALU_DEP_2) | instskip(NEXT) | instid1(VALU_DEP_2)
	v_add_f64_e32 v[2:3], v[2:3], v[68:69]
	v_add_f64_e32 v[68:69], v[16:17], v[70:71]
	ds_load_b128 v[16:19], v62 offset:7680
	s_wait_dscnt 0x0
	v_add_f64_e32 v[38:39], v[2:3], v[16:17]
	v_add_f64_e32 v[2:3], v[68:69], v[18:19]
	s_or_b32 exec_lo, exec_lo, s61
	s_delay_alu instid0(SALU_CYCLE_1)
	s_and_b32 vcc_lo, exec_lo, s60
	s_cbranch_vccnz .LBB94_456
	s_branch .LBB94_516
.LBB94_455:                             ;   in Loop: Header=BB94_3 Depth=1
	s_mov_b32 s37, 0
                                        ; implicit-def: $vgpr2_vgpr3
                                        ; implicit-def: $vgpr38_vgpr39
	s_cbranch_execz .LBB94_516
.LBB94_456:                             ;   in Loop: Header=BB94_3 Depth=1
	v_dual_mov_b32 v0, v20 :: v_dual_mov_b32 v2, v66
	s_mov_b32 s60, 0
	s_branch .LBB94_458
.LBB94_457:                             ;   in Loop: Header=BB94_458 Depth=2
	s_or_b32 exec_lo, exec_lo, s61
	v_add_nc_u32_e32 v2, 0x400, v2
	v_add_nc_u32_e32 v0, -2, v0
	s_add_co_i32 s60, s60, 2
	s_delay_alu instid0(SALU_CYCLE_1)
	s_cmp_lg_u32 s60, 32
	s_barrier_signal -1
	s_barrier_wait -1
	s_cbranch_scc0 .LBB94_466
.LBB94_458:                             ;   Parent Loop BB94_3 Depth=1
                                        ; =>  This Inner Loop Header: Depth=2
	s_delay_alu instid0(VALU_DEP_1) | instskip(SKIP_1) | instid1(SALU_CYCLE_1)
	v_cmp_eq_u32_e32 vcc_lo, 0, v0
	s_and_b32 s100, s4, vcc_lo
	s_and_saveexec_b32 s61, s100
	s_cbranch_execz .LBB94_460
; %bb.459:                              ;   in Loop: Header=BB94_458 Depth=2
	ds_load_b128 v[16:19], v65
	s_wait_dscnt 0x0
	v_mul_f64_e32 v[38:39], v[14:15], v[18:19]
	v_mul_f64_e32 v[70:71], v[12:13], v[18:19]
	s_delay_alu instid0(VALU_DEP_2) | instskip(NEXT) | instid1(VALU_DEP_2)
	v_fma_f64 v[68:69], v[12:13], v[16:17], -v[38:39]
	v_fmac_f64_e32 v[70:71], v[14:15], v[16:17]
	s_delay_alu instid0(VALU_DEP_2) | instskip(NEXT) | instid1(VALU_DEP_2)
	v_mov_b64_e32 v[12:13], v[68:69]
	v_mov_b64_e32 v[14:15], v[70:71]
	ds_store_b128 v1, v[68:71] offset:25088
.LBB94_460:                             ;   in Loop: Header=BB94_458 Depth=2
	s_or_b32 exec_lo, exec_lo, s61
	v_cmp_lt_u32_e32 vcc_lo, s60, v20
	s_wait_dscnt 0x0
	s_barrier_signal -1
	s_barrier_wait -1
	s_and_b32 s100, s4, vcc_lo
	s_delay_alu instid0(SALU_CYCLE_1)
	s_and_saveexec_b32 s61, s100
	s_cbranch_execz .LBB94_462
; %bb.461:                              ;   in Loop: Header=BB94_458 Depth=2
	ds_load_b128 v[16:19], v1 offset:25088
	ds_load_b128 v[68:71], v2
	s_wait_dscnt 0x0
	v_mul_f64_e32 v[38:39], v[18:19], v[70:71]
	v_mul_f64_e32 v[70:71], v[16:17], v[70:71]
	s_delay_alu instid0(VALU_DEP_2) | instskip(NEXT) | instid1(VALU_DEP_2)
	v_fma_f64 v[16:17], v[16:17], v[68:69], -v[38:39]
	v_fmac_f64_e32 v[70:71], v[18:19], v[68:69]
	s_delay_alu instid0(VALU_DEP_2) | instskip(NEXT) | instid1(VALU_DEP_2)
	v_add_f64_e32 v[12:13], v[12:13], v[16:17]
	v_add_f64_e32 v[14:15], v[14:15], v[70:71]
.LBB94_462:                             ;   in Loop: Header=BB94_458 Depth=2
	s_or_b32 exec_lo, exec_lo, s61
	s_or_b32 s61, s60, 1
	s_delay_alu instid0(SALU_CYCLE_1) | instskip(SKIP_3) | instid1(SALU_CYCLE_1)
	v_cmp_eq_u32_e32 vcc_lo, s61, v20
	s_barrier_signal -1
	s_barrier_wait -1
	s_and_b32 s101, s4, vcc_lo
	s_and_saveexec_b32 s100, s101
	s_cbranch_execz .LBB94_464
; %bb.463:                              ;   in Loop: Header=BB94_458 Depth=2
	ds_load_b128 v[16:19], v65
	s_wait_dscnt 0x0
	v_mul_f64_e32 v[38:39], v[14:15], v[18:19]
	v_mul_f64_e32 v[70:71], v[12:13], v[18:19]
	s_delay_alu instid0(VALU_DEP_2) | instskip(NEXT) | instid1(VALU_DEP_2)
	v_fma_f64 v[68:69], v[12:13], v[16:17], -v[38:39]
	v_fmac_f64_e32 v[70:71], v[14:15], v[16:17]
	s_delay_alu instid0(VALU_DEP_2) | instskip(NEXT) | instid1(VALU_DEP_2)
	v_mov_b64_e32 v[12:13], v[68:69]
	v_mov_b64_e32 v[14:15], v[70:71]
	ds_store_b128 v1, v[68:71] offset:25088
.LBB94_464:                             ;   in Loop: Header=BB94_458 Depth=2
	s_or_b32 exec_lo, exec_lo, s100
	v_cmp_lt_u32_e32 vcc_lo, s61, v20
	s_wait_dscnt 0x0
	s_barrier_signal -1
	s_barrier_wait -1
	s_and_b32 s100, s4, vcc_lo
	s_delay_alu instid0(SALU_CYCLE_1)
	s_and_saveexec_b32 s61, s100
	s_cbranch_execz .LBB94_457
; %bb.465:                              ;   in Loop: Header=BB94_458 Depth=2
	ds_load_b128 v[16:19], v1 offset:25088
	ds_load_b128 v[68:71], v2 offset:512
	s_wait_dscnt 0x0
	v_mul_f64_e32 v[38:39], v[18:19], v[70:71]
	v_mul_f64_e32 v[70:71], v[16:17], v[70:71]
	s_delay_alu instid0(VALU_DEP_2) | instskip(NEXT) | instid1(VALU_DEP_2)
	v_fma_f64 v[16:17], v[16:17], v[68:69], -v[38:39]
	v_fmac_f64_e32 v[70:71], v[18:19], v[68:69]
	s_delay_alu instid0(VALU_DEP_2) | instskip(NEXT) | instid1(VALU_DEP_2)
	v_add_f64_e32 v[12:13], v[12:13], v[16:17]
	v_add_f64_e32 v[14:15], v[14:15], v[70:71]
	s_branch .LBB94_457
.LBB94_466:                             ;   in Loop: Header=BB94_3 Depth=1
	s_and_b32 vcc_lo, exec_lo, s68
	s_mov_b32 s60, -1
	s_cbranch_vccz .LBB94_468
; %bb.467:                              ;   in Loop: Header=BB94_3 Depth=1
	s_and_not1_b32 s37, s37, exec_lo
	s_and_b32 s61, s4, exec_lo
	s_mov_b32 s60, 0
	s_or_b32 s37, s37, s61
.LBB94_468:                             ;   in Loop: Header=BB94_3 Depth=1
	s_and_not1_b32 vcc_lo, exec_lo, s60
	s_cbranch_vccnz .LBB94_470
; %bb.469:                              ;   in Loop: Header=BB94_3 Depth=1
	v_readlane_b32 s60, v76, 12
	s_and_not1_b32 s37, s37, exec_lo
	s_and_b32 s60, s60, exec_lo
	s_delay_alu instid0(SALU_CYCLE_1)
	s_or_b32 s37, s37, s60
.LBB94_470:                             ;   in Loop: Header=BB94_3 Depth=1
	v_mov_b64_e32 v[2:3], v[36:37]
	s_and_saveexec_b32 s60, s37
	s_cbranch_execnz .LBB94_517
	s_branch .LBB94_518
.LBB94_471:                             ;   in Loop: Header=BB94_3 Depth=1
	s_mov_b32 s63, exec_lo
	v_readlane_b32 s100, v76, 13
	s_and_b32 s100, s63, s100
	s_delay_alu instid0(SALU_CYCLE_1)
	s_xor_b32 s63, s100, s63
	s_mov_b32 exec_lo, s100
	s_cbranch_execz .LBB94_473
; %bb.472:                              ;   in Loop: Header=BB94_3 Depth=1
	v_readlane_b32 s62, v76, 28
	s_and_b32 s62, s62, exec_lo
.LBB94_473:                             ;   in Loop: Header=BB94_3 Depth=1
	s_or_saveexec_b32 s63, s63
	v_mov_b64_e32 v[14:15], 0
	v_mov_b64_e32 v[12:13], 0
	s_xor_b32 exec_lo, exec_lo, s63
	s_cbranch_execz .LBB94_479
; %bb.474:                              ;   in Loop: Header=BB94_3 Depth=1
	v_lshl_add_u64 v[2:3], v[30:31], 4, s[60:61]
                                        ; implicit-def: $vgpr14_vgpr15
	global_load_b128 v[16:19], v[2:3], off
	s_wait_loadcnt 0x0
	v_cmp_ngt_f64_e64 s100, |v[16:17]|, |v[18:19]|
	s_and_saveexec_b32 s101, s100
	s_delay_alu instid0(SALU_CYCLE_1)
	s_xor_b32 s100, exec_lo, s101
	s_cbranch_execz .LBB94_476
; %bb.475:                              ;   in Loop: Header=BB94_3 Depth=1
	v_div_scale_f64 v[2:3], null, v[18:19], v[18:19], v[16:17]
	v_div_scale_f64 v[38:39], vcc_lo, v[16:17], v[18:19], v[16:17]
	s_delay_alu instid0(VALU_DEP_2) | instskip(SKIP_1) | instid1(TRANS32_DEP_1)
	v_rcp_f64_e32 v[12:13], v[2:3]
	v_nop
	v_fma_f64 v[14:15], -v[2:3], v[12:13], 1.0
	s_delay_alu instid0(VALU_DEP_1) | instskip(NEXT) | instid1(VALU_DEP_1)
	v_fmac_f64_e32 v[12:13], v[12:13], v[14:15]
	v_fma_f64 v[14:15], -v[2:3], v[12:13], 1.0
	s_delay_alu instid0(VALU_DEP_1) | instskip(NEXT) | instid1(VALU_DEP_1)
	v_fmac_f64_e32 v[12:13], v[12:13], v[14:15]
	v_mul_f64_e32 v[14:15], v[38:39], v[12:13]
	s_delay_alu instid0(VALU_DEP_1) | instskip(NEXT) | instid1(VALU_DEP_1)
	v_fma_f64 v[2:3], -v[2:3], v[14:15], v[38:39]
	v_div_fmas_f64 v[2:3], v[2:3], v[12:13], v[14:15]
	s_delay_alu instid0(VALU_DEP_1) | instskip(NEXT) | instid1(VALU_DEP_1)
	v_div_fixup_f64 v[2:3], v[2:3], v[18:19], v[16:17]
	v_fmac_f64_e32 v[18:19], v[16:17], v[2:3]
	s_delay_alu instid0(VALU_DEP_1) | instskip(NEXT) | instid1(VALU_DEP_1)
	v_div_scale_f64 v[12:13], null, v[18:19], v[18:19], 1.0
	v_rcp_f64_e32 v[14:15], v[12:13]
	v_nop
	s_delay_alu instid0(TRANS32_DEP_1) | instskip(NEXT) | instid1(VALU_DEP_1)
	v_fma_f64 v[16:17], -v[12:13], v[14:15], 1.0
	v_fmac_f64_e32 v[14:15], v[14:15], v[16:17]
	s_delay_alu instid0(VALU_DEP_1) | instskip(NEXT) | instid1(VALU_DEP_1)
	v_fma_f64 v[16:17], -v[12:13], v[14:15], 1.0
	v_fmac_f64_e32 v[14:15], v[14:15], v[16:17]
	v_div_scale_f64 v[16:17], vcc_lo, 1.0, v[18:19], 1.0
	s_delay_alu instid0(VALU_DEP_1) | instskip(NEXT) | instid1(VALU_DEP_1)
	v_mul_f64_e32 v[38:39], v[16:17], v[14:15]
	v_fma_f64 v[12:13], -v[12:13], v[38:39], v[16:17]
	s_delay_alu instid0(VALU_DEP_1) | instskip(NEXT) | instid1(VALU_DEP_1)
	v_div_fmas_f64 v[12:13], v[12:13], v[14:15], v[38:39]
	v_div_fixup_f64 v[14:15], v[12:13], v[18:19], 1.0
                                        ; implicit-def: $vgpr16_vgpr17
	s_delay_alu instid0(VALU_DEP_1)
	v_mul_f64_e32 v[12:13], v[2:3], v[14:15]
	v_xor_b32_e32 v15, 0x80000000, v15
.LBB94_476:                             ;   in Loop: Header=BB94_3 Depth=1
	s_and_not1_saveexec_b32 s100, s100
	s_cbranch_execz .LBB94_478
; %bb.477:                              ;   in Loop: Header=BB94_3 Depth=1
	v_div_scale_f64 v[2:3], null, v[16:17], v[16:17], v[18:19]
	v_div_scale_f64 v[38:39], vcc_lo, v[18:19], v[16:17], v[18:19]
	s_delay_alu instid0(VALU_DEP_2) | instskip(SKIP_1) | instid1(TRANS32_DEP_1)
	v_rcp_f64_e32 v[12:13], v[2:3]
	v_nop
	v_fma_f64 v[14:15], -v[2:3], v[12:13], 1.0
	s_delay_alu instid0(VALU_DEP_1) | instskip(NEXT) | instid1(VALU_DEP_1)
	v_fmac_f64_e32 v[12:13], v[12:13], v[14:15]
	v_fma_f64 v[14:15], -v[2:3], v[12:13], 1.0
	s_delay_alu instid0(VALU_DEP_1) | instskip(NEXT) | instid1(VALU_DEP_1)
	v_fmac_f64_e32 v[12:13], v[12:13], v[14:15]
	v_mul_f64_e32 v[14:15], v[38:39], v[12:13]
	s_delay_alu instid0(VALU_DEP_1) | instskip(NEXT) | instid1(VALU_DEP_1)
	v_fma_f64 v[2:3], -v[2:3], v[14:15], v[38:39]
	v_div_fmas_f64 v[2:3], v[2:3], v[12:13], v[14:15]
	s_delay_alu instid0(VALU_DEP_1) | instskip(NEXT) | instid1(VALU_DEP_1)
	v_div_fixup_f64 v[2:3], v[2:3], v[16:17], v[18:19]
	v_fmac_f64_e32 v[16:17], v[18:19], v[2:3]
	s_delay_alu instid0(VALU_DEP_1) | instskip(NEXT) | instid1(VALU_DEP_1)
	v_div_scale_f64 v[12:13], null, v[16:17], v[16:17], 1.0
	v_rcp_f64_e32 v[14:15], v[12:13]
	v_nop
	s_delay_alu instid0(TRANS32_DEP_1) | instskip(NEXT) | instid1(VALU_DEP_1)
	v_fma_f64 v[18:19], -v[12:13], v[14:15], 1.0
	v_fmac_f64_e32 v[14:15], v[14:15], v[18:19]
	s_delay_alu instid0(VALU_DEP_1) | instskip(NEXT) | instid1(VALU_DEP_1)
	v_fma_f64 v[18:19], -v[12:13], v[14:15], 1.0
	v_fmac_f64_e32 v[14:15], v[14:15], v[18:19]
	v_div_scale_f64 v[18:19], vcc_lo, 1.0, v[16:17], 1.0
	s_delay_alu instid0(VALU_DEP_1) | instskip(NEXT) | instid1(VALU_DEP_1)
	v_mul_f64_e32 v[38:39], v[18:19], v[14:15]
	v_fma_f64 v[12:13], -v[12:13], v[38:39], v[18:19]
	s_delay_alu instid0(VALU_DEP_1) | instskip(NEXT) | instid1(VALU_DEP_1)
	v_div_fmas_f64 v[12:13], v[12:13], v[14:15], v[38:39]
	v_div_fixup_f64 v[12:13], v[12:13], v[16:17], 1.0
	s_delay_alu instid0(VALU_DEP_1)
	v_mul_f64_e64 v[14:15], v[2:3], -v[12:13]
.LBB94_478:                             ;   in Loop: Header=BB94_3 Depth=1
	s_or_b32 exec_lo, exec_lo, s100
	s_delay_alu instid0(SALU_CYCLE_1)
	s_or_b32 s62, s62, exec_lo
.LBB94_479:                             ;   in Loop: Header=BB94_3 Depth=1
	s_or_b32 exec_lo, exec_lo, s63
	s_delay_alu instid0(SALU_CYCLE_1)
	s_and_b32 s62, s62, exec_lo
	s_and_not1_saveexec_b32 s37, s37
	s_cbranch_execz .LBB94_13
.LBB94_480:                             ;   in Loop: Header=BB94_3 Depth=1
	v_lshl_add_u64 v[2:3], v[30:31], 4, s[60:61]
	s_or_b32 s62, s62, exec_lo
	global_load_b128 v[12:15], v[2:3], off
	s_wait_loadcnt 0x0
	v_xor_b32_e32 v13, 0x80000000, v13
	v_xor_b32_e32 v15, 0x80000000, v15
	s_or_b32 exec_lo, exec_lo, s37
	s_and_saveexec_b32 s37, s62
	s_cbranch_execz .LBB94_14
.LBB94_481:                             ;   in Loop: Header=BB94_3 Depth=1
	ds_store_b128 v63, v[12:15]
	s_or_b32 exec_lo, exec_lo, s37
	s_and_saveexec_b32 s37, s7
	s_delay_alu instid0(SALU_CYCLE_1)
	s_xor_b32 s37, exec_lo, s37
	s_cbranch_execz .LBB94_15
.LBB94_482:                             ;   in Loop: Header=BB94_3 Depth=1
	s_mov_b32 s62, exec_lo
	v_readlane_b32 s63, v76, 15
	s_and_b32 s63, s62, s63
	s_delay_alu instid0(SALU_CYCLE_1)
	s_xor_b32 s62, s63, s62
	s_mov_b32 exec_lo, s63
	s_cbranch_execz .LBB94_486
; %bb.483:                              ;   in Loop: Header=BB94_3 Depth=1
	s_mov_b32 s63, exec_lo
	v_readlane_b32 s100, v76, 29
	s_and_b32 s100, s63, s100
	s_delay_alu instid0(SALU_CYCLE_1)
	s_mov_b32 exec_lo, s100
; %bb.484:                              ;   in Loop: Header=BB94_3 Depth=1
	v_dual_mov_b32 v0, v1 :: v_dual_mov_b32 v2, v1
	v_mov_b32_e32 v3, v1
	ds_store_b128 v67, v[0:3]
; %bb.485:                              ;   in Loop: Header=BB94_3 Depth=1
	s_or_b32 exec_lo, exec_lo, s63
.LBB94_486:                             ;   in Loop: Header=BB94_3 Depth=1
	s_and_not1_saveexec_b32 s62, s62
	s_cbranch_execz .LBB94_492
; %bb.487:                              ;   in Loop: Header=BB94_3 Depth=1
	v_lshl_add_u64 v[2:3], v[34:35], 4, s[60:61]
                                        ; implicit-def: $vgpr16_vgpr17
	global_load_b128 v[12:15], v[2:3], off
	s_wait_loadcnt 0x0
	v_cmp_ngt_f64_e64 s63, |v[12:13]|, |v[14:15]|
	s_and_saveexec_b32 s100, s63
	s_delay_alu instid0(SALU_CYCLE_1)
	s_xor_b32 s63, exec_lo, s100
	s_cbranch_execz .LBB94_489
; %bb.488:                              ;   in Loop: Header=BB94_3 Depth=1
	v_div_scale_f64 v[2:3], null, v[14:15], v[14:15], v[12:13]
	v_div_scale_f64 v[38:39], vcc_lo, v[12:13], v[14:15], v[12:13]
	s_delay_alu instid0(VALU_DEP_2) | instskip(SKIP_1) | instid1(TRANS32_DEP_1)
	v_rcp_f64_e32 v[16:17], v[2:3]
	v_nop
	v_fma_f64 v[18:19], -v[2:3], v[16:17], 1.0
	s_delay_alu instid0(VALU_DEP_1) | instskip(NEXT) | instid1(VALU_DEP_1)
	v_fmac_f64_e32 v[16:17], v[16:17], v[18:19]
	v_fma_f64 v[18:19], -v[2:3], v[16:17], 1.0
	s_delay_alu instid0(VALU_DEP_1) | instskip(NEXT) | instid1(VALU_DEP_1)
	v_fmac_f64_e32 v[16:17], v[16:17], v[18:19]
	v_mul_f64_e32 v[18:19], v[38:39], v[16:17]
	s_delay_alu instid0(VALU_DEP_1) | instskip(NEXT) | instid1(VALU_DEP_1)
	v_fma_f64 v[2:3], -v[2:3], v[18:19], v[38:39]
	v_div_fmas_f64 v[2:3], v[2:3], v[16:17], v[18:19]
	s_delay_alu instid0(VALU_DEP_1) | instskip(NEXT) | instid1(VALU_DEP_1)
	v_div_fixup_f64 v[2:3], v[2:3], v[14:15], v[12:13]
	v_fmac_f64_e32 v[14:15], v[12:13], v[2:3]
	s_delay_alu instid0(VALU_DEP_1) | instskip(NEXT) | instid1(VALU_DEP_1)
	v_div_scale_f64 v[12:13], null, v[14:15], v[14:15], 1.0
	v_rcp_f64_e32 v[16:17], v[12:13]
	v_nop
	s_delay_alu instid0(TRANS32_DEP_1) | instskip(NEXT) | instid1(VALU_DEP_1)
	v_fma_f64 v[18:19], -v[12:13], v[16:17], 1.0
	v_fmac_f64_e32 v[16:17], v[16:17], v[18:19]
	s_delay_alu instid0(VALU_DEP_1) | instskip(NEXT) | instid1(VALU_DEP_1)
	v_fma_f64 v[18:19], -v[12:13], v[16:17], 1.0
	v_fmac_f64_e32 v[16:17], v[16:17], v[18:19]
	v_div_scale_f64 v[18:19], vcc_lo, 1.0, v[14:15], 1.0
	s_delay_alu instid0(VALU_DEP_1) | instskip(NEXT) | instid1(VALU_DEP_1)
	v_mul_f64_e32 v[38:39], v[18:19], v[16:17]
	v_fma_f64 v[12:13], -v[12:13], v[38:39], v[18:19]
	s_delay_alu instid0(VALU_DEP_1) | instskip(NEXT) | instid1(VALU_DEP_1)
	v_div_fmas_f64 v[12:13], v[12:13], v[16:17], v[38:39]
	v_div_fixup_f64 v[18:19], v[12:13], v[14:15], 1.0
                                        ; implicit-def: $vgpr12_vgpr13
	s_delay_alu instid0(VALU_DEP_1)
	v_mul_f64_e32 v[16:17], v[2:3], v[18:19]
	v_xor_b32_e32 v19, 0x80000000, v19
.LBB94_489:                             ;   in Loop: Header=BB94_3 Depth=1
	s_and_not1_saveexec_b32 s63, s63
	s_cbranch_execz .LBB94_491
; %bb.490:                              ;   in Loop: Header=BB94_3 Depth=1
	v_div_scale_f64 v[2:3], null, v[12:13], v[12:13], v[14:15]
	v_div_scale_f64 v[38:39], vcc_lo, v[14:15], v[12:13], v[14:15]
	s_delay_alu instid0(VALU_DEP_2) | instskip(SKIP_1) | instid1(TRANS32_DEP_1)
	v_rcp_f64_e32 v[16:17], v[2:3]
	v_nop
	v_fma_f64 v[18:19], -v[2:3], v[16:17], 1.0
	s_delay_alu instid0(VALU_DEP_1) | instskip(NEXT) | instid1(VALU_DEP_1)
	v_fmac_f64_e32 v[16:17], v[16:17], v[18:19]
	v_fma_f64 v[18:19], -v[2:3], v[16:17], 1.0
	s_delay_alu instid0(VALU_DEP_1) | instskip(NEXT) | instid1(VALU_DEP_1)
	v_fmac_f64_e32 v[16:17], v[16:17], v[18:19]
	v_mul_f64_e32 v[18:19], v[38:39], v[16:17]
	s_delay_alu instid0(VALU_DEP_1) | instskip(NEXT) | instid1(VALU_DEP_1)
	v_fma_f64 v[2:3], -v[2:3], v[18:19], v[38:39]
	v_div_fmas_f64 v[2:3], v[2:3], v[16:17], v[18:19]
	s_delay_alu instid0(VALU_DEP_1) | instskip(NEXT) | instid1(VALU_DEP_1)
	v_div_fixup_f64 v[2:3], v[2:3], v[12:13], v[14:15]
	v_fmac_f64_e32 v[12:13], v[14:15], v[2:3]
	s_delay_alu instid0(VALU_DEP_1) | instskip(NEXT) | instid1(VALU_DEP_1)
	v_div_scale_f64 v[14:15], null, v[12:13], v[12:13], 1.0
	v_rcp_f64_e32 v[16:17], v[14:15]
	v_nop
	s_delay_alu instid0(TRANS32_DEP_1) | instskip(NEXT) | instid1(VALU_DEP_1)
	v_fma_f64 v[18:19], -v[14:15], v[16:17], 1.0
	v_fmac_f64_e32 v[16:17], v[16:17], v[18:19]
	s_delay_alu instid0(VALU_DEP_1) | instskip(NEXT) | instid1(VALU_DEP_1)
	v_fma_f64 v[18:19], -v[14:15], v[16:17], 1.0
	v_fmac_f64_e32 v[16:17], v[16:17], v[18:19]
	v_div_scale_f64 v[18:19], vcc_lo, 1.0, v[12:13], 1.0
	s_delay_alu instid0(VALU_DEP_1) | instskip(NEXT) | instid1(VALU_DEP_1)
	v_mul_f64_e32 v[38:39], v[18:19], v[16:17]
	v_fma_f64 v[14:15], -v[14:15], v[38:39], v[18:19]
	s_delay_alu instid0(VALU_DEP_1) | instskip(NEXT) | instid1(VALU_DEP_1)
	v_div_fmas_f64 v[14:15], v[14:15], v[16:17], v[38:39]
	v_div_fixup_f64 v[16:17], v[14:15], v[12:13], 1.0
	s_delay_alu instid0(VALU_DEP_1)
	v_mul_f64_e64 v[18:19], v[2:3], -v[16:17]
.LBB94_491:                             ;   in Loop: Header=BB94_3 Depth=1
	s_or_b32 exec_lo, exec_lo, s63
	ds_store_b128 v67, v[16:19]
.LBB94_492:                             ;   in Loop: Header=BB94_3 Depth=1
	s_or_b32 exec_lo, exec_lo, s62
	s_and_not1_saveexec_b32 s37, s37
	s_cbranch_execnz .LBB94_16
	s_branch .LBB94_17
.LBB94_493:                             ;   in Loop: Header=BB94_3 Depth=1
	s_mov_b32 s63, exec_lo
	v_readlane_b32 s100, v76, 14
	s_and_b32 s100, s63, s100
	s_delay_alu instid0(SALU_CYCLE_1)
	s_xor_b32 s63, s100, s63
	s_mov_b32 exec_lo, s100
	s_cbranch_execz .LBB94_495
; %bb.494:                              ;   in Loop: Header=BB94_3 Depth=1
	v_readlane_b32 s62, v76, 28
	s_and_b32 s62, s62, exec_lo
.LBB94_495:                             ;   in Loop: Header=BB94_3 Depth=1
	s_or_saveexec_b32 s63, s63
	v_mov_b64_e32 v[14:15], 0
	v_mov_b64_e32 v[12:13], 0
	s_xor_b32 exec_lo, exec_lo, s63
	s_cbranch_execz .LBB94_501
; %bb.496:                              ;   in Loop: Header=BB94_3 Depth=1
	v_lshl_add_u64 v[2:3], v[30:31], 4, s[60:61]
                                        ; implicit-def: $vgpr14_vgpr15
	global_load_b128 v[16:19], v[2:3], off
	s_wait_loadcnt 0x0
	v_cmp_ngt_f64_e64 s100, |v[16:17]|, |v[18:19]|
	s_and_saveexec_b32 s101, s100
	s_delay_alu instid0(SALU_CYCLE_1)
	s_xor_b32 s100, exec_lo, s101
	s_cbranch_execz .LBB94_498
; %bb.497:                              ;   in Loop: Header=BB94_3 Depth=1
	v_div_scale_f64 v[2:3], null, v[18:19], v[18:19], v[16:17]
	v_div_scale_f64 v[38:39], vcc_lo, v[16:17], v[18:19], v[16:17]
	s_delay_alu instid0(VALU_DEP_2) | instskip(SKIP_1) | instid1(TRANS32_DEP_1)
	v_rcp_f64_e32 v[12:13], v[2:3]
	v_nop
	v_fma_f64 v[14:15], -v[2:3], v[12:13], 1.0
	s_delay_alu instid0(VALU_DEP_1) | instskip(NEXT) | instid1(VALU_DEP_1)
	v_fmac_f64_e32 v[12:13], v[12:13], v[14:15]
	v_fma_f64 v[14:15], -v[2:3], v[12:13], 1.0
	s_delay_alu instid0(VALU_DEP_1) | instskip(NEXT) | instid1(VALU_DEP_1)
	v_fmac_f64_e32 v[12:13], v[12:13], v[14:15]
	v_mul_f64_e32 v[14:15], v[38:39], v[12:13]
	s_delay_alu instid0(VALU_DEP_1) | instskip(NEXT) | instid1(VALU_DEP_1)
	v_fma_f64 v[2:3], -v[2:3], v[14:15], v[38:39]
	v_div_fmas_f64 v[2:3], v[2:3], v[12:13], v[14:15]
	s_delay_alu instid0(VALU_DEP_1) | instskip(NEXT) | instid1(VALU_DEP_1)
	v_div_fixup_f64 v[2:3], v[2:3], v[18:19], v[16:17]
	v_fmac_f64_e32 v[18:19], v[16:17], v[2:3]
	s_delay_alu instid0(VALU_DEP_1) | instskip(NEXT) | instid1(VALU_DEP_1)
	v_div_scale_f64 v[12:13], null, v[18:19], v[18:19], 1.0
	v_rcp_f64_e32 v[14:15], v[12:13]
	v_nop
	s_delay_alu instid0(TRANS32_DEP_1) | instskip(NEXT) | instid1(VALU_DEP_1)
	v_fma_f64 v[16:17], -v[12:13], v[14:15], 1.0
	v_fmac_f64_e32 v[14:15], v[14:15], v[16:17]
	s_delay_alu instid0(VALU_DEP_1) | instskip(NEXT) | instid1(VALU_DEP_1)
	v_fma_f64 v[16:17], -v[12:13], v[14:15], 1.0
	v_fmac_f64_e32 v[14:15], v[14:15], v[16:17]
	v_div_scale_f64 v[16:17], vcc_lo, 1.0, v[18:19], 1.0
	s_delay_alu instid0(VALU_DEP_1) | instskip(NEXT) | instid1(VALU_DEP_1)
	v_mul_f64_e32 v[38:39], v[16:17], v[14:15]
	v_fma_f64 v[12:13], -v[12:13], v[38:39], v[16:17]
	s_delay_alu instid0(VALU_DEP_1) | instskip(NEXT) | instid1(VALU_DEP_1)
	v_div_fmas_f64 v[12:13], v[12:13], v[14:15], v[38:39]
	v_div_fixup_f64 v[14:15], v[12:13], v[18:19], 1.0
                                        ; implicit-def: $vgpr16_vgpr17
	s_delay_alu instid0(VALU_DEP_1)
	v_mul_f64_e32 v[12:13], v[2:3], v[14:15]
	v_xor_b32_e32 v15, 0x80000000, v15
.LBB94_498:                             ;   in Loop: Header=BB94_3 Depth=1
	s_and_not1_saveexec_b32 s100, s100
	s_cbranch_execz .LBB94_500
; %bb.499:                              ;   in Loop: Header=BB94_3 Depth=1
	v_div_scale_f64 v[2:3], null, v[16:17], v[16:17], v[18:19]
	v_div_scale_f64 v[38:39], vcc_lo, v[18:19], v[16:17], v[18:19]
	s_delay_alu instid0(VALU_DEP_2) | instskip(SKIP_1) | instid1(TRANS32_DEP_1)
	v_rcp_f64_e32 v[12:13], v[2:3]
	v_nop
	v_fma_f64 v[14:15], -v[2:3], v[12:13], 1.0
	s_delay_alu instid0(VALU_DEP_1) | instskip(NEXT) | instid1(VALU_DEP_1)
	v_fmac_f64_e32 v[12:13], v[12:13], v[14:15]
	v_fma_f64 v[14:15], -v[2:3], v[12:13], 1.0
	s_delay_alu instid0(VALU_DEP_1) | instskip(NEXT) | instid1(VALU_DEP_1)
	v_fmac_f64_e32 v[12:13], v[12:13], v[14:15]
	v_mul_f64_e32 v[14:15], v[38:39], v[12:13]
	s_delay_alu instid0(VALU_DEP_1) | instskip(NEXT) | instid1(VALU_DEP_1)
	v_fma_f64 v[2:3], -v[2:3], v[14:15], v[38:39]
	v_div_fmas_f64 v[2:3], v[2:3], v[12:13], v[14:15]
	s_delay_alu instid0(VALU_DEP_1) | instskip(NEXT) | instid1(VALU_DEP_1)
	v_div_fixup_f64 v[2:3], v[2:3], v[16:17], v[18:19]
	v_fmac_f64_e32 v[16:17], v[18:19], v[2:3]
	s_delay_alu instid0(VALU_DEP_1) | instskip(NEXT) | instid1(VALU_DEP_1)
	v_div_scale_f64 v[12:13], null, v[16:17], v[16:17], 1.0
	v_rcp_f64_e32 v[14:15], v[12:13]
	v_nop
	s_delay_alu instid0(TRANS32_DEP_1) | instskip(NEXT) | instid1(VALU_DEP_1)
	v_fma_f64 v[18:19], -v[12:13], v[14:15], 1.0
	v_fmac_f64_e32 v[14:15], v[14:15], v[18:19]
	s_delay_alu instid0(VALU_DEP_1) | instskip(NEXT) | instid1(VALU_DEP_1)
	v_fma_f64 v[18:19], -v[12:13], v[14:15], 1.0
	v_fmac_f64_e32 v[14:15], v[14:15], v[18:19]
	v_div_scale_f64 v[18:19], vcc_lo, 1.0, v[16:17], 1.0
	s_delay_alu instid0(VALU_DEP_1) | instskip(NEXT) | instid1(VALU_DEP_1)
	v_mul_f64_e32 v[38:39], v[18:19], v[14:15]
	v_fma_f64 v[12:13], -v[12:13], v[38:39], v[18:19]
	s_delay_alu instid0(VALU_DEP_1) | instskip(NEXT) | instid1(VALU_DEP_1)
	v_div_fmas_f64 v[12:13], v[12:13], v[14:15], v[38:39]
	v_div_fixup_f64 v[12:13], v[12:13], v[16:17], 1.0
	s_delay_alu instid0(VALU_DEP_1)
	v_mul_f64_e64 v[14:15], v[2:3], -v[12:13]
.LBB94_500:                             ;   in Loop: Header=BB94_3 Depth=1
	s_or_b32 exec_lo, exec_lo, s100
	s_delay_alu instid0(SALU_CYCLE_1)
	s_or_b32 s62, s62, exec_lo
.LBB94_501:                             ;   in Loop: Header=BB94_3 Depth=1
	s_or_b32 exec_lo, exec_lo, s63
	s_delay_alu instid0(SALU_CYCLE_1)
	s_and_b32 s62, s62, exec_lo
	s_and_not1_saveexec_b32 s37, s37
	s_cbranch_execz .LBB94_20
.LBB94_502:                             ;   in Loop: Header=BB94_3 Depth=1
	v_lshl_add_u64 v[2:3], v[30:31], 4, s[60:61]
	s_or_b32 s62, s62, exec_lo
	global_load_b128 v[12:15], v[2:3], off
	s_wait_loadcnt 0x0
	v_xor_b32_e32 v13, 0x80000000, v13
	v_xor_b32_e32 v15, 0x80000000, v15
	s_or_b32 exec_lo, exec_lo, s37
	s_and_saveexec_b32 s37, s62
	s_cbranch_execz .LBB94_21
.LBB94_503:                             ;   in Loop: Header=BB94_3 Depth=1
	ds_store_b128 v63, v[12:15]
	s_or_b32 exec_lo, exec_lo, s37
	s_and_saveexec_b32 s37, s99
	s_delay_alu instid0(SALU_CYCLE_1)
	s_xor_b32 s37, exec_lo, s37
	s_cbranch_execz .LBB94_22
.LBB94_504:                             ;   in Loop: Header=BB94_3 Depth=1
	s_mov_b32 s62, exec_lo
	v_readlane_b32 s63, v76, 16
	s_and_b32 s63, s62, s63
	s_delay_alu instid0(SALU_CYCLE_1)
	s_xor_b32 s62, s63, s62
	s_mov_b32 exec_lo, s63
	s_cbranch_execz .LBB94_508
; %bb.505:                              ;   in Loop: Header=BB94_3 Depth=1
	s_mov_b32 s63, exec_lo
	v_readlane_b32 s100, v76, 29
	s_and_b32 s100, s63, s100
	s_delay_alu instid0(SALU_CYCLE_1)
	s_mov_b32 exec_lo, s100
; %bb.506:                              ;   in Loop: Header=BB94_3 Depth=1
	v_dual_mov_b32 v0, v1 :: v_dual_mov_b32 v2, v1
	v_mov_b32_e32 v3, v1
	ds_store_b128 v67, v[0:3]
; %bb.507:                              ;   in Loop: Header=BB94_3 Depth=1
	s_or_b32 exec_lo, exec_lo, s63
.LBB94_508:                             ;   in Loop: Header=BB94_3 Depth=1
	s_and_not1_saveexec_b32 s62, s62
	s_cbranch_execz .LBB94_514
; %bb.509:                              ;   in Loop: Header=BB94_3 Depth=1
	v_lshl_add_u64 v[2:3], v[34:35], 4, s[60:61]
                                        ; implicit-def: $vgpr16_vgpr17
	global_load_b128 v[12:15], v[2:3], off
	s_wait_loadcnt 0x0
	v_cmp_ngt_f64_e64 s63, |v[12:13]|, |v[14:15]|
	s_and_saveexec_b32 s100, s63
	s_delay_alu instid0(SALU_CYCLE_1)
	s_xor_b32 s63, exec_lo, s100
	s_cbranch_execz .LBB94_511
; %bb.510:                              ;   in Loop: Header=BB94_3 Depth=1
	v_div_scale_f64 v[2:3], null, v[14:15], v[14:15], v[12:13]
	v_div_scale_f64 v[38:39], vcc_lo, v[12:13], v[14:15], v[12:13]
	s_delay_alu instid0(VALU_DEP_2) | instskip(SKIP_1) | instid1(TRANS32_DEP_1)
	v_rcp_f64_e32 v[16:17], v[2:3]
	v_nop
	v_fma_f64 v[18:19], -v[2:3], v[16:17], 1.0
	s_delay_alu instid0(VALU_DEP_1) | instskip(NEXT) | instid1(VALU_DEP_1)
	v_fmac_f64_e32 v[16:17], v[16:17], v[18:19]
	v_fma_f64 v[18:19], -v[2:3], v[16:17], 1.0
	s_delay_alu instid0(VALU_DEP_1) | instskip(NEXT) | instid1(VALU_DEP_1)
	v_fmac_f64_e32 v[16:17], v[16:17], v[18:19]
	v_mul_f64_e32 v[18:19], v[38:39], v[16:17]
	s_delay_alu instid0(VALU_DEP_1) | instskip(NEXT) | instid1(VALU_DEP_1)
	v_fma_f64 v[2:3], -v[2:3], v[18:19], v[38:39]
	v_div_fmas_f64 v[2:3], v[2:3], v[16:17], v[18:19]
	s_delay_alu instid0(VALU_DEP_1) | instskip(NEXT) | instid1(VALU_DEP_1)
	v_div_fixup_f64 v[2:3], v[2:3], v[14:15], v[12:13]
	v_fmac_f64_e32 v[14:15], v[12:13], v[2:3]
	s_delay_alu instid0(VALU_DEP_1) | instskip(NEXT) | instid1(VALU_DEP_1)
	v_div_scale_f64 v[12:13], null, v[14:15], v[14:15], 1.0
	v_rcp_f64_e32 v[16:17], v[12:13]
	v_nop
	s_delay_alu instid0(TRANS32_DEP_1) | instskip(NEXT) | instid1(VALU_DEP_1)
	v_fma_f64 v[18:19], -v[12:13], v[16:17], 1.0
	v_fmac_f64_e32 v[16:17], v[16:17], v[18:19]
	s_delay_alu instid0(VALU_DEP_1) | instskip(NEXT) | instid1(VALU_DEP_1)
	v_fma_f64 v[18:19], -v[12:13], v[16:17], 1.0
	v_fmac_f64_e32 v[16:17], v[16:17], v[18:19]
	v_div_scale_f64 v[18:19], vcc_lo, 1.0, v[14:15], 1.0
	s_delay_alu instid0(VALU_DEP_1) | instskip(NEXT) | instid1(VALU_DEP_1)
	v_mul_f64_e32 v[38:39], v[18:19], v[16:17]
	v_fma_f64 v[12:13], -v[12:13], v[38:39], v[18:19]
	s_delay_alu instid0(VALU_DEP_1) | instskip(NEXT) | instid1(VALU_DEP_1)
	v_div_fmas_f64 v[12:13], v[12:13], v[16:17], v[38:39]
	v_div_fixup_f64 v[18:19], v[12:13], v[14:15], 1.0
                                        ; implicit-def: $vgpr12_vgpr13
	s_delay_alu instid0(VALU_DEP_1)
	v_mul_f64_e32 v[16:17], v[2:3], v[18:19]
	v_xor_b32_e32 v19, 0x80000000, v19
.LBB94_511:                             ;   in Loop: Header=BB94_3 Depth=1
	s_and_not1_saveexec_b32 s63, s63
	s_cbranch_execz .LBB94_513
; %bb.512:                              ;   in Loop: Header=BB94_3 Depth=1
	v_div_scale_f64 v[2:3], null, v[12:13], v[12:13], v[14:15]
	v_div_scale_f64 v[38:39], vcc_lo, v[14:15], v[12:13], v[14:15]
	s_delay_alu instid0(VALU_DEP_2) | instskip(SKIP_1) | instid1(TRANS32_DEP_1)
	v_rcp_f64_e32 v[16:17], v[2:3]
	v_nop
	v_fma_f64 v[18:19], -v[2:3], v[16:17], 1.0
	s_delay_alu instid0(VALU_DEP_1) | instskip(NEXT) | instid1(VALU_DEP_1)
	v_fmac_f64_e32 v[16:17], v[16:17], v[18:19]
	v_fma_f64 v[18:19], -v[2:3], v[16:17], 1.0
	s_delay_alu instid0(VALU_DEP_1) | instskip(NEXT) | instid1(VALU_DEP_1)
	v_fmac_f64_e32 v[16:17], v[16:17], v[18:19]
	v_mul_f64_e32 v[18:19], v[38:39], v[16:17]
	s_delay_alu instid0(VALU_DEP_1) | instskip(NEXT) | instid1(VALU_DEP_1)
	v_fma_f64 v[2:3], -v[2:3], v[18:19], v[38:39]
	v_div_fmas_f64 v[2:3], v[2:3], v[16:17], v[18:19]
	s_delay_alu instid0(VALU_DEP_1) | instskip(NEXT) | instid1(VALU_DEP_1)
	v_div_fixup_f64 v[2:3], v[2:3], v[12:13], v[14:15]
	v_fmac_f64_e32 v[12:13], v[14:15], v[2:3]
	s_delay_alu instid0(VALU_DEP_1) | instskip(NEXT) | instid1(VALU_DEP_1)
	v_div_scale_f64 v[14:15], null, v[12:13], v[12:13], 1.0
	v_rcp_f64_e32 v[16:17], v[14:15]
	v_nop
	s_delay_alu instid0(TRANS32_DEP_1) | instskip(NEXT) | instid1(VALU_DEP_1)
	v_fma_f64 v[18:19], -v[14:15], v[16:17], 1.0
	v_fmac_f64_e32 v[16:17], v[16:17], v[18:19]
	s_delay_alu instid0(VALU_DEP_1) | instskip(NEXT) | instid1(VALU_DEP_1)
	v_fma_f64 v[18:19], -v[14:15], v[16:17], 1.0
	v_fmac_f64_e32 v[16:17], v[16:17], v[18:19]
	v_div_scale_f64 v[18:19], vcc_lo, 1.0, v[12:13], 1.0
	s_delay_alu instid0(VALU_DEP_1) | instskip(NEXT) | instid1(VALU_DEP_1)
	v_mul_f64_e32 v[38:39], v[18:19], v[16:17]
	v_fma_f64 v[14:15], -v[14:15], v[38:39], v[18:19]
	s_delay_alu instid0(VALU_DEP_1) | instskip(NEXT) | instid1(VALU_DEP_1)
	v_div_fmas_f64 v[14:15], v[14:15], v[16:17], v[38:39]
	v_div_fixup_f64 v[16:17], v[14:15], v[12:13], 1.0
	s_delay_alu instid0(VALU_DEP_1)
	v_mul_f64_e64 v[18:19], v[2:3], -v[16:17]
.LBB94_513:                             ;   in Loop: Header=BB94_3 Depth=1
	s_or_b32 exec_lo, exec_lo, s63
	ds_store_b128 v67, v[16:19]
.LBB94_514:                             ;   in Loop: Header=BB94_3 Depth=1
	s_or_b32 exec_lo, exec_lo, s62
	s_and_not1_saveexec_b32 s37, s37
	s_cbranch_execnz .LBB94_23
	s_branch .LBB94_24
.LBB94_515:                             ;   in Loop: Header=BB94_3 Depth=1
	s_or_b32 exec_lo, exec_lo, s61
	s_delay_alu instid0(SALU_CYCLE_1)
	s_and_b32 vcc_lo, exec_lo, s60
	s_cbranch_vccnz .LBB94_456
.LBB94_516:                             ;   in Loop: Header=BB94_3 Depth=1
	s_delay_alu instid0(VALU_DEP_1) | instskip(NEXT) | instid1(VALU_DEP_3)
	v_mov_b64_e32 v[14:15], v[2:3]
	v_mov_b64_e32 v[12:13], v[38:39]
	;; [unrolled: 1-line block ×3, first 2 shown]
	s_and_saveexec_b32 s60, s37
	s_cbranch_execz .LBB94_518
.LBB94_517:                             ;   in Loop: Header=BB94_3 Depth=1
	s_delay_alu instid0(VALU_DEP_1)
	v_lshl_add_u64 v[2:3], v[2:3], 4, s[62:63]
	global_store_b128 v[2:3], v[12:15], off
.LBB94_518:                             ;   in Loop: Header=BB94_3 Depth=1
	s_wait_xcnt 0x0
	s_or_b32 exec_lo, exec_lo, s60
	global_wb scope:SCOPE_DEV
	s_wait_storecnt 0x0
	global_inv scope:SCOPE_DEV
	s_wait_loadcnt 0x0
	s_barrier_signal -1
	s_barrier_wait -1
	s_and_saveexec_b32 s37, s30
	s_cbranch_execz .LBB94_2
; %bb.519:                              ;   in Loop: Header=BB94_3 Depth=1
	s_lshl_b64 s[60:61], s[56:57], 2
	s_delay_alu instid0(SALU_CYCLE_1)
	s_add_nc_u64 s[60:61], s[58:59], s[60:61]
	global_load_b32 v0, v1, s[60:61]
	s_wait_loadcnt 0x0
	v_add_nc_u32_e32 v0, 1, v0
	global_store_b32 v1, v0, s[60:61]
	s_branch .LBB94_2
.LBB94_520:                             ;   in Loop: Header=BB94_3 Depth=1
	ds_load_b128 v[16:19], v45 offset:16
	ds_load_b128 v[68:71], v49 offset:576
	s_wait_dscnt 0x0
	v_mul_f64_e32 v[2:3], v[18:19], v[70:71]
	v_mul_f64_e32 v[38:39], v[16:17], v[70:71]
	s_delay_alu instid0(VALU_DEP_2) | instskip(NEXT) | instid1(VALU_DEP_2)
	v_fma_f64 v[2:3], v[16:17], v[68:69], -v[2:3]
	v_fmac_f64_e32 v[38:39], v[18:19], v[68:69]
	s_delay_alu instid0(VALU_DEP_2) | instskip(NEXT) | instid1(VALU_DEP_2)
	v_add_f64_e32 v[12:13], v[12:13], v[2:3]
	v_add_f64_e32 v[14:15], v[14:15], v[38:39]
	s_or_b32 exec_lo, exec_lo, s62
	s_and_saveexec_b32 s62, s13
	s_cbranch_execz .LBB94_45
.LBB94_521:                             ;   in Loop: Header=BB94_3 Depth=1
	ds_load_b128 v[16:19], v45 offset:32
	ds_load_b128 v[68:71], v48 offset:1088
	s_wait_dscnt 0x0
	v_mul_f64_e32 v[2:3], v[18:19], v[70:71]
	v_mul_f64_e32 v[38:39], v[16:17], v[70:71]
	s_delay_alu instid0(VALU_DEP_2) | instskip(NEXT) | instid1(VALU_DEP_2)
	v_fma_f64 v[2:3], v[16:17], v[68:69], -v[2:3]
	v_fmac_f64_e32 v[38:39], v[18:19], v[68:69]
	s_delay_alu instid0(VALU_DEP_2) | instskip(NEXT) | instid1(VALU_DEP_2)
	v_add_f64_e32 v[12:13], v[12:13], v[2:3]
	v_add_f64_e32 v[14:15], v[14:15], v[38:39]
	s_or_b32 exec_lo, exec_lo, s62
	s_and_saveexec_b32 s62, s0
	s_cbranch_execnz .LBB94_46
	s_branch .LBB94_47
.LBB94_522:                             ;   in Loop: Header=BB94_3 Depth=1
	ds_load_b128 v[16:19], v50 offset:16
	ds_load_b128 v[68:71], v54 offset:640
	s_wait_dscnt 0x0
	v_mul_f64_e32 v[2:3], v[18:19], v[70:71]
	v_mul_f64_e32 v[38:39], v[16:17], v[70:71]
	s_delay_alu instid0(VALU_DEP_2) | instskip(NEXT) | instid1(VALU_DEP_2)
	v_fma_f64 v[2:3], v[16:17], v[68:69], -v[2:3]
	v_fmac_f64_e32 v[38:39], v[18:19], v[68:69]
	s_delay_alu instid0(VALU_DEP_2) | instskip(NEXT) | instid1(VALU_DEP_2)
	v_add_f64_e32 v[12:13], v[12:13], v[2:3]
	v_add_f64_e32 v[14:15], v[14:15], v[38:39]
	s_or_b32 exec_lo, exec_lo, s62
	s_and_saveexec_b32 s62, s15
	s_cbranch_execz .LBB94_83
.LBB94_523:                             ;   in Loop: Header=BB94_3 Depth=1
	ds_load_b128 v[16:19], v50 offset:32
	ds_load_b128 v[68:71], v54 offset:1152
	s_wait_dscnt 0x0
	v_mul_f64_e32 v[2:3], v[18:19], v[70:71]
	v_mul_f64_e32 v[38:39], v[16:17], v[70:71]
	s_delay_alu instid0(VALU_DEP_2) | instskip(NEXT) | instid1(VALU_DEP_2)
	v_fma_f64 v[2:3], v[16:17], v[68:69], -v[2:3]
	v_fmac_f64_e32 v[38:39], v[18:19], v[68:69]
	s_delay_alu instid0(VALU_DEP_2) | instskip(NEXT) | instid1(VALU_DEP_2)
	v_add_f64_e32 v[12:13], v[12:13], v[2:3]
	v_add_f64_e32 v[14:15], v[14:15], v[38:39]
	s_or_b32 exec_lo, exec_lo, s62
	s_and_saveexec_b32 s62, s16
	s_cbranch_execz .LBB94_84
.LBB94_524:                             ;   in Loop: Header=BB94_3 Depth=1
	ds_load_b128 v[16:19], v50 offset:48
	ds_load_b128 v[68:71], v54 offset:1664
	s_wait_dscnt 0x0
	v_mul_f64_e32 v[2:3], v[18:19], v[70:71]
	v_mul_f64_e32 v[38:39], v[16:17], v[70:71]
	s_delay_alu instid0(VALU_DEP_2) | instskip(NEXT) | instid1(VALU_DEP_2)
	v_fma_f64 v[2:3], v[16:17], v[68:69], -v[2:3]
	v_fmac_f64_e32 v[38:39], v[18:19], v[68:69]
	s_delay_alu instid0(VALU_DEP_2) | instskip(NEXT) | instid1(VALU_DEP_2)
	v_add_f64_e32 v[12:13], v[12:13], v[2:3]
	v_add_f64_e32 v[14:15], v[14:15], v[38:39]
	s_or_b32 exec_lo, exec_lo, s62
	s_and_saveexec_b32 s62, s17
	s_cbranch_execz .LBB94_85
.LBB94_525:                             ;   in Loop: Header=BB94_3 Depth=1
	ds_load_b128 v[16:19], v50 offset:64
	ds_load_b128 v[68:71], v53 offset:2176
	s_wait_dscnt 0x0
	v_mul_f64_e32 v[2:3], v[18:19], v[70:71]
	v_mul_f64_e32 v[38:39], v[16:17], v[70:71]
	s_delay_alu instid0(VALU_DEP_2) | instskip(NEXT) | instid1(VALU_DEP_2)
	v_fma_f64 v[2:3], v[16:17], v[68:69], -v[2:3]
	v_fmac_f64_e32 v[38:39], v[18:19], v[68:69]
	s_delay_alu instid0(VALU_DEP_2) | instskip(NEXT) | instid1(VALU_DEP_2)
	v_add_f64_e32 v[12:13], v[12:13], v[2:3]
	v_add_f64_e32 v[14:15], v[14:15], v[38:39]
	s_or_b32 exec_lo, exec_lo, s62
	s_and_saveexec_b32 s62, s18
	s_cbranch_execz .LBB94_86
.LBB94_526:                             ;   in Loop: Header=BB94_3 Depth=1
	ds_load_b128 v[16:19], v50 offset:80
	ds_load_b128 v[68:71], v54 offset:2688
	s_wait_dscnt 0x0
	v_mul_f64_e32 v[2:3], v[18:19], v[70:71]
	v_mul_f64_e32 v[38:39], v[16:17], v[70:71]
	s_delay_alu instid0(VALU_DEP_2) | instskip(NEXT) | instid1(VALU_DEP_2)
	v_fma_f64 v[2:3], v[16:17], v[68:69], -v[2:3]
	v_fmac_f64_e32 v[38:39], v[18:19], v[68:69]
	s_delay_alu instid0(VALU_DEP_2) | instskip(NEXT) | instid1(VALU_DEP_2)
	v_add_f64_e32 v[12:13], v[12:13], v[2:3]
	v_add_f64_e32 v[14:15], v[14:15], v[38:39]
	s_or_b32 exec_lo, exec_lo, s62
	s_and_saveexec_b32 s62, s1
	s_cbranch_execz .LBB94_87
.LBB94_527:                             ;   in Loop: Header=BB94_3 Depth=1
	ds_load_b128 v[16:19], v50 offset:96
	ds_load_b128 v[68:71], v53 offset:3200
	s_wait_dscnt 0x0
	v_mul_f64_e32 v[2:3], v[18:19], v[70:71]
	v_mul_f64_e32 v[38:39], v[16:17], v[70:71]
	s_delay_alu instid0(VALU_DEP_2) | instskip(NEXT) | instid1(VALU_DEP_2)
	v_fma_f64 v[2:3], v[16:17], v[68:69], -v[2:3]
	v_fmac_f64_e32 v[38:39], v[18:19], v[68:69]
	s_delay_alu instid0(VALU_DEP_2) | instskip(NEXT) | instid1(VALU_DEP_2)
	v_add_f64_e32 v[12:13], v[12:13], v[2:3]
	v_add_f64_e32 v[14:15], v[14:15], v[38:39]
	s_or_b32 exec_lo, exec_lo, s62
	s_and_saveexec_b32 s62, s13
	s_cbranch_execnz .LBB94_88
	s_branch .LBB94_89
.LBB94_528:                             ;   in Loop: Header=BB94_3 Depth=1
	ds_load_b128 v[16:19], v45 offset:4240
	ds_load_b128 v[68:71], v49 offset:4800
	s_wait_dscnt 0x0
	v_mul_f64_e32 v[2:3], v[18:19], v[70:71]
	v_mul_f64_e32 v[38:39], v[16:17], v[70:71]
	s_delay_alu instid0(VALU_DEP_2) | instskip(NEXT) | instid1(VALU_DEP_2)
	v_fma_f64 v[2:3], v[16:17], v[68:69], -v[2:3]
	v_fmac_f64_e32 v[38:39], v[18:19], v[68:69]
	s_delay_alu instid0(VALU_DEP_2) | instskip(NEXT) | instid1(VALU_DEP_2)
	v_add_f64_e32 v[12:13], v[12:13], v[2:3]
	v_add_f64_e32 v[14:15], v[14:15], v[38:39]
	s_or_b32 exec_lo, exec_lo, s62
	s_and_saveexec_b32 s62, s13
	s_cbranch_execz .LBB94_141
.LBB94_529:                             ;   in Loop: Header=BB94_3 Depth=1
	ds_load_b128 v[16:19], v45 offset:4256
	ds_load_b128 v[68:71], v48 offset:5312
	s_wait_dscnt 0x0
	v_mul_f64_e32 v[2:3], v[18:19], v[70:71]
	v_mul_f64_e32 v[38:39], v[16:17], v[70:71]
	s_delay_alu instid0(VALU_DEP_2) | instskip(NEXT) | instid1(VALU_DEP_2)
	v_fma_f64 v[2:3], v[16:17], v[68:69], -v[2:3]
	v_fmac_f64_e32 v[38:39], v[18:19], v[68:69]
	s_delay_alu instid0(VALU_DEP_2) | instskip(NEXT) | instid1(VALU_DEP_2)
	v_add_f64_e32 v[12:13], v[12:13], v[2:3]
	v_add_f64_e32 v[14:15], v[14:15], v[38:39]
	s_or_b32 exec_lo, exec_lo, s62
	s_and_saveexec_b32 s62, s0
	s_cbranch_execnz .LBB94_142
	s_branch .LBB94_143
.LBB94_530:                             ;   in Loop: Header=BB94_3 Depth=1
	ds_load_b128 v[16:19], v0 offset:176
	ds_load_b128 v[68:71], v59 offset:5888
	s_wait_dscnt 0x0
	v_mul_f64_e32 v[2:3], v[18:19], v[70:71]
	v_mul_f64_e32 v[38:39], v[16:17], v[70:71]
	s_delay_alu instid0(VALU_DEP_2) | instskip(NEXT) | instid1(VALU_DEP_2)
	v_fma_f64 v[2:3], v[16:17], v[68:69], -v[2:3]
	v_fmac_f64_e32 v[38:39], v[18:19], v[68:69]
	s_delay_alu instid0(VALU_DEP_2) | instskip(NEXT) | instid1(VALU_DEP_2)
	v_add_f64_e32 v[12:13], v[12:13], v[2:3]
	v_add_f64_e32 v[14:15], v[14:15], v[38:39]
	s_or_b32 exec_lo, exec_lo, s62
	s_and_saveexec_b32 s62, s2
	s_cbranch_execz .LBB94_199
.LBB94_531:                             ;   in Loop: Header=BB94_3 Depth=1
	ds_load_b128 v[16:19], v0 offset:192
	ds_load_b128 v[68:71], v59 offset:6400
	s_wait_dscnt 0x0
	v_mul_f64_e32 v[2:3], v[18:19], v[70:71]
	v_mul_f64_e32 v[38:39], v[16:17], v[70:71]
	s_delay_alu instid0(VALU_DEP_2) | instskip(NEXT) | instid1(VALU_DEP_2)
	v_fma_f64 v[2:3], v[16:17], v[68:69], -v[2:3]
	v_fmac_f64_e32 v[38:39], v[18:19], v[68:69]
	s_delay_alu instid0(VALU_DEP_2) | instskip(NEXT) | instid1(VALU_DEP_2)
	v_add_f64_e32 v[12:13], v[12:13], v[2:3]
	v_add_f64_e32 v[14:15], v[14:15], v[38:39]
	s_or_b32 exec_lo, exec_lo, s62
	s_and_saveexec_b32 s62, s15
	s_cbranch_execz .LBB94_200
.LBB94_532:                             ;   in Loop: Header=BB94_3 Depth=1
	ds_load_b128 v[16:19], v0 offset:208
	ds_load_b128 v[68:71], v59 offset:6912
	s_wait_dscnt 0x0
	v_mul_f64_e32 v[2:3], v[18:19], v[70:71]
	v_mul_f64_e32 v[38:39], v[16:17], v[70:71]
	s_delay_alu instid0(VALU_DEP_2) | instskip(NEXT) | instid1(VALU_DEP_2)
	v_fma_f64 v[2:3], v[16:17], v[68:69], -v[2:3]
	v_fmac_f64_e32 v[38:39], v[18:19], v[68:69]
	s_delay_alu instid0(VALU_DEP_2) | instskip(NEXT) | instid1(VALU_DEP_2)
	v_add_f64_e32 v[12:13], v[12:13], v[2:3]
	v_add_f64_e32 v[14:15], v[14:15], v[38:39]
	s_or_b32 exec_lo, exec_lo, s62
	s_and_saveexec_b32 s62, s17
	s_cbranch_execz .LBB94_201
.LBB94_533:                             ;   in Loop: Header=BB94_3 Depth=1
	ds_load_b128 v[16:19], v0 offset:224
	ds_load_b128 v[68:71], v59 offset:7424
	s_wait_dscnt 0x0
	v_mul_f64_e32 v[2:3], v[18:19], v[70:71]
	v_mul_f64_e32 v[38:39], v[16:17], v[70:71]
	s_delay_alu instid0(VALU_DEP_2) | instskip(NEXT) | instid1(VALU_DEP_2)
	v_fma_f64 v[2:3], v[16:17], v[68:69], -v[2:3]
	v_fmac_f64_e32 v[38:39], v[18:19], v[68:69]
	s_delay_alu instid0(VALU_DEP_2) | instskip(NEXT) | instid1(VALU_DEP_2)
	v_add_f64_e32 v[12:13], v[12:13], v[2:3]
	v_add_f64_e32 v[14:15], v[14:15], v[38:39]
	s_or_b32 exec_lo, exec_lo, s62
	s_and_saveexec_b32 s62, s1
	s_cbranch_execnz .LBB94_202
	s_branch .LBB94_203
.LBB94_534:                             ;   in Loop: Header=BB94_3 Depth=1
	ds_load_b128 v[16:19], v45 offset:8464
	ds_load_b128 v[68:71], v49 offset:9024
	s_wait_dscnt 0x0
	v_mul_f64_e32 v[2:3], v[18:19], v[70:71]
	v_mul_f64_e32 v[38:39], v[16:17], v[70:71]
	s_delay_alu instid0(VALU_DEP_2) | instskip(NEXT) | instid1(VALU_DEP_2)
	v_fma_f64 v[2:3], v[16:17], v[68:69], -v[2:3]
	v_fmac_f64_e32 v[38:39], v[18:19], v[68:69]
	s_delay_alu instid0(VALU_DEP_2) | instskip(NEXT) | instid1(VALU_DEP_2)
	v_add_f64_e32 v[12:13], v[12:13], v[2:3]
	v_add_f64_e32 v[14:15], v[14:15], v[38:39]
	s_or_b32 exec_lo, exec_lo, s62
	s_and_saveexec_b32 s62, s13
	s_cbranch_execz .LBB94_287
.LBB94_535:                             ;   in Loop: Header=BB94_3 Depth=1
	ds_load_b128 v[16:19], v45 offset:8480
	ds_load_b128 v[68:71], v48 offset:9536
	s_wait_dscnt 0x0
	v_mul_f64_e32 v[2:3], v[18:19], v[70:71]
	v_mul_f64_e32 v[38:39], v[16:17], v[70:71]
	s_delay_alu instid0(VALU_DEP_2) | instskip(NEXT) | instid1(VALU_DEP_2)
	v_fma_f64 v[2:3], v[16:17], v[68:69], -v[2:3]
	v_fmac_f64_e32 v[38:39], v[18:19], v[68:69]
	s_delay_alu instid0(VALU_DEP_2) | instskip(NEXT) | instid1(VALU_DEP_2)
	v_add_f64_e32 v[12:13], v[12:13], v[2:3]
	v_add_f64_e32 v[14:15], v[14:15], v[38:39]
	s_or_b32 exec_lo, exec_lo, s62
	s_and_saveexec_b32 s62, s0
	s_cbranch_execnz .LBB94_288
	s_branch .LBB94_289
.LBB94_536:                             ;   in Loop: Header=BB94_3 Depth=1
	ds_load_b128 v[16:19], v50 offset:8464
	ds_load_b128 v[68:71], v54 offset:9088
	s_wait_dscnt 0x0
	v_mul_f64_e32 v[2:3], v[18:19], v[70:71]
	v_mul_f64_e32 v[38:39], v[16:17], v[70:71]
	s_delay_alu instid0(VALU_DEP_2) | instskip(NEXT) | instid1(VALU_DEP_2)
	v_fma_f64 v[2:3], v[16:17], v[68:69], -v[2:3]
	v_fmac_f64_e32 v[38:39], v[18:19], v[68:69]
	s_delay_alu instid0(VALU_DEP_2) | instskip(NEXT) | instid1(VALU_DEP_2)
	v_add_f64_e32 v[12:13], v[12:13], v[2:3]
	v_add_f64_e32 v[14:15], v[14:15], v[38:39]
	s_or_b32 exec_lo, exec_lo, s62
	s_and_saveexec_b32 s62, s15
	s_cbranch_execz .LBB94_325
.LBB94_537:                             ;   in Loop: Header=BB94_3 Depth=1
	ds_load_b128 v[16:19], v50 offset:8480
	ds_load_b128 v[68:71], v54 offset:9600
	s_wait_dscnt 0x0
	v_mul_f64_e32 v[2:3], v[18:19], v[70:71]
	v_mul_f64_e32 v[38:39], v[16:17], v[70:71]
	s_delay_alu instid0(VALU_DEP_2) | instskip(NEXT) | instid1(VALU_DEP_2)
	v_fma_f64 v[2:3], v[16:17], v[68:69], -v[2:3]
	v_fmac_f64_e32 v[38:39], v[18:19], v[68:69]
	s_delay_alu instid0(VALU_DEP_2) | instskip(NEXT) | instid1(VALU_DEP_2)
	v_add_f64_e32 v[12:13], v[12:13], v[2:3]
	v_add_f64_e32 v[14:15], v[14:15], v[38:39]
	s_or_b32 exec_lo, exec_lo, s62
	s_and_saveexec_b32 s62, s16
	s_cbranch_execz .LBB94_326
.LBB94_538:                             ;   in Loop: Header=BB94_3 Depth=1
	ds_load_b128 v[16:19], v50 offset:8496
	ds_load_b128 v[68:71], v54 offset:10112
	s_wait_dscnt 0x0
	v_mul_f64_e32 v[2:3], v[18:19], v[70:71]
	v_mul_f64_e32 v[38:39], v[16:17], v[70:71]
	s_delay_alu instid0(VALU_DEP_2) | instskip(NEXT) | instid1(VALU_DEP_2)
	v_fma_f64 v[2:3], v[16:17], v[68:69], -v[2:3]
	v_fmac_f64_e32 v[38:39], v[18:19], v[68:69]
	s_delay_alu instid0(VALU_DEP_2) | instskip(NEXT) | instid1(VALU_DEP_2)
	v_add_f64_e32 v[12:13], v[12:13], v[2:3]
	v_add_f64_e32 v[14:15], v[14:15], v[38:39]
	s_or_b32 exec_lo, exec_lo, s62
	s_and_saveexec_b32 s62, s17
	s_cbranch_execz .LBB94_327
.LBB94_539:                             ;   in Loop: Header=BB94_3 Depth=1
	ds_load_b128 v[16:19], v50 offset:8512
	ds_load_b128 v[68:71], v53 offset:10624
	s_wait_dscnt 0x0
	v_mul_f64_e32 v[2:3], v[18:19], v[70:71]
	v_mul_f64_e32 v[38:39], v[16:17], v[70:71]
	s_delay_alu instid0(VALU_DEP_2) | instskip(NEXT) | instid1(VALU_DEP_2)
	v_fma_f64 v[2:3], v[16:17], v[68:69], -v[2:3]
	v_fmac_f64_e32 v[38:39], v[18:19], v[68:69]
	s_delay_alu instid0(VALU_DEP_2) | instskip(NEXT) | instid1(VALU_DEP_2)
	v_add_f64_e32 v[12:13], v[12:13], v[2:3]
	v_add_f64_e32 v[14:15], v[14:15], v[38:39]
	s_or_b32 exec_lo, exec_lo, s62
	s_and_saveexec_b32 s62, s18
	s_cbranch_execz .LBB94_328
.LBB94_540:                             ;   in Loop: Header=BB94_3 Depth=1
	ds_load_b128 v[16:19], v50 offset:8528
	ds_load_b128 v[68:71], v54 offset:11136
	s_wait_dscnt 0x0
	v_mul_f64_e32 v[2:3], v[18:19], v[70:71]
	v_mul_f64_e32 v[38:39], v[16:17], v[70:71]
	s_delay_alu instid0(VALU_DEP_2) | instskip(NEXT) | instid1(VALU_DEP_2)
	v_fma_f64 v[2:3], v[16:17], v[68:69], -v[2:3]
	v_fmac_f64_e32 v[38:39], v[18:19], v[68:69]
	s_delay_alu instid0(VALU_DEP_2) | instskip(NEXT) | instid1(VALU_DEP_2)
	v_add_f64_e32 v[12:13], v[12:13], v[2:3]
	v_add_f64_e32 v[14:15], v[14:15], v[38:39]
	s_or_b32 exec_lo, exec_lo, s62
	s_and_saveexec_b32 s62, s1
	s_cbranch_execz .LBB94_329
.LBB94_541:                             ;   in Loop: Header=BB94_3 Depth=1
	ds_load_b128 v[16:19], v50 offset:8544
	ds_load_b128 v[68:71], v53 offset:11648
	s_wait_dscnt 0x0
	v_mul_f64_e32 v[2:3], v[18:19], v[70:71]
	v_mul_f64_e32 v[38:39], v[16:17], v[70:71]
	s_delay_alu instid0(VALU_DEP_2) | instskip(NEXT) | instid1(VALU_DEP_2)
	v_fma_f64 v[2:3], v[16:17], v[68:69], -v[2:3]
	v_fmac_f64_e32 v[38:39], v[18:19], v[68:69]
	s_delay_alu instid0(VALU_DEP_2) | instskip(NEXT) | instid1(VALU_DEP_2)
	v_add_f64_e32 v[12:13], v[12:13], v[2:3]
	v_add_f64_e32 v[14:15], v[14:15], v[38:39]
	s_or_b32 exec_lo, exec_lo, s62
	s_and_saveexec_b32 s62, s13
	s_cbranch_execnz .LBB94_330
	s_branch .LBB94_331
.LBB94_542:                             ;   in Loop: Header=BB94_3 Depth=1
	ds_load_b128 v[16:19], v45 offset:12688
	ds_load_b128 v[68:71], v49 offset:13248
	s_wait_dscnt 0x0
	v_mul_f64_e32 v[2:3], v[18:19], v[70:71]
	v_mul_f64_e32 v[38:39], v[16:17], v[70:71]
	s_delay_alu instid0(VALU_DEP_2) | instskip(NEXT) | instid1(VALU_DEP_2)
	v_fma_f64 v[2:3], v[16:17], v[68:69], -v[2:3]
	v_fmac_f64_e32 v[38:39], v[18:19], v[68:69]
	s_delay_alu instid0(VALU_DEP_2) | instskip(NEXT) | instid1(VALU_DEP_2)
	v_add_f64_e32 v[12:13], v[12:13], v[2:3]
	v_add_f64_e32 v[14:15], v[14:15], v[38:39]
	s_or_b32 exec_lo, exec_lo, s62
	s_and_saveexec_b32 s62, s13
	s_cbranch_execz .LBB94_383
.LBB94_543:                             ;   in Loop: Header=BB94_3 Depth=1
	ds_load_b128 v[16:19], v45 offset:12704
	ds_load_b128 v[68:71], v48 offset:13760
	s_wait_dscnt 0x0
	v_mul_f64_e32 v[2:3], v[18:19], v[70:71]
	v_mul_f64_e32 v[38:39], v[16:17], v[70:71]
	s_delay_alu instid0(VALU_DEP_2) | instskip(NEXT) | instid1(VALU_DEP_2)
	v_fma_f64 v[2:3], v[16:17], v[68:69], -v[2:3]
	v_fmac_f64_e32 v[38:39], v[18:19], v[68:69]
	s_delay_alu instid0(VALU_DEP_2) | instskip(NEXT) | instid1(VALU_DEP_2)
	v_add_f64_e32 v[12:13], v[12:13], v[2:3]
	v_add_f64_e32 v[14:15], v[14:15], v[38:39]
	s_or_b32 exec_lo, exec_lo, s62
	s_and_saveexec_b32 s62, s0
	s_cbranch_execnz .LBB94_384
	s_branch .LBB94_385
.LBB94_544:
	s_endpgm
	.section	.rodata,"a",@progbits
	.p2align	6, 0x0
	.amdhsa_kernel _ZL19rocblas_trsv_deviceILi32ELi16ELb1ELb0ELb0ELb0E19rocblas_complex_numIdES1_PKS1_PS1_EviT7_lllT6_T8_lllPii
		.amdhsa_group_segment_fixed_size 25104
		.amdhsa_private_segment_fixed_size 0
		.amdhsa_kernarg_size 360
		.amdhsa_user_sgpr_count 2
		.amdhsa_user_sgpr_dispatch_ptr 0
		.amdhsa_user_sgpr_queue_ptr 0
		.amdhsa_user_sgpr_kernarg_segment_ptr 1
		.amdhsa_user_sgpr_dispatch_id 0
		.amdhsa_user_sgpr_kernarg_preload_length 0
		.amdhsa_user_sgpr_kernarg_preload_offset 0
		.amdhsa_user_sgpr_private_segment_size 0
		.amdhsa_wavefront_size32 1
		.amdhsa_uses_dynamic_stack 0
		.amdhsa_enable_private_segment 0
		.amdhsa_system_sgpr_workgroup_id_x 1
		.amdhsa_system_sgpr_workgroup_id_y 0
		.amdhsa_system_sgpr_workgroup_id_z 1
		.amdhsa_system_sgpr_workgroup_info 0
		.amdhsa_system_vgpr_workitem_id 1
		.amdhsa_next_free_vgpr 77
		.amdhsa_next_free_sgpr 105
		.amdhsa_named_barrier_count 0
		.amdhsa_reserve_vcc 1
		.amdhsa_float_round_mode_32 0
		.amdhsa_float_round_mode_16_64 0
		.amdhsa_float_denorm_mode_32 3
		.amdhsa_float_denorm_mode_16_64 3
		.amdhsa_fp16_overflow 0
		.amdhsa_memory_ordered 1
		.amdhsa_forward_progress 1
		.amdhsa_inst_pref_size 193
		.amdhsa_round_robin_scheduling 0
		.amdhsa_exception_fp_ieee_invalid_op 0
		.amdhsa_exception_fp_denorm_src 0
		.amdhsa_exception_fp_ieee_div_zero 0
		.amdhsa_exception_fp_ieee_overflow 0
		.amdhsa_exception_fp_ieee_underflow 0
		.amdhsa_exception_fp_ieee_inexact 0
		.amdhsa_exception_int_div_zero 0
	.end_amdhsa_kernel
	.section	.text._ZL19rocblas_trsv_deviceILi32ELi16ELb1ELb0ELb0ELb0E19rocblas_complex_numIdES1_PKS1_PS1_EviT7_lllT6_T8_lllPii,"axG",@progbits,_ZL19rocblas_trsv_deviceILi32ELi16ELb1ELb0ELb0ELb0E19rocblas_complex_numIdES1_PKS1_PS1_EviT7_lllT6_T8_lllPii,comdat
.Lfunc_end94:
	.size	_ZL19rocblas_trsv_deviceILi32ELi16ELb1ELb0ELb0ELb0E19rocblas_complex_numIdES1_PKS1_PS1_EviT7_lllT6_T8_lllPii, .Lfunc_end94-_ZL19rocblas_trsv_deviceILi32ELi16ELb1ELb0ELb0ELb0E19rocblas_complex_numIdES1_PKS1_PS1_EviT7_lllT6_T8_lllPii
                                        ; -- End function
	.set _ZL19rocblas_trsv_deviceILi32ELi16ELb1ELb0ELb0ELb0E19rocblas_complex_numIdES1_PKS1_PS1_EviT7_lllT6_T8_lllPii.num_vgpr, 77
	.set _ZL19rocblas_trsv_deviceILi32ELi16ELb1ELb0ELb0ELb0E19rocblas_complex_numIdES1_PKS1_PS1_EviT7_lllT6_T8_lllPii.num_agpr, 0
	.set _ZL19rocblas_trsv_deviceILi32ELi16ELb1ELb0ELb0ELb0E19rocblas_complex_numIdES1_PKS1_PS1_EviT7_lllT6_T8_lllPii.numbered_sgpr, 105
	.set _ZL19rocblas_trsv_deviceILi32ELi16ELb1ELb0ELb0ELb0E19rocblas_complex_numIdES1_PKS1_PS1_EviT7_lllT6_T8_lllPii.num_named_barrier, 0
	.set _ZL19rocblas_trsv_deviceILi32ELi16ELb1ELb0ELb0ELb0E19rocblas_complex_numIdES1_PKS1_PS1_EviT7_lllT6_T8_lllPii.private_seg_size, 0
	.set _ZL19rocblas_trsv_deviceILi32ELi16ELb1ELb0ELb0ELb0E19rocblas_complex_numIdES1_PKS1_PS1_EviT7_lllT6_T8_lllPii.uses_vcc, 1
	.set _ZL19rocblas_trsv_deviceILi32ELi16ELb1ELb0ELb0ELb0E19rocblas_complex_numIdES1_PKS1_PS1_EviT7_lllT6_T8_lllPii.uses_flat_scratch, 0
	.set _ZL19rocblas_trsv_deviceILi32ELi16ELb1ELb0ELb0ELb0E19rocblas_complex_numIdES1_PKS1_PS1_EviT7_lllT6_T8_lllPii.has_dyn_sized_stack, 0
	.set _ZL19rocblas_trsv_deviceILi32ELi16ELb1ELb0ELb0ELb0E19rocblas_complex_numIdES1_PKS1_PS1_EviT7_lllT6_T8_lllPii.has_recursion, 0
	.set _ZL19rocblas_trsv_deviceILi32ELi16ELb1ELb0ELb0ELb0E19rocblas_complex_numIdES1_PKS1_PS1_EviT7_lllT6_T8_lllPii.has_indirect_call, 0
	.section	.AMDGPU.csdata,"",@progbits
; Kernel info:
; codeLenInByte = 24644
; TotalNumSgprs: 107
; NumVgprs: 77
; ScratchSize: 0
; MemoryBound: 1
; FloatMode: 240
; IeeeMode: 1
; LDSByteSize: 25104 bytes/workgroup (compile time only)
; SGPRBlocks: 0
; VGPRBlocks: 4
; NumSGPRsForWavesPerEU: 107
; NumVGPRsForWavesPerEU: 77
; NamedBarCnt: 0
; Occupancy: 12
; WaveLimiterHint : 0
; COMPUTE_PGM_RSRC2:SCRATCH_EN: 0
; COMPUTE_PGM_RSRC2:USER_SGPR: 2
; COMPUTE_PGM_RSRC2:TRAP_HANDLER: 0
; COMPUTE_PGM_RSRC2:TGID_X_EN: 1
; COMPUTE_PGM_RSRC2:TGID_Y_EN: 0
; COMPUTE_PGM_RSRC2:TGID_Z_EN: 1
; COMPUTE_PGM_RSRC2:TIDIG_COMP_CNT: 1
	.section	.text._ZL19rocblas_trsv_deviceILi32ELi16ELb1ELb1ELb0ELb0E19rocblas_complex_numIdES1_PKS1_PS1_EviT7_lllT6_T8_lllPii,"axG",@progbits,_ZL19rocblas_trsv_deviceILi32ELi16ELb1ELb1ELb0ELb0E19rocblas_complex_numIdES1_PKS1_PS1_EviT7_lllT6_T8_lllPii,comdat
	.globl	_ZL19rocblas_trsv_deviceILi32ELi16ELb1ELb1ELb0ELb0E19rocblas_complex_numIdES1_PKS1_PS1_EviT7_lllT6_T8_lllPii ; -- Begin function _ZL19rocblas_trsv_deviceILi32ELi16ELb1ELb1ELb0ELb0E19rocblas_complex_numIdES1_PKS1_PS1_EviT7_lllT6_T8_lllPii
	.p2align	8
	.type	_ZL19rocblas_trsv_deviceILi32ELi16ELb1ELb1ELb0ELb0E19rocblas_complex_numIdES1_PKS1_PS1_EviT7_lllT6_T8_lllPii,@function
_ZL19rocblas_trsv_deviceILi32ELi16ELb1ELb1ELb0ELb0E19rocblas_complex_numIdES1_PKS1_PS1_EviT7_lllT6_T8_lllPii: ; @_ZL19rocblas_trsv_deviceILi32ELi16ELb1ELb1ELb0ELb0E19rocblas_complex_numIdES1_PKS1_PS1_EviT7_lllT6_T8_lllPii
; %bb.0:
	s_load_b32 s35, s[0:1], 0x60
	s_bfe_u32 s2, ttmp6, 0x40014
	s_lshr_b32 s3, ttmp7, 16
	s_add_co_i32 s2, s2, 1
	s_bfe_u32 s4, ttmp6, 0x40008
	s_mul_i32 s2, s3, s2
	s_getreg_b32 s6, hwreg(HW_REG_IB_STS2, 6, 4)
	s_add_co_i32 s4, s4, s2
	s_cmp_eq_u32 s6, 0
	s_mov_b32 s53, 0
	s_cselect_b32 s52, s3, s4
	s_wait_kmcnt 0x0
	s_cmp_ge_u32 s52, s35
	s_cbranch_scc1 .LBB95_574
; %bb.1:
	s_clause 0x3
	s_load_b512 s[36:51], s[0:1], 0x8
	s_load_b32 s7, s[0:1], 0x74
	s_load_b32 s61, s[0:1], 0x68
	;; [unrolled: 1-line block ×3, first 2 shown]
	s_bfe_u32 s3, ttmp6, 0x4000c
	s_and_b32 s2, ttmp6, 15
	s_add_co_i32 s3, s3, 1
	v_bfe_u32 v40, v0, 10, 10
	s_mul_i32 s3, ttmp9, s3
	v_and_b32_e32 v22, 0x3ff, v0
	s_add_co_i32 s8, s2, s3
	v_dual_mov_b32 v2, 0 :: v_dual_lshrrev_b32 v12, 10, v0
	s_delay_alu instid0(VALU_DEP_2) | instskip(NEXT) | instid1(VALU_DEP_2)
	v_dual_lshlrev_b32 v1, 5, v22 :: v_dual_bitop2_b32 v13, 1, v0 bitop3:0x40
	v_dual_add_nc_u32 v9, 16, v40 :: v_dual_mov_b32 v25, v2
	v_mov_b32_e32 v23, v2
	v_lshl_add_u32 v3, v40, 5, v22
	s_delay_alu instid0(VALU_DEP_4)
	v_add_nc_u32_e32 v8, v40, v1
	s_wait_kmcnt 0x0
	s_lshl_b64 s[4:5], s[38:39], 4
	s_lshl_b64 s[2:3], s[50:51], 4
	s_cmp_eq_u32 s6, 0
	v_lshl_add_u32 v11, v9, 5, v22
	s_cselect_b32 s60, ttmp9, s8
	s_and_b32 s6, s7, 0xffff
	s_add_co_i32 s7, s54, -1
	s_ashr_i32 s55, s54, 31
	s_ashr_i32 s8, s7, 31
	s_lshr_b32 s9, s55, 27
	s_lshr_b32 s8, s8, 27
	s_add_co_i32 s9, s54, s9
	s_add_co_i32 s61, s61, -1
	s_add_co_i32 s7, s7, s8
	s_and_not1_b32 s9, s9, 31
	s_sub_co_i32 s93, s61, s60
	s_ashr_i32 s7, s7, 5
	s_sub_co_i32 s11, s54, s9
	s_cmp_eq_u32 s7, s93
	v_lshlrev_b32_e32 v15, 4, v13
	s_cselect_b32 s7, -1, 0
	s_cmp_lg_u32 s11, 0
	s_add_nc_u64 s[48:49], s[48:49], s[2:3]
	s_cselect_b32 s8, -1, 0
	s_add_nc_u64 s[50:51], s[36:37], s[4:5]
	s_and_b32 s14, s8, s7
	s_add_nc_u64 s[8:9], s[40:41], 1
	s_xor_b32 s62, s14, -1
	s_cmp_lg_u32 s60, 0
	v_cmp_gt_u32_e64 s4, 2, v22
	s_cselect_b32 s63, -1, 0
	s_lshl_b32 s12, s93, 5
	s_cmp_lt_i32 s60, 5
	v_dual_add_nc_u32 v10, s12, v40 :: v_dual_add_nc_u32 v4, s12, v22
	v_mad_nc_u64_u32 v[6:7], s8, s12, v[22:23]
	v_add_nc_u32_e32 v1, v9, v1
	s_cselect_b32 vcc_lo, -1, 0
	s_delay_alu instid0(VALU_DEP_3) | instskip(SKIP_3) | instid1(VALU_DEP_2)
	v_dual_add_nc_u32 v26, 32, v10 :: v_dual_ashrrev_i32 v5, 31, v4
	v_cndmask_b32_e32 v14, v3, v8, vcc_lo
	s_or_b32 vcc_lo, vcc_lo, s14
	s_ashr_i32 s13, s12, 31
	v_dual_ashrrev_i32 v27, 31, v26 :: v_dual_cndmask_b32 v11, v11, v1, vcc_lo
	v_dual_lshlrev_b32 v43, 4, v22 :: v_dual_lshrrev_b32 v1, 1, v3
	s_mul_i32 s2, s8, s13
	s_mul_i32 s3, s9, s12
	s_xor_b32 s64, vcc_lo, -1
	v_add3_u32 v7, s2, s3, v7
	v_cmp_gt_u32_e64 s2, 4, v3
	v_cmp_eq_u32_e32 vcc_lo, 1, v13
	v_lshl_add_u32 v23, v1, 4, 0x4000
	v_lshl_or_b32 v41, v1, 9, v15
	v_mul_u32_u24_e32 v42, 0x210, v1
	v_cmp_eq_u32_e64 s3, 0, v40
	v_dual_lshrrev_b32 v1, 2, v3 :: v_dual_bitop2_b32 v13, 3, v0 bitop3:0x40
	s_xor_b32 s5, vcc_lo, -1
	s_and_b32 s66, vcc_lo, s2
	s_and_b32 s67, s3, s4
	s_delay_alu instid0(VALU_DEP_1)
	v_lshlrev_b32_e32 v15, 4, v1
	v_mul_u32_u24_e32 v44, 0x210, v1
	v_cmp_gt_u32_e64 s4, 16, v3
	v_cmp_eq_u32_e32 vcc_lo, 0, v13
	s_and_b32 s65, s5, s2
	v_dual_lshlrev_b32 v47, 4, v13 :: v_dual_sub_nc_u32 v16, v44, v15
	v_cmp_ne_u32_e64 s5, 0, v13
	s_and_b32 s68, vcc_lo, s4
	v_cmp_eq_u32_e32 vcc_lo, 2, v13
	v_mad_u32_u24 v24, v40, s6, v22
	v_bitop3_b32 v8, v0, v12, 0x3ff bitop3:0xa8
	v_mad_u32_u24 v12, 0x1f0, v22, v43
	v_add_nc_u32_e32 v51, v16, v47
	v_cmp_eq_u32_e64 s6, 1, v13
	v_cmp_lt_u32_e64 s7, 1, v13
	s_and_b32 s69, s5, s4
	s_and_b32 s72, vcc_lo, s4
	v_cmp_eq_u32_e32 vcc_lo, 3, v13
	v_cmp_gt_u32_e64 s5, 4, v22
	v_and_b32_e32 v13, 7, v0
	v_mad_i32_i24 v48, 0xfffffe10, v22, v12
	v_lshl_or_b32 v50, v1, 9, v47
	s_and_b32 s70, s6, s4
	s_and_b32 s71, s7, s4
	v_dual_lshrrev_b32 v1, 3, v3 :: v_dual_lshlrev_b32 v53, 4, v13
	s_and_b32 s73, vcc_lo, s4
	s_and_b32 s74, s3, s5
	v_cmp_gt_u32_e64 s5, 64, v3
	v_cmp_eq_u32_e32 vcc_lo, 0, v13
	v_cmp_ne_u32_e64 s6, 0, v13
	v_cmp_eq_u32_e64 s7, 1, v13
	v_cmp_lt_u32_e64 s8, 1, v13
	v_add_nc_u32_e32 v49, 0x4000, v15
	v_mul_u32_u24_e32 v52, 0x210, v1
	v_mad_u32_u24 v16, 0x1f0, v22, v48
	v_lshlrev_b32_e32 v15, 4, v1
	v_cmp_eq_u32_e64 s9, 2, v13
	s_and_b32 s75, vcc_lo, s5
	s_and_b32 s76, s6, s5
	s_and_b32 s77, s7, s5
	;; [unrolled: 1-line block ×3, first 2 shown]
	v_cmp_lt_u32_e32 vcc_lo, 2, v13
	v_cmp_eq_u32_e64 s6, 3, v13
	v_cmp_lt_u32_e64 s7, 3, v13
	v_cmp_eq_u32_e64 s8, 4, v13
	v_dual_add_nc_u32 v54, 64, v16 :: v_dual_sub_nc_u32 v17, v52, v15
	s_and_b32 s79, s9, s5
	v_cmp_lt_u32_e64 s9, 4, v13
	s_and_b32 s80, vcc_lo, s5
	s_and_b32 s81, s6, s5
	s_and_b32 s82, s7, s5
	;; [unrolled: 1-line block ×3, first 2 shown]
	v_cmp_eq_u32_e32 vcc_lo, 5, v13
	v_cmp_lt_u32_e64 s6, 5, v13
	v_cmp_eq_u32_e64 s7, 6, v13
	v_cmp_eq_u32_e64 s8, 7, v13
	v_and_b32_e32 v13, 15, v0
	s_and_b32 s85, vcc_lo, s5
	s_and_b32 s86, s6, s5
	v_cmp_gt_u32_e64 s6, 0x100, v3
	s_and_b32 s87, s7, s5
	v_cmp_eq_u32_e32 vcc_lo, 0, v13
	s_and_b32 s88, s8, s5
	v_cmp_ne_u32_e64 s7, 0, v13
                                        ; implicit-def: $vgpr208 : SGPR spill to VGPR lane
	s_and_b32 s84, s9, s5
	v_cmp_gt_u32_e64 s9, 8, v22
	s_and_b32 s8, vcc_lo, s6
	v_cmp_eq_u32_e32 vcc_lo, 1, v13
	v_writelane_b32 v208, s8, 0
	s_and_b32 s7, s7, s6
	v_cmp_lt_u32_e64 s8, 1, v13
	s_and_b32 s89, s3, s9
	v_cmp_eq_u32_e64 s9, 2, v13
	v_writelane_b32 v208, s7, 1
	s_and_b32 s7, vcc_lo, s6
	v_cmp_lt_u32_e64 s10, 2, v13
	v_cmp_eq_u32_e32 vcc_lo, 3, v13
	v_mad_i32_i24 v81, 0xfffffe10, v22, v16
	v_writelane_b32 v208, s7, 2
	s_and_b32 s7, s8, s6
	v_cmp_eq_u32_e64 s8, 4, v13
	s_and_b32 s15, vcc_lo, s6
	v_cmp_lt_u32_e32 vcc_lo, 5, v13
	v_writelane_b32 v208, s7, 3
	s_and_b32 s7, s9, s6
	v_cmp_lt_u32_e64 s9, 4, v13
	v_dual_add_nc_u32 v45, 32, v12 :: v_dual_add_nc_u32 v46, 48, v12
	v_writelane_b32 v208, s7, 4
	s_and_b32 s7, s10, s6
	v_cmp_eq_u32_e64 s10, 5, v13
	v_add_nc_u32_e32 v58, 0x80, v12
	v_add_nc_u32_e32 v59, 0x90, v12
	v_writelane_b32 v208, s7, 5
	v_cmp_lt_u32_e64 s7, 3, v13
	v_add_nc_u32_e32 v60, 0xa0, v12
	v_add_nc_u32_e32 v61, 0xb0, v12
	;; [unrolled: 1-line block ×3, first 2 shown]
	v_writelane_b32 v208, s15, 6
	s_and_b32 s7, s7, s6
	s_and_b32 s15, vcc_lo, s6
	v_cmp_eq_u32_e32 vcc_lo, 8, v13
	v_add_nc_u32_e32 v63, 0xd0, v12
	v_writelane_b32 v208, s7, 7
	s_and_b32 s7, s8, s6
	v_cmp_lt_u32_e64 s8, 6, v13
	v_add_nc_u32_e32 v64, 0xe0, v12
	v_add_nc_u32_e32 v65, 0xf0, v12
	v_writelane_b32 v208, s7, 8
	s_and_b32 s7, s9, s6
	v_cmp_eq_u32_e64 s9, 7, v13
	v_add_nc_u32_e32 v68, 0x2120, v12
	v_add_nc_u32_e32 v69, 0x2130, v12
	v_writelane_b32 v208, s7, 9
	s_and_b32 s7, s10, s6
	v_cmp_lt_u32_e64 s10, 7, v13
	s_and_b32 s104, s9, s6
	v_cmp_lt_u32_e64 s9, 9, v13
	v_writelane_b32 v208, s7, 10
	v_cmp_eq_u32_e64 s7, 6, v13
	v_add_nc_u32_e32 v70, 0x2180, v12
	v_add_nc_u32_e32 v71, 0x2190, v12
	;; [unrolled: 1-line block ×3, first 2 shown]
	v_writelane_b32 v208, s15, 11
	s_and_b32 s7, s7, s6
	v_add_nc_u32_e32 v73, 0x21b0, v12
	v_add_nc_u32_e32 v74, 0x21c0, v12
	;; [unrolled: 1-line block ×3, first 2 shown]
	v_writelane_b32 v208, s7, 12
	s_and_b32 s7, s8, s6
	v_cmp_eq_u32_e64 s8, 9, v13
	v_add_nc_u32_e32 v76, 0x21e0, v12
	v_add_nc_u32_e32 v77, 0x21f0, v12
	v_writelane_b32 v208, s7, 13
	v_cmp_lt_u32_e64 s7, 8, v13
	v_mad_u32_u24 v12, 0x1f0, v22, v81
	s_and_b32 s18, vcc_lo, s6
	v_cmp_lt_u32_e32 vcc_lo, 10, v13
	s_and_b32 vcc_hi, s10, s6
	v_cmp_eq_u32_e64 s10, 10, v13
	s_and_b32 s19, s7, s6
	s_and_b32 s20, s8, s6
	;; [unrolled: 1-line block ×3, first 2 shown]
	v_cmp_eq_u32_e64 s7, 11, v13
	v_cmp_lt_u32_e64 s8, 11, v13
	v_cmp_eq_u32_e64 s9, 12, v13
	v_mad_i32_i24 v92, 0xfffffe10, v22, v12
	s_and_b32 s23, vcc_lo, s6
	v_cmp_eq_u32_e32 vcc_lo, 13, v13
	s_and_b32 s22, s10, s6
	v_cmp_lt_u32_e64 s10, 12, v13
	v_dual_add_nc_u32 v57, v17, v53 :: v_dual_lshlrev_b32 v0, 5, v3
	v_lshlrev_b32_e32 v67, 4, v13
	s_and_b32 s24, s7, s6
	s_and_b32 s25, s8, s6
	;; [unrolled: 1-line block ×3, first 2 shown]
	v_cmp_lt_u32_e64 s7, 13, v13
	v_cmp_eq_u32_e64 s8, 14, v13
	v_cmp_eq_u32_e64 s9, 15, v13
	v_mad_u32_u24 v13, 0x1f0, v22, v92
	s_and_b32 s28, vcc_lo, s6
	v_cmp_le_i32_e32 vcc_lo, s11, v22
	s_and_b32 s27, s10, s6
	s_movk_i32 s10, 0x3c00
	v_lshl_or_b32 v56, v1, 9, v53
	v_and_b32_e32 v66, 0xfffffe00, v0
	v_add_nc_u64_e32 v[0:1], s[12:13], v[24:25]
	v_mad_u32_u24 v25, 0x210, v22, s10
	v_cmp_gt_u32_e64 s10, 16, v22
	v_add_nc_u32_e32 v90, 0x860, v12
	v_add_nc_u32_e32 v91, 0x870, v12
	;; [unrolled: 1-line block ×12, first 2 shown]
	v_mad_i32_i24 v12, 0xfffffe10, v22, v13
	s_and_b32 s90, vcc_lo, s14
	s_and_b32 s30, s7, s6
	s_xor_b32 s7, s90, -1
	s_clause 0x1
	s_load_b64 s[56:57], s[0:1], 0x58
	s_load_b128 s[36:39], s[0:1], 0x48
	s_wait_xcnt 0x0
	v_cmp_gt_i32_e64 s0, s11, v22
	s_and_b32 s31, s8, s6
	s_and_b32 s8, s9, s6
	;; [unrolled: 1-line block ×3, first 2 shown]
	v_add_nc_u32_e32 v103, 0x18e0, v13
	v_add_nc_u32_e32 v104, 0x18f0, v13
	;; [unrolled: 1-line block ×4, first 2 shown]
	v_lshlrev_b32_e32 v13, 9, v22
	s_and_b32 s91, s3, s7
	v_add_nc_u32_e32 v107, 0x1cc0, v12
	v_add_nc_u32_e32 v108, 0x1ec0, v12
	;; [unrolled: 1-line block ×4, first 2 shown]
	v_dual_lshlrev_b32 v12, 4, v40 :: v_dual_sub_nc_u32 v146, 0, v13
	s_cmp_gt_i32 s60, 0
	v_add_nc_u32_e32 v10, 48, v10
	s_cselect_b32 s92, -1, 0
	s_and_b32 s0, s3, s0
	v_add_nc_u32_e32 v129, v13, v12
	v_writelane_b32 v208, s0, 14
	v_cmp_gt_i32_e64 s0, s54, v4
	v_cmp_gt_i32_e64 s1, s54, v26
	v_cmp_le_i32_e64 s7, s11, v9
	v_cmp_gt_u32_e64 s29, 0xf0, v3
	s_wait_kmcnt 0x0
	v_mul_u64_e32 v[0:1], s[36:37], v[0:1]
	v_mul_u64_e32 v[32:33], s[40:41], v[4:5]
	s_and_b32 s94, s1, s0
	v_cmp_gt_i32_e64 s1, s54, v10
	v_mul_u64_e32 v[34:35], s[36:37], v[4:5]
	v_mad_nc_u64_u32 v[28:29], s40, v40, v[6:7]
	v_mad_nc_u64_u32 v[30:31], s40, v9, v[6:7]
	v_add_nc_u32_e32 v128, 0x6000, v12
	s_and_b32 s95, s1, s0
	v_cmp_le_i32_e64 s1, s11, v40
	v_cmp_ne_u32_e64 s11, v22, v9
	s_delay_alu instid0(VALU_DEP_3)
	v_dual_add_nc_u32 v199, v128, v43 :: v_dual_bitop2_b32 v4, v9, v22 bitop3:0x54
	v_cmp_gt_u32_e64 s33, 32, v8
	s_or_b32 s10, s1, vcc_lo
	v_cmp_le_u32_e64 s1, v22, v40
	v_mad_u32 v29, s41, v40, v29
	v_mad_u32 v31, s41, v9, v31
	v_add_nc_u32_e32 v55, 0x4000, v15
	v_mad_i32_i24 v15, 0xfffffe10, v22, v13
	s_or_b32 s96, s10, s1
	s_or_b32 s10, s7, vcc_lo
	v_cmp_le_u32_e64 s7, v22, v9
	v_and_b32_e32 v167, -16, v3
	v_add_nc_u32_e32 v78, 0x70, v16
	v_add_nc_u32_e32 v79, 0x60, v16
	;; [unrolled: 1-line block ×3, first 2 shown]
	s_or_b32 s97, s10, s7
	v_cmp_ne_u32_e64 s10, v22, v40
	v_add_nc_u32_e32 v82, 0x10a0, v16
	v_add_nc_u32_e32 v83, 0x10b0, v16
	;; [unrolled: 1-line block ×4, first 2 shown]
	v_writelane_b32 v208, s10, 15
	s_or_b32 s10, vcc_lo, s10
	v_add_nc_u32_e32 v86, 0x2160, v16
	v_add_nc_u32_e32 v87, 0x2150, v16
	;; [unrolled: 1-line block ×3, first 2 shown]
	v_writelane_b32 v208, s10, 16
	s_or_b32 s10, vcc_lo, s11
	v_add_nc_u32_e32 v89, 0x31b0, v16
	v_add_nc_u32_e32 v111, 0x2000, v15
	;; [unrolled: 1-line block ×3, first 2 shown]
	v_writelane_b32 v208, s11, 17
	v_add_nc_u32_e32 v113, 0x2400, v15
	v_add_nc_u32_e32 v114, 0x2600, v15
	;; [unrolled: 1-line block ×4, first 2 shown]
	v_writelane_b32 v208, s10, 18
	v_add_nc_u32_e32 v117, 0x2c00, v15
	v_add_nc_u32_e32 v118, 0x2e00, v15
	;; [unrolled: 1-line block ×4, first 2 shown]
	v_writelane_b32 v208, s29, 19
	v_cmp_gt_u32_e64 s29, 0xe0, v3
	v_add_nc_u32_e32 v121, 0x3400, v15
	v_add_nc_u32_e32 v122, 0x3600, v15
	v_add_nc_u32_e32 v123, 0x3800, v15
	v_add_nc_u32_e32 v124, 0x3a00, v15
	v_writelane_b32 v208, s29, 20
	v_cmp_gt_u32_e64 s29, 0xd0, v3
	v_add_nc_u32_e32 v125, 0x3c00, v15
	v_add_nc_u32_e32 v126, 0x3e00, v15
	v_lshl_add_u32 v127, v40, 9, v15
	v_or_b32_e32 v130, 0x100, v13
	v_writelane_b32 v208, s29, 21
	v_cmp_gt_u32_e64 s29, 0xc0, v3
	v_or_b32_e32 v131, 0x110, v13
	v_or_b32_e32 v132, 0x120, v13
	v_or_b32_e32 v133, 0x130, v13
	v_or_b32_e32 v134, 0x140, v13
	v_writelane_b32 v208, s29, 22
	v_cmp_gt_u32_e64 s29, 0xb0, v3
	v_or_b32_e32 v135, 0x150, v13
	v_or_b32_e32 v136, 0x160, v13
	v_or_b32_e32 v137, 0x170, v13
	;; [unrolled: 6-line block ×4, first 2 shown]
	v_dual_lshlrev_b32 v147, 4, v14 :: v_dual_lshlrev_b32 v148, 4, v11
	v_writelane_b32 v208, s29, 25
	v_cmp_gt_u32_e64 s29, 0x80, v3
	v_add_nc_u32_e32 v149, 0x400, v48
	v_add_nc_u32_e32 v150, 0x600, v48
	v_add_nc_u32_e32 v151, 0x800, v48
	v_add_nc_u32_e32 v152, 0xe00, v48
	v_writelane_b32 v208, s29, 26
	v_cmp_gt_u32_e64 s29, 0x70, v3
	v_add_nc_u32_e32 v153, 0xc00, v48
	v_add_nc_u32_e32 v154, 0xa00, v48
	v_add_nc_u32_e32 v155, 0xc40, v92
	v_add_nc_u32_e32 v156, 0xe40, v92
	;; [unrolled: 6-line block ×4, first 2 shown]
	v_writelane_b32 v208, s29, 29
	v_add_nc_u32_e32 v165, 0x1480, v81
	v_add_nc_u32_e32 v166, 0x1680, v81
	;; [unrolled: 1-line block ×4, first 2 shown]
	v_writelane_b32 v208, s33, 30
	v_cmp_gt_u32_e64 s33, 32, v4
	v_add_nc_u32_e32 v170, 0x1c80, v81
	v_add_nc_u32_e32 v171, 0x1a80, v81
	;; [unrolled: 1-line block ×3, first 2 shown]
	v_or_b32_e32 v173, v66, v67
	v_add_nc_u32_e32 v174, 0x2500, v48
	v_add_nc_u32_e32 v175, 0x2700, v48
	;; [unrolled: 1-line block ×22, first 2 shown]
	v_lshl_add_u32 v196, v24, 4, 0x6000
	v_lshl_add_u32 v197, v3, 4, 0x4000
	v_add_nc_u32_e32 v198, 0x4000, v43
	v_mul_u32_u24_e32 v200, 0x210, v22
	v_cmp_gt_u32_e64 s10, 2, v3
	v_cmp_gt_u32_e64 s11, 12, v3
	;; [unrolled: 1-line block ×8, first 2 shown]
	v_cmp_eq_u32_e64 s29, 0, v8
	v_writelane_b32 v208, s33, 31
	v_cmp_eq_u32_e64 s33, 0, v24
	v_cmp_gt_u32_e64 s34, 32, v24
	s_add_co_i32 s93, s93, 1
                                        ; implicit-def: $vgpr6_vgpr7
                                        ; implicit-def: $vgpr10_vgpr11
	s_branch .LBB95_3
.LBB95_2:                               ;   in Loop: Header=BB95_3 Depth=1
	s_wait_xcnt 0x0
	s_or_b32 exec_lo, exec_lo, s40
	s_add_co_i32 s52, s52, 0x10000
	global_wb scope:SCOPE_DEV
	s_wait_storecnt 0x0
	global_inv scope:SCOPE_DEV
	s_cmp_lt_u32 s52, s35
	s_cbranch_scc0 .LBB95_574
.LBB95_3:                               ; =>This Loop Header: Depth=1
                                        ;     Child Loop BB95_453 Depth 2
                                        ;       Child Loop BB95_455 Depth 3
                                        ;     Child Loop BB95_486 Depth 2
	s_mul_u64 s[40:41], s[42:43], s[52:53]
	s_and_not1_b32 vcc_lo, exec_lo, s63
	s_lshl_b64 s[40:41], s[40:41], 4
	s_delay_alu instid0(SALU_CYCLE_1) | instskip(NEXT) | instid1(SALU_CYCLE_1)
	s_add_nc_u64 s[40:41], s[50:51], s[40:41]
	v_lshl_add_u64 v[36:37], v[32:33], 4, s[40:41]
	s_cbranch_vccnz .LBB95_9
; %bb.4:                                ;   in Loop: Header=BB95_3 Depth=1
	v_mov_b64_e32 v[12:13], 0
	v_mov_b64_e32 v[6:7], 0
	;; [unrolled: 1-line block ×3, first 2 shown]
	v_lshl_add_u64 v[4:5], v[26:27], 4, v[36:37]
	s_barrier_signal -1
	s_barrier_wait -1
	s_and_saveexec_b32 s58, s94
	s_cbranch_execz .LBB95_6
; %bb.5:                                ;   in Loop: Header=BB95_3 Depth=1
	global_load_b128 v[6:9], v[4:5], off
.LBB95_6:                               ;   in Loop: Header=BB95_3 Depth=1
	s_wait_xcnt 0x0
	s_or_b32 exec_lo, exec_lo, s58
	v_mov_b64_e32 v[10:11], 0
	s_wait_loadcnt 0x0
	s_barrier_signal -1
	s_barrier_wait -1
	s_and_saveexec_b32 s58, s95
	s_cbranch_execz .LBB95_8
; %bb.7:                                ;   in Loop: Header=BB95_3 Depth=1
	global_load_b128 v[10:13], v[4:5], off offset:256
.LBB95_8:                               ;   in Loop: Header=BB95_3 Depth=1
	s_wait_xcnt 0x0
	s_or_b32 exec_lo, exec_lo, s58
.LBB95_9:                               ;   in Loop: Header=BB95_3 Depth=1
	s_delay_alu instid0(SALU_CYCLE_1)
	s_and_not1_b32 vcc_lo, exec_lo, s62
	s_mov_b32 s58, -1
	s_cbranch_vccnz .LBB95_16
; %bb.10:                               ;   in Loop: Header=BB95_3 Depth=1
	s_and_saveexec_b32 s58, s1
	s_delay_alu instid0(SALU_CYCLE_1)
	s_xor_b32 s58, exec_lo, s58
	s_cbranch_execnz .LBB95_500
; %bb.11:                               ;   in Loop: Header=BB95_3 Depth=1
	s_and_not1_saveexec_b32 s58, s58
	s_cbranch_execnz .LBB95_511
.LBB95_12:                              ;   in Loop: Header=BB95_3 Depth=1
	s_or_b32 exec_lo, exec_lo, s58
	s_and_saveexec_b32 s58, s7
	s_delay_alu instid0(SALU_CYCLE_1)
	s_xor_b32 s58, exec_lo, s58
	s_cbranch_execnz .LBB95_512
.LBB95_13:                              ;   in Loop: Header=BB95_3 Depth=1
	s_and_not1_saveexec_b32 s58, s58
	s_cbranch_execz .LBB95_15
.LBB95_14:                              ;   in Loop: Header=BB95_3 Depth=1
	v_lshl_add_u64 v[4:5], v[30:31], 4, s[40:41]
	global_load_b128 v[14:17], v[4:5], off
	s_wait_loadcnt 0x0
	v_xor_b32_e32 v15, 0x80000000, v15
	v_xor_b32_e32 v17, 0x80000000, v17
	ds_store_b128 v148, v[14:17]
.LBB95_15:                              ;   in Loop: Header=BB95_3 Depth=1
	s_or_b32 exec_lo, exec_lo, s58
	s_mov_b32 s58, 0
.LBB95_16:                              ;   in Loop: Header=BB95_3 Depth=1
	s_delay_alu instid0(SALU_CYCLE_1)
	s_and_b32 vcc_lo, exec_lo, s58
	s_cbranch_vccz .LBB95_23
; %bb.17:                               ;   in Loop: Header=BB95_3 Depth=1
	s_and_saveexec_b32 s58, s96
	s_delay_alu instid0(SALU_CYCLE_1)
	s_xor_b32 s58, exec_lo, s58
	s_cbranch_execnz .LBB95_523
; %bb.18:                               ;   in Loop: Header=BB95_3 Depth=1
	s_and_not1_saveexec_b32 s58, s58
	s_cbranch_execnz .LBB95_534
.LBB95_19:                              ;   in Loop: Header=BB95_3 Depth=1
	s_or_b32 exec_lo, exec_lo, s58
	s_and_saveexec_b32 s58, s97
	s_delay_alu instid0(SALU_CYCLE_1)
	s_xor_b32 s58, exec_lo, s58
	s_cbranch_execnz .LBB95_535
.LBB95_20:                              ;   in Loop: Header=BB95_3 Depth=1
	s_and_not1_saveexec_b32 s58, s58
	s_cbranch_execz .LBB95_22
.LBB95_21:                              ;   in Loop: Header=BB95_3 Depth=1
	v_lshl_add_u64 v[4:5], v[30:31], 4, s[40:41]
	global_load_b128 v[14:17], v[4:5], off
	s_wait_loadcnt 0x0
	v_xor_b32_e32 v15, 0x80000000, v15
	v_xor_b32_e32 v17, 0x80000000, v17
	ds_store_b128 v148, v[14:17]
.LBB95_22:                              ;   in Loop: Header=BB95_3 Depth=1
	s_or_b32 exec_lo, exec_lo, s58
.LBB95_23:                              ;   in Loop: Header=BB95_3 Depth=1
	s_delay_alu instid0(SALU_CYCLE_1)
	s_and_not1_b32 vcc_lo, exec_lo, s64
	s_wait_loadcnt_dscnt 0x0
	s_barrier_signal -1
	s_barrier_wait -1
	s_cbranch_vccnz .LBB95_447
; %bb.24:                               ;   in Loop: Header=BB95_3 Depth=1
	s_and_saveexec_b32 s40, s29
	s_cbranch_execz .LBB95_26
; %bb.25:                               ;   in Loop: Header=BB95_3 Depth=1
	ds_load_b128 v[14:17], v2 offset:528
	ds_load_b128 v[18:21], v2
	s_wait_dscnt 0x0
	v_mul_f64_e32 v[4:5], v[14:15], v[20:21]
	v_mul_f64_e32 v[20:21], v[16:17], v[20:21]
	s_delay_alu instid0(VALU_DEP_2) | instskip(NEXT) | instid1(VALU_DEP_2)
	v_fmac_f64_e32 v[4:5], v[16:17], v[18:19]
	v_fma_f64 v[20:21], v[14:15], v[18:19], -v[20:21]
	ds_load_b128 v[14:17], v2 offset:16
	s_wait_dscnt 0x0
	v_mul_f64_e32 v[38:39], v[4:5], v[16:17]
	v_mul_f64_e32 v[18:19], v[20:21], v[16:17]
	s_delay_alu instid0(VALU_DEP_2) | instskip(NEXT) | instid1(VALU_DEP_2)
	v_fma_f64 v[16:17], v[14:15], v[20:21], -v[38:39]
	v_fmac_f64_e32 v[18:19], v[14:15], v[4:5]
	ds_store_b128 v2, v[16:19] offset:16
	ds_store_b128 v2, v[16:19] offset:512
.LBB95_26:                              ;   in Loop: Header=BB95_3 Depth=1
	s_or_b32 exec_lo, exec_lo, s40
	v_mov_b64_e32 v[16:17], 0
	v_mov_b64_e32 v[14:15], 0
	s_wait_dscnt 0x0
	s_barrier_signal -1
	s_barrier_wait -1
	s_and_saveexec_b32 s40, s2
	s_cbranch_execz .LBB95_30
; %bb.27:                               ;   in Loop: Header=BB95_3 Depth=1
	ds_load_b128 v[14:17], v42
	ds_load_b128 v[18:21], v41 offset:32
	s_wait_dscnt 0x0
	v_mul_f64_e32 v[4:5], v[16:17], v[20:21]
	v_mul_f64_e32 v[20:21], v[14:15], v[20:21]
	s_delay_alu instid0(VALU_DEP_2) | instskip(NEXT) | instid1(VALU_DEP_2)
	v_fma_f64 v[4:5], v[14:15], v[18:19], -v[4:5]
	v_fmac_f64_e32 v[20:21], v[16:17], v[18:19]
	s_delay_alu instid0(VALU_DEP_2) | instskip(NEXT) | instid1(VALU_DEP_2)
	v_add_f64_e32 v[14:15], 0, v[4:5]
	v_add_f64_e32 v[16:17], 0, v[20:21]
	s_and_saveexec_b32 s41, s10
	s_cbranch_execz .LBB95_29
; %bb.28:                               ;   in Loop: Header=BB95_3 Depth=1
	ds_load_b128 v[18:21], v2 offset:16
	ds_load_b128 v[202:205], v43 offset:544
	s_wait_dscnt 0x0
	v_mul_f64_e32 v[4:5], v[20:21], v[204:205]
	s_delay_alu instid0(VALU_DEP_1) | instskip(SKIP_1) | instid1(VALU_DEP_2)
	v_fma_f64 v[4:5], v[18:19], v[202:203], -v[4:5]
	v_mul_f64_e32 v[18:19], v[18:19], v[204:205]
	v_add_f64_e32 v[14:15], v[14:15], v[4:5]
	s_delay_alu instid0(VALU_DEP_2) | instskip(NEXT) | instid1(VALU_DEP_1)
	v_fmac_f64_e32 v[18:19], v[20:21], v[202:203]
	v_add_f64_e32 v[16:17], v[16:17], v[18:19]
.LBB95_29:                              ;   in Loop: Header=BB95_3 Depth=1
	s_or_b32 exec_lo, exec_lo, s41
	s_delay_alu instid0(VALU_DEP_2) | instskip(NEXT) | instid1(VALU_DEP_2)
	v_xor_b32_e32 v15, 0x80000000, v15
	v_xor_b32_e32 v17, 0x80000000, v17
.LBB95_30:                              ;   in Loop: Header=BB95_3 Depth=1
	s_or_b32 exec_lo, exec_lo, s40
	s_and_saveexec_b32 s40, s65
	s_cbranch_execz .LBB95_32
; %bb.31:                               ;   in Loop: Header=BB95_3 Depth=1
	ds_load_b128 v[18:21], v2 offset:1056
	s_wait_dscnt 0x0
	v_mul_f64_e32 v[4:5], v[16:17], v[20:21]
	v_mul_f64_e32 v[204:205], v[14:15], v[20:21]
	s_delay_alu instid0(VALU_DEP_2) | instskip(NEXT) | instid1(VALU_DEP_2)
	v_fma_f64 v[202:203], v[14:15], v[18:19], -v[4:5]
	v_fmac_f64_e32 v[204:205], v[16:17], v[18:19]
	s_delay_alu instid0(VALU_DEP_2) | instskip(NEXT) | instid1(VALU_DEP_2)
	v_mov_b64_e32 v[14:15], v[202:203]
	v_mov_b64_e32 v[16:17], v[204:205]
	ds_store_b128 v23, v[202:205]
.LBB95_32:                              ;   in Loop: Header=BB95_3 Depth=1
	s_or_b32 exec_lo, exec_lo, s40
	s_wait_dscnt 0x0
	s_barrier_signal -1
	s_barrier_wait -1
	s_and_saveexec_b32 s40, s66
	s_cbranch_execz .LBB95_34
; %bb.33:                               ;   in Loop: Header=BB95_3 Depth=1
	ds_load_b128 v[18:21], v23
	ds_load_b128 v[202:205], v2 offset:1072
	s_wait_dscnt 0x0
	v_mul_f64_e32 v[4:5], v[20:21], v[204:205]
	s_delay_alu instid0(VALU_DEP_1) | instskip(SKIP_1) | instid1(VALU_DEP_2)
	v_fma_f64 v[4:5], v[18:19], v[202:203], -v[4:5]
	v_mul_f64_e32 v[18:19], v[18:19], v[204:205]
	v_add_f64_e32 v[14:15], v[14:15], v[4:5]
	s_delay_alu instid0(VALU_DEP_2) | instskip(NEXT) | instid1(VALU_DEP_1)
	v_fmac_f64_e32 v[18:19], v[20:21], v[202:203]
	v_add_f64_e32 v[16:17], v[16:17], v[18:19]
.LBB95_34:                              ;   in Loop: Header=BB95_3 Depth=1
	s_or_b32 exec_lo, exec_lo, s40
	s_barrier_signal -1
	s_barrier_wait -1
	s_and_saveexec_b32 s40, s66
	s_cbranch_execz .LBB95_36
; %bb.35:                               ;   in Loop: Header=BB95_3 Depth=1
	ds_load_b128 v[18:21], v2 offset:1584
	s_wait_dscnt 0x0
	v_mul_f64_e32 v[4:5], v[16:17], v[20:21]
	v_mul_f64_e32 v[204:205], v[14:15], v[20:21]
	s_delay_alu instid0(VALU_DEP_2) | instskip(NEXT) | instid1(VALU_DEP_2)
	v_fma_f64 v[202:203], v[14:15], v[18:19], -v[4:5]
	v_fmac_f64_e32 v[204:205], v[16:17], v[18:19]
	s_delay_alu instid0(VALU_DEP_2) | instskip(NEXT) | instid1(VALU_DEP_2)
	v_mov_b64_e32 v[14:15], v[202:203]
	v_mov_b64_e32 v[16:17], v[204:205]
	ds_store_b128 v23, v[202:205]
.LBB95_36:                              ;   in Loop: Header=BB95_3 Depth=1
	s_or_b32 exec_lo, exec_lo, s40
	s_wait_dscnt 0x0
	s_barrier_signal -1
	s_barrier_wait -1
	s_barrier_signal -1
	s_barrier_wait -1
	s_and_saveexec_b32 s40, s2
; %bb.37:                               ;   in Loop: Header=BB95_3 Depth=1
	s_delay_alu instid0(VALU_DEP_3) | instskip(NEXT) | instid1(VALU_DEP_2)
	v_xor_b32_e32 v15, 0x80000000, v15
	v_xor_b32_e32 v17, 0x80000000, v17
	ds_store_b128 v41, v[14:17] offset:32
; %bb.38:                               ;   in Loop: Header=BB95_3 Depth=1
	s_or_b32 exec_lo, exec_lo, s40
	s_wait_dscnt 0x0
	s_barrier_signal -1
	s_barrier_wait -1
	s_barrier_signal -1
	s_barrier_wait -1
	s_and_saveexec_b32 s40, s67
	s_cbranch_execz .LBB95_40
; %bb.39:                               ;   in Loop: Header=BB95_3 Depth=1
	ds_load_b128 v[14:17], v45
	s_wait_dscnt 0x0
	ds_store_b128 v149, v[14:17]
	ds_load_b128 v[14:17], v46
	s_wait_dscnt 0x0
	ds_store_b128 v150, v[14:17]
.LBB95_40:                              ;   in Loop: Header=BB95_3 Depth=1
	s_or_b32 exec_lo, exec_lo, s40
	s_wait_dscnt 0x0
	s_barrier_signal -1
	s_barrier_wait -1
	s_and_saveexec_b32 s40, s29
	s_cbranch_execz .LBB95_42
; %bb.41:                               ;   in Loop: Header=BB95_3 Depth=1
	ds_load_b128 v[14:17], v2 offset:1584
	ds_load_b128 v[18:21], v2 offset:1056
	s_wait_dscnt 0x0
	v_mul_f64_e32 v[4:5], v[14:15], v[20:21]
	v_mul_f64_e32 v[20:21], v[16:17], v[20:21]
	s_delay_alu instid0(VALU_DEP_2) | instskip(NEXT) | instid1(VALU_DEP_2)
	v_fmac_f64_e32 v[4:5], v[16:17], v[18:19]
	v_fma_f64 v[20:21], v[14:15], v[18:19], -v[20:21]
	ds_load_b128 v[14:17], v2 offset:1072
	s_wait_dscnt 0x0
	v_mul_f64_e32 v[38:39], v[4:5], v[16:17]
	v_mul_f64_e32 v[18:19], v[20:21], v[16:17]
	s_delay_alu instid0(VALU_DEP_2) | instskip(NEXT) | instid1(VALU_DEP_2)
	v_fma_f64 v[16:17], v[14:15], v[20:21], -v[38:39]
	v_fmac_f64_e32 v[18:19], v[14:15], v[4:5]
	ds_store_b128 v2, v[16:19] offset:1072
	ds_store_b128 v2, v[16:19] offset:1568
.LBB95_42:                              ;   in Loop: Header=BB95_3 Depth=1
	s_or_b32 exec_lo, exec_lo, s40
	v_mov_b64_e32 v[16:17], 0
	v_mov_b64_e32 v[14:15], 0
	s_wait_dscnt 0x0
	s_barrier_signal -1
	s_barrier_wait -1
	s_and_saveexec_b32 s40, s4
	s_cbranch_execz .LBB95_48
; %bb.43:                               ;   in Loop: Header=BB95_3 Depth=1
	ds_load_b128 v[14:17], v44
	ds_load_b128 v[18:21], v50 offset:64
	s_wait_dscnt 0x0
	v_mul_f64_e32 v[4:5], v[16:17], v[20:21]
	v_mul_f64_e32 v[20:21], v[14:15], v[20:21]
	s_delay_alu instid0(VALU_DEP_2) | instskip(NEXT) | instid1(VALU_DEP_2)
	v_fma_f64 v[4:5], v[14:15], v[18:19], -v[4:5]
	v_fmac_f64_e32 v[20:21], v[16:17], v[18:19]
	s_delay_alu instid0(VALU_DEP_2) | instskip(NEXT) | instid1(VALU_DEP_2)
	v_add_f64_e32 v[14:15], 0, v[4:5]
	v_add_f64_e32 v[16:17], 0, v[20:21]
	s_and_saveexec_b32 s41, s11
	s_cbranch_execnz .LBB95_550
; %bb.44:                               ;   in Loop: Header=BB95_3 Depth=1
	s_or_b32 exec_lo, exec_lo, s41
	s_and_saveexec_b32 s41, s12
	s_cbranch_execnz .LBB95_551
.LBB95_45:                              ;   in Loop: Header=BB95_3 Depth=1
	s_or_b32 exec_lo, exec_lo, s41
	s_and_saveexec_b32 s41, s2
	s_cbranch_execz .LBB95_47
.LBB95_46:                              ;   in Loop: Header=BB95_3 Depth=1
	ds_load_b128 v[18:21], v2 offset:48
	ds_load_b128 v[202:205], v48 offset:1600
	s_wait_dscnt 0x0
	v_mul_f64_e32 v[4:5], v[20:21], v[204:205]
	s_delay_alu instid0(VALU_DEP_1) | instskip(SKIP_1) | instid1(VALU_DEP_2)
	v_fma_f64 v[4:5], v[18:19], v[202:203], -v[4:5]
	v_mul_f64_e32 v[18:19], v[18:19], v[204:205]
	v_add_f64_e32 v[14:15], v[14:15], v[4:5]
	s_delay_alu instid0(VALU_DEP_2) | instskip(NEXT) | instid1(VALU_DEP_1)
	v_fmac_f64_e32 v[18:19], v[20:21], v[202:203]
	v_add_f64_e32 v[16:17], v[16:17], v[18:19]
.LBB95_47:                              ;   in Loop: Header=BB95_3 Depth=1
	s_or_b32 exec_lo, exec_lo, s41
	s_delay_alu instid0(VALU_DEP_2) | instskip(NEXT) | instid1(VALU_DEP_2)
	v_xor_b32_e32 v15, 0x80000000, v15
	v_xor_b32_e32 v17, 0x80000000, v17
.LBB95_48:                              ;   in Loop: Header=BB95_3 Depth=1
	s_or_b32 exec_lo, exec_lo, s40
	s_and_saveexec_b32 s40, s68
	s_cbranch_execz .LBB95_50
; %bb.49:                               ;   in Loop: Header=BB95_3 Depth=1
	ds_load_b128 v[18:21], v2 offset:2112
	s_wait_dscnt 0x0
	v_mul_f64_e32 v[4:5], v[16:17], v[20:21]
	v_mul_f64_e32 v[204:205], v[14:15], v[20:21]
	s_delay_alu instid0(VALU_DEP_2) | instskip(NEXT) | instid1(VALU_DEP_2)
	v_fma_f64 v[202:203], v[14:15], v[18:19], -v[4:5]
	v_fmac_f64_e32 v[204:205], v[16:17], v[18:19]
	s_delay_alu instid0(VALU_DEP_2) | instskip(NEXT) | instid1(VALU_DEP_2)
	v_mov_b64_e32 v[14:15], v[202:203]
	v_mov_b64_e32 v[16:17], v[204:205]
	ds_store_b128 v49, v[202:205]
.LBB95_50:                              ;   in Loop: Header=BB95_3 Depth=1
	s_or_b32 exec_lo, exec_lo, s40
	s_wait_dscnt 0x0
	s_barrier_signal -1
	s_barrier_wait -1
	s_and_saveexec_b32 s40, s69
	s_cbranch_execz .LBB95_52
; %bb.51:                               ;   in Loop: Header=BB95_3 Depth=1
	ds_load_b128 v[18:21], v49
	ds_load_b128 v[202:205], v47 offset:2112
	s_wait_dscnt 0x0
	v_mul_f64_e32 v[4:5], v[20:21], v[204:205]
	s_delay_alu instid0(VALU_DEP_1) | instskip(SKIP_1) | instid1(VALU_DEP_2)
	v_fma_f64 v[4:5], v[18:19], v[202:203], -v[4:5]
	v_mul_f64_e32 v[18:19], v[18:19], v[204:205]
	v_add_f64_e32 v[14:15], v[14:15], v[4:5]
	s_delay_alu instid0(VALU_DEP_2) | instskip(NEXT) | instid1(VALU_DEP_1)
	v_fmac_f64_e32 v[18:19], v[20:21], v[202:203]
	v_add_f64_e32 v[16:17], v[16:17], v[18:19]
.LBB95_52:                              ;   in Loop: Header=BB95_3 Depth=1
	s_or_b32 exec_lo, exec_lo, s40
	s_barrier_signal -1
	s_barrier_wait -1
	s_and_saveexec_b32 s40, s70
	s_cbranch_execz .LBB95_54
; %bb.53:                               ;   in Loop: Header=BB95_3 Depth=1
	ds_load_b128 v[18:21], v2 offset:2640
	s_wait_dscnt 0x0
	v_mul_f64_e32 v[4:5], v[16:17], v[20:21]
	v_mul_f64_e32 v[204:205], v[14:15], v[20:21]
	s_delay_alu instid0(VALU_DEP_2) | instskip(NEXT) | instid1(VALU_DEP_2)
	v_fma_f64 v[202:203], v[14:15], v[18:19], -v[4:5]
	v_fmac_f64_e32 v[204:205], v[16:17], v[18:19]
	s_delay_alu instid0(VALU_DEP_2) | instskip(NEXT) | instid1(VALU_DEP_2)
	v_mov_b64_e32 v[14:15], v[202:203]
	v_mov_b64_e32 v[16:17], v[204:205]
	ds_store_b128 v49, v[202:205]
.LBB95_54:                              ;   in Loop: Header=BB95_3 Depth=1
	s_or_b32 exec_lo, exec_lo, s40
	s_wait_dscnt 0x0
	s_barrier_signal -1
	s_barrier_wait -1
	s_and_saveexec_b32 s40, s71
	s_cbranch_execz .LBB95_56
; %bb.55:                               ;   in Loop: Header=BB95_3 Depth=1
	ds_load_b128 v[18:21], v49
	ds_load_b128 v[202:205], v47 offset:2624
	s_wait_dscnt 0x0
	v_mul_f64_e32 v[4:5], v[20:21], v[204:205]
	s_delay_alu instid0(VALU_DEP_1) | instskip(SKIP_1) | instid1(VALU_DEP_2)
	v_fma_f64 v[4:5], v[18:19], v[202:203], -v[4:5]
	v_mul_f64_e32 v[18:19], v[18:19], v[204:205]
	v_add_f64_e32 v[14:15], v[14:15], v[4:5]
	s_delay_alu instid0(VALU_DEP_2) | instskip(NEXT) | instid1(VALU_DEP_1)
	v_fmac_f64_e32 v[18:19], v[20:21], v[202:203]
	v_add_f64_e32 v[16:17], v[16:17], v[18:19]
.LBB95_56:                              ;   in Loop: Header=BB95_3 Depth=1
	s_or_b32 exec_lo, exec_lo, s40
	s_barrier_signal -1
	s_barrier_wait -1
	;; [unrolled: 37-line block ×3, first 2 shown]
	s_and_saveexec_b32 s40, s73
	s_cbranch_execz .LBB95_62
; %bb.61:                               ;   in Loop: Header=BB95_3 Depth=1
	ds_load_b128 v[18:21], v2 offset:3696
	s_wait_dscnt 0x0
	v_mul_f64_e32 v[4:5], v[16:17], v[20:21]
	v_mul_f64_e32 v[204:205], v[14:15], v[20:21]
	s_delay_alu instid0(VALU_DEP_2) | instskip(NEXT) | instid1(VALU_DEP_2)
	v_fma_f64 v[202:203], v[14:15], v[18:19], -v[4:5]
	v_fmac_f64_e32 v[204:205], v[16:17], v[18:19]
	s_delay_alu instid0(VALU_DEP_2) | instskip(NEXT) | instid1(VALU_DEP_2)
	v_mov_b64_e32 v[14:15], v[202:203]
	v_mov_b64_e32 v[16:17], v[204:205]
	ds_store_b128 v49, v[202:205]
.LBB95_62:                              ;   in Loop: Header=BB95_3 Depth=1
	s_or_b32 exec_lo, exec_lo, s40
	s_wait_dscnt 0x0
	s_barrier_signal -1
	s_barrier_wait -1
	s_barrier_signal -1
	s_barrier_wait -1
	s_and_saveexec_b32 s40, s4
; %bb.63:                               ;   in Loop: Header=BB95_3 Depth=1
	s_delay_alu instid0(VALU_DEP_1) | instskip(NEXT) | instid1(VALU_DEP_4)
	v_xor_b32_e32 v17, 0x80000000, v17
	v_xor_b32_e32 v15, 0x80000000, v15
	ds_store_b128 v50, v[14:17] offset:64
; %bb.64:                               ;   in Loop: Header=BB95_3 Depth=1
	s_or_b32 exec_lo, exec_lo, s40
	s_wait_dscnt 0x0
	s_barrier_signal -1
	s_barrier_wait -1
	s_barrier_signal -1
	s_barrier_wait -1
	s_and_saveexec_b32 s40, s74
	s_cbranch_execz .LBB95_66
; %bb.65:                               ;   in Loop: Header=BB95_3 Depth=1
	ds_load_b128 v[14:17], v54
	s_wait_dscnt 0x0
	ds_store_b128 v151, v[14:17]
	ds_load_b128 v[14:17], v80
	s_wait_dscnt 0x0
	ds_store_b128 v154, v[14:17]
	;; [unrolled: 3-line block ×4, first 2 shown]
.LBB95_66:                              ;   in Loop: Header=BB95_3 Depth=1
	s_or_b32 exec_lo, exec_lo, s40
	s_wait_dscnt 0x0
	s_barrier_signal -1
	s_barrier_wait -1
	s_and_saveexec_b32 s40, s29
	s_cbranch_execz .LBB95_68
; %bb.67:                               ;   in Loop: Header=BB95_3 Depth=1
	ds_load_b128 v[14:17], v2 offset:2640
	ds_load_b128 v[18:21], v2 offset:2112
	s_wait_dscnt 0x0
	v_mul_f64_e32 v[4:5], v[14:15], v[20:21]
	v_mul_f64_e32 v[20:21], v[16:17], v[20:21]
	s_delay_alu instid0(VALU_DEP_2) | instskip(NEXT) | instid1(VALU_DEP_2)
	v_fmac_f64_e32 v[4:5], v[16:17], v[18:19]
	v_fma_f64 v[20:21], v[14:15], v[18:19], -v[20:21]
	ds_load_b128 v[14:17], v2 offset:2128
	s_wait_dscnt 0x0
	v_mul_f64_e32 v[38:39], v[4:5], v[16:17]
	v_mul_f64_e32 v[18:19], v[20:21], v[16:17]
	s_delay_alu instid0(VALU_DEP_2) | instskip(NEXT) | instid1(VALU_DEP_2)
	v_fma_f64 v[16:17], v[14:15], v[20:21], -v[38:39]
	v_fmac_f64_e32 v[18:19], v[14:15], v[4:5]
	ds_store_b128 v2, v[16:19] offset:2128
	ds_store_b128 v2, v[16:19] offset:2624
.LBB95_68:                              ;   in Loop: Header=BB95_3 Depth=1
	s_or_b32 exec_lo, exec_lo, s40
	v_mov_b64_e32 v[16:17], 0
	v_mov_b64_e32 v[14:15], 0
	s_wait_dscnt 0x0
	s_barrier_signal -1
	s_barrier_wait -1
	s_and_saveexec_b32 s40, s2
	s_cbranch_execz .LBB95_72
; %bb.69:                               ;   in Loop: Header=BB95_3 Depth=1
	ds_load_b128 v[14:17], v42 offset:2112
	ds_load_b128 v[18:21], v41 offset:2144
	s_wait_dscnt 0x0
	v_mul_f64_e32 v[4:5], v[16:17], v[20:21]
	v_mul_f64_e32 v[20:21], v[14:15], v[20:21]
	s_delay_alu instid0(VALU_DEP_2) | instskip(NEXT) | instid1(VALU_DEP_2)
	v_fma_f64 v[4:5], v[14:15], v[18:19], -v[4:5]
	v_fmac_f64_e32 v[20:21], v[16:17], v[18:19]
	s_delay_alu instid0(VALU_DEP_2) | instskip(NEXT) | instid1(VALU_DEP_2)
	v_add_f64_e32 v[14:15], 0, v[4:5]
	v_add_f64_e32 v[16:17], 0, v[20:21]
	s_and_saveexec_b32 s41, s10
	s_cbranch_execz .LBB95_71
; %bb.70:                               ;   in Loop: Header=BB95_3 Depth=1
	ds_load_b128 v[18:21], v2 offset:2128
	ds_load_b128 v[202:205], v81 offset:2656
	s_wait_dscnt 0x0
	v_mul_f64_e32 v[4:5], v[20:21], v[204:205]
	s_delay_alu instid0(VALU_DEP_1) | instskip(SKIP_1) | instid1(VALU_DEP_2)
	v_fma_f64 v[4:5], v[18:19], v[202:203], -v[4:5]
	v_mul_f64_e32 v[18:19], v[18:19], v[204:205]
	v_add_f64_e32 v[14:15], v[14:15], v[4:5]
	s_delay_alu instid0(VALU_DEP_2) | instskip(NEXT) | instid1(VALU_DEP_1)
	v_fmac_f64_e32 v[18:19], v[20:21], v[202:203]
	v_add_f64_e32 v[16:17], v[16:17], v[18:19]
.LBB95_71:                              ;   in Loop: Header=BB95_3 Depth=1
	s_or_b32 exec_lo, exec_lo, s41
	s_delay_alu instid0(VALU_DEP_2) | instskip(NEXT) | instid1(VALU_DEP_2)
	v_xor_b32_e32 v15, 0x80000000, v15
	v_xor_b32_e32 v17, 0x80000000, v17
.LBB95_72:                              ;   in Loop: Header=BB95_3 Depth=1
	s_or_b32 exec_lo, exec_lo, s40
	s_and_saveexec_b32 s40, s65
	s_cbranch_execz .LBB95_74
; %bb.73:                               ;   in Loop: Header=BB95_3 Depth=1
	ds_load_b128 v[18:21], v2 offset:3168
	s_wait_dscnt 0x0
	v_mul_f64_e32 v[4:5], v[16:17], v[20:21]
	v_mul_f64_e32 v[204:205], v[14:15], v[20:21]
	s_delay_alu instid0(VALU_DEP_2) | instskip(NEXT) | instid1(VALU_DEP_2)
	v_fma_f64 v[202:203], v[14:15], v[18:19], -v[4:5]
	v_fmac_f64_e32 v[204:205], v[16:17], v[18:19]
	s_delay_alu instid0(VALU_DEP_2) | instskip(NEXT) | instid1(VALU_DEP_2)
	v_mov_b64_e32 v[14:15], v[202:203]
	v_mov_b64_e32 v[16:17], v[204:205]
	ds_store_b128 v23, v[202:205]
.LBB95_74:                              ;   in Loop: Header=BB95_3 Depth=1
	s_or_b32 exec_lo, exec_lo, s40
	s_wait_dscnt 0x0
	s_barrier_signal -1
	s_barrier_wait -1
	s_and_saveexec_b32 s40, s66
	s_cbranch_execz .LBB95_76
; %bb.75:                               ;   in Loop: Header=BB95_3 Depth=1
	ds_load_b128 v[18:21], v23
	ds_load_b128 v[202:205], v2 offset:3184
	s_wait_dscnt 0x0
	v_mul_f64_e32 v[4:5], v[20:21], v[204:205]
	s_delay_alu instid0(VALU_DEP_1) | instskip(SKIP_1) | instid1(VALU_DEP_2)
	v_fma_f64 v[4:5], v[18:19], v[202:203], -v[4:5]
	v_mul_f64_e32 v[18:19], v[18:19], v[204:205]
	v_add_f64_e32 v[14:15], v[14:15], v[4:5]
	s_delay_alu instid0(VALU_DEP_2) | instskip(NEXT) | instid1(VALU_DEP_1)
	v_fmac_f64_e32 v[18:19], v[20:21], v[202:203]
	v_add_f64_e32 v[16:17], v[16:17], v[18:19]
.LBB95_76:                              ;   in Loop: Header=BB95_3 Depth=1
	s_or_b32 exec_lo, exec_lo, s40
	s_barrier_signal -1
	s_barrier_wait -1
	s_and_saveexec_b32 s40, s66
	s_cbranch_execz .LBB95_78
; %bb.77:                               ;   in Loop: Header=BB95_3 Depth=1
	ds_load_b128 v[18:21], v2 offset:3696
	s_wait_dscnt 0x0
	v_mul_f64_e32 v[4:5], v[16:17], v[20:21]
	v_mul_f64_e32 v[204:205], v[14:15], v[20:21]
	s_delay_alu instid0(VALU_DEP_2) | instskip(NEXT) | instid1(VALU_DEP_2)
	v_fma_f64 v[202:203], v[14:15], v[18:19], -v[4:5]
	v_fmac_f64_e32 v[204:205], v[16:17], v[18:19]
	s_delay_alu instid0(VALU_DEP_2) | instskip(NEXT) | instid1(VALU_DEP_2)
	v_mov_b64_e32 v[14:15], v[202:203]
	v_mov_b64_e32 v[16:17], v[204:205]
	ds_store_b128 v23, v[202:205]
.LBB95_78:                              ;   in Loop: Header=BB95_3 Depth=1
	s_or_b32 exec_lo, exec_lo, s40
	s_wait_dscnt 0x0
	s_barrier_signal -1
	s_barrier_wait -1
	s_barrier_signal -1
	s_barrier_wait -1
	s_and_saveexec_b32 s40, s2
; %bb.79:                               ;   in Loop: Header=BB95_3 Depth=1
	s_delay_alu instid0(VALU_DEP_3) | instskip(NEXT) | instid1(VALU_DEP_2)
	v_xor_b32_e32 v15, 0x80000000, v15
	v_xor_b32_e32 v17, 0x80000000, v17
	ds_store_b128 v41, v[14:17] offset:2144
; %bb.80:                               ;   in Loop: Header=BB95_3 Depth=1
	s_or_b32 exec_lo, exec_lo, s40
	s_wait_dscnt 0x0
	s_barrier_signal -1
	s_barrier_wait -1
	s_barrier_signal -1
	s_barrier_wait -1
	s_and_saveexec_b32 s40, s67
	s_cbranch_execz .LBB95_82
; %bb.81:                               ;   in Loop: Header=BB95_3 Depth=1
	ds_load_b128 v[14:17], v90
	s_wait_dscnt 0x0
	ds_store_b128 v155, v[14:17]
	ds_load_b128 v[14:17], v91
	s_wait_dscnt 0x0
	ds_store_b128 v156, v[14:17]
.LBB95_82:                              ;   in Loop: Header=BB95_3 Depth=1
	s_or_b32 exec_lo, exec_lo, s40
	s_wait_dscnt 0x0
	s_barrier_signal -1
	s_barrier_wait -1
	s_and_saveexec_b32 s40, s29
	s_cbranch_execz .LBB95_84
; %bb.83:                               ;   in Loop: Header=BB95_3 Depth=1
	ds_load_b128 v[14:17], v2 offset:3696
	ds_load_b128 v[18:21], v2 offset:3168
	s_wait_dscnt 0x0
	v_mul_f64_e32 v[4:5], v[14:15], v[20:21]
	v_mul_f64_e32 v[20:21], v[16:17], v[20:21]
	s_delay_alu instid0(VALU_DEP_2) | instskip(NEXT) | instid1(VALU_DEP_2)
	v_fmac_f64_e32 v[4:5], v[16:17], v[18:19]
	v_fma_f64 v[20:21], v[14:15], v[18:19], -v[20:21]
	ds_load_b128 v[14:17], v2 offset:3184
	s_wait_dscnt 0x0
	v_mul_f64_e32 v[38:39], v[4:5], v[16:17]
	v_mul_f64_e32 v[18:19], v[20:21], v[16:17]
	s_delay_alu instid0(VALU_DEP_2) | instskip(NEXT) | instid1(VALU_DEP_2)
	v_fma_f64 v[16:17], v[14:15], v[20:21], -v[38:39]
	v_fmac_f64_e32 v[18:19], v[14:15], v[4:5]
	ds_store_b128 v2, v[16:19] offset:3184
	ds_store_b128 v2, v[16:19] offset:3680
.LBB95_84:                              ;   in Loop: Header=BB95_3 Depth=1
	s_or_b32 exec_lo, exec_lo, s40
	v_mov_b64_e32 v[16:17], 0
	v_mov_b64_e32 v[14:15], 0
	s_wait_dscnt 0x0
	s_barrier_signal -1
	s_barrier_wait -1
	s_and_saveexec_b32 s40, s5
	s_cbranch_execz .LBB95_94
; %bb.85:                               ;   in Loop: Header=BB95_3 Depth=1
	ds_load_b128 v[14:17], v52
	ds_load_b128 v[18:21], v56 offset:128
	s_wait_dscnt 0x0
	v_mul_f64_e32 v[4:5], v[16:17], v[20:21]
	v_mul_f64_e32 v[20:21], v[14:15], v[20:21]
	s_delay_alu instid0(VALU_DEP_2) | instskip(NEXT) | instid1(VALU_DEP_2)
	v_fma_f64 v[4:5], v[14:15], v[18:19], -v[4:5]
	v_fmac_f64_e32 v[20:21], v[16:17], v[18:19]
	s_delay_alu instid0(VALU_DEP_2) | instskip(NEXT) | instid1(VALU_DEP_2)
	v_add_f64_e32 v[14:15], 0, v[4:5]
	v_add_f64_e32 v[16:17], 0, v[20:21]
	s_and_saveexec_b32 s41, s13
	s_cbranch_execnz .LBB95_552
; %bb.86:                               ;   in Loop: Header=BB95_3 Depth=1
	s_or_b32 exec_lo, exec_lo, s41
	s_and_saveexec_b32 s41, s14
	s_cbranch_execnz .LBB95_553
.LBB95_87:                              ;   in Loop: Header=BB95_3 Depth=1
	s_or_b32 exec_lo, exec_lo, s41
	s_and_saveexec_b32 s41, s15
	s_cbranch_execnz .LBB95_554
.LBB95_88:                              ;   in Loop: Header=BB95_3 Depth=1
	s_or_b32 exec_lo, exec_lo, s41
	s_and_saveexec_b32 s41, s16
	s_cbranch_execnz .LBB95_555
.LBB95_89:                              ;   in Loop: Header=BB95_3 Depth=1
	s_or_b32 exec_lo, exec_lo, s41
	s_and_saveexec_b32 s41, s17
	s_cbranch_execnz .LBB95_556
.LBB95_90:                              ;   in Loop: Header=BB95_3 Depth=1
	s_or_b32 exec_lo, exec_lo, s41
	s_and_saveexec_b32 s41, s4
	s_cbranch_execnz .LBB95_557
.LBB95_91:                              ;   in Loop: Header=BB95_3 Depth=1
	s_or_b32 exec_lo, exec_lo, s41
	s_and_saveexec_b32 s41, s12
	s_cbranch_execz .LBB95_93
.LBB95_92:                              ;   in Loop: Header=BB95_3 Depth=1
	ds_load_b128 v[18:21], v2 offset:112
	ds_load_b128 v[202:205], v43 offset:3712
	s_wait_dscnt 0x0
	v_mul_f64_e32 v[4:5], v[20:21], v[204:205]
	s_delay_alu instid0(VALU_DEP_1) | instskip(SKIP_1) | instid1(VALU_DEP_2)
	v_fma_f64 v[4:5], v[18:19], v[202:203], -v[4:5]
	v_mul_f64_e32 v[18:19], v[18:19], v[204:205]
	v_add_f64_e32 v[14:15], v[14:15], v[4:5]
	s_delay_alu instid0(VALU_DEP_2) | instskip(NEXT) | instid1(VALU_DEP_1)
	v_fmac_f64_e32 v[18:19], v[20:21], v[202:203]
	v_add_f64_e32 v[16:17], v[16:17], v[18:19]
.LBB95_93:                              ;   in Loop: Header=BB95_3 Depth=1
	s_or_b32 exec_lo, exec_lo, s41
	s_delay_alu instid0(VALU_DEP_2) | instskip(NEXT) | instid1(VALU_DEP_2)
	v_xor_b32_e32 v15, 0x80000000, v15
	v_xor_b32_e32 v17, 0x80000000, v17
.LBB95_94:                              ;   in Loop: Header=BB95_3 Depth=1
	s_or_b32 exec_lo, exec_lo, s40
	s_and_saveexec_b32 s40, s75
	s_cbranch_execz .LBB95_96
; %bb.95:                               ;   in Loop: Header=BB95_3 Depth=1
	ds_load_b128 v[18:21], v2 offset:4224
	s_wait_dscnt 0x0
	v_mul_f64_e32 v[4:5], v[16:17], v[20:21]
	v_mul_f64_e32 v[204:205], v[14:15], v[20:21]
	s_delay_alu instid0(VALU_DEP_2) | instskip(NEXT) | instid1(VALU_DEP_2)
	v_fma_f64 v[202:203], v[14:15], v[18:19], -v[4:5]
	v_fmac_f64_e32 v[204:205], v[16:17], v[18:19]
	s_delay_alu instid0(VALU_DEP_2) | instskip(NEXT) | instid1(VALU_DEP_2)
	v_mov_b64_e32 v[14:15], v[202:203]
	v_mov_b64_e32 v[16:17], v[204:205]
	ds_store_b128 v55, v[202:205]
.LBB95_96:                              ;   in Loop: Header=BB95_3 Depth=1
	s_or_b32 exec_lo, exec_lo, s40
	s_wait_dscnt 0x0
	s_barrier_signal -1
	s_barrier_wait -1
	s_and_saveexec_b32 s40, s76
	s_cbranch_execz .LBB95_98
; %bb.97:                               ;   in Loop: Header=BB95_3 Depth=1
	ds_load_b128 v[18:21], v55
	ds_load_b128 v[202:205], v53 offset:4224
	s_wait_dscnt 0x0
	v_mul_f64_e32 v[4:5], v[20:21], v[204:205]
	s_delay_alu instid0(VALU_DEP_1) | instskip(SKIP_1) | instid1(VALU_DEP_2)
	v_fma_f64 v[4:5], v[18:19], v[202:203], -v[4:5]
	v_mul_f64_e32 v[18:19], v[18:19], v[204:205]
	v_add_f64_e32 v[14:15], v[14:15], v[4:5]
	s_delay_alu instid0(VALU_DEP_2) | instskip(NEXT) | instid1(VALU_DEP_1)
	v_fmac_f64_e32 v[18:19], v[20:21], v[202:203]
	v_add_f64_e32 v[16:17], v[16:17], v[18:19]
.LBB95_98:                              ;   in Loop: Header=BB95_3 Depth=1
	s_or_b32 exec_lo, exec_lo, s40
	s_barrier_signal -1
	s_barrier_wait -1
	s_and_saveexec_b32 s40, s77
	s_cbranch_execz .LBB95_100
; %bb.99:                               ;   in Loop: Header=BB95_3 Depth=1
	ds_load_b128 v[18:21], v2 offset:4752
	s_wait_dscnt 0x0
	v_mul_f64_e32 v[4:5], v[16:17], v[20:21]
	v_mul_f64_e32 v[204:205], v[14:15], v[20:21]
	s_delay_alu instid0(VALU_DEP_2) | instskip(NEXT) | instid1(VALU_DEP_2)
	v_fma_f64 v[202:203], v[14:15], v[18:19], -v[4:5]
	v_fmac_f64_e32 v[204:205], v[16:17], v[18:19]
	s_delay_alu instid0(VALU_DEP_2) | instskip(NEXT) | instid1(VALU_DEP_2)
	v_mov_b64_e32 v[14:15], v[202:203]
	v_mov_b64_e32 v[16:17], v[204:205]
	ds_store_b128 v55, v[202:205]
.LBB95_100:                             ;   in Loop: Header=BB95_3 Depth=1
	s_or_b32 exec_lo, exec_lo, s40
	s_wait_dscnt 0x0
	s_barrier_signal -1
	s_barrier_wait -1
	s_and_saveexec_b32 s40, s78
	s_cbranch_execz .LBB95_102
; %bb.101:                              ;   in Loop: Header=BB95_3 Depth=1
	ds_load_b128 v[18:21], v55
	ds_load_b128 v[202:205], v53 offset:4736
	s_wait_dscnt 0x0
	v_mul_f64_e32 v[4:5], v[20:21], v[204:205]
	s_delay_alu instid0(VALU_DEP_1) | instskip(SKIP_1) | instid1(VALU_DEP_2)
	v_fma_f64 v[4:5], v[18:19], v[202:203], -v[4:5]
	v_mul_f64_e32 v[18:19], v[18:19], v[204:205]
	v_add_f64_e32 v[14:15], v[14:15], v[4:5]
	s_delay_alu instid0(VALU_DEP_2) | instskip(NEXT) | instid1(VALU_DEP_1)
	v_fmac_f64_e32 v[18:19], v[20:21], v[202:203]
	v_add_f64_e32 v[16:17], v[16:17], v[18:19]
.LBB95_102:                             ;   in Loop: Header=BB95_3 Depth=1
	s_or_b32 exec_lo, exec_lo, s40
	s_barrier_signal -1
	s_barrier_wait -1
	s_and_saveexec_b32 s40, s79
	s_cbranch_execz .LBB95_104
; %bb.103:                              ;   in Loop: Header=BB95_3 Depth=1
	ds_load_b128 v[18:21], v2 offset:5280
	s_wait_dscnt 0x0
	v_mul_f64_e32 v[4:5], v[16:17], v[20:21]
	v_mul_f64_e32 v[204:205], v[14:15], v[20:21]
	s_delay_alu instid0(VALU_DEP_2) | instskip(NEXT) | instid1(VALU_DEP_2)
	v_fma_f64 v[202:203], v[14:15], v[18:19], -v[4:5]
	v_fmac_f64_e32 v[204:205], v[16:17], v[18:19]
	s_delay_alu instid0(VALU_DEP_2) | instskip(NEXT) | instid1(VALU_DEP_2)
	v_mov_b64_e32 v[14:15], v[202:203]
	v_mov_b64_e32 v[16:17], v[204:205]
	ds_store_b128 v55, v[202:205]
.LBB95_104:                             ;   in Loop: Header=BB95_3 Depth=1
	s_or_b32 exec_lo, exec_lo, s40
	s_wait_dscnt 0x0
	s_barrier_signal -1
	s_barrier_wait -1
	s_and_saveexec_b32 s40, s80
	s_cbranch_execz .LBB95_106
; %bb.105:                              ;   in Loop: Header=BB95_3 Depth=1
	ds_load_b128 v[18:21], v55
	ds_load_b128 v[202:205], v53 offset:5248
	s_wait_dscnt 0x0
	v_mul_f64_e32 v[4:5], v[20:21], v[204:205]
	s_delay_alu instid0(VALU_DEP_1) | instskip(SKIP_1) | instid1(VALU_DEP_2)
	v_fma_f64 v[4:5], v[18:19], v[202:203], -v[4:5]
	v_mul_f64_e32 v[18:19], v[18:19], v[204:205]
	v_add_f64_e32 v[14:15], v[14:15], v[4:5]
	s_delay_alu instid0(VALU_DEP_2) | instskip(NEXT) | instid1(VALU_DEP_1)
	v_fmac_f64_e32 v[18:19], v[20:21], v[202:203]
	v_add_f64_e32 v[16:17], v[16:17], v[18:19]
.LBB95_106:                             ;   in Loop: Header=BB95_3 Depth=1
	s_or_b32 exec_lo, exec_lo, s40
	s_barrier_signal -1
	s_barrier_wait -1
	s_and_saveexec_b32 s40, s81
	s_cbranch_execz .LBB95_108
; %bb.107:                              ;   in Loop: Header=BB95_3 Depth=1
	ds_load_b128 v[18:21], v2 offset:5808
	s_wait_dscnt 0x0
	v_mul_f64_e32 v[4:5], v[16:17], v[20:21]
	v_mul_f64_e32 v[204:205], v[14:15], v[20:21]
	s_delay_alu instid0(VALU_DEP_2) | instskip(NEXT) | instid1(VALU_DEP_2)
	v_fma_f64 v[202:203], v[14:15], v[18:19], -v[4:5]
	v_fmac_f64_e32 v[204:205], v[16:17], v[18:19]
	s_delay_alu instid0(VALU_DEP_2) | instskip(NEXT) | instid1(VALU_DEP_2)
	v_mov_b64_e32 v[14:15], v[202:203]
	v_mov_b64_e32 v[16:17], v[204:205]
	ds_store_b128 v55, v[202:205]
.LBB95_108:                             ;   in Loop: Header=BB95_3 Depth=1
	;; [unrolled: 37-line block ×6, first 2 shown]
	s_or_b32 exec_lo, exec_lo, s40
	s_wait_dscnt 0x0
	s_barrier_signal -1
	s_barrier_wait -1
	s_barrier_signal -1
	s_barrier_wait -1
	s_and_saveexec_b32 s40, s5
; %bb.125:                              ;   in Loop: Header=BB95_3 Depth=1
	s_delay_alu instid0(VALU_DEP_3) | instskip(NEXT) | instid1(VALU_DEP_2)
	v_xor_b32_e32 v15, 0x80000000, v15
	v_xor_b32_e32 v17, 0x80000000, v17
	ds_store_b128 v56, v[14:17] offset:128
; %bb.126:                              ;   in Loop: Header=BB95_3 Depth=1
	s_or_b32 exec_lo, exec_lo, s40
	s_wait_dscnt 0x0
	s_barrier_signal -1
	s_barrier_wait -1
	s_barrier_signal -1
	s_barrier_wait -1
	s_and_saveexec_b32 s40, s89
	s_cbranch_execz .LBB95_128
; %bb.127:                              ;   in Loop: Header=BB95_3 Depth=1
	ds_load_b128 v[14:17], v58
	s_wait_dscnt 0x0
	ds_store_b128 v157, v[14:17]
	ds_load_b128 v[14:17], v59
	s_wait_dscnt 0x0
	ds_store_b128 v158, v[14:17]
	;; [unrolled: 3-line block ×8, first 2 shown]
.LBB95_128:                             ;   in Loop: Header=BB95_3 Depth=1
	s_or_b32 exec_lo, exec_lo, s40
	s_wait_dscnt 0x0
	s_barrier_signal -1
	s_barrier_wait -1
	s_and_saveexec_b32 s40, s29
	s_cbranch_execz .LBB95_130
; %bb.129:                              ;   in Loop: Header=BB95_3 Depth=1
	ds_load_b128 v[14:17], v2 offset:4752
	ds_load_b128 v[18:21], v2 offset:4224
	s_wait_dscnt 0x0
	v_mul_f64_e32 v[4:5], v[14:15], v[20:21]
	v_mul_f64_e32 v[20:21], v[16:17], v[20:21]
	s_delay_alu instid0(VALU_DEP_2) | instskip(NEXT) | instid1(VALU_DEP_2)
	v_fmac_f64_e32 v[4:5], v[16:17], v[18:19]
	v_fma_f64 v[20:21], v[14:15], v[18:19], -v[20:21]
	ds_load_b128 v[14:17], v2 offset:4240
	s_wait_dscnt 0x0
	v_mul_f64_e32 v[38:39], v[4:5], v[16:17]
	v_mul_f64_e32 v[18:19], v[20:21], v[16:17]
	s_delay_alu instid0(VALU_DEP_2) | instskip(NEXT) | instid1(VALU_DEP_2)
	v_fma_f64 v[16:17], v[14:15], v[20:21], -v[38:39]
	v_fmac_f64_e32 v[18:19], v[14:15], v[4:5]
	ds_store_b128 v2, v[16:19] offset:4240
	ds_store_b128 v2, v[16:19] offset:4736
.LBB95_130:                             ;   in Loop: Header=BB95_3 Depth=1
	s_or_b32 exec_lo, exec_lo, s40
	v_mov_b64_e32 v[16:17], 0
	v_mov_b64_e32 v[14:15], 0
	s_wait_dscnt 0x0
	s_barrier_signal -1
	s_barrier_wait -1
	s_and_saveexec_b32 s40, s2
	s_cbranch_execz .LBB95_134
; %bb.131:                              ;   in Loop: Header=BB95_3 Depth=1
	ds_load_b128 v[14:17], v42 offset:4224
	ds_load_b128 v[18:21], v41 offset:4256
	s_wait_dscnt 0x0
	v_mul_f64_e32 v[4:5], v[16:17], v[20:21]
	v_mul_f64_e32 v[20:21], v[14:15], v[20:21]
	s_delay_alu instid0(VALU_DEP_2) | instskip(NEXT) | instid1(VALU_DEP_2)
	v_fma_f64 v[4:5], v[14:15], v[18:19], -v[4:5]
	v_fmac_f64_e32 v[20:21], v[16:17], v[18:19]
	s_delay_alu instid0(VALU_DEP_2) | instskip(NEXT) | instid1(VALU_DEP_2)
	v_add_f64_e32 v[14:15], 0, v[4:5]
	v_add_f64_e32 v[16:17], 0, v[20:21]
	s_and_saveexec_b32 s41, s10
	s_cbranch_execz .LBB95_133
; %bb.132:                              ;   in Loop: Header=BB95_3 Depth=1
	ds_load_b128 v[18:21], v2 offset:4240
	ds_load_b128 v[202:205], v48 offset:4768
	s_wait_dscnt 0x0
	v_mul_f64_e32 v[4:5], v[20:21], v[204:205]
	s_delay_alu instid0(VALU_DEP_1) | instskip(SKIP_1) | instid1(VALU_DEP_2)
	v_fma_f64 v[4:5], v[18:19], v[202:203], -v[4:5]
	v_mul_f64_e32 v[18:19], v[18:19], v[204:205]
	v_add_f64_e32 v[14:15], v[14:15], v[4:5]
	s_delay_alu instid0(VALU_DEP_2) | instskip(NEXT) | instid1(VALU_DEP_1)
	v_fmac_f64_e32 v[18:19], v[20:21], v[202:203]
	v_add_f64_e32 v[16:17], v[16:17], v[18:19]
.LBB95_133:                             ;   in Loop: Header=BB95_3 Depth=1
	s_or_b32 exec_lo, exec_lo, s41
	s_delay_alu instid0(VALU_DEP_2) | instskip(NEXT) | instid1(VALU_DEP_2)
	v_xor_b32_e32 v15, 0x80000000, v15
	v_xor_b32_e32 v17, 0x80000000, v17
.LBB95_134:                             ;   in Loop: Header=BB95_3 Depth=1
	s_or_b32 exec_lo, exec_lo, s40
	s_and_saveexec_b32 s40, s65
	s_cbranch_execz .LBB95_136
; %bb.135:                              ;   in Loop: Header=BB95_3 Depth=1
	ds_load_b128 v[18:21], v2 offset:5280
	s_wait_dscnt 0x0
	v_mul_f64_e32 v[4:5], v[16:17], v[20:21]
	v_mul_f64_e32 v[204:205], v[14:15], v[20:21]
	s_delay_alu instid0(VALU_DEP_2) | instskip(NEXT) | instid1(VALU_DEP_2)
	v_fma_f64 v[202:203], v[14:15], v[18:19], -v[4:5]
	v_fmac_f64_e32 v[204:205], v[16:17], v[18:19]
	s_delay_alu instid0(VALU_DEP_2) | instskip(NEXT) | instid1(VALU_DEP_2)
	v_mov_b64_e32 v[14:15], v[202:203]
	v_mov_b64_e32 v[16:17], v[204:205]
	ds_store_b128 v23, v[202:205]
.LBB95_136:                             ;   in Loop: Header=BB95_3 Depth=1
	s_or_b32 exec_lo, exec_lo, s40
	s_wait_dscnt 0x0
	s_barrier_signal -1
	s_barrier_wait -1
	s_and_saveexec_b32 s40, s66
	s_cbranch_execz .LBB95_138
; %bb.137:                              ;   in Loop: Header=BB95_3 Depth=1
	ds_load_b128 v[18:21], v23
	ds_load_b128 v[202:205], v2 offset:5296
	s_wait_dscnt 0x0
	v_mul_f64_e32 v[4:5], v[20:21], v[204:205]
	s_delay_alu instid0(VALU_DEP_1) | instskip(SKIP_1) | instid1(VALU_DEP_2)
	v_fma_f64 v[4:5], v[18:19], v[202:203], -v[4:5]
	v_mul_f64_e32 v[18:19], v[18:19], v[204:205]
	v_add_f64_e32 v[14:15], v[14:15], v[4:5]
	s_delay_alu instid0(VALU_DEP_2) | instskip(NEXT) | instid1(VALU_DEP_1)
	v_fmac_f64_e32 v[18:19], v[20:21], v[202:203]
	v_add_f64_e32 v[16:17], v[16:17], v[18:19]
.LBB95_138:                             ;   in Loop: Header=BB95_3 Depth=1
	s_or_b32 exec_lo, exec_lo, s40
	s_barrier_signal -1
	s_barrier_wait -1
	s_and_saveexec_b32 s40, s66
	s_cbranch_execz .LBB95_140
; %bb.139:                              ;   in Loop: Header=BB95_3 Depth=1
	ds_load_b128 v[18:21], v2 offset:5808
	s_wait_dscnt 0x0
	v_mul_f64_e32 v[4:5], v[16:17], v[20:21]
	v_mul_f64_e32 v[204:205], v[14:15], v[20:21]
	s_delay_alu instid0(VALU_DEP_2) | instskip(NEXT) | instid1(VALU_DEP_2)
	v_fma_f64 v[202:203], v[14:15], v[18:19], -v[4:5]
	v_fmac_f64_e32 v[204:205], v[16:17], v[18:19]
	s_delay_alu instid0(VALU_DEP_2) | instskip(NEXT) | instid1(VALU_DEP_2)
	v_mov_b64_e32 v[14:15], v[202:203]
	v_mov_b64_e32 v[16:17], v[204:205]
	ds_store_b128 v23, v[202:205]
.LBB95_140:                             ;   in Loop: Header=BB95_3 Depth=1
	s_or_b32 exec_lo, exec_lo, s40
	s_wait_dscnt 0x0
	s_barrier_signal -1
	s_barrier_wait -1
	s_barrier_signal -1
	s_barrier_wait -1
	s_and_saveexec_b32 s40, s2
; %bb.141:                              ;   in Loop: Header=BB95_3 Depth=1
	s_delay_alu instid0(VALU_DEP_3) | instskip(NEXT) | instid1(VALU_DEP_2)
	v_xor_b32_e32 v15, 0x80000000, v15
	v_xor_b32_e32 v17, 0x80000000, v17
	ds_store_b128 v41, v[14:17] offset:4256
; %bb.142:                              ;   in Loop: Header=BB95_3 Depth=1
	s_or_b32 exec_lo, exec_lo, s40
	s_wait_dscnt 0x0
	s_barrier_signal -1
	s_barrier_wait -1
	s_barrier_signal -1
	s_barrier_wait -1
	s_and_saveexec_b32 s40, s67
	s_cbranch_execz .LBB95_144
; %bb.143:                              ;   in Loop: Header=BB95_3 Depth=1
	ds_load_b128 v[14:17], v82
	s_wait_dscnt 0x0
	ds_store_b128 v165, v[14:17]
	ds_load_b128 v[14:17], v83
	s_wait_dscnt 0x0
	ds_store_b128 v166, v[14:17]
.LBB95_144:                             ;   in Loop: Header=BB95_3 Depth=1
	s_or_b32 exec_lo, exec_lo, s40
	s_wait_dscnt 0x0
	s_barrier_signal -1
	s_barrier_wait -1
	s_and_saveexec_b32 s40, s29
	s_cbranch_execz .LBB95_146
; %bb.145:                              ;   in Loop: Header=BB95_3 Depth=1
	ds_load_b128 v[14:17], v2 offset:5808
	ds_load_b128 v[18:21], v2 offset:5280
	s_wait_dscnt 0x0
	v_mul_f64_e32 v[4:5], v[14:15], v[20:21]
	v_mul_f64_e32 v[20:21], v[16:17], v[20:21]
	s_delay_alu instid0(VALU_DEP_2) | instskip(NEXT) | instid1(VALU_DEP_2)
	v_fmac_f64_e32 v[4:5], v[16:17], v[18:19]
	v_fma_f64 v[20:21], v[14:15], v[18:19], -v[20:21]
	ds_load_b128 v[14:17], v2 offset:5296
	s_wait_dscnt 0x0
	v_mul_f64_e32 v[38:39], v[4:5], v[16:17]
	v_mul_f64_e32 v[18:19], v[20:21], v[16:17]
	s_delay_alu instid0(VALU_DEP_2) | instskip(NEXT) | instid1(VALU_DEP_2)
	v_fma_f64 v[16:17], v[14:15], v[20:21], -v[38:39]
	v_fmac_f64_e32 v[18:19], v[14:15], v[4:5]
	ds_store_b128 v2, v[16:19] offset:5296
	ds_store_b128 v2, v[16:19] offset:5792
.LBB95_146:                             ;   in Loop: Header=BB95_3 Depth=1
	s_or_b32 exec_lo, exec_lo, s40
	v_mov_b64_e32 v[16:17], 0
	v_mov_b64_e32 v[14:15], 0
	s_wait_dscnt 0x0
	s_barrier_signal -1
	s_barrier_wait -1
	s_and_saveexec_b32 s40, s4
	s_cbranch_execz .LBB95_152
; %bb.147:                              ;   in Loop: Header=BB95_3 Depth=1
	ds_load_b128 v[14:17], v44 offset:4224
	ds_load_b128 v[18:21], v50 offset:4288
	s_wait_dscnt 0x0
	v_mul_f64_e32 v[4:5], v[16:17], v[20:21]
	v_mul_f64_e32 v[20:21], v[14:15], v[20:21]
	s_delay_alu instid0(VALU_DEP_2) | instskip(NEXT) | instid1(VALU_DEP_2)
	v_fma_f64 v[4:5], v[14:15], v[18:19], -v[4:5]
	v_fmac_f64_e32 v[20:21], v[16:17], v[18:19]
	s_delay_alu instid0(VALU_DEP_2) | instskip(NEXT) | instid1(VALU_DEP_2)
	v_add_f64_e32 v[14:15], 0, v[4:5]
	v_add_f64_e32 v[16:17], 0, v[20:21]
	s_and_saveexec_b32 s41, s11
	s_cbranch_execnz .LBB95_558
; %bb.148:                              ;   in Loop: Header=BB95_3 Depth=1
	s_or_b32 exec_lo, exec_lo, s41
	s_and_saveexec_b32 s41, s12
	s_cbranch_execnz .LBB95_559
.LBB95_149:                             ;   in Loop: Header=BB95_3 Depth=1
	s_or_b32 exec_lo, exec_lo, s41
	s_and_saveexec_b32 s41, s2
	s_cbranch_execz .LBB95_151
.LBB95_150:                             ;   in Loop: Header=BB95_3 Depth=1
	ds_load_b128 v[18:21], v2 offset:4272
	ds_load_b128 v[202:205], v81 offset:5824
	s_wait_dscnt 0x0
	v_mul_f64_e32 v[4:5], v[20:21], v[204:205]
	s_delay_alu instid0(VALU_DEP_1) | instskip(SKIP_1) | instid1(VALU_DEP_2)
	v_fma_f64 v[4:5], v[18:19], v[202:203], -v[4:5]
	v_mul_f64_e32 v[18:19], v[18:19], v[204:205]
	v_add_f64_e32 v[14:15], v[14:15], v[4:5]
	s_delay_alu instid0(VALU_DEP_2) | instskip(NEXT) | instid1(VALU_DEP_1)
	v_fmac_f64_e32 v[18:19], v[20:21], v[202:203]
	v_add_f64_e32 v[16:17], v[16:17], v[18:19]
.LBB95_151:                             ;   in Loop: Header=BB95_3 Depth=1
	s_or_b32 exec_lo, exec_lo, s41
	s_delay_alu instid0(VALU_DEP_2) | instskip(NEXT) | instid1(VALU_DEP_2)
	v_xor_b32_e32 v15, 0x80000000, v15
	v_xor_b32_e32 v17, 0x80000000, v17
.LBB95_152:                             ;   in Loop: Header=BB95_3 Depth=1
	s_or_b32 exec_lo, exec_lo, s40
	s_and_saveexec_b32 s40, s68
	s_cbranch_execz .LBB95_154
; %bb.153:                              ;   in Loop: Header=BB95_3 Depth=1
	ds_load_b128 v[18:21], v2 offset:6336
	s_wait_dscnt 0x0
	v_mul_f64_e32 v[4:5], v[16:17], v[20:21]
	v_mul_f64_e32 v[204:205], v[14:15], v[20:21]
	s_delay_alu instid0(VALU_DEP_2) | instskip(NEXT) | instid1(VALU_DEP_2)
	v_fma_f64 v[202:203], v[14:15], v[18:19], -v[4:5]
	v_fmac_f64_e32 v[204:205], v[16:17], v[18:19]
	s_delay_alu instid0(VALU_DEP_2) | instskip(NEXT) | instid1(VALU_DEP_2)
	v_mov_b64_e32 v[14:15], v[202:203]
	v_mov_b64_e32 v[16:17], v[204:205]
	ds_store_b128 v49, v[202:205]
.LBB95_154:                             ;   in Loop: Header=BB95_3 Depth=1
	s_or_b32 exec_lo, exec_lo, s40
	s_wait_dscnt 0x0
	s_barrier_signal -1
	s_barrier_wait -1
	s_and_saveexec_b32 s40, s69
	s_cbranch_execz .LBB95_156
; %bb.155:                              ;   in Loop: Header=BB95_3 Depth=1
	ds_load_b128 v[18:21], v49
	ds_load_b128 v[202:205], v47 offset:6336
	s_wait_dscnt 0x0
	v_mul_f64_e32 v[4:5], v[20:21], v[204:205]
	s_delay_alu instid0(VALU_DEP_1) | instskip(SKIP_1) | instid1(VALU_DEP_2)
	v_fma_f64 v[4:5], v[18:19], v[202:203], -v[4:5]
	v_mul_f64_e32 v[18:19], v[18:19], v[204:205]
	v_add_f64_e32 v[14:15], v[14:15], v[4:5]
	s_delay_alu instid0(VALU_DEP_2) | instskip(NEXT) | instid1(VALU_DEP_1)
	v_fmac_f64_e32 v[18:19], v[20:21], v[202:203]
	v_add_f64_e32 v[16:17], v[16:17], v[18:19]
.LBB95_156:                             ;   in Loop: Header=BB95_3 Depth=1
	s_or_b32 exec_lo, exec_lo, s40
	s_barrier_signal -1
	s_barrier_wait -1
	s_and_saveexec_b32 s40, s70
	s_cbranch_execz .LBB95_158
; %bb.157:                              ;   in Loop: Header=BB95_3 Depth=1
	ds_load_b128 v[18:21], v2 offset:6864
	s_wait_dscnt 0x0
	v_mul_f64_e32 v[4:5], v[16:17], v[20:21]
	v_mul_f64_e32 v[204:205], v[14:15], v[20:21]
	s_delay_alu instid0(VALU_DEP_2) | instskip(NEXT) | instid1(VALU_DEP_2)
	v_fma_f64 v[202:203], v[14:15], v[18:19], -v[4:5]
	v_fmac_f64_e32 v[204:205], v[16:17], v[18:19]
	s_delay_alu instid0(VALU_DEP_2) | instskip(NEXT) | instid1(VALU_DEP_2)
	v_mov_b64_e32 v[14:15], v[202:203]
	v_mov_b64_e32 v[16:17], v[204:205]
	ds_store_b128 v49, v[202:205]
.LBB95_158:                             ;   in Loop: Header=BB95_3 Depth=1
	s_or_b32 exec_lo, exec_lo, s40
	s_wait_dscnt 0x0
	s_barrier_signal -1
	s_barrier_wait -1
	s_and_saveexec_b32 s40, s71
	s_cbranch_execz .LBB95_160
; %bb.159:                              ;   in Loop: Header=BB95_3 Depth=1
	ds_load_b128 v[18:21], v49
	ds_load_b128 v[202:205], v47 offset:6848
	s_wait_dscnt 0x0
	v_mul_f64_e32 v[4:5], v[20:21], v[204:205]
	s_delay_alu instid0(VALU_DEP_1) | instskip(SKIP_1) | instid1(VALU_DEP_2)
	v_fma_f64 v[4:5], v[18:19], v[202:203], -v[4:5]
	v_mul_f64_e32 v[18:19], v[18:19], v[204:205]
	v_add_f64_e32 v[14:15], v[14:15], v[4:5]
	s_delay_alu instid0(VALU_DEP_2) | instskip(NEXT) | instid1(VALU_DEP_1)
	v_fmac_f64_e32 v[18:19], v[20:21], v[202:203]
	v_add_f64_e32 v[16:17], v[16:17], v[18:19]
.LBB95_160:                             ;   in Loop: Header=BB95_3 Depth=1
	s_or_b32 exec_lo, exec_lo, s40
	s_barrier_signal -1
	s_barrier_wait -1
	;; [unrolled: 37-line block ×3, first 2 shown]
	s_and_saveexec_b32 s40, s73
	s_cbranch_execz .LBB95_166
; %bb.165:                              ;   in Loop: Header=BB95_3 Depth=1
	ds_load_b128 v[18:21], v2 offset:7920
	s_wait_dscnt 0x0
	v_mul_f64_e32 v[4:5], v[16:17], v[20:21]
	v_mul_f64_e32 v[204:205], v[14:15], v[20:21]
	s_delay_alu instid0(VALU_DEP_2) | instskip(NEXT) | instid1(VALU_DEP_2)
	v_fma_f64 v[202:203], v[14:15], v[18:19], -v[4:5]
	v_fmac_f64_e32 v[204:205], v[16:17], v[18:19]
	s_delay_alu instid0(VALU_DEP_2) | instskip(NEXT) | instid1(VALU_DEP_2)
	v_mov_b64_e32 v[14:15], v[202:203]
	v_mov_b64_e32 v[16:17], v[204:205]
	ds_store_b128 v49, v[202:205]
.LBB95_166:                             ;   in Loop: Header=BB95_3 Depth=1
	s_or_b32 exec_lo, exec_lo, s40
	s_wait_dscnt 0x0
	s_barrier_signal -1
	s_barrier_wait -1
	s_barrier_signal -1
	s_barrier_wait -1
	s_and_saveexec_b32 s40, s4
; %bb.167:                              ;   in Loop: Header=BB95_3 Depth=1
	s_delay_alu instid0(VALU_DEP_1) | instskip(NEXT) | instid1(VALU_DEP_4)
	v_xor_b32_e32 v17, 0x80000000, v17
	v_xor_b32_e32 v15, 0x80000000, v15
	ds_store_b128 v50, v[14:17] offset:4288
; %bb.168:                              ;   in Loop: Header=BB95_3 Depth=1
	s_or_b32 exec_lo, exec_lo, s40
	s_wait_dscnt 0x0
	s_barrier_signal -1
	s_barrier_wait -1
	s_barrier_signal -1
	s_barrier_wait -1
	s_and_saveexec_b32 s40, s74
	s_cbranch_execz .LBB95_170
; %bb.169:                              ;   in Loop: Header=BB95_3 Depth=1
	ds_load_b128 v[14:17], v93
	s_wait_dscnt 0x0
	ds_store_b128 v168, v[14:17]
	ds_load_b128 v[14:17], v96
	s_wait_dscnt 0x0
	ds_store_b128 v171, v[14:17]
	ds_load_b128 v[14:17], v95
	s_wait_dscnt 0x0
	ds_store_b128 v170, v[14:17]
	ds_load_b128 v[14:17], v94
	s_wait_dscnt 0x0
	ds_store_b128 v169, v[14:17]
.LBB95_170:                             ;   in Loop: Header=BB95_3 Depth=1
	s_or_b32 exec_lo, exec_lo, s40
	s_wait_dscnt 0x0
	s_barrier_signal -1
	s_barrier_wait -1
	s_and_saveexec_b32 s40, s29
	s_cbranch_execz .LBB95_172
; %bb.171:                              ;   in Loop: Header=BB95_3 Depth=1
	ds_load_b128 v[14:17], v2 offset:6864
	ds_load_b128 v[18:21], v2 offset:6336
	s_wait_dscnt 0x0
	v_mul_f64_e32 v[4:5], v[14:15], v[20:21]
	v_mul_f64_e32 v[20:21], v[16:17], v[20:21]
	s_delay_alu instid0(VALU_DEP_2) | instskip(NEXT) | instid1(VALU_DEP_2)
	v_fmac_f64_e32 v[4:5], v[16:17], v[18:19]
	v_fma_f64 v[20:21], v[14:15], v[18:19], -v[20:21]
	ds_load_b128 v[14:17], v2 offset:6352
	s_wait_dscnt 0x0
	v_mul_f64_e32 v[38:39], v[4:5], v[16:17]
	v_mul_f64_e32 v[18:19], v[20:21], v[16:17]
	s_delay_alu instid0(VALU_DEP_2) | instskip(NEXT) | instid1(VALU_DEP_2)
	v_fma_f64 v[16:17], v[14:15], v[20:21], -v[38:39]
	v_fmac_f64_e32 v[18:19], v[14:15], v[4:5]
	ds_store_b128 v2, v[16:19] offset:6352
	ds_store_b128 v2, v[16:19] offset:6848
.LBB95_172:                             ;   in Loop: Header=BB95_3 Depth=1
	s_or_b32 exec_lo, exec_lo, s40
	v_mov_b64_e32 v[16:17], 0
	v_mov_b64_e32 v[14:15], 0
	s_wait_dscnt 0x0
	s_barrier_signal -1
	s_barrier_wait -1
	s_and_saveexec_b32 s40, s2
	s_cbranch_execz .LBB95_176
; %bb.173:                              ;   in Loop: Header=BB95_3 Depth=1
	ds_load_b128 v[14:17], v42 offset:6336
	ds_load_b128 v[18:21], v41 offset:6368
	s_wait_dscnt 0x0
	v_mul_f64_e32 v[4:5], v[16:17], v[20:21]
	v_mul_f64_e32 v[20:21], v[14:15], v[20:21]
	s_delay_alu instid0(VALU_DEP_2) | instskip(NEXT) | instid1(VALU_DEP_2)
	v_fma_f64 v[4:5], v[14:15], v[18:19], -v[4:5]
	v_fmac_f64_e32 v[20:21], v[16:17], v[18:19]
	s_delay_alu instid0(VALU_DEP_2) | instskip(NEXT) | instid1(VALU_DEP_2)
	v_add_f64_e32 v[14:15], 0, v[4:5]
	v_add_f64_e32 v[16:17], 0, v[20:21]
	s_and_saveexec_b32 s41, s10
	s_cbranch_execz .LBB95_175
; %bb.174:                              ;   in Loop: Header=BB95_3 Depth=1
	ds_load_b128 v[18:21], v2 offset:6352
	ds_load_b128 v[202:205], v92 offset:6880
	s_wait_dscnt 0x0
	v_mul_f64_e32 v[4:5], v[20:21], v[204:205]
	s_delay_alu instid0(VALU_DEP_1) | instskip(SKIP_1) | instid1(VALU_DEP_2)
	v_fma_f64 v[4:5], v[18:19], v[202:203], -v[4:5]
	v_mul_f64_e32 v[18:19], v[18:19], v[204:205]
	v_add_f64_e32 v[14:15], v[14:15], v[4:5]
	s_delay_alu instid0(VALU_DEP_2) | instskip(NEXT) | instid1(VALU_DEP_1)
	v_fmac_f64_e32 v[18:19], v[20:21], v[202:203]
	v_add_f64_e32 v[16:17], v[16:17], v[18:19]
.LBB95_175:                             ;   in Loop: Header=BB95_3 Depth=1
	s_or_b32 exec_lo, exec_lo, s41
	s_delay_alu instid0(VALU_DEP_2) | instskip(NEXT) | instid1(VALU_DEP_2)
	v_xor_b32_e32 v15, 0x80000000, v15
	v_xor_b32_e32 v17, 0x80000000, v17
.LBB95_176:                             ;   in Loop: Header=BB95_3 Depth=1
	s_or_b32 exec_lo, exec_lo, s40
	s_and_saveexec_b32 s40, s65
	s_cbranch_execz .LBB95_178
; %bb.177:                              ;   in Loop: Header=BB95_3 Depth=1
	ds_load_b128 v[18:21], v2 offset:7392
	s_wait_dscnt 0x0
	v_mul_f64_e32 v[4:5], v[16:17], v[20:21]
	v_mul_f64_e32 v[204:205], v[14:15], v[20:21]
	s_delay_alu instid0(VALU_DEP_2) | instskip(NEXT) | instid1(VALU_DEP_2)
	v_fma_f64 v[202:203], v[14:15], v[18:19], -v[4:5]
	v_fmac_f64_e32 v[204:205], v[16:17], v[18:19]
	s_delay_alu instid0(VALU_DEP_2) | instskip(NEXT) | instid1(VALU_DEP_2)
	v_mov_b64_e32 v[14:15], v[202:203]
	v_mov_b64_e32 v[16:17], v[204:205]
	ds_store_b128 v23, v[202:205]
.LBB95_178:                             ;   in Loop: Header=BB95_3 Depth=1
	s_or_b32 exec_lo, exec_lo, s40
	s_wait_dscnt 0x0
	s_barrier_signal -1
	s_barrier_wait -1
	s_and_saveexec_b32 s40, s66
	s_cbranch_execz .LBB95_180
; %bb.179:                              ;   in Loop: Header=BB95_3 Depth=1
	ds_load_b128 v[18:21], v23
	ds_load_b128 v[202:205], v2 offset:7408
	s_wait_dscnt 0x0
	v_mul_f64_e32 v[4:5], v[20:21], v[204:205]
	s_delay_alu instid0(VALU_DEP_1) | instskip(SKIP_1) | instid1(VALU_DEP_2)
	v_fma_f64 v[4:5], v[18:19], v[202:203], -v[4:5]
	v_mul_f64_e32 v[18:19], v[18:19], v[204:205]
	v_add_f64_e32 v[14:15], v[14:15], v[4:5]
	s_delay_alu instid0(VALU_DEP_2) | instskip(NEXT) | instid1(VALU_DEP_1)
	v_fmac_f64_e32 v[18:19], v[20:21], v[202:203]
	v_add_f64_e32 v[16:17], v[16:17], v[18:19]
.LBB95_180:                             ;   in Loop: Header=BB95_3 Depth=1
	s_or_b32 exec_lo, exec_lo, s40
	s_barrier_signal -1
	s_barrier_wait -1
	s_and_saveexec_b32 s40, s66
	s_cbranch_execz .LBB95_182
; %bb.181:                              ;   in Loop: Header=BB95_3 Depth=1
	ds_load_b128 v[18:21], v2 offset:7920
	s_wait_dscnt 0x0
	v_mul_f64_e32 v[4:5], v[16:17], v[20:21]
	v_mul_f64_e32 v[204:205], v[14:15], v[20:21]
	s_delay_alu instid0(VALU_DEP_2) | instskip(NEXT) | instid1(VALU_DEP_2)
	v_fma_f64 v[202:203], v[14:15], v[18:19], -v[4:5]
	v_fmac_f64_e32 v[204:205], v[16:17], v[18:19]
	s_delay_alu instid0(VALU_DEP_2) | instskip(NEXT) | instid1(VALU_DEP_2)
	v_mov_b64_e32 v[14:15], v[202:203]
	v_mov_b64_e32 v[16:17], v[204:205]
	ds_store_b128 v23, v[202:205]
.LBB95_182:                             ;   in Loop: Header=BB95_3 Depth=1
	s_or_b32 exec_lo, exec_lo, s40
	s_wait_dscnt 0x0
	s_barrier_signal -1
	s_barrier_wait -1
	s_barrier_signal -1
	s_barrier_wait -1
	s_and_saveexec_b32 s40, s2
; %bb.183:                              ;   in Loop: Header=BB95_3 Depth=1
	s_delay_alu instid0(VALU_DEP_3) | instskip(NEXT) | instid1(VALU_DEP_2)
	v_xor_b32_e32 v15, 0x80000000, v15
	v_xor_b32_e32 v17, 0x80000000, v17
	ds_store_b128 v41, v[14:17] offset:6368
; %bb.184:                              ;   in Loop: Header=BB95_3 Depth=1
	s_or_b32 exec_lo, exec_lo, s40
	s_wait_dscnt 0x0
	s_barrier_signal -1
	s_barrier_wait -1
	s_barrier_signal -1
	s_barrier_wait -1
	s_and_saveexec_b32 s40, s67
	s_cbranch_execz .LBB95_186
; %bb.185:                              ;   in Loop: Header=BB95_3 Depth=1
	ds_load_b128 v[14:17], v103
	s_wait_dscnt 0x0
	ds_store_b128 v107, v[14:17]
	ds_load_b128 v[14:17], v104
	s_wait_dscnt 0x0
	ds_store_b128 v108, v[14:17]
.LBB95_186:                             ;   in Loop: Header=BB95_3 Depth=1
	s_or_b32 exec_lo, exec_lo, s40
	s_wait_dscnt 0x0
	s_barrier_signal -1
	s_barrier_wait -1
	s_and_saveexec_b32 s40, s29
	s_cbranch_execz .LBB95_188
; %bb.187:                              ;   in Loop: Header=BB95_3 Depth=1
	ds_load_b128 v[14:17], v2 offset:7920
	ds_load_b128 v[18:21], v2 offset:7392
	s_wait_dscnt 0x0
	v_mul_f64_e32 v[4:5], v[14:15], v[20:21]
	v_mul_f64_e32 v[20:21], v[16:17], v[20:21]
	s_delay_alu instid0(VALU_DEP_2) | instskip(NEXT) | instid1(VALU_DEP_2)
	v_fmac_f64_e32 v[4:5], v[16:17], v[18:19]
	v_fma_f64 v[20:21], v[14:15], v[18:19], -v[20:21]
	ds_load_b128 v[14:17], v2 offset:7408
	s_wait_dscnt 0x0
	v_mul_f64_e32 v[38:39], v[4:5], v[16:17]
	v_mul_f64_e32 v[18:19], v[20:21], v[16:17]
	s_delay_alu instid0(VALU_DEP_2) | instskip(NEXT) | instid1(VALU_DEP_2)
	v_fma_f64 v[16:17], v[14:15], v[20:21], -v[38:39]
	v_fmac_f64_e32 v[18:19], v[14:15], v[4:5]
	ds_store_b128 v2, v[16:19] offset:7408
	ds_store_b128 v2, v[16:19] offset:7904
.LBB95_188:                             ;   in Loop: Header=BB95_3 Depth=1
	s_or_b32 exec_lo, exec_lo, s40
	v_mov_b64_e32 v[16:17], 0
	v_mov_b64_e32 v[14:15], 0
	s_wait_dscnt 0x0
	s_barrier_signal -1
	s_barrier_wait -1
	s_and_saveexec_b32 s40, s6
	s_cbranch_execz .LBB95_216
; %bb.189:                              ;   in Loop: Header=BB95_3 Depth=1
	v_add_nc_u32_e32 v3, v66, v167
	ds_load_b128 v[14:17], v3
	ds_load_b128 v[18:21], v173 offset:256
	s_wait_dscnt 0x0
	v_mul_f64_e32 v[4:5], v[16:17], v[20:21]
	v_mul_f64_e32 v[20:21], v[14:15], v[20:21]
	s_delay_alu instid0(VALU_DEP_2) | instskip(NEXT) | instid1(VALU_DEP_2)
	v_fma_f64 v[4:5], v[14:15], v[18:19], -v[4:5]
	v_fmac_f64_e32 v[20:21], v[16:17], v[18:19]
	s_delay_alu instid0(VALU_DEP_2) | instskip(NEXT) | instid1(VALU_DEP_2)
	v_add_f64_e32 v[14:15], 0, v[4:5]
	v_add_f64_e32 v[16:17], 0, v[20:21]
	s_mov_b32 s41, exec_lo
	v_readlane_b32 s58, v208, 19
	s_and_b32 s58, s41, s58
	s_delay_alu instid0(SALU_CYCLE_1)
	s_mov_b32 exec_lo, s58
	s_cbranch_execz .LBB95_191
; %bb.190:                              ;   in Loop: Header=BB95_3 Depth=1
	ds_load_b128 v[18:21], v3 offset:16
	ds_load_b128 v[202:205], v173 offset:768
	s_wait_dscnt 0x0
	v_mul_f64_e32 v[4:5], v[20:21], v[204:205]
	s_delay_alu instid0(VALU_DEP_1) | instskip(SKIP_1) | instid1(VALU_DEP_2)
	v_fma_f64 v[4:5], v[18:19], v[202:203], -v[4:5]
	v_mul_f64_e32 v[18:19], v[18:19], v[204:205]
	v_add_f64_e32 v[14:15], v[14:15], v[4:5]
	s_delay_alu instid0(VALU_DEP_2) | instskip(NEXT) | instid1(VALU_DEP_1)
	v_fmac_f64_e32 v[18:19], v[20:21], v[202:203]
	v_add_f64_e32 v[16:17], v[16:17], v[18:19]
.LBB95_191:                             ;   in Loop: Header=BB95_3 Depth=1
	s_or_b32 exec_lo, exec_lo, s41
	s_delay_alu instid0(SALU_CYCLE_1) | instskip(SKIP_2) | instid1(SALU_CYCLE_1)
	s_mov_b32 s41, exec_lo
	v_readlane_b32 s58, v208, 20
	s_and_b32 s58, s41, s58
	s_mov_b32 exec_lo, s58
	s_cbranch_execz .LBB95_193
; %bb.192:                              ;   in Loop: Header=BB95_3 Depth=1
	ds_load_b128 v[18:21], v3 offset:32
	ds_load_b128 v[202:205], v173 offset:1280
	s_wait_dscnt 0x0
	v_mul_f64_e32 v[4:5], v[20:21], v[204:205]
	s_delay_alu instid0(VALU_DEP_1) | instskip(SKIP_1) | instid1(VALU_DEP_2)
	v_fma_f64 v[4:5], v[18:19], v[202:203], -v[4:5]
	v_mul_f64_e32 v[18:19], v[18:19], v[204:205]
	v_add_f64_e32 v[14:15], v[14:15], v[4:5]
	s_delay_alu instid0(VALU_DEP_2) | instskip(NEXT) | instid1(VALU_DEP_1)
	v_fmac_f64_e32 v[18:19], v[20:21], v[202:203]
	v_add_f64_e32 v[16:17], v[16:17], v[18:19]
.LBB95_193:                             ;   in Loop: Header=BB95_3 Depth=1
	s_or_b32 exec_lo, exec_lo, s41
	s_delay_alu instid0(SALU_CYCLE_1) | instskip(SKIP_2) | instid1(SALU_CYCLE_1)
	s_mov_b32 s41, exec_lo
	v_readlane_b32 s58, v208, 21
	s_and_b32 s58, s41, s58
	;; [unrolled: 20-line block ×10, first 2 shown]
	s_mov_b32 exec_lo, s58
	s_cbranch_execnz .LBB95_560
; %bb.210:                              ;   in Loop: Header=BB95_3 Depth=1
	s_or_b32 exec_lo, exec_lo, s41
	s_and_saveexec_b32 s41, s5
	s_cbranch_execnz .LBB95_561
.LBB95_211:                             ;   in Loop: Header=BB95_3 Depth=1
	s_or_b32 exec_lo, exec_lo, s41
	s_and_saveexec_b32 s41, s14
	s_cbranch_execnz .LBB95_562
.LBB95_212:                             ;   in Loop: Header=BB95_3 Depth=1
	s_or_b32 exec_lo, exec_lo, s41
	s_and_saveexec_b32 s41, s16
	s_cbranch_execnz .LBB95_563
.LBB95_213:                             ;   in Loop: Header=BB95_3 Depth=1
	s_or_b32 exec_lo, exec_lo, s41
	s_and_saveexec_b32 s41, s4
	s_cbranch_execz .LBB95_215
.LBB95_214:                             ;   in Loop: Header=BB95_3 Depth=1
	ds_load_b128 v[18:21], v2 offset:240
	ds_load_b128 v[202:205], v43 offset:7936
	s_wait_dscnt 0x0
	v_mul_f64_e32 v[4:5], v[20:21], v[204:205]
	s_delay_alu instid0(VALU_DEP_1) | instskip(SKIP_1) | instid1(VALU_DEP_2)
	v_fma_f64 v[4:5], v[18:19], v[202:203], -v[4:5]
	v_mul_f64_e32 v[18:19], v[18:19], v[204:205]
	v_add_f64_e32 v[14:15], v[14:15], v[4:5]
	s_delay_alu instid0(VALU_DEP_2) | instskip(NEXT) | instid1(VALU_DEP_1)
	v_fmac_f64_e32 v[18:19], v[20:21], v[202:203]
	v_add_f64_e32 v[16:17], v[16:17], v[18:19]
.LBB95_215:                             ;   in Loop: Header=BB95_3 Depth=1
	s_or_b32 exec_lo, exec_lo, s41
	s_delay_alu instid0(VALU_DEP_3) | instskip(NEXT) | instid1(VALU_DEP_2)
	v_xor_b32_e32 v15, 0x80000000, v15
	v_xor_b32_e32 v17, 0x80000000, v17
.LBB95_216:                             ;   in Loop: Header=BB95_3 Depth=1
	s_or_b32 exec_lo, exec_lo, s40
	s_delay_alu instid0(SALU_CYCLE_1) | instskip(SKIP_2) | instid1(SALU_CYCLE_1)
	s_mov_b32 s40, exec_lo
	v_readlane_b32 s41, v208, 0
	s_and_b32 s41, s40, s41
	s_mov_b32 exec_lo, s41
	s_cbranch_execz .LBB95_218
; %bb.217:                              ;   in Loop: Header=BB95_3 Depth=1
	ds_load_b128 v[18:21], v2 offset:8448
	s_wait_dscnt 0x0
	v_mul_f64_e32 v[4:5], v[16:17], v[20:21]
	v_mul_f64_e32 v[204:205], v[14:15], v[20:21]
	s_delay_alu instid0(VALU_DEP_2) | instskip(NEXT) | instid1(VALU_DEP_2)
	v_fma_f64 v[202:203], v[14:15], v[18:19], -v[4:5]
	v_fmac_f64_e32 v[204:205], v[16:17], v[18:19]
	s_delay_alu instid0(VALU_DEP_2) | instskip(NEXT) | instid1(VALU_DEP_2)
	v_mov_b64_e32 v[14:15], v[202:203]
	v_mov_b64_e32 v[16:17], v[204:205]
	ds_store_b128 v172, v[202:205]
.LBB95_218:                             ;   in Loop: Header=BB95_3 Depth=1
	s_or_b32 exec_lo, exec_lo, s40
	s_wait_dscnt 0x0
	s_barrier_signal -1
	s_barrier_wait -1
	s_mov_b32 s40, exec_lo
	v_readlane_b32 s41, v208, 1
	s_and_b32 s41, s40, s41
	s_delay_alu instid0(SALU_CYCLE_1)
	s_mov_b32 exec_lo, s41
	s_cbranch_execz .LBB95_220
; %bb.219:                              ;   in Loop: Header=BB95_3 Depth=1
	ds_load_b128 v[18:21], v172
	ds_load_b128 v[202:205], v67 offset:8448
	s_wait_dscnt 0x0
	v_mul_f64_e32 v[4:5], v[20:21], v[204:205]
	s_delay_alu instid0(VALU_DEP_1) | instskip(SKIP_1) | instid1(VALU_DEP_2)
	v_fma_f64 v[4:5], v[18:19], v[202:203], -v[4:5]
	v_mul_f64_e32 v[18:19], v[18:19], v[204:205]
	v_add_f64_e32 v[14:15], v[14:15], v[4:5]
	s_delay_alu instid0(VALU_DEP_2) | instskip(NEXT) | instid1(VALU_DEP_1)
	v_fmac_f64_e32 v[18:19], v[20:21], v[202:203]
	v_add_f64_e32 v[16:17], v[16:17], v[18:19]
.LBB95_220:                             ;   in Loop: Header=BB95_3 Depth=1
	s_or_b32 exec_lo, exec_lo, s40
	s_barrier_signal -1
	s_barrier_wait -1
	s_mov_b32 s40, exec_lo
	v_readlane_b32 s41, v208, 2
	s_and_b32 s41, s40, s41
	s_delay_alu instid0(SALU_CYCLE_1)
	s_mov_b32 exec_lo, s41
	s_cbranch_execz .LBB95_222
; %bb.221:                              ;   in Loop: Header=BB95_3 Depth=1
	ds_load_b128 v[18:21], v2 offset:8976
	s_wait_dscnt 0x0
	v_mul_f64_e32 v[4:5], v[16:17], v[20:21]
	v_mul_f64_e32 v[204:205], v[14:15], v[20:21]
	s_delay_alu instid0(VALU_DEP_2) | instskip(NEXT) | instid1(VALU_DEP_2)
	v_fma_f64 v[202:203], v[14:15], v[18:19], -v[4:5]
	v_fmac_f64_e32 v[204:205], v[16:17], v[18:19]
	s_delay_alu instid0(VALU_DEP_2) | instskip(NEXT) | instid1(VALU_DEP_2)
	v_mov_b64_e32 v[14:15], v[202:203]
	v_mov_b64_e32 v[16:17], v[204:205]
	ds_store_b128 v172, v[202:205]
.LBB95_222:                             ;   in Loop: Header=BB95_3 Depth=1
	s_or_b32 exec_lo, exec_lo, s40
	s_wait_dscnt 0x0
	s_barrier_signal -1
	s_barrier_wait -1
	s_mov_b32 s40, exec_lo
	v_readlane_b32 s41, v208, 3
	s_and_b32 s41, s40, s41
	s_delay_alu instid0(SALU_CYCLE_1)
	s_mov_b32 exec_lo, s41
	s_cbranch_execz .LBB95_224
; %bb.223:                              ;   in Loop: Header=BB95_3 Depth=1
	ds_load_b128 v[18:21], v172
	ds_load_b128 v[202:205], v67 offset:8960
	s_wait_dscnt 0x0
	v_mul_f64_e32 v[4:5], v[20:21], v[204:205]
	s_delay_alu instid0(VALU_DEP_1) | instskip(SKIP_1) | instid1(VALU_DEP_2)
	v_fma_f64 v[4:5], v[18:19], v[202:203], -v[4:5]
	v_mul_f64_e32 v[18:19], v[18:19], v[204:205]
	v_add_f64_e32 v[14:15], v[14:15], v[4:5]
	s_delay_alu instid0(VALU_DEP_2) | instskip(NEXT) | instid1(VALU_DEP_1)
	v_fmac_f64_e32 v[18:19], v[20:21], v[202:203]
	v_add_f64_e32 v[16:17], v[16:17], v[18:19]
.LBB95_224:                             ;   in Loop: Header=BB95_3 Depth=1
	s_or_b32 exec_lo, exec_lo, s40
	s_barrier_signal -1
	s_barrier_wait -1
	s_mov_b32 s40, exec_lo
	v_readlane_b32 s41, v208, 4
	s_and_b32 s41, s40, s41
	s_delay_alu instid0(SALU_CYCLE_1)
	;; [unrolled: 45-line block ×6, first 2 shown]
	s_mov_b32 exec_lo, s41
	s_cbranch_execz .LBB95_242
; %bb.241:                              ;   in Loop: Header=BB95_3 Depth=1
	ds_load_b128 v[18:21], v2 offset:11616
	s_wait_dscnt 0x0
	v_mul_f64_e32 v[4:5], v[16:17], v[20:21]
	v_mul_f64_e32 v[204:205], v[14:15], v[20:21]
	s_delay_alu instid0(VALU_DEP_2) | instskip(NEXT) | instid1(VALU_DEP_2)
	v_fma_f64 v[202:203], v[14:15], v[18:19], -v[4:5]
	v_fmac_f64_e32 v[204:205], v[16:17], v[18:19]
	s_delay_alu instid0(VALU_DEP_2) | instskip(NEXT) | instid1(VALU_DEP_2)
	v_mov_b64_e32 v[14:15], v[202:203]
	v_mov_b64_e32 v[16:17], v[204:205]
	ds_store_b128 v172, v[202:205]
.LBB95_242:                             ;   in Loop: Header=BB95_3 Depth=1
	s_or_b32 exec_lo, exec_lo, s40
	s_wait_dscnt 0x0
	s_barrier_signal -1
	s_barrier_wait -1
	s_mov_b32 s40, exec_lo
	v_readlane_b32 s41, v208, 13
	s_and_b32 s41, s40, s41
	s_delay_alu instid0(SALU_CYCLE_1)
	s_mov_b32 exec_lo, s41
	s_cbranch_execz .LBB95_244
; %bb.243:                              ;   in Loop: Header=BB95_3 Depth=1
	ds_load_b128 v[18:21], v172
	ds_load_b128 v[202:205], v67 offset:11520
	s_wait_dscnt 0x0
	v_mul_f64_e32 v[4:5], v[20:21], v[204:205]
	s_delay_alu instid0(VALU_DEP_1) | instskip(SKIP_1) | instid1(VALU_DEP_2)
	v_fma_f64 v[4:5], v[18:19], v[202:203], -v[4:5]
	v_mul_f64_e32 v[18:19], v[18:19], v[204:205]
	v_add_f64_e32 v[14:15], v[14:15], v[4:5]
	s_delay_alu instid0(VALU_DEP_2) | instskip(NEXT) | instid1(VALU_DEP_1)
	v_fmac_f64_e32 v[18:19], v[20:21], v[202:203]
	v_add_f64_e32 v[16:17], v[16:17], v[18:19]
.LBB95_244:                             ;   in Loop: Header=BB95_3 Depth=1
	s_or_b32 exec_lo, exec_lo, s40
	s_barrier_signal -1
	s_barrier_wait -1
	s_and_saveexec_b32 s40, s104
	s_cbranch_execz .LBB95_246
; %bb.245:                              ;   in Loop: Header=BB95_3 Depth=1
	ds_load_b128 v[18:21], v2 offset:12144
	s_wait_dscnt 0x0
	v_mul_f64_e32 v[4:5], v[16:17], v[20:21]
	v_mul_f64_e32 v[204:205], v[14:15], v[20:21]
	s_delay_alu instid0(VALU_DEP_2) | instskip(NEXT) | instid1(VALU_DEP_2)
	v_fma_f64 v[202:203], v[14:15], v[18:19], -v[4:5]
	v_fmac_f64_e32 v[204:205], v[16:17], v[18:19]
	s_delay_alu instid0(VALU_DEP_2) | instskip(NEXT) | instid1(VALU_DEP_2)
	v_mov_b64_e32 v[14:15], v[202:203]
	v_mov_b64_e32 v[16:17], v[204:205]
	ds_store_b128 v172, v[202:205]
.LBB95_246:                             ;   in Loop: Header=BB95_3 Depth=1
	s_or_b32 exec_lo, exec_lo, s40
	s_wait_dscnt 0x0
	s_barrier_signal -1
	s_barrier_wait -1
	s_and_saveexec_b32 s40, vcc_hi
	s_cbranch_execz .LBB95_248
; %bb.247:                              ;   in Loop: Header=BB95_3 Depth=1
	ds_load_b128 v[18:21], v172
	ds_load_b128 v[202:205], v67 offset:12032
	s_wait_dscnt 0x0
	v_mul_f64_e32 v[4:5], v[20:21], v[204:205]
	s_delay_alu instid0(VALU_DEP_1) | instskip(SKIP_1) | instid1(VALU_DEP_2)
	v_fma_f64 v[4:5], v[18:19], v[202:203], -v[4:5]
	v_mul_f64_e32 v[18:19], v[18:19], v[204:205]
	v_add_f64_e32 v[14:15], v[14:15], v[4:5]
	s_delay_alu instid0(VALU_DEP_2) | instskip(NEXT) | instid1(VALU_DEP_1)
	v_fmac_f64_e32 v[18:19], v[20:21], v[202:203]
	v_add_f64_e32 v[16:17], v[16:17], v[18:19]
.LBB95_248:                             ;   in Loop: Header=BB95_3 Depth=1
	s_or_b32 exec_lo, exec_lo, s40
	s_barrier_signal -1
	s_barrier_wait -1
	s_and_saveexec_b32 s40, s18
	s_cbranch_execz .LBB95_250
; %bb.249:                              ;   in Loop: Header=BB95_3 Depth=1
	ds_load_b128 v[18:21], v2 offset:12672
	s_wait_dscnt 0x0
	v_mul_f64_e32 v[4:5], v[16:17], v[20:21]
	v_mul_f64_e32 v[204:205], v[14:15], v[20:21]
	s_delay_alu instid0(VALU_DEP_2) | instskip(NEXT) | instid1(VALU_DEP_2)
	v_fma_f64 v[202:203], v[14:15], v[18:19], -v[4:5]
	v_fmac_f64_e32 v[204:205], v[16:17], v[18:19]
	s_delay_alu instid0(VALU_DEP_2) | instskip(NEXT) | instid1(VALU_DEP_2)
	v_mov_b64_e32 v[14:15], v[202:203]
	v_mov_b64_e32 v[16:17], v[204:205]
	ds_store_b128 v172, v[202:205]
.LBB95_250:                             ;   in Loop: Header=BB95_3 Depth=1
	s_or_b32 exec_lo, exec_lo, s40
	s_wait_dscnt 0x0
	s_barrier_signal -1
	s_barrier_wait -1
	s_and_saveexec_b32 s40, s19
	s_cbranch_execz .LBB95_252
; %bb.251:                              ;   in Loop: Header=BB95_3 Depth=1
	ds_load_b128 v[18:21], v172
	ds_load_b128 v[202:205], v67 offset:12544
	s_wait_dscnt 0x0
	v_mul_f64_e32 v[4:5], v[20:21], v[204:205]
	s_delay_alu instid0(VALU_DEP_1) | instskip(SKIP_1) | instid1(VALU_DEP_2)
	v_fma_f64 v[4:5], v[18:19], v[202:203], -v[4:5]
	v_mul_f64_e32 v[18:19], v[18:19], v[204:205]
	v_add_f64_e32 v[14:15], v[14:15], v[4:5]
	s_delay_alu instid0(VALU_DEP_2) | instskip(NEXT) | instid1(VALU_DEP_1)
	v_fmac_f64_e32 v[18:19], v[20:21], v[202:203]
	v_add_f64_e32 v[16:17], v[16:17], v[18:19]
.LBB95_252:                             ;   in Loop: Header=BB95_3 Depth=1
	s_or_b32 exec_lo, exec_lo, s40
	s_barrier_signal -1
	s_barrier_wait -1
	s_and_saveexec_b32 s40, s20
	s_cbranch_execz .LBB95_254
; %bb.253:                              ;   in Loop: Header=BB95_3 Depth=1
	ds_load_b128 v[18:21], v2 offset:13200
	s_wait_dscnt 0x0
	v_mul_f64_e32 v[4:5], v[16:17], v[20:21]
	v_mul_f64_e32 v[204:205], v[14:15], v[20:21]
	s_delay_alu instid0(VALU_DEP_2) | instskip(NEXT) | instid1(VALU_DEP_2)
	v_fma_f64 v[202:203], v[14:15], v[18:19], -v[4:5]
	v_fmac_f64_e32 v[204:205], v[16:17], v[18:19]
	s_delay_alu instid0(VALU_DEP_2) | instskip(NEXT) | instid1(VALU_DEP_2)
	v_mov_b64_e32 v[14:15], v[202:203]
	v_mov_b64_e32 v[16:17], v[204:205]
	ds_store_b128 v172, v[202:205]
.LBB95_254:                             ;   in Loop: Header=BB95_3 Depth=1
	s_or_b32 exec_lo, exec_lo, s40
	s_wait_dscnt 0x0
	s_barrier_signal -1
	s_barrier_wait -1
	s_and_saveexec_b32 s40, s21
	;; [unrolled: 37-line block ×7, first 2 shown]
	s_cbranch_execz .LBB95_276
; %bb.275:                              ;   in Loop: Header=BB95_3 Depth=1
	ds_load_b128 v[18:21], v172
	ds_load_b128 v[202:205], v2 offset:15856
	s_wait_dscnt 0x0
	v_mul_f64_e32 v[4:5], v[20:21], v[204:205]
	s_delay_alu instid0(VALU_DEP_1) | instskip(SKIP_1) | instid1(VALU_DEP_2)
	v_fma_f64 v[4:5], v[18:19], v[202:203], -v[4:5]
	v_mul_f64_e32 v[18:19], v[18:19], v[204:205]
	v_add_f64_e32 v[14:15], v[14:15], v[4:5]
	s_delay_alu instid0(VALU_DEP_2) | instskip(NEXT) | instid1(VALU_DEP_1)
	v_fmac_f64_e32 v[18:19], v[20:21], v[202:203]
	v_add_f64_e32 v[16:17], v[16:17], v[18:19]
.LBB95_276:                             ;   in Loop: Header=BB95_3 Depth=1
	s_or_b32 exec_lo, exec_lo, s40
	s_barrier_signal -1
	s_barrier_wait -1
	s_and_saveexec_b32 s40, s8
	s_cbranch_execz .LBB95_278
; %bb.277:                              ;   in Loop: Header=BB95_3 Depth=1
	ds_load_b128 v[18:21], v2 offset:16368
	s_wait_dscnt 0x0
	v_mul_f64_e32 v[4:5], v[16:17], v[20:21]
	v_mul_f64_e32 v[204:205], v[14:15], v[20:21]
	s_delay_alu instid0(VALU_DEP_2) | instskip(NEXT) | instid1(VALU_DEP_2)
	v_fma_f64 v[202:203], v[14:15], v[18:19], -v[4:5]
	v_fmac_f64_e32 v[204:205], v[16:17], v[18:19]
	s_delay_alu instid0(VALU_DEP_2) | instskip(NEXT) | instid1(VALU_DEP_2)
	v_mov_b64_e32 v[14:15], v[202:203]
	v_mov_b64_e32 v[16:17], v[204:205]
	ds_store_b128 v172, v[202:205]
.LBB95_278:                             ;   in Loop: Header=BB95_3 Depth=1
	s_or_b32 exec_lo, exec_lo, s40
	s_wait_dscnt 0x0
	s_barrier_signal -1
	s_barrier_wait -1
	s_barrier_signal -1
	s_barrier_wait -1
	s_and_saveexec_b32 s40, s6
; %bb.279:                              ;   in Loop: Header=BB95_3 Depth=1
	s_delay_alu instid0(VALU_DEP_1) | instskip(NEXT) | instid1(VALU_DEP_4)
	v_xor_b32_e32 v17, 0x80000000, v17
	v_xor_b32_e32 v15, 0x80000000, v15
	ds_store_b128 v173, v[14:17] offset:256
; %bb.280:                              ;   in Loop: Header=BB95_3 Depth=1
	s_or_b32 exec_lo, exec_lo, s40
	s_wait_dscnt 0x0
	s_barrier_signal -1
	s_barrier_wait -1
	s_barrier_signal -1
	s_barrier_wait -1
	s_and_saveexec_b32 s40, s9
	s_cbranch_execz .LBB95_282
; %bb.281:                              ;   in Loop: Header=BB95_3 Depth=1
	ds_load_b128 v[14:17], v130
	s_wait_dscnt 0x0
	ds_store_b128 v111, v[14:17]
	ds_load_b128 v[14:17], v131
	s_wait_dscnt 0x0
	ds_store_b128 v112, v[14:17]
	;; [unrolled: 3-line block ×16, first 2 shown]
.LBB95_282:                             ;   in Loop: Header=BB95_3 Depth=1
	s_or_b32 exec_lo, exec_lo, s40
	s_wait_dscnt 0x0
	s_barrier_signal -1
	s_barrier_wait -1
	s_and_saveexec_b32 s40, s29
	s_cbranch_execz .LBB95_284
; %bb.283:                              ;   in Loop: Header=BB95_3 Depth=1
	ds_load_b128 v[14:17], v2 offset:8976
	ds_load_b128 v[18:21], v2 offset:8448
	s_wait_dscnt 0x0
	v_mul_f64_e32 v[4:5], v[14:15], v[20:21]
	v_mul_f64_e32 v[20:21], v[16:17], v[20:21]
	s_delay_alu instid0(VALU_DEP_2) | instskip(NEXT) | instid1(VALU_DEP_2)
	v_fmac_f64_e32 v[4:5], v[16:17], v[18:19]
	v_fma_f64 v[20:21], v[14:15], v[18:19], -v[20:21]
	ds_load_b128 v[14:17], v2 offset:8464
	s_wait_dscnt 0x0
	v_mul_f64_e32 v[38:39], v[4:5], v[16:17]
	v_mul_f64_e32 v[18:19], v[20:21], v[16:17]
	s_delay_alu instid0(VALU_DEP_2) | instskip(NEXT) | instid1(VALU_DEP_2)
	v_fma_f64 v[16:17], v[14:15], v[20:21], -v[38:39]
	v_fmac_f64_e32 v[18:19], v[14:15], v[4:5]
	ds_store_b128 v2, v[16:19] offset:8464
	ds_store_b128 v2, v[16:19] offset:8960
.LBB95_284:                             ;   in Loop: Header=BB95_3 Depth=1
	s_or_b32 exec_lo, exec_lo, s40
	v_mov_b64_e32 v[16:17], 0
	v_mov_b64_e32 v[14:15], 0
	s_wait_dscnt 0x0
	s_barrier_signal -1
	s_barrier_wait -1
	s_and_saveexec_b32 s40, s2
	s_cbranch_execz .LBB95_288
; %bb.285:                              ;   in Loop: Header=BB95_3 Depth=1
	ds_load_b128 v[14:17], v42 offset:8448
	ds_load_b128 v[18:21], v41 offset:8480
	s_wait_dscnt 0x0
	v_mul_f64_e32 v[4:5], v[16:17], v[20:21]
	v_mul_f64_e32 v[20:21], v[14:15], v[20:21]
	s_delay_alu instid0(VALU_DEP_2) | instskip(NEXT) | instid1(VALU_DEP_2)
	v_fma_f64 v[4:5], v[14:15], v[18:19], -v[4:5]
	v_fmac_f64_e32 v[20:21], v[16:17], v[18:19]
	s_delay_alu instid0(VALU_DEP_2) | instskip(NEXT) | instid1(VALU_DEP_2)
	v_add_f64_e32 v[14:15], 0, v[4:5]
	v_add_f64_e32 v[16:17], 0, v[20:21]
	s_and_saveexec_b32 s41, s10
	s_cbranch_execz .LBB95_287
; %bb.286:                              ;   in Loop: Header=BB95_3 Depth=1
	ds_load_b128 v[18:21], v2 offset:8464
	ds_load_b128 v[202:205], v43 offset:8992
	s_wait_dscnt 0x0
	v_mul_f64_e32 v[4:5], v[20:21], v[204:205]
	s_delay_alu instid0(VALU_DEP_1) | instskip(SKIP_1) | instid1(VALU_DEP_2)
	v_fma_f64 v[4:5], v[18:19], v[202:203], -v[4:5]
	v_mul_f64_e32 v[18:19], v[18:19], v[204:205]
	v_add_f64_e32 v[14:15], v[14:15], v[4:5]
	s_delay_alu instid0(VALU_DEP_2) | instskip(NEXT) | instid1(VALU_DEP_1)
	v_fmac_f64_e32 v[18:19], v[20:21], v[202:203]
	v_add_f64_e32 v[16:17], v[16:17], v[18:19]
.LBB95_287:                             ;   in Loop: Header=BB95_3 Depth=1
	s_or_b32 exec_lo, exec_lo, s41
	s_delay_alu instid0(VALU_DEP_2) | instskip(NEXT) | instid1(VALU_DEP_2)
	v_xor_b32_e32 v15, 0x80000000, v15
	v_xor_b32_e32 v17, 0x80000000, v17
.LBB95_288:                             ;   in Loop: Header=BB95_3 Depth=1
	s_or_b32 exec_lo, exec_lo, s40
	s_and_saveexec_b32 s40, s65
	s_cbranch_execz .LBB95_290
; %bb.289:                              ;   in Loop: Header=BB95_3 Depth=1
	ds_load_b128 v[18:21], v2 offset:9504
	s_wait_dscnt 0x0
	v_mul_f64_e32 v[4:5], v[16:17], v[20:21]
	v_mul_f64_e32 v[204:205], v[14:15], v[20:21]
	s_delay_alu instid0(VALU_DEP_2) | instskip(NEXT) | instid1(VALU_DEP_2)
	v_fma_f64 v[202:203], v[14:15], v[18:19], -v[4:5]
	v_fmac_f64_e32 v[204:205], v[16:17], v[18:19]
	s_delay_alu instid0(VALU_DEP_2) | instskip(NEXT) | instid1(VALU_DEP_2)
	v_mov_b64_e32 v[14:15], v[202:203]
	v_mov_b64_e32 v[16:17], v[204:205]
	ds_store_b128 v23, v[202:205]
.LBB95_290:                             ;   in Loop: Header=BB95_3 Depth=1
	s_or_b32 exec_lo, exec_lo, s40
	s_wait_dscnt 0x0
	s_barrier_signal -1
	s_barrier_wait -1
	s_and_saveexec_b32 s40, s66
	s_cbranch_execz .LBB95_292
; %bb.291:                              ;   in Loop: Header=BB95_3 Depth=1
	ds_load_b128 v[18:21], v23
	ds_load_b128 v[202:205], v2 offset:9520
	s_wait_dscnt 0x0
	v_mul_f64_e32 v[4:5], v[20:21], v[204:205]
	s_delay_alu instid0(VALU_DEP_1) | instskip(SKIP_1) | instid1(VALU_DEP_2)
	v_fma_f64 v[4:5], v[18:19], v[202:203], -v[4:5]
	v_mul_f64_e32 v[18:19], v[18:19], v[204:205]
	v_add_f64_e32 v[14:15], v[14:15], v[4:5]
	s_delay_alu instid0(VALU_DEP_2) | instskip(NEXT) | instid1(VALU_DEP_1)
	v_fmac_f64_e32 v[18:19], v[20:21], v[202:203]
	v_add_f64_e32 v[16:17], v[16:17], v[18:19]
.LBB95_292:                             ;   in Loop: Header=BB95_3 Depth=1
	s_or_b32 exec_lo, exec_lo, s40
	s_barrier_signal -1
	s_barrier_wait -1
	s_and_saveexec_b32 s40, s66
	s_cbranch_execz .LBB95_294
; %bb.293:                              ;   in Loop: Header=BB95_3 Depth=1
	ds_load_b128 v[18:21], v2 offset:10032
	s_wait_dscnt 0x0
	v_mul_f64_e32 v[4:5], v[16:17], v[20:21]
	v_mul_f64_e32 v[204:205], v[14:15], v[20:21]
	s_delay_alu instid0(VALU_DEP_2) | instskip(NEXT) | instid1(VALU_DEP_2)
	v_fma_f64 v[202:203], v[14:15], v[18:19], -v[4:5]
	v_fmac_f64_e32 v[204:205], v[16:17], v[18:19]
	s_delay_alu instid0(VALU_DEP_2) | instskip(NEXT) | instid1(VALU_DEP_2)
	v_mov_b64_e32 v[14:15], v[202:203]
	v_mov_b64_e32 v[16:17], v[204:205]
	ds_store_b128 v23, v[202:205]
.LBB95_294:                             ;   in Loop: Header=BB95_3 Depth=1
	s_or_b32 exec_lo, exec_lo, s40
	s_wait_dscnt 0x0
	s_barrier_signal -1
	s_barrier_wait -1
	s_barrier_signal -1
	s_barrier_wait -1
	s_and_saveexec_b32 s40, s2
; %bb.295:                              ;   in Loop: Header=BB95_3 Depth=1
	s_delay_alu instid0(VALU_DEP_3) | instskip(NEXT) | instid1(VALU_DEP_2)
	v_xor_b32_e32 v15, 0x80000000, v15
	v_xor_b32_e32 v17, 0x80000000, v17
	ds_store_b128 v41, v[14:17] offset:8480
; %bb.296:                              ;   in Loop: Header=BB95_3 Depth=1
	s_or_b32 exec_lo, exec_lo, s40
	s_wait_dscnt 0x0
	s_barrier_signal -1
	s_barrier_wait -1
	s_barrier_signal -1
	s_barrier_wait -1
	s_and_saveexec_b32 s40, s67
	s_cbranch_execz .LBB95_298
; %bb.297:                              ;   in Loop: Header=BB95_3 Depth=1
	ds_load_b128 v[14:17], v68
	s_wait_dscnt 0x0
	ds_store_b128 v174, v[14:17]
	ds_load_b128 v[14:17], v69
	s_wait_dscnt 0x0
	ds_store_b128 v175, v[14:17]
.LBB95_298:                             ;   in Loop: Header=BB95_3 Depth=1
	s_or_b32 exec_lo, exec_lo, s40
	s_wait_dscnt 0x0
	s_barrier_signal -1
	s_barrier_wait -1
	s_and_saveexec_b32 s40, s29
	s_cbranch_execz .LBB95_300
; %bb.299:                              ;   in Loop: Header=BB95_3 Depth=1
	ds_load_b128 v[14:17], v2 offset:10032
	ds_load_b128 v[18:21], v2 offset:9504
	s_wait_dscnt 0x0
	v_mul_f64_e32 v[4:5], v[14:15], v[20:21]
	v_mul_f64_e32 v[20:21], v[16:17], v[20:21]
	s_delay_alu instid0(VALU_DEP_2) | instskip(NEXT) | instid1(VALU_DEP_2)
	v_fmac_f64_e32 v[4:5], v[16:17], v[18:19]
	v_fma_f64 v[20:21], v[14:15], v[18:19], -v[20:21]
	ds_load_b128 v[14:17], v2 offset:9520
	s_wait_dscnt 0x0
	v_mul_f64_e32 v[38:39], v[4:5], v[16:17]
	v_mul_f64_e32 v[18:19], v[20:21], v[16:17]
	s_delay_alu instid0(VALU_DEP_2) | instskip(NEXT) | instid1(VALU_DEP_2)
	v_fma_f64 v[16:17], v[14:15], v[20:21], -v[38:39]
	v_fmac_f64_e32 v[18:19], v[14:15], v[4:5]
	ds_store_b128 v2, v[16:19] offset:9520
	ds_store_b128 v2, v[16:19] offset:10016
.LBB95_300:                             ;   in Loop: Header=BB95_3 Depth=1
	s_or_b32 exec_lo, exec_lo, s40
	v_mov_b64_e32 v[16:17], 0
	v_mov_b64_e32 v[14:15], 0
	s_wait_dscnt 0x0
	s_barrier_signal -1
	s_barrier_wait -1
	s_and_saveexec_b32 s40, s4
	s_cbranch_execz .LBB95_306
; %bb.301:                              ;   in Loop: Header=BB95_3 Depth=1
	ds_load_b128 v[14:17], v44 offset:8448
	ds_load_b128 v[18:21], v50 offset:8512
	s_wait_dscnt 0x0
	v_mul_f64_e32 v[4:5], v[16:17], v[20:21]
	v_mul_f64_e32 v[20:21], v[14:15], v[20:21]
	s_delay_alu instid0(VALU_DEP_2) | instskip(NEXT) | instid1(VALU_DEP_2)
	v_fma_f64 v[4:5], v[14:15], v[18:19], -v[4:5]
	v_fmac_f64_e32 v[20:21], v[16:17], v[18:19]
	s_delay_alu instid0(VALU_DEP_2) | instskip(NEXT) | instid1(VALU_DEP_2)
	v_add_f64_e32 v[14:15], 0, v[4:5]
	v_add_f64_e32 v[16:17], 0, v[20:21]
	s_and_saveexec_b32 s41, s11
	s_cbranch_execnz .LBB95_564
; %bb.302:                              ;   in Loop: Header=BB95_3 Depth=1
	s_or_b32 exec_lo, exec_lo, s41
	s_and_saveexec_b32 s41, s12
	s_cbranch_execnz .LBB95_565
.LBB95_303:                             ;   in Loop: Header=BB95_3 Depth=1
	s_or_b32 exec_lo, exec_lo, s41
	s_and_saveexec_b32 s41, s2
	s_cbranch_execz .LBB95_305
.LBB95_304:                             ;   in Loop: Header=BB95_3 Depth=1
	ds_load_b128 v[18:21], v2 offset:8496
	ds_load_b128 v[202:205], v48 offset:10048
	s_wait_dscnt 0x0
	v_mul_f64_e32 v[4:5], v[20:21], v[204:205]
	s_delay_alu instid0(VALU_DEP_1) | instskip(SKIP_1) | instid1(VALU_DEP_2)
	v_fma_f64 v[4:5], v[18:19], v[202:203], -v[4:5]
	v_mul_f64_e32 v[18:19], v[18:19], v[204:205]
	v_add_f64_e32 v[14:15], v[14:15], v[4:5]
	s_delay_alu instid0(VALU_DEP_2) | instskip(NEXT) | instid1(VALU_DEP_1)
	v_fmac_f64_e32 v[18:19], v[20:21], v[202:203]
	v_add_f64_e32 v[16:17], v[16:17], v[18:19]
.LBB95_305:                             ;   in Loop: Header=BB95_3 Depth=1
	s_or_b32 exec_lo, exec_lo, s41
	s_delay_alu instid0(VALU_DEP_2) | instskip(NEXT) | instid1(VALU_DEP_2)
	v_xor_b32_e32 v15, 0x80000000, v15
	v_xor_b32_e32 v17, 0x80000000, v17
.LBB95_306:                             ;   in Loop: Header=BB95_3 Depth=1
	s_or_b32 exec_lo, exec_lo, s40
	s_and_saveexec_b32 s40, s68
	s_cbranch_execz .LBB95_308
; %bb.307:                              ;   in Loop: Header=BB95_3 Depth=1
	ds_load_b128 v[18:21], v2 offset:10560
	s_wait_dscnt 0x0
	v_mul_f64_e32 v[4:5], v[16:17], v[20:21]
	v_mul_f64_e32 v[204:205], v[14:15], v[20:21]
	s_delay_alu instid0(VALU_DEP_2) | instskip(NEXT) | instid1(VALU_DEP_2)
	v_fma_f64 v[202:203], v[14:15], v[18:19], -v[4:5]
	v_fmac_f64_e32 v[204:205], v[16:17], v[18:19]
	s_delay_alu instid0(VALU_DEP_2) | instskip(NEXT) | instid1(VALU_DEP_2)
	v_mov_b64_e32 v[14:15], v[202:203]
	v_mov_b64_e32 v[16:17], v[204:205]
	ds_store_b128 v49, v[202:205]
.LBB95_308:                             ;   in Loop: Header=BB95_3 Depth=1
	s_or_b32 exec_lo, exec_lo, s40
	s_wait_dscnt 0x0
	s_barrier_signal -1
	s_barrier_wait -1
	s_and_saveexec_b32 s40, s69
	s_cbranch_execz .LBB95_310
; %bb.309:                              ;   in Loop: Header=BB95_3 Depth=1
	ds_load_b128 v[18:21], v49
	ds_load_b128 v[202:205], v47 offset:10560
	s_wait_dscnt 0x0
	v_mul_f64_e32 v[4:5], v[20:21], v[204:205]
	s_delay_alu instid0(VALU_DEP_1) | instskip(SKIP_1) | instid1(VALU_DEP_2)
	v_fma_f64 v[4:5], v[18:19], v[202:203], -v[4:5]
	v_mul_f64_e32 v[18:19], v[18:19], v[204:205]
	v_add_f64_e32 v[14:15], v[14:15], v[4:5]
	s_delay_alu instid0(VALU_DEP_2) | instskip(NEXT) | instid1(VALU_DEP_1)
	v_fmac_f64_e32 v[18:19], v[20:21], v[202:203]
	v_add_f64_e32 v[16:17], v[16:17], v[18:19]
.LBB95_310:                             ;   in Loop: Header=BB95_3 Depth=1
	s_or_b32 exec_lo, exec_lo, s40
	s_barrier_signal -1
	s_barrier_wait -1
	s_and_saveexec_b32 s40, s70
	s_cbranch_execz .LBB95_312
; %bb.311:                              ;   in Loop: Header=BB95_3 Depth=1
	ds_load_b128 v[18:21], v2 offset:11088
	s_wait_dscnt 0x0
	v_mul_f64_e32 v[4:5], v[16:17], v[20:21]
	v_mul_f64_e32 v[204:205], v[14:15], v[20:21]
	s_delay_alu instid0(VALU_DEP_2) | instskip(NEXT) | instid1(VALU_DEP_2)
	v_fma_f64 v[202:203], v[14:15], v[18:19], -v[4:5]
	v_fmac_f64_e32 v[204:205], v[16:17], v[18:19]
	s_delay_alu instid0(VALU_DEP_2) | instskip(NEXT) | instid1(VALU_DEP_2)
	v_mov_b64_e32 v[14:15], v[202:203]
	v_mov_b64_e32 v[16:17], v[204:205]
	ds_store_b128 v49, v[202:205]
.LBB95_312:                             ;   in Loop: Header=BB95_3 Depth=1
	s_or_b32 exec_lo, exec_lo, s40
	s_wait_dscnt 0x0
	s_barrier_signal -1
	s_barrier_wait -1
	s_and_saveexec_b32 s40, s71
	s_cbranch_execz .LBB95_314
; %bb.313:                              ;   in Loop: Header=BB95_3 Depth=1
	ds_load_b128 v[18:21], v49
	ds_load_b128 v[202:205], v47 offset:11072
	s_wait_dscnt 0x0
	v_mul_f64_e32 v[4:5], v[20:21], v[204:205]
	s_delay_alu instid0(VALU_DEP_1) | instskip(SKIP_1) | instid1(VALU_DEP_2)
	v_fma_f64 v[4:5], v[18:19], v[202:203], -v[4:5]
	v_mul_f64_e32 v[18:19], v[18:19], v[204:205]
	v_add_f64_e32 v[14:15], v[14:15], v[4:5]
	s_delay_alu instid0(VALU_DEP_2) | instskip(NEXT) | instid1(VALU_DEP_1)
	v_fmac_f64_e32 v[18:19], v[20:21], v[202:203]
	v_add_f64_e32 v[16:17], v[16:17], v[18:19]
.LBB95_314:                             ;   in Loop: Header=BB95_3 Depth=1
	s_or_b32 exec_lo, exec_lo, s40
	s_barrier_signal -1
	s_barrier_wait -1
	;; [unrolled: 37-line block ×3, first 2 shown]
	s_and_saveexec_b32 s40, s73
	s_cbranch_execz .LBB95_320
; %bb.319:                              ;   in Loop: Header=BB95_3 Depth=1
	ds_load_b128 v[18:21], v2 offset:12144
	s_wait_dscnt 0x0
	v_mul_f64_e32 v[4:5], v[16:17], v[20:21]
	v_mul_f64_e32 v[204:205], v[14:15], v[20:21]
	s_delay_alu instid0(VALU_DEP_2) | instskip(NEXT) | instid1(VALU_DEP_2)
	v_fma_f64 v[202:203], v[14:15], v[18:19], -v[4:5]
	v_fmac_f64_e32 v[204:205], v[16:17], v[18:19]
	s_delay_alu instid0(VALU_DEP_2) | instskip(NEXT) | instid1(VALU_DEP_2)
	v_mov_b64_e32 v[14:15], v[202:203]
	v_mov_b64_e32 v[16:17], v[204:205]
	ds_store_b128 v49, v[202:205]
.LBB95_320:                             ;   in Loop: Header=BB95_3 Depth=1
	s_or_b32 exec_lo, exec_lo, s40
	s_wait_dscnt 0x0
	s_barrier_signal -1
	s_barrier_wait -1
	s_barrier_signal -1
	s_barrier_wait -1
	s_and_saveexec_b32 s40, s4
; %bb.321:                              ;   in Loop: Header=BB95_3 Depth=1
	s_delay_alu instid0(VALU_DEP_1) | instskip(NEXT) | instid1(VALU_DEP_4)
	v_xor_b32_e32 v17, 0x80000000, v17
	v_xor_b32_e32 v15, 0x80000000, v15
	ds_store_b128 v50, v[14:17] offset:8512
; %bb.322:                              ;   in Loop: Header=BB95_3 Depth=1
	s_or_b32 exec_lo, exec_lo, s40
	s_wait_dscnt 0x0
	s_barrier_signal -1
	s_barrier_wait -1
	s_barrier_signal -1
	s_barrier_wait -1
	s_and_saveexec_b32 s40, s74
	s_cbranch_execz .LBB95_324
; %bb.323:                              ;   in Loop: Header=BB95_3 Depth=1
	ds_load_b128 v[14:17], v84
	s_wait_dscnt 0x0
	ds_store_b128 v176, v[14:17]
	ds_load_b128 v[14:17], v87
	s_wait_dscnt 0x0
	ds_store_b128 v179, v[14:17]
	;; [unrolled: 3-line block ×4, first 2 shown]
.LBB95_324:                             ;   in Loop: Header=BB95_3 Depth=1
	s_or_b32 exec_lo, exec_lo, s40
	s_wait_dscnt 0x0
	s_barrier_signal -1
	s_barrier_wait -1
	s_and_saveexec_b32 s40, s29
	s_cbranch_execz .LBB95_326
; %bb.325:                              ;   in Loop: Header=BB95_3 Depth=1
	ds_load_b128 v[14:17], v2 offset:11088
	ds_load_b128 v[18:21], v2 offset:10560
	s_wait_dscnt 0x0
	v_mul_f64_e32 v[4:5], v[14:15], v[20:21]
	v_mul_f64_e32 v[20:21], v[16:17], v[20:21]
	s_delay_alu instid0(VALU_DEP_2) | instskip(NEXT) | instid1(VALU_DEP_2)
	v_fmac_f64_e32 v[4:5], v[16:17], v[18:19]
	v_fma_f64 v[20:21], v[14:15], v[18:19], -v[20:21]
	ds_load_b128 v[14:17], v2 offset:10576
	s_wait_dscnt 0x0
	v_mul_f64_e32 v[38:39], v[4:5], v[16:17]
	v_mul_f64_e32 v[18:19], v[20:21], v[16:17]
	s_delay_alu instid0(VALU_DEP_2) | instskip(NEXT) | instid1(VALU_DEP_2)
	v_fma_f64 v[16:17], v[14:15], v[20:21], -v[38:39]
	v_fmac_f64_e32 v[18:19], v[14:15], v[4:5]
	ds_store_b128 v2, v[16:19] offset:10576
	ds_store_b128 v2, v[16:19] offset:11072
.LBB95_326:                             ;   in Loop: Header=BB95_3 Depth=1
	s_or_b32 exec_lo, exec_lo, s40
	v_mov_b64_e32 v[16:17], 0
	v_mov_b64_e32 v[14:15], 0
	s_wait_dscnt 0x0
	s_barrier_signal -1
	s_barrier_wait -1
	s_and_saveexec_b32 s40, s2
	s_cbranch_execz .LBB95_330
; %bb.327:                              ;   in Loop: Header=BB95_3 Depth=1
	ds_load_b128 v[14:17], v42 offset:10560
	ds_load_b128 v[18:21], v41 offset:10592
	s_wait_dscnt 0x0
	v_mul_f64_e32 v[4:5], v[16:17], v[20:21]
	v_mul_f64_e32 v[20:21], v[14:15], v[20:21]
	s_delay_alu instid0(VALU_DEP_2) | instskip(NEXT) | instid1(VALU_DEP_2)
	v_fma_f64 v[4:5], v[14:15], v[18:19], -v[4:5]
	v_fmac_f64_e32 v[20:21], v[16:17], v[18:19]
	s_delay_alu instid0(VALU_DEP_2) | instskip(NEXT) | instid1(VALU_DEP_2)
	v_add_f64_e32 v[14:15], 0, v[4:5]
	v_add_f64_e32 v[16:17], 0, v[20:21]
	s_and_saveexec_b32 s41, s10
	s_cbranch_execz .LBB95_329
; %bb.328:                              ;   in Loop: Header=BB95_3 Depth=1
	ds_load_b128 v[18:21], v2 offset:10576
	ds_load_b128 v[202:205], v81 offset:11104
	s_wait_dscnt 0x0
	v_mul_f64_e32 v[4:5], v[20:21], v[204:205]
	s_delay_alu instid0(VALU_DEP_1) | instskip(SKIP_1) | instid1(VALU_DEP_2)
	v_fma_f64 v[4:5], v[18:19], v[202:203], -v[4:5]
	v_mul_f64_e32 v[18:19], v[18:19], v[204:205]
	v_add_f64_e32 v[14:15], v[14:15], v[4:5]
	s_delay_alu instid0(VALU_DEP_2) | instskip(NEXT) | instid1(VALU_DEP_1)
	v_fmac_f64_e32 v[18:19], v[20:21], v[202:203]
	v_add_f64_e32 v[16:17], v[16:17], v[18:19]
.LBB95_329:                             ;   in Loop: Header=BB95_3 Depth=1
	s_or_b32 exec_lo, exec_lo, s41
	s_delay_alu instid0(VALU_DEP_2) | instskip(NEXT) | instid1(VALU_DEP_2)
	v_xor_b32_e32 v15, 0x80000000, v15
	v_xor_b32_e32 v17, 0x80000000, v17
.LBB95_330:                             ;   in Loop: Header=BB95_3 Depth=1
	s_or_b32 exec_lo, exec_lo, s40
	s_and_saveexec_b32 s40, s65
	s_cbranch_execz .LBB95_332
; %bb.331:                              ;   in Loop: Header=BB95_3 Depth=1
	ds_load_b128 v[18:21], v2 offset:11616
	s_wait_dscnt 0x0
	v_mul_f64_e32 v[4:5], v[16:17], v[20:21]
	v_mul_f64_e32 v[204:205], v[14:15], v[20:21]
	s_delay_alu instid0(VALU_DEP_2) | instskip(NEXT) | instid1(VALU_DEP_2)
	v_fma_f64 v[202:203], v[14:15], v[18:19], -v[4:5]
	v_fmac_f64_e32 v[204:205], v[16:17], v[18:19]
	s_delay_alu instid0(VALU_DEP_2) | instskip(NEXT) | instid1(VALU_DEP_2)
	v_mov_b64_e32 v[14:15], v[202:203]
	v_mov_b64_e32 v[16:17], v[204:205]
	ds_store_b128 v23, v[202:205]
.LBB95_332:                             ;   in Loop: Header=BB95_3 Depth=1
	s_or_b32 exec_lo, exec_lo, s40
	s_wait_dscnt 0x0
	s_barrier_signal -1
	s_barrier_wait -1
	s_and_saveexec_b32 s40, s66
	s_cbranch_execz .LBB95_334
; %bb.333:                              ;   in Loop: Header=BB95_3 Depth=1
	ds_load_b128 v[18:21], v23
	ds_load_b128 v[202:205], v2 offset:11632
	s_wait_dscnt 0x0
	v_mul_f64_e32 v[4:5], v[20:21], v[204:205]
	s_delay_alu instid0(VALU_DEP_1) | instskip(SKIP_1) | instid1(VALU_DEP_2)
	v_fma_f64 v[4:5], v[18:19], v[202:203], -v[4:5]
	v_mul_f64_e32 v[18:19], v[18:19], v[204:205]
	v_add_f64_e32 v[14:15], v[14:15], v[4:5]
	s_delay_alu instid0(VALU_DEP_2) | instskip(NEXT) | instid1(VALU_DEP_1)
	v_fmac_f64_e32 v[18:19], v[20:21], v[202:203]
	v_add_f64_e32 v[16:17], v[16:17], v[18:19]
.LBB95_334:                             ;   in Loop: Header=BB95_3 Depth=1
	s_or_b32 exec_lo, exec_lo, s40
	s_barrier_signal -1
	s_barrier_wait -1
	s_and_saveexec_b32 s40, s66
	s_cbranch_execz .LBB95_336
; %bb.335:                              ;   in Loop: Header=BB95_3 Depth=1
	ds_load_b128 v[18:21], v2 offset:12144
	s_wait_dscnt 0x0
	v_mul_f64_e32 v[4:5], v[16:17], v[20:21]
	v_mul_f64_e32 v[204:205], v[14:15], v[20:21]
	s_delay_alu instid0(VALU_DEP_2) | instskip(NEXT) | instid1(VALU_DEP_2)
	v_fma_f64 v[202:203], v[14:15], v[18:19], -v[4:5]
	v_fmac_f64_e32 v[204:205], v[16:17], v[18:19]
	s_delay_alu instid0(VALU_DEP_2) | instskip(NEXT) | instid1(VALU_DEP_2)
	v_mov_b64_e32 v[14:15], v[202:203]
	v_mov_b64_e32 v[16:17], v[204:205]
	ds_store_b128 v23, v[202:205]
.LBB95_336:                             ;   in Loop: Header=BB95_3 Depth=1
	s_or_b32 exec_lo, exec_lo, s40
	s_wait_dscnt 0x0
	s_barrier_signal -1
	s_barrier_wait -1
	s_barrier_signal -1
	s_barrier_wait -1
	s_and_saveexec_b32 s40, s2
; %bb.337:                              ;   in Loop: Header=BB95_3 Depth=1
	s_delay_alu instid0(VALU_DEP_3) | instskip(NEXT) | instid1(VALU_DEP_2)
	v_xor_b32_e32 v15, 0x80000000, v15
	v_xor_b32_e32 v17, 0x80000000, v17
	ds_store_b128 v41, v[14:17] offset:10592
; %bb.338:                              ;   in Loop: Header=BB95_3 Depth=1
	s_or_b32 exec_lo, exec_lo, s40
	s_wait_dscnt 0x0
	s_barrier_signal -1
	s_barrier_wait -1
	s_barrier_signal -1
	s_barrier_wait -1
	s_and_saveexec_b32 s40, s67
	s_cbranch_execz .LBB95_340
; %bb.339:                              ;   in Loop: Header=BB95_3 Depth=1
	ds_load_b128 v[14:17], v97
	s_wait_dscnt 0x0
	ds_store_b128 v180, v[14:17]
	ds_load_b128 v[14:17], v98
	s_wait_dscnt 0x0
	ds_store_b128 v181, v[14:17]
.LBB95_340:                             ;   in Loop: Header=BB95_3 Depth=1
	s_or_b32 exec_lo, exec_lo, s40
	s_wait_dscnt 0x0
	s_barrier_signal -1
	s_barrier_wait -1
	s_and_saveexec_b32 s40, s29
	s_cbranch_execz .LBB95_342
; %bb.341:                              ;   in Loop: Header=BB95_3 Depth=1
	ds_load_b128 v[14:17], v2 offset:12144
	ds_load_b128 v[18:21], v2 offset:11616
	s_wait_dscnt 0x0
	v_mul_f64_e32 v[4:5], v[14:15], v[20:21]
	v_mul_f64_e32 v[20:21], v[16:17], v[20:21]
	s_delay_alu instid0(VALU_DEP_2) | instskip(NEXT) | instid1(VALU_DEP_2)
	v_fmac_f64_e32 v[4:5], v[16:17], v[18:19]
	v_fma_f64 v[20:21], v[14:15], v[18:19], -v[20:21]
	ds_load_b128 v[14:17], v2 offset:11632
	s_wait_dscnt 0x0
	v_mul_f64_e32 v[38:39], v[4:5], v[16:17]
	v_mul_f64_e32 v[18:19], v[20:21], v[16:17]
	s_delay_alu instid0(VALU_DEP_2) | instskip(NEXT) | instid1(VALU_DEP_2)
	v_fma_f64 v[16:17], v[14:15], v[20:21], -v[38:39]
	v_fmac_f64_e32 v[18:19], v[14:15], v[4:5]
	ds_store_b128 v2, v[16:19] offset:11632
	ds_store_b128 v2, v[16:19] offset:12128
.LBB95_342:                             ;   in Loop: Header=BB95_3 Depth=1
	s_or_b32 exec_lo, exec_lo, s40
	v_mov_b64_e32 v[16:17], 0
	v_mov_b64_e32 v[14:15], 0
	s_wait_dscnt 0x0
	s_barrier_signal -1
	s_barrier_wait -1
	s_and_saveexec_b32 s40, s5
	s_cbranch_execz .LBB95_352
; %bb.343:                              ;   in Loop: Header=BB95_3 Depth=1
	ds_load_b128 v[14:17], v52 offset:8448
	ds_load_b128 v[18:21], v56 offset:8576
	s_wait_dscnt 0x0
	v_mul_f64_e32 v[4:5], v[16:17], v[20:21]
	v_mul_f64_e32 v[20:21], v[14:15], v[20:21]
	s_delay_alu instid0(VALU_DEP_2) | instskip(NEXT) | instid1(VALU_DEP_2)
	v_fma_f64 v[4:5], v[14:15], v[18:19], -v[4:5]
	v_fmac_f64_e32 v[20:21], v[16:17], v[18:19]
	s_delay_alu instid0(VALU_DEP_2) | instskip(NEXT) | instid1(VALU_DEP_2)
	v_add_f64_e32 v[14:15], 0, v[4:5]
	v_add_f64_e32 v[16:17], 0, v[20:21]
	s_and_saveexec_b32 s41, s13
	s_cbranch_execnz .LBB95_566
; %bb.344:                              ;   in Loop: Header=BB95_3 Depth=1
	s_or_b32 exec_lo, exec_lo, s41
	s_and_saveexec_b32 s41, s14
	s_cbranch_execnz .LBB95_567
.LBB95_345:                             ;   in Loop: Header=BB95_3 Depth=1
	s_or_b32 exec_lo, exec_lo, s41
	s_and_saveexec_b32 s41, s15
	s_cbranch_execnz .LBB95_568
.LBB95_346:                             ;   in Loop: Header=BB95_3 Depth=1
	s_or_b32 exec_lo, exec_lo, s41
	s_and_saveexec_b32 s41, s16
	s_cbranch_execnz .LBB95_569
.LBB95_347:                             ;   in Loop: Header=BB95_3 Depth=1
	s_or_b32 exec_lo, exec_lo, s41
	s_and_saveexec_b32 s41, s17
	s_cbranch_execnz .LBB95_570
.LBB95_348:                             ;   in Loop: Header=BB95_3 Depth=1
	s_or_b32 exec_lo, exec_lo, s41
	s_and_saveexec_b32 s41, s4
	s_cbranch_execnz .LBB95_571
.LBB95_349:                             ;   in Loop: Header=BB95_3 Depth=1
	s_or_b32 exec_lo, exec_lo, s41
	s_and_saveexec_b32 s41, s12
	s_cbranch_execz .LBB95_351
.LBB95_350:                             ;   in Loop: Header=BB95_3 Depth=1
	ds_load_b128 v[18:21], v2 offset:8560
	ds_load_b128 v[202:205], v43 offset:12160
	s_wait_dscnt 0x0
	v_mul_f64_e32 v[4:5], v[20:21], v[204:205]
	s_delay_alu instid0(VALU_DEP_1) | instskip(SKIP_1) | instid1(VALU_DEP_2)
	v_fma_f64 v[4:5], v[18:19], v[202:203], -v[4:5]
	v_mul_f64_e32 v[18:19], v[18:19], v[204:205]
	v_add_f64_e32 v[14:15], v[14:15], v[4:5]
	s_delay_alu instid0(VALU_DEP_2) | instskip(NEXT) | instid1(VALU_DEP_1)
	v_fmac_f64_e32 v[18:19], v[20:21], v[202:203]
	v_add_f64_e32 v[16:17], v[16:17], v[18:19]
.LBB95_351:                             ;   in Loop: Header=BB95_3 Depth=1
	s_or_b32 exec_lo, exec_lo, s41
	s_delay_alu instid0(VALU_DEP_2) | instskip(NEXT) | instid1(VALU_DEP_2)
	v_xor_b32_e32 v15, 0x80000000, v15
	v_xor_b32_e32 v17, 0x80000000, v17
.LBB95_352:                             ;   in Loop: Header=BB95_3 Depth=1
	s_or_b32 exec_lo, exec_lo, s40
	s_and_saveexec_b32 s40, s75
	s_cbranch_execz .LBB95_354
; %bb.353:                              ;   in Loop: Header=BB95_3 Depth=1
	ds_load_b128 v[18:21], v2 offset:12672
	s_wait_dscnt 0x0
	v_mul_f64_e32 v[4:5], v[16:17], v[20:21]
	v_mul_f64_e32 v[204:205], v[14:15], v[20:21]
	s_delay_alu instid0(VALU_DEP_2) | instskip(NEXT) | instid1(VALU_DEP_2)
	v_fma_f64 v[202:203], v[14:15], v[18:19], -v[4:5]
	v_fmac_f64_e32 v[204:205], v[16:17], v[18:19]
	s_delay_alu instid0(VALU_DEP_2) | instskip(NEXT) | instid1(VALU_DEP_2)
	v_mov_b64_e32 v[14:15], v[202:203]
	v_mov_b64_e32 v[16:17], v[204:205]
	ds_store_b128 v55, v[202:205]
.LBB95_354:                             ;   in Loop: Header=BB95_3 Depth=1
	s_or_b32 exec_lo, exec_lo, s40
	s_wait_dscnt 0x0
	s_barrier_signal -1
	s_barrier_wait -1
	s_and_saveexec_b32 s40, s76
	s_cbranch_execz .LBB95_356
; %bb.355:                              ;   in Loop: Header=BB95_3 Depth=1
	ds_load_b128 v[18:21], v55
	ds_load_b128 v[202:205], v53 offset:12672
	s_wait_dscnt 0x0
	v_mul_f64_e32 v[4:5], v[20:21], v[204:205]
	s_delay_alu instid0(VALU_DEP_1) | instskip(SKIP_1) | instid1(VALU_DEP_2)
	v_fma_f64 v[4:5], v[18:19], v[202:203], -v[4:5]
	v_mul_f64_e32 v[18:19], v[18:19], v[204:205]
	v_add_f64_e32 v[14:15], v[14:15], v[4:5]
	s_delay_alu instid0(VALU_DEP_2) | instskip(NEXT) | instid1(VALU_DEP_1)
	v_fmac_f64_e32 v[18:19], v[20:21], v[202:203]
	v_add_f64_e32 v[16:17], v[16:17], v[18:19]
.LBB95_356:                             ;   in Loop: Header=BB95_3 Depth=1
	s_or_b32 exec_lo, exec_lo, s40
	s_barrier_signal -1
	s_barrier_wait -1
	s_and_saveexec_b32 s40, s77
	s_cbranch_execz .LBB95_358
; %bb.357:                              ;   in Loop: Header=BB95_3 Depth=1
	ds_load_b128 v[18:21], v2 offset:13200
	s_wait_dscnt 0x0
	v_mul_f64_e32 v[4:5], v[16:17], v[20:21]
	v_mul_f64_e32 v[204:205], v[14:15], v[20:21]
	s_delay_alu instid0(VALU_DEP_2) | instskip(NEXT) | instid1(VALU_DEP_2)
	v_fma_f64 v[202:203], v[14:15], v[18:19], -v[4:5]
	v_fmac_f64_e32 v[204:205], v[16:17], v[18:19]
	s_delay_alu instid0(VALU_DEP_2) | instskip(NEXT) | instid1(VALU_DEP_2)
	v_mov_b64_e32 v[14:15], v[202:203]
	v_mov_b64_e32 v[16:17], v[204:205]
	ds_store_b128 v55, v[202:205]
.LBB95_358:                             ;   in Loop: Header=BB95_3 Depth=1
	s_or_b32 exec_lo, exec_lo, s40
	s_wait_dscnt 0x0
	s_barrier_signal -1
	s_barrier_wait -1
	s_and_saveexec_b32 s40, s78
	s_cbranch_execz .LBB95_360
; %bb.359:                              ;   in Loop: Header=BB95_3 Depth=1
	ds_load_b128 v[18:21], v55
	ds_load_b128 v[202:205], v53 offset:13184
	s_wait_dscnt 0x0
	v_mul_f64_e32 v[4:5], v[20:21], v[204:205]
	s_delay_alu instid0(VALU_DEP_1) | instskip(SKIP_1) | instid1(VALU_DEP_2)
	v_fma_f64 v[4:5], v[18:19], v[202:203], -v[4:5]
	v_mul_f64_e32 v[18:19], v[18:19], v[204:205]
	v_add_f64_e32 v[14:15], v[14:15], v[4:5]
	s_delay_alu instid0(VALU_DEP_2) | instskip(NEXT) | instid1(VALU_DEP_1)
	v_fmac_f64_e32 v[18:19], v[20:21], v[202:203]
	v_add_f64_e32 v[16:17], v[16:17], v[18:19]
.LBB95_360:                             ;   in Loop: Header=BB95_3 Depth=1
	s_or_b32 exec_lo, exec_lo, s40
	s_barrier_signal -1
	s_barrier_wait -1
	;; [unrolled: 37-line block ×7, first 2 shown]
	s_and_saveexec_b32 s40, s88
	s_cbranch_execz .LBB95_382
; %bb.381:                              ;   in Loop: Header=BB95_3 Depth=1
	ds_load_b128 v[18:21], v2 offset:16368
	s_wait_dscnt 0x0
	v_mul_f64_e32 v[4:5], v[16:17], v[20:21]
	v_mul_f64_e32 v[204:205], v[14:15], v[20:21]
	s_delay_alu instid0(VALU_DEP_2) | instskip(NEXT) | instid1(VALU_DEP_2)
	v_fma_f64 v[202:203], v[14:15], v[18:19], -v[4:5]
	v_fmac_f64_e32 v[204:205], v[16:17], v[18:19]
	s_delay_alu instid0(VALU_DEP_2) | instskip(NEXT) | instid1(VALU_DEP_2)
	v_mov_b64_e32 v[14:15], v[202:203]
	v_mov_b64_e32 v[16:17], v[204:205]
	ds_store_b128 v55, v[202:205]
.LBB95_382:                             ;   in Loop: Header=BB95_3 Depth=1
	s_or_b32 exec_lo, exec_lo, s40
	s_wait_dscnt 0x0
	s_barrier_signal -1
	s_barrier_wait -1
	s_barrier_signal -1
	s_barrier_wait -1
	s_and_saveexec_b32 s40, s5
; %bb.383:                              ;   in Loop: Header=BB95_3 Depth=1
	s_delay_alu instid0(VALU_DEP_3) | instskip(NEXT) | instid1(VALU_DEP_2)
	v_xor_b32_e32 v15, 0x80000000, v15
	v_xor_b32_e32 v17, 0x80000000, v17
	ds_store_b128 v56, v[14:17] offset:8576
; %bb.384:                              ;   in Loop: Header=BB95_3 Depth=1
	s_or_b32 exec_lo, exec_lo, s40
	s_wait_dscnt 0x0
	s_barrier_signal -1
	s_barrier_wait -1
	s_barrier_signal -1
	s_barrier_wait -1
	s_and_saveexec_b32 s40, s89
	s_cbranch_execz .LBB95_386
; %bb.385:                              ;   in Loop: Header=BB95_3 Depth=1
	ds_load_b128 v[14:17], v70
	s_wait_dscnt 0x0
	ds_store_b128 v182, v[14:17]
	ds_load_b128 v[14:17], v71
	s_wait_dscnt 0x0
	ds_store_b128 v183, v[14:17]
	;; [unrolled: 3-line block ×8, first 2 shown]
.LBB95_386:                             ;   in Loop: Header=BB95_3 Depth=1
	s_or_b32 exec_lo, exec_lo, s40
	s_wait_dscnt 0x0
	s_barrier_signal -1
	s_barrier_wait -1
	s_and_saveexec_b32 s40, s29
	s_cbranch_execz .LBB95_388
; %bb.387:                              ;   in Loop: Header=BB95_3 Depth=1
	ds_load_b128 v[14:17], v2 offset:13200
	ds_load_b128 v[18:21], v2 offset:12672
	s_wait_dscnt 0x0
	v_mul_f64_e32 v[4:5], v[14:15], v[20:21]
	v_mul_f64_e32 v[20:21], v[16:17], v[20:21]
	s_delay_alu instid0(VALU_DEP_2) | instskip(NEXT) | instid1(VALU_DEP_2)
	v_fmac_f64_e32 v[4:5], v[16:17], v[18:19]
	v_fma_f64 v[20:21], v[14:15], v[18:19], -v[20:21]
	ds_load_b128 v[14:17], v2 offset:12688
	s_wait_dscnt 0x0
	v_mul_f64_e32 v[38:39], v[4:5], v[16:17]
	v_mul_f64_e32 v[18:19], v[20:21], v[16:17]
	s_delay_alu instid0(VALU_DEP_2) | instskip(NEXT) | instid1(VALU_DEP_2)
	v_fma_f64 v[16:17], v[14:15], v[20:21], -v[38:39]
	v_fmac_f64_e32 v[18:19], v[14:15], v[4:5]
	ds_store_b128 v2, v[16:19] offset:12688
	ds_store_b128 v2, v[16:19] offset:13184
.LBB95_388:                             ;   in Loop: Header=BB95_3 Depth=1
	s_or_b32 exec_lo, exec_lo, s40
	v_mov_b64_e32 v[16:17], 0
	v_mov_b64_e32 v[14:15], 0
	s_wait_dscnt 0x0
	s_barrier_signal -1
	s_barrier_wait -1
	s_and_saveexec_b32 s40, s2
	s_cbranch_execz .LBB95_392
; %bb.389:                              ;   in Loop: Header=BB95_3 Depth=1
	ds_load_b128 v[14:17], v42 offset:12672
	ds_load_b128 v[18:21], v41 offset:12704
	s_wait_dscnt 0x0
	v_mul_f64_e32 v[4:5], v[16:17], v[20:21]
	v_mul_f64_e32 v[20:21], v[14:15], v[20:21]
	s_delay_alu instid0(VALU_DEP_2) | instskip(NEXT) | instid1(VALU_DEP_2)
	v_fma_f64 v[4:5], v[14:15], v[18:19], -v[4:5]
	v_fmac_f64_e32 v[20:21], v[16:17], v[18:19]
	s_delay_alu instid0(VALU_DEP_2) | instskip(NEXT) | instid1(VALU_DEP_2)
	v_add_f64_e32 v[14:15], 0, v[4:5]
	v_add_f64_e32 v[16:17], 0, v[20:21]
	s_and_saveexec_b32 s41, s10
	s_cbranch_execz .LBB95_391
; %bb.390:                              ;   in Loop: Header=BB95_3 Depth=1
	ds_load_b128 v[18:21], v2 offset:12688
	ds_load_b128 v[202:205], v48 offset:13216
	s_wait_dscnt 0x0
	v_mul_f64_e32 v[4:5], v[20:21], v[204:205]
	s_delay_alu instid0(VALU_DEP_1) | instskip(SKIP_1) | instid1(VALU_DEP_2)
	v_fma_f64 v[4:5], v[18:19], v[202:203], -v[4:5]
	v_mul_f64_e32 v[18:19], v[18:19], v[204:205]
	v_add_f64_e32 v[14:15], v[14:15], v[4:5]
	s_delay_alu instid0(VALU_DEP_2) | instskip(NEXT) | instid1(VALU_DEP_1)
	v_fmac_f64_e32 v[18:19], v[20:21], v[202:203]
	v_add_f64_e32 v[16:17], v[16:17], v[18:19]
.LBB95_391:                             ;   in Loop: Header=BB95_3 Depth=1
	s_or_b32 exec_lo, exec_lo, s41
	s_delay_alu instid0(VALU_DEP_2) | instskip(NEXT) | instid1(VALU_DEP_2)
	v_xor_b32_e32 v15, 0x80000000, v15
	v_xor_b32_e32 v17, 0x80000000, v17
.LBB95_392:                             ;   in Loop: Header=BB95_3 Depth=1
	s_or_b32 exec_lo, exec_lo, s40
	s_and_saveexec_b32 s40, s65
	s_cbranch_execz .LBB95_394
; %bb.393:                              ;   in Loop: Header=BB95_3 Depth=1
	ds_load_b128 v[18:21], v2 offset:13728
	s_wait_dscnt 0x0
	v_mul_f64_e32 v[4:5], v[16:17], v[20:21]
	v_mul_f64_e32 v[204:205], v[14:15], v[20:21]
	s_delay_alu instid0(VALU_DEP_2) | instskip(NEXT) | instid1(VALU_DEP_2)
	v_fma_f64 v[202:203], v[14:15], v[18:19], -v[4:5]
	v_fmac_f64_e32 v[204:205], v[16:17], v[18:19]
	s_delay_alu instid0(VALU_DEP_2) | instskip(NEXT) | instid1(VALU_DEP_2)
	v_mov_b64_e32 v[14:15], v[202:203]
	v_mov_b64_e32 v[16:17], v[204:205]
	ds_store_b128 v23, v[202:205]
.LBB95_394:                             ;   in Loop: Header=BB95_3 Depth=1
	s_or_b32 exec_lo, exec_lo, s40
	s_wait_dscnt 0x0
	s_barrier_signal -1
	s_barrier_wait -1
	s_and_saveexec_b32 s40, s66
	s_cbranch_execz .LBB95_396
; %bb.395:                              ;   in Loop: Header=BB95_3 Depth=1
	ds_load_b128 v[18:21], v23
	ds_load_b128 v[202:205], v2 offset:13744
	s_wait_dscnt 0x0
	v_mul_f64_e32 v[4:5], v[20:21], v[204:205]
	s_delay_alu instid0(VALU_DEP_1) | instskip(SKIP_1) | instid1(VALU_DEP_2)
	v_fma_f64 v[4:5], v[18:19], v[202:203], -v[4:5]
	v_mul_f64_e32 v[18:19], v[18:19], v[204:205]
	v_add_f64_e32 v[14:15], v[14:15], v[4:5]
	s_delay_alu instid0(VALU_DEP_2) | instskip(NEXT) | instid1(VALU_DEP_1)
	v_fmac_f64_e32 v[18:19], v[20:21], v[202:203]
	v_add_f64_e32 v[16:17], v[16:17], v[18:19]
.LBB95_396:                             ;   in Loop: Header=BB95_3 Depth=1
	s_or_b32 exec_lo, exec_lo, s40
	s_barrier_signal -1
	s_barrier_wait -1
	s_and_saveexec_b32 s40, s66
	s_cbranch_execz .LBB95_398
; %bb.397:                              ;   in Loop: Header=BB95_3 Depth=1
	ds_load_b128 v[18:21], v2 offset:14256
	s_wait_dscnt 0x0
	v_mul_f64_e32 v[4:5], v[16:17], v[20:21]
	v_mul_f64_e32 v[204:205], v[14:15], v[20:21]
	s_delay_alu instid0(VALU_DEP_2) | instskip(NEXT) | instid1(VALU_DEP_2)
	v_fma_f64 v[202:203], v[14:15], v[18:19], -v[4:5]
	v_fmac_f64_e32 v[204:205], v[16:17], v[18:19]
	s_delay_alu instid0(VALU_DEP_2) | instskip(NEXT) | instid1(VALU_DEP_2)
	v_mov_b64_e32 v[14:15], v[202:203]
	v_mov_b64_e32 v[16:17], v[204:205]
	ds_store_b128 v23, v[202:205]
.LBB95_398:                             ;   in Loop: Header=BB95_3 Depth=1
	s_or_b32 exec_lo, exec_lo, s40
	s_wait_dscnt 0x0
	s_barrier_signal -1
	s_barrier_wait -1
	s_barrier_signal -1
	s_barrier_wait -1
	s_and_saveexec_b32 s40, s2
; %bb.399:                              ;   in Loop: Header=BB95_3 Depth=1
	s_delay_alu instid0(VALU_DEP_3) | instskip(NEXT) | instid1(VALU_DEP_2)
	v_xor_b32_e32 v15, 0x80000000, v15
	v_xor_b32_e32 v17, 0x80000000, v17
	ds_store_b128 v41, v[14:17] offset:12704
; %bb.400:                              ;   in Loop: Header=BB95_3 Depth=1
	s_or_b32 exec_lo, exec_lo, s40
	s_wait_dscnt 0x0
	s_barrier_signal -1
	s_barrier_wait -1
	s_barrier_signal -1
	s_barrier_wait -1
	s_and_saveexec_b32 s40, s67
	s_cbranch_execz .LBB95_402
; %bb.401:                              ;   in Loop: Header=BB95_3 Depth=1
	ds_load_b128 v[14:17], v88
	s_wait_dscnt 0x0
	ds_store_b128 v190, v[14:17]
	ds_load_b128 v[14:17], v89
	s_wait_dscnt 0x0
	ds_store_b128 v191, v[14:17]
.LBB95_402:                             ;   in Loop: Header=BB95_3 Depth=1
	s_or_b32 exec_lo, exec_lo, s40
	s_wait_dscnt 0x0
	s_barrier_signal -1
	s_barrier_wait -1
	s_and_saveexec_b32 s40, s29
	s_cbranch_execz .LBB95_404
; %bb.403:                              ;   in Loop: Header=BB95_3 Depth=1
	ds_load_b128 v[14:17], v2 offset:14256
	ds_load_b128 v[18:21], v2 offset:13728
	s_wait_dscnt 0x0
	v_mul_f64_e32 v[4:5], v[14:15], v[20:21]
	v_mul_f64_e32 v[20:21], v[16:17], v[20:21]
	s_delay_alu instid0(VALU_DEP_2) | instskip(NEXT) | instid1(VALU_DEP_2)
	v_fmac_f64_e32 v[4:5], v[16:17], v[18:19]
	v_fma_f64 v[20:21], v[14:15], v[18:19], -v[20:21]
	ds_load_b128 v[14:17], v2 offset:13744
	s_wait_dscnt 0x0
	v_mul_f64_e32 v[38:39], v[4:5], v[16:17]
	v_mul_f64_e32 v[18:19], v[20:21], v[16:17]
	s_delay_alu instid0(VALU_DEP_2) | instskip(NEXT) | instid1(VALU_DEP_2)
	v_fma_f64 v[16:17], v[14:15], v[20:21], -v[38:39]
	v_fmac_f64_e32 v[18:19], v[14:15], v[4:5]
	ds_store_b128 v2, v[16:19] offset:13744
	ds_store_b128 v2, v[16:19] offset:14240
.LBB95_404:                             ;   in Loop: Header=BB95_3 Depth=1
	s_or_b32 exec_lo, exec_lo, s40
	v_mov_b64_e32 v[16:17], 0
	v_mov_b64_e32 v[14:15], 0
	s_wait_dscnt 0x0
	s_barrier_signal -1
	s_barrier_wait -1
	s_and_saveexec_b32 s40, s4
	s_cbranch_execz .LBB95_410
; %bb.405:                              ;   in Loop: Header=BB95_3 Depth=1
	ds_load_b128 v[14:17], v44 offset:12672
	ds_load_b128 v[18:21], v50 offset:12736
	s_wait_dscnt 0x0
	v_mul_f64_e32 v[4:5], v[16:17], v[20:21]
	v_mul_f64_e32 v[20:21], v[14:15], v[20:21]
	s_delay_alu instid0(VALU_DEP_2) | instskip(NEXT) | instid1(VALU_DEP_2)
	v_fma_f64 v[4:5], v[14:15], v[18:19], -v[4:5]
	v_fmac_f64_e32 v[20:21], v[16:17], v[18:19]
	s_delay_alu instid0(VALU_DEP_2) | instskip(NEXT) | instid1(VALU_DEP_2)
	v_add_f64_e32 v[14:15], 0, v[4:5]
	v_add_f64_e32 v[16:17], 0, v[20:21]
	s_and_saveexec_b32 s41, s11
	s_cbranch_execnz .LBB95_572
; %bb.406:                              ;   in Loop: Header=BB95_3 Depth=1
	s_or_b32 exec_lo, exec_lo, s41
	s_and_saveexec_b32 s41, s12
	s_cbranch_execnz .LBB95_573
.LBB95_407:                             ;   in Loop: Header=BB95_3 Depth=1
	s_or_b32 exec_lo, exec_lo, s41
	s_and_saveexec_b32 s41, s2
	s_cbranch_execz .LBB95_409
.LBB95_408:                             ;   in Loop: Header=BB95_3 Depth=1
	ds_load_b128 v[18:21], v2 offset:12720
	ds_load_b128 v[202:205], v81 offset:14272
	s_wait_dscnt 0x0
	v_mul_f64_e32 v[4:5], v[20:21], v[204:205]
	s_delay_alu instid0(VALU_DEP_1) | instskip(SKIP_1) | instid1(VALU_DEP_2)
	v_fma_f64 v[4:5], v[18:19], v[202:203], -v[4:5]
	v_mul_f64_e32 v[18:19], v[18:19], v[204:205]
	v_add_f64_e32 v[14:15], v[14:15], v[4:5]
	s_delay_alu instid0(VALU_DEP_2) | instskip(NEXT) | instid1(VALU_DEP_1)
	v_fmac_f64_e32 v[18:19], v[20:21], v[202:203]
	v_add_f64_e32 v[16:17], v[16:17], v[18:19]
.LBB95_409:                             ;   in Loop: Header=BB95_3 Depth=1
	s_or_b32 exec_lo, exec_lo, s41
	s_delay_alu instid0(VALU_DEP_2) | instskip(NEXT) | instid1(VALU_DEP_2)
	v_xor_b32_e32 v15, 0x80000000, v15
	v_xor_b32_e32 v17, 0x80000000, v17
.LBB95_410:                             ;   in Loop: Header=BB95_3 Depth=1
	s_or_b32 exec_lo, exec_lo, s40
	s_and_saveexec_b32 s40, s68
	s_cbranch_execz .LBB95_412
; %bb.411:                              ;   in Loop: Header=BB95_3 Depth=1
	ds_load_b128 v[18:21], v2 offset:14784
	s_wait_dscnt 0x0
	v_mul_f64_e32 v[4:5], v[16:17], v[20:21]
	v_mul_f64_e32 v[204:205], v[14:15], v[20:21]
	s_delay_alu instid0(VALU_DEP_2) | instskip(NEXT) | instid1(VALU_DEP_2)
	v_fma_f64 v[202:203], v[14:15], v[18:19], -v[4:5]
	v_fmac_f64_e32 v[204:205], v[16:17], v[18:19]
	s_delay_alu instid0(VALU_DEP_2) | instskip(NEXT) | instid1(VALU_DEP_2)
	v_mov_b64_e32 v[14:15], v[202:203]
	v_mov_b64_e32 v[16:17], v[204:205]
	ds_store_b128 v49, v[202:205]
.LBB95_412:                             ;   in Loop: Header=BB95_3 Depth=1
	s_or_b32 exec_lo, exec_lo, s40
	s_wait_dscnt 0x0
	s_barrier_signal -1
	s_barrier_wait -1
	s_and_saveexec_b32 s40, s69
	s_cbranch_execz .LBB95_414
; %bb.413:                              ;   in Loop: Header=BB95_3 Depth=1
	ds_load_b128 v[18:21], v49
	ds_load_b128 v[202:205], v47 offset:14784
	s_wait_dscnt 0x0
	v_mul_f64_e32 v[4:5], v[20:21], v[204:205]
	s_delay_alu instid0(VALU_DEP_1) | instskip(SKIP_1) | instid1(VALU_DEP_2)
	v_fma_f64 v[4:5], v[18:19], v[202:203], -v[4:5]
	v_mul_f64_e32 v[18:19], v[18:19], v[204:205]
	v_add_f64_e32 v[14:15], v[14:15], v[4:5]
	s_delay_alu instid0(VALU_DEP_2) | instskip(NEXT) | instid1(VALU_DEP_1)
	v_fmac_f64_e32 v[18:19], v[20:21], v[202:203]
	v_add_f64_e32 v[16:17], v[16:17], v[18:19]
.LBB95_414:                             ;   in Loop: Header=BB95_3 Depth=1
	s_or_b32 exec_lo, exec_lo, s40
	s_barrier_signal -1
	s_barrier_wait -1
	s_and_saveexec_b32 s40, s70
	s_cbranch_execz .LBB95_416
; %bb.415:                              ;   in Loop: Header=BB95_3 Depth=1
	ds_load_b128 v[18:21], v2 offset:15312
	s_wait_dscnt 0x0
	v_mul_f64_e32 v[4:5], v[16:17], v[20:21]
	v_mul_f64_e32 v[204:205], v[14:15], v[20:21]
	s_delay_alu instid0(VALU_DEP_2) | instskip(NEXT) | instid1(VALU_DEP_2)
	v_fma_f64 v[202:203], v[14:15], v[18:19], -v[4:5]
	v_fmac_f64_e32 v[204:205], v[16:17], v[18:19]
	s_delay_alu instid0(VALU_DEP_2) | instskip(NEXT) | instid1(VALU_DEP_2)
	v_mov_b64_e32 v[14:15], v[202:203]
	v_mov_b64_e32 v[16:17], v[204:205]
	ds_store_b128 v49, v[202:205]
.LBB95_416:                             ;   in Loop: Header=BB95_3 Depth=1
	s_or_b32 exec_lo, exec_lo, s40
	s_wait_dscnt 0x0
	s_barrier_signal -1
	s_barrier_wait -1
	s_and_saveexec_b32 s40, s71
	s_cbranch_execz .LBB95_418
; %bb.417:                              ;   in Loop: Header=BB95_3 Depth=1
	ds_load_b128 v[18:21], v49
	ds_load_b128 v[202:205], v47 offset:15296
	s_wait_dscnt 0x0
	v_mul_f64_e32 v[4:5], v[20:21], v[204:205]
	s_delay_alu instid0(VALU_DEP_1) | instskip(SKIP_1) | instid1(VALU_DEP_2)
	v_fma_f64 v[4:5], v[18:19], v[202:203], -v[4:5]
	v_mul_f64_e32 v[18:19], v[18:19], v[204:205]
	v_add_f64_e32 v[14:15], v[14:15], v[4:5]
	s_delay_alu instid0(VALU_DEP_2) | instskip(NEXT) | instid1(VALU_DEP_1)
	v_fmac_f64_e32 v[18:19], v[20:21], v[202:203]
	v_add_f64_e32 v[16:17], v[16:17], v[18:19]
.LBB95_418:                             ;   in Loop: Header=BB95_3 Depth=1
	s_or_b32 exec_lo, exec_lo, s40
	s_barrier_signal -1
	s_barrier_wait -1
	;; [unrolled: 37-line block ×3, first 2 shown]
	s_and_saveexec_b32 s40, s73
	s_cbranch_execz .LBB95_424
; %bb.423:                              ;   in Loop: Header=BB95_3 Depth=1
	ds_load_b128 v[18:21], v2 offset:16368
	s_wait_dscnt 0x0
	v_mul_f64_e32 v[4:5], v[16:17], v[20:21]
	v_mul_f64_e32 v[204:205], v[14:15], v[20:21]
	s_delay_alu instid0(VALU_DEP_2) | instskip(NEXT) | instid1(VALU_DEP_2)
	v_fma_f64 v[202:203], v[14:15], v[18:19], -v[4:5]
	v_fmac_f64_e32 v[204:205], v[16:17], v[18:19]
	s_delay_alu instid0(VALU_DEP_2) | instskip(NEXT) | instid1(VALU_DEP_2)
	v_mov_b64_e32 v[14:15], v[202:203]
	v_mov_b64_e32 v[16:17], v[204:205]
	ds_store_b128 v49, v[202:205]
.LBB95_424:                             ;   in Loop: Header=BB95_3 Depth=1
	s_or_b32 exec_lo, exec_lo, s40
	s_wait_dscnt 0x0
	s_barrier_signal -1
	s_barrier_wait -1
	s_barrier_signal -1
	s_barrier_wait -1
	s_and_saveexec_b32 s40, s4
; %bb.425:                              ;   in Loop: Header=BB95_3 Depth=1
	s_delay_alu instid0(VALU_DEP_1) | instskip(NEXT) | instid1(VALU_DEP_4)
	v_xor_b32_e32 v17, 0x80000000, v17
	v_xor_b32_e32 v15, 0x80000000, v15
	ds_store_b128 v50, v[14:17] offset:12736
; %bb.426:                              ;   in Loop: Header=BB95_3 Depth=1
	s_or_b32 exec_lo, exec_lo, s40
	s_wait_dscnt 0x0
	s_barrier_signal -1
	s_barrier_wait -1
	s_barrier_signal -1
	s_barrier_wait -1
	s_and_saveexec_b32 s40, s74
	s_cbranch_execz .LBB95_428
; %bb.427:                              ;   in Loop: Header=BB95_3 Depth=1
	ds_load_b128 v[14:17], v99
	s_wait_dscnt 0x0
	ds_store_b128 v192, v[14:17]
	ds_load_b128 v[14:17], v102
	s_wait_dscnt 0x0
	ds_store_b128 v195, v[14:17]
	;; [unrolled: 3-line block ×4, first 2 shown]
.LBB95_428:                             ;   in Loop: Header=BB95_3 Depth=1
	s_or_b32 exec_lo, exec_lo, s40
	s_wait_dscnt 0x0
	s_barrier_signal -1
	s_barrier_wait -1
	s_and_saveexec_b32 s40, s29
	s_cbranch_execz .LBB95_430
; %bb.429:                              ;   in Loop: Header=BB95_3 Depth=1
	ds_load_b128 v[14:17], v2 offset:15312
	ds_load_b128 v[18:21], v2 offset:14784
	s_wait_dscnt 0x0
	v_mul_f64_e32 v[4:5], v[14:15], v[20:21]
	v_mul_f64_e32 v[20:21], v[16:17], v[20:21]
	s_delay_alu instid0(VALU_DEP_2) | instskip(NEXT) | instid1(VALU_DEP_2)
	v_fmac_f64_e32 v[4:5], v[16:17], v[18:19]
	v_fma_f64 v[20:21], v[14:15], v[18:19], -v[20:21]
	ds_load_b128 v[14:17], v2 offset:14800
	s_wait_dscnt 0x0
	v_mul_f64_e32 v[38:39], v[4:5], v[16:17]
	v_mul_f64_e32 v[18:19], v[20:21], v[16:17]
	s_delay_alu instid0(VALU_DEP_2) | instskip(NEXT) | instid1(VALU_DEP_2)
	v_fma_f64 v[16:17], v[14:15], v[20:21], -v[38:39]
	v_fmac_f64_e32 v[18:19], v[14:15], v[4:5]
	ds_store_b128 v2, v[16:19] offset:14800
	ds_store_b128 v2, v[16:19] offset:15296
.LBB95_430:                             ;   in Loop: Header=BB95_3 Depth=1
	s_or_b32 exec_lo, exec_lo, s40
	v_mov_b64_e32 v[16:17], 0
	v_mov_b64_e32 v[14:15], 0
	s_wait_dscnt 0x0
	s_barrier_signal -1
	s_barrier_wait -1
	s_and_saveexec_b32 s40, s2
	s_cbranch_execz .LBB95_434
; %bb.431:                              ;   in Loop: Header=BB95_3 Depth=1
	ds_load_b128 v[14:17], v42 offset:14784
	ds_load_b128 v[18:21], v41 offset:14816
	s_wait_dscnt 0x0
	v_mul_f64_e32 v[4:5], v[16:17], v[20:21]
	v_mul_f64_e32 v[20:21], v[14:15], v[20:21]
	s_delay_alu instid0(VALU_DEP_2) | instskip(NEXT) | instid1(VALU_DEP_2)
	v_fma_f64 v[4:5], v[14:15], v[18:19], -v[4:5]
	v_fmac_f64_e32 v[20:21], v[16:17], v[18:19]
	s_delay_alu instid0(VALU_DEP_2) | instskip(NEXT) | instid1(VALU_DEP_2)
	v_add_f64_e32 v[14:15], 0, v[4:5]
	v_add_f64_e32 v[16:17], 0, v[20:21]
	s_and_saveexec_b32 s41, s10
	s_cbranch_execz .LBB95_433
; %bb.432:                              ;   in Loop: Header=BB95_3 Depth=1
	ds_load_b128 v[18:21], v2 offset:14800
	ds_load_b128 v[202:205], v92 offset:15328
	s_wait_dscnt 0x0
	v_mul_f64_e32 v[4:5], v[20:21], v[204:205]
	s_delay_alu instid0(VALU_DEP_1) | instskip(SKIP_1) | instid1(VALU_DEP_2)
	v_fma_f64 v[4:5], v[18:19], v[202:203], -v[4:5]
	v_mul_f64_e32 v[18:19], v[18:19], v[204:205]
	v_add_f64_e32 v[14:15], v[14:15], v[4:5]
	s_delay_alu instid0(VALU_DEP_2) | instskip(NEXT) | instid1(VALU_DEP_1)
	v_fmac_f64_e32 v[18:19], v[20:21], v[202:203]
	v_add_f64_e32 v[16:17], v[16:17], v[18:19]
.LBB95_433:                             ;   in Loop: Header=BB95_3 Depth=1
	s_or_b32 exec_lo, exec_lo, s41
	s_delay_alu instid0(VALU_DEP_2) | instskip(NEXT) | instid1(VALU_DEP_2)
	v_xor_b32_e32 v15, 0x80000000, v15
	v_xor_b32_e32 v17, 0x80000000, v17
.LBB95_434:                             ;   in Loop: Header=BB95_3 Depth=1
	s_or_b32 exec_lo, exec_lo, s40
	s_and_saveexec_b32 s40, s65
	s_cbranch_execz .LBB95_436
; %bb.435:                              ;   in Loop: Header=BB95_3 Depth=1
	ds_load_b128 v[18:21], v2 offset:15840
	s_wait_dscnt 0x0
	v_mul_f64_e32 v[4:5], v[16:17], v[20:21]
	v_mul_f64_e32 v[204:205], v[14:15], v[20:21]
	s_delay_alu instid0(VALU_DEP_2) | instskip(NEXT) | instid1(VALU_DEP_2)
	v_fma_f64 v[202:203], v[14:15], v[18:19], -v[4:5]
	v_fmac_f64_e32 v[204:205], v[16:17], v[18:19]
	s_delay_alu instid0(VALU_DEP_2) | instskip(NEXT) | instid1(VALU_DEP_2)
	v_mov_b64_e32 v[14:15], v[202:203]
	v_mov_b64_e32 v[16:17], v[204:205]
	ds_store_b128 v23, v[202:205]
.LBB95_436:                             ;   in Loop: Header=BB95_3 Depth=1
	s_or_b32 exec_lo, exec_lo, s40
	s_wait_dscnt 0x0
	s_barrier_signal -1
	s_barrier_wait -1
	s_and_saveexec_b32 s40, s66
	s_cbranch_execz .LBB95_438
; %bb.437:                              ;   in Loop: Header=BB95_3 Depth=1
	ds_load_b128 v[18:21], v23
	ds_load_b128 v[202:205], v2 offset:15856
	s_wait_dscnt 0x0
	v_mul_f64_e32 v[4:5], v[20:21], v[204:205]
	s_delay_alu instid0(VALU_DEP_1) | instskip(SKIP_1) | instid1(VALU_DEP_2)
	v_fma_f64 v[4:5], v[18:19], v[202:203], -v[4:5]
	v_mul_f64_e32 v[18:19], v[18:19], v[204:205]
	v_add_f64_e32 v[14:15], v[14:15], v[4:5]
	s_delay_alu instid0(VALU_DEP_2) | instskip(NEXT) | instid1(VALU_DEP_1)
	v_fmac_f64_e32 v[18:19], v[20:21], v[202:203]
	v_add_f64_e32 v[16:17], v[16:17], v[18:19]
.LBB95_438:                             ;   in Loop: Header=BB95_3 Depth=1
	s_or_b32 exec_lo, exec_lo, s40
	s_barrier_signal -1
	s_barrier_wait -1
	s_and_saveexec_b32 s40, s66
	s_cbranch_execz .LBB95_440
; %bb.439:                              ;   in Loop: Header=BB95_3 Depth=1
	ds_load_b128 v[18:21], v2 offset:16368
	s_wait_dscnt 0x0
	v_mul_f64_e32 v[4:5], v[16:17], v[20:21]
	v_mul_f64_e32 v[204:205], v[14:15], v[20:21]
	s_delay_alu instid0(VALU_DEP_2) | instskip(NEXT) | instid1(VALU_DEP_2)
	v_fma_f64 v[202:203], v[14:15], v[18:19], -v[4:5]
	v_fmac_f64_e32 v[204:205], v[16:17], v[18:19]
	s_delay_alu instid0(VALU_DEP_2) | instskip(NEXT) | instid1(VALU_DEP_2)
	v_mov_b64_e32 v[14:15], v[202:203]
	v_mov_b64_e32 v[16:17], v[204:205]
	ds_store_b128 v23, v[202:205]
.LBB95_440:                             ;   in Loop: Header=BB95_3 Depth=1
	s_or_b32 exec_lo, exec_lo, s40
	s_wait_dscnt 0x0
	s_barrier_signal -1
	s_barrier_wait -1
	s_barrier_signal -1
	s_barrier_wait -1
	s_and_saveexec_b32 s40, s2
; %bb.441:                              ;   in Loop: Header=BB95_3 Depth=1
	s_delay_alu instid0(VALU_DEP_3) | instskip(NEXT) | instid1(VALU_DEP_2)
	v_xor_b32_e32 v15, 0x80000000, v15
	v_xor_b32_e32 v17, 0x80000000, v17
	ds_store_b128 v41, v[14:17] offset:14816
; %bb.442:                              ;   in Loop: Header=BB95_3 Depth=1
	s_or_b32 exec_lo, exec_lo, s40
	s_wait_dscnt 0x0
	s_barrier_signal -1
	s_barrier_wait -1
	s_barrier_signal -1
	s_barrier_wait -1
	s_and_saveexec_b32 s40, s67
	s_cbranch_execz .LBB95_444
; %bb.443:                              ;   in Loop: Header=BB95_3 Depth=1
	ds_load_b128 v[14:17], v105
	s_wait_dscnt 0x0
	ds_store_b128 v109, v[14:17]
	ds_load_b128 v[14:17], v106
	s_wait_dscnt 0x0
	ds_store_b128 v110, v[14:17]
.LBB95_444:                             ;   in Loop: Header=BB95_3 Depth=1
	s_or_b32 exec_lo, exec_lo, s40
	s_wait_dscnt 0x0
	s_barrier_signal -1
	s_barrier_wait -1
	s_and_saveexec_b32 s40, s29
	s_cbranch_execz .LBB95_446
; %bb.445:                              ;   in Loop: Header=BB95_3 Depth=1
	ds_load_b128 v[14:17], v2 offset:16368
	ds_load_b128 v[18:21], v2 offset:15840
	s_wait_dscnt 0x0
	v_mul_f64_e32 v[4:5], v[14:15], v[20:21]
	v_mul_f64_e32 v[20:21], v[16:17], v[20:21]
	s_delay_alu instid0(VALU_DEP_2) | instskip(NEXT) | instid1(VALU_DEP_2)
	v_fmac_f64_e32 v[4:5], v[16:17], v[18:19]
	v_fma_f64 v[20:21], v[14:15], v[18:19], -v[20:21]
	ds_load_b128 v[14:17], v2 offset:15856
	s_wait_dscnt 0x0
	v_mul_f64_e32 v[38:39], v[4:5], v[16:17]
	v_mul_f64_e32 v[18:19], v[20:21], v[16:17]
	s_delay_alu instid0(VALU_DEP_2) | instskip(NEXT) | instid1(VALU_DEP_2)
	v_fma_f64 v[16:17], v[14:15], v[20:21], -v[38:39]
	v_fmac_f64_e32 v[18:19], v[14:15], v[4:5]
	ds_store_b128 v2, v[16:19] offset:15856
	ds_store_b128 v2, v[16:19] offset:16352
.LBB95_446:                             ;   in Loop: Header=BB95_3 Depth=1
	s_or_b32 exec_lo, exec_lo, s40
.LBB95_447:                             ;   in Loop: Header=BB95_3 Depth=1
	v_mov_b64_e32 v[14:15], 0
	v_mov_b64_e32 v[16:17], 0
	s_mul_u64 s[40:41], s[38:39], s[52:53]
	s_wait_dscnt 0x0
	s_lshl_b64 s[40:41], s[40:41], 4
	s_barrier_signal -1
	s_add_nc_u64 s[40:41], s[48:49], s[40:41]
	s_barrier_wait -1
	s_and_saveexec_b32 s58, s91
	s_cbranch_execz .LBB95_449
; %bb.448:                              ;   in Loop: Header=BB95_3 Depth=1
	v_lshl_add_u64 v[4:5], v[34:35], 4, s[40:41]
	global_load_b128 v[16:19], v[4:5], off
	s_wait_loadcnt 0x0
	v_mul_f64_e32 v[4:5], s[44:45], v[16:17]
	s_delay_alu instid0(VALU_DEP_1) | instskip(SKIP_1) | instid1(VALU_DEP_1)
	v_fma_f64 v[14:15], s[46:47], v[18:19], -v[4:5]
	v_mul_f64_e32 v[4:5], s[44:45], v[18:19]
	v_fma_f64 v[16:17], v[16:17], -s[46:47], -v[4:5]
.LBB95_449:                             ;   in Loop: Header=BB95_3 Depth=1
	s_or_b32 exec_lo, exec_lo, s58
	s_delay_alu instid0(SALU_CYCLE_1)
	s_and_not1_b32 vcc_lo, exec_lo, s92
	s_cbranch_vccnz .LBB95_472
; %bb.450:                              ;   in Loop: Header=BB95_3 Depth=1
	v_mov_b32_e32 v201, -1
	s_lshl_b64 s[58:59], s[52:53], 2
	s_mov_b32 s98, 0
	s_add_nc_u64 s[58:59], s[56:57], s[58:59]
	s_branch .LBB95_453
.LBB95_451:                             ;   in Loop: Header=BB95_453 Depth=2
	ds_load_b128 v[202:205], v128 offset:256
	s_wait_loadcnt_dscnt 0x0
	v_mul_f64_e32 v[4:5], v[20:21], v[204:205]
	s_delay_alu instid0(VALU_DEP_1) | instskip(SKIP_1) | instid1(VALU_DEP_2)
	v_fma_f64 v[4:5], v[18:19], v[202:203], -v[4:5]
	v_mul_f64_e32 v[18:19], v[18:19], v[204:205]
	v_add_f64_e32 v[14:15], v[14:15], v[4:5]
	s_delay_alu instid0(VALU_DEP_2) | instskip(NEXT) | instid1(VALU_DEP_1)
	v_fmac_f64_e32 v[18:19], v[20:21], v[202:203]
	v_add_f64_e32 v[16:17], v[16:17], v[18:19]
.LBB95_452:                             ;   in Loop: Header=BB95_453 Depth=2
	s_or_b32 exec_lo, exec_lo, s99
	s_add_co_i32 s98, s98, 1
	s_delay_alu instid0(SALU_CYCLE_1)
	s_cmp_eq_u32 s98, s60
	s_cbranch_scc1 .LBB95_472
.LBB95_453:                             ;   Parent Loop BB95_3 Depth=1
                                        ; =>  This Loop Header: Depth=2
                                        ;       Child Loop BB95_455 Depth 3
	v_cmp_gt_i32_e32 vcc_lo, s98, v201
	s_and_b32 s100, s33, vcc_lo
	s_delay_alu instid0(SALU_CYCLE_1)
	s_and_saveexec_b32 s99, s100
	s_cbranch_execz .LBB95_456
; %bb.454:                              ;   in Loop: Header=BB95_453 Depth=2
	global_load_b32 v201, v2, s[58:59]
	s_wait_loadcnt 0x0
	v_cmp_le_i32_e32 vcc_lo, s98, v201
	s_cbranch_vccnz .LBB95_456
.LBB95_455:                             ;   Parent Loop BB95_3 Depth=1
                                        ;     Parent Loop BB95_453 Depth=2
                                        ; =>    This Inner Loop Header: Depth=3
	global_wb scope:SCOPE_DEV
	s_wait_storecnt 0x0
	global_inv scope:SCOPE_DEV
	global_load_b32 v201, v2, s[58:59]
	s_wait_loadcnt 0x0
	v_cmp_gt_i32_e32 vcc_lo, s98, v201
	s_cbranch_vccnz .LBB95_455
.LBB95_456:                             ;   in Loop: Header=BB95_453 Depth=2
	s_or_b32 exec_lo, exec_lo, s99
	s_sub_co_i32 s99, s61, s98
	global_wb scope:SCOPE_DEV
	s_wait_storecnt 0x0
	global_inv scope:SCOPE_DEV
	s_lshl_b32 s100, s99, 5
	s_wait_loadcnt 0x0
	s_barrier_signal -1
	s_barrier_wait -1
	s_and_saveexec_b32 s101, s34
	s_cbranch_execz .LBB95_461
; %bb.457:                              ;   in Loop: Header=BB95_453 Depth=2
	s_ashr_i32 vcc_lo, s100, 31
	s_delay_alu instid0(SALU_CYCLE_1) | instskip(NEXT) | instid1(VALU_DEP_1)
	v_dual_mov_b32 v5, vcc_lo :: v_dual_bitop2_b32 v4, s100, v24 bitop3:0x54
	v_cmp_le_i64_e32 vcc_lo, s[54:55], v[4:5]
	s_and_saveexec_b32 s102, vcc_lo
	s_delay_alu instid0(SALU_CYCLE_1)
	s_xor_b32 vcc_lo, exec_lo, s102
; %bb.458:                              ;   in Loop: Header=BB95_453 Depth=2
	v_dual_mov_b32 v3, v2 :: v_dual_mov_b32 v4, v2
	v_mov_b32_e32 v5, v2
	ds_store_b128 v196, v[2:5]
                                        ; implicit-def: $vgpr4_vgpr5
; %bb.459:                              ;   in Loop: Header=BB95_453 Depth=2
	s_and_not1_saveexec_b32 s102, vcc_lo
	s_cbranch_execz .LBB95_461
; %bb.460:                              ;   in Loop: Header=BB95_453 Depth=2
	v_mul_u64_e32 v[4:5], s[36:37], v[4:5]
	s_delay_alu instid0(VALU_DEP_1)
	v_lshl_add_u64 v[4:5], v[4:5], 4, s[40:41]
	global_load_b128 v[18:21], v[4:5], off
	s_wait_loadcnt 0x0
	ds_store_2addr_b64 v196, v[18:19], v[20:21] offset1:1
.LBB95_461:                             ;   in Loop: Header=BB95_453 Depth=2
	s_or_b32 exec_lo, exec_lo, s101
	v_add_nc_u32_e32 v18, s100, v40
	s_cmp_lg_u32 s99, s93
	s_wait_dscnt 0x0
	s_cselect_b32 s100, -1, 0
	s_barrier_signal -1
	v_ashrrev_i32_e32 v19, 31, v18
	v_cmp_gt_i32_e32 vcc_lo, s54, v18
	v_cndmask_b32_e64 v3, 0, 1, s100
	s_barrier_wait -1
	s_delay_alu instid0(VALU_DEP_3) | instskip(SKIP_1) | instid1(SALU_CYCLE_1)
	v_lshl_add_u64 v[4:5], v[18:19], 4, v[36:37]
	s_and_b32 s101, vcc_lo, s0
	s_and_saveexec_b32 s99, s101
	s_cbranch_execz .LBB95_467
; %bb.462:                              ;   in Loop: Header=BB95_453 Depth=2
	v_mov_b64_e32 v[20:21], v[6:7]
	s_and_not1_b32 vcc_lo, exec_lo, s100
	s_cbranch_vccnz .LBB95_464
; %bb.463:                              ;   in Loop: Header=BB95_453 Depth=2
	global_load_b64 v[20:21], v[4:5], off
.LBB95_464:                             ;   in Loop: Header=BB95_453 Depth=2
	v_cmp_ne_u32_e32 vcc_lo, 1, v3
	v_mov_b64_e32 v[38:39], v[8:9]
	s_cbranch_vccnz .LBB95_466
; %bb.465:                              ;   in Loop: Header=BB95_453 Depth=2
	global_load_b64 v[38:39], v[4:5], off offset:8
.LBB95_466:                             ;   in Loop: Header=BB95_453 Depth=2
	ds_load_b128 v[202:205], v128
	s_wait_loadcnt_dscnt 0x0
	v_mul_f64_e32 v[206:207], v[38:39], v[204:205]
	s_delay_alu instid0(VALU_DEP_1) | instskip(SKIP_1) | instid1(VALU_DEP_2)
	v_fma_f64 v[206:207], v[20:21], v[202:203], -v[206:207]
	v_mul_f64_e32 v[20:21], v[20:21], v[204:205]
	v_add_f64_e32 v[14:15], v[14:15], v[206:207]
	s_delay_alu instid0(VALU_DEP_2) | instskip(NEXT) | instid1(VALU_DEP_1)
	v_fmac_f64_e32 v[20:21], v[38:39], v[202:203]
	v_add_f64_e32 v[16:17], v[16:17], v[20:21]
.LBB95_467:                             ;   in Loop: Header=BB95_453 Depth=2
	s_or_b32 exec_lo, exec_lo, s99
	v_add_nc_u32_e32 v18, 16, v18
	s_delay_alu instid0(VALU_DEP_1) | instskip(SKIP_1) | instid1(SALU_CYCLE_1)
	v_cmp_gt_i32_e32 vcc_lo, s54, v18
	s_and_b32 s100, vcc_lo, s0
	s_and_saveexec_b32 s99, s100
	s_cbranch_execz .LBB95_452
; %bb.468:                              ;   in Loop: Header=BB95_453 Depth=2
	v_cmp_ne_u32_e32 vcc_lo, 1, v3
	v_mov_b64_e32 v[18:19], v[10:11]
	s_cbranch_vccnz .LBB95_470
; %bb.469:                              ;   in Loop: Header=BB95_453 Depth=2
	global_load_b64 v[18:19], v[4:5], off offset:256
.LBB95_470:                             ;   in Loop: Header=BB95_453 Depth=2
	v_cmp_ne_u32_e32 vcc_lo, 1, v3
	v_mov_b64_e32 v[20:21], v[12:13]
	s_cbranch_vccnz .LBB95_451
; %bb.471:                              ;   in Loop: Header=BB95_453 Depth=2
	global_load_b64 v[20:21], v[4:5], off offset:264
	s_branch .LBB95_451
.LBB95_472:                             ;   in Loop: Header=BB95_3 Depth=1
	ds_store_b128 v197, v[14:17]
	s_wait_dscnt 0x0
	s_barrier_signal -1
	s_barrier_wait -1
	s_and_saveexec_b32 s58, s3
	s_cbranch_execz .LBB95_474
; %bb.473:                              ;   in Loop: Header=BB95_3 Depth=1
	ds_load_b128 v[18:21], v198 offset:512
	s_wait_dscnt 0x0
	v_add_f64_e32 v[4:5], v[14:15], v[18:19]
	v_add_f64_e32 v[18:19], v[16:17], v[20:21]
	ds_load_b128 v[14:17], v198 offset:1024
	s_wait_dscnt 0x0
	v_add_f64_e32 v[4:5], v[4:5], v[14:15]
	v_add_f64_e32 v[18:19], v[18:19], v[16:17]
	;; [unrolled: 4-line block ×15, first 2 shown]
	s_delay_alu instid0(VALU_DEP_2) | instskip(NEXT) | instid1(VALU_DEP_2)
	v_xor_b32_e32 v3, 0x80000000, v5
	v_xor_b32_e32 v5, 0x80000000, v17
	s_delay_alu instid0(VALU_DEP_4) | instskip(NEXT) | instid1(VALU_DEP_4)
	v_cndmask_b32_e64 v14, v4, 0, s90
	v_cndmask_b32_e64 v16, v16, 0, s90
	s_delay_alu instid0(VALU_DEP_4) | instskip(NEXT) | instid1(VALU_DEP_4)
	v_cndmask_b32_e64 v15, v3, 0, s90
	v_cndmask_b32_e64 v17, v5, 0, s90
.LBB95_474:                             ;   in Loop: Header=BB95_3 Depth=1
	s_or_b32 exec_lo, exec_lo, s58
	s_delay_alu instid0(SALU_CYCLE_1)
	s_and_not1_b32 vcc_lo, exec_lo, s64
	s_cbranch_vccnz .LBB95_483
; %bb.475:                              ;   in Loop: Header=BB95_3 Depth=1
	s_and_saveexec_b32 s58, s3
; %bb.476:                              ;   in Loop: Header=BB95_3 Depth=1
	ds_store_b128 v199, v[14:17]
; %bb.477:                              ;   in Loop: Header=BB95_3 Depth=1
	s_or_b32 exec_lo, exec_lo, s58
	v_mov_b64_e32 v[18:19], 0
	v_mov_b64_e32 v[20:21], 0
	s_wait_dscnt 0x0
	s_barrier_signal -1
	s_barrier_wait -1
	s_and_saveexec_b32 s58, s1
	s_cbranch_execz .LBB95_479
; %bb.478:                              ;   in Loop: Header=BB95_3 Depth=1
	ds_load_b128 v[18:21], v128
	ds_load_b128 v[36:39], v127
	s_wait_dscnt 0x0
	v_mul_f64_e32 v[4:5], v[20:21], v[38:39]
	v_mul_f64_e32 v[38:39], v[18:19], v[38:39]
	s_delay_alu instid0(VALU_DEP_2) | instskip(NEXT) | instid1(VALU_DEP_2)
	v_fma_f64 v[4:5], v[18:19], v[36:37], -v[4:5]
	v_fmac_f64_e32 v[38:39], v[20:21], v[36:37]
	s_delay_alu instid0(VALU_DEP_2) | instskip(NEXT) | instid1(VALU_DEP_2)
	v_add_f64_e32 v[18:19], 0, v[4:5]
	v_add_f64_e32 v[20:21], 0, v[38:39]
.LBB95_479:                             ;   in Loop: Header=BB95_3 Depth=1
	s_or_b32 exec_lo, exec_lo, s58
	s_and_saveexec_b32 s58, s7
	s_cbranch_execz .LBB95_481
; %bb.480:                              ;   in Loop: Header=BB95_3 Depth=1
	ds_load_b128 v[36:39], v128 offset:256
	ds_load_b128 v[202:205], v127 offset:8192
	s_wait_dscnt 0x0
	v_mul_f64_e32 v[4:5], v[38:39], v[204:205]
	s_delay_alu instid0(VALU_DEP_1) | instskip(SKIP_1) | instid1(VALU_DEP_2)
	v_fma_f64 v[4:5], v[36:37], v[202:203], -v[4:5]
	v_mul_f64_e32 v[36:37], v[36:37], v[204:205]
	v_add_f64_e32 v[18:19], v[18:19], v[4:5]
	s_delay_alu instid0(VALU_DEP_2) | instskip(NEXT) | instid1(VALU_DEP_1)
	v_fmac_f64_e32 v[36:37], v[38:39], v[202:203]
	v_add_f64_e32 v[20:21], v[20:21], v[36:37]
.LBB95_481:                             ;   in Loop: Header=BB95_3 Depth=1
	s_or_b32 exec_lo, exec_lo, s58
	s_mov_b32 s59, 0
	s_mov_b32 s58, 0
	ds_store_b128 v197, v[18:21]
	s_wait_dscnt 0x0
	s_barrier_signal -1
	s_barrier_wait -1
                                        ; implicit-def: $vgpr4_vgpr5
                                        ; implicit-def: $vgpr36_vgpr37
	s_and_saveexec_b32 vcc_lo, s3
	s_cbranch_execz .LBB95_546
; %bb.482:                              ;   in Loop: Header=BB95_3 Depth=1
	ds_load_b128 v[36:39], v198 offset:512
	s_mov_b32 s58, exec_lo
	s_wait_dscnt 0x0
	v_add_f64_e32 v[4:5], v[18:19], v[36:37]
	v_add_f64_e32 v[36:37], v[20:21], v[38:39]
	ds_load_b128 v[18:21], v198 offset:1024
	s_wait_dscnt 0x0
	v_add_f64_e32 v[4:5], v[4:5], v[18:19]
	v_add_f64_e32 v[36:37], v[36:37], v[20:21]
	ds_load_b128 v[18:21], v198 offset:1536
	;; [unrolled: 4-line block ×14, first 2 shown]
	s_wait_dscnt 0x0
	v_add_f64_e32 v[36:37], v[4:5], v[18:19]
	v_add_f64_e32 v[4:5], v[38:39], v[20:21]
	s_or_b32 exec_lo, exec_lo, vcc_lo
	s_delay_alu instid0(SALU_CYCLE_1)
	s_and_b32 vcc_lo, exec_lo, s59
	s_cbranch_vccnz .LBB95_484
	s_branch .LBB95_547
.LBB95_483:                             ;   in Loop: Header=BB95_3 Depth=1
	s_mov_b32 s58, 0
                                        ; implicit-def: $vgpr4_vgpr5
                                        ; implicit-def: $vgpr36_vgpr37
	s_cbranch_execz .LBB95_547
.LBB95_484:                             ;   in Loop: Header=BB95_3 Depth=1
	v_mov_b32_e32 v3, v146
	s_mov_b32 s59, 31
	s_branch .LBB95_486
.LBB95_485:                             ;   in Loop: Header=BB95_486 Depth=2
	s_or_b32 exec_lo, exec_lo, s99
	v_add_nc_u32_e32 v3, 0xfffffc00, v3
	s_add_co_i32 s59, s59, -2
	s_cmp_lg_u32 s98, 0
	s_barrier_signal -1
	s_barrier_wait -1
	s_cbranch_scc0 .LBB95_494
.LBB95_486:                             ;   Parent Loop BB95_3 Depth=1
                                        ; =>  This Inner Loop Header: Depth=2
	s_delay_alu instid0(VALU_DEP_1) | instskip(SKIP_1) | instid1(SALU_CYCLE_1)
	v_cmp_eq_u32_e32 vcc_lo, 0xffffc200, v3
	s_and_b32 s99, s3, vcc_lo
	s_and_saveexec_b32 s98, s99
	s_cbranch_execz .LBB95_488
; %bb.487:                              ;   in Loop: Header=BB95_486 Depth=2
	ds_load_b128 v[18:21], v200
	s_wait_dscnt 0x0
	v_mul_f64_e32 v[4:5], v[16:17], v[20:21]
	v_mul_f64_e32 v[38:39], v[14:15], v[20:21]
	s_delay_alu instid0(VALU_DEP_2) | instskip(NEXT) | instid1(VALU_DEP_2)
	v_fma_f64 v[36:37], v[14:15], v[18:19], -v[4:5]
	v_fmac_f64_e32 v[38:39], v[16:17], v[18:19]
	s_delay_alu instid0(VALU_DEP_2) | instskip(NEXT) | instid1(VALU_DEP_2)
	v_mov_b64_e32 v[14:15], v[36:37]
	v_mov_b64_e32 v[16:17], v[38:39]
	ds_store_b128 v2, v[36:39] offset:25088
.LBB95_488:                             ;   in Loop: Header=BB95_486 Depth=2
	s_or_b32 exec_lo, exec_lo, s98
	v_cmp_gt_u32_e32 vcc_lo, s59, v22
	v_add_nc_u32_e32 v4, v25, v3
	s_wait_dscnt 0x0
	s_barrier_signal -1
	s_barrier_wait -1
	s_and_b32 s99, s3, vcc_lo
	s_delay_alu instid0(SALU_CYCLE_1)
	s_and_saveexec_b32 s98, s99
	s_cbranch_execz .LBB95_490
; %bb.489:                              ;   in Loop: Header=BB95_486 Depth=2
	ds_load_b128 v[18:21], v2 offset:25088
	ds_load_b128 v[36:39], v4 offset:512
	s_wait_dscnt 0x0
	v_mul_f64_e32 v[202:203], v[20:21], v[38:39]
	s_delay_alu instid0(VALU_DEP_1) | instskip(SKIP_1) | instid1(VALU_DEP_2)
	v_fma_f64 v[202:203], v[18:19], v[36:37], -v[202:203]
	v_mul_f64_e32 v[18:19], v[18:19], v[38:39]
	v_add_f64_e32 v[14:15], v[14:15], v[202:203]
	s_delay_alu instid0(VALU_DEP_2) | instskip(NEXT) | instid1(VALU_DEP_1)
	v_fmac_f64_e32 v[18:19], v[20:21], v[36:37]
	v_add_f64_e32 v[16:17], v[16:17], v[18:19]
.LBB95_490:                             ;   in Loop: Header=BB95_486 Depth=2
	s_or_b32 exec_lo, exec_lo, s98
	s_add_co_i32 s98, s59, -1
	s_delay_alu instid0(SALU_CYCLE_1) | instskip(SKIP_3) | instid1(SALU_CYCLE_1)
	v_cmp_eq_u32_e32 vcc_lo, s98, v22
	s_barrier_signal -1
	s_barrier_wait -1
	s_and_b32 s100, s3, vcc_lo
	s_and_saveexec_b32 s99, s100
	s_cbranch_execz .LBB95_492
; %bb.491:                              ;   in Loop: Header=BB95_486 Depth=2
	ds_load_b128 v[18:21], v200
	s_wait_dscnt 0x0
	v_mul_f64_e32 v[36:37], v[16:17], v[20:21]
	v_mul_f64_e32 v[38:39], v[14:15], v[20:21]
	s_delay_alu instid0(VALU_DEP_2) | instskip(NEXT) | instid1(VALU_DEP_2)
	v_fma_f64 v[36:37], v[14:15], v[18:19], -v[36:37]
	v_fmac_f64_e32 v[38:39], v[16:17], v[18:19]
	s_delay_alu instid0(VALU_DEP_2) | instskip(NEXT) | instid1(VALU_DEP_2)
	v_mov_b64_e32 v[14:15], v[36:37]
	v_mov_b64_e32 v[16:17], v[38:39]
	ds_store_b128 v2, v[36:39] offset:25088
.LBB95_492:                             ;   in Loop: Header=BB95_486 Depth=2
	s_or_b32 exec_lo, exec_lo, s99
	v_cmp_gt_u32_e32 vcc_lo, s98, v22
	s_wait_dscnt 0x0
	s_barrier_signal -1
	s_barrier_wait -1
	s_and_b32 s100, s3, vcc_lo
	s_delay_alu instid0(SALU_CYCLE_1)
	s_and_saveexec_b32 s99, s100
	s_cbranch_execz .LBB95_485
; %bb.493:                              ;   in Loop: Header=BB95_486 Depth=2
	ds_load_b128 v[18:21], v2 offset:25088
	ds_load_b128 v[36:39], v4
	s_wait_dscnt 0x0
	v_mul_f64_e32 v[4:5], v[20:21], v[38:39]
	s_delay_alu instid0(VALU_DEP_1) | instskip(SKIP_1) | instid1(VALU_DEP_2)
	v_fma_f64 v[4:5], v[18:19], v[36:37], -v[4:5]
	v_mul_f64_e32 v[18:19], v[18:19], v[38:39]
	v_add_f64_e32 v[14:15], v[14:15], v[4:5]
	s_delay_alu instid0(VALU_DEP_2) | instskip(NEXT) | instid1(VALU_DEP_1)
	v_fmac_f64_e32 v[18:19], v[20:21], v[36:37]
	v_add_f64_e32 v[16:17], v[16:17], v[18:19]
	s_branch .LBB95_485
.LBB95_494:                             ;   in Loop: Header=BB95_3 Depth=1
	s_and_b32 vcc_lo, exec_lo, s62
	s_mov_b32 s59, -1
	s_cbranch_vccnz .LBB95_548
; %bb.495:                              ;   in Loop: Header=BB95_3 Depth=1
	s_and_not1_b32 vcc_lo, exec_lo, s59
	s_cbranch_vccz .LBB95_549
.LBB95_496:                             ;   in Loop: Header=BB95_3 Depth=1
	s_and_saveexec_b32 s59, s58
	s_cbranch_execz .LBB95_498
.LBB95_497:                             ;   in Loop: Header=BB95_3 Depth=1
	v_lshl_add_u64 v[4:5], v[0:1], 4, s[40:41]
	global_store_b128 v[4:5], v[14:17], off
.LBB95_498:                             ;   in Loop: Header=BB95_3 Depth=1
	s_wait_xcnt 0x0
	s_or_b32 exec_lo, exec_lo, s59
	global_wb scope:SCOPE_DEV
	s_wait_storecnt 0x0
	global_inv scope:SCOPE_DEV
	s_wait_loadcnt 0x0
	s_barrier_signal -1
	s_barrier_wait -1
	s_and_saveexec_b32 s40, s33
	s_cbranch_execz .LBB95_2
; %bb.499:                              ;   in Loop: Header=BB95_3 Depth=1
	s_lshl_b64 s[58:59], s[52:53], 2
	s_delay_alu instid0(SALU_CYCLE_1)
	s_add_nc_u64 s[58:59], s[56:57], s[58:59]
	global_load_b32 v3, v2, s[58:59]
	s_wait_loadcnt 0x0
	v_add_nc_u32_e32 v3, 1, v3
	global_store_b32 v2, v3, s[58:59]
	s_branch .LBB95_2
.LBB95_500:                             ;   in Loop: Header=BB95_3 Depth=1
	s_mov_b32 s59, exec_lo
	v_readlane_b32 s98, v208, 15
	s_and_b32 s98, s59, s98
	s_delay_alu instid0(SALU_CYCLE_1)
	s_xor_b32 s59, s98, s59
	s_mov_b32 exec_lo, s98
	s_cbranch_execz .LBB95_504
; %bb.501:                              ;   in Loop: Header=BB95_3 Depth=1
	s_mov_b32 s98, exec_lo
	v_readlane_b32 s99, v208, 30
	s_and_b32 s99, s98, s99
	s_delay_alu instid0(SALU_CYCLE_1)
	s_mov_b32 exec_lo, s99
; %bb.502:                              ;   in Loop: Header=BB95_3 Depth=1
	v_dual_mov_b32 v3, v2 :: v_dual_mov_b32 v4, v2
	v_mov_b32_e32 v5, v2
	ds_store_b128 v147, v[2:5]
; %bb.503:                              ;   in Loop: Header=BB95_3 Depth=1
	s_or_b32 exec_lo, exec_lo, s98
.LBB95_504:                             ;   in Loop: Header=BB95_3 Depth=1
	s_and_not1_saveexec_b32 s59, s59
	s_cbranch_execz .LBB95_510
; %bb.505:                              ;   in Loop: Header=BB95_3 Depth=1
	v_lshl_add_u64 v[4:5], v[28:29], 4, s[40:41]
                                        ; implicit-def: $vgpr18_vgpr19
	global_load_b128 v[14:17], v[4:5], off
	s_wait_loadcnt 0x0
	v_cmp_ngt_f64_e64 s98, |v[14:15]|, |v[16:17]|
	s_and_saveexec_b32 s99, s98
	s_delay_alu instid0(SALU_CYCLE_1)
	s_xor_b32 s98, exec_lo, s99
	s_cbranch_execz .LBB95_507
; %bb.506:                              ;   in Loop: Header=BB95_3 Depth=1
	v_div_scale_f64 v[4:5], null, v[16:17], v[16:17], v[14:15]
	v_div_scale_f64 v[38:39], vcc_lo, v[14:15], v[16:17], v[14:15]
	s_delay_alu instid0(VALU_DEP_2) | instskip(SKIP_1) | instid1(TRANS32_DEP_1)
	v_rcp_f64_e32 v[18:19], v[4:5]
	v_nop
	v_fma_f64 v[20:21], -v[4:5], v[18:19], 1.0
	s_delay_alu instid0(VALU_DEP_1) | instskip(NEXT) | instid1(VALU_DEP_1)
	v_fmac_f64_e32 v[18:19], v[18:19], v[20:21]
	v_fma_f64 v[20:21], -v[4:5], v[18:19], 1.0
	s_delay_alu instid0(VALU_DEP_1) | instskip(NEXT) | instid1(VALU_DEP_1)
	v_fmac_f64_e32 v[18:19], v[18:19], v[20:21]
	v_mul_f64_e32 v[20:21], v[38:39], v[18:19]
	s_delay_alu instid0(VALU_DEP_1) | instskip(NEXT) | instid1(VALU_DEP_1)
	v_fma_f64 v[4:5], -v[4:5], v[20:21], v[38:39]
	v_div_fmas_f64 v[4:5], v[4:5], v[18:19], v[20:21]
	s_delay_alu instid0(VALU_DEP_1) | instskip(NEXT) | instid1(VALU_DEP_1)
	v_div_fixup_f64 v[4:5], v[4:5], v[16:17], v[14:15]
	v_fmac_f64_e32 v[16:17], v[14:15], v[4:5]
	s_delay_alu instid0(VALU_DEP_1) | instskip(NEXT) | instid1(VALU_DEP_1)
	v_div_scale_f64 v[14:15], null, v[16:17], v[16:17], 1.0
	v_rcp_f64_e32 v[18:19], v[14:15]
	v_nop
	s_delay_alu instid0(TRANS32_DEP_1) | instskip(NEXT) | instid1(VALU_DEP_1)
	v_fma_f64 v[20:21], -v[14:15], v[18:19], 1.0
	v_fmac_f64_e32 v[18:19], v[18:19], v[20:21]
	s_delay_alu instid0(VALU_DEP_1) | instskip(NEXT) | instid1(VALU_DEP_1)
	v_fma_f64 v[20:21], -v[14:15], v[18:19], 1.0
	v_fmac_f64_e32 v[18:19], v[18:19], v[20:21]
	v_div_scale_f64 v[20:21], vcc_lo, 1.0, v[16:17], 1.0
	s_delay_alu instid0(VALU_DEP_1) | instskip(NEXT) | instid1(VALU_DEP_1)
	v_mul_f64_e32 v[38:39], v[20:21], v[18:19]
	v_fma_f64 v[14:15], -v[14:15], v[38:39], v[20:21]
	s_delay_alu instid0(VALU_DEP_1) | instskip(NEXT) | instid1(VALU_DEP_1)
	v_div_fmas_f64 v[14:15], v[14:15], v[18:19], v[38:39]
	v_div_fixup_f64 v[20:21], v[14:15], v[16:17], 1.0
                                        ; implicit-def: $vgpr14_vgpr15
	s_delay_alu instid0(VALU_DEP_1)
	v_mul_f64_e32 v[18:19], v[4:5], v[20:21]
	v_xor_b32_e32 v21, 0x80000000, v21
.LBB95_507:                             ;   in Loop: Header=BB95_3 Depth=1
	s_and_not1_saveexec_b32 s98, s98
	s_cbranch_execz .LBB95_509
; %bb.508:                              ;   in Loop: Header=BB95_3 Depth=1
	v_div_scale_f64 v[4:5], null, v[14:15], v[14:15], v[16:17]
	v_div_scale_f64 v[38:39], vcc_lo, v[16:17], v[14:15], v[16:17]
	s_delay_alu instid0(VALU_DEP_2) | instskip(SKIP_1) | instid1(TRANS32_DEP_1)
	v_rcp_f64_e32 v[18:19], v[4:5]
	v_nop
	v_fma_f64 v[20:21], -v[4:5], v[18:19], 1.0
	s_delay_alu instid0(VALU_DEP_1) | instskip(NEXT) | instid1(VALU_DEP_1)
	v_fmac_f64_e32 v[18:19], v[18:19], v[20:21]
	v_fma_f64 v[20:21], -v[4:5], v[18:19], 1.0
	s_delay_alu instid0(VALU_DEP_1) | instskip(NEXT) | instid1(VALU_DEP_1)
	v_fmac_f64_e32 v[18:19], v[18:19], v[20:21]
	v_mul_f64_e32 v[20:21], v[38:39], v[18:19]
	s_delay_alu instid0(VALU_DEP_1) | instskip(NEXT) | instid1(VALU_DEP_1)
	v_fma_f64 v[4:5], -v[4:5], v[20:21], v[38:39]
	v_div_fmas_f64 v[4:5], v[4:5], v[18:19], v[20:21]
	s_delay_alu instid0(VALU_DEP_1) | instskip(NEXT) | instid1(VALU_DEP_1)
	v_div_fixup_f64 v[4:5], v[4:5], v[14:15], v[16:17]
	v_fmac_f64_e32 v[14:15], v[16:17], v[4:5]
	s_delay_alu instid0(VALU_DEP_1) | instskip(NEXT) | instid1(VALU_DEP_1)
	v_div_scale_f64 v[16:17], null, v[14:15], v[14:15], 1.0
	v_rcp_f64_e32 v[18:19], v[16:17]
	v_nop
	s_delay_alu instid0(TRANS32_DEP_1) | instskip(NEXT) | instid1(VALU_DEP_1)
	v_fma_f64 v[20:21], -v[16:17], v[18:19], 1.0
	v_fmac_f64_e32 v[18:19], v[18:19], v[20:21]
	s_delay_alu instid0(VALU_DEP_1) | instskip(NEXT) | instid1(VALU_DEP_1)
	v_fma_f64 v[20:21], -v[16:17], v[18:19], 1.0
	v_fmac_f64_e32 v[18:19], v[18:19], v[20:21]
	v_div_scale_f64 v[20:21], vcc_lo, 1.0, v[14:15], 1.0
	s_delay_alu instid0(VALU_DEP_1) | instskip(NEXT) | instid1(VALU_DEP_1)
	v_mul_f64_e32 v[38:39], v[20:21], v[18:19]
	v_fma_f64 v[16:17], -v[16:17], v[38:39], v[20:21]
	s_delay_alu instid0(VALU_DEP_1) | instskip(NEXT) | instid1(VALU_DEP_1)
	v_div_fmas_f64 v[16:17], v[16:17], v[18:19], v[38:39]
	v_div_fixup_f64 v[18:19], v[16:17], v[14:15], 1.0
	s_delay_alu instid0(VALU_DEP_1)
	v_mul_f64_e64 v[20:21], v[4:5], -v[18:19]
.LBB95_509:                             ;   in Loop: Header=BB95_3 Depth=1
	s_or_b32 exec_lo, exec_lo, s98
	ds_store_b128 v147, v[18:21]
.LBB95_510:                             ;   in Loop: Header=BB95_3 Depth=1
	s_or_b32 exec_lo, exec_lo, s59
	s_and_not1_saveexec_b32 s58, s58
	s_cbranch_execz .LBB95_12
.LBB95_511:                             ;   in Loop: Header=BB95_3 Depth=1
	v_lshl_add_u64 v[4:5], v[28:29], 4, s[40:41]
	global_load_b128 v[14:17], v[4:5], off
	s_wait_loadcnt 0x0
	v_xor_b32_e32 v15, 0x80000000, v15
	v_xor_b32_e32 v17, 0x80000000, v17
	ds_store_b128 v147, v[14:17]
	s_or_b32 exec_lo, exec_lo, s58
	s_and_saveexec_b32 s58, s7
	s_delay_alu instid0(SALU_CYCLE_1)
	s_xor_b32 s58, exec_lo, s58
	s_cbranch_execz .LBB95_13
.LBB95_512:                             ;   in Loop: Header=BB95_3 Depth=1
	s_mov_b32 s59, exec_lo
	v_readlane_b32 s98, v208, 17
	s_and_b32 s98, s59, s98
	s_delay_alu instid0(SALU_CYCLE_1)
	s_xor_b32 s59, s98, s59
	s_mov_b32 exec_lo, s98
	s_cbranch_execz .LBB95_516
; %bb.513:                              ;   in Loop: Header=BB95_3 Depth=1
	s_mov_b32 s98, exec_lo
	v_readlane_b32 s99, v208, 31
	s_and_b32 s99, s98, s99
	s_delay_alu instid0(SALU_CYCLE_1)
	s_mov_b32 exec_lo, s99
; %bb.514:                              ;   in Loop: Header=BB95_3 Depth=1
	v_dual_mov_b32 v3, v2 :: v_dual_mov_b32 v4, v2
	v_mov_b32_e32 v5, v2
	ds_store_b128 v148, v[2:5]
; %bb.515:                              ;   in Loop: Header=BB95_3 Depth=1
	s_or_b32 exec_lo, exec_lo, s98
.LBB95_516:                             ;   in Loop: Header=BB95_3 Depth=1
	s_and_not1_saveexec_b32 s59, s59
	s_cbranch_execz .LBB95_522
; %bb.517:                              ;   in Loop: Header=BB95_3 Depth=1
	v_lshl_add_u64 v[4:5], v[30:31], 4, s[40:41]
                                        ; implicit-def: $vgpr18_vgpr19
	global_load_b128 v[14:17], v[4:5], off
	s_wait_loadcnt 0x0
	v_cmp_ngt_f64_e64 s98, |v[14:15]|, |v[16:17]|
	s_and_saveexec_b32 s99, s98
	s_delay_alu instid0(SALU_CYCLE_1)
	s_xor_b32 s98, exec_lo, s99
	s_cbranch_execz .LBB95_519
; %bb.518:                              ;   in Loop: Header=BB95_3 Depth=1
	v_div_scale_f64 v[4:5], null, v[16:17], v[16:17], v[14:15]
	v_div_scale_f64 v[38:39], vcc_lo, v[14:15], v[16:17], v[14:15]
	s_delay_alu instid0(VALU_DEP_2) | instskip(SKIP_1) | instid1(TRANS32_DEP_1)
	v_rcp_f64_e32 v[18:19], v[4:5]
	v_nop
	v_fma_f64 v[20:21], -v[4:5], v[18:19], 1.0
	s_delay_alu instid0(VALU_DEP_1) | instskip(NEXT) | instid1(VALU_DEP_1)
	v_fmac_f64_e32 v[18:19], v[18:19], v[20:21]
	v_fma_f64 v[20:21], -v[4:5], v[18:19], 1.0
	s_delay_alu instid0(VALU_DEP_1) | instskip(NEXT) | instid1(VALU_DEP_1)
	v_fmac_f64_e32 v[18:19], v[18:19], v[20:21]
	v_mul_f64_e32 v[20:21], v[38:39], v[18:19]
	s_delay_alu instid0(VALU_DEP_1) | instskip(NEXT) | instid1(VALU_DEP_1)
	v_fma_f64 v[4:5], -v[4:5], v[20:21], v[38:39]
	v_div_fmas_f64 v[4:5], v[4:5], v[18:19], v[20:21]
	s_delay_alu instid0(VALU_DEP_1) | instskip(NEXT) | instid1(VALU_DEP_1)
	v_div_fixup_f64 v[4:5], v[4:5], v[16:17], v[14:15]
	v_fmac_f64_e32 v[16:17], v[14:15], v[4:5]
	s_delay_alu instid0(VALU_DEP_1) | instskip(NEXT) | instid1(VALU_DEP_1)
	v_div_scale_f64 v[14:15], null, v[16:17], v[16:17], 1.0
	v_rcp_f64_e32 v[18:19], v[14:15]
	v_nop
	s_delay_alu instid0(TRANS32_DEP_1) | instskip(NEXT) | instid1(VALU_DEP_1)
	v_fma_f64 v[20:21], -v[14:15], v[18:19], 1.0
	v_fmac_f64_e32 v[18:19], v[18:19], v[20:21]
	s_delay_alu instid0(VALU_DEP_1) | instskip(NEXT) | instid1(VALU_DEP_1)
	v_fma_f64 v[20:21], -v[14:15], v[18:19], 1.0
	v_fmac_f64_e32 v[18:19], v[18:19], v[20:21]
	v_div_scale_f64 v[20:21], vcc_lo, 1.0, v[16:17], 1.0
	s_delay_alu instid0(VALU_DEP_1) | instskip(NEXT) | instid1(VALU_DEP_1)
	v_mul_f64_e32 v[38:39], v[20:21], v[18:19]
	v_fma_f64 v[14:15], -v[14:15], v[38:39], v[20:21]
	s_delay_alu instid0(VALU_DEP_1) | instskip(NEXT) | instid1(VALU_DEP_1)
	v_div_fmas_f64 v[14:15], v[14:15], v[18:19], v[38:39]
	v_div_fixup_f64 v[20:21], v[14:15], v[16:17], 1.0
                                        ; implicit-def: $vgpr14_vgpr15
	s_delay_alu instid0(VALU_DEP_1)
	v_mul_f64_e32 v[18:19], v[4:5], v[20:21]
	v_xor_b32_e32 v21, 0x80000000, v21
.LBB95_519:                             ;   in Loop: Header=BB95_3 Depth=1
	s_and_not1_saveexec_b32 s98, s98
	s_cbranch_execz .LBB95_521
; %bb.520:                              ;   in Loop: Header=BB95_3 Depth=1
	v_div_scale_f64 v[4:5], null, v[14:15], v[14:15], v[16:17]
	v_div_scale_f64 v[38:39], vcc_lo, v[16:17], v[14:15], v[16:17]
	s_delay_alu instid0(VALU_DEP_2) | instskip(SKIP_1) | instid1(TRANS32_DEP_1)
	v_rcp_f64_e32 v[18:19], v[4:5]
	v_nop
	v_fma_f64 v[20:21], -v[4:5], v[18:19], 1.0
	s_delay_alu instid0(VALU_DEP_1) | instskip(NEXT) | instid1(VALU_DEP_1)
	v_fmac_f64_e32 v[18:19], v[18:19], v[20:21]
	v_fma_f64 v[20:21], -v[4:5], v[18:19], 1.0
	s_delay_alu instid0(VALU_DEP_1) | instskip(NEXT) | instid1(VALU_DEP_1)
	v_fmac_f64_e32 v[18:19], v[18:19], v[20:21]
	v_mul_f64_e32 v[20:21], v[38:39], v[18:19]
	s_delay_alu instid0(VALU_DEP_1) | instskip(NEXT) | instid1(VALU_DEP_1)
	v_fma_f64 v[4:5], -v[4:5], v[20:21], v[38:39]
	v_div_fmas_f64 v[4:5], v[4:5], v[18:19], v[20:21]
	s_delay_alu instid0(VALU_DEP_1) | instskip(NEXT) | instid1(VALU_DEP_1)
	v_div_fixup_f64 v[4:5], v[4:5], v[14:15], v[16:17]
	v_fmac_f64_e32 v[14:15], v[16:17], v[4:5]
	s_delay_alu instid0(VALU_DEP_1) | instskip(NEXT) | instid1(VALU_DEP_1)
	v_div_scale_f64 v[16:17], null, v[14:15], v[14:15], 1.0
	v_rcp_f64_e32 v[18:19], v[16:17]
	v_nop
	s_delay_alu instid0(TRANS32_DEP_1) | instskip(NEXT) | instid1(VALU_DEP_1)
	v_fma_f64 v[20:21], -v[16:17], v[18:19], 1.0
	v_fmac_f64_e32 v[18:19], v[18:19], v[20:21]
	s_delay_alu instid0(VALU_DEP_1) | instskip(NEXT) | instid1(VALU_DEP_1)
	v_fma_f64 v[20:21], -v[16:17], v[18:19], 1.0
	v_fmac_f64_e32 v[18:19], v[18:19], v[20:21]
	v_div_scale_f64 v[20:21], vcc_lo, 1.0, v[14:15], 1.0
	s_delay_alu instid0(VALU_DEP_1) | instskip(NEXT) | instid1(VALU_DEP_1)
	v_mul_f64_e32 v[38:39], v[20:21], v[18:19]
	v_fma_f64 v[16:17], -v[16:17], v[38:39], v[20:21]
	s_delay_alu instid0(VALU_DEP_1) | instskip(NEXT) | instid1(VALU_DEP_1)
	v_div_fmas_f64 v[16:17], v[16:17], v[18:19], v[38:39]
	v_div_fixup_f64 v[18:19], v[16:17], v[14:15], 1.0
	s_delay_alu instid0(VALU_DEP_1)
	v_mul_f64_e64 v[20:21], v[4:5], -v[18:19]
.LBB95_521:                             ;   in Loop: Header=BB95_3 Depth=1
	s_or_b32 exec_lo, exec_lo, s98
	ds_store_b128 v148, v[18:21]
.LBB95_522:                             ;   in Loop: Header=BB95_3 Depth=1
	s_or_b32 exec_lo, exec_lo, s59
	s_and_not1_saveexec_b32 s58, s58
	s_cbranch_execnz .LBB95_14
	s_branch .LBB95_15
.LBB95_523:                             ;   in Loop: Header=BB95_3 Depth=1
	s_mov_b32 s59, exec_lo
	v_readlane_b32 s98, v208, 16
	s_and_b32 s98, s59, s98
	s_delay_alu instid0(SALU_CYCLE_1)
	s_xor_b32 s59, s98, s59
	s_mov_b32 exec_lo, s98
	s_cbranch_execz .LBB95_527
; %bb.524:                              ;   in Loop: Header=BB95_3 Depth=1
	s_mov_b32 s98, exec_lo
	v_readlane_b32 s99, v208, 30
	s_and_b32 s99, s98, s99
	s_delay_alu instid0(SALU_CYCLE_1)
	s_mov_b32 exec_lo, s99
; %bb.525:                              ;   in Loop: Header=BB95_3 Depth=1
	v_dual_mov_b32 v3, v2 :: v_dual_mov_b32 v4, v2
	v_mov_b32_e32 v5, v2
	ds_store_b128 v129, v[2:5]
; %bb.526:                              ;   in Loop: Header=BB95_3 Depth=1
	s_or_b32 exec_lo, exec_lo, s98
.LBB95_527:                             ;   in Loop: Header=BB95_3 Depth=1
	s_and_not1_saveexec_b32 s59, s59
	s_cbranch_execz .LBB95_533
; %bb.528:                              ;   in Loop: Header=BB95_3 Depth=1
	v_lshl_add_u64 v[4:5], v[28:29], 4, s[40:41]
                                        ; implicit-def: $vgpr18_vgpr19
	global_load_b128 v[14:17], v[4:5], off
	s_wait_loadcnt 0x0
	v_cmp_ngt_f64_e64 s98, |v[14:15]|, |v[16:17]|
	s_and_saveexec_b32 s99, s98
	s_delay_alu instid0(SALU_CYCLE_1)
	s_xor_b32 s98, exec_lo, s99
	s_cbranch_execz .LBB95_530
; %bb.529:                              ;   in Loop: Header=BB95_3 Depth=1
	v_div_scale_f64 v[4:5], null, v[16:17], v[16:17], v[14:15]
	v_div_scale_f64 v[38:39], vcc_lo, v[14:15], v[16:17], v[14:15]
	s_delay_alu instid0(VALU_DEP_2) | instskip(SKIP_1) | instid1(TRANS32_DEP_1)
	v_rcp_f64_e32 v[18:19], v[4:5]
	v_nop
	v_fma_f64 v[20:21], -v[4:5], v[18:19], 1.0
	s_delay_alu instid0(VALU_DEP_1) | instskip(NEXT) | instid1(VALU_DEP_1)
	v_fmac_f64_e32 v[18:19], v[18:19], v[20:21]
	v_fma_f64 v[20:21], -v[4:5], v[18:19], 1.0
	s_delay_alu instid0(VALU_DEP_1) | instskip(NEXT) | instid1(VALU_DEP_1)
	v_fmac_f64_e32 v[18:19], v[18:19], v[20:21]
	v_mul_f64_e32 v[20:21], v[38:39], v[18:19]
	s_delay_alu instid0(VALU_DEP_1) | instskip(NEXT) | instid1(VALU_DEP_1)
	v_fma_f64 v[4:5], -v[4:5], v[20:21], v[38:39]
	v_div_fmas_f64 v[4:5], v[4:5], v[18:19], v[20:21]
	s_delay_alu instid0(VALU_DEP_1) | instskip(NEXT) | instid1(VALU_DEP_1)
	v_div_fixup_f64 v[4:5], v[4:5], v[16:17], v[14:15]
	v_fmac_f64_e32 v[16:17], v[14:15], v[4:5]
	s_delay_alu instid0(VALU_DEP_1) | instskip(NEXT) | instid1(VALU_DEP_1)
	v_div_scale_f64 v[14:15], null, v[16:17], v[16:17], 1.0
	v_rcp_f64_e32 v[18:19], v[14:15]
	v_nop
	s_delay_alu instid0(TRANS32_DEP_1) | instskip(NEXT) | instid1(VALU_DEP_1)
	v_fma_f64 v[20:21], -v[14:15], v[18:19], 1.0
	v_fmac_f64_e32 v[18:19], v[18:19], v[20:21]
	s_delay_alu instid0(VALU_DEP_1) | instskip(NEXT) | instid1(VALU_DEP_1)
	v_fma_f64 v[20:21], -v[14:15], v[18:19], 1.0
	v_fmac_f64_e32 v[18:19], v[18:19], v[20:21]
	v_div_scale_f64 v[20:21], vcc_lo, 1.0, v[16:17], 1.0
	s_delay_alu instid0(VALU_DEP_1) | instskip(NEXT) | instid1(VALU_DEP_1)
	v_mul_f64_e32 v[38:39], v[20:21], v[18:19]
	v_fma_f64 v[14:15], -v[14:15], v[38:39], v[20:21]
	s_delay_alu instid0(VALU_DEP_1) | instskip(NEXT) | instid1(VALU_DEP_1)
	v_div_fmas_f64 v[14:15], v[14:15], v[18:19], v[38:39]
	v_div_fixup_f64 v[20:21], v[14:15], v[16:17], 1.0
                                        ; implicit-def: $vgpr14_vgpr15
	s_delay_alu instid0(VALU_DEP_1)
	v_mul_f64_e32 v[18:19], v[4:5], v[20:21]
	v_xor_b32_e32 v21, 0x80000000, v21
.LBB95_530:                             ;   in Loop: Header=BB95_3 Depth=1
	s_and_not1_saveexec_b32 s98, s98
	s_cbranch_execz .LBB95_532
; %bb.531:                              ;   in Loop: Header=BB95_3 Depth=1
	v_div_scale_f64 v[4:5], null, v[14:15], v[14:15], v[16:17]
	v_div_scale_f64 v[38:39], vcc_lo, v[16:17], v[14:15], v[16:17]
	s_delay_alu instid0(VALU_DEP_2) | instskip(SKIP_1) | instid1(TRANS32_DEP_1)
	v_rcp_f64_e32 v[18:19], v[4:5]
	v_nop
	v_fma_f64 v[20:21], -v[4:5], v[18:19], 1.0
	s_delay_alu instid0(VALU_DEP_1) | instskip(NEXT) | instid1(VALU_DEP_1)
	v_fmac_f64_e32 v[18:19], v[18:19], v[20:21]
	v_fma_f64 v[20:21], -v[4:5], v[18:19], 1.0
	s_delay_alu instid0(VALU_DEP_1) | instskip(NEXT) | instid1(VALU_DEP_1)
	v_fmac_f64_e32 v[18:19], v[18:19], v[20:21]
	v_mul_f64_e32 v[20:21], v[38:39], v[18:19]
	s_delay_alu instid0(VALU_DEP_1) | instskip(NEXT) | instid1(VALU_DEP_1)
	v_fma_f64 v[4:5], -v[4:5], v[20:21], v[38:39]
	v_div_fmas_f64 v[4:5], v[4:5], v[18:19], v[20:21]
	s_delay_alu instid0(VALU_DEP_1) | instskip(NEXT) | instid1(VALU_DEP_1)
	v_div_fixup_f64 v[4:5], v[4:5], v[14:15], v[16:17]
	v_fmac_f64_e32 v[14:15], v[16:17], v[4:5]
	s_delay_alu instid0(VALU_DEP_1) | instskip(NEXT) | instid1(VALU_DEP_1)
	v_div_scale_f64 v[16:17], null, v[14:15], v[14:15], 1.0
	v_rcp_f64_e32 v[18:19], v[16:17]
	v_nop
	s_delay_alu instid0(TRANS32_DEP_1) | instskip(NEXT) | instid1(VALU_DEP_1)
	v_fma_f64 v[20:21], -v[16:17], v[18:19], 1.0
	v_fmac_f64_e32 v[18:19], v[18:19], v[20:21]
	s_delay_alu instid0(VALU_DEP_1) | instskip(NEXT) | instid1(VALU_DEP_1)
	v_fma_f64 v[20:21], -v[16:17], v[18:19], 1.0
	v_fmac_f64_e32 v[18:19], v[18:19], v[20:21]
	v_div_scale_f64 v[20:21], vcc_lo, 1.0, v[14:15], 1.0
	s_delay_alu instid0(VALU_DEP_1) | instskip(NEXT) | instid1(VALU_DEP_1)
	v_mul_f64_e32 v[38:39], v[20:21], v[18:19]
	v_fma_f64 v[16:17], -v[16:17], v[38:39], v[20:21]
	s_delay_alu instid0(VALU_DEP_1) | instskip(NEXT) | instid1(VALU_DEP_1)
	v_div_fmas_f64 v[16:17], v[16:17], v[18:19], v[38:39]
	v_div_fixup_f64 v[18:19], v[16:17], v[14:15], 1.0
	s_delay_alu instid0(VALU_DEP_1)
	v_mul_f64_e64 v[20:21], v[4:5], -v[18:19]
.LBB95_532:                             ;   in Loop: Header=BB95_3 Depth=1
	s_or_b32 exec_lo, exec_lo, s98
	ds_store_b128 v129, v[18:21]
.LBB95_533:                             ;   in Loop: Header=BB95_3 Depth=1
	s_or_b32 exec_lo, exec_lo, s59
	s_and_not1_saveexec_b32 s58, s58
	s_cbranch_execz .LBB95_19
.LBB95_534:                             ;   in Loop: Header=BB95_3 Depth=1
	v_lshl_add_u64 v[4:5], v[28:29], 4, s[40:41]
	global_load_b128 v[14:17], v[4:5], off
	s_wait_loadcnt 0x0
	v_xor_b32_e32 v15, 0x80000000, v15
	v_xor_b32_e32 v17, 0x80000000, v17
	ds_store_b128 v129, v[14:17]
	s_or_b32 exec_lo, exec_lo, s58
	s_and_saveexec_b32 s58, s97
	s_delay_alu instid0(SALU_CYCLE_1)
	s_xor_b32 s58, exec_lo, s58
	s_cbranch_execz .LBB95_20
.LBB95_535:                             ;   in Loop: Header=BB95_3 Depth=1
	s_mov_b32 s59, exec_lo
	v_readlane_b32 s98, v208, 18
	s_and_b32 s98, s59, s98
	s_delay_alu instid0(SALU_CYCLE_1)
	s_xor_b32 s59, s98, s59
	s_mov_b32 exec_lo, s98
	s_cbranch_execz .LBB95_539
; %bb.536:                              ;   in Loop: Header=BB95_3 Depth=1
	s_mov_b32 s98, exec_lo
	v_readlane_b32 s99, v208, 31
	s_and_b32 s99, s98, s99
	s_delay_alu instid0(SALU_CYCLE_1)
	s_mov_b32 exec_lo, s99
; %bb.537:                              ;   in Loop: Header=BB95_3 Depth=1
	v_dual_mov_b32 v3, v2 :: v_dual_mov_b32 v4, v2
	v_mov_b32_e32 v5, v2
	ds_store_b128 v148, v[2:5]
; %bb.538:                              ;   in Loop: Header=BB95_3 Depth=1
	s_or_b32 exec_lo, exec_lo, s98
.LBB95_539:                             ;   in Loop: Header=BB95_3 Depth=1
	s_and_not1_saveexec_b32 s59, s59
	s_cbranch_execz .LBB95_545
; %bb.540:                              ;   in Loop: Header=BB95_3 Depth=1
	v_lshl_add_u64 v[4:5], v[30:31], 4, s[40:41]
                                        ; implicit-def: $vgpr18_vgpr19
	global_load_b128 v[14:17], v[4:5], off
	s_wait_loadcnt 0x0
	v_cmp_ngt_f64_e64 s98, |v[14:15]|, |v[16:17]|
	s_and_saveexec_b32 s99, s98
	s_delay_alu instid0(SALU_CYCLE_1)
	s_xor_b32 s98, exec_lo, s99
	s_cbranch_execz .LBB95_542
; %bb.541:                              ;   in Loop: Header=BB95_3 Depth=1
	v_div_scale_f64 v[4:5], null, v[16:17], v[16:17], v[14:15]
	v_div_scale_f64 v[38:39], vcc_lo, v[14:15], v[16:17], v[14:15]
	s_delay_alu instid0(VALU_DEP_2) | instskip(SKIP_1) | instid1(TRANS32_DEP_1)
	v_rcp_f64_e32 v[18:19], v[4:5]
	v_nop
	v_fma_f64 v[20:21], -v[4:5], v[18:19], 1.0
	s_delay_alu instid0(VALU_DEP_1) | instskip(NEXT) | instid1(VALU_DEP_1)
	v_fmac_f64_e32 v[18:19], v[18:19], v[20:21]
	v_fma_f64 v[20:21], -v[4:5], v[18:19], 1.0
	s_delay_alu instid0(VALU_DEP_1) | instskip(NEXT) | instid1(VALU_DEP_1)
	v_fmac_f64_e32 v[18:19], v[18:19], v[20:21]
	v_mul_f64_e32 v[20:21], v[38:39], v[18:19]
	s_delay_alu instid0(VALU_DEP_1) | instskip(NEXT) | instid1(VALU_DEP_1)
	v_fma_f64 v[4:5], -v[4:5], v[20:21], v[38:39]
	v_div_fmas_f64 v[4:5], v[4:5], v[18:19], v[20:21]
	s_delay_alu instid0(VALU_DEP_1) | instskip(NEXT) | instid1(VALU_DEP_1)
	v_div_fixup_f64 v[4:5], v[4:5], v[16:17], v[14:15]
	v_fmac_f64_e32 v[16:17], v[14:15], v[4:5]
	s_delay_alu instid0(VALU_DEP_1) | instskip(NEXT) | instid1(VALU_DEP_1)
	v_div_scale_f64 v[14:15], null, v[16:17], v[16:17], 1.0
	v_rcp_f64_e32 v[18:19], v[14:15]
	v_nop
	s_delay_alu instid0(TRANS32_DEP_1) | instskip(NEXT) | instid1(VALU_DEP_1)
	v_fma_f64 v[20:21], -v[14:15], v[18:19], 1.0
	v_fmac_f64_e32 v[18:19], v[18:19], v[20:21]
	s_delay_alu instid0(VALU_DEP_1) | instskip(NEXT) | instid1(VALU_DEP_1)
	v_fma_f64 v[20:21], -v[14:15], v[18:19], 1.0
	v_fmac_f64_e32 v[18:19], v[18:19], v[20:21]
	v_div_scale_f64 v[20:21], vcc_lo, 1.0, v[16:17], 1.0
	s_delay_alu instid0(VALU_DEP_1) | instskip(NEXT) | instid1(VALU_DEP_1)
	v_mul_f64_e32 v[38:39], v[20:21], v[18:19]
	v_fma_f64 v[14:15], -v[14:15], v[38:39], v[20:21]
	s_delay_alu instid0(VALU_DEP_1) | instskip(NEXT) | instid1(VALU_DEP_1)
	v_div_fmas_f64 v[14:15], v[14:15], v[18:19], v[38:39]
	v_div_fixup_f64 v[20:21], v[14:15], v[16:17], 1.0
                                        ; implicit-def: $vgpr14_vgpr15
	s_delay_alu instid0(VALU_DEP_1)
	v_mul_f64_e32 v[18:19], v[4:5], v[20:21]
	v_xor_b32_e32 v21, 0x80000000, v21
.LBB95_542:                             ;   in Loop: Header=BB95_3 Depth=1
	s_and_not1_saveexec_b32 s98, s98
	s_cbranch_execz .LBB95_544
; %bb.543:                              ;   in Loop: Header=BB95_3 Depth=1
	v_div_scale_f64 v[4:5], null, v[14:15], v[14:15], v[16:17]
	v_div_scale_f64 v[38:39], vcc_lo, v[16:17], v[14:15], v[16:17]
	s_delay_alu instid0(VALU_DEP_2) | instskip(SKIP_1) | instid1(TRANS32_DEP_1)
	v_rcp_f64_e32 v[18:19], v[4:5]
	v_nop
	v_fma_f64 v[20:21], -v[4:5], v[18:19], 1.0
	s_delay_alu instid0(VALU_DEP_1) | instskip(NEXT) | instid1(VALU_DEP_1)
	v_fmac_f64_e32 v[18:19], v[18:19], v[20:21]
	v_fma_f64 v[20:21], -v[4:5], v[18:19], 1.0
	s_delay_alu instid0(VALU_DEP_1) | instskip(NEXT) | instid1(VALU_DEP_1)
	v_fmac_f64_e32 v[18:19], v[18:19], v[20:21]
	v_mul_f64_e32 v[20:21], v[38:39], v[18:19]
	s_delay_alu instid0(VALU_DEP_1) | instskip(NEXT) | instid1(VALU_DEP_1)
	v_fma_f64 v[4:5], -v[4:5], v[20:21], v[38:39]
	v_div_fmas_f64 v[4:5], v[4:5], v[18:19], v[20:21]
	s_delay_alu instid0(VALU_DEP_1) | instskip(NEXT) | instid1(VALU_DEP_1)
	v_div_fixup_f64 v[4:5], v[4:5], v[14:15], v[16:17]
	v_fmac_f64_e32 v[14:15], v[16:17], v[4:5]
	s_delay_alu instid0(VALU_DEP_1) | instskip(NEXT) | instid1(VALU_DEP_1)
	v_div_scale_f64 v[16:17], null, v[14:15], v[14:15], 1.0
	v_rcp_f64_e32 v[18:19], v[16:17]
	v_nop
	s_delay_alu instid0(TRANS32_DEP_1) | instskip(NEXT) | instid1(VALU_DEP_1)
	v_fma_f64 v[20:21], -v[16:17], v[18:19], 1.0
	v_fmac_f64_e32 v[18:19], v[18:19], v[20:21]
	s_delay_alu instid0(VALU_DEP_1) | instskip(NEXT) | instid1(VALU_DEP_1)
	v_fma_f64 v[20:21], -v[16:17], v[18:19], 1.0
	v_fmac_f64_e32 v[18:19], v[18:19], v[20:21]
	v_div_scale_f64 v[20:21], vcc_lo, 1.0, v[14:15], 1.0
	s_delay_alu instid0(VALU_DEP_1) | instskip(NEXT) | instid1(VALU_DEP_1)
	v_mul_f64_e32 v[38:39], v[20:21], v[18:19]
	v_fma_f64 v[16:17], -v[16:17], v[38:39], v[20:21]
	s_delay_alu instid0(VALU_DEP_1) | instskip(NEXT) | instid1(VALU_DEP_1)
	v_div_fmas_f64 v[16:17], v[16:17], v[18:19], v[38:39]
	v_div_fixup_f64 v[18:19], v[16:17], v[14:15], 1.0
	s_delay_alu instid0(VALU_DEP_1)
	v_mul_f64_e64 v[20:21], v[4:5], -v[18:19]
.LBB95_544:                             ;   in Loop: Header=BB95_3 Depth=1
	s_or_b32 exec_lo, exec_lo, s98
	ds_store_b128 v148, v[18:21]
.LBB95_545:                             ;   in Loop: Header=BB95_3 Depth=1
	s_or_b32 exec_lo, exec_lo, s59
	s_and_not1_saveexec_b32 s58, s58
	s_cbranch_execnz .LBB95_21
	s_branch .LBB95_22
.LBB95_546:                             ;   in Loop: Header=BB95_3 Depth=1
	s_or_b32 exec_lo, exec_lo, vcc_lo
	s_delay_alu instid0(SALU_CYCLE_1)
	s_and_b32 vcc_lo, exec_lo, s59
	s_cbranch_vccnz .LBB95_484
.LBB95_547:                             ;   in Loop: Header=BB95_3 Depth=1
	s_delay_alu instid0(VALU_DEP_1) | instskip(NEXT) | instid1(VALU_DEP_3)
	v_mov_b64_e32 v[16:17], v[4:5]
	v_mov_b64_e32 v[14:15], v[36:37]
	s_and_saveexec_b32 s59, s58
	s_cbranch_execnz .LBB95_497
	s_branch .LBB95_498
.LBB95_548:                             ;   in Loop: Header=BB95_3 Depth=1
	s_and_not1_b32 s58, s58, exec_lo
	s_and_b32 s98, s3, exec_lo
	s_delay_alu instid0(SALU_CYCLE_1)
	s_or_b32 s58, s58, s98
	s_cbranch_execnz .LBB95_496
.LBB95_549:                             ;   in Loop: Header=BB95_3 Depth=1
	v_readlane_b32 s59, v208, 14
	s_and_not1_b32 s58, s58, exec_lo
	s_and_b32 s59, s59, exec_lo
	s_delay_alu instid0(SALU_CYCLE_1) | instskip(NEXT) | instid1(SALU_CYCLE_1)
	s_or_b32 s58, s58, s59
	s_and_saveexec_b32 s59, s58
	s_cbranch_execnz .LBB95_497
	s_branch .LBB95_498
.LBB95_550:                             ;   in Loop: Header=BB95_3 Depth=1
	ds_load_b128 v[18:21], v44 offset:16
	ds_load_b128 v[202:205], v51 offset:576
	s_wait_dscnt 0x0
	v_mul_f64_e32 v[4:5], v[20:21], v[204:205]
	s_delay_alu instid0(VALU_DEP_1) | instskip(SKIP_1) | instid1(VALU_DEP_2)
	v_fma_f64 v[4:5], v[18:19], v[202:203], -v[4:5]
	v_mul_f64_e32 v[18:19], v[18:19], v[204:205]
	v_add_f64_e32 v[14:15], v[14:15], v[4:5]
	s_delay_alu instid0(VALU_DEP_2) | instskip(NEXT) | instid1(VALU_DEP_1)
	v_fmac_f64_e32 v[18:19], v[20:21], v[202:203]
	v_add_f64_e32 v[16:17], v[16:17], v[18:19]
	s_or_b32 exec_lo, exec_lo, s41
	s_and_saveexec_b32 s41, s12
	s_cbranch_execz .LBB95_45
.LBB95_551:                             ;   in Loop: Header=BB95_3 Depth=1
	ds_load_b128 v[18:21], v44 offset:32
	ds_load_b128 v[202:205], v50 offset:1088
	s_wait_dscnt 0x0
	v_mul_f64_e32 v[4:5], v[20:21], v[204:205]
	s_delay_alu instid0(VALU_DEP_1) | instskip(SKIP_1) | instid1(VALU_DEP_2)
	v_fma_f64 v[4:5], v[18:19], v[202:203], -v[4:5]
	v_mul_f64_e32 v[18:19], v[18:19], v[204:205]
	v_add_f64_e32 v[14:15], v[14:15], v[4:5]
	s_delay_alu instid0(VALU_DEP_2) | instskip(NEXT) | instid1(VALU_DEP_1)
	v_fmac_f64_e32 v[18:19], v[20:21], v[202:203]
	v_add_f64_e32 v[16:17], v[16:17], v[18:19]
	s_or_b32 exec_lo, exec_lo, s41
	s_and_saveexec_b32 s41, s2
	s_cbranch_execnz .LBB95_46
	s_branch .LBB95_47
.LBB95_552:                             ;   in Loop: Header=BB95_3 Depth=1
	ds_load_b128 v[18:21], v52 offset:16
	ds_load_b128 v[202:205], v57 offset:640
	s_wait_dscnt 0x0
	v_mul_f64_e32 v[4:5], v[20:21], v[204:205]
	s_delay_alu instid0(VALU_DEP_1) | instskip(SKIP_1) | instid1(VALU_DEP_2)
	v_fma_f64 v[4:5], v[18:19], v[202:203], -v[4:5]
	v_mul_f64_e32 v[18:19], v[18:19], v[204:205]
	v_add_f64_e32 v[14:15], v[14:15], v[4:5]
	s_delay_alu instid0(VALU_DEP_2) | instskip(NEXT) | instid1(VALU_DEP_1)
	v_fmac_f64_e32 v[18:19], v[20:21], v[202:203]
	v_add_f64_e32 v[16:17], v[16:17], v[18:19]
	s_or_b32 exec_lo, exec_lo, s41
	s_and_saveexec_b32 s41, s14
	s_cbranch_execz .LBB95_87
.LBB95_553:                             ;   in Loop: Header=BB95_3 Depth=1
	ds_load_b128 v[18:21], v52 offset:32
	ds_load_b128 v[202:205], v57 offset:1152
	s_wait_dscnt 0x0
	v_mul_f64_e32 v[4:5], v[20:21], v[204:205]
	s_delay_alu instid0(VALU_DEP_1) | instskip(SKIP_1) | instid1(VALU_DEP_2)
	v_fma_f64 v[4:5], v[18:19], v[202:203], -v[4:5]
	v_mul_f64_e32 v[18:19], v[18:19], v[204:205]
	v_add_f64_e32 v[14:15], v[14:15], v[4:5]
	s_delay_alu instid0(VALU_DEP_2) | instskip(NEXT) | instid1(VALU_DEP_1)
	v_fmac_f64_e32 v[18:19], v[20:21], v[202:203]
	v_add_f64_e32 v[16:17], v[16:17], v[18:19]
	s_or_b32 exec_lo, exec_lo, s41
	s_and_saveexec_b32 s41, s15
	s_cbranch_execz .LBB95_88
.LBB95_554:                             ;   in Loop: Header=BB95_3 Depth=1
	ds_load_b128 v[18:21], v52 offset:48
	ds_load_b128 v[202:205], v57 offset:1664
	s_wait_dscnt 0x0
	v_mul_f64_e32 v[4:5], v[20:21], v[204:205]
	s_delay_alu instid0(VALU_DEP_1) | instskip(SKIP_1) | instid1(VALU_DEP_2)
	v_fma_f64 v[4:5], v[18:19], v[202:203], -v[4:5]
	v_mul_f64_e32 v[18:19], v[18:19], v[204:205]
	v_add_f64_e32 v[14:15], v[14:15], v[4:5]
	s_delay_alu instid0(VALU_DEP_2) | instskip(NEXT) | instid1(VALU_DEP_1)
	v_fmac_f64_e32 v[18:19], v[20:21], v[202:203]
	v_add_f64_e32 v[16:17], v[16:17], v[18:19]
	s_or_b32 exec_lo, exec_lo, s41
	s_and_saveexec_b32 s41, s16
	s_cbranch_execz .LBB95_89
.LBB95_555:                             ;   in Loop: Header=BB95_3 Depth=1
	ds_load_b128 v[18:21], v52 offset:64
	ds_load_b128 v[202:205], v56 offset:2176
	s_wait_dscnt 0x0
	v_mul_f64_e32 v[4:5], v[20:21], v[204:205]
	s_delay_alu instid0(VALU_DEP_1) | instskip(SKIP_1) | instid1(VALU_DEP_2)
	v_fma_f64 v[4:5], v[18:19], v[202:203], -v[4:5]
	v_mul_f64_e32 v[18:19], v[18:19], v[204:205]
	v_add_f64_e32 v[14:15], v[14:15], v[4:5]
	s_delay_alu instid0(VALU_DEP_2) | instskip(NEXT) | instid1(VALU_DEP_1)
	v_fmac_f64_e32 v[18:19], v[20:21], v[202:203]
	v_add_f64_e32 v[16:17], v[16:17], v[18:19]
	s_or_b32 exec_lo, exec_lo, s41
	s_and_saveexec_b32 s41, s17
	s_cbranch_execz .LBB95_90
.LBB95_556:                             ;   in Loop: Header=BB95_3 Depth=1
	ds_load_b128 v[18:21], v52 offset:80
	ds_load_b128 v[202:205], v57 offset:2688
	s_wait_dscnt 0x0
	v_mul_f64_e32 v[4:5], v[20:21], v[204:205]
	s_delay_alu instid0(VALU_DEP_1) | instskip(SKIP_1) | instid1(VALU_DEP_2)
	v_fma_f64 v[4:5], v[18:19], v[202:203], -v[4:5]
	v_mul_f64_e32 v[18:19], v[18:19], v[204:205]
	v_add_f64_e32 v[14:15], v[14:15], v[4:5]
	s_delay_alu instid0(VALU_DEP_2) | instskip(NEXT) | instid1(VALU_DEP_1)
	v_fmac_f64_e32 v[18:19], v[20:21], v[202:203]
	v_add_f64_e32 v[16:17], v[16:17], v[18:19]
	s_or_b32 exec_lo, exec_lo, s41
	s_and_saveexec_b32 s41, s4
	s_cbranch_execz .LBB95_91
.LBB95_557:                             ;   in Loop: Header=BB95_3 Depth=1
	ds_load_b128 v[18:21], v52 offset:96
	ds_load_b128 v[202:205], v56 offset:3200
	s_wait_dscnt 0x0
	v_mul_f64_e32 v[4:5], v[20:21], v[204:205]
	s_delay_alu instid0(VALU_DEP_1) | instskip(SKIP_1) | instid1(VALU_DEP_2)
	v_fma_f64 v[4:5], v[18:19], v[202:203], -v[4:5]
	v_mul_f64_e32 v[18:19], v[18:19], v[204:205]
	v_add_f64_e32 v[14:15], v[14:15], v[4:5]
	s_delay_alu instid0(VALU_DEP_2) | instskip(NEXT) | instid1(VALU_DEP_1)
	v_fmac_f64_e32 v[18:19], v[20:21], v[202:203]
	v_add_f64_e32 v[16:17], v[16:17], v[18:19]
	s_or_b32 exec_lo, exec_lo, s41
	s_and_saveexec_b32 s41, s12
	s_cbranch_execnz .LBB95_92
	s_branch .LBB95_93
.LBB95_558:                             ;   in Loop: Header=BB95_3 Depth=1
	ds_load_b128 v[18:21], v44 offset:4240
	ds_load_b128 v[202:205], v51 offset:4800
	s_wait_dscnt 0x0
	v_mul_f64_e32 v[4:5], v[20:21], v[204:205]
	s_delay_alu instid0(VALU_DEP_1) | instskip(SKIP_1) | instid1(VALU_DEP_2)
	v_fma_f64 v[4:5], v[18:19], v[202:203], -v[4:5]
	v_mul_f64_e32 v[18:19], v[18:19], v[204:205]
	v_add_f64_e32 v[14:15], v[14:15], v[4:5]
	s_delay_alu instid0(VALU_DEP_2) | instskip(NEXT) | instid1(VALU_DEP_1)
	v_fmac_f64_e32 v[18:19], v[20:21], v[202:203]
	v_add_f64_e32 v[16:17], v[16:17], v[18:19]
	s_or_b32 exec_lo, exec_lo, s41
	s_and_saveexec_b32 s41, s12
	s_cbranch_execz .LBB95_149
.LBB95_559:                             ;   in Loop: Header=BB95_3 Depth=1
	ds_load_b128 v[18:21], v44 offset:4256
	ds_load_b128 v[202:205], v50 offset:5312
	s_wait_dscnt 0x0
	v_mul_f64_e32 v[4:5], v[20:21], v[204:205]
	s_delay_alu instid0(VALU_DEP_1) | instskip(SKIP_1) | instid1(VALU_DEP_2)
	v_fma_f64 v[4:5], v[18:19], v[202:203], -v[4:5]
	v_mul_f64_e32 v[18:19], v[18:19], v[204:205]
	v_add_f64_e32 v[14:15], v[14:15], v[4:5]
	s_delay_alu instid0(VALU_DEP_2) | instskip(NEXT) | instid1(VALU_DEP_1)
	v_fmac_f64_e32 v[18:19], v[20:21], v[202:203]
	v_add_f64_e32 v[16:17], v[16:17], v[18:19]
	s_or_b32 exec_lo, exec_lo, s41
	s_and_saveexec_b32 s41, s2
	s_cbranch_execnz .LBB95_150
	s_branch .LBB95_151
.LBB95_560:                             ;   in Loop: Header=BB95_3 Depth=1
	ds_load_b128 v[18:21], v3 offset:176
	ds_load_b128 v[202:205], v173 offset:5888
	s_wait_dscnt 0x0
	v_mul_f64_e32 v[4:5], v[20:21], v[204:205]
	s_delay_alu instid0(VALU_DEP_1) | instskip(SKIP_1) | instid1(VALU_DEP_2)
	v_fma_f64 v[4:5], v[18:19], v[202:203], -v[4:5]
	v_mul_f64_e32 v[18:19], v[18:19], v[204:205]
	v_add_f64_e32 v[14:15], v[14:15], v[4:5]
	s_delay_alu instid0(VALU_DEP_2) | instskip(NEXT) | instid1(VALU_DEP_1)
	v_fmac_f64_e32 v[18:19], v[20:21], v[202:203]
	v_add_f64_e32 v[16:17], v[16:17], v[18:19]
	s_or_b32 exec_lo, exec_lo, s41
	s_and_saveexec_b32 s41, s5
	s_cbranch_execz .LBB95_211
.LBB95_561:                             ;   in Loop: Header=BB95_3 Depth=1
	ds_load_b128 v[18:21], v3 offset:192
	ds_load_b128 v[202:205], v173 offset:6400
	s_wait_dscnt 0x0
	v_mul_f64_e32 v[4:5], v[20:21], v[204:205]
	s_delay_alu instid0(VALU_DEP_1) | instskip(SKIP_1) | instid1(VALU_DEP_2)
	v_fma_f64 v[4:5], v[18:19], v[202:203], -v[4:5]
	v_mul_f64_e32 v[18:19], v[18:19], v[204:205]
	v_add_f64_e32 v[14:15], v[14:15], v[4:5]
	s_delay_alu instid0(VALU_DEP_2) | instskip(NEXT) | instid1(VALU_DEP_1)
	v_fmac_f64_e32 v[18:19], v[20:21], v[202:203]
	v_add_f64_e32 v[16:17], v[16:17], v[18:19]
	s_or_b32 exec_lo, exec_lo, s41
	s_and_saveexec_b32 s41, s14
	s_cbranch_execz .LBB95_212
.LBB95_562:                             ;   in Loop: Header=BB95_3 Depth=1
	ds_load_b128 v[18:21], v3 offset:208
	ds_load_b128 v[202:205], v173 offset:6912
	s_wait_dscnt 0x0
	v_mul_f64_e32 v[4:5], v[20:21], v[204:205]
	s_delay_alu instid0(VALU_DEP_1) | instskip(SKIP_1) | instid1(VALU_DEP_2)
	v_fma_f64 v[4:5], v[18:19], v[202:203], -v[4:5]
	v_mul_f64_e32 v[18:19], v[18:19], v[204:205]
	v_add_f64_e32 v[14:15], v[14:15], v[4:5]
	s_delay_alu instid0(VALU_DEP_2) | instskip(NEXT) | instid1(VALU_DEP_1)
	v_fmac_f64_e32 v[18:19], v[20:21], v[202:203]
	v_add_f64_e32 v[16:17], v[16:17], v[18:19]
	s_or_b32 exec_lo, exec_lo, s41
	s_and_saveexec_b32 s41, s16
	s_cbranch_execz .LBB95_213
.LBB95_563:                             ;   in Loop: Header=BB95_3 Depth=1
	ds_load_b128 v[18:21], v3 offset:224
	ds_load_b128 v[202:205], v173 offset:7424
	s_wait_dscnt 0x0
	v_mul_f64_e32 v[4:5], v[20:21], v[204:205]
	s_delay_alu instid0(VALU_DEP_1) | instskip(SKIP_1) | instid1(VALU_DEP_2)
	v_fma_f64 v[4:5], v[18:19], v[202:203], -v[4:5]
	v_mul_f64_e32 v[18:19], v[18:19], v[204:205]
	v_add_f64_e32 v[14:15], v[14:15], v[4:5]
	s_delay_alu instid0(VALU_DEP_2) | instskip(NEXT) | instid1(VALU_DEP_1)
	v_fmac_f64_e32 v[18:19], v[20:21], v[202:203]
	v_add_f64_e32 v[16:17], v[16:17], v[18:19]
	s_or_b32 exec_lo, exec_lo, s41
	s_and_saveexec_b32 s41, s4
	s_cbranch_execnz .LBB95_214
	s_branch .LBB95_215
.LBB95_564:                             ;   in Loop: Header=BB95_3 Depth=1
	ds_load_b128 v[18:21], v44 offset:8464
	ds_load_b128 v[202:205], v51 offset:9024
	s_wait_dscnt 0x0
	v_mul_f64_e32 v[4:5], v[20:21], v[204:205]
	s_delay_alu instid0(VALU_DEP_1) | instskip(SKIP_1) | instid1(VALU_DEP_2)
	v_fma_f64 v[4:5], v[18:19], v[202:203], -v[4:5]
	v_mul_f64_e32 v[18:19], v[18:19], v[204:205]
	v_add_f64_e32 v[14:15], v[14:15], v[4:5]
	s_delay_alu instid0(VALU_DEP_2) | instskip(NEXT) | instid1(VALU_DEP_1)
	v_fmac_f64_e32 v[18:19], v[20:21], v[202:203]
	v_add_f64_e32 v[16:17], v[16:17], v[18:19]
	s_or_b32 exec_lo, exec_lo, s41
	s_and_saveexec_b32 s41, s12
	s_cbranch_execz .LBB95_303
.LBB95_565:                             ;   in Loop: Header=BB95_3 Depth=1
	ds_load_b128 v[18:21], v44 offset:8480
	ds_load_b128 v[202:205], v50 offset:9536
	s_wait_dscnt 0x0
	v_mul_f64_e32 v[4:5], v[20:21], v[204:205]
	s_delay_alu instid0(VALU_DEP_1) | instskip(SKIP_1) | instid1(VALU_DEP_2)
	v_fma_f64 v[4:5], v[18:19], v[202:203], -v[4:5]
	v_mul_f64_e32 v[18:19], v[18:19], v[204:205]
	v_add_f64_e32 v[14:15], v[14:15], v[4:5]
	s_delay_alu instid0(VALU_DEP_2) | instskip(NEXT) | instid1(VALU_DEP_1)
	v_fmac_f64_e32 v[18:19], v[20:21], v[202:203]
	v_add_f64_e32 v[16:17], v[16:17], v[18:19]
	s_or_b32 exec_lo, exec_lo, s41
	s_and_saveexec_b32 s41, s2
	s_cbranch_execnz .LBB95_304
	s_branch .LBB95_305
.LBB95_566:                             ;   in Loop: Header=BB95_3 Depth=1
	ds_load_b128 v[18:21], v52 offset:8464
	ds_load_b128 v[202:205], v57 offset:9088
	s_wait_dscnt 0x0
	v_mul_f64_e32 v[4:5], v[20:21], v[204:205]
	s_delay_alu instid0(VALU_DEP_1) | instskip(SKIP_1) | instid1(VALU_DEP_2)
	v_fma_f64 v[4:5], v[18:19], v[202:203], -v[4:5]
	v_mul_f64_e32 v[18:19], v[18:19], v[204:205]
	v_add_f64_e32 v[14:15], v[14:15], v[4:5]
	s_delay_alu instid0(VALU_DEP_2) | instskip(NEXT) | instid1(VALU_DEP_1)
	v_fmac_f64_e32 v[18:19], v[20:21], v[202:203]
	v_add_f64_e32 v[16:17], v[16:17], v[18:19]
	s_or_b32 exec_lo, exec_lo, s41
	s_and_saveexec_b32 s41, s14
	s_cbranch_execz .LBB95_345
.LBB95_567:                             ;   in Loop: Header=BB95_3 Depth=1
	ds_load_b128 v[18:21], v52 offset:8480
	ds_load_b128 v[202:205], v57 offset:9600
	s_wait_dscnt 0x0
	v_mul_f64_e32 v[4:5], v[20:21], v[204:205]
	s_delay_alu instid0(VALU_DEP_1) | instskip(SKIP_1) | instid1(VALU_DEP_2)
	v_fma_f64 v[4:5], v[18:19], v[202:203], -v[4:5]
	v_mul_f64_e32 v[18:19], v[18:19], v[204:205]
	v_add_f64_e32 v[14:15], v[14:15], v[4:5]
	s_delay_alu instid0(VALU_DEP_2) | instskip(NEXT) | instid1(VALU_DEP_1)
	v_fmac_f64_e32 v[18:19], v[20:21], v[202:203]
	v_add_f64_e32 v[16:17], v[16:17], v[18:19]
	s_or_b32 exec_lo, exec_lo, s41
	s_and_saveexec_b32 s41, s15
	s_cbranch_execz .LBB95_346
.LBB95_568:                             ;   in Loop: Header=BB95_3 Depth=1
	ds_load_b128 v[18:21], v52 offset:8496
	ds_load_b128 v[202:205], v57 offset:10112
	s_wait_dscnt 0x0
	v_mul_f64_e32 v[4:5], v[20:21], v[204:205]
	s_delay_alu instid0(VALU_DEP_1) | instskip(SKIP_1) | instid1(VALU_DEP_2)
	v_fma_f64 v[4:5], v[18:19], v[202:203], -v[4:5]
	v_mul_f64_e32 v[18:19], v[18:19], v[204:205]
	v_add_f64_e32 v[14:15], v[14:15], v[4:5]
	s_delay_alu instid0(VALU_DEP_2) | instskip(NEXT) | instid1(VALU_DEP_1)
	v_fmac_f64_e32 v[18:19], v[20:21], v[202:203]
	v_add_f64_e32 v[16:17], v[16:17], v[18:19]
	s_or_b32 exec_lo, exec_lo, s41
	s_and_saveexec_b32 s41, s16
	s_cbranch_execz .LBB95_347
.LBB95_569:                             ;   in Loop: Header=BB95_3 Depth=1
	ds_load_b128 v[18:21], v52 offset:8512
	ds_load_b128 v[202:205], v56 offset:10624
	s_wait_dscnt 0x0
	v_mul_f64_e32 v[4:5], v[20:21], v[204:205]
	s_delay_alu instid0(VALU_DEP_1) | instskip(SKIP_1) | instid1(VALU_DEP_2)
	v_fma_f64 v[4:5], v[18:19], v[202:203], -v[4:5]
	v_mul_f64_e32 v[18:19], v[18:19], v[204:205]
	v_add_f64_e32 v[14:15], v[14:15], v[4:5]
	s_delay_alu instid0(VALU_DEP_2) | instskip(NEXT) | instid1(VALU_DEP_1)
	v_fmac_f64_e32 v[18:19], v[20:21], v[202:203]
	v_add_f64_e32 v[16:17], v[16:17], v[18:19]
	s_or_b32 exec_lo, exec_lo, s41
	s_and_saveexec_b32 s41, s17
	s_cbranch_execz .LBB95_348
.LBB95_570:                             ;   in Loop: Header=BB95_3 Depth=1
	ds_load_b128 v[18:21], v52 offset:8528
	ds_load_b128 v[202:205], v57 offset:11136
	s_wait_dscnt 0x0
	v_mul_f64_e32 v[4:5], v[20:21], v[204:205]
	s_delay_alu instid0(VALU_DEP_1) | instskip(SKIP_1) | instid1(VALU_DEP_2)
	v_fma_f64 v[4:5], v[18:19], v[202:203], -v[4:5]
	v_mul_f64_e32 v[18:19], v[18:19], v[204:205]
	v_add_f64_e32 v[14:15], v[14:15], v[4:5]
	s_delay_alu instid0(VALU_DEP_2) | instskip(NEXT) | instid1(VALU_DEP_1)
	v_fmac_f64_e32 v[18:19], v[20:21], v[202:203]
	v_add_f64_e32 v[16:17], v[16:17], v[18:19]
	s_or_b32 exec_lo, exec_lo, s41
	s_and_saveexec_b32 s41, s4
	s_cbranch_execz .LBB95_349
.LBB95_571:                             ;   in Loop: Header=BB95_3 Depth=1
	ds_load_b128 v[18:21], v52 offset:8544
	ds_load_b128 v[202:205], v56 offset:11648
	s_wait_dscnt 0x0
	v_mul_f64_e32 v[4:5], v[20:21], v[204:205]
	s_delay_alu instid0(VALU_DEP_1) | instskip(SKIP_1) | instid1(VALU_DEP_2)
	v_fma_f64 v[4:5], v[18:19], v[202:203], -v[4:5]
	v_mul_f64_e32 v[18:19], v[18:19], v[204:205]
	v_add_f64_e32 v[14:15], v[14:15], v[4:5]
	s_delay_alu instid0(VALU_DEP_2) | instskip(NEXT) | instid1(VALU_DEP_1)
	v_fmac_f64_e32 v[18:19], v[20:21], v[202:203]
	v_add_f64_e32 v[16:17], v[16:17], v[18:19]
	s_or_b32 exec_lo, exec_lo, s41
	s_and_saveexec_b32 s41, s12
	s_cbranch_execnz .LBB95_350
	s_branch .LBB95_351
.LBB95_572:                             ;   in Loop: Header=BB95_3 Depth=1
	ds_load_b128 v[18:21], v44 offset:12688
	ds_load_b128 v[202:205], v51 offset:13248
	s_wait_dscnt 0x0
	v_mul_f64_e32 v[4:5], v[20:21], v[204:205]
	s_delay_alu instid0(VALU_DEP_1) | instskip(SKIP_1) | instid1(VALU_DEP_2)
	v_fma_f64 v[4:5], v[18:19], v[202:203], -v[4:5]
	v_mul_f64_e32 v[18:19], v[18:19], v[204:205]
	v_add_f64_e32 v[14:15], v[14:15], v[4:5]
	s_delay_alu instid0(VALU_DEP_2) | instskip(NEXT) | instid1(VALU_DEP_1)
	v_fmac_f64_e32 v[18:19], v[20:21], v[202:203]
	v_add_f64_e32 v[16:17], v[16:17], v[18:19]
	s_or_b32 exec_lo, exec_lo, s41
	s_and_saveexec_b32 s41, s12
	s_cbranch_execz .LBB95_407
.LBB95_573:                             ;   in Loop: Header=BB95_3 Depth=1
	ds_load_b128 v[18:21], v44 offset:12704
	ds_load_b128 v[202:205], v50 offset:13760
	s_wait_dscnt 0x0
	v_mul_f64_e32 v[4:5], v[20:21], v[204:205]
	s_delay_alu instid0(VALU_DEP_1) | instskip(SKIP_1) | instid1(VALU_DEP_2)
	v_fma_f64 v[4:5], v[18:19], v[202:203], -v[4:5]
	v_mul_f64_e32 v[18:19], v[18:19], v[204:205]
	v_add_f64_e32 v[14:15], v[14:15], v[4:5]
	s_delay_alu instid0(VALU_DEP_2) | instskip(NEXT) | instid1(VALU_DEP_1)
	v_fmac_f64_e32 v[18:19], v[20:21], v[202:203]
	v_add_f64_e32 v[16:17], v[16:17], v[18:19]
	s_or_b32 exec_lo, exec_lo, s41
	s_and_saveexec_b32 s41, s2
	s_cbranch_execnz .LBB95_408
	s_branch .LBB95_409
.LBB95_574:
	s_endpgm
	.section	.rodata,"a",@progbits
	.p2align	6, 0x0
	.amdhsa_kernel _ZL19rocblas_trsv_deviceILi32ELi16ELb1ELb1ELb0ELb0E19rocblas_complex_numIdES1_PKS1_PS1_EviT7_lllT6_T8_lllPii
		.amdhsa_group_segment_fixed_size 25104
		.amdhsa_private_segment_fixed_size 0
		.amdhsa_kernarg_size 360
		.amdhsa_user_sgpr_count 2
		.amdhsa_user_sgpr_dispatch_ptr 0
		.amdhsa_user_sgpr_queue_ptr 0
		.amdhsa_user_sgpr_kernarg_segment_ptr 1
		.amdhsa_user_sgpr_dispatch_id 0
		.amdhsa_user_sgpr_kernarg_preload_length 0
		.amdhsa_user_sgpr_kernarg_preload_offset 0
		.amdhsa_user_sgpr_private_segment_size 0
		.amdhsa_wavefront_size32 1
		.amdhsa_uses_dynamic_stack 0
		.amdhsa_enable_private_segment 0
		.amdhsa_system_sgpr_workgroup_id_x 1
		.amdhsa_system_sgpr_workgroup_id_y 0
		.amdhsa_system_sgpr_workgroup_id_z 1
		.amdhsa_system_sgpr_workgroup_info 0
		.amdhsa_system_vgpr_workitem_id 1
		.amdhsa_next_free_vgpr 209
		.amdhsa_next_free_sgpr 105
		.amdhsa_named_barrier_count 0
		.amdhsa_reserve_vcc 1
		.amdhsa_float_round_mode_32 0
		.amdhsa_float_round_mode_16_64 0
		.amdhsa_float_denorm_mode_32 3
		.amdhsa_float_denorm_mode_16_64 3
		.amdhsa_fp16_overflow 0
		.amdhsa_memory_ordered 1
		.amdhsa_forward_progress 1
		.amdhsa_inst_pref_size 215
		.amdhsa_round_robin_scheduling 0
		.amdhsa_exception_fp_ieee_invalid_op 0
		.amdhsa_exception_fp_denorm_src 0
		.amdhsa_exception_fp_ieee_div_zero 0
		.amdhsa_exception_fp_ieee_overflow 0
		.amdhsa_exception_fp_ieee_underflow 0
		.amdhsa_exception_fp_ieee_inexact 0
		.amdhsa_exception_int_div_zero 0
	.end_amdhsa_kernel
	.section	.text._ZL19rocblas_trsv_deviceILi32ELi16ELb1ELb1ELb0ELb0E19rocblas_complex_numIdES1_PKS1_PS1_EviT7_lllT6_T8_lllPii,"axG",@progbits,_ZL19rocblas_trsv_deviceILi32ELi16ELb1ELb1ELb0ELb0E19rocblas_complex_numIdES1_PKS1_PS1_EviT7_lllT6_T8_lllPii,comdat
.Lfunc_end95:
	.size	_ZL19rocblas_trsv_deviceILi32ELi16ELb1ELb1ELb0ELb0E19rocblas_complex_numIdES1_PKS1_PS1_EviT7_lllT6_T8_lllPii, .Lfunc_end95-_ZL19rocblas_trsv_deviceILi32ELi16ELb1ELb1ELb0ELb0E19rocblas_complex_numIdES1_PKS1_PS1_EviT7_lllT6_T8_lllPii
                                        ; -- End function
	.set _ZL19rocblas_trsv_deviceILi32ELi16ELb1ELb1ELb0ELb0E19rocblas_complex_numIdES1_PKS1_PS1_EviT7_lllT6_T8_lllPii.num_vgpr, 209
	.set _ZL19rocblas_trsv_deviceILi32ELi16ELb1ELb1ELb0ELb0E19rocblas_complex_numIdES1_PKS1_PS1_EviT7_lllT6_T8_lllPii.num_agpr, 0
	.set _ZL19rocblas_trsv_deviceILi32ELi16ELb1ELb1ELb0ELb0E19rocblas_complex_numIdES1_PKS1_PS1_EviT7_lllT6_T8_lllPii.numbered_sgpr, 105
	.set _ZL19rocblas_trsv_deviceILi32ELi16ELb1ELb1ELb0ELb0E19rocblas_complex_numIdES1_PKS1_PS1_EviT7_lllT6_T8_lllPii.num_named_barrier, 0
	.set _ZL19rocblas_trsv_deviceILi32ELi16ELb1ELb1ELb0ELb0E19rocblas_complex_numIdES1_PKS1_PS1_EviT7_lllT6_T8_lllPii.private_seg_size, 0
	.set _ZL19rocblas_trsv_deviceILi32ELi16ELb1ELb1ELb0ELb0E19rocblas_complex_numIdES1_PKS1_PS1_EviT7_lllT6_T8_lllPii.uses_vcc, 1
	.set _ZL19rocblas_trsv_deviceILi32ELi16ELb1ELb1ELb0ELb0E19rocblas_complex_numIdES1_PKS1_PS1_EviT7_lllT6_T8_lllPii.uses_flat_scratch, 0
	.set _ZL19rocblas_trsv_deviceILi32ELi16ELb1ELb1ELb0ELb0E19rocblas_complex_numIdES1_PKS1_PS1_EviT7_lllT6_T8_lllPii.has_dyn_sized_stack, 0
	.set _ZL19rocblas_trsv_deviceILi32ELi16ELb1ELb1ELb0ELb0E19rocblas_complex_numIdES1_PKS1_PS1_EviT7_lllT6_T8_lllPii.has_recursion, 0
	.set _ZL19rocblas_trsv_deviceILi32ELi16ELb1ELb1ELb0ELb0E19rocblas_complex_numIdES1_PKS1_PS1_EviT7_lllT6_T8_lllPii.has_indirect_call, 0
	.section	.AMDGPU.csdata,"",@progbits
; Kernel info:
; codeLenInByte = 27460
; TotalNumSgprs: 107
; NumVgprs: 209
; ScratchSize: 0
; MemoryBound: 1
; FloatMode: 240
; IeeeMode: 1
; LDSByteSize: 25104 bytes/workgroup (compile time only)
; SGPRBlocks: 0
; VGPRBlocks: 13
; NumSGPRsForWavesPerEU: 107
; NumVGPRsForWavesPerEU: 209
; NamedBarCnt: 0
; Occupancy: 4
; WaveLimiterHint : 0
; COMPUTE_PGM_RSRC2:SCRATCH_EN: 0
; COMPUTE_PGM_RSRC2:USER_SGPR: 2
; COMPUTE_PGM_RSRC2:TRAP_HANDLER: 0
; COMPUTE_PGM_RSRC2:TGID_X_EN: 1
; COMPUTE_PGM_RSRC2:TGID_Y_EN: 0
; COMPUTE_PGM_RSRC2:TGID_Z_EN: 1
; COMPUTE_PGM_RSRC2:TIDIG_COMP_CNT: 1
	.section	.text._ZL19rocblas_trsv_deviceILi32ELi16ELb1ELb1ELb1ELb0E19rocblas_complex_numIdES1_PKS1_PS1_EviT7_lllT6_T8_lllPii,"axG",@progbits,_ZL19rocblas_trsv_deviceILi32ELi16ELb1ELb1ELb1ELb0E19rocblas_complex_numIdES1_PKS1_PS1_EviT7_lllT6_T8_lllPii,comdat
	.globl	_ZL19rocblas_trsv_deviceILi32ELi16ELb1ELb1ELb1ELb0E19rocblas_complex_numIdES1_PKS1_PS1_EviT7_lllT6_T8_lllPii ; -- Begin function _ZL19rocblas_trsv_deviceILi32ELi16ELb1ELb1ELb1ELb0E19rocblas_complex_numIdES1_PKS1_PS1_EviT7_lllT6_T8_lllPii
	.p2align	8
	.type	_ZL19rocblas_trsv_deviceILi32ELi16ELb1ELb1ELb1ELb0E19rocblas_complex_numIdES1_PKS1_PS1_EviT7_lllT6_T8_lllPii,@function
_ZL19rocblas_trsv_deviceILi32ELi16ELb1ELb1ELb1ELb0E19rocblas_complex_numIdES1_PKS1_PS1_EviT7_lllT6_T8_lllPii: ; @_ZL19rocblas_trsv_deviceILi32ELi16ELb1ELb1ELb1ELb0E19rocblas_complex_numIdES1_PKS1_PS1_EviT7_lllT6_T8_lllPii
; %bb.0:
	s_load_b32 s35, s[0:1], 0x60
	s_bfe_u32 s2, ttmp6, 0x40014
	s_lshr_b32 s3, ttmp7, 16
	s_add_co_i32 s2, s2, 1
	s_bfe_u32 s4, ttmp6, 0x40008
	s_mul_i32 s2, s3, s2
	s_getreg_b32 s6, hwreg(HW_REG_IB_STS2, 6, 4)
	s_add_co_i32 s4, s4, s2
	s_cmp_eq_u32 s6, 0
	s_mov_b32 s53, 0
	s_cselect_b32 s52, s3, s4
	s_wait_kmcnt 0x0
	s_cmp_ge_u32 s52, s35
	s_cbranch_scc1 .LBB96_574
; %bb.1:
	s_clause 0x3
	s_load_b512 s[36:51], s[0:1], 0x8
	s_load_b32 s7, s[0:1], 0x74
	s_load_b32 s61, s[0:1], 0x68
	;; [unrolled: 1-line block ×3, first 2 shown]
	s_bfe_u32 s3, ttmp6, 0x4000c
	s_and_b32 s2, ttmp6, 15
	s_add_co_i32 s3, s3, 1
	v_bfe_u32 v40, v0, 10, 10
	s_mul_i32 s3, ttmp9, s3
	v_and_b32_e32 v22, 0x3ff, v0
	s_add_co_i32 s8, s2, s3
	v_dual_mov_b32 v2, 0 :: v_dual_lshrrev_b32 v12, 10, v0
	s_delay_alu instid0(VALU_DEP_2) | instskip(NEXT) | instid1(VALU_DEP_2)
	v_dual_lshlrev_b32 v1, 5, v22 :: v_dual_bitop2_b32 v13, 1, v0 bitop3:0x40
	v_dual_add_nc_u32 v9, 16, v40 :: v_dual_mov_b32 v25, v2
	v_mov_b32_e32 v23, v2
	v_lshl_add_u32 v3, v40, 5, v22
	s_delay_alu instid0(VALU_DEP_4)
	v_add_nc_u32_e32 v8, v40, v1
	s_wait_kmcnt 0x0
	s_lshl_b64 s[4:5], s[38:39], 4
	s_lshl_b64 s[2:3], s[50:51], 4
	s_cmp_eq_u32 s6, 0
	v_lshl_add_u32 v11, v9, 5, v22
	s_cselect_b32 s60, ttmp9, s8
	s_and_b32 s6, s7, 0xffff
	s_add_co_i32 s7, s54, -1
	s_ashr_i32 s55, s54, 31
	s_ashr_i32 s8, s7, 31
	s_lshr_b32 s9, s55, 27
	s_lshr_b32 s8, s8, 27
	s_add_co_i32 s9, s54, s9
	s_add_co_i32 s61, s61, -1
	s_add_co_i32 s7, s7, s8
	s_and_not1_b32 s9, s9, 31
	s_sub_co_i32 s93, s61, s60
	s_ashr_i32 s7, s7, 5
	s_sub_co_i32 s11, s54, s9
	s_cmp_eq_u32 s7, s93
	v_lshlrev_b32_e32 v15, 4, v13
	s_cselect_b32 s7, -1, 0
	s_cmp_lg_u32 s11, 0
	s_add_nc_u64 s[48:49], s[48:49], s[2:3]
	s_cselect_b32 s8, -1, 0
	s_add_nc_u64 s[50:51], s[36:37], s[4:5]
	s_and_b32 s14, s8, s7
	s_add_nc_u64 s[8:9], s[40:41], 1
	s_xor_b32 s62, s14, -1
	s_cmp_lg_u32 s60, 0
	v_cmp_gt_u32_e64 s4, 2, v22
	s_cselect_b32 s63, -1, 0
	s_lshl_b32 s12, s93, 5
	s_cmp_lt_i32 s60, 5
	v_dual_add_nc_u32 v10, s12, v40 :: v_dual_add_nc_u32 v4, s12, v22
	v_mad_nc_u64_u32 v[6:7], s8, s12, v[22:23]
	v_add_nc_u32_e32 v1, v9, v1
	s_cselect_b32 vcc_lo, -1, 0
	s_delay_alu instid0(VALU_DEP_3) | instskip(SKIP_3) | instid1(VALU_DEP_2)
	v_dual_add_nc_u32 v26, 32, v10 :: v_dual_ashrrev_i32 v5, 31, v4
	v_cndmask_b32_e32 v14, v3, v8, vcc_lo
	s_or_b32 vcc_lo, vcc_lo, s14
	s_ashr_i32 s13, s12, 31
	v_dual_ashrrev_i32 v27, 31, v26 :: v_dual_cndmask_b32 v11, v11, v1, vcc_lo
	v_dual_lshlrev_b32 v43, 4, v22 :: v_dual_lshrrev_b32 v1, 1, v3
	s_mul_i32 s2, s8, s13
	s_mul_i32 s3, s9, s12
	s_xor_b32 s64, vcc_lo, -1
	v_add3_u32 v7, s2, s3, v7
	v_cmp_gt_u32_e64 s2, 4, v3
	v_cmp_eq_u32_e32 vcc_lo, 1, v13
	v_lshl_add_u32 v23, v1, 4, 0x4000
	v_lshl_or_b32 v41, v1, 9, v15
	v_mul_u32_u24_e32 v42, 0x210, v1
	v_cmp_eq_u32_e64 s3, 0, v40
	v_dual_lshrrev_b32 v1, 2, v3 :: v_dual_bitop2_b32 v13, 3, v0 bitop3:0x40
	s_xor_b32 s5, vcc_lo, -1
	s_and_b32 s66, vcc_lo, s2
	s_and_b32 s67, s3, s4
	s_delay_alu instid0(VALU_DEP_1)
	v_lshlrev_b32_e32 v15, 4, v1
	v_mul_u32_u24_e32 v44, 0x210, v1
	v_cmp_gt_u32_e64 s4, 16, v3
	v_cmp_eq_u32_e32 vcc_lo, 0, v13
	s_and_b32 s65, s5, s2
	v_dual_lshlrev_b32 v47, 4, v13 :: v_dual_sub_nc_u32 v16, v44, v15
	v_cmp_ne_u32_e64 s5, 0, v13
	s_and_b32 s68, vcc_lo, s4
	v_cmp_eq_u32_e32 vcc_lo, 2, v13
	v_mad_u32_u24 v24, v40, s6, v22
	v_bitop3_b32 v8, v0, v12, 0x3ff bitop3:0xa8
	v_mad_u32_u24 v12, 0x1f0, v22, v43
	v_add_nc_u32_e32 v51, v16, v47
	v_cmp_eq_u32_e64 s6, 1, v13
	v_cmp_lt_u32_e64 s7, 1, v13
	s_and_b32 s69, s5, s4
	s_and_b32 s72, vcc_lo, s4
	v_cmp_eq_u32_e32 vcc_lo, 3, v13
	v_cmp_gt_u32_e64 s5, 4, v22
	v_and_b32_e32 v13, 7, v0
	v_mad_i32_i24 v48, 0xfffffe10, v22, v12
	v_lshl_or_b32 v50, v1, 9, v47
	s_and_b32 s70, s6, s4
	s_and_b32 s71, s7, s4
	v_dual_lshrrev_b32 v1, 3, v3 :: v_dual_lshlrev_b32 v53, 4, v13
	s_and_b32 s73, vcc_lo, s4
	s_and_b32 s74, s3, s5
	v_cmp_gt_u32_e64 s5, 64, v3
	v_cmp_eq_u32_e32 vcc_lo, 0, v13
	v_cmp_ne_u32_e64 s6, 0, v13
	v_cmp_eq_u32_e64 s7, 1, v13
	v_cmp_lt_u32_e64 s8, 1, v13
	v_add_nc_u32_e32 v49, 0x4000, v15
	v_mul_u32_u24_e32 v52, 0x210, v1
	v_mad_u32_u24 v16, 0x1f0, v22, v48
	v_lshlrev_b32_e32 v15, 4, v1
	v_cmp_eq_u32_e64 s9, 2, v13
	s_and_b32 s75, vcc_lo, s5
	s_and_b32 s76, s6, s5
	s_and_b32 s77, s7, s5
	;; [unrolled: 1-line block ×3, first 2 shown]
	v_cmp_lt_u32_e32 vcc_lo, 2, v13
	v_cmp_eq_u32_e64 s6, 3, v13
	v_cmp_lt_u32_e64 s7, 3, v13
	v_cmp_eq_u32_e64 s8, 4, v13
	v_dual_add_nc_u32 v54, 64, v16 :: v_dual_sub_nc_u32 v17, v52, v15
	s_and_b32 s79, s9, s5
	v_cmp_lt_u32_e64 s9, 4, v13
	s_and_b32 s80, vcc_lo, s5
	s_and_b32 s81, s6, s5
	s_and_b32 s82, s7, s5
	;; [unrolled: 1-line block ×3, first 2 shown]
	v_cmp_eq_u32_e32 vcc_lo, 5, v13
	v_cmp_lt_u32_e64 s6, 5, v13
	v_cmp_eq_u32_e64 s7, 6, v13
	v_cmp_eq_u32_e64 s8, 7, v13
	v_and_b32_e32 v13, 15, v0
	s_and_b32 s85, vcc_lo, s5
	s_and_b32 s86, s6, s5
	v_cmp_gt_u32_e64 s6, 0x100, v3
	s_and_b32 s87, s7, s5
	v_cmp_eq_u32_e32 vcc_lo, 0, v13
	s_and_b32 s88, s8, s5
	v_cmp_ne_u32_e64 s7, 0, v13
                                        ; implicit-def: $vgpr208 : SGPR spill to VGPR lane
	s_and_b32 s84, s9, s5
	v_cmp_gt_u32_e64 s9, 8, v22
	s_and_b32 s8, vcc_lo, s6
	v_cmp_eq_u32_e32 vcc_lo, 1, v13
	v_writelane_b32 v208, s8, 0
	s_and_b32 s7, s7, s6
	v_cmp_lt_u32_e64 s8, 1, v13
	s_and_b32 s89, s3, s9
	v_cmp_eq_u32_e64 s9, 2, v13
	v_writelane_b32 v208, s7, 1
	s_and_b32 s7, vcc_lo, s6
	v_cmp_lt_u32_e64 s10, 2, v13
	v_cmp_eq_u32_e32 vcc_lo, 3, v13
	v_mad_i32_i24 v81, 0xfffffe10, v22, v16
	v_writelane_b32 v208, s7, 2
	s_and_b32 s7, s8, s6
	v_cmp_eq_u32_e64 s8, 4, v13
	s_and_b32 s15, vcc_lo, s6
	v_cmp_lt_u32_e32 vcc_lo, 5, v13
	v_writelane_b32 v208, s7, 3
	s_and_b32 s7, s9, s6
	v_cmp_lt_u32_e64 s9, 4, v13
	v_dual_add_nc_u32 v45, 32, v12 :: v_dual_add_nc_u32 v46, 48, v12
	v_writelane_b32 v208, s7, 4
	s_and_b32 s7, s10, s6
	v_cmp_eq_u32_e64 s10, 5, v13
	v_add_nc_u32_e32 v58, 0x80, v12
	v_add_nc_u32_e32 v59, 0x90, v12
	v_writelane_b32 v208, s7, 5
	v_cmp_lt_u32_e64 s7, 3, v13
	v_add_nc_u32_e32 v60, 0xa0, v12
	v_add_nc_u32_e32 v61, 0xb0, v12
	;; [unrolled: 1-line block ×3, first 2 shown]
	v_writelane_b32 v208, s15, 6
	s_and_b32 s7, s7, s6
	s_and_b32 s15, vcc_lo, s6
	v_cmp_eq_u32_e32 vcc_lo, 8, v13
	v_add_nc_u32_e32 v63, 0xd0, v12
	v_writelane_b32 v208, s7, 7
	s_and_b32 s7, s8, s6
	v_cmp_lt_u32_e64 s8, 6, v13
	v_add_nc_u32_e32 v64, 0xe0, v12
	v_add_nc_u32_e32 v65, 0xf0, v12
	v_writelane_b32 v208, s7, 8
	s_and_b32 s7, s9, s6
	v_cmp_eq_u32_e64 s9, 7, v13
	v_add_nc_u32_e32 v68, 0x2120, v12
	v_add_nc_u32_e32 v69, 0x2130, v12
	v_writelane_b32 v208, s7, 9
	s_and_b32 s7, s10, s6
	v_cmp_lt_u32_e64 s10, 7, v13
	s_and_b32 s104, s9, s6
	v_cmp_lt_u32_e64 s9, 9, v13
	v_writelane_b32 v208, s7, 10
	v_cmp_eq_u32_e64 s7, 6, v13
	v_add_nc_u32_e32 v70, 0x2180, v12
	v_add_nc_u32_e32 v71, 0x2190, v12
	;; [unrolled: 1-line block ×3, first 2 shown]
	v_writelane_b32 v208, s15, 11
	s_and_b32 s7, s7, s6
	v_add_nc_u32_e32 v73, 0x21b0, v12
	v_add_nc_u32_e32 v74, 0x21c0, v12
	;; [unrolled: 1-line block ×3, first 2 shown]
	v_writelane_b32 v208, s7, 12
	s_and_b32 s7, s8, s6
	v_cmp_eq_u32_e64 s8, 9, v13
	v_add_nc_u32_e32 v76, 0x21e0, v12
	v_add_nc_u32_e32 v77, 0x21f0, v12
	v_writelane_b32 v208, s7, 13
	v_cmp_lt_u32_e64 s7, 8, v13
	v_mad_u32_u24 v12, 0x1f0, v22, v81
	s_and_b32 s18, vcc_lo, s6
	v_cmp_lt_u32_e32 vcc_lo, 10, v13
	s_and_b32 vcc_hi, s10, s6
	v_cmp_eq_u32_e64 s10, 10, v13
	s_and_b32 s19, s7, s6
	s_and_b32 s20, s8, s6
	;; [unrolled: 1-line block ×3, first 2 shown]
	v_cmp_eq_u32_e64 s7, 11, v13
	v_cmp_lt_u32_e64 s8, 11, v13
	v_cmp_eq_u32_e64 s9, 12, v13
	v_mad_i32_i24 v92, 0xfffffe10, v22, v12
	s_and_b32 s23, vcc_lo, s6
	v_cmp_eq_u32_e32 vcc_lo, 13, v13
	s_and_b32 s22, s10, s6
	v_cmp_lt_u32_e64 s10, 12, v13
	v_dual_add_nc_u32 v57, v17, v53 :: v_dual_lshlrev_b32 v0, 5, v3
	v_lshlrev_b32_e32 v67, 4, v13
	s_and_b32 s24, s7, s6
	s_and_b32 s25, s8, s6
	;; [unrolled: 1-line block ×3, first 2 shown]
	v_cmp_lt_u32_e64 s7, 13, v13
	v_cmp_eq_u32_e64 s8, 14, v13
	v_cmp_eq_u32_e64 s9, 15, v13
	v_mad_u32_u24 v13, 0x1f0, v22, v92
	s_and_b32 s28, vcc_lo, s6
	v_cmp_le_i32_e32 vcc_lo, s11, v22
	s_and_b32 s27, s10, s6
	s_movk_i32 s10, 0x3c00
	v_lshl_or_b32 v56, v1, 9, v53
	v_and_b32_e32 v66, 0xfffffe00, v0
	v_add_nc_u64_e32 v[0:1], s[12:13], v[24:25]
	v_mad_u32_u24 v25, 0x210, v22, s10
	v_cmp_gt_u32_e64 s10, 16, v22
	v_add_nc_u32_e32 v90, 0x860, v12
	v_add_nc_u32_e32 v91, 0x870, v12
	;; [unrolled: 1-line block ×12, first 2 shown]
	v_mad_i32_i24 v12, 0xfffffe10, v22, v13
	s_and_b32 s90, vcc_lo, s14
	s_and_b32 s30, s7, s6
	s_xor_b32 s7, s90, -1
	s_clause 0x1
	s_load_b64 s[56:57], s[0:1], 0x58
	s_load_b128 s[36:39], s[0:1], 0x48
	s_wait_xcnt 0x0
	v_cmp_gt_i32_e64 s0, s11, v22
	s_and_b32 s31, s8, s6
	s_and_b32 s8, s9, s6
	;; [unrolled: 1-line block ×3, first 2 shown]
	v_add_nc_u32_e32 v103, 0x18e0, v13
	v_add_nc_u32_e32 v104, 0x18f0, v13
	;; [unrolled: 1-line block ×4, first 2 shown]
	v_lshlrev_b32_e32 v13, 9, v22
	s_and_b32 s91, s3, s7
	v_add_nc_u32_e32 v107, 0x1cc0, v12
	v_add_nc_u32_e32 v108, 0x1ec0, v12
	;; [unrolled: 1-line block ×4, first 2 shown]
	v_dual_lshlrev_b32 v12, 4, v40 :: v_dual_sub_nc_u32 v146, 0, v13
	s_cmp_gt_i32 s60, 0
	v_add_nc_u32_e32 v10, 48, v10
	s_cselect_b32 s92, -1, 0
	s_and_b32 s0, s3, s0
	v_add_nc_u32_e32 v129, v13, v12
	v_writelane_b32 v208, s0, 14
	v_cmp_gt_i32_e64 s0, s54, v4
	v_cmp_gt_i32_e64 s1, s54, v26
	v_cmp_le_i32_e64 s7, s11, v9
	v_cmp_gt_u32_e64 s29, 0xf0, v3
	s_wait_kmcnt 0x0
	v_mul_u64_e32 v[0:1], s[36:37], v[0:1]
	v_mul_u64_e32 v[32:33], s[40:41], v[4:5]
	s_and_b32 s94, s1, s0
	v_cmp_gt_i32_e64 s1, s54, v10
	v_mul_u64_e32 v[34:35], s[36:37], v[4:5]
	v_mad_nc_u64_u32 v[28:29], s40, v40, v[6:7]
	v_mad_nc_u64_u32 v[30:31], s40, v9, v[6:7]
	v_add_nc_u32_e32 v128, 0x6000, v12
	s_and_b32 s95, s1, s0
	v_cmp_le_i32_e64 s1, s11, v40
	v_cmp_ne_u32_e64 s11, v22, v9
	s_delay_alu instid0(VALU_DEP_3)
	v_dual_add_nc_u32 v199, v128, v43 :: v_dual_bitop2_b32 v4, v9, v22 bitop3:0x54
	v_cmp_gt_u32_e64 s33, 32, v8
	s_or_b32 s10, s1, vcc_lo
	v_cmp_le_u32_e64 s1, v22, v40
	v_mad_u32 v29, s41, v40, v29
	v_mad_u32 v31, s41, v9, v31
	v_add_nc_u32_e32 v55, 0x4000, v15
	v_mad_i32_i24 v15, 0xfffffe10, v22, v13
	s_or_b32 s96, s10, s1
	s_or_b32 s10, s7, vcc_lo
	v_cmp_le_u32_e64 s7, v22, v9
	v_and_b32_e32 v167, -16, v3
	v_add_nc_u32_e32 v78, 0x70, v16
	v_add_nc_u32_e32 v79, 0x60, v16
	;; [unrolled: 1-line block ×3, first 2 shown]
	s_or_b32 s97, s10, s7
	v_cmp_ne_u32_e64 s10, v22, v40
	v_add_nc_u32_e32 v82, 0x10a0, v16
	v_add_nc_u32_e32 v83, 0x10b0, v16
	;; [unrolled: 1-line block ×4, first 2 shown]
	v_writelane_b32 v208, s10, 15
	s_or_b32 s10, vcc_lo, s10
	v_add_nc_u32_e32 v86, 0x2160, v16
	v_add_nc_u32_e32 v87, 0x2150, v16
	v_add_nc_u32_e32 v88, 0x31a0, v16
	v_writelane_b32 v208, s10, 16
	s_or_b32 s10, vcc_lo, s11
	v_add_nc_u32_e32 v89, 0x31b0, v16
	v_add_nc_u32_e32 v111, 0x2000, v15
	;; [unrolled: 1-line block ×3, first 2 shown]
	v_writelane_b32 v208, s11, 17
	v_add_nc_u32_e32 v113, 0x2400, v15
	v_add_nc_u32_e32 v114, 0x2600, v15
	;; [unrolled: 1-line block ×4, first 2 shown]
	v_writelane_b32 v208, s10, 18
	v_add_nc_u32_e32 v117, 0x2c00, v15
	v_add_nc_u32_e32 v118, 0x2e00, v15
	;; [unrolled: 1-line block ×4, first 2 shown]
	v_writelane_b32 v208, s29, 19
	v_cmp_gt_u32_e64 s29, 0xe0, v3
	v_add_nc_u32_e32 v121, 0x3400, v15
	v_add_nc_u32_e32 v122, 0x3600, v15
	;; [unrolled: 1-line block ×4, first 2 shown]
	v_writelane_b32 v208, s29, 20
	v_cmp_gt_u32_e64 s29, 0xd0, v3
	v_add_nc_u32_e32 v125, 0x3c00, v15
	v_add_nc_u32_e32 v126, 0x3e00, v15
	v_lshl_add_u32 v127, v40, 9, v15
	v_or_b32_e32 v130, 0x100, v13
	v_writelane_b32 v208, s29, 21
	v_cmp_gt_u32_e64 s29, 0xc0, v3
	v_or_b32_e32 v131, 0x110, v13
	v_or_b32_e32 v132, 0x120, v13
	v_or_b32_e32 v133, 0x130, v13
	v_or_b32_e32 v134, 0x140, v13
	v_writelane_b32 v208, s29, 22
	v_cmp_gt_u32_e64 s29, 0xb0, v3
	v_or_b32_e32 v135, 0x150, v13
	v_or_b32_e32 v136, 0x160, v13
	v_or_b32_e32 v137, 0x170, v13
	;; [unrolled: 6-line block ×4, first 2 shown]
	v_dual_lshlrev_b32 v147, 4, v14 :: v_dual_lshlrev_b32 v148, 4, v11
	v_writelane_b32 v208, s29, 25
	v_cmp_gt_u32_e64 s29, 0x80, v3
	v_add_nc_u32_e32 v149, 0x400, v48
	v_add_nc_u32_e32 v150, 0x600, v48
	v_add_nc_u32_e32 v151, 0x800, v48
	v_add_nc_u32_e32 v152, 0xe00, v48
	v_writelane_b32 v208, s29, 26
	v_cmp_gt_u32_e64 s29, 0x70, v3
	v_add_nc_u32_e32 v153, 0xc00, v48
	v_add_nc_u32_e32 v154, 0xa00, v48
	v_add_nc_u32_e32 v155, 0xc40, v92
	v_add_nc_u32_e32 v156, 0xe40, v92
	;; [unrolled: 6-line block ×4, first 2 shown]
	v_writelane_b32 v208, s29, 29
	v_add_nc_u32_e32 v165, 0x1480, v81
	v_add_nc_u32_e32 v166, 0x1680, v81
	;; [unrolled: 1-line block ×4, first 2 shown]
	v_writelane_b32 v208, s33, 30
	v_cmp_gt_u32_e64 s33, 32, v4
	v_add_nc_u32_e32 v170, 0x1c80, v81
	v_add_nc_u32_e32 v171, 0x1a80, v81
	;; [unrolled: 1-line block ×3, first 2 shown]
	v_or_b32_e32 v173, v66, v67
	v_add_nc_u32_e32 v174, 0x2500, v48
	v_add_nc_u32_e32 v175, 0x2700, v48
	;; [unrolled: 1-line block ×22, first 2 shown]
	v_lshl_add_u32 v196, v24, 4, 0x6000
	v_lshl_add_u32 v197, v3, 4, 0x4000
	v_add_nc_u32_e32 v198, 0x4000, v43
	v_mul_u32_u24_e32 v200, 0x210, v22
	v_cmp_gt_u32_e64 s10, 2, v3
	v_cmp_gt_u32_e64 s11, 12, v3
	;; [unrolled: 1-line block ×8, first 2 shown]
	v_cmp_eq_u32_e64 s29, 0, v8
	v_writelane_b32 v208, s33, 31
	v_cmp_eq_u32_e64 s33, 0, v24
	v_cmp_gt_u32_e64 s34, 32, v24
	s_add_co_i32 s93, s93, 1
                                        ; implicit-def: $vgpr6_vgpr7
                                        ; implicit-def: $vgpr10_vgpr11
	s_branch .LBB96_3
.LBB96_2:                               ;   in Loop: Header=BB96_3 Depth=1
	s_wait_xcnt 0x0
	s_or_b32 exec_lo, exec_lo, s40
	s_add_co_i32 s52, s52, 0x10000
	global_wb scope:SCOPE_DEV
	s_wait_storecnt 0x0
	global_inv scope:SCOPE_DEV
	s_cmp_lt_u32 s52, s35
	s_cbranch_scc0 .LBB96_574
.LBB96_3:                               ; =>This Loop Header: Depth=1
                                        ;     Child Loop BB96_453 Depth 2
                                        ;       Child Loop BB96_455 Depth 3
                                        ;     Child Loop BB96_486 Depth 2
	s_mul_u64 s[40:41], s[42:43], s[52:53]
	s_and_not1_b32 vcc_lo, exec_lo, s63
	s_lshl_b64 s[40:41], s[40:41], 4
	s_delay_alu instid0(SALU_CYCLE_1) | instskip(NEXT) | instid1(SALU_CYCLE_1)
	s_add_nc_u64 s[40:41], s[50:51], s[40:41]
	v_lshl_add_u64 v[36:37], v[32:33], 4, s[40:41]
	s_cbranch_vccnz .LBB96_9
; %bb.4:                                ;   in Loop: Header=BB96_3 Depth=1
	v_mov_b64_e32 v[12:13], 0
	v_mov_b64_e32 v[6:7], 0
	;; [unrolled: 1-line block ×3, first 2 shown]
	v_lshl_add_u64 v[4:5], v[26:27], 4, v[36:37]
	s_barrier_signal -1
	s_barrier_wait -1
	s_and_saveexec_b32 s58, s94
	s_cbranch_execz .LBB96_6
; %bb.5:                                ;   in Loop: Header=BB96_3 Depth=1
	global_load_b128 v[6:9], v[4:5], off
.LBB96_6:                               ;   in Loop: Header=BB96_3 Depth=1
	s_wait_xcnt 0x0
	s_or_b32 exec_lo, exec_lo, s58
	v_mov_b64_e32 v[10:11], 0
	s_wait_loadcnt 0x0
	s_barrier_signal -1
	s_barrier_wait -1
	s_and_saveexec_b32 s58, s95
	s_cbranch_execz .LBB96_8
; %bb.7:                                ;   in Loop: Header=BB96_3 Depth=1
	global_load_b128 v[10:13], v[4:5], off offset:256
.LBB96_8:                               ;   in Loop: Header=BB96_3 Depth=1
	s_wait_xcnt 0x0
	s_or_b32 exec_lo, exec_lo, s58
.LBB96_9:                               ;   in Loop: Header=BB96_3 Depth=1
	s_delay_alu instid0(SALU_CYCLE_1)
	s_and_not1_b32 vcc_lo, exec_lo, s62
	s_mov_b32 s58, -1
	s_cbranch_vccnz .LBB96_16
; %bb.10:                               ;   in Loop: Header=BB96_3 Depth=1
	s_and_saveexec_b32 s58, s1
	s_delay_alu instid0(SALU_CYCLE_1)
	s_xor_b32 s58, exec_lo, s58
	s_cbranch_execnz .LBB96_500
; %bb.11:                               ;   in Loop: Header=BB96_3 Depth=1
	s_and_not1_saveexec_b32 s58, s58
	s_cbranch_execnz .LBB96_511
.LBB96_12:                              ;   in Loop: Header=BB96_3 Depth=1
	s_or_b32 exec_lo, exec_lo, s58
	s_and_saveexec_b32 s58, s7
	s_delay_alu instid0(SALU_CYCLE_1)
	s_xor_b32 s58, exec_lo, s58
	s_cbranch_execnz .LBB96_512
.LBB96_13:                              ;   in Loop: Header=BB96_3 Depth=1
	s_and_not1_saveexec_b32 s58, s58
	s_cbranch_execz .LBB96_15
.LBB96_14:                              ;   in Loop: Header=BB96_3 Depth=1
	v_lshl_add_u64 v[4:5], v[30:31], 4, s[40:41]
	global_load_b128 v[14:17], v[4:5], off
	s_wait_loadcnt 0x0
	v_xor_b32_e32 v15, 0x80000000, v15
	ds_store_b128 v148, v[14:17]
.LBB96_15:                              ;   in Loop: Header=BB96_3 Depth=1
	s_or_b32 exec_lo, exec_lo, s58
	s_mov_b32 s58, 0
.LBB96_16:                              ;   in Loop: Header=BB96_3 Depth=1
	s_delay_alu instid0(SALU_CYCLE_1)
	s_and_b32 vcc_lo, exec_lo, s58
	s_cbranch_vccz .LBB96_23
; %bb.17:                               ;   in Loop: Header=BB96_3 Depth=1
	s_and_saveexec_b32 s58, s96
	s_delay_alu instid0(SALU_CYCLE_1)
	s_xor_b32 s58, exec_lo, s58
	s_cbranch_execnz .LBB96_523
; %bb.18:                               ;   in Loop: Header=BB96_3 Depth=1
	s_and_not1_saveexec_b32 s58, s58
	s_cbranch_execnz .LBB96_534
.LBB96_19:                              ;   in Loop: Header=BB96_3 Depth=1
	s_or_b32 exec_lo, exec_lo, s58
	s_and_saveexec_b32 s58, s97
	s_delay_alu instid0(SALU_CYCLE_1)
	s_xor_b32 s58, exec_lo, s58
	s_cbranch_execnz .LBB96_535
.LBB96_20:                              ;   in Loop: Header=BB96_3 Depth=1
	s_and_not1_saveexec_b32 s58, s58
	s_cbranch_execz .LBB96_22
.LBB96_21:                              ;   in Loop: Header=BB96_3 Depth=1
	v_lshl_add_u64 v[4:5], v[30:31], 4, s[40:41]
	global_load_b128 v[14:17], v[4:5], off
	s_wait_loadcnt 0x0
	v_xor_b32_e32 v15, 0x80000000, v15
	ds_store_b128 v148, v[14:17]
.LBB96_22:                              ;   in Loop: Header=BB96_3 Depth=1
	s_or_b32 exec_lo, exec_lo, s58
.LBB96_23:                              ;   in Loop: Header=BB96_3 Depth=1
	s_delay_alu instid0(SALU_CYCLE_1)
	s_and_not1_b32 vcc_lo, exec_lo, s64
	s_wait_loadcnt_dscnt 0x0
	s_barrier_signal -1
	s_barrier_wait -1
	s_cbranch_vccnz .LBB96_447
; %bb.24:                               ;   in Loop: Header=BB96_3 Depth=1
	s_and_saveexec_b32 s40, s29
	s_cbranch_execz .LBB96_26
; %bb.25:                               ;   in Loop: Header=BB96_3 Depth=1
	ds_load_b128 v[14:17], v2 offset:528
	ds_load_b128 v[18:21], v2
	s_wait_dscnt 0x0
	v_mul_f64_e32 v[4:5], v[14:15], v[20:21]
	v_mul_f64_e32 v[20:21], v[16:17], v[20:21]
	s_delay_alu instid0(VALU_DEP_2) | instskip(NEXT) | instid1(VALU_DEP_2)
	v_fmac_f64_e32 v[4:5], v[16:17], v[18:19]
	v_fma_f64 v[20:21], v[14:15], v[18:19], -v[20:21]
	ds_load_b128 v[14:17], v2 offset:16
	s_wait_dscnt 0x0
	v_mul_f64_e32 v[38:39], v[4:5], v[16:17]
	v_mul_f64_e32 v[18:19], v[20:21], v[16:17]
	s_delay_alu instid0(VALU_DEP_2) | instskip(NEXT) | instid1(VALU_DEP_2)
	v_fma_f64 v[16:17], v[14:15], v[20:21], -v[38:39]
	v_fmac_f64_e32 v[18:19], v[14:15], v[4:5]
	ds_store_b128 v2, v[16:19] offset:16
	ds_store_b128 v2, v[16:19] offset:512
.LBB96_26:                              ;   in Loop: Header=BB96_3 Depth=1
	s_or_b32 exec_lo, exec_lo, s40
	v_mov_b64_e32 v[16:17], 0
	v_mov_b64_e32 v[14:15], 0
	s_wait_dscnt 0x0
	s_barrier_signal -1
	s_barrier_wait -1
	s_and_saveexec_b32 s40, s2
	s_cbranch_execz .LBB96_30
; %bb.27:                               ;   in Loop: Header=BB96_3 Depth=1
	ds_load_b128 v[14:17], v42
	ds_load_b128 v[18:21], v41 offset:32
	s_wait_dscnt 0x0
	v_mul_f64_e32 v[4:5], v[16:17], v[20:21]
	v_mul_f64_e32 v[20:21], v[14:15], v[20:21]
	s_delay_alu instid0(VALU_DEP_2) | instskip(NEXT) | instid1(VALU_DEP_2)
	v_fma_f64 v[4:5], v[14:15], v[18:19], -v[4:5]
	v_fmac_f64_e32 v[20:21], v[16:17], v[18:19]
	s_delay_alu instid0(VALU_DEP_2) | instskip(NEXT) | instid1(VALU_DEP_2)
	v_add_f64_e32 v[14:15], 0, v[4:5]
	v_add_f64_e32 v[16:17], 0, v[20:21]
	s_and_saveexec_b32 s41, s10
	s_cbranch_execz .LBB96_29
; %bb.28:                               ;   in Loop: Header=BB96_3 Depth=1
	ds_load_b128 v[18:21], v2 offset:16
	ds_load_b128 v[202:205], v43 offset:544
	s_wait_dscnt 0x0
	v_mul_f64_e32 v[4:5], v[20:21], v[204:205]
	s_delay_alu instid0(VALU_DEP_1) | instskip(SKIP_1) | instid1(VALU_DEP_2)
	v_fma_f64 v[4:5], v[18:19], v[202:203], -v[4:5]
	v_mul_f64_e32 v[18:19], v[18:19], v[204:205]
	v_add_f64_e32 v[14:15], v[14:15], v[4:5]
	s_delay_alu instid0(VALU_DEP_2) | instskip(NEXT) | instid1(VALU_DEP_1)
	v_fmac_f64_e32 v[18:19], v[20:21], v[202:203]
	v_add_f64_e32 v[16:17], v[16:17], v[18:19]
.LBB96_29:                              ;   in Loop: Header=BB96_3 Depth=1
	s_or_b32 exec_lo, exec_lo, s41
	s_delay_alu instid0(VALU_DEP_2) | instskip(NEXT) | instid1(VALU_DEP_2)
	v_xor_b32_e32 v15, 0x80000000, v15
	v_xor_b32_e32 v17, 0x80000000, v17
.LBB96_30:                              ;   in Loop: Header=BB96_3 Depth=1
	s_or_b32 exec_lo, exec_lo, s40
	s_and_saveexec_b32 s40, s65
	s_cbranch_execz .LBB96_32
; %bb.31:                               ;   in Loop: Header=BB96_3 Depth=1
	ds_load_b128 v[18:21], v2 offset:1056
	s_wait_dscnt 0x0
	v_mul_f64_e32 v[4:5], v[16:17], v[20:21]
	v_mul_f64_e32 v[204:205], v[14:15], v[20:21]
	s_delay_alu instid0(VALU_DEP_2) | instskip(NEXT) | instid1(VALU_DEP_2)
	v_fma_f64 v[202:203], v[14:15], v[18:19], -v[4:5]
	v_fmac_f64_e32 v[204:205], v[16:17], v[18:19]
	s_delay_alu instid0(VALU_DEP_2) | instskip(NEXT) | instid1(VALU_DEP_2)
	v_mov_b64_e32 v[14:15], v[202:203]
	v_mov_b64_e32 v[16:17], v[204:205]
	ds_store_b128 v23, v[202:205]
.LBB96_32:                              ;   in Loop: Header=BB96_3 Depth=1
	s_or_b32 exec_lo, exec_lo, s40
	s_wait_dscnt 0x0
	s_barrier_signal -1
	s_barrier_wait -1
	s_and_saveexec_b32 s40, s66
	s_cbranch_execz .LBB96_34
; %bb.33:                               ;   in Loop: Header=BB96_3 Depth=1
	ds_load_b128 v[18:21], v23
	ds_load_b128 v[202:205], v2 offset:1072
	s_wait_dscnt 0x0
	v_mul_f64_e32 v[4:5], v[20:21], v[204:205]
	s_delay_alu instid0(VALU_DEP_1) | instskip(SKIP_1) | instid1(VALU_DEP_2)
	v_fma_f64 v[4:5], v[18:19], v[202:203], -v[4:5]
	v_mul_f64_e32 v[18:19], v[18:19], v[204:205]
	v_add_f64_e32 v[14:15], v[14:15], v[4:5]
	s_delay_alu instid0(VALU_DEP_2) | instskip(NEXT) | instid1(VALU_DEP_1)
	v_fmac_f64_e32 v[18:19], v[20:21], v[202:203]
	v_add_f64_e32 v[16:17], v[16:17], v[18:19]
.LBB96_34:                              ;   in Loop: Header=BB96_3 Depth=1
	s_or_b32 exec_lo, exec_lo, s40
	s_barrier_signal -1
	s_barrier_wait -1
	s_and_saveexec_b32 s40, s66
	s_cbranch_execz .LBB96_36
; %bb.35:                               ;   in Loop: Header=BB96_3 Depth=1
	ds_load_b128 v[18:21], v2 offset:1584
	s_wait_dscnt 0x0
	v_mul_f64_e32 v[4:5], v[16:17], v[20:21]
	v_mul_f64_e32 v[204:205], v[14:15], v[20:21]
	s_delay_alu instid0(VALU_DEP_2) | instskip(NEXT) | instid1(VALU_DEP_2)
	v_fma_f64 v[202:203], v[14:15], v[18:19], -v[4:5]
	v_fmac_f64_e32 v[204:205], v[16:17], v[18:19]
	s_delay_alu instid0(VALU_DEP_2) | instskip(NEXT) | instid1(VALU_DEP_2)
	v_mov_b64_e32 v[14:15], v[202:203]
	v_mov_b64_e32 v[16:17], v[204:205]
	ds_store_b128 v23, v[202:205]
.LBB96_36:                              ;   in Loop: Header=BB96_3 Depth=1
	s_or_b32 exec_lo, exec_lo, s40
	s_wait_dscnt 0x0
	s_barrier_signal -1
	s_barrier_wait -1
	s_barrier_signal -1
	s_barrier_wait -1
	s_and_saveexec_b32 s40, s2
; %bb.37:                               ;   in Loop: Header=BB96_3 Depth=1
	s_delay_alu instid0(VALU_DEP_3) | instskip(NEXT) | instid1(VALU_DEP_2)
	v_xor_b32_e32 v15, 0x80000000, v15
	v_xor_b32_e32 v17, 0x80000000, v17
	ds_store_b128 v41, v[14:17] offset:32
; %bb.38:                               ;   in Loop: Header=BB96_3 Depth=1
	s_or_b32 exec_lo, exec_lo, s40
	s_wait_dscnt 0x0
	s_barrier_signal -1
	s_barrier_wait -1
	s_barrier_signal -1
	s_barrier_wait -1
	s_and_saveexec_b32 s40, s67
	s_cbranch_execz .LBB96_40
; %bb.39:                               ;   in Loop: Header=BB96_3 Depth=1
	ds_load_b128 v[14:17], v45
	s_wait_dscnt 0x0
	ds_store_b128 v149, v[14:17]
	ds_load_b128 v[14:17], v46
	s_wait_dscnt 0x0
	ds_store_b128 v150, v[14:17]
.LBB96_40:                              ;   in Loop: Header=BB96_3 Depth=1
	s_or_b32 exec_lo, exec_lo, s40
	s_wait_dscnt 0x0
	s_barrier_signal -1
	s_barrier_wait -1
	s_and_saveexec_b32 s40, s29
	s_cbranch_execz .LBB96_42
; %bb.41:                               ;   in Loop: Header=BB96_3 Depth=1
	ds_load_b128 v[14:17], v2 offset:1584
	ds_load_b128 v[18:21], v2 offset:1056
	s_wait_dscnt 0x0
	v_mul_f64_e32 v[4:5], v[14:15], v[20:21]
	v_mul_f64_e32 v[20:21], v[16:17], v[20:21]
	s_delay_alu instid0(VALU_DEP_2) | instskip(NEXT) | instid1(VALU_DEP_2)
	v_fmac_f64_e32 v[4:5], v[16:17], v[18:19]
	v_fma_f64 v[20:21], v[14:15], v[18:19], -v[20:21]
	ds_load_b128 v[14:17], v2 offset:1072
	s_wait_dscnt 0x0
	v_mul_f64_e32 v[38:39], v[4:5], v[16:17]
	v_mul_f64_e32 v[18:19], v[20:21], v[16:17]
	s_delay_alu instid0(VALU_DEP_2) | instskip(NEXT) | instid1(VALU_DEP_2)
	v_fma_f64 v[16:17], v[14:15], v[20:21], -v[38:39]
	v_fmac_f64_e32 v[18:19], v[14:15], v[4:5]
	ds_store_b128 v2, v[16:19] offset:1072
	ds_store_b128 v2, v[16:19] offset:1568
.LBB96_42:                              ;   in Loop: Header=BB96_3 Depth=1
	s_or_b32 exec_lo, exec_lo, s40
	v_mov_b64_e32 v[16:17], 0
	v_mov_b64_e32 v[14:15], 0
	s_wait_dscnt 0x0
	s_barrier_signal -1
	s_barrier_wait -1
	s_and_saveexec_b32 s40, s4
	s_cbranch_execz .LBB96_48
; %bb.43:                               ;   in Loop: Header=BB96_3 Depth=1
	ds_load_b128 v[14:17], v44
	ds_load_b128 v[18:21], v50 offset:64
	s_wait_dscnt 0x0
	v_mul_f64_e32 v[4:5], v[16:17], v[20:21]
	v_mul_f64_e32 v[20:21], v[14:15], v[20:21]
	s_delay_alu instid0(VALU_DEP_2) | instskip(NEXT) | instid1(VALU_DEP_2)
	v_fma_f64 v[4:5], v[14:15], v[18:19], -v[4:5]
	v_fmac_f64_e32 v[20:21], v[16:17], v[18:19]
	s_delay_alu instid0(VALU_DEP_2) | instskip(NEXT) | instid1(VALU_DEP_2)
	v_add_f64_e32 v[14:15], 0, v[4:5]
	v_add_f64_e32 v[16:17], 0, v[20:21]
	s_and_saveexec_b32 s41, s11
	s_cbranch_execnz .LBB96_550
; %bb.44:                               ;   in Loop: Header=BB96_3 Depth=1
	s_or_b32 exec_lo, exec_lo, s41
	s_and_saveexec_b32 s41, s12
	s_cbranch_execnz .LBB96_551
.LBB96_45:                              ;   in Loop: Header=BB96_3 Depth=1
	s_or_b32 exec_lo, exec_lo, s41
	s_and_saveexec_b32 s41, s2
	s_cbranch_execz .LBB96_47
.LBB96_46:                              ;   in Loop: Header=BB96_3 Depth=1
	ds_load_b128 v[18:21], v2 offset:48
	ds_load_b128 v[202:205], v48 offset:1600
	s_wait_dscnt 0x0
	v_mul_f64_e32 v[4:5], v[20:21], v[204:205]
	s_delay_alu instid0(VALU_DEP_1) | instskip(SKIP_1) | instid1(VALU_DEP_2)
	v_fma_f64 v[4:5], v[18:19], v[202:203], -v[4:5]
	v_mul_f64_e32 v[18:19], v[18:19], v[204:205]
	v_add_f64_e32 v[14:15], v[14:15], v[4:5]
	s_delay_alu instid0(VALU_DEP_2) | instskip(NEXT) | instid1(VALU_DEP_1)
	v_fmac_f64_e32 v[18:19], v[20:21], v[202:203]
	v_add_f64_e32 v[16:17], v[16:17], v[18:19]
.LBB96_47:                              ;   in Loop: Header=BB96_3 Depth=1
	s_or_b32 exec_lo, exec_lo, s41
	s_delay_alu instid0(VALU_DEP_2) | instskip(NEXT) | instid1(VALU_DEP_2)
	v_xor_b32_e32 v15, 0x80000000, v15
	v_xor_b32_e32 v17, 0x80000000, v17
.LBB96_48:                              ;   in Loop: Header=BB96_3 Depth=1
	s_or_b32 exec_lo, exec_lo, s40
	s_and_saveexec_b32 s40, s68
	s_cbranch_execz .LBB96_50
; %bb.49:                               ;   in Loop: Header=BB96_3 Depth=1
	ds_load_b128 v[18:21], v2 offset:2112
	s_wait_dscnt 0x0
	v_mul_f64_e32 v[4:5], v[16:17], v[20:21]
	v_mul_f64_e32 v[204:205], v[14:15], v[20:21]
	s_delay_alu instid0(VALU_DEP_2) | instskip(NEXT) | instid1(VALU_DEP_2)
	v_fma_f64 v[202:203], v[14:15], v[18:19], -v[4:5]
	v_fmac_f64_e32 v[204:205], v[16:17], v[18:19]
	s_delay_alu instid0(VALU_DEP_2) | instskip(NEXT) | instid1(VALU_DEP_2)
	v_mov_b64_e32 v[14:15], v[202:203]
	v_mov_b64_e32 v[16:17], v[204:205]
	ds_store_b128 v49, v[202:205]
.LBB96_50:                              ;   in Loop: Header=BB96_3 Depth=1
	s_or_b32 exec_lo, exec_lo, s40
	s_wait_dscnt 0x0
	s_barrier_signal -1
	s_barrier_wait -1
	s_and_saveexec_b32 s40, s69
	s_cbranch_execz .LBB96_52
; %bb.51:                               ;   in Loop: Header=BB96_3 Depth=1
	ds_load_b128 v[18:21], v49
	ds_load_b128 v[202:205], v47 offset:2112
	s_wait_dscnt 0x0
	v_mul_f64_e32 v[4:5], v[20:21], v[204:205]
	s_delay_alu instid0(VALU_DEP_1) | instskip(SKIP_1) | instid1(VALU_DEP_2)
	v_fma_f64 v[4:5], v[18:19], v[202:203], -v[4:5]
	v_mul_f64_e32 v[18:19], v[18:19], v[204:205]
	v_add_f64_e32 v[14:15], v[14:15], v[4:5]
	s_delay_alu instid0(VALU_DEP_2) | instskip(NEXT) | instid1(VALU_DEP_1)
	v_fmac_f64_e32 v[18:19], v[20:21], v[202:203]
	v_add_f64_e32 v[16:17], v[16:17], v[18:19]
.LBB96_52:                              ;   in Loop: Header=BB96_3 Depth=1
	s_or_b32 exec_lo, exec_lo, s40
	s_barrier_signal -1
	s_barrier_wait -1
	s_and_saveexec_b32 s40, s70
	s_cbranch_execz .LBB96_54
; %bb.53:                               ;   in Loop: Header=BB96_3 Depth=1
	ds_load_b128 v[18:21], v2 offset:2640
	s_wait_dscnt 0x0
	v_mul_f64_e32 v[4:5], v[16:17], v[20:21]
	v_mul_f64_e32 v[204:205], v[14:15], v[20:21]
	s_delay_alu instid0(VALU_DEP_2) | instskip(NEXT) | instid1(VALU_DEP_2)
	v_fma_f64 v[202:203], v[14:15], v[18:19], -v[4:5]
	v_fmac_f64_e32 v[204:205], v[16:17], v[18:19]
	s_delay_alu instid0(VALU_DEP_2) | instskip(NEXT) | instid1(VALU_DEP_2)
	v_mov_b64_e32 v[14:15], v[202:203]
	v_mov_b64_e32 v[16:17], v[204:205]
	ds_store_b128 v49, v[202:205]
.LBB96_54:                              ;   in Loop: Header=BB96_3 Depth=1
	s_or_b32 exec_lo, exec_lo, s40
	s_wait_dscnt 0x0
	s_barrier_signal -1
	s_barrier_wait -1
	s_and_saveexec_b32 s40, s71
	s_cbranch_execz .LBB96_56
; %bb.55:                               ;   in Loop: Header=BB96_3 Depth=1
	ds_load_b128 v[18:21], v49
	ds_load_b128 v[202:205], v47 offset:2624
	s_wait_dscnt 0x0
	v_mul_f64_e32 v[4:5], v[20:21], v[204:205]
	s_delay_alu instid0(VALU_DEP_1) | instskip(SKIP_1) | instid1(VALU_DEP_2)
	v_fma_f64 v[4:5], v[18:19], v[202:203], -v[4:5]
	v_mul_f64_e32 v[18:19], v[18:19], v[204:205]
	v_add_f64_e32 v[14:15], v[14:15], v[4:5]
	s_delay_alu instid0(VALU_DEP_2) | instskip(NEXT) | instid1(VALU_DEP_1)
	v_fmac_f64_e32 v[18:19], v[20:21], v[202:203]
	v_add_f64_e32 v[16:17], v[16:17], v[18:19]
.LBB96_56:                              ;   in Loop: Header=BB96_3 Depth=1
	s_or_b32 exec_lo, exec_lo, s40
	s_barrier_signal -1
	s_barrier_wait -1
	;; [unrolled: 37-line block ×3, first 2 shown]
	s_and_saveexec_b32 s40, s73
	s_cbranch_execz .LBB96_62
; %bb.61:                               ;   in Loop: Header=BB96_3 Depth=1
	ds_load_b128 v[18:21], v2 offset:3696
	s_wait_dscnt 0x0
	v_mul_f64_e32 v[4:5], v[16:17], v[20:21]
	v_mul_f64_e32 v[204:205], v[14:15], v[20:21]
	s_delay_alu instid0(VALU_DEP_2) | instskip(NEXT) | instid1(VALU_DEP_2)
	v_fma_f64 v[202:203], v[14:15], v[18:19], -v[4:5]
	v_fmac_f64_e32 v[204:205], v[16:17], v[18:19]
	s_delay_alu instid0(VALU_DEP_2) | instskip(NEXT) | instid1(VALU_DEP_2)
	v_mov_b64_e32 v[14:15], v[202:203]
	v_mov_b64_e32 v[16:17], v[204:205]
	ds_store_b128 v49, v[202:205]
.LBB96_62:                              ;   in Loop: Header=BB96_3 Depth=1
	s_or_b32 exec_lo, exec_lo, s40
	s_wait_dscnt 0x0
	s_barrier_signal -1
	s_barrier_wait -1
	s_barrier_signal -1
	s_barrier_wait -1
	s_and_saveexec_b32 s40, s4
; %bb.63:                               ;   in Loop: Header=BB96_3 Depth=1
	s_delay_alu instid0(VALU_DEP_1) | instskip(NEXT) | instid1(VALU_DEP_4)
	v_xor_b32_e32 v17, 0x80000000, v17
	v_xor_b32_e32 v15, 0x80000000, v15
	ds_store_b128 v50, v[14:17] offset:64
; %bb.64:                               ;   in Loop: Header=BB96_3 Depth=1
	s_or_b32 exec_lo, exec_lo, s40
	s_wait_dscnt 0x0
	s_barrier_signal -1
	s_barrier_wait -1
	s_barrier_signal -1
	s_barrier_wait -1
	s_and_saveexec_b32 s40, s74
	s_cbranch_execz .LBB96_66
; %bb.65:                               ;   in Loop: Header=BB96_3 Depth=1
	ds_load_b128 v[14:17], v54
	s_wait_dscnt 0x0
	ds_store_b128 v151, v[14:17]
	ds_load_b128 v[14:17], v80
	s_wait_dscnt 0x0
	ds_store_b128 v154, v[14:17]
	;; [unrolled: 3-line block ×4, first 2 shown]
.LBB96_66:                              ;   in Loop: Header=BB96_3 Depth=1
	s_or_b32 exec_lo, exec_lo, s40
	s_wait_dscnt 0x0
	s_barrier_signal -1
	s_barrier_wait -1
	s_and_saveexec_b32 s40, s29
	s_cbranch_execz .LBB96_68
; %bb.67:                               ;   in Loop: Header=BB96_3 Depth=1
	ds_load_b128 v[14:17], v2 offset:2640
	ds_load_b128 v[18:21], v2 offset:2112
	s_wait_dscnt 0x0
	v_mul_f64_e32 v[4:5], v[14:15], v[20:21]
	v_mul_f64_e32 v[20:21], v[16:17], v[20:21]
	s_delay_alu instid0(VALU_DEP_2) | instskip(NEXT) | instid1(VALU_DEP_2)
	v_fmac_f64_e32 v[4:5], v[16:17], v[18:19]
	v_fma_f64 v[20:21], v[14:15], v[18:19], -v[20:21]
	ds_load_b128 v[14:17], v2 offset:2128
	s_wait_dscnt 0x0
	v_mul_f64_e32 v[38:39], v[4:5], v[16:17]
	v_mul_f64_e32 v[18:19], v[20:21], v[16:17]
	s_delay_alu instid0(VALU_DEP_2) | instskip(NEXT) | instid1(VALU_DEP_2)
	v_fma_f64 v[16:17], v[14:15], v[20:21], -v[38:39]
	v_fmac_f64_e32 v[18:19], v[14:15], v[4:5]
	ds_store_b128 v2, v[16:19] offset:2128
	ds_store_b128 v2, v[16:19] offset:2624
.LBB96_68:                              ;   in Loop: Header=BB96_3 Depth=1
	s_or_b32 exec_lo, exec_lo, s40
	v_mov_b64_e32 v[16:17], 0
	v_mov_b64_e32 v[14:15], 0
	s_wait_dscnt 0x0
	s_barrier_signal -1
	s_barrier_wait -1
	s_and_saveexec_b32 s40, s2
	s_cbranch_execz .LBB96_72
; %bb.69:                               ;   in Loop: Header=BB96_3 Depth=1
	ds_load_b128 v[14:17], v42 offset:2112
	ds_load_b128 v[18:21], v41 offset:2144
	s_wait_dscnt 0x0
	v_mul_f64_e32 v[4:5], v[16:17], v[20:21]
	v_mul_f64_e32 v[20:21], v[14:15], v[20:21]
	s_delay_alu instid0(VALU_DEP_2) | instskip(NEXT) | instid1(VALU_DEP_2)
	v_fma_f64 v[4:5], v[14:15], v[18:19], -v[4:5]
	v_fmac_f64_e32 v[20:21], v[16:17], v[18:19]
	s_delay_alu instid0(VALU_DEP_2) | instskip(NEXT) | instid1(VALU_DEP_2)
	v_add_f64_e32 v[14:15], 0, v[4:5]
	v_add_f64_e32 v[16:17], 0, v[20:21]
	s_and_saveexec_b32 s41, s10
	s_cbranch_execz .LBB96_71
; %bb.70:                               ;   in Loop: Header=BB96_3 Depth=1
	ds_load_b128 v[18:21], v2 offset:2128
	ds_load_b128 v[202:205], v81 offset:2656
	s_wait_dscnt 0x0
	v_mul_f64_e32 v[4:5], v[20:21], v[204:205]
	s_delay_alu instid0(VALU_DEP_1) | instskip(SKIP_1) | instid1(VALU_DEP_2)
	v_fma_f64 v[4:5], v[18:19], v[202:203], -v[4:5]
	v_mul_f64_e32 v[18:19], v[18:19], v[204:205]
	v_add_f64_e32 v[14:15], v[14:15], v[4:5]
	s_delay_alu instid0(VALU_DEP_2) | instskip(NEXT) | instid1(VALU_DEP_1)
	v_fmac_f64_e32 v[18:19], v[20:21], v[202:203]
	v_add_f64_e32 v[16:17], v[16:17], v[18:19]
.LBB96_71:                              ;   in Loop: Header=BB96_3 Depth=1
	s_or_b32 exec_lo, exec_lo, s41
	s_delay_alu instid0(VALU_DEP_2) | instskip(NEXT) | instid1(VALU_DEP_2)
	v_xor_b32_e32 v15, 0x80000000, v15
	v_xor_b32_e32 v17, 0x80000000, v17
.LBB96_72:                              ;   in Loop: Header=BB96_3 Depth=1
	s_or_b32 exec_lo, exec_lo, s40
	s_and_saveexec_b32 s40, s65
	s_cbranch_execz .LBB96_74
; %bb.73:                               ;   in Loop: Header=BB96_3 Depth=1
	ds_load_b128 v[18:21], v2 offset:3168
	s_wait_dscnt 0x0
	v_mul_f64_e32 v[4:5], v[16:17], v[20:21]
	v_mul_f64_e32 v[204:205], v[14:15], v[20:21]
	s_delay_alu instid0(VALU_DEP_2) | instskip(NEXT) | instid1(VALU_DEP_2)
	v_fma_f64 v[202:203], v[14:15], v[18:19], -v[4:5]
	v_fmac_f64_e32 v[204:205], v[16:17], v[18:19]
	s_delay_alu instid0(VALU_DEP_2) | instskip(NEXT) | instid1(VALU_DEP_2)
	v_mov_b64_e32 v[14:15], v[202:203]
	v_mov_b64_e32 v[16:17], v[204:205]
	ds_store_b128 v23, v[202:205]
.LBB96_74:                              ;   in Loop: Header=BB96_3 Depth=1
	s_or_b32 exec_lo, exec_lo, s40
	s_wait_dscnt 0x0
	s_barrier_signal -1
	s_barrier_wait -1
	s_and_saveexec_b32 s40, s66
	s_cbranch_execz .LBB96_76
; %bb.75:                               ;   in Loop: Header=BB96_3 Depth=1
	ds_load_b128 v[18:21], v23
	ds_load_b128 v[202:205], v2 offset:3184
	s_wait_dscnt 0x0
	v_mul_f64_e32 v[4:5], v[20:21], v[204:205]
	s_delay_alu instid0(VALU_DEP_1) | instskip(SKIP_1) | instid1(VALU_DEP_2)
	v_fma_f64 v[4:5], v[18:19], v[202:203], -v[4:5]
	v_mul_f64_e32 v[18:19], v[18:19], v[204:205]
	v_add_f64_e32 v[14:15], v[14:15], v[4:5]
	s_delay_alu instid0(VALU_DEP_2) | instskip(NEXT) | instid1(VALU_DEP_1)
	v_fmac_f64_e32 v[18:19], v[20:21], v[202:203]
	v_add_f64_e32 v[16:17], v[16:17], v[18:19]
.LBB96_76:                              ;   in Loop: Header=BB96_3 Depth=1
	s_or_b32 exec_lo, exec_lo, s40
	s_barrier_signal -1
	s_barrier_wait -1
	s_and_saveexec_b32 s40, s66
	s_cbranch_execz .LBB96_78
; %bb.77:                               ;   in Loop: Header=BB96_3 Depth=1
	ds_load_b128 v[18:21], v2 offset:3696
	s_wait_dscnt 0x0
	v_mul_f64_e32 v[4:5], v[16:17], v[20:21]
	v_mul_f64_e32 v[204:205], v[14:15], v[20:21]
	s_delay_alu instid0(VALU_DEP_2) | instskip(NEXT) | instid1(VALU_DEP_2)
	v_fma_f64 v[202:203], v[14:15], v[18:19], -v[4:5]
	v_fmac_f64_e32 v[204:205], v[16:17], v[18:19]
	s_delay_alu instid0(VALU_DEP_2) | instskip(NEXT) | instid1(VALU_DEP_2)
	v_mov_b64_e32 v[14:15], v[202:203]
	v_mov_b64_e32 v[16:17], v[204:205]
	ds_store_b128 v23, v[202:205]
.LBB96_78:                              ;   in Loop: Header=BB96_3 Depth=1
	s_or_b32 exec_lo, exec_lo, s40
	s_wait_dscnt 0x0
	s_barrier_signal -1
	s_barrier_wait -1
	s_barrier_signal -1
	s_barrier_wait -1
	s_and_saveexec_b32 s40, s2
; %bb.79:                               ;   in Loop: Header=BB96_3 Depth=1
	s_delay_alu instid0(VALU_DEP_3) | instskip(NEXT) | instid1(VALU_DEP_2)
	v_xor_b32_e32 v15, 0x80000000, v15
	v_xor_b32_e32 v17, 0x80000000, v17
	ds_store_b128 v41, v[14:17] offset:2144
; %bb.80:                               ;   in Loop: Header=BB96_3 Depth=1
	s_or_b32 exec_lo, exec_lo, s40
	s_wait_dscnt 0x0
	s_barrier_signal -1
	s_barrier_wait -1
	s_barrier_signal -1
	s_barrier_wait -1
	s_and_saveexec_b32 s40, s67
	s_cbranch_execz .LBB96_82
; %bb.81:                               ;   in Loop: Header=BB96_3 Depth=1
	ds_load_b128 v[14:17], v90
	s_wait_dscnt 0x0
	ds_store_b128 v155, v[14:17]
	ds_load_b128 v[14:17], v91
	s_wait_dscnt 0x0
	ds_store_b128 v156, v[14:17]
.LBB96_82:                              ;   in Loop: Header=BB96_3 Depth=1
	s_or_b32 exec_lo, exec_lo, s40
	s_wait_dscnt 0x0
	s_barrier_signal -1
	s_barrier_wait -1
	s_and_saveexec_b32 s40, s29
	s_cbranch_execz .LBB96_84
; %bb.83:                               ;   in Loop: Header=BB96_3 Depth=1
	ds_load_b128 v[14:17], v2 offset:3696
	ds_load_b128 v[18:21], v2 offset:3168
	s_wait_dscnt 0x0
	v_mul_f64_e32 v[4:5], v[14:15], v[20:21]
	v_mul_f64_e32 v[20:21], v[16:17], v[20:21]
	s_delay_alu instid0(VALU_DEP_2) | instskip(NEXT) | instid1(VALU_DEP_2)
	v_fmac_f64_e32 v[4:5], v[16:17], v[18:19]
	v_fma_f64 v[20:21], v[14:15], v[18:19], -v[20:21]
	ds_load_b128 v[14:17], v2 offset:3184
	s_wait_dscnt 0x0
	v_mul_f64_e32 v[38:39], v[4:5], v[16:17]
	v_mul_f64_e32 v[18:19], v[20:21], v[16:17]
	s_delay_alu instid0(VALU_DEP_2) | instskip(NEXT) | instid1(VALU_DEP_2)
	v_fma_f64 v[16:17], v[14:15], v[20:21], -v[38:39]
	v_fmac_f64_e32 v[18:19], v[14:15], v[4:5]
	ds_store_b128 v2, v[16:19] offset:3184
	ds_store_b128 v2, v[16:19] offset:3680
.LBB96_84:                              ;   in Loop: Header=BB96_3 Depth=1
	s_or_b32 exec_lo, exec_lo, s40
	v_mov_b64_e32 v[16:17], 0
	v_mov_b64_e32 v[14:15], 0
	s_wait_dscnt 0x0
	s_barrier_signal -1
	s_barrier_wait -1
	s_and_saveexec_b32 s40, s5
	s_cbranch_execz .LBB96_94
; %bb.85:                               ;   in Loop: Header=BB96_3 Depth=1
	ds_load_b128 v[14:17], v52
	ds_load_b128 v[18:21], v56 offset:128
	s_wait_dscnt 0x0
	v_mul_f64_e32 v[4:5], v[16:17], v[20:21]
	v_mul_f64_e32 v[20:21], v[14:15], v[20:21]
	s_delay_alu instid0(VALU_DEP_2) | instskip(NEXT) | instid1(VALU_DEP_2)
	v_fma_f64 v[4:5], v[14:15], v[18:19], -v[4:5]
	v_fmac_f64_e32 v[20:21], v[16:17], v[18:19]
	s_delay_alu instid0(VALU_DEP_2) | instskip(NEXT) | instid1(VALU_DEP_2)
	v_add_f64_e32 v[14:15], 0, v[4:5]
	v_add_f64_e32 v[16:17], 0, v[20:21]
	s_and_saveexec_b32 s41, s13
	s_cbranch_execnz .LBB96_552
; %bb.86:                               ;   in Loop: Header=BB96_3 Depth=1
	s_or_b32 exec_lo, exec_lo, s41
	s_and_saveexec_b32 s41, s14
	s_cbranch_execnz .LBB96_553
.LBB96_87:                              ;   in Loop: Header=BB96_3 Depth=1
	s_or_b32 exec_lo, exec_lo, s41
	s_and_saveexec_b32 s41, s15
	s_cbranch_execnz .LBB96_554
.LBB96_88:                              ;   in Loop: Header=BB96_3 Depth=1
	s_or_b32 exec_lo, exec_lo, s41
	s_and_saveexec_b32 s41, s16
	s_cbranch_execnz .LBB96_555
.LBB96_89:                              ;   in Loop: Header=BB96_3 Depth=1
	s_or_b32 exec_lo, exec_lo, s41
	s_and_saveexec_b32 s41, s17
	s_cbranch_execnz .LBB96_556
.LBB96_90:                              ;   in Loop: Header=BB96_3 Depth=1
	s_or_b32 exec_lo, exec_lo, s41
	s_and_saveexec_b32 s41, s4
	s_cbranch_execnz .LBB96_557
.LBB96_91:                              ;   in Loop: Header=BB96_3 Depth=1
	s_or_b32 exec_lo, exec_lo, s41
	s_and_saveexec_b32 s41, s12
	s_cbranch_execz .LBB96_93
.LBB96_92:                              ;   in Loop: Header=BB96_3 Depth=1
	ds_load_b128 v[18:21], v2 offset:112
	ds_load_b128 v[202:205], v43 offset:3712
	s_wait_dscnt 0x0
	v_mul_f64_e32 v[4:5], v[20:21], v[204:205]
	s_delay_alu instid0(VALU_DEP_1) | instskip(SKIP_1) | instid1(VALU_DEP_2)
	v_fma_f64 v[4:5], v[18:19], v[202:203], -v[4:5]
	v_mul_f64_e32 v[18:19], v[18:19], v[204:205]
	v_add_f64_e32 v[14:15], v[14:15], v[4:5]
	s_delay_alu instid0(VALU_DEP_2) | instskip(NEXT) | instid1(VALU_DEP_1)
	v_fmac_f64_e32 v[18:19], v[20:21], v[202:203]
	v_add_f64_e32 v[16:17], v[16:17], v[18:19]
.LBB96_93:                              ;   in Loop: Header=BB96_3 Depth=1
	s_or_b32 exec_lo, exec_lo, s41
	s_delay_alu instid0(VALU_DEP_2) | instskip(NEXT) | instid1(VALU_DEP_2)
	v_xor_b32_e32 v15, 0x80000000, v15
	v_xor_b32_e32 v17, 0x80000000, v17
.LBB96_94:                              ;   in Loop: Header=BB96_3 Depth=1
	s_or_b32 exec_lo, exec_lo, s40
	s_and_saveexec_b32 s40, s75
	s_cbranch_execz .LBB96_96
; %bb.95:                               ;   in Loop: Header=BB96_3 Depth=1
	ds_load_b128 v[18:21], v2 offset:4224
	s_wait_dscnt 0x0
	v_mul_f64_e32 v[4:5], v[16:17], v[20:21]
	v_mul_f64_e32 v[204:205], v[14:15], v[20:21]
	s_delay_alu instid0(VALU_DEP_2) | instskip(NEXT) | instid1(VALU_DEP_2)
	v_fma_f64 v[202:203], v[14:15], v[18:19], -v[4:5]
	v_fmac_f64_e32 v[204:205], v[16:17], v[18:19]
	s_delay_alu instid0(VALU_DEP_2) | instskip(NEXT) | instid1(VALU_DEP_2)
	v_mov_b64_e32 v[14:15], v[202:203]
	v_mov_b64_e32 v[16:17], v[204:205]
	ds_store_b128 v55, v[202:205]
.LBB96_96:                              ;   in Loop: Header=BB96_3 Depth=1
	s_or_b32 exec_lo, exec_lo, s40
	s_wait_dscnt 0x0
	s_barrier_signal -1
	s_barrier_wait -1
	s_and_saveexec_b32 s40, s76
	s_cbranch_execz .LBB96_98
; %bb.97:                               ;   in Loop: Header=BB96_3 Depth=1
	ds_load_b128 v[18:21], v55
	ds_load_b128 v[202:205], v53 offset:4224
	s_wait_dscnt 0x0
	v_mul_f64_e32 v[4:5], v[20:21], v[204:205]
	s_delay_alu instid0(VALU_DEP_1) | instskip(SKIP_1) | instid1(VALU_DEP_2)
	v_fma_f64 v[4:5], v[18:19], v[202:203], -v[4:5]
	v_mul_f64_e32 v[18:19], v[18:19], v[204:205]
	v_add_f64_e32 v[14:15], v[14:15], v[4:5]
	s_delay_alu instid0(VALU_DEP_2) | instskip(NEXT) | instid1(VALU_DEP_1)
	v_fmac_f64_e32 v[18:19], v[20:21], v[202:203]
	v_add_f64_e32 v[16:17], v[16:17], v[18:19]
.LBB96_98:                              ;   in Loop: Header=BB96_3 Depth=1
	s_or_b32 exec_lo, exec_lo, s40
	s_barrier_signal -1
	s_barrier_wait -1
	s_and_saveexec_b32 s40, s77
	s_cbranch_execz .LBB96_100
; %bb.99:                               ;   in Loop: Header=BB96_3 Depth=1
	ds_load_b128 v[18:21], v2 offset:4752
	s_wait_dscnt 0x0
	v_mul_f64_e32 v[4:5], v[16:17], v[20:21]
	v_mul_f64_e32 v[204:205], v[14:15], v[20:21]
	s_delay_alu instid0(VALU_DEP_2) | instskip(NEXT) | instid1(VALU_DEP_2)
	v_fma_f64 v[202:203], v[14:15], v[18:19], -v[4:5]
	v_fmac_f64_e32 v[204:205], v[16:17], v[18:19]
	s_delay_alu instid0(VALU_DEP_2) | instskip(NEXT) | instid1(VALU_DEP_2)
	v_mov_b64_e32 v[14:15], v[202:203]
	v_mov_b64_e32 v[16:17], v[204:205]
	ds_store_b128 v55, v[202:205]
.LBB96_100:                             ;   in Loop: Header=BB96_3 Depth=1
	s_or_b32 exec_lo, exec_lo, s40
	s_wait_dscnt 0x0
	s_barrier_signal -1
	s_barrier_wait -1
	s_and_saveexec_b32 s40, s78
	s_cbranch_execz .LBB96_102
; %bb.101:                              ;   in Loop: Header=BB96_3 Depth=1
	ds_load_b128 v[18:21], v55
	ds_load_b128 v[202:205], v53 offset:4736
	s_wait_dscnt 0x0
	v_mul_f64_e32 v[4:5], v[20:21], v[204:205]
	s_delay_alu instid0(VALU_DEP_1) | instskip(SKIP_1) | instid1(VALU_DEP_2)
	v_fma_f64 v[4:5], v[18:19], v[202:203], -v[4:5]
	v_mul_f64_e32 v[18:19], v[18:19], v[204:205]
	v_add_f64_e32 v[14:15], v[14:15], v[4:5]
	s_delay_alu instid0(VALU_DEP_2) | instskip(NEXT) | instid1(VALU_DEP_1)
	v_fmac_f64_e32 v[18:19], v[20:21], v[202:203]
	v_add_f64_e32 v[16:17], v[16:17], v[18:19]
.LBB96_102:                             ;   in Loop: Header=BB96_3 Depth=1
	s_or_b32 exec_lo, exec_lo, s40
	s_barrier_signal -1
	s_barrier_wait -1
	s_and_saveexec_b32 s40, s79
	s_cbranch_execz .LBB96_104
; %bb.103:                              ;   in Loop: Header=BB96_3 Depth=1
	ds_load_b128 v[18:21], v2 offset:5280
	s_wait_dscnt 0x0
	v_mul_f64_e32 v[4:5], v[16:17], v[20:21]
	v_mul_f64_e32 v[204:205], v[14:15], v[20:21]
	s_delay_alu instid0(VALU_DEP_2) | instskip(NEXT) | instid1(VALU_DEP_2)
	v_fma_f64 v[202:203], v[14:15], v[18:19], -v[4:5]
	v_fmac_f64_e32 v[204:205], v[16:17], v[18:19]
	s_delay_alu instid0(VALU_DEP_2) | instskip(NEXT) | instid1(VALU_DEP_2)
	v_mov_b64_e32 v[14:15], v[202:203]
	v_mov_b64_e32 v[16:17], v[204:205]
	ds_store_b128 v55, v[202:205]
.LBB96_104:                             ;   in Loop: Header=BB96_3 Depth=1
	s_or_b32 exec_lo, exec_lo, s40
	s_wait_dscnt 0x0
	s_barrier_signal -1
	s_barrier_wait -1
	s_and_saveexec_b32 s40, s80
	s_cbranch_execz .LBB96_106
; %bb.105:                              ;   in Loop: Header=BB96_3 Depth=1
	ds_load_b128 v[18:21], v55
	ds_load_b128 v[202:205], v53 offset:5248
	s_wait_dscnt 0x0
	v_mul_f64_e32 v[4:5], v[20:21], v[204:205]
	s_delay_alu instid0(VALU_DEP_1) | instskip(SKIP_1) | instid1(VALU_DEP_2)
	v_fma_f64 v[4:5], v[18:19], v[202:203], -v[4:5]
	v_mul_f64_e32 v[18:19], v[18:19], v[204:205]
	v_add_f64_e32 v[14:15], v[14:15], v[4:5]
	s_delay_alu instid0(VALU_DEP_2) | instskip(NEXT) | instid1(VALU_DEP_1)
	v_fmac_f64_e32 v[18:19], v[20:21], v[202:203]
	v_add_f64_e32 v[16:17], v[16:17], v[18:19]
.LBB96_106:                             ;   in Loop: Header=BB96_3 Depth=1
	s_or_b32 exec_lo, exec_lo, s40
	s_barrier_signal -1
	s_barrier_wait -1
	s_and_saveexec_b32 s40, s81
	s_cbranch_execz .LBB96_108
; %bb.107:                              ;   in Loop: Header=BB96_3 Depth=1
	ds_load_b128 v[18:21], v2 offset:5808
	s_wait_dscnt 0x0
	v_mul_f64_e32 v[4:5], v[16:17], v[20:21]
	v_mul_f64_e32 v[204:205], v[14:15], v[20:21]
	s_delay_alu instid0(VALU_DEP_2) | instskip(NEXT) | instid1(VALU_DEP_2)
	v_fma_f64 v[202:203], v[14:15], v[18:19], -v[4:5]
	v_fmac_f64_e32 v[204:205], v[16:17], v[18:19]
	s_delay_alu instid0(VALU_DEP_2) | instskip(NEXT) | instid1(VALU_DEP_2)
	v_mov_b64_e32 v[14:15], v[202:203]
	v_mov_b64_e32 v[16:17], v[204:205]
	ds_store_b128 v55, v[202:205]
.LBB96_108:                             ;   in Loop: Header=BB96_3 Depth=1
	s_or_b32 exec_lo, exec_lo, s40
	s_wait_dscnt 0x0
	s_barrier_signal -1
	s_barrier_wait -1
	s_and_saveexec_b32 s40, s82
	s_cbranch_execz .LBB96_110
; %bb.109:                              ;   in Loop: Header=BB96_3 Depth=1
	ds_load_b128 v[18:21], v55
	ds_load_b128 v[202:205], v53 offset:5760
	s_wait_dscnt 0x0
	v_mul_f64_e32 v[4:5], v[20:21], v[204:205]
	s_delay_alu instid0(VALU_DEP_1) | instskip(SKIP_1) | instid1(VALU_DEP_2)
	v_fma_f64 v[4:5], v[18:19], v[202:203], -v[4:5]
	v_mul_f64_e32 v[18:19], v[18:19], v[204:205]
	v_add_f64_e32 v[14:15], v[14:15], v[4:5]
	s_delay_alu instid0(VALU_DEP_2) | instskip(NEXT) | instid1(VALU_DEP_1)
	v_fmac_f64_e32 v[18:19], v[20:21], v[202:203]
	v_add_f64_e32 v[16:17], v[16:17], v[18:19]
.LBB96_110:                             ;   in Loop: Header=BB96_3 Depth=1
	s_or_b32 exec_lo, exec_lo, s40
	s_barrier_signal -1
	s_barrier_wait -1
	s_and_saveexec_b32 s40, s83
	s_cbranch_execz .LBB96_112
; %bb.111:                              ;   in Loop: Header=BB96_3 Depth=1
	ds_load_b128 v[18:21], v2 offset:6336
	s_wait_dscnt 0x0
	v_mul_f64_e32 v[4:5], v[16:17], v[20:21]
	v_mul_f64_e32 v[204:205], v[14:15], v[20:21]
	s_delay_alu instid0(VALU_DEP_2) | instskip(NEXT) | instid1(VALU_DEP_2)
	v_fma_f64 v[202:203], v[14:15], v[18:19], -v[4:5]
	v_fmac_f64_e32 v[204:205], v[16:17], v[18:19]
	s_delay_alu instid0(VALU_DEP_2) | instskip(NEXT) | instid1(VALU_DEP_2)
	v_mov_b64_e32 v[14:15], v[202:203]
	v_mov_b64_e32 v[16:17], v[204:205]
	ds_store_b128 v55, v[202:205]
.LBB96_112:                             ;   in Loop: Header=BB96_3 Depth=1
	s_or_b32 exec_lo, exec_lo, s40
	s_wait_dscnt 0x0
	s_barrier_signal -1
	s_barrier_wait -1
	s_and_saveexec_b32 s40, s84
	s_cbranch_execz .LBB96_114
; %bb.113:                              ;   in Loop: Header=BB96_3 Depth=1
	ds_load_b128 v[18:21], v55
	ds_load_b128 v[202:205], v53 offset:6272
	s_wait_dscnt 0x0
	v_mul_f64_e32 v[4:5], v[20:21], v[204:205]
	s_delay_alu instid0(VALU_DEP_1) | instskip(SKIP_1) | instid1(VALU_DEP_2)
	v_fma_f64 v[4:5], v[18:19], v[202:203], -v[4:5]
	v_mul_f64_e32 v[18:19], v[18:19], v[204:205]
	v_add_f64_e32 v[14:15], v[14:15], v[4:5]
	s_delay_alu instid0(VALU_DEP_2) | instskip(NEXT) | instid1(VALU_DEP_1)
	v_fmac_f64_e32 v[18:19], v[20:21], v[202:203]
	v_add_f64_e32 v[16:17], v[16:17], v[18:19]
.LBB96_114:                             ;   in Loop: Header=BB96_3 Depth=1
	s_or_b32 exec_lo, exec_lo, s40
	s_barrier_signal -1
	s_barrier_wait -1
	s_and_saveexec_b32 s40, s85
	s_cbranch_execz .LBB96_116
; %bb.115:                              ;   in Loop: Header=BB96_3 Depth=1
	ds_load_b128 v[18:21], v2 offset:6864
	s_wait_dscnt 0x0
	v_mul_f64_e32 v[4:5], v[16:17], v[20:21]
	v_mul_f64_e32 v[204:205], v[14:15], v[20:21]
	s_delay_alu instid0(VALU_DEP_2) | instskip(NEXT) | instid1(VALU_DEP_2)
	v_fma_f64 v[202:203], v[14:15], v[18:19], -v[4:5]
	v_fmac_f64_e32 v[204:205], v[16:17], v[18:19]
	s_delay_alu instid0(VALU_DEP_2) | instskip(NEXT) | instid1(VALU_DEP_2)
	v_mov_b64_e32 v[14:15], v[202:203]
	v_mov_b64_e32 v[16:17], v[204:205]
	ds_store_b128 v55, v[202:205]
.LBB96_116:                             ;   in Loop: Header=BB96_3 Depth=1
	s_or_b32 exec_lo, exec_lo, s40
	s_wait_dscnt 0x0
	s_barrier_signal -1
	s_barrier_wait -1
	s_and_saveexec_b32 s40, s86
	s_cbranch_execz .LBB96_118
; %bb.117:                              ;   in Loop: Header=BB96_3 Depth=1
	ds_load_b128 v[18:21], v55
	ds_load_b128 v[202:205], v53 offset:6784
	s_wait_dscnt 0x0
	v_mul_f64_e32 v[4:5], v[20:21], v[204:205]
	s_delay_alu instid0(VALU_DEP_1) | instskip(SKIP_1) | instid1(VALU_DEP_2)
	v_fma_f64 v[4:5], v[18:19], v[202:203], -v[4:5]
	v_mul_f64_e32 v[18:19], v[18:19], v[204:205]
	v_add_f64_e32 v[14:15], v[14:15], v[4:5]
	s_delay_alu instid0(VALU_DEP_2) | instskip(NEXT) | instid1(VALU_DEP_1)
	v_fmac_f64_e32 v[18:19], v[20:21], v[202:203]
	v_add_f64_e32 v[16:17], v[16:17], v[18:19]
.LBB96_118:                             ;   in Loop: Header=BB96_3 Depth=1
	s_or_b32 exec_lo, exec_lo, s40
	s_barrier_signal -1
	s_barrier_wait -1
	s_and_saveexec_b32 s40, s87
	s_cbranch_execz .LBB96_120
; %bb.119:                              ;   in Loop: Header=BB96_3 Depth=1
	ds_load_b128 v[18:21], v2 offset:7392
	s_wait_dscnt 0x0
	v_mul_f64_e32 v[4:5], v[16:17], v[20:21]
	v_mul_f64_e32 v[204:205], v[14:15], v[20:21]
	s_delay_alu instid0(VALU_DEP_2) | instskip(NEXT) | instid1(VALU_DEP_2)
	v_fma_f64 v[202:203], v[14:15], v[18:19], -v[4:5]
	v_fmac_f64_e32 v[204:205], v[16:17], v[18:19]
	s_delay_alu instid0(VALU_DEP_2) | instskip(NEXT) | instid1(VALU_DEP_2)
	v_mov_b64_e32 v[14:15], v[202:203]
	v_mov_b64_e32 v[16:17], v[204:205]
	ds_store_b128 v55, v[202:205]
.LBB96_120:                             ;   in Loop: Header=BB96_3 Depth=1
	s_or_b32 exec_lo, exec_lo, s40
	s_wait_dscnt 0x0
	s_barrier_signal -1
	s_barrier_wait -1
	s_and_saveexec_b32 s40, s88
	s_cbranch_execz .LBB96_122
; %bb.121:                              ;   in Loop: Header=BB96_3 Depth=1
	ds_load_b128 v[18:21], v55
	ds_load_b128 v[202:205], v2 offset:7408
	s_wait_dscnt 0x0
	v_mul_f64_e32 v[4:5], v[20:21], v[204:205]
	s_delay_alu instid0(VALU_DEP_1) | instskip(SKIP_1) | instid1(VALU_DEP_2)
	v_fma_f64 v[4:5], v[18:19], v[202:203], -v[4:5]
	v_mul_f64_e32 v[18:19], v[18:19], v[204:205]
	v_add_f64_e32 v[14:15], v[14:15], v[4:5]
	s_delay_alu instid0(VALU_DEP_2) | instskip(NEXT) | instid1(VALU_DEP_1)
	v_fmac_f64_e32 v[18:19], v[20:21], v[202:203]
	v_add_f64_e32 v[16:17], v[16:17], v[18:19]
.LBB96_122:                             ;   in Loop: Header=BB96_3 Depth=1
	s_or_b32 exec_lo, exec_lo, s40
	s_barrier_signal -1
	s_barrier_wait -1
	s_and_saveexec_b32 s40, s88
	s_cbranch_execz .LBB96_124
; %bb.123:                              ;   in Loop: Header=BB96_3 Depth=1
	ds_load_b128 v[18:21], v2 offset:7920
	s_wait_dscnt 0x0
	v_mul_f64_e32 v[4:5], v[16:17], v[20:21]
	v_mul_f64_e32 v[204:205], v[14:15], v[20:21]
	s_delay_alu instid0(VALU_DEP_2) | instskip(NEXT) | instid1(VALU_DEP_2)
	v_fma_f64 v[202:203], v[14:15], v[18:19], -v[4:5]
	v_fmac_f64_e32 v[204:205], v[16:17], v[18:19]
	s_delay_alu instid0(VALU_DEP_2) | instskip(NEXT) | instid1(VALU_DEP_2)
	v_mov_b64_e32 v[14:15], v[202:203]
	v_mov_b64_e32 v[16:17], v[204:205]
	ds_store_b128 v55, v[202:205]
.LBB96_124:                             ;   in Loop: Header=BB96_3 Depth=1
	s_or_b32 exec_lo, exec_lo, s40
	s_wait_dscnt 0x0
	s_barrier_signal -1
	s_barrier_wait -1
	s_barrier_signal -1
	s_barrier_wait -1
	s_and_saveexec_b32 s40, s5
; %bb.125:                              ;   in Loop: Header=BB96_3 Depth=1
	s_delay_alu instid0(VALU_DEP_3) | instskip(NEXT) | instid1(VALU_DEP_2)
	v_xor_b32_e32 v15, 0x80000000, v15
	v_xor_b32_e32 v17, 0x80000000, v17
	ds_store_b128 v56, v[14:17] offset:128
; %bb.126:                              ;   in Loop: Header=BB96_3 Depth=1
	s_or_b32 exec_lo, exec_lo, s40
	s_wait_dscnt 0x0
	s_barrier_signal -1
	s_barrier_wait -1
	s_barrier_signal -1
	s_barrier_wait -1
	s_and_saveexec_b32 s40, s89
	s_cbranch_execz .LBB96_128
; %bb.127:                              ;   in Loop: Header=BB96_3 Depth=1
	ds_load_b128 v[14:17], v58
	s_wait_dscnt 0x0
	ds_store_b128 v157, v[14:17]
	ds_load_b128 v[14:17], v59
	s_wait_dscnt 0x0
	ds_store_b128 v158, v[14:17]
	;; [unrolled: 3-line block ×8, first 2 shown]
.LBB96_128:                             ;   in Loop: Header=BB96_3 Depth=1
	s_or_b32 exec_lo, exec_lo, s40
	s_wait_dscnt 0x0
	s_barrier_signal -1
	s_barrier_wait -1
	s_and_saveexec_b32 s40, s29
	s_cbranch_execz .LBB96_130
; %bb.129:                              ;   in Loop: Header=BB96_3 Depth=1
	ds_load_b128 v[14:17], v2 offset:4752
	ds_load_b128 v[18:21], v2 offset:4224
	s_wait_dscnt 0x0
	v_mul_f64_e32 v[4:5], v[14:15], v[20:21]
	v_mul_f64_e32 v[20:21], v[16:17], v[20:21]
	s_delay_alu instid0(VALU_DEP_2) | instskip(NEXT) | instid1(VALU_DEP_2)
	v_fmac_f64_e32 v[4:5], v[16:17], v[18:19]
	v_fma_f64 v[20:21], v[14:15], v[18:19], -v[20:21]
	ds_load_b128 v[14:17], v2 offset:4240
	s_wait_dscnt 0x0
	v_mul_f64_e32 v[38:39], v[4:5], v[16:17]
	v_mul_f64_e32 v[18:19], v[20:21], v[16:17]
	s_delay_alu instid0(VALU_DEP_2) | instskip(NEXT) | instid1(VALU_DEP_2)
	v_fma_f64 v[16:17], v[14:15], v[20:21], -v[38:39]
	v_fmac_f64_e32 v[18:19], v[14:15], v[4:5]
	ds_store_b128 v2, v[16:19] offset:4240
	ds_store_b128 v2, v[16:19] offset:4736
.LBB96_130:                             ;   in Loop: Header=BB96_3 Depth=1
	s_or_b32 exec_lo, exec_lo, s40
	v_mov_b64_e32 v[16:17], 0
	v_mov_b64_e32 v[14:15], 0
	s_wait_dscnt 0x0
	s_barrier_signal -1
	s_barrier_wait -1
	s_and_saveexec_b32 s40, s2
	s_cbranch_execz .LBB96_134
; %bb.131:                              ;   in Loop: Header=BB96_3 Depth=1
	ds_load_b128 v[14:17], v42 offset:4224
	ds_load_b128 v[18:21], v41 offset:4256
	s_wait_dscnt 0x0
	v_mul_f64_e32 v[4:5], v[16:17], v[20:21]
	v_mul_f64_e32 v[20:21], v[14:15], v[20:21]
	s_delay_alu instid0(VALU_DEP_2) | instskip(NEXT) | instid1(VALU_DEP_2)
	v_fma_f64 v[4:5], v[14:15], v[18:19], -v[4:5]
	v_fmac_f64_e32 v[20:21], v[16:17], v[18:19]
	s_delay_alu instid0(VALU_DEP_2) | instskip(NEXT) | instid1(VALU_DEP_2)
	v_add_f64_e32 v[14:15], 0, v[4:5]
	v_add_f64_e32 v[16:17], 0, v[20:21]
	s_and_saveexec_b32 s41, s10
	s_cbranch_execz .LBB96_133
; %bb.132:                              ;   in Loop: Header=BB96_3 Depth=1
	ds_load_b128 v[18:21], v2 offset:4240
	ds_load_b128 v[202:205], v48 offset:4768
	s_wait_dscnt 0x0
	v_mul_f64_e32 v[4:5], v[20:21], v[204:205]
	s_delay_alu instid0(VALU_DEP_1) | instskip(SKIP_1) | instid1(VALU_DEP_2)
	v_fma_f64 v[4:5], v[18:19], v[202:203], -v[4:5]
	v_mul_f64_e32 v[18:19], v[18:19], v[204:205]
	v_add_f64_e32 v[14:15], v[14:15], v[4:5]
	s_delay_alu instid0(VALU_DEP_2) | instskip(NEXT) | instid1(VALU_DEP_1)
	v_fmac_f64_e32 v[18:19], v[20:21], v[202:203]
	v_add_f64_e32 v[16:17], v[16:17], v[18:19]
.LBB96_133:                             ;   in Loop: Header=BB96_3 Depth=1
	s_or_b32 exec_lo, exec_lo, s41
	s_delay_alu instid0(VALU_DEP_2) | instskip(NEXT) | instid1(VALU_DEP_2)
	v_xor_b32_e32 v15, 0x80000000, v15
	v_xor_b32_e32 v17, 0x80000000, v17
.LBB96_134:                             ;   in Loop: Header=BB96_3 Depth=1
	s_or_b32 exec_lo, exec_lo, s40
	s_and_saveexec_b32 s40, s65
	s_cbranch_execz .LBB96_136
; %bb.135:                              ;   in Loop: Header=BB96_3 Depth=1
	ds_load_b128 v[18:21], v2 offset:5280
	s_wait_dscnt 0x0
	v_mul_f64_e32 v[4:5], v[16:17], v[20:21]
	v_mul_f64_e32 v[204:205], v[14:15], v[20:21]
	s_delay_alu instid0(VALU_DEP_2) | instskip(NEXT) | instid1(VALU_DEP_2)
	v_fma_f64 v[202:203], v[14:15], v[18:19], -v[4:5]
	v_fmac_f64_e32 v[204:205], v[16:17], v[18:19]
	s_delay_alu instid0(VALU_DEP_2) | instskip(NEXT) | instid1(VALU_DEP_2)
	v_mov_b64_e32 v[14:15], v[202:203]
	v_mov_b64_e32 v[16:17], v[204:205]
	ds_store_b128 v23, v[202:205]
.LBB96_136:                             ;   in Loop: Header=BB96_3 Depth=1
	s_or_b32 exec_lo, exec_lo, s40
	s_wait_dscnt 0x0
	s_barrier_signal -1
	s_barrier_wait -1
	s_and_saveexec_b32 s40, s66
	s_cbranch_execz .LBB96_138
; %bb.137:                              ;   in Loop: Header=BB96_3 Depth=1
	ds_load_b128 v[18:21], v23
	ds_load_b128 v[202:205], v2 offset:5296
	s_wait_dscnt 0x0
	v_mul_f64_e32 v[4:5], v[20:21], v[204:205]
	s_delay_alu instid0(VALU_DEP_1) | instskip(SKIP_1) | instid1(VALU_DEP_2)
	v_fma_f64 v[4:5], v[18:19], v[202:203], -v[4:5]
	v_mul_f64_e32 v[18:19], v[18:19], v[204:205]
	v_add_f64_e32 v[14:15], v[14:15], v[4:5]
	s_delay_alu instid0(VALU_DEP_2) | instskip(NEXT) | instid1(VALU_DEP_1)
	v_fmac_f64_e32 v[18:19], v[20:21], v[202:203]
	v_add_f64_e32 v[16:17], v[16:17], v[18:19]
.LBB96_138:                             ;   in Loop: Header=BB96_3 Depth=1
	s_or_b32 exec_lo, exec_lo, s40
	s_barrier_signal -1
	s_barrier_wait -1
	s_and_saveexec_b32 s40, s66
	s_cbranch_execz .LBB96_140
; %bb.139:                              ;   in Loop: Header=BB96_3 Depth=1
	ds_load_b128 v[18:21], v2 offset:5808
	s_wait_dscnt 0x0
	v_mul_f64_e32 v[4:5], v[16:17], v[20:21]
	v_mul_f64_e32 v[204:205], v[14:15], v[20:21]
	s_delay_alu instid0(VALU_DEP_2) | instskip(NEXT) | instid1(VALU_DEP_2)
	v_fma_f64 v[202:203], v[14:15], v[18:19], -v[4:5]
	v_fmac_f64_e32 v[204:205], v[16:17], v[18:19]
	s_delay_alu instid0(VALU_DEP_2) | instskip(NEXT) | instid1(VALU_DEP_2)
	v_mov_b64_e32 v[14:15], v[202:203]
	v_mov_b64_e32 v[16:17], v[204:205]
	ds_store_b128 v23, v[202:205]
.LBB96_140:                             ;   in Loop: Header=BB96_3 Depth=1
	s_or_b32 exec_lo, exec_lo, s40
	s_wait_dscnt 0x0
	s_barrier_signal -1
	s_barrier_wait -1
	s_barrier_signal -1
	s_barrier_wait -1
	s_and_saveexec_b32 s40, s2
; %bb.141:                              ;   in Loop: Header=BB96_3 Depth=1
	s_delay_alu instid0(VALU_DEP_3) | instskip(NEXT) | instid1(VALU_DEP_2)
	v_xor_b32_e32 v15, 0x80000000, v15
	v_xor_b32_e32 v17, 0x80000000, v17
	ds_store_b128 v41, v[14:17] offset:4256
; %bb.142:                              ;   in Loop: Header=BB96_3 Depth=1
	s_or_b32 exec_lo, exec_lo, s40
	s_wait_dscnt 0x0
	s_barrier_signal -1
	s_barrier_wait -1
	s_barrier_signal -1
	s_barrier_wait -1
	s_and_saveexec_b32 s40, s67
	s_cbranch_execz .LBB96_144
; %bb.143:                              ;   in Loop: Header=BB96_3 Depth=1
	ds_load_b128 v[14:17], v82
	s_wait_dscnt 0x0
	ds_store_b128 v165, v[14:17]
	ds_load_b128 v[14:17], v83
	s_wait_dscnt 0x0
	ds_store_b128 v166, v[14:17]
.LBB96_144:                             ;   in Loop: Header=BB96_3 Depth=1
	s_or_b32 exec_lo, exec_lo, s40
	s_wait_dscnt 0x0
	s_barrier_signal -1
	s_barrier_wait -1
	s_and_saveexec_b32 s40, s29
	s_cbranch_execz .LBB96_146
; %bb.145:                              ;   in Loop: Header=BB96_3 Depth=1
	ds_load_b128 v[14:17], v2 offset:5808
	ds_load_b128 v[18:21], v2 offset:5280
	s_wait_dscnt 0x0
	v_mul_f64_e32 v[4:5], v[14:15], v[20:21]
	v_mul_f64_e32 v[20:21], v[16:17], v[20:21]
	s_delay_alu instid0(VALU_DEP_2) | instskip(NEXT) | instid1(VALU_DEP_2)
	v_fmac_f64_e32 v[4:5], v[16:17], v[18:19]
	v_fma_f64 v[20:21], v[14:15], v[18:19], -v[20:21]
	ds_load_b128 v[14:17], v2 offset:5296
	s_wait_dscnt 0x0
	v_mul_f64_e32 v[38:39], v[4:5], v[16:17]
	v_mul_f64_e32 v[18:19], v[20:21], v[16:17]
	s_delay_alu instid0(VALU_DEP_2) | instskip(NEXT) | instid1(VALU_DEP_2)
	v_fma_f64 v[16:17], v[14:15], v[20:21], -v[38:39]
	v_fmac_f64_e32 v[18:19], v[14:15], v[4:5]
	ds_store_b128 v2, v[16:19] offset:5296
	ds_store_b128 v2, v[16:19] offset:5792
.LBB96_146:                             ;   in Loop: Header=BB96_3 Depth=1
	s_or_b32 exec_lo, exec_lo, s40
	v_mov_b64_e32 v[16:17], 0
	v_mov_b64_e32 v[14:15], 0
	s_wait_dscnt 0x0
	s_barrier_signal -1
	s_barrier_wait -1
	s_and_saveexec_b32 s40, s4
	s_cbranch_execz .LBB96_152
; %bb.147:                              ;   in Loop: Header=BB96_3 Depth=1
	ds_load_b128 v[14:17], v44 offset:4224
	ds_load_b128 v[18:21], v50 offset:4288
	s_wait_dscnt 0x0
	v_mul_f64_e32 v[4:5], v[16:17], v[20:21]
	v_mul_f64_e32 v[20:21], v[14:15], v[20:21]
	s_delay_alu instid0(VALU_DEP_2) | instskip(NEXT) | instid1(VALU_DEP_2)
	v_fma_f64 v[4:5], v[14:15], v[18:19], -v[4:5]
	v_fmac_f64_e32 v[20:21], v[16:17], v[18:19]
	s_delay_alu instid0(VALU_DEP_2) | instskip(NEXT) | instid1(VALU_DEP_2)
	v_add_f64_e32 v[14:15], 0, v[4:5]
	v_add_f64_e32 v[16:17], 0, v[20:21]
	s_and_saveexec_b32 s41, s11
	s_cbranch_execnz .LBB96_558
; %bb.148:                              ;   in Loop: Header=BB96_3 Depth=1
	s_or_b32 exec_lo, exec_lo, s41
	s_and_saveexec_b32 s41, s12
	s_cbranch_execnz .LBB96_559
.LBB96_149:                             ;   in Loop: Header=BB96_3 Depth=1
	s_or_b32 exec_lo, exec_lo, s41
	s_and_saveexec_b32 s41, s2
	s_cbranch_execz .LBB96_151
.LBB96_150:                             ;   in Loop: Header=BB96_3 Depth=1
	ds_load_b128 v[18:21], v2 offset:4272
	ds_load_b128 v[202:205], v81 offset:5824
	s_wait_dscnt 0x0
	v_mul_f64_e32 v[4:5], v[20:21], v[204:205]
	s_delay_alu instid0(VALU_DEP_1) | instskip(SKIP_1) | instid1(VALU_DEP_2)
	v_fma_f64 v[4:5], v[18:19], v[202:203], -v[4:5]
	v_mul_f64_e32 v[18:19], v[18:19], v[204:205]
	v_add_f64_e32 v[14:15], v[14:15], v[4:5]
	s_delay_alu instid0(VALU_DEP_2) | instskip(NEXT) | instid1(VALU_DEP_1)
	v_fmac_f64_e32 v[18:19], v[20:21], v[202:203]
	v_add_f64_e32 v[16:17], v[16:17], v[18:19]
.LBB96_151:                             ;   in Loop: Header=BB96_3 Depth=1
	s_or_b32 exec_lo, exec_lo, s41
	s_delay_alu instid0(VALU_DEP_2) | instskip(NEXT) | instid1(VALU_DEP_2)
	v_xor_b32_e32 v15, 0x80000000, v15
	v_xor_b32_e32 v17, 0x80000000, v17
.LBB96_152:                             ;   in Loop: Header=BB96_3 Depth=1
	s_or_b32 exec_lo, exec_lo, s40
	s_and_saveexec_b32 s40, s68
	s_cbranch_execz .LBB96_154
; %bb.153:                              ;   in Loop: Header=BB96_3 Depth=1
	ds_load_b128 v[18:21], v2 offset:6336
	s_wait_dscnt 0x0
	v_mul_f64_e32 v[4:5], v[16:17], v[20:21]
	v_mul_f64_e32 v[204:205], v[14:15], v[20:21]
	s_delay_alu instid0(VALU_DEP_2) | instskip(NEXT) | instid1(VALU_DEP_2)
	v_fma_f64 v[202:203], v[14:15], v[18:19], -v[4:5]
	v_fmac_f64_e32 v[204:205], v[16:17], v[18:19]
	s_delay_alu instid0(VALU_DEP_2) | instskip(NEXT) | instid1(VALU_DEP_2)
	v_mov_b64_e32 v[14:15], v[202:203]
	v_mov_b64_e32 v[16:17], v[204:205]
	ds_store_b128 v49, v[202:205]
.LBB96_154:                             ;   in Loop: Header=BB96_3 Depth=1
	s_or_b32 exec_lo, exec_lo, s40
	s_wait_dscnt 0x0
	s_barrier_signal -1
	s_barrier_wait -1
	s_and_saveexec_b32 s40, s69
	s_cbranch_execz .LBB96_156
; %bb.155:                              ;   in Loop: Header=BB96_3 Depth=1
	ds_load_b128 v[18:21], v49
	ds_load_b128 v[202:205], v47 offset:6336
	s_wait_dscnt 0x0
	v_mul_f64_e32 v[4:5], v[20:21], v[204:205]
	s_delay_alu instid0(VALU_DEP_1) | instskip(SKIP_1) | instid1(VALU_DEP_2)
	v_fma_f64 v[4:5], v[18:19], v[202:203], -v[4:5]
	v_mul_f64_e32 v[18:19], v[18:19], v[204:205]
	v_add_f64_e32 v[14:15], v[14:15], v[4:5]
	s_delay_alu instid0(VALU_DEP_2) | instskip(NEXT) | instid1(VALU_DEP_1)
	v_fmac_f64_e32 v[18:19], v[20:21], v[202:203]
	v_add_f64_e32 v[16:17], v[16:17], v[18:19]
.LBB96_156:                             ;   in Loop: Header=BB96_3 Depth=1
	s_or_b32 exec_lo, exec_lo, s40
	s_barrier_signal -1
	s_barrier_wait -1
	s_and_saveexec_b32 s40, s70
	s_cbranch_execz .LBB96_158
; %bb.157:                              ;   in Loop: Header=BB96_3 Depth=1
	ds_load_b128 v[18:21], v2 offset:6864
	s_wait_dscnt 0x0
	v_mul_f64_e32 v[4:5], v[16:17], v[20:21]
	v_mul_f64_e32 v[204:205], v[14:15], v[20:21]
	s_delay_alu instid0(VALU_DEP_2) | instskip(NEXT) | instid1(VALU_DEP_2)
	v_fma_f64 v[202:203], v[14:15], v[18:19], -v[4:5]
	v_fmac_f64_e32 v[204:205], v[16:17], v[18:19]
	s_delay_alu instid0(VALU_DEP_2) | instskip(NEXT) | instid1(VALU_DEP_2)
	v_mov_b64_e32 v[14:15], v[202:203]
	v_mov_b64_e32 v[16:17], v[204:205]
	ds_store_b128 v49, v[202:205]
.LBB96_158:                             ;   in Loop: Header=BB96_3 Depth=1
	s_or_b32 exec_lo, exec_lo, s40
	s_wait_dscnt 0x0
	s_barrier_signal -1
	s_barrier_wait -1
	s_and_saveexec_b32 s40, s71
	s_cbranch_execz .LBB96_160
; %bb.159:                              ;   in Loop: Header=BB96_3 Depth=1
	ds_load_b128 v[18:21], v49
	ds_load_b128 v[202:205], v47 offset:6848
	s_wait_dscnt 0x0
	v_mul_f64_e32 v[4:5], v[20:21], v[204:205]
	s_delay_alu instid0(VALU_DEP_1) | instskip(SKIP_1) | instid1(VALU_DEP_2)
	v_fma_f64 v[4:5], v[18:19], v[202:203], -v[4:5]
	v_mul_f64_e32 v[18:19], v[18:19], v[204:205]
	v_add_f64_e32 v[14:15], v[14:15], v[4:5]
	s_delay_alu instid0(VALU_DEP_2) | instskip(NEXT) | instid1(VALU_DEP_1)
	v_fmac_f64_e32 v[18:19], v[20:21], v[202:203]
	v_add_f64_e32 v[16:17], v[16:17], v[18:19]
.LBB96_160:                             ;   in Loop: Header=BB96_3 Depth=1
	s_or_b32 exec_lo, exec_lo, s40
	s_barrier_signal -1
	s_barrier_wait -1
	;; [unrolled: 37-line block ×3, first 2 shown]
	s_and_saveexec_b32 s40, s73
	s_cbranch_execz .LBB96_166
; %bb.165:                              ;   in Loop: Header=BB96_3 Depth=1
	ds_load_b128 v[18:21], v2 offset:7920
	s_wait_dscnt 0x0
	v_mul_f64_e32 v[4:5], v[16:17], v[20:21]
	v_mul_f64_e32 v[204:205], v[14:15], v[20:21]
	s_delay_alu instid0(VALU_DEP_2) | instskip(NEXT) | instid1(VALU_DEP_2)
	v_fma_f64 v[202:203], v[14:15], v[18:19], -v[4:5]
	v_fmac_f64_e32 v[204:205], v[16:17], v[18:19]
	s_delay_alu instid0(VALU_DEP_2) | instskip(NEXT) | instid1(VALU_DEP_2)
	v_mov_b64_e32 v[14:15], v[202:203]
	v_mov_b64_e32 v[16:17], v[204:205]
	ds_store_b128 v49, v[202:205]
.LBB96_166:                             ;   in Loop: Header=BB96_3 Depth=1
	s_or_b32 exec_lo, exec_lo, s40
	s_wait_dscnt 0x0
	s_barrier_signal -1
	s_barrier_wait -1
	s_barrier_signal -1
	s_barrier_wait -1
	s_and_saveexec_b32 s40, s4
; %bb.167:                              ;   in Loop: Header=BB96_3 Depth=1
	s_delay_alu instid0(VALU_DEP_1) | instskip(NEXT) | instid1(VALU_DEP_4)
	v_xor_b32_e32 v17, 0x80000000, v17
	v_xor_b32_e32 v15, 0x80000000, v15
	ds_store_b128 v50, v[14:17] offset:4288
; %bb.168:                              ;   in Loop: Header=BB96_3 Depth=1
	s_or_b32 exec_lo, exec_lo, s40
	s_wait_dscnt 0x0
	s_barrier_signal -1
	s_barrier_wait -1
	s_barrier_signal -1
	s_barrier_wait -1
	s_and_saveexec_b32 s40, s74
	s_cbranch_execz .LBB96_170
; %bb.169:                              ;   in Loop: Header=BB96_3 Depth=1
	ds_load_b128 v[14:17], v93
	s_wait_dscnt 0x0
	ds_store_b128 v168, v[14:17]
	ds_load_b128 v[14:17], v96
	s_wait_dscnt 0x0
	ds_store_b128 v171, v[14:17]
	;; [unrolled: 3-line block ×4, first 2 shown]
.LBB96_170:                             ;   in Loop: Header=BB96_3 Depth=1
	s_or_b32 exec_lo, exec_lo, s40
	s_wait_dscnt 0x0
	s_barrier_signal -1
	s_barrier_wait -1
	s_and_saveexec_b32 s40, s29
	s_cbranch_execz .LBB96_172
; %bb.171:                              ;   in Loop: Header=BB96_3 Depth=1
	ds_load_b128 v[14:17], v2 offset:6864
	ds_load_b128 v[18:21], v2 offset:6336
	s_wait_dscnt 0x0
	v_mul_f64_e32 v[4:5], v[14:15], v[20:21]
	v_mul_f64_e32 v[20:21], v[16:17], v[20:21]
	s_delay_alu instid0(VALU_DEP_2) | instskip(NEXT) | instid1(VALU_DEP_2)
	v_fmac_f64_e32 v[4:5], v[16:17], v[18:19]
	v_fma_f64 v[20:21], v[14:15], v[18:19], -v[20:21]
	ds_load_b128 v[14:17], v2 offset:6352
	s_wait_dscnt 0x0
	v_mul_f64_e32 v[38:39], v[4:5], v[16:17]
	v_mul_f64_e32 v[18:19], v[20:21], v[16:17]
	s_delay_alu instid0(VALU_DEP_2) | instskip(NEXT) | instid1(VALU_DEP_2)
	v_fma_f64 v[16:17], v[14:15], v[20:21], -v[38:39]
	v_fmac_f64_e32 v[18:19], v[14:15], v[4:5]
	ds_store_b128 v2, v[16:19] offset:6352
	ds_store_b128 v2, v[16:19] offset:6848
.LBB96_172:                             ;   in Loop: Header=BB96_3 Depth=1
	s_or_b32 exec_lo, exec_lo, s40
	v_mov_b64_e32 v[16:17], 0
	v_mov_b64_e32 v[14:15], 0
	s_wait_dscnt 0x0
	s_barrier_signal -1
	s_barrier_wait -1
	s_and_saveexec_b32 s40, s2
	s_cbranch_execz .LBB96_176
; %bb.173:                              ;   in Loop: Header=BB96_3 Depth=1
	ds_load_b128 v[14:17], v42 offset:6336
	ds_load_b128 v[18:21], v41 offset:6368
	s_wait_dscnt 0x0
	v_mul_f64_e32 v[4:5], v[16:17], v[20:21]
	v_mul_f64_e32 v[20:21], v[14:15], v[20:21]
	s_delay_alu instid0(VALU_DEP_2) | instskip(NEXT) | instid1(VALU_DEP_2)
	v_fma_f64 v[4:5], v[14:15], v[18:19], -v[4:5]
	v_fmac_f64_e32 v[20:21], v[16:17], v[18:19]
	s_delay_alu instid0(VALU_DEP_2) | instskip(NEXT) | instid1(VALU_DEP_2)
	v_add_f64_e32 v[14:15], 0, v[4:5]
	v_add_f64_e32 v[16:17], 0, v[20:21]
	s_and_saveexec_b32 s41, s10
	s_cbranch_execz .LBB96_175
; %bb.174:                              ;   in Loop: Header=BB96_3 Depth=1
	ds_load_b128 v[18:21], v2 offset:6352
	ds_load_b128 v[202:205], v92 offset:6880
	s_wait_dscnt 0x0
	v_mul_f64_e32 v[4:5], v[20:21], v[204:205]
	s_delay_alu instid0(VALU_DEP_1) | instskip(SKIP_1) | instid1(VALU_DEP_2)
	v_fma_f64 v[4:5], v[18:19], v[202:203], -v[4:5]
	v_mul_f64_e32 v[18:19], v[18:19], v[204:205]
	v_add_f64_e32 v[14:15], v[14:15], v[4:5]
	s_delay_alu instid0(VALU_DEP_2) | instskip(NEXT) | instid1(VALU_DEP_1)
	v_fmac_f64_e32 v[18:19], v[20:21], v[202:203]
	v_add_f64_e32 v[16:17], v[16:17], v[18:19]
.LBB96_175:                             ;   in Loop: Header=BB96_3 Depth=1
	s_or_b32 exec_lo, exec_lo, s41
	s_delay_alu instid0(VALU_DEP_2) | instskip(NEXT) | instid1(VALU_DEP_2)
	v_xor_b32_e32 v15, 0x80000000, v15
	v_xor_b32_e32 v17, 0x80000000, v17
.LBB96_176:                             ;   in Loop: Header=BB96_3 Depth=1
	s_or_b32 exec_lo, exec_lo, s40
	s_and_saveexec_b32 s40, s65
	s_cbranch_execz .LBB96_178
; %bb.177:                              ;   in Loop: Header=BB96_3 Depth=1
	ds_load_b128 v[18:21], v2 offset:7392
	s_wait_dscnt 0x0
	v_mul_f64_e32 v[4:5], v[16:17], v[20:21]
	v_mul_f64_e32 v[204:205], v[14:15], v[20:21]
	s_delay_alu instid0(VALU_DEP_2) | instskip(NEXT) | instid1(VALU_DEP_2)
	v_fma_f64 v[202:203], v[14:15], v[18:19], -v[4:5]
	v_fmac_f64_e32 v[204:205], v[16:17], v[18:19]
	s_delay_alu instid0(VALU_DEP_2) | instskip(NEXT) | instid1(VALU_DEP_2)
	v_mov_b64_e32 v[14:15], v[202:203]
	v_mov_b64_e32 v[16:17], v[204:205]
	ds_store_b128 v23, v[202:205]
.LBB96_178:                             ;   in Loop: Header=BB96_3 Depth=1
	s_or_b32 exec_lo, exec_lo, s40
	s_wait_dscnt 0x0
	s_barrier_signal -1
	s_barrier_wait -1
	s_and_saveexec_b32 s40, s66
	s_cbranch_execz .LBB96_180
; %bb.179:                              ;   in Loop: Header=BB96_3 Depth=1
	ds_load_b128 v[18:21], v23
	ds_load_b128 v[202:205], v2 offset:7408
	s_wait_dscnt 0x0
	v_mul_f64_e32 v[4:5], v[20:21], v[204:205]
	s_delay_alu instid0(VALU_DEP_1) | instskip(SKIP_1) | instid1(VALU_DEP_2)
	v_fma_f64 v[4:5], v[18:19], v[202:203], -v[4:5]
	v_mul_f64_e32 v[18:19], v[18:19], v[204:205]
	v_add_f64_e32 v[14:15], v[14:15], v[4:5]
	s_delay_alu instid0(VALU_DEP_2) | instskip(NEXT) | instid1(VALU_DEP_1)
	v_fmac_f64_e32 v[18:19], v[20:21], v[202:203]
	v_add_f64_e32 v[16:17], v[16:17], v[18:19]
.LBB96_180:                             ;   in Loop: Header=BB96_3 Depth=1
	s_or_b32 exec_lo, exec_lo, s40
	s_barrier_signal -1
	s_barrier_wait -1
	s_and_saveexec_b32 s40, s66
	s_cbranch_execz .LBB96_182
; %bb.181:                              ;   in Loop: Header=BB96_3 Depth=1
	ds_load_b128 v[18:21], v2 offset:7920
	s_wait_dscnt 0x0
	v_mul_f64_e32 v[4:5], v[16:17], v[20:21]
	v_mul_f64_e32 v[204:205], v[14:15], v[20:21]
	s_delay_alu instid0(VALU_DEP_2) | instskip(NEXT) | instid1(VALU_DEP_2)
	v_fma_f64 v[202:203], v[14:15], v[18:19], -v[4:5]
	v_fmac_f64_e32 v[204:205], v[16:17], v[18:19]
	s_delay_alu instid0(VALU_DEP_2) | instskip(NEXT) | instid1(VALU_DEP_2)
	v_mov_b64_e32 v[14:15], v[202:203]
	v_mov_b64_e32 v[16:17], v[204:205]
	ds_store_b128 v23, v[202:205]
.LBB96_182:                             ;   in Loop: Header=BB96_3 Depth=1
	s_or_b32 exec_lo, exec_lo, s40
	s_wait_dscnt 0x0
	s_barrier_signal -1
	s_barrier_wait -1
	s_barrier_signal -1
	s_barrier_wait -1
	s_and_saveexec_b32 s40, s2
; %bb.183:                              ;   in Loop: Header=BB96_3 Depth=1
	s_delay_alu instid0(VALU_DEP_3) | instskip(NEXT) | instid1(VALU_DEP_2)
	v_xor_b32_e32 v15, 0x80000000, v15
	v_xor_b32_e32 v17, 0x80000000, v17
	ds_store_b128 v41, v[14:17] offset:6368
; %bb.184:                              ;   in Loop: Header=BB96_3 Depth=1
	s_or_b32 exec_lo, exec_lo, s40
	s_wait_dscnt 0x0
	s_barrier_signal -1
	s_barrier_wait -1
	s_barrier_signal -1
	s_barrier_wait -1
	s_and_saveexec_b32 s40, s67
	s_cbranch_execz .LBB96_186
; %bb.185:                              ;   in Loop: Header=BB96_3 Depth=1
	ds_load_b128 v[14:17], v103
	s_wait_dscnt 0x0
	ds_store_b128 v107, v[14:17]
	ds_load_b128 v[14:17], v104
	s_wait_dscnt 0x0
	ds_store_b128 v108, v[14:17]
.LBB96_186:                             ;   in Loop: Header=BB96_3 Depth=1
	s_or_b32 exec_lo, exec_lo, s40
	s_wait_dscnt 0x0
	s_barrier_signal -1
	s_barrier_wait -1
	s_and_saveexec_b32 s40, s29
	s_cbranch_execz .LBB96_188
; %bb.187:                              ;   in Loop: Header=BB96_3 Depth=1
	ds_load_b128 v[14:17], v2 offset:7920
	ds_load_b128 v[18:21], v2 offset:7392
	s_wait_dscnt 0x0
	v_mul_f64_e32 v[4:5], v[14:15], v[20:21]
	v_mul_f64_e32 v[20:21], v[16:17], v[20:21]
	s_delay_alu instid0(VALU_DEP_2) | instskip(NEXT) | instid1(VALU_DEP_2)
	v_fmac_f64_e32 v[4:5], v[16:17], v[18:19]
	v_fma_f64 v[20:21], v[14:15], v[18:19], -v[20:21]
	ds_load_b128 v[14:17], v2 offset:7408
	s_wait_dscnt 0x0
	v_mul_f64_e32 v[38:39], v[4:5], v[16:17]
	v_mul_f64_e32 v[18:19], v[20:21], v[16:17]
	s_delay_alu instid0(VALU_DEP_2) | instskip(NEXT) | instid1(VALU_DEP_2)
	v_fma_f64 v[16:17], v[14:15], v[20:21], -v[38:39]
	v_fmac_f64_e32 v[18:19], v[14:15], v[4:5]
	ds_store_b128 v2, v[16:19] offset:7408
	ds_store_b128 v2, v[16:19] offset:7904
.LBB96_188:                             ;   in Loop: Header=BB96_3 Depth=1
	s_or_b32 exec_lo, exec_lo, s40
	v_mov_b64_e32 v[16:17], 0
	v_mov_b64_e32 v[14:15], 0
	s_wait_dscnt 0x0
	s_barrier_signal -1
	s_barrier_wait -1
	s_and_saveexec_b32 s40, s6
	s_cbranch_execz .LBB96_216
; %bb.189:                              ;   in Loop: Header=BB96_3 Depth=1
	v_add_nc_u32_e32 v3, v66, v167
	ds_load_b128 v[14:17], v3
	ds_load_b128 v[18:21], v173 offset:256
	s_wait_dscnt 0x0
	v_mul_f64_e32 v[4:5], v[16:17], v[20:21]
	v_mul_f64_e32 v[20:21], v[14:15], v[20:21]
	s_delay_alu instid0(VALU_DEP_2) | instskip(NEXT) | instid1(VALU_DEP_2)
	v_fma_f64 v[4:5], v[14:15], v[18:19], -v[4:5]
	v_fmac_f64_e32 v[20:21], v[16:17], v[18:19]
	s_delay_alu instid0(VALU_DEP_2) | instskip(NEXT) | instid1(VALU_DEP_2)
	v_add_f64_e32 v[14:15], 0, v[4:5]
	v_add_f64_e32 v[16:17], 0, v[20:21]
	s_mov_b32 s41, exec_lo
	v_readlane_b32 s58, v208, 19
	s_and_b32 s58, s41, s58
	s_delay_alu instid0(SALU_CYCLE_1)
	s_mov_b32 exec_lo, s58
	s_cbranch_execz .LBB96_191
; %bb.190:                              ;   in Loop: Header=BB96_3 Depth=1
	ds_load_b128 v[18:21], v3 offset:16
	ds_load_b128 v[202:205], v173 offset:768
	s_wait_dscnt 0x0
	v_mul_f64_e32 v[4:5], v[20:21], v[204:205]
	s_delay_alu instid0(VALU_DEP_1) | instskip(SKIP_1) | instid1(VALU_DEP_2)
	v_fma_f64 v[4:5], v[18:19], v[202:203], -v[4:5]
	v_mul_f64_e32 v[18:19], v[18:19], v[204:205]
	v_add_f64_e32 v[14:15], v[14:15], v[4:5]
	s_delay_alu instid0(VALU_DEP_2) | instskip(NEXT) | instid1(VALU_DEP_1)
	v_fmac_f64_e32 v[18:19], v[20:21], v[202:203]
	v_add_f64_e32 v[16:17], v[16:17], v[18:19]
.LBB96_191:                             ;   in Loop: Header=BB96_3 Depth=1
	s_or_b32 exec_lo, exec_lo, s41
	s_delay_alu instid0(SALU_CYCLE_1) | instskip(SKIP_2) | instid1(SALU_CYCLE_1)
	s_mov_b32 s41, exec_lo
	v_readlane_b32 s58, v208, 20
	s_and_b32 s58, s41, s58
	s_mov_b32 exec_lo, s58
	s_cbranch_execz .LBB96_193
; %bb.192:                              ;   in Loop: Header=BB96_3 Depth=1
	ds_load_b128 v[18:21], v3 offset:32
	ds_load_b128 v[202:205], v173 offset:1280
	s_wait_dscnt 0x0
	v_mul_f64_e32 v[4:5], v[20:21], v[204:205]
	s_delay_alu instid0(VALU_DEP_1) | instskip(SKIP_1) | instid1(VALU_DEP_2)
	v_fma_f64 v[4:5], v[18:19], v[202:203], -v[4:5]
	v_mul_f64_e32 v[18:19], v[18:19], v[204:205]
	v_add_f64_e32 v[14:15], v[14:15], v[4:5]
	s_delay_alu instid0(VALU_DEP_2) | instskip(NEXT) | instid1(VALU_DEP_1)
	v_fmac_f64_e32 v[18:19], v[20:21], v[202:203]
	v_add_f64_e32 v[16:17], v[16:17], v[18:19]
.LBB96_193:                             ;   in Loop: Header=BB96_3 Depth=1
	s_or_b32 exec_lo, exec_lo, s41
	s_delay_alu instid0(SALU_CYCLE_1) | instskip(SKIP_2) | instid1(SALU_CYCLE_1)
	s_mov_b32 s41, exec_lo
	v_readlane_b32 s58, v208, 21
	s_and_b32 s58, s41, s58
	;; [unrolled: 20-line block ×10, first 2 shown]
	s_mov_b32 exec_lo, s58
	s_cbranch_execnz .LBB96_560
; %bb.210:                              ;   in Loop: Header=BB96_3 Depth=1
	s_or_b32 exec_lo, exec_lo, s41
	s_and_saveexec_b32 s41, s5
	s_cbranch_execnz .LBB96_561
.LBB96_211:                             ;   in Loop: Header=BB96_3 Depth=1
	s_or_b32 exec_lo, exec_lo, s41
	s_and_saveexec_b32 s41, s14
	s_cbranch_execnz .LBB96_562
.LBB96_212:                             ;   in Loop: Header=BB96_3 Depth=1
	s_or_b32 exec_lo, exec_lo, s41
	s_and_saveexec_b32 s41, s16
	s_cbranch_execnz .LBB96_563
.LBB96_213:                             ;   in Loop: Header=BB96_3 Depth=1
	s_or_b32 exec_lo, exec_lo, s41
	s_and_saveexec_b32 s41, s4
	s_cbranch_execz .LBB96_215
.LBB96_214:                             ;   in Loop: Header=BB96_3 Depth=1
	ds_load_b128 v[18:21], v2 offset:240
	ds_load_b128 v[202:205], v43 offset:7936
	s_wait_dscnt 0x0
	v_mul_f64_e32 v[4:5], v[20:21], v[204:205]
	s_delay_alu instid0(VALU_DEP_1) | instskip(SKIP_1) | instid1(VALU_DEP_2)
	v_fma_f64 v[4:5], v[18:19], v[202:203], -v[4:5]
	v_mul_f64_e32 v[18:19], v[18:19], v[204:205]
	v_add_f64_e32 v[14:15], v[14:15], v[4:5]
	s_delay_alu instid0(VALU_DEP_2) | instskip(NEXT) | instid1(VALU_DEP_1)
	v_fmac_f64_e32 v[18:19], v[20:21], v[202:203]
	v_add_f64_e32 v[16:17], v[16:17], v[18:19]
.LBB96_215:                             ;   in Loop: Header=BB96_3 Depth=1
	s_or_b32 exec_lo, exec_lo, s41
	s_delay_alu instid0(VALU_DEP_3) | instskip(NEXT) | instid1(VALU_DEP_2)
	v_xor_b32_e32 v15, 0x80000000, v15
	v_xor_b32_e32 v17, 0x80000000, v17
.LBB96_216:                             ;   in Loop: Header=BB96_3 Depth=1
	s_or_b32 exec_lo, exec_lo, s40
	s_delay_alu instid0(SALU_CYCLE_1) | instskip(SKIP_2) | instid1(SALU_CYCLE_1)
	s_mov_b32 s40, exec_lo
	v_readlane_b32 s41, v208, 0
	s_and_b32 s41, s40, s41
	s_mov_b32 exec_lo, s41
	s_cbranch_execz .LBB96_218
; %bb.217:                              ;   in Loop: Header=BB96_3 Depth=1
	ds_load_b128 v[18:21], v2 offset:8448
	s_wait_dscnt 0x0
	v_mul_f64_e32 v[4:5], v[16:17], v[20:21]
	v_mul_f64_e32 v[204:205], v[14:15], v[20:21]
	s_delay_alu instid0(VALU_DEP_2) | instskip(NEXT) | instid1(VALU_DEP_2)
	v_fma_f64 v[202:203], v[14:15], v[18:19], -v[4:5]
	v_fmac_f64_e32 v[204:205], v[16:17], v[18:19]
	s_delay_alu instid0(VALU_DEP_2) | instskip(NEXT) | instid1(VALU_DEP_2)
	v_mov_b64_e32 v[14:15], v[202:203]
	v_mov_b64_e32 v[16:17], v[204:205]
	ds_store_b128 v172, v[202:205]
.LBB96_218:                             ;   in Loop: Header=BB96_3 Depth=1
	s_or_b32 exec_lo, exec_lo, s40
	s_wait_dscnt 0x0
	s_barrier_signal -1
	s_barrier_wait -1
	s_mov_b32 s40, exec_lo
	v_readlane_b32 s41, v208, 1
	s_and_b32 s41, s40, s41
	s_delay_alu instid0(SALU_CYCLE_1)
	s_mov_b32 exec_lo, s41
	s_cbranch_execz .LBB96_220
; %bb.219:                              ;   in Loop: Header=BB96_3 Depth=1
	ds_load_b128 v[18:21], v172
	ds_load_b128 v[202:205], v67 offset:8448
	s_wait_dscnt 0x0
	v_mul_f64_e32 v[4:5], v[20:21], v[204:205]
	s_delay_alu instid0(VALU_DEP_1) | instskip(SKIP_1) | instid1(VALU_DEP_2)
	v_fma_f64 v[4:5], v[18:19], v[202:203], -v[4:5]
	v_mul_f64_e32 v[18:19], v[18:19], v[204:205]
	v_add_f64_e32 v[14:15], v[14:15], v[4:5]
	s_delay_alu instid0(VALU_DEP_2) | instskip(NEXT) | instid1(VALU_DEP_1)
	v_fmac_f64_e32 v[18:19], v[20:21], v[202:203]
	v_add_f64_e32 v[16:17], v[16:17], v[18:19]
.LBB96_220:                             ;   in Loop: Header=BB96_3 Depth=1
	s_or_b32 exec_lo, exec_lo, s40
	s_barrier_signal -1
	s_barrier_wait -1
	s_mov_b32 s40, exec_lo
	v_readlane_b32 s41, v208, 2
	s_and_b32 s41, s40, s41
	s_delay_alu instid0(SALU_CYCLE_1)
	s_mov_b32 exec_lo, s41
	s_cbranch_execz .LBB96_222
; %bb.221:                              ;   in Loop: Header=BB96_3 Depth=1
	ds_load_b128 v[18:21], v2 offset:8976
	s_wait_dscnt 0x0
	v_mul_f64_e32 v[4:5], v[16:17], v[20:21]
	v_mul_f64_e32 v[204:205], v[14:15], v[20:21]
	s_delay_alu instid0(VALU_DEP_2) | instskip(NEXT) | instid1(VALU_DEP_2)
	v_fma_f64 v[202:203], v[14:15], v[18:19], -v[4:5]
	v_fmac_f64_e32 v[204:205], v[16:17], v[18:19]
	s_delay_alu instid0(VALU_DEP_2) | instskip(NEXT) | instid1(VALU_DEP_2)
	v_mov_b64_e32 v[14:15], v[202:203]
	v_mov_b64_e32 v[16:17], v[204:205]
	ds_store_b128 v172, v[202:205]
.LBB96_222:                             ;   in Loop: Header=BB96_3 Depth=1
	s_or_b32 exec_lo, exec_lo, s40
	s_wait_dscnt 0x0
	s_barrier_signal -1
	s_barrier_wait -1
	s_mov_b32 s40, exec_lo
	v_readlane_b32 s41, v208, 3
	s_and_b32 s41, s40, s41
	s_delay_alu instid0(SALU_CYCLE_1)
	s_mov_b32 exec_lo, s41
	s_cbranch_execz .LBB96_224
; %bb.223:                              ;   in Loop: Header=BB96_3 Depth=1
	ds_load_b128 v[18:21], v172
	ds_load_b128 v[202:205], v67 offset:8960
	s_wait_dscnt 0x0
	v_mul_f64_e32 v[4:5], v[20:21], v[204:205]
	s_delay_alu instid0(VALU_DEP_1) | instskip(SKIP_1) | instid1(VALU_DEP_2)
	v_fma_f64 v[4:5], v[18:19], v[202:203], -v[4:5]
	v_mul_f64_e32 v[18:19], v[18:19], v[204:205]
	v_add_f64_e32 v[14:15], v[14:15], v[4:5]
	s_delay_alu instid0(VALU_DEP_2) | instskip(NEXT) | instid1(VALU_DEP_1)
	v_fmac_f64_e32 v[18:19], v[20:21], v[202:203]
	v_add_f64_e32 v[16:17], v[16:17], v[18:19]
.LBB96_224:                             ;   in Loop: Header=BB96_3 Depth=1
	s_or_b32 exec_lo, exec_lo, s40
	s_barrier_signal -1
	s_barrier_wait -1
	s_mov_b32 s40, exec_lo
	v_readlane_b32 s41, v208, 4
	s_and_b32 s41, s40, s41
	s_delay_alu instid0(SALU_CYCLE_1)
	;; [unrolled: 45-line block ×6, first 2 shown]
	s_mov_b32 exec_lo, s41
	s_cbranch_execz .LBB96_242
; %bb.241:                              ;   in Loop: Header=BB96_3 Depth=1
	ds_load_b128 v[18:21], v2 offset:11616
	s_wait_dscnt 0x0
	v_mul_f64_e32 v[4:5], v[16:17], v[20:21]
	v_mul_f64_e32 v[204:205], v[14:15], v[20:21]
	s_delay_alu instid0(VALU_DEP_2) | instskip(NEXT) | instid1(VALU_DEP_2)
	v_fma_f64 v[202:203], v[14:15], v[18:19], -v[4:5]
	v_fmac_f64_e32 v[204:205], v[16:17], v[18:19]
	s_delay_alu instid0(VALU_DEP_2) | instskip(NEXT) | instid1(VALU_DEP_2)
	v_mov_b64_e32 v[14:15], v[202:203]
	v_mov_b64_e32 v[16:17], v[204:205]
	ds_store_b128 v172, v[202:205]
.LBB96_242:                             ;   in Loop: Header=BB96_3 Depth=1
	s_or_b32 exec_lo, exec_lo, s40
	s_wait_dscnt 0x0
	s_barrier_signal -1
	s_barrier_wait -1
	s_mov_b32 s40, exec_lo
	v_readlane_b32 s41, v208, 13
	s_and_b32 s41, s40, s41
	s_delay_alu instid0(SALU_CYCLE_1)
	s_mov_b32 exec_lo, s41
	s_cbranch_execz .LBB96_244
; %bb.243:                              ;   in Loop: Header=BB96_3 Depth=1
	ds_load_b128 v[18:21], v172
	ds_load_b128 v[202:205], v67 offset:11520
	s_wait_dscnt 0x0
	v_mul_f64_e32 v[4:5], v[20:21], v[204:205]
	s_delay_alu instid0(VALU_DEP_1) | instskip(SKIP_1) | instid1(VALU_DEP_2)
	v_fma_f64 v[4:5], v[18:19], v[202:203], -v[4:5]
	v_mul_f64_e32 v[18:19], v[18:19], v[204:205]
	v_add_f64_e32 v[14:15], v[14:15], v[4:5]
	s_delay_alu instid0(VALU_DEP_2) | instskip(NEXT) | instid1(VALU_DEP_1)
	v_fmac_f64_e32 v[18:19], v[20:21], v[202:203]
	v_add_f64_e32 v[16:17], v[16:17], v[18:19]
.LBB96_244:                             ;   in Loop: Header=BB96_3 Depth=1
	s_or_b32 exec_lo, exec_lo, s40
	s_barrier_signal -1
	s_barrier_wait -1
	s_and_saveexec_b32 s40, s104
	s_cbranch_execz .LBB96_246
; %bb.245:                              ;   in Loop: Header=BB96_3 Depth=1
	ds_load_b128 v[18:21], v2 offset:12144
	s_wait_dscnt 0x0
	v_mul_f64_e32 v[4:5], v[16:17], v[20:21]
	v_mul_f64_e32 v[204:205], v[14:15], v[20:21]
	s_delay_alu instid0(VALU_DEP_2) | instskip(NEXT) | instid1(VALU_DEP_2)
	v_fma_f64 v[202:203], v[14:15], v[18:19], -v[4:5]
	v_fmac_f64_e32 v[204:205], v[16:17], v[18:19]
	s_delay_alu instid0(VALU_DEP_2) | instskip(NEXT) | instid1(VALU_DEP_2)
	v_mov_b64_e32 v[14:15], v[202:203]
	v_mov_b64_e32 v[16:17], v[204:205]
	ds_store_b128 v172, v[202:205]
.LBB96_246:                             ;   in Loop: Header=BB96_3 Depth=1
	s_or_b32 exec_lo, exec_lo, s40
	s_wait_dscnt 0x0
	s_barrier_signal -1
	s_barrier_wait -1
	s_and_saveexec_b32 s40, vcc_hi
	s_cbranch_execz .LBB96_248
; %bb.247:                              ;   in Loop: Header=BB96_3 Depth=1
	ds_load_b128 v[18:21], v172
	ds_load_b128 v[202:205], v67 offset:12032
	s_wait_dscnt 0x0
	v_mul_f64_e32 v[4:5], v[20:21], v[204:205]
	s_delay_alu instid0(VALU_DEP_1) | instskip(SKIP_1) | instid1(VALU_DEP_2)
	v_fma_f64 v[4:5], v[18:19], v[202:203], -v[4:5]
	v_mul_f64_e32 v[18:19], v[18:19], v[204:205]
	v_add_f64_e32 v[14:15], v[14:15], v[4:5]
	s_delay_alu instid0(VALU_DEP_2) | instskip(NEXT) | instid1(VALU_DEP_1)
	v_fmac_f64_e32 v[18:19], v[20:21], v[202:203]
	v_add_f64_e32 v[16:17], v[16:17], v[18:19]
.LBB96_248:                             ;   in Loop: Header=BB96_3 Depth=1
	s_or_b32 exec_lo, exec_lo, s40
	s_barrier_signal -1
	s_barrier_wait -1
	s_and_saveexec_b32 s40, s18
	s_cbranch_execz .LBB96_250
; %bb.249:                              ;   in Loop: Header=BB96_3 Depth=1
	ds_load_b128 v[18:21], v2 offset:12672
	s_wait_dscnt 0x0
	v_mul_f64_e32 v[4:5], v[16:17], v[20:21]
	v_mul_f64_e32 v[204:205], v[14:15], v[20:21]
	s_delay_alu instid0(VALU_DEP_2) | instskip(NEXT) | instid1(VALU_DEP_2)
	v_fma_f64 v[202:203], v[14:15], v[18:19], -v[4:5]
	v_fmac_f64_e32 v[204:205], v[16:17], v[18:19]
	s_delay_alu instid0(VALU_DEP_2) | instskip(NEXT) | instid1(VALU_DEP_2)
	v_mov_b64_e32 v[14:15], v[202:203]
	v_mov_b64_e32 v[16:17], v[204:205]
	ds_store_b128 v172, v[202:205]
.LBB96_250:                             ;   in Loop: Header=BB96_3 Depth=1
	s_or_b32 exec_lo, exec_lo, s40
	s_wait_dscnt 0x0
	s_barrier_signal -1
	s_barrier_wait -1
	s_and_saveexec_b32 s40, s19
	s_cbranch_execz .LBB96_252
; %bb.251:                              ;   in Loop: Header=BB96_3 Depth=1
	ds_load_b128 v[18:21], v172
	ds_load_b128 v[202:205], v67 offset:12544
	s_wait_dscnt 0x0
	v_mul_f64_e32 v[4:5], v[20:21], v[204:205]
	s_delay_alu instid0(VALU_DEP_1) | instskip(SKIP_1) | instid1(VALU_DEP_2)
	v_fma_f64 v[4:5], v[18:19], v[202:203], -v[4:5]
	v_mul_f64_e32 v[18:19], v[18:19], v[204:205]
	v_add_f64_e32 v[14:15], v[14:15], v[4:5]
	s_delay_alu instid0(VALU_DEP_2) | instskip(NEXT) | instid1(VALU_DEP_1)
	v_fmac_f64_e32 v[18:19], v[20:21], v[202:203]
	v_add_f64_e32 v[16:17], v[16:17], v[18:19]
.LBB96_252:                             ;   in Loop: Header=BB96_3 Depth=1
	s_or_b32 exec_lo, exec_lo, s40
	s_barrier_signal -1
	s_barrier_wait -1
	s_and_saveexec_b32 s40, s20
	s_cbranch_execz .LBB96_254
; %bb.253:                              ;   in Loop: Header=BB96_3 Depth=1
	ds_load_b128 v[18:21], v2 offset:13200
	s_wait_dscnt 0x0
	v_mul_f64_e32 v[4:5], v[16:17], v[20:21]
	v_mul_f64_e32 v[204:205], v[14:15], v[20:21]
	s_delay_alu instid0(VALU_DEP_2) | instskip(NEXT) | instid1(VALU_DEP_2)
	v_fma_f64 v[202:203], v[14:15], v[18:19], -v[4:5]
	v_fmac_f64_e32 v[204:205], v[16:17], v[18:19]
	s_delay_alu instid0(VALU_DEP_2) | instskip(NEXT) | instid1(VALU_DEP_2)
	v_mov_b64_e32 v[14:15], v[202:203]
	v_mov_b64_e32 v[16:17], v[204:205]
	ds_store_b128 v172, v[202:205]
.LBB96_254:                             ;   in Loop: Header=BB96_3 Depth=1
	s_or_b32 exec_lo, exec_lo, s40
	s_wait_dscnt 0x0
	s_barrier_signal -1
	s_barrier_wait -1
	s_and_saveexec_b32 s40, s21
	s_cbranch_execz .LBB96_256
; %bb.255:                              ;   in Loop: Header=BB96_3 Depth=1
	ds_load_b128 v[18:21], v172
	ds_load_b128 v[202:205], v67 offset:13056
	s_wait_dscnt 0x0
	v_mul_f64_e32 v[4:5], v[20:21], v[204:205]
	s_delay_alu instid0(VALU_DEP_1) | instskip(SKIP_1) | instid1(VALU_DEP_2)
	v_fma_f64 v[4:5], v[18:19], v[202:203], -v[4:5]
	v_mul_f64_e32 v[18:19], v[18:19], v[204:205]
	v_add_f64_e32 v[14:15], v[14:15], v[4:5]
	s_delay_alu instid0(VALU_DEP_2) | instskip(NEXT) | instid1(VALU_DEP_1)
	v_fmac_f64_e32 v[18:19], v[20:21], v[202:203]
	v_add_f64_e32 v[16:17], v[16:17], v[18:19]
.LBB96_256:                             ;   in Loop: Header=BB96_3 Depth=1
	s_or_b32 exec_lo, exec_lo, s40
	s_barrier_signal -1
	s_barrier_wait -1
	s_and_saveexec_b32 s40, s22
	s_cbranch_execz .LBB96_258
; %bb.257:                              ;   in Loop: Header=BB96_3 Depth=1
	ds_load_b128 v[18:21], v2 offset:13728
	s_wait_dscnt 0x0
	v_mul_f64_e32 v[4:5], v[16:17], v[20:21]
	v_mul_f64_e32 v[204:205], v[14:15], v[20:21]
	s_delay_alu instid0(VALU_DEP_2) | instskip(NEXT) | instid1(VALU_DEP_2)
	v_fma_f64 v[202:203], v[14:15], v[18:19], -v[4:5]
	v_fmac_f64_e32 v[204:205], v[16:17], v[18:19]
	s_delay_alu instid0(VALU_DEP_2) | instskip(NEXT) | instid1(VALU_DEP_2)
	v_mov_b64_e32 v[14:15], v[202:203]
	v_mov_b64_e32 v[16:17], v[204:205]
	ds_store_b128 v172, v[202:205]
.LBB96_258:                             ;   in Loop: Header=BB96_3 Depth=1
	s_or_b32 exec_lo, exec_lo, s40
	s_wait_dscnt 0x0
	s_barrier_signal -1
	s_barrier_wait -1
	s_and_saveexec_b32 s40, s23
	s_cbranch_execz .LBB96_260
; %bb.259:                              ;   in Loop: Header=BB96_3 Depth=1
	ds_load_b128 v[18:21], v172
	ds_load_b128 v[202:205], v67 offset:13568
	s_wait_dscnt 0x0
	v_mul_f64_e32 v[4:5], v[20:21], v[204:205]
	s_delay_alu instid0(VALU_DEP_1) | instskip(SKIP_1) | instid1(VALU_DEP_2)
	v_fma_f64 v[4:5], v[18:19], v[202:203], -v[4:5]
	v_mul_f64_e32 v[18:19], v[18:19], v[204:205]
	v_add_f64_e32 v[14:15], v[14:15], v[4:5]
	s_delay_alu instid0(VALU_DEP_2) | instskip(NEXT) | instid1(VALU_DEP_1)
	v_fmac_f64_e32 v[18:19], v[20:21], v[202:203]
	v_add_f64_e32 v[16:17], v[16:17], v[18:19]
.LBB96_260:                             ;   in Loop: Header=BB96_3 Depth=1
	s_or_b32 exec_lo, exec_lo, s40
	s_barrier_signal -1
	s_barrier_wait -1
	s_and_saveexec_b32 s40, s24
	s_cbranch_execz .LBB96_262
; %bb.261:                              ;   in Loop: Header=BB96_3 Depth=1
	ds_load_b128 v[18:21], v2 offset:14256
	s_wait_dscnt 0x0
	v_mul_f64_e32 v[4:5], v[16:17], v[20:21]
	v_mul_f64_e32 v[204:205], v[14:15], v[20:21]
	s_delay_alu instid0(VALU_DEP_2) | instskip(NEXT) | instid1(VALU_DEP_2)
	v_fma_f64 v[202:203], v[14:15], v[18:19], -v[4:5]
	v_fmac_f64_e32 v[204:205], v[16:17], v[18:19]
	s_delay_alu instid0(VALU_DEP_2) | instskip(NEXT) | instid1(VALU_DEP_2)
	v_mov_b64_e32 v[14:15], v[202:203]
	v_mov_b64_e32 v[16:17], v[204:205]
	ds_store_b128 v172, v[202:205]
.LBB96_262:                             ;   in Loop: Header=BB96_3 Depth=1
	s_or_b32 exec_lo, exec_lo, s40
	s_wait_dscnt 0x0
	s_barrier_signal -1
	s_barrier_wait -1
	s_and_saveexec_b32 s40, s25
	s_cbranch_execz .LBB96_264
; %bb.263:                              ;   in Loop: Header=BB96_3 Depth=1
	ds_load_b128 v[18:21], v172
	ds_load_b128 v[202:205], v67 offset:14080
	s_wait_dscnt 0x0
	v_mul_f64_e32 v[4:5], v[20:21], v[204:205]
	s_delay_alu instid0(VALU_DEP_1) | instskip(SKIP_1) | instid1(VALU_DEP_2)
	v_fma_f64 v[4:5], v[18:19], v[202:203], -v[4:5]
	v_mul_f64_e32 v[18:19], v[18:19], v[204:205]
	v_add_f64_e32 v[14:15], v[14:15], v[4:5]
	s_delay_alu instid0(VALU_DEP_2) | instskip(NEXT) | instid1(VALU_DEP_1)
	v_fmac_f64_e32 v[18:19], v[20:21], v[202:203]
	v_add_f64_e32 v[16:17], v[16:17], v[18:19]
.LBB96_264:                             ;   in Loop: Header=BB96_3 Depth=1
	s_or_b32 exec_lo, exec_lo, s40
	s_barrier_signal -1
	s_barrier_wait -1
	s_and_saveexec_b32 s40, s26
	s_cbranch_execz .LBB96_266
; %bb.265:                              ;   in Loop: Header=BB96_3 Depth=1
	ds_load_b128 v[18:21], v2 offset:14784
	s_wait_dscnt 0x0
	v_mul_f64_e32 v[4:5], v[16:17], v[20:21]
	v_mul_f64_e32 v[204:205], v[14:15], v[20:21]
	s_delay_alu instid0(VALU_DEP_2) | instskip(NEXT) | instid1(VALU_DEP_2)
	v_fma_f64 v[202:203], v[14:15], v[18:19], -v[4:5]
	v_fmac_f64_e32 v[204:205], v[16:17], v[18:19]
	s_delay_alu instid0(VALU_DEP_2) | instskip(NEXT) | instid1(VALU_DEP_2)
	v_mov_b64_e32 v[14:15], v[202:203]
	v_mov_b64_e32 v[16:17], v[204:205]
	ds_store_b128 v172, v[202:205]
.LBB96_266:                             ;   in Loop: Header=BB96_3 Depth=1
	s_or_b32 exec_lo, exec_lo, s40
	s_wait_dscnt 0x0
	s_barrier_signal -1
	s_barrier_wait -1
	s_and_saveexec_b32 s40, s27
	s_cbranch_execz .LBB96_268
; %bb.267:                              ;   in Loop: Header=BB96_3 Depth=1
	ds_load_b128 v[18:21], v172
	ds_load_b128 v[202:205], v67 offset:14592
	s_wait_dscnt 0x0
	v_mul_f64_e32 v[4:5], v[20:21], v[204:205]
	s_delay_alu instid0(VALU_DEP_1) | instskip(SKIP_1) | instid1(VALU_DEP_2)
	v_fma_f64 v[4:5], v[18:19], v[202:203], -v[4:5]
	v_mul_f64_e32 v[18:19], v[18:19], v[204:205]
	v_add_f64_e32 v[14:15], v[14:15], v[4:5]
	s_delay_alu instid0(VALU_DEP_2) | instskip(NEXT) | instid1(VALU_DEP_1)
	v_fmac_f64_e32 v[18:19], v[20:21], v[202:203]
	v_add_f64_e32 v[16:17], v[16:17], v[18:19]
.LBB96_268:                             ;   in Loop: Header=BB96_3 Depth=1
	s_or_b32 exec_lo, exec_lo, s40
	s_barrier_signal -1
	s_barrier_wait -1
	s_and_saveexec_b32 s40, s28
	s_cbranch_execz .LBB96_270
; %bb.269:                              ;   in Loop: Header=BB96_3 Depth=1
	ds_load_b128 v[18:21], v2 offset:15312
	s_wait_dscnt 0x0
	v_mul_f64_e32 v[4:5], v[16:17], v[20:21]
	v_mul_f64_e32 v[204:205], v[14:15], v[20:21]
	s_delay_alu instid0(VALU_DEP_2) | instskip(NEXT) | instid1(VALU_DEP_2)
	v_fma_f64 v[202:203], v[14:15], v[18:19], -v[4:5]
	v_fmac_f64_e32 v[204:205], v[16:17], v[18:19]
	s_delay_alu instid0(VALU_DEP_2) | instskip(NEXT) | instid1(VALU_DEP_2)
	v_mov_b64_e32 v[14:15], v[202:203]
	v_mov_b64_e32 v[16:17], v[204:205]
	ds_store_b128 v172, v[202:205]
.LBB96_270:                             ;   in Loop: Header=BB96_3 Depth=1
	s_or_b32 exec_lo, exec_lo, s40
	s_wait_dscnt 0x0
	s_barrier_signal -1
	s_barrier_wait -1
	s_and_saveexec_b32 s40, s30
	s_cbranch_execz .LBB96_272
; %bb.271:                              ;   in Loop: Header=BB96_3 Depth=1
	ds_load_b128 v[18:21], v172
	ds_load_b128 v[202:205], v67 offset:15104
	s_wait_dscnt 0x0
	v_mul_f64_e32 v[4:5], v[20:21], v[204:205]
	s_delay_alu instid0(VALU_DEP_1) | instskip(SKIP_1) | instid1(VALU_DEP_2)
	v_fma_f64 v[4:5], v[18:19], v[202:203], -v[4:5]
	v_mul_f64_e32 v[18:19], v[18:19], v[204:205]
	v_add_f64_e32 v[14:15], v[14:15], v[4:5]
	s_delay_alu instid0(VALU_DEP_2) | instskip(NEXT) | instid1(VALU_DEP_1)
	v_fmac_f64_e32 v[18:19], v[20:21], v[202:203]
	v_add_f64_e32 v[16:17], v[16:17], v[18:19]
.LBB96_272:                             ;   in Loop: Header=BB96_3 Depth=1
	s_or_b32 exec_lo, exec_lo, s40
	s_barrier_signal -1
	s_barrier_wait -1
	s_and_saveexec_b32 s40, s31
	s_cbranch_execz .LBB96_274
; %bb.273:                              ;   in Loop: Header=BB96_3 Depth=1
	ds_load_b128 v[18:21], v2 offset:15840
	s_wait_dscnt 0x0
	v_mul_f64_e32 v[4:5], v[16:17], v[20:21]
	v_mul_f64_e32 v[204:205], v[14:15], v[20:21]
	s_delay_alu instid0(VALU_DEP_2) | instskip(NEXT) | instid1(VALU_DEP_2)
	v_fma_f64 v[202:203], v[14:15], v[18:19], -v[4:5]
	v_fmac_f64_e32 v[204:205], v[16:17], v[18:19]
	s_delay_alu instid0(VALU_DEP_2) | instskip(NEXT) | instid1(VALU_DEP_2)
	v_mov_b64_e32 v[14:15], v[202:203]
	v_mov_b64_e32 v[16:17], v[204:205]
	ds_store_b128 v172, v[202:205]
.LBB96_274:                             ;   in Loop: Header=BB96_3 Depth=1
	s_or_b32 exec_lo, exec_lo, s40
	s_wait_dscnt 0x0
	s_barrier_signal -1
	s_barrier_wait -1
	s_and_saveexec_b32 s40, s8
	s_cbranch_execz .LBB96_276
; %bb.275:                              ;   in Loop: Header=BB96_3 Depth=1
	ds_load_b128 v[18:21], v172
	ds_load_b128 v[202:205], v2 offset:15856
	s_wait_dscnt 0x0
	v_mul_f64_e32 v[4:5], v[20:21], v[204:205]
	s_delay_alu instid0(VALU_DEP_1) | instskip(SKIP_1) | instid1(VALU_DEP_2)
	v_fma_f64 v[4:5], v[18:19], v[202:203], -v[4:5]
	v_mul_f64_e32 v[18:19], v[18:19], v[204:205]
	v_add_f64_e32 v[14:15], v[14:15], v[4:5]
	s_delay_alu instid0(VALU_DEP_2) | instskip(NEXT) | instid1(VALU_DEP_1)
	v_fmac_f64_e32 v[18:19], v[20:21], v[202:203]
	v_add_f64_e32 v[16:17], v[16:17], v[18:19]
.LBB96_276:                             ;   in Loop: Header=BB96_3 Depth=1
	s_or_b32 exec_lo, exec_lo, s40
	s_barrier_signal -1
	s_barrier_wait -1
	s_and_saveexec_b32 s40, s8
	s_cbranch_execz .LBB96_278
; %bb.277:                              ;   in Loop: Header=BB96_3 Depth=1
	ds_load_b128 v[18:21], v2 offset:16368
	s_wait_dscnt 0x0
	v_mul_f64_e32 v[4:5], v[16:17], v[20:21]
	v_mul_f64_e32 v[204:205], v[14:15], v[20:21]
	s_delay_alu instid0(VALU_DEP_2) | instskip(NEXT) | instid1(VALU_DEP_2)
	v_fma_f64 v[202:203], v[14:15], v[18:19], -v[4:5]
	v_fmac_f64_e32 v[204:205], v[16:17], v[18:19]
	s_delay_alu instid0(VALU_DEP_2) | instskip(NEXT) | instid1(VALU_DEP_2)
	v_mov_b64_e32 v[14:15], v[202:203]
	v_mov_b64_e32 v[16:17], v[204:205]
	ds_store_b128 v172, v[202:205]
.LBB96_278:                             ;   in Loop: Header=BB96_3 Depth=1
	s_or_b32 exec_lo, exec_lo, s40
	s_wait_dscnt 0x0
	s_barrier_signal -1
	s_barrier_wait -1
	s_barrier_signal -1
	s_barrier_wait -1
	s_and_saveexec_b32 s40, s6
; %bb.279:                              ;   in Loop: Header=BB96_3 Depth=1
	s_delay_alu instid0(VALU_DEP_1) | instskip(NEXT) | instid1(VALU_DEP_4)
	v_xor_b32_e32 v17, 0x80000000, v17
	v_xor_b32_e32 v15, 0x80000000, v15
	ds_store_b128 v173, v[14:17] offset:256
; %bb.280:                              ;   in Loop: Header=BB96_3 Depth=1
	s_or_b32 exec_lo, exec_lo, s40
	s_wait_dscnt 0x0
	s_barrier_signal -1
	s_barrier_wait -1
	s_barrier_signal -1
	s_barrier_wait -1
	s_and_saveexec_b32 s40, s9
	s_cbranch_execz .LBB96_282
; %bb.281:                              ;   in Loop: Header=BB96_3 Depth=1
	ds_load_b128 v[14:17], v130
	s_wait_dscnt 0x0
	ds_store_b128 v111, v[14:17]
	ds_load_b128 v[14:17], v131
	s_wait_dscnt 0x0
	ds_store_b128 v112, v[14:17]
	;; [unrolled: 3-line block ×16, first 2 shown]
.LBB96_282:                             ;   in Loop: Header=BB96_3 Depth=1
	s_or_b32 exec_lo, exec_lo, s40
	s_wait_dscnt 0x0
	s_barrier_signal -1
	s_barrier_wait -1
	s_and_saveexec_b32 s40, s29
	s_cbranch_execz .LBB96_284
; %bb.283:                              ;   in Loop: Header=BB96_3 Depth=1
	ds_load_b128 v[14:17], v2 offset:8976
	ds_load_b128 v[18:21], v2 offset:8448
	s_wait_dscnt 0x0
	v_mul_f64_e32 v[4:5], v[14:15], v[20:21]
	v_mul_f64_e32 v[20:21], v[16:17], v[20:21]
	s_delay_alu instid0(VALU_DEP_2) | instskip(NEXT) | instid1(VALU_DEP_2)
	v_fmac_f64_e32 v[4:5], v[16:17], v[18:19]
	v_fma_f64 v[20:21], v[14:15], v[18:19], -v[20:21]
	ds_load_b128 v[14:17], v2 offset:8464
	s_wait_dscnt 0x0
	v_mul_f64_e32 v[38:39], v[4:5], v[16:17]
	v_mul_f64_e32 v[18:19], v[20:21], v[16:17]
	s_delay_alu instid0(VALU_DEP_2) | instskip(NEXT) | instid1(VALU_DEP_2)
	v_fma_f64 v[16:17], v[14:15], v[20:21], -v[38:39]
	v_fmac_f64_e32 v[18:19], v[14:15], v[4:5]
	ds_store_b128 v2, v[16:19] offset:8464
	ds_store_b128 v2, v[16:19] offset:8960
.LBB96_284:                             ;   in Loop: Header=BB96_3 Depth=1
	s_or_b32 exec_lo, exec_lo, s40
	v_mov_b64_e32 v[16:17], 0
	v_mov_b64_e32 v[14:15], 0
	s_wait_dscnt 0x0
	s_barrier_signal -1
	s_barrier_wait -1
	s_and_saveexec_b32 s40, s2
	s_cbranch_execz .LBB96_288
; %bb.285:                              ;   in Loop: Header=BB96_3 Depth=1
	ds_load_b128 v[14:17], v42 offset:8448
	ds_load_b128 v[18:21], v41 offset:8480
	s_wait_dscnt 0x0
	v_mul_f64_e32 v[4:5], v[16:17], v[20:21]
	v_mul_f64_e32 v[20:21], v[14:15], v[20:21]
	s_delay_alu instid0(VALU_DEP_2) | instskip(NEXT) | instid1(VALU_DEP_2)
	v_fma_f64 v[4:5], v[14:15], v[18:19], -v[4:5]
	v_fmac_f64_e32 v[20:21], v[16:17], v[18:19]
	s_delay_alu instid0(VALU_DEP_2) | instskip(NEXT) | instid1(VALU_DEP_2)
	v_add_f64_e32 v[14:15], 0, v[4:5]
	v_add_f64_e32 v[16:17], 0, v[20:21]
	s_and_saveexec_b32 s41, s10
	s_cbranch_execz .LBB96_287
; %bb.286:                              ;   in Loop: Header=BB96_3 Depth=1
	ds_load_b128 v[18:21], v2 offset:8464
	ds_load_b128 v[202:205], v43 offset:8992
	s_wait_dscnt 0x0
	v_mul_f64_e32 v[4:5], v[20:21], v[204:205]
	s_delay_alu instid0(VALU_DEP_1) | instskip(SKIP_1) | instid1(VALU_DEP_2)
	v_fma_f64 v[4:5], v[18:19], v[202:203], -v[4:5]
	v_mul_f64_e32 v[18:19], v[18:19], v[204:205]
	v_add_f64_e32 v[14:15], v[14:15], v[4:5]
	s_delay_alu instid0(VALU_DEP_2) | instskip(NEXT) | instid1(VALU_DEP_1)
	v_fmac_f64_e32 v[18:19], v[20:21], v[202:203]
	v_add_f64_e32 v[16:17], v[16:17], v[18:19]
.LBB96_287:                             ;   in Loop: Header=BB96_3 Depth=1
	s_or_b32 exec_lo, exec_lo, s41
	s_delay_alu instid0(VALU_DEP_2) | instskip(NEXT) | instid1(VALU_DEP_2)
	v_xor_b32_e32 v15, 0x80000000, v15
	v_xor_b32_e32 v17, 0x80000000, v17
.LBB96_288:                             ;   in Loop: Header=BB96_3 Depth=1
	s_or_b32 exec_lo, exec_lo, s40
	s_and_saveexec_b32 s40, s65
	s_cbranch_execz .LBB96_290
; %bb.289:                              ;   in Loop: Header=BB96_3 Depth=1
	ds_load_b128 v[18:21], v2 offset:9504
	s_wait_dscnt 0x0
	v_mul_f64_e32 v[4:5], v[16:17], v[20:21]
	v_mul_f64_e32 v[204:205], v[14:15], v[20:21]
	s_delay_alu instid0(VALU_DEP_2) | instskip(NEXT) | instid1(VALU_DEP_2)
	v_fma_f64 v[202:203], v[14:15], v[18:19], -v[4:5]
	v_fmac_f64_e32 v[204:205], v[16:17], v[18:19]
	s_delay_alu instid0(VALU_DEP_2) | instskip(NEXT) | instid1(VALU_DEP_2)
	v_mov_b64_e32 v[14:15], v[202:203]
	v_mov_b64_e32 v[16:17], v[204:205]
	ds_store_b128 v23, v[202:205]
.LBB96_290:                             ;   in Loop: Header=BB96_3 Depth=1
	s_or_b32 exec_lo, exec_lo, s40
	s_wait_dscnt 0x0
	s_barrier_signal -1
	s_barrier_wait -1
	s_and_saveexec_b32 s40, s66
	s_cbranch_execz .LBB96_292
; %bb.291:                              ;   in Loop: Header=BB96_3 Depth=1
	ds_load_b128 v[18:21], v23
	ds_load_b128 v[202:205], v2 offset:9520
	s_wait_dscnt 0x0
	v_mul_f64_e32 v[4:5], v[20:21], v[204:205]
	s_delay_alu instid0(VALU_DEP_1) | instskip(SKIP_1) | instid1(VALU_DEP_2)
	v_fma_f64 v[4:5], v[18:19], v[202:203], -v[4:5]
	v_mul_f64_e32 v[18:19], v[18:19], v[204:205]
	v_add_f64_e32 v[14:15], v[14:15], v[4:5]
	s_delay_alu instid0(VALU_DEP_2) | instskip(NEXT) | instid1(VALU_DEP_1)
	v_fmac_f64_e32 v[18:19], v[20:21], v[202:203]
	v_add_f64_e32 v[16:17], v[16:17], v[18:19]
.LBB96_292:                             ;   in Loop: Header=BB96_3 Depth=1
	s_or_b32 exec_lo, exec_lo, s40
	s_barrier_signal -1
	s_barrier_wait -1
	s_and_saveexec_b32 s40, s66
	s_cbranch_execz .LBB96_294
; %bb.293:                              ;   in Loop: Header=BB96_3 Depth=1
	ds_load_b128 v[18:21], v2 offset:10032
	s_wait_dscnt 0x0
	v_mul_f64_e32 v[4:5], v[16:17], v[20:21]
	v_mul_f64_e32 v[204:205], v[14:15], v[20:21]
	s_delay_alu instid0(VALU_DEP_2) | instskip(NEXT) | instid1(VALU_DEP_2)
	v_fma_f64 v[202:203], v[14:15], v[18:19], -v[4:5]
	v_fmac_f64_e32 v[204:205], v[16:17], v[18:19]
	s_delay_alu instid0(VALU_DEP_2) | instskip(NEXT) | instid1(VALU_DEP_2)
	v_mov_b64_e32 v[14:15], v[202:203]
	v_mov_b64_e32 v[16:17], v[204:205]
	ds_store_b128 v23, v[202:205]
.LBB96_294:                             ;   in Loop: Header=BB96_3 Depth=1
	s_or_b32 exec_lo, exec_lo, s40
	s_wait_dscnt 0x0
	s_barrier_signal -1
	s_barrier_wait -1
	s_barrier_signal -1
	s_barrier_wait -1
	s_and_saveexec_b32 s40, s2
; %bb.295:                              ;   in Loop: Header=BB96_3 Depth=1
	s_delay_alu instid0(VALU_DEP_3) | instskip(NEXT) | instid1(VALU_DEP_2)
	v_xor_b32_e32 v15, 0x80000000, v15
	v_xor_b32_e32 v17, 0x80000000, v17
	ds_store_b128 v41, v[14:17] offset:8480
; %bb.296:                              ;   in Loop: Header=BB96_3 Depth=1
	s_or_b32 exec_lo, exec_lo, s40
	s_wait_dscnt 0x0
	s_barrier_signal -1
	s_barrier_wait -1
	s_barrier_signal -1
	s_barrier_wait -1
	s_and_saveexec_b32 s40, s67
	s_cbranch_execz .LBB96_298
; %bb.297:                              ;   in Loop: Header=BB96_3 Depth=1
	ds_load_b128 v[14:17], v68
	s_wait_dscnt 0x0
	ds_store_b128 v174, v[14:17]
	ds_load_b128 v[14:17], v69
	s_wait_dscnt 0x0
	ds_store_b128 v175, v[14:17]
.LBB96_298:                             ;   in Loop: Header=BB96_3 Depth=1
	s_or_b32 exec_lo, exec_lo, s40
	s_wait_dscnt 0x0
	s_barrier_signal -1
	s_barrier_wait -1
	s_and_saveexec_b32 s40, s29
	s_cbranch_execz .LBB96_300
; %bb.299:                              ;   in Loop: Header=BB96_3 Depth=1
	ds_load_b128 v[14:17], v2 offset:10032
	ds_load_b128 v[18:21], v2 offset:9504
	s_wait_dscnt 0x0
	v_mul_f64_e32 v[4:5], v[14:15], v[20:21]
	v_mul_f64_e32 v[20:21], v[16:17], v[20:21]
	s_delay_alu instid0(VALU_DEP_2) | instskip(NEXT) | instid1(VALU_DEP_2)
	v_fmac_f64_e32 v[4:5], v[16:17], v[18:19]
	v_fma_f64 v[20:21], v[14:15], v[18:19], -v[20:21]
	ds_load_b128 v[14:17], v2 offset:9520
	s_wait_dscnt 0x0
	v_mul_f64_e32 v[38:39], v[4:5], v[16:17]
	v_mul_f64_e32 v[18:19], v[20:21], v[16:17]
	s_delay_alu instid0(VALU_DEP_2) | instskip(NEXT) | instid1(VALU_DEP_2)
	v_fma_f64 v[16:17], v[14:15], v[20:21], -v[38:39]
	v_fmac_f64_e32 v[18:19], v[14:15], v[4:5]
	ds_store_b128 v2, v[16:19] offset:9520
	ds_store_b128 v2, v[16:19] offset:10016
.LBB96_300:                             ;   in Loop: Header=BB96_3 Depth=1
	s_or_b32 exec_lo, exec_lo, s40
	v_mov_b64_e32 v[16:17], 0
	v_mov_b64_e32 v[14:15], 0
	s_wait_dscnt 0x0
	s_barrier_signal -1
	s_barrier_wait -1
	s_and_saveexec_b32 s40, s4
	s_cbranch_execz .LBB96_306
; %bb.301:                              ;   in Loop: Header=BB96_3 Depth=1
	ds_load_b128 v[14:17], v44 offset:8448
	ds_load_b128 v[18:21], v50 offset:8512
	s_wait_dscnt 0x0
	v_mul_f64_e32 v[4:5], v[16:17], v[20:21]
	v_mul_f64_e32 v[20:21], v[14:15], v[20:21]
	s_delay_alu instid0(VALU_DEP_2) | instskip(NEXT) | instid1(VALU_DEP_2)
	v_fma_f64 v[4:5], v[14:15], v[18:19], -v[4:5]
	v_fmac_f64_e32 v[20:21], v[16:17], v[18:19]
	s_delay_alu instid0(VALU_DEP_2) | instskip(NEXT) | instid1(VALU_DEP_2)
	v_add_f64_e32 v[14:15], 0, v[4:5]
	v_add_f64_e32 v[16:17], 0, v[20:21]
	s_and_saveexec_b32 s41, s11
	s_cbranch_execnz .LBB96_564
; %bb.302:                              ;   in Loop: Header=BB96_3 Depth=1
	s_or_b32 exec_lo, exec_lo, s41
	s_and_saveexec_b32 s41, s12
	s_cbranch_execnz .LBB96_565
.LBB96_303:                             ;   in Loop: Header=BB96_3 Depth=1
	s_or_b32 exec_lo, exec_lo, s41
	s_and_saveexec_b32 s41, s2
	s_cbranch_execz .LBB96_305
.LBB96_304:                             ;   in Loop: Header=BB96_3 Depth=1
	ds_load_b128 v[18:21], v2 offset:8496
	ds_load_b128 v[202:205], v48 offset:10048
	s_wait_dscnt 0x0
	v_mul_f64_e32 v[4:5], v[20:21], v[204:205]
	s_delay_alu instid0(VALU_DEP_1) | instskip(SKIP_1) | instid1(VALU_DEP_2)
	v_fma_f64 v[4:5], v[18:19], v[202:203], -v[4:5]
	v_mul_f64_e32 v[18:19], v[18:19], v[204:205]
	v_add_f64_e32 v[14:15], v[14:15], v[4:5]
	s_delay_alu instid0(VALU_DEP_2) | instskip(NEXT) | instid1(VALU_DEP_1)
	v_fmac_f64_e32 v[18:19], v[20:21], v[202:203]
	v_add_f64_e32 v[16:17], v[16:17], v[18:19]
.LBB96_305:                             ;   in Loop: Header=BB96_3 Depth=1
	s_or_b32 exec_lo, exec_lo, s41
	s_delay_alu instid0(VALU_DEP_2) | instskip(NEXT) | instid1(VALU_DEP_2)
	v_xor_b32_e32 v15, 0x80000000, v15
	v_xor_b32_e32 v17, 0x80000000, v17
.LBB96_306:                             ;   in Loop: Header=BB96_3 Depth=1
	s_or_b32 exec_lo, exec_lo, s40
	s_and_saveexec_b32 s40, s68
	s_cbranch_execz .LBB96_308
; %bb.307:                              ;   in Loop: Header=BB96_3 Depth=1
	ds_load_b128 v[18:21], v2 offset:10560
	s_wait_dscnt 0x0
	v_mul_f64_e32 v[4:5], v[16:17], v[20:21]
	v_mul_f64_e32 v[204:205], v[14:15], v[20:21]
	s_delay_alu instid0(VALU_DEP_2) | instskip(NEXT) | instid1(VALU_DEP_2)
	v_fma_f64 v[202:203], v[14:15], v[18:19], -v[4:5]
	v_fmac_f64_e32 v[204:205], v[16:17], v[18:19]
	s_delay_alu instid0(VALU_DEP_2) | instskip(NEXT) | instid1(VALU_DEP_2)
	v_mov_b64_e32 v[14:15], v[202:203]
	v_mov_b64_e32 v[16:17], v[204:205]
	ds_store_b128 v49, v[202:205]
.LBB96_308:                             ;   in Loop: Header=BB96_3 Depth=1
	s_or_b32 exec_lo, exec_lo, s40
	s_wait_dscnt 0x0
	s_barrier_signal -1
	s_barrier_wait -1
	s_and_saveexec_b32 s40, s69
	s_cbranch_execz .LBB96_310
; %bb.309:                              ;   in Loop: Header=BB96_3 Depth=1
	ds_load_b128 v[18:21], v49
	ds_load_b128 v[202:205], v47 offset:10560
	s_wait_dscnt 0x0
	v_mul_f64_e32 v[4:5], v[20:21], v[204:205]
	s_delay_alu instid0(VALU_DEP_1) | instskip(SKIP_1) | instid1(VALU_DEP_2)
	v_fma_f64 v[4:5], v[18:19], v[202:203], -v[4:5]
	v_mul_f64_e32 v[18:19], v[18:19], v[204:205]
	v_add_f64_e32 v[14:15], v[14:15], v[4:5]
	s_delay_alu instid0(VALU_DEP_2) | instskip(NEXT) | instid1(VALU_DEP_1)
	v_fmac_f64_e32 v[18:19], v[20:21], v[202:203]
	v_add_f64_e32 v[16:17], v[16:17], v[18:19]
.LBB96_310:                             ;   in Loop: Header=BB96_3 Depth=1
	s_or_b32 exec_lo, exec_lo, s40
	s_barrier_signal -1
	s_barrier_wait -1
	s_and_saveexec_b32 s40, s70
	s_cbranch_execz .LBB96_312
; %bb.311:                              ;   in Loop: Header=BB96_3 Depth=1
	ds_load_b128 v[18:21], v2 offset:11088
	s_wait_dscnt 0x0
	v_mul_f64_e32 v[4:5], v[16:17], v[20:21]
	v_mul_f64_e32 v[204:205], v[14:15], v[20:21]
	s_delay_alu instid0(VALU_DEP_2) | instskip(NEXT) | instid1(VALU_DEP_2)
	v_fma_f64 v[202:203], v[14:15], v[18:19], -v[4:5]
	v_fmac_f64_e32 v[204:205], v[16:17], v[18:19]
	s_delay_alu instid0(VALU_DEP_2) | instskip(NEXT) | instid1(VALU_DEP_2)
	v_mov_b64_e32 v[14:15], v[202:203]
	v_mov_b64_e32 v[16:17], v[204:205]
	ds_store_b128 v49, v[202:205]
.LBB96_312:                             ;   in Loop: Header=BB96_3 Depth=1
	s_or_b32 exec_lo, exec_lo, s40
	s_wait_dscnt 0x0
	s_barrier_signal -1
	s_barrier_wait -1
	s_and_saveexec_b32 s40, s71
	s_cbranch_execz .LBB96_314
; %bb.313:                              ;   in Loop: Header=BB96_3 Depth=1
	ds_load_b128 v[18:21], v49
	ds_load_b128 v[202:205], v47 offset:11072
	s_wait_dscnt 0x0
	v_mul_f64_e32 v[4:5], v[20:21], v[204:205]
	s_delay_alu instid0(VALU_DEP_1) | instskip(SKIP_1) | instid1(VALU_DEP_2)
	v_fma_f64 v[4:5], v[18:19], v[202:203], -v[4:5]
	v_mul_f64_e32 v[18:19], v[18:19], v[204:205]
	v_add_f64_e32 v[14:15], v[14:15], v[4:5]
	s_delay_alu instid0(VALU_DEP_2) | instskip(NEXT) | instid1(VALU_DEP_1)
	v_fmac_f64_e32 v[18:19], v[20:21], v[202:203]
	v_add_f64_e32 v[16:17], v[16:17], v[18:19]
.LBB96_314:                             ;   in Loop: Header=BB96_3 Depth=1
	s_or_b32 exec_lo, exec_lo, s40
	s_barrier_signal -1
	s_barrier_wait -1
	;; [unrolled: 37-line block ×3, first 2 shown]
	s_and_saveexec_b32 s40, s73
	s_cbranch_execz .LBB96_320
; %bb.319:                              ;   in Loop: Header=BB96_3 Depth=1
	ds_load_b128 v[18:21], v2 offset:12144
	s_wait_dscnt 0x0
	v_mul_f64_e32 v[4:5], v[16:17], v[20:21]
	v_mul_f64_e32 v[204:205], v[14:15], v[20:21]
	s_delay_alu instid0(VALU_DEP_2) | instskip(NEXT) | instid1(VALU_DEP_2)
	v_fma_f64 v[202:203], v[14:15], v[18:19], -v[4:5]
	v_fmac_f64_e32 v[204:205], v[16:17], v[18:19]
	s_delay_alu instid0(VALU_DEP_2) | instskip(NEXT) | instid1(VALU_DEP_2)
	v_mov_b64_e32 v[14:15], v[202:203]
	v_mov_b64_e32 v[16:17], v[204:205]
	ds_store_b128 v49, v[202:205]
.LBB96_320:                             ;   in Loop: Header=BB96_3 Depth=1
	s_or_b32 exec_lo, exec_lo, s40
	s_wait_dscnt 0x0
	s_barrier_signal -1
	s_barrier_wait -1
	s_barrier_signal -1
	s_barrier_wait -1
	s_and_saveexec_b32 s40, s4
; %bb.321:                              ;   in Loop: Header=BB96_3 Depth=1
	s_delay_alu instid0(VALU_DEP_1) | instskip(NEXT) | instid1(VALU_DEP_4)
	v_xor_b32_e32 v17, 0x80000000, v17
	v_xor_b32_e32 v15, 0x80000000, v15
	ds_store_b128 v50, v[14:17] offset:8512
; %bb.322:                              ;   in Loop: Header=BB96_3 Depth=1
	s_or_b32 exec_lo, exec_lo, s40
	s_wait_dscnt 0x0
	s_barrier_signal -1
	s_barrier_wait -1
	s_barrier_signal -1
	s_barrier_wait -1
	s_and_saveexec_b32 s40, s74
	s_cbranch_execz .LBB96_324
; %bb.323:                              ;   in Loop: Header=BB96_3 Depth=1
	ds_load_b128 v[14:17], v84
	s_wait_dscnt 0x0
	ds_store_b128 v176, v[14:17]
	ds_load_b128 v[14:17], v87
	s_wait_dscnt 0x0
	ds_store_b128 v179, v[14:17]
	;; [unrolled: 3-line block ×4, first 2 shown]
.LBB96_324:                             ;   in Loop: Header=BB96_3 Depth=1
	s_or_b32 exec_lo, exec_lo, s40
	s_wait_dscnt 0x0
	s_barrier_signal -1
	s_barrier_wait -1
	s_and_saveexec_b32 s40, s29
	s_cbranch_execz .LBB96_326
; %bb.325:                              ;   in Loop: Header=BB96_3 Depth=1
	ds_load_b128 v[14:17], v2 offset:11088
	ds_load_b128 v[18:21], v2 offset:10560
	s_wait_dscnt 0x0
	v_mul_f64_e32 v[4:5], v[14:15], v[20:21]
	v_mul_f64_e32 v[20:21], v[16:17], v[20:21]
	s_delay_alu instid0(VALU_DEP_2) | instskip(NEXT) | instid1(VALU_DEP_2)
	v_fmac_f64_e32 v[4:5], v[16:17], v[18:19]
	v_fma_f64 v[20:21], v[14:15], v[18:19], -v[20:21]
	ds_load_b128 v[14:17], v2 offset:10576
	s_wait_dscnt 0x0
	v_mul_f64_e32 v[38:39], v[4:5], v[16:17]
	v_mul_f64_e32 v[18:19], v[20:21], v[16:17]
	s_delay_alu instid0(VALU_DEP_2) | instskip(NEXT) | instid1(VALU_DEP_2)
	v_fma_f64 v[16:17], v[14:15], v[20:21], -v[38:39]
	v_fmac_f64_e32 v[18:19], v[14:15], v[4:5]
	ds_store_b128 v2, v[16:19] offset:10576
	ds_store_b128 v2, v[16:19] offset:11072
.LBB96_326:                             ;   in Loop: Header=BB96_3 Depth=1
	s_or_b32 exec_lo, exec_lo, s40
	v_mov_b64_e32 v[16:17], 0
	v_mov_b64_e32 v[14:15], 0
	s_wait_dscnt 0x0
	s_barrier_signal -1
	s_barrier_wait -1
	s_and_saveexec_b32 s40, s2
	s_cbranch_execz .LBB96_330
; %bb.327:                              ;   in Loop: Header=BB96_3 Depth=1
	ds_load_b128 v[14:17], v42 offset:10560
	ds_load_b128 v[18:21], v41 offset:10592
	s_wait_dscnt 0x0
	v_mul_f64_e32 v[4:5], v[16:17], v[20:21]
	v_mul_f64_e32 v[20:21], v[14:15], v[20:21]
	s_delay_alu instid0(VALU_DEP_2) | instskip(NEXT) | instid1(VALU_DEP_2)
	v_fma_f64 v[4:5], v[14:15], v[18:19], -v[4:5]
	v_fmac_f64_e32 v[20:21], v[16:17], v[18:19]
	s_delay_alu instid0(VALU_DEP_2) | instskip(NEXT) | instid1(VALU_DEP_2)
	v_add_f64_e32 v[14:15], 0, v[4:5]
	v_add_f64_e32 v[16:17], 0, v[20:21]
	s_and_saveexec_b32 s41, s10
	s_cbranch_execz .LBB96_329
; %bb.328:                              ;   in Loop: Header=BB96_3 Depth=1
	ds_load_b128 v[18:21], v2 offset:10576
	ds_load_b128 v[202:205], v81 offset:11104
	s_wait_dscnt 0x0
	v_mul_f64_e32 v[4:5], v[20:21], v[204:205]
	s_delay_alu instid0(VALU_DEP_1) | instskip(SKIP_1) | instid1(VALU_DEP_2)
	v_fma_f64 v[4:5], v[18:19], v[202:203], -v[4:5]
	v_mul_f64_e32 v[18:19], v[18:19], v[204:205]
	v_add_f64_e32 v[14:15], v[14:15], v[4:5]
	s_delay_alu instid0(VALU_DEP_2) | instskip(NEXT) | instid1(VALU_DEP_1)
	v_fmac_f64_e32 v[18:19], v[20:21], v[202:203]
	v_add_f64_e32 v[16:17], v[16:17], v[18:19]
.LBB96_329:                             ;   in Loop: Header=BB96_3 Depth=1
	s_or_b32 exec_lo, exec_lo, s41
	s_delay_alu instid0(VALU_DEP_2) | instskip(NEXT) | instid1(VALU_DEP_2)
	v_xor_b32_e32 v15, 0x80000000, v15
	v_xor_b32_e32 v17, 0x80000000, v17
.LBB96_330:                             ;   in Loop: Header=BB96_3 Depth=1
	s_or_b32 exec_lo, exec_lo, s40
	s_and_saveexec_b32 s40, s65
	s_cbranch_execz .LBB96_332
; %bb.331:                              ;   in Loop: Header=BB96_3 Depth=1
	ds_load_b128 v[18:21], v2 offset:11616
	s_wait_dscnt 0x0
	v_mul_f64_e32 v[4:5], v[16:17], v[20:21]
	v_mul_f64_e32 v[204:205], v[14:15], v[20:21]
	s_delay_alu instid0(VALU_DEP_2) | instskip(NEXT) | instid1(VALU_DEP_2)
	v_fma_f64 v[202:203], v[14:15], v[18:19], -v[4:5]
	v_fmac_f64_e32 v[204:205], v[16:17], v[18:19]
	s_delay_alu instid0(VALU_DEP_2) | instskip(NEXT) | instid1(VALU_DEP_2)
	v_mov_b64_e32 v[14:15], v[202:203]
	v_mov_b64_e32 v[16:17], v[204:205]
	ds_store_b128 v23, v[202:205]
.LBB96_332:                             ;   in Loop: Header=BB96_3 Depth=1
	s_or_b32 exec_lo, exec_lo, s40
	s_wait_dscnt 0x0
	s_barrier_signal -1
	s_barrier_wait -1
	s_and_saveexec_b32 s40, s66
	s_cbranch_execz .LBB96_334
; %bb.333:                              ;   in Loop: Header=BB96_3 Depth=1
	ds_load_b128 v[18:21], v23
	ds_load_b128 v[202:205], v2 offset:11632
	s_wait_dscnt 0x0
	v_mul_f64_e32 v[4:5], v[20:21], v[204:205]
	s_delay_alu instid0(VALU_DEP_1) | instskip(SKIP_1) | instid1(VALU_DEP_2)
	v_fma_f64 v[4:5], v[18:19], v[202:203], -v[4:5]
	v_mul_f64_e32 v[18:19], v[18:19], v[204:205]
	v_add_f64_e32 v[14:15], v[14:15], v[4:5]
	s_delay_alu instid0(VALU_DEP_2) | instskip(NEXT) | instid1(VALU_DEP_1)
	v_fmac_f64_e32 v[18:19], v[20:21], v[202:203]
	v_add_f64_e32 v[16:17], v[16:17], v[18:19]
.LBB96_334:                             ;   in Loop: Header=BB96_3 Depth=1
	s_or_b32 exec_lo, exec_lo, s40
	s_barrier_signal -1
	s_barrier_wait -1
	s_and_saveexec_b32 s40, s66
	s_cbranch_execz .LBB96_336
; %bb.335:                              ;   in Loop: Header=BB96_3 Depth=1
	ds_load_b128 v[18:21], v2 offset:12144
	s_wait_dscnt 0x0
	v_mul_f64_e32 v[4:5], v[16:17], v[20:21]
	v_mul_f64_e32 v[204:205], v[14:15], v[20:21]
	s_delay_alu instid0(VALU_DEP_2) | instskip(NEXT) | instid1(VALU_DEP_2)
	v_fma_f64 v[202:203], v[14:15], v[18:19], -v[4:5]
	v_fmac_f64_e32 v[204:205], v[16:17], v[18:19]
	s_delay_alu instid0(VALU_DEP_2) | instskip(NEXT) | instid1(VALU_DEP_2)
	v_mov_b64_e32 v[14:15], v[202:203]
	v_mov_b64_e32 v[16:17], v[204:205]
	ds_store_b128 v23, v[202:205]
.LBB96_336:                             ;   in Loop: Header=BB96_3 Depth=1
	s_or_b32 exec_lo, exec_lo, s40
	s_wait_dscnt 0x0
	s_barrier_signal -1
	s_barrier_wait -1
	s_barrier_signal -1
	s_barrier_wait -1
	s_and_saveexec_b32 s40, s2
; %bb.337:                              ;   in Loop: Header=BB96_3 Depth=1
	s_delay_alu instid0(VALU_DEP_3) | instskip(NEXT) | instid1(VALU_DEP_2)
	v_xor_b32_e32 v15, 0x80000000, v15
	v_xor_b32_e32 v17, 0x80000000, v17
	ds_store_b128 v41, v[14:17] offset:10592
; %bb.338:                              ;   in Loop: Header=BB96_3 Depth=1
	s_or_b32 exec_lo, exec_lo, s40
	s_wait_dscnt 0x0
	s_barrier_signal -1
	s_barrier_wait -1
	s_barrier_signal -1
	s_barrier_wait -1
	s_and_saveexec_b32 s40, s67
	s_cbranch_execz .LBB96_340
; %bb.339:                              ;   in Loop: Header=BB96_3 Depth=1
	ds_load_b128 v[14:17], v97
	s_wait_dscnt 0x0
	ds_store_b128 v180, v[14:17]
	ds_load_b128 v[14:17], v98
	s_wait_dscnt 0x0
	ds_store_b128 v181, v[14:17]
.LBB96_340:                             ;   in Loop: Header=BB96_3 Depth=1
	s_or_b32 exec_lo, exec_lo, s40
	s_wait_dscnt 0x0
	s_barrier_signal -1
	s_barrier_wait -1
	s_and_saveexec_b32 s40, s29
	s_cbranch_execz .LBB96_342
; %bb.341:                              ;   in Loop: Header=BB96_3 Depth=1
	ds_load_b128 v[14:17], v2 offset:12144
	ds_load_b128 v[18:21], v2 offset:11616
	s_wait_dscnt 0x0
	v_mul_f64_e32 v[4:5], v[14:15], v[20:21]
	v_mul_f64_e32 v[20:21], v[16:17], v[20:21]
	s_delay_alu instid0(VALU_DEP_2) | instskip(NEXT) | instid1(VALU_DEP_2)
	v_fmac_f64_e32 v[4:5], v[16:17], v[18:19]
	v_fma_f64 v[20:21], v[14:15], v[18:19], -v[20:21]
	ds_load_b128 v[14:17], v2 offset:11632
	s_wait_dscnt 0x0
	v_mul_f64_e32 v[38:39], v[4:5], v[16:17]
	v_mul_f64_e32 v[18:19], v[20:21], v[16:17]
	s_delay_alu instid0(VALU_DEP_2) | instskip(NEXT) | instid1(VALU_DEP_2)
	v_fma_f64 v[16:17], v[14:15], v[20:21], -v[38:39]
	v_fmac_f64_e32 v[18:19], v[14:15], v[4:5]
	ds_store_b128 v2, v[16:19] offset:11632
	ds_store_b128 v2, v[16:19] offset:12128
.LBB96_342:                             ;   in Loop: Header=BB96_3 Depth=1
	s_or_b32 exec_lo, exec_lo, s40
	v_mov_b64_e32 v[16:17], 0
	v_mov_b64_e32 v[14:15], 0
	s_wait_dscnt 0x0
	s_barrier_signal -1
	s_barrier_wait -1
	s_and_saveexec_b32 s40, s5
	s_cbranch_execz .LBB96_352
; %bb.343:                              ;   in Loop: Header=BB96_3 Depth=1
	ds_load_b128 v[14:17], v52 offset:8448
	ds_load_b128 v[18:21], v56 offset:8576
	s_wait_dscnt 0x0
	v_mul_f64_e32 v[4:5], v[16:17], v[20:21]
	v_mul_f64_e32 v[20:21], v[14:15], v[20:21]
	s_delay_alu instid0(VALU_DEP_2) | instskip(NEXT) | instid1(VALU_DEP_2)
	v_fma_f64 v[4:5], v[14:15], v[18:19], -v[4:5]
	v_fmac_f64_e32 v[20:21], v[16:17], v[18:19]
	s_delay_alu instid0(VALU_DEP_2) | instskip(NEXT) | instid1(VALU_DEP_2)
	v_add_f64_e32 v[14:15], 0, v[4:5]
	v_add_f64_e32 v[16:17], 0, v[20:21]
	s_and_saveexec_b32 s41, s13
	s_cbranch_execnz .LBB96_566
; %bb.344:                              ;   in Loop: Header=BB96_3 Depth=1
	s_or_b32 exec_lo, exec_lo, s41
	s_and_saveexec_b32 s41, s14
	s_cbranch_execnz .LBB96_567
.LBB96_345:                             ;   in Loop: Header=BB96_3 Depth=1
	s_or_b32 exec_lo, exec_lo, s41
	s_and_saveexec_b32 s41, s15
	s_cbranch_execnz .LBB96_568
.LBB96_346:                             ;   in Loop: Header=BB96_3 Depth=1
	s_or_b32 exec_lo, exec_lo, s41
	s_and_saveexec_b32 s41, s16
	s_cbranch_execnz .LBB96_569
.LBB96_347:                             ;   in Loop: Header=BB96_3 Depth=1
	s_or_b32 exec_lo, exec_lo, s41
	s_and_saveexec_b32 s41, s17
	s_cbranch_execnz .LBB96_570
.LBB96_348:                             ;   in Loop: Header=BB96_3 Depth=1
	s_or_b32 exec_lo, exec_lo, s41
	s_and_saveexec_b32 s41, s4
	s_cbranch_execnz .LBB96_571
.LBB96_349:                             ;   in Loop: Header=BB96_3 Depth=1
	s_or_b32 exec_lo, exec_lo, s41
	s_and_saveexec_b32 s41, s12
	s_cbranch_execz .LBB96_351
.LBB96_350:                             ;   in Loop: Header=BB96_3 Depth=1
	ds_load_b128 v[18:21], v2 offset:8560
	ds_load_b128 v[202:205], v43 offset:12160
	s_wait_dscnt 0x0
	v_mul_f64_e32 v[4:5], v[20:21], v[204:205]
	s_delay_alu instid0(VALU_DEP_1) | instskip(SKIP_1) | instid1(VALU_DEP_2)
	v_fma_f64 v[4:5], v[18:19], v[202:203], -v[4:5]
	v_mul_f64_e32 v[18:19], v[18:19], v[204:205]
	v_add_f64_e32 v[14:15], v[14:15], v[4:5]
	s_delay_alu instid0(VALU_DEP_2) | instskip(NEXT) | instid1(VALU_DEP_1)
	v_fmac_f64_e32 v[18:19], v[20:21], v[202:203]
	v_add_f64_e32 v[16:17], v[16:17], v[18:19]
.LBB96_351:                             ;   in Loop: Header=BB96_3 Depth=1
	s_or_b32 exec_lo, exec_lo, s41
	s_delay_alu instid0(VALU_DEP_2) | instskip(NEXT) | instid1(VALU_DEP_2)
	v_xor_b32_e32 v15, 0x80000000, v15
	v_xor_b32_e32 v17, 0x80000000, v17
.LBB96_352:                             ;   in Loop: Header=BB96_3 Depth=1
	s_or_b32 exec_lo, exec_lo, s40
	s_and_saveexec_b32 s40, s75
	s_cbranch_execz .LBB96_354
; %bb.353:                              ;   in Loop: Header=BB96_3 Depth=1
	ds_load_b128 v[18:21], v2 offset:12672
	s_wait_dscnt 0x0
	v_mul_f64_e32 v[4:5], v[16:17], v[20:21]
	v_mul_f64_e32 v[204:205], v[14:15], v[20:21]
	s_delay_alu instid0(VALU_DEP_2) | instskip(NEXT) | instid1(VALU_DEP_2)
	v_fma_f64 v[202:203], v[14:15], v[18:19], -v[4:5]
	v_fmac_f64_e32 v[204:205], v[16:17], v[18:19]
	s_delay_alu instid0(VALU_DEP_2) | instskip(NEXT) | instid1(VALU_DEP_2)
	v_mov_b64_e32 v[14:15], v[202:203]
	v_mov_b64_e32 v[16:17], v[204:205]
	ds_store_b128 v55, v[202:205]
.LBB96_354:                             ;   in Loop: Header=BB96_3 Depth=1
	s_or_b32 exec_lo, exec_lo, s40
	s_wait_dscnt 0x0
	s_barrier_signal -1
	s_barrier_wait -1
	s_and_saveexec_b32 s40, s76
	s_cbranch_execz .LBB96_356
; %bb.355:                              ;   in Loop: Header=BB96_3 Depth=1
	ds_load_b128 v[18:21], v55
	ds_load_b128 v[202:205], v53 offset:12672
	s_wait_dscnt 0x0
	v_mul_f64_e32 v[4:5], v[20:21], v[204:205]
	s_delay_alu instid0(VALU_DEP_1) | instskip(SKIP_1) | instid1(VALU_DEP_2)
	v_fma_f64 v[4:5], v[18:19], v[202:203], -v[4:5]
	v_mul_f64_e32 v[18:19], v[18:19], v[204:205]
	v_add_f64_e32 v[14:15], v[14:15], v[4:5]
	s_delay_alu instid0(VALU_DEP_2) | instskip(NEXT) | instid1(VALU_DEP_1)
	v_fmac_f64_e32 v[18:19], v[20:21], v[202:203]
	v_add_f64_e32 v[16:17], v[16:17], v[18:19]
.LBB96_356:                             ;   in Loop: Header=BB96_3 Depth=1
	s_or_b32 exec_lo, exec_lo, s40
	s_barrier_signal -1
	s_barrier_wait -1
	s_and_saveexec_b32 s40, s77
	s_cbranch_execz .LBB96_358
; %bb.357:                              ;   in Loop: Header=BB96_3 Depth=1
	ds_load_b128 v[18:21], v2 offset:13200
	s_wait_dscnt 0x0
	v_mul_f64_e32 v[4:5], v[16:17], v[20:21]
	v_mul_f64_e32 v[204:205], v[14:15], v[20:21]
	s_delay_alu instid0(VALU_DEP_2) | instskip(NEXT) | instid1(VALU_DEP_2)
	v_fma_f64 v[202:203], v[14:15], v[18:19], -v[4:5]
	v_fmac_f64_e32 v[204:205], v[16:17], v[18:19]
	s_delay_alu instid0(VALU_DEP_2) | instskip(NEXT) | instid1(VALU_DEP_2)
	v_mov_b64_e32 v[14:15], v[202:203]
	v_mov_b64_e32 v[16:17], v[204:205]
	ds_store_b128 v55, v[202:205]
.LBB96_358:                             ;   in Loop: Header=BB96_3 Depth=1
	s_or_b32 exec_lo, exec_lo, s40
	s_wait_dscnt 0x0
	s_barrier_signal -1
	s_barrier_wait -1
	s_and_saveexec_b32 s40, s78
	s_cbranch_execz .LBB96_360
; %bb.359:                              ;   in Loop: Header=BB96_3 Depth=1
	ds_load_b128 v[18:21], v55
	ds_load_b128 v[202:205], v53 offset:13184
	s_wait_dscnt 0x0
	v_mul_f64_e32 v[4:5], v[20:21], v[204:205]
	s_delay_alu instid0(VALU_DEP_1) | instskip(SKIP_1) | instid1(VALU_DEP_2)
	v_fma_f64 v[4:5], v[18:19], v[202:203], -v[4:5]
	v_mul_f64_e32 v[18:19], v[18:19], v[204:205]
	v_add_f64_e32 v[14:15], v[14:15], v[4:5]
	s_delay_alu instid0(VALU_DEP_2) | instskip(NEXT) | instid1(VALU_DEP_1)
	v_fmac_f64_e32 v[18:19], v[20:21], v[202:203]
	v_add_f64_e32 v[16:17], v[16:17], v[18:19]
.LBB96_360:                             ;   in Loop: Header=BB96_3 Depth=1
	s_or_b32 exec_lo, exec_lo, s40
	s_barrier_signal -1
	s_barrier_wait -1
	;; [unrolled: 37-line block ×7, first 2 shown]
	s_and_saveexec_b32 s40, s88
	s_cbranch_execz .LBB96_382
; %bb.381:                              ;   in Loop: Header=BB96_3 Depth=1
	ds_load_b128 v[18:21], v2 offset:16368
	s_wait_dscnt 0x0
	v_mul_f64_e32 v[4:5], v[16:17], v[20:21]
	v_mul_f64_e32 v[204:205], v[14:15], v[20:21]
	s_delay_alu instid0(VALU_DEP_2) | instskip(NEXT) | instid1(VALU_DEP_2)
	v_fma_f64 v[202:203], v[14:15], v[18:19], -v[4:5]
	v_fmac_f64_e32 v[204:205], v[16:17], v[18:19]
	s_delay_alu instid0(VALU_DEP_2) | instskip(NEXT) | instid1(VALU_DEP_2)
	v_mov_b64_e32 v[14:15], v[202:203]
	v_mov_b64_e32 v[16:17], v[204:205]
	ds_store_b128 v55, v[202:205]
.LBB96_382:                             ;   in Loop: Header=BB96_3 Depth=1
	s_or_b32 exec_lo, exec_lo, s40
	s_wait_dscnt 0x0
	s_barrier_signal -1
	s_barrier_wait -1
	s_barrier_signal -1
	s_barrier_wait -1
	s_and_saveexec_b32 s40, s5
; %bb.383:                              ;   in Loop: Header=BB96_3 Depth=1
	s_delay_alu instid0(VALU_DEP_3) | instskip(NEXT) | instid1(VALU_DEP_2)
	v_xor_b32_e32 v15, 0x80000000, v15
	v_xor_b32_e32 v17, 0x80000000, v17
	ds_store_b128 v56, v[14:17] offset:8576
; %bb.384:                              ;   in Loop: Header=BB96_3 Depth=1
	s_or_b32 exec_lo, exec_lo, s40
	s_wait_dscnt 0x0
	s_barrier_signal -1
	s_barrier_wait -1
	s_barrier_signal -1
	s_barrier_wait -1
	s_and_saveexec_b32 s40, s89
	s_cbranch_execz .LBB96_386
; %bb.385:                              ;   in Loop: Header=BB96_3 Depth=1
	ds_load_b128 v[14:17], v70
	s_wait_dscnt 0x0
	ds_store_b128 v182, v[14:17]
	ds_load_b128 v[14:17], v71
	s_wait_dscnt 0x0
	ds_store_b128 v183, v[14:17]
	;; [unrolled: 3-line block ×8, first 2 shown]
.LBB96_386:                             ;   in Loop: Header=BB96_3 Depth=1
	s_or_b32 exec_lo, exec_lo, s40
	s_wait_dscnt 0x0
	s_barrier_signal -1
	s_barrier_wait -1
	s_and_saveexec_b32 s40, s29
	s_cbranch_execz .LBB96_388
; %bb.387:                              ;   in Loop: Header=BB96_3 Depth=1
	ds_load_b128 v[14:17], v2 offset:13200
	ds_load_b128 v[18:21], v2 offset:12672
	s_wait_dscnt 0x0
	v_mul_f64_e32 v[4:5], v[14:15], v[20:21]
	v_mul_f64_e32 v[20:21], v[16:17], v[20:21]
	s_delay_alu instid0(VALU_DEP_2) | instskip(NEXT) | instid1(VALU_DEP_2)
	v_fmac_f64_e32 v[4:5], v[16:17], v[18:19]
	v_fma_f64 v[20:21], v[14:15], v[18:19], -v[20:21]
	ds_load_b128 v[14:17], v2 offset:12688
	s_wait_dscnt 0x0
	v_mul_f64_e32 v[38:39], v[4:5], v[16:17]
	v_mul_f64_e32 v[18:19], v[20:21], v[16:17]
	s_delay_alu instid0(VALU_DEP_2) | instskip(NEXT) | instid1(VALU_DEP_2)
	v_fma_f64 v[16:17], v[14:15], v[20:21], -v[38:39]
	v_fmac_f64_e32 v[18:19], v[14:15], v[4:5]
	ds_store_b128 v2, v[16:19] offset:12688
	ds_store_b128 v2, v[16:19] offset:13184
.LBB96_388:                             ;   in Loop: Header=BB96_3 Depth=1
	s_or_b32 exec_lo, exec_lo, s40
	v_mov_b64_e32 v[16:17], 0
	v_mov_b64_e32 v[14:15], 0
	s_wait_dscnt 0x0
	s_barrier_signal -1
	s_barrier_wait -1
	s_and_saveexec_b32 s40, s2
	s_cbranch_execz .LBB96_392
; %bb.389:                              ;   in Loop: Header=BB96_3 Depth=1
	ds_load_b128 v[14:17], v42 offset:12672
	ds_load_b128 v[18:21], v41 offset:12704
	s_wait_dscnt 0x0
	v_mul_f64_e32 v[4:5], v[16:17], v[20:21]
	v_mul_f64_e32 v[20:21], v[14:15], v[20:21]
	s_delay_alu instid0(VALU_DEP_2) | instskip(NEXT) | instid1(VALU_DEP_2)
	v_fma_f64 v[4:5], v[14:15], v[18:19], -v[4:5]
	v_fmac_f64_e32 v[20:21], v[16:17], v[18:19]
	s_delay_alu instid0(VALU_DEP_2) | instskip(NEXT) | instid1(VALU_DEP_2)
	v_add_f64_e32 v[14:15], 0, v[4:5]
	v_add_f64_e32 v[16:17], 0, v[20:21]
	s_and_saveexec_b32 s41, s10
	s_cbranch_execz .LBB96_391
; %bb.390:                              ;   in Loop: Header=BB96_3 Depth=1
	ds_load_b128 v[18:21], v2 offset:12688
	ds_load_b128 v[202:205], v48 offset:13216
	s_wait_dscnt 0x0
	v_mul_f64_e32 v[4:5], v[20:21], v[204:205]
	s_delay_alu instid0(VALU_DEP_1) | instskip(SKIP_1) | instid1(VALU_DEP_2)
	v_fma_f64 v[4:5], v[18:19], v[202:203], -v[4:5]
	v_mul_f64_e32 v[18:19], v[18:19], v[204:205]
	v_add_f64_e32 v[14:15], v[14:15], v[4:5]
	s_delay_alu instid0(VALU_DEP_2) | instskip(NEXT) | instid1(VALU_DEP_1)
	v_fmac_f64_e32 v[18:19], v[20:21], v[202:203]
	v_add_f64_e32 v[16:17], v[16:17], v[18:19]
.LBB96_391:                             ;   in Loop: Header=BB96_3 Depth=1
	s_or_b32 exec_lo, exec_lo, s41
	s_delay_alu instid0(VALU_DEP_2) | instskip(NEXT) | instid1(VALU_DEP_2)
	v_xor_b32_e32 v15, 0x80000000, v15
	v_xor_b32_e32 v17, 0x80000000, v17
.LBB96_392:                             ;   in Loop: Header=BB96_3 Depth=1
	s_or_b32 exec_lo, exec_lo, s40
	s_and_saveexec_b32 s40, s65
	s_cbranch_execz .LBB96_394
; %bb.393:                              ;   in Loop: Header=BB96_3 Depth=1
	ds_load_b128 v[18:21], v2 offset:13728
	s_wait_dscnt 0x0
	v_mul_f64_e32 v[4:5], v[16:17], v[20:21]
	v_mul_f64_e32 v[204:205], v[14:15], v[20:21]
	s_delay_alu instid0(VALU_DEP_2) | instskip(NEXT) | instid1(VALU_DEP_2)
	v_fma_f64 v[202:203], v[14:15], v[18:19], -v[4:5]
	v_fmac_f64_e32 v[204:205], v[16:17], v[18:19]
	s_delay_alu instid0(VALU_DEP_2) | instskip(NEXT) | instid1(VALU_DEP_2)
	v_mov_b64_e32 v[14:15], v[202:203]
	v_mov_b64_e32 v[16:17], v[204:205]
	ds_store_b128 v23, v[202:205]
.LBB96_394:                             ;   in Loop: Header=BB96_3 Depth=1
	s_or_b32 exec_lo, exec_lo, s40
	s_wait_dscnt 0x0
	s_barrier_signal -1
	s_barrier_wait -1
	s_and_saveexec_b32 s40, s66
	s_cbranch_execz .LBB96_396
; %bb.395:                              ;   in Loop: Header=BB96_3 Depth=1
	ds_load_b128 v[18:21], v23
	ds_load_b128 v[202:205], v2 offset:13744
	s_wait_dscnt 0x0
	v_mul_f64_e32 v[4:5], v[20:21], v[204:205]
	s_delay_alu instid0(VALU_DEP_1) | instskip(SKIP_1) | instid1(VALU_DEP_2)
	v_fma_f64 v[4:5], v[18:19], v[202:203], -v[4:5]
	v_mul_f64_e32 v[18:19], v[18:19], v[204:205]
	v_add_f64_e32 v[14:15], v[14:15], v[4:5]
	s_delay_alu instid0(VALU_DEP_2) | instskip(NEXT) | instid1(VALU_DEP_1)
	v_fmac_f64_e32 v[18:19], v[20:21], v[202:203]
	v_add_f64_e32 v[16:17], v[16:17], v[18:19]
.LBB96_396:                             ;   in Loop: Header=BB96_3 Depth=1
	s_or_b32 exec_lo, exec_lo, s40
	s_barrier_signal -1
	s_barrier_wait -1
	s_and_saveexec_b32 s40, s66
	s_cbranch_execz .LBB96_398
; %bb.397:                              ;   in Loop: Header=BB96_3 Depth=1
	ds_load_b128 v[18:21], v2 offset:14256
	s_wait_dscnt 0x0
	v_mul_f64_e32 v[4:5], v[16:17], v[20:21]
	v_mul_f64_e32 v[204:205], v[14:15], v[20:21]
	s_delay_alu instid0(VALU_DEP_2) | instskip(NEXT) | instid1(VALU_DEP_2)
	v_fma_f64 v[202:203], v[14:15], v[18:19], -v[4:5]
	v_fmac_f64_e32 v[204:205], v[16:17], v[18:19]
	s_delay_alu instid0(VALU_DEP_2) | instskip(NEXT) | instid1(VALU_DEP_2)
	v_mov_b64_e32 v[14:15], v[202:203]
	v_mov_b64_e32 v[16:17], v[204:205]
	ds_store_b128 v23, v[202:205]
.LBB96_398:                             ;   in Loop: Header=BB96_3 Depth=1
	s_or_b32 exec_lo, exec_lo, s40
	s_wait_dscnt 0x0
	s_barrier_signal -1
	s_barrier_wait -1
	s_barrier_signal -1
	s_barrier_wait -1
	s_and_saveexec_b32 s40, s2
; %bb.399:                              ;   in Loop: Header=BB96_3 Depth=1
	s_delay_alu instid0(VALU_DEP_3) | instskip(NEXT) | instid1(VALU_DEP_2)
	v_xor_b32_e32 v15, 0x80000000, v15
	v_xor_b32_e32 v17, 0x80000000, v17
	ds_store_b128 v41, v[14:17] offset:12704
; %bb.400:                              ;   in Loop: Header=BB96_3 Depth=1
	s_or_b32 exec_lo, exec_lo, s40
	s_wait_dscnt 0x0
	s_barrier_signal -1
	s_barrier_wait -1
	s_barrier_signal -1
	s_barrier_wait -1
	s_and_saveexec_b32 s40, s67
	s_cbranch_execz .LBB96_402
; %bb.401:                              ;   in Loop: Header=BB96_3 Depth=1
	ds_load_b128 v[14:17], v88
	s_wait_dscnt 0x0
	ds_store_b128 v190, v[14:17]
	ds_load_b128 v[14:17], v89
	s_wait_dscnt 0x0
	ds_store_b128 v191, v[14:17]
.LBB96_402:                             ;   in Loop: Header=BB96_3 Depth=1
	s_or_b32 exec_lo, exec_lo, s40
	s_wait_dscnt 0x0
	s_barrier_signal -1
	s_barrier_wait -1
	s_and_saveexec_b32 s40, s29
	s_cbranch_execz .LBB96_404
; %bb.403:                              ;   in Loop: Header=BB96_3 Depth=1
	ds_load_b128 v[14:17], v2 offset:14256
	ds_load_b128 v[18:21], v2 offset:13728
	s_wait_dscnt 0x0
	v_mul_f64_e32 v[4:5], v[14:15], v[20:21]
	v_mul_f64_e32 v[20:21], v[16:17], v[20:21]
	s_delay_alu instid0(VALU_DEP_2) | instskip(NEXT) | instid1(VALU_DEP_2)
	v_fmac_f64_e32 v[4:5], v[16:17], v[18:19]
	v_fma_f64 v[20:21], v[14:15], v[18:19], -v[20:21]
	ds_load_b128 v[14:17], v2 offset:13744
	s_wait_dscnt 0x0
	v_mul_f64_e32 v[38:39], v[4:5], v[16:17]
	v_mul_f64_e32 v[18:19], v[20:21], v[16:17]
	s_delay_alu instid0(VALU_DEP_2) | instskip(NEXT) | instid1(VALU_DEP_2)
	v_fma_f64 v[16:17], v[14:15], v[20:21], -v[38:39]
	v_fmac_f64_e32 v[18:19], v[14:15], v[4:5]
	ds_store_b128 v2, v[16:19] offset:13744
	ds_store_b128 v2, v[16:19] offset:14240
.LBB96_404:                             ;   in Loop: Header=BB96_3 Depth=1
	s_or_b32 exec_lo, exec_lo, s40
	v_mov_b64_e32 v[16:17], 0
	v_mov_b64_e32 v[14:15], 0
	s_wait_dscnt 0x0
	s_barrier_signal -1
	s_barrier_wait -1
	s_and_saveexec_b32 s40, s4
	s_cbranch_execz .LBB96_410
; %bb.405:                              ;   in Loop: Header=BB96_3 Depth=1
	ds_load_b128 v[14:17], v44 offset:12672
	ds_load_b128 v[18:21], v50 offset:12736
	s_wait_dscnt 0x0
	v_mul_f64_e32 v[4:5], v[16:17], v[20:21]
	v_mul_f64_e32 v[20:21], v[14:15], v[20:21]
	s_delay_alu instid0(VALU_DEP_2) | instskip(NEXT) | instid1(VALU_DEP_2)
	v_fma_f64 v[4:5], v[14:15], v[18:19], -v[4:5]
	v_fmac_f64_e32 v[20:21], v[16:17], v[18:19]
	s_delay_alu instid0(VALU_DEP_2) | instskip(NEXT) | instid1(VALU_DEP_2)
	v_add_f64_e32 v[14:15], 0, v[4:5]
	v_add_f64_e32 v[16:17], 0, v[20:21]
	s_and_saveexec_b32 s41, s11
	s_cbranch_execnz .LBB96_572
; %bb.406:                              ;   in Loop: Header=BB96_3 Depth=1
	s_or_b32 exec_lo, exec_lo, s41
	s_and_saveexec_b32 s41, s12
	s_cbranch_execnz .LBB96_573
.LBB96_407:                             ;   in Loop: Header=BB96_3 Depth=1
	s_or_b32 exec_lo, exec_lo, s41
	s_and_saveexec_b32 s41, s2
	s_cbranch_execz .LBB96_409
.LBB96_408:                             ;   in Loop: Header=BB96_3 Depth=1
	ds_load_b128 v[18:21], v2 offset:12720
	ds_load_b128 v[202:205], v81 offset:14272
	s_wait_dscnt 0x0
	v_mul_f64_e32 v[4:5], v[20:21], v[204:205]
	s_delay_alu instid0(VALU_DEP_1) | instskip(SKIP_1) | instid1(VALU_DEP_2)
	v_fma_f64 v[4:5], v[18:19], v[202:203], -v[4:5]
	v_mul_f64_e32 v[18:19], v[18:19], v[204:205]
	v_add_f64_e32 v[14:15], v[14:15], v[4:5]
	s_delay_alu instid0(VALU_DEP_2) | instskip(NEXT) | instid1(VALU_DEP_1)
	v_fmac_f64_e32 v[18:19], v[20:21], v[202:203]
	v_add_f64_e32 v[16:17], v[16:17], v[18:19]
.LBB96_409:                             ;   in Loop: Header=BB96_3 Depth=1
	s_or_b32 exec_lo, exec_lo, s41
	s_delay_alu instid0(VALU_DEP_2) | instskip(NEXT) | instid1(VALU_DEP_2)
	v_xor_b32_e32 v15, 0x80000000, v15
	v_xor_b32_e32 v17, 0x80000000, v17
.LBB96_410:                             ;   in Loop: Header=BB96_3 Depth=1
	s_or_b32 exec_lo, exec_lo, s40
	s_and_saveexec_b32 s40, s68
	s_cbranch_execz .LBB96_412
; %bb.411:                              ;   in Loop: Header=BB96_3 Depth=1
	ds_load_b128 v[18:21], v2 offset:14784
	s_wait_dscnt 0x0
	v_mul_f64_e32 v[4:5], v[16:17], v[20:21]
	v_mul_f64_e32 v[204:205], v[14:15], v[20:21]
	s_delay_alu instid0(VALU_DEP_2) | instskip(NEXT) | instid1(VALU_DEP_2)
	v_fma_f64 v[202:203], v[14:15], v[18:19], -v[4:5]
	v_fmac_f64_e32 v[204:205], v[16:17], v[18:19]
	s_delay_alu instid0(VALU_DEP_2) | instskip(NEXT) | instid1(VALU_DEP_2)
	v_mov_b64_e32 v[14:15], v[202:203]
	v_mov_b64_e32 v[16:17], v[204:205]
	ds_store_b128 v49, v[202:205]
.LBB96_412:                             ;   in Loop: Header=BB96_3 Depth=1
	s_or_b32 exec_lo, exec_lo, s40
	s_wait_dscnt 0x0
	s_barrier_signal -1
	s_barrier_wait -1
	s_and_saveexec_b32 s40, s69
	s_cbranch_execz .LBB96_414
; %bb.413:                              ;   in Loop: Header=BB96_3 Depth=1
	ds_load_b128 v[18:21], v49
	ds_load_b128 v[202:205], v47 offset:14784
	s_wait_dscnt 0x0
	v_mul_f64_e32 v[4:5], v[20:21], v[204:205]
	s_delay_alu instid0(VALU_DEP_1) | instskip(SKIP_1) | instid1(VALU_DEP_2)
	v_fma_f64 v[4:5], v[18:19], v[202:203], -v[4:5]
	v_mul_f64_e32 v[18:19], v[18:19], v[204:205]
	v_add_f64_e32 v[14:15], v[14:15], v[4:5]
	s_delay_alu instid0(VALU_DEP_2) | instskip(NEXT) | instid1(VALU_DEP_1)
	v_fmac_f64_e32 v[18:19], v[20:21], v[202:203]
	v_add_f64_e32 v[16:17], v[16:17], v[18:19]
.LBB96_414:                             ;   in Loop: Header=BB96_3 Depth=1
	s_or_b32 exec_lo, exec_lo, s40
	s_barrier_signal -1
	s_barrier_wait -1
	s_and_saveexec_b32 s40, s70
	s_cbranch_execz .LBB96_416
; %bb.415:                              ;   in Loop: Header=BB96_3 Depth=1
	ds_load_b128 v[18:21], v2 offset:15312
	s_wait_dscnt 0x0
	v_mul_f64_e32 v[4:5], v[16:17], v[20:21]
	v_mul_f64_e32 v[204:205], v[14:15], v[20:21]
	s_delay_alu instid0(VALU_DEP_2) | instskip(NEXT) | instid1(VALU_DEP_2)
	v_fma_f64 v[202:203], v[14:15], v[18:19], -v[4:5]
	v_fmac_f64_e32 v[204:205], v[16:17], v[18:19]
	s_delay_alu instid0(VALU_DEP_2) | instskip(NEXT) | instid1(VALU_DEP_2)
	v_mov_b64_e32 v[14:15], v[202:203]
	v_mov_b64_e32 v[16:17], v[204:205]
	ds_store_b128 v49, v[202:205]
.LBB96_416:                             ;   in Loop: Header=BB96_3 Depth=1
	s_or_b32 exec_lo, exec_lo, s40
	s_wait_dscnt 0x0
	s_barrier_signal -1
	s_barrier_wait -1
	s_and_saveexec_b32 s40, s71
	s_cbranch_execz .LBB96_418
; %bb.417:                              ;   in Loop: Header=BB96_3 Depth=1
	ds_load_b128 v[18:21], v49
	ds_load_b128 v[202:205], v47 offset:15296
	s_wait_dscnt 0x0
	v_mul_f64_e32 v[4:5], v[20:21], v[204:205]
	s_delay_alu instid0(VALU_DEP_1) | instskip(SKIP_1) | instid1(VALU_DEP_2)
	v_fma_f64 v[4:5], v[18:19], v[202:203], -v[4:5]
	v_mul_f64_e32 v[18:19], v[18:19], v[204:205]
	v_add_f64_e32 v[14:15], v[14:15], v[4:5]
	s_delay_alu instid0(VALU_DEP_2) | instskip(NEXT) | instid1(VALU_DEP_1)
	v_fmac_f64_e32 v[18:19], v[20:21], v[202:203]
	v_add_f64_e32 v[16:17], v[16:17], v[18:19]
.LBB96_418:                             ;   in Loop: Header=BB96_3 Depth=1
	s_or_b32 exec_lo, exec_lo, s40
	s_barrier_signal -1
	s_barrier_wait -1
	;; [unrolled: 37-line block ×3, first 2 shown]
	s_and_saveexec_b32 s40, s73
	s_cbranch_execz .LBB96_424
; %bb.423:                              ;   in Loop: Header=BB96_3 Depth=1
	ds_load_b128 v[18:21], v2 offset:16368
	s_wait_dscnt 0x0
	v_mul_f64_e32 v[4:5], v[16:17], v[20:21]
	v_mul_f64_e32 v[204:205], v[14:15], v[20:21]
	s_delay_alu instid0(VALU_DEP_2) | instskip(NEXT) | instid1(VALU_DEP_2)
	v_fma_f64 v[202:203], v[14:15], v[18:19], -v[4:5]
	v_fmac_f64_e32 v[204:205], v[16:17], v[18:19]
	s_delay_alu instid0(VALU_DEP_2) | instskip(NEXT) | instid1(VALU_DEP_2)
	v_mov_b64_e32 v[14:15], v[202:203]
	v_mov_b64_e32 v[16:17], v[204:205]
	ds_store_b128 v49, v[202:205]
.LBB96_424:                             ;   in Loop: Header=BB96_3 Depth=1
	s_or_b32 exec_lo, exec_lo, s40
	s_wait_dscnt 0x0
	s_barrier_signal -1
	s_barrier_wait -1
	s_barrier_signal -1
	s_barrier_wait -1
	s_and_saveexec_b32 s40, s4
; %bb.425:                              ;   in Loop: Header=BB96_3 Depth=1
	s_delay_alu instid0(VALU_DEP_1) | instskip(NEXT) | instid1(VALU_DEP_4)
	v_xor_b32_e32 v17, 0x80000000, v17
	v_xor_b32_e32 v15, 0x80000000, v15
	ds_store_b128 v50, v[14:17] offset:12736
; %bb.426:                              ;   in Loop: Header=BB96_3 Depth=1
	s_or_b32 exec_lo, exec_lo, s40
	s_wait_dscnt 0x0
	s_barrier_signal -1
	s_barrier_wait -1
	s_barrier_signal -1
	s_barrier_wait -1
	s_and_saveexec_b32 s40, s74
	s_cbranch_execz .LBB96_428
; %bb.427:                              ;   in Loop: Header=BB96_3 Depth=1
	ds_load_b128 v[14:17], v99
	s_wait_dscnt 0x0
	ds_store_b128 v192, v[14:17]
	ds_load_b128 v[14:17], v102
	s_wait_dscnt 0x0
	ds_store_b128 v195, v[14:17]
	;; [unrolled: 3-line block ×4, first 2 shown]
.LBB96_428:                             ;   in Loop: Header=BB96_3 Depth=1
	s_or_b32 exec_lo, exec_lo, s40
	s_wait_dscnt 0x0
	s_barrier_signal -1
	s_barrier_wait -1
	s_and_saveexec_b32 s40, s29
	s_cbranch_execz .LBB96_430
; %bb.429:                              ;   in Loop: Header=BB96_3 Depth=1
	ds_load_b128 v[14:17], v2 offset:15312
	ds_load_b128 v[18:21], v2 offset:14784
	s_wait_dscnt 0x0
	v_mul_f64_e32 v[4:5], v[14:15], v[20:21]
	v_mul_f64_e32 v[20:21], v[16:17], v[20:21]
	s_delay_alu instid0(VALU_DEP_2) | instskip(NEXT) | instid1(VALU_DEP_2)
	v_fmac_f64_e32 v[4:5], v[16:17], v[18:19]
	v_fma_f64 v[20:21], v[14:15], v[18:19], -v[20:21]
	ds_load_b128 v[14:17], v2 offset:14800
	s_wait_dscnt 0x0
	v_mul_f64_e32 v[38:39], v[4:5], v[16:17]
	v_mul_f64_e32 v[18:19], v[20:21], v[16:17]
	s_delay_alu instid0(VALU_DEP_2) | instskip(NEXT) | instid1(VALU_DEP_2)
	v_fma_f64 v[16:17], v[14:15], v[20:21], -v[38:39]
	v_fmac_f64_e32 v[18:19], v[14:15], v[4:5]
	ds_store_b128 v2, v[16:19] offset:14800
	ds_store_b128 v2, v[16:19] offset:15296
.LBB96_430:                             ;   in Loop: Header=BB96_3 Depth=1
	s_or_b32 exec_lo, exec_lo, s40
	v_mov_b64_e32 v[16:17], 0
	v_mov_b64_e32 v[14:15], 0
	s_wait_dscnt 0x0
	s_barrier_signal -1
	s_barrier_wait -1
	s_and_saveexec_b32 s40, s2
	s_cbranch_execz .LBB96_434
; %bb.431:                              ;   in Loop: Header=BB96_3 Depth=1
	ds_load_b128 v[14:17], v42 offset:14784
	ds_load_b128 v[18:21], v41 offset:14816
	s_wait_dscnt 0x0
	v_mul_f64_e32 v[4:5], v[16:17], v[20:21]
	v_mul_f64_e32 v[20:21], v[14:15], v[20:21]
	s_delay_alu instid0(VALU_DEP_2) | instskip(NEXT) | instid1(VALU_DEP_2)
	v_fma_f64 v[4:5], v[14:15], v[18:19], -v[4:5]
	v_fmac_f64_e32 v[20:21], v[16:17], v[18:19]
	s_delay_alu instid0(VALU_DEP_2) | instskip(NEXT) | instid1(VALU_DEP_2)
	v_add_f64_e32 v[14:15], 0, v[4:5]
	v_add_f64_e32 v[16:17], 0, v[20:21]
	s_and_saveexec_b32 s41, s10
	s_cbranch_execz .LBB96_433
; %bb.432:                              ;   in Loop: Header=BB96_3 Depth=1
	ds_load_b128 v[18:21], v2 offset:14800
	ds_load_b128 v[202:205], v92 offset:15328
	s_wait_dscnt 0x0
	v_mul_f64_e32 v[4:5], v[20:21], v[204:205]
	s_delay_alu instid0(VALU_DEP_1) | instskip(SKIP_1) | instid1(VALU_DEP_2)
	v_fma_f64 v[4:5], v[18:19], v[202:203], -v[4:5]
	v_mul_f64_e32 v[18:19], v[18:19], v[204:205]
	v_add_f64_e32 v[14:15], v[14:15], v[4:5]
	s_delay_alu instid0(VALU_DEP_2) | instskip(NEXT) | instid1(VALU_DEP_1)
	v_fmac_f64_e32 v[18:19], v[20:21], v[202:203]
	v_add_f64_e32 v[16:17], v[16:17], v[18:19]
.LBB96_433:                             ;   in Loop: Header=BB96_3 Depth=1
	s_or_b32 exec_lo, exec_lo, s41
	s_delay_alu instid0(VALU_DEP_2) | instskip(NEXT) | instid1(VALU_DEP_2)
	v_xor_b32_e32 v15, 0x80000000, v15
	v_xor_b32_e32 v17, 0x80000000, v17
.LBB96_434:                             ;   in Loop: Header=BB96_3 Depth=1
	s_or_b32 exec_lo, exec_lo, s40
	s_and_saveexec_b32 s40, s65
	s_cbranch_execz .LBB96_436
; %bb.435:                              ;   in Loop: Header=BB96_3 Depth=1
	ds_load_b128 v[18:21], v2 offset:15840
	s_wait_dscnt 0x0
	v_mul_f64_e32 v[4:5], v[16:17], v[20:21]
	v_mul_f64_e32 v[204:205], v[14:15], v[20:21]
	s_delay_alu instid0(VALU_DEP_2) | instskip(NEXT) | instid1(VALU_DEP_2)
	v_fma_f64 v[202:203], v[14:15], v[18:19], -v[4:5]
	v_fmac_f64_e32 v[204:205], v[16:17], v[18:19]
	s_delay_alu instid0(VALU_DEP_2) | instskip(NEXT) | instid1(VALU_DEP_2)
	v_mov_b64_e32 v[14:15], v[202:203]
	v_mov_b64_e32 v[16:17], v[204:205]
	ds_store_b128 v23, v[202:205]
.LBB96_436:                             ;   in Loop: Header=BB96_3 Depth=1
	s_or_b32 exec_lo, exec_lo, s40
	s_wait_dscnt 0x0
	s_barrier_signal -1
	s_barrier_wait -1
	s_and_saveexec_b32 s40, s66
	s_cbranch_execz .LBB96_438
; %bb.437:                              ;   in Loop: Header=BB96_3 Depth=1
	ds_load_b128 v[18:21], v23
	ds_load_b128 v[202:205], v2 offset:15856
	s_wait_dscnt 0x0
	v_mul_f64_e32 v[4:5], v[20:21], v[204:205]
	s_delay_alu instid0(VALU_DEP_1) | instskip(SKIP_1) | instid1(VALU_DEP_2)
	v_fma_f64 v[4:5], v[18:19], v[202:203], -v[4:5]
	v_mul_f64_e32 v[18:19], v[18:19], v[204:205]
	v_add_f64_e32 v[14:15], v[14:15], v[4:5]
	s_delay_alu instid0(VALU_DEP_2) | instskip(NEXT) | instid1(VALU_DEP_1)
	v_fmac_f64_e32 v[18:19], v[20:21], v[202:203]
	v_add_f64_e32 v[16:17], v[16:17], v[18:19]
.LBB96_438:                             ;   in Loop: Header=BB96_3 Depth=1
	s_or_b32 exec_lo, exec_lo, s40
	s_barrier_signal -1
	s_barrier_wait -1
	s_and_saveexec_b32 s40, s66
	s_cbranch_execz .LBB96_440
; %bb.439:                              ;   in Loop: Header=BB96_3 Depth=1
	ds_load_b128 v[18:21], v2 offset:16368
	s_wait_dscnt 0x0
	v_mul_f64_e32 v[4:5], v[16:17], v[20:21]
	v_mul_f64_e32 v[204:205], v[14:15], v[20:21]
	s_delay_alu instid0(VALU_DEP_2) | instskip(NEXT) | instid1(VALU_DEP_2)
	v_fma_f64 v[202:203], v[14:15], v[18:19], -v[4:5]
	v_fmac_f64_e32 v[204:205], v[16:17], v[18:19]
	s_delay_alu instid0(VALU_DEP_2) | instskip(NEXT) | instid1(VALU_DEP_2)
	v_mov_b64_e32 v[14:15], v[202:203]
	v_mov_b64_e32 v[16:17], v[204:205]
	ds_store_b128 v23, v[202:205]
.LBB96_440:                             ;   in Loop: Header=BB96_3 Depth=1
	s_or_b32 exec_lo, exec_lo, s40
	s_wait_dscnt 0x0
	s_barrier_signal -1
	s_barrier_wait -1
	s_barrier_signal -1
	s_barrier_wait -1
	s_and_saveexec_b32 s40, s2
; %bb.441:                              ;   in Loop: Header=BB96_3 Depth=1
	s_delay_alu instid0(VALU_DEP_3) | instskip(NEXT) | instid1(VALU_DEP_2)
	v_xor_b32_e32 v15, 0x80000000, v15
	v_xor_b32_e32 v17, 0x80000000, v17
	ds_store_b128 v41, v[14:17] offset:14816
; %bb.442:                              ;   in Loop: Header=BB96_3 Depth=1
	s_or_b32 exec_lo, exec_lo, s40
	s_wait_dscnt 0x0
	s_barrier_signal -1
	s_barrier_wait -1
	s_barrier_signal -1
	s_barrier_wait -1
	s_and_saveexec_b32 s40, s67
	s_cbranch_execz .LBB96_444
; %bb.443:                              ;   in Loop: Header=BB96_3 Depth=1
	ds_load_b128 v[14:17], v105
	s_wait_dscnt 0x0
	ds_store_b128 v109, v[14:17]
	ds_load_b128 v[14:17], v106
	s_wait_dscnt 0x0
	ds_store_b128 v110, v[14:17]
.LBB96_444:                             ;   in Loop: Header=BB96_3 Depth=1
	s_or_b32 exec_lo, exec_lo, s40
	s_wait_dscnt 0x0
	s_barrier_signal -1
	s_barrier_wait -1
	s_and_saveexec_b32 s40, s29
	s_cbranch_execz .LBB96_446
; %bb.445:                              ;   in Loop: Header=BB96_3 Depth=1
	ds_load_b128 v[14:17], v2 offset:16368
	ds_load_b128 v[18:21], v2 offset:15840
	s_wait_dscnt 0x0
	v_mul_f64_e32 v[4:5], v[14:15], v[20:21]
	v_mul_f64_e32 v[20:21], v[16:17], v[20:21]
	s_delay_alu instid0(VALU_DEP_2) | instskip(NEXT) | instid1(VALU_DEP_2)
	v_fmac_f64_e32 v[4:5], v[16:17], v[18:19]
	v_fma_f64 v[20:21], v[14:15], v[18:19], -v[20:21]
	ds_load_b128 v[14:17], v2 offset:15856
	s_wait_dscnt 0x0
	v_mul_f64_e32 v[38:39], v[4:5], v[16:17]
	v_mul_f64_e32 v[18:19], v[20:21], v[16:17]
	s_delay_alu instid0(VALU_DEP_2) | instskip(NEXT) | instid1(VALU_DEP_2)
	v_fma_f64 v[16:17], v[14:15], v[20:21], -v[38:39]
	v_fmac_f64_e32 v[18:19], v[14:15], v[4:5]
	ds_store_b128 v2, v[16:19] offset:15856
	ds_store_b128 v2, v[16:19] offset:16352
.LBB96_446:                             ;   in Loop: Header=BB96_3 Depth=1
	s_or_b32 exec_lo, exec_lo, s40
.LBB96_447:                             ;   in Loop: Header=BB96_3 Depth=1
	v_mov_b64_e32 v[14:15], 0
	v_mov_b64_e32 v[16:17], 0
	s_mul_u64 s[40:41], s[38:39], s[52:53]
	s_wait_dscnt 0x0
	s_lshl_b64 s[40:41], s[40:41], 4
	s_barrier_signal -1
	s_add_nc_u64 s[40:41], s[48:49], s[40:41]
	s_barrier_wait -1
	s_and_saveexec_b32 s58, s91
	s_cbranch_execz .LBB96_449
; %bb.448:                              ;   in Loop: Header=BB96_3 Depth=1
	v_lshl_add_u64 v[4:5], v[34:35], 4, s[40:41]
	global_load_b128 v[16:19], v[4:5], off
	s_wait_loadcnt 0x0
	v_mul_f64_e32 v[4:5], s[44:45], v[16:17]
	s_delay_alu instid0(VALU_DEP_1) | instskip(SKIP_1) | instid1(VALU_DEP_1)
	v_fma_f64 v[14:15], s[46:47], v[18:19], -v[4:5]
	v_mul_f64_e32 v[4:5], s[44:45], v[18:19]
	v_fma_f64 v[16:17], v[16:17], -s[46:47], -v[4:5]
.LBB96_449:                             ;   in Loop: Header=BB96_3 Depth=1
	s_or_b32 exec_lo, exec_lo, s58
	s_delay_alu instid0(SALU_CYCLE_1)
	s_and_not1_b32 vcc_lo, exec_lo, s92
	s_cbranch_vccnz .LBB96_472
; %bb.450:                              ;   in Loop: Header=BB96_3 Depth=1
	v_mov_b32_e32 v201, -1
	s_lshl_b64 s[58:59], s[52:53], 2
	s_mov_b32 s98, 0
	s_add_nc_u64 s[58:59], s[56:57], s[58:59]
	s_branch .LBB96_453
.LBB96_451:                             ;   in Loop: Header=BB96_453 Depth=2
	ds_load_b128 v[202:205], v128 offset:256
	s_wait_loadcnt_dscnt 0x0
	v_mul_f64_e32 v[4:5], v[20:21], v[204:205]
	v_mul_f64_e32 v[20:21], v[20:21], v[202:203]
	s_delay_alu instid0(VALU_DEP_2) | instskip(NEXT) | instid1(VALU_DEP_2)
	v_fmac_f64_e32 v[4:5], v[18:19], v[202:203]
	v_fma_f64 v[18:19], v[18:19], v[204:205], -v[20:21]
	s_delay_alu instid0(VALU_DEP_2) | instskip(NEXT) | instid1(VALU_DEP_2)
	v_add_f64_e32 v[14:15], v[14:15], v[4:5]
	v_add_f64_e32 v[16:17], v[16:17], v[18:19]
.LBB96_452:                             ;   in Loop: Header=BB96_453 Depth=2
	s_or_b32 exec_lo, exec_lo, s99
	s_add_co_i32 s98, s98, 1
	s_delay_alu instid0(SALU_CYCLE_1)
	s_cmp_eq_u32 s98, s60
	s_cbranch_scc1 .LBB96_472
.LBB96_453:                             ;   Parent Loop BB96_3 Depth=1
                                        ; =>  This Loop Header: Depth=2
                                        ;       Child Loop BB96_455 Depth 3
	v_cmp_gt_i32_e32 vcc_lo, s98, v201
	s_and_b32 s100, s33, vcc_lo
	s_delay_alu instid0(SALU_CYCLE_1)
	s_and_saveexec_b32 s99, s100
	s_cbranch_execz .LBB96_456
; %bb.454:                              ;   in Loop: Header=BB96_453 Depth=2
	global_load_b32 v201, v2, s[58:59]
	s_wait_loadcnt 0x0
	v_cmp_le_i32_e32 vcc_lo, s98, v201
	s_cbranch_vccnz .LBB96_456
.LBB96_455:                             ;   Parent Loop BB96_3 Depth=1
                                        ;     Parent Loop BB96_453 Depth=2
                                        ; =>    This Inner Loop Header: Depth=3
	global_wb scope:SCOPE_DEV
	s_wait_storecnt 0x0
	global_inv scope:SCOPE_DEV
	global_load_b32 v201, v2, s[58:59]
	s_wait_loadcnt 0x0
	v_cmp_gt_i32_e32 vcc_lo, s98, v201
	s_cbranch_vccnz .LBB96_455
.LBB96_456:                             ;   in Loop: Header=BB96_453 Depth=2
	s_or_b32 exec_lo, exec_lo, s99
	s_sub_co_i32 s99, s61, s98
	global_wb scope:SCOPE_DEV
	s_wait_storecnt 0x0
	global_inv scope:SCOPE_DEV
	s_lshl_b32 s100, s99, 5
	s_wait_loadcnt 0x0
	s_barrier_signal -1
	s_barrier_wait -1
	s_and_saveexec_b32 s101, s34
	s_cbranch_execz .LBB96_461
; %bb.457:                              ;   in Loop: Header=BB96_453 Depth=2
	s_ashr_i32 vcc_lo, s100, 31
	s_delay_alu instid0(SALU_CYCLE_1) | instskip(NEXT) | instid1(VALU_DEP_1)
	v_dual_mov_b32 v5, vcc_lo :: v_dual_bitop2_b32 v4, s100, v24 bitop3:0x54
	v_cmp_le_i64_e32 vcc_lo, s[54:55], v[4:5]
	s_and_saveexec_b32 s102, vcc_lo
	s_delay_alu instid0(SALU_CYCLE_1)
	s_xor_b32 vcc_lo, exec_lo, s102
; %bb.458:                              ;   in Loop: Header=BB96_453 Depth=2
	v_dual_mov_b32 v3, v2 :: v_dual_mov_b32 v4, v2
	v_mov_b32_e32 v5, v2
	ds_store_b128 v196, v[2:5]
                                        ; implicit-def: $vgpr4_vgpr5
; %bb.459:                              ;   in Loop: Header=BB96_453 Depth=2
	s_and_not1_saveexec_b32 s102, vcc_lo
	s_cbranch_execz .LBB96_461
; %bb.460:                              ;   in Loop: Header=BB96_453 Depth=2
	v_mul_u64_e32 v[4:5], s[36:37], v[4:5]
	s_delay_alu instid0(VALU_DEP_1)
	v_lshl_add_u64 v[4:5], v[4:5], 4, s[40:41]
	global_load_b128 v[18:21], v[4:5], off
	s_wait_loadcnt 0x0
	ds_store_2addr_b64 v196, v[18:19], v[20:21] offset1:1
.LBB96_461:                             ;   in Loop: Header=BB96_453 Depth=2
	s_or_b32 exec_lo, exec_lo, s101
	v_add_nc_u32_e32 v18, s100, v40
	s_cmp_lg_u32 s99, s93
	s_wait_dscnt 0x0
	s_cselect_b32 s100, -1, 0
	s_barrier_signal -1
	v_ashrrev_i32_e32 v19, 31, v18
	v_cmp_gt_i32_e32 vcc_lo, s54, v18
	v_cndmask_b32_e64 v3, 0, 1, s100
	s_barrier_wait -1
	s_delay_alu instid0(VALU_DEP_3) | instskip(SKIP_1) | instid1(SALU_CYCLE_1)
	v_lshl_add_u64 v[4:5], v[18:19], 4, v[36:37]
	s_and_b32 s101, vcc_lo, s0
	s_and_saveexec_b32 s99, s101
	s_cbranch_execz .LBB96_467
; %bb.462:                              ;   in Loop: Header=BB96_453 Depth=2
	v_mov_b64_e32 v[20:21], v[6:7]
	s_and_not1_b32 vcc_lo, exec_lo, s100
	s_cbranch_vccnz .LBB96_464
; %bb.463:                              ;   in Loop: Header=BB96_453 Depth=2
	global_load_b64 v[20:21], v[4:5], off
.LBB96_464:                             ;   in Loop: Header=BB96_453 Depth=2
	v_cmp_ne_u32_e32 vcc_lo, 1, v3
	v_mov_b64_e32 v[38:39], v[8:9]
	s_cbranch_vccnz .LBB96_466
; %bb.465:                              ;   in Loop: Header=BB96_453 Depth=2
	global_load_b64 v[38:39], v[4:5], off offset:8
.LBB96_466:                             ;   in Loop: Header=BB96_453 Depth=2
	ds_load_b128 v[202:205], v128
	s_wait_loadcnt_dscnt 0x0
	v_mul_f64_e32 v[206:207], v[38:39], v[204:205]
	v_mul_f64_e32 v[38:39], v[38:39], v[202:203]
	s_delay_alu instid0(VALU_DEP_2) | instskip(NEXT) | instid1(VALU_DEP_2)
	v_fmac_f64_e32 v[206:207], v[20:21], v[202:203]
	v_fma_f64 v[20:21], v[20:21], v[204:205], -v[38:39]
	s_delay_alu instid0(VALU_DEP_2) | instskip(NEXT) | instid1(VALU_DEP_2)
	v_add_f64_e32 v[14:15], v[14:15], v[206:207]
	v_add_f64_e32 v[16:17], v[16:17], v[20:21]
.LBB96_467:                             ;   in Loop: Header=BB96_453 Depth=2
	s_or_b32 exec_lo, exec_lo, s99
	v_add_nc_u32_e32 v18, 16, v18
	s_delay_alu instid0(VALU_DEP_1) | instskip(SKIP_1) | instid1(SALU_CYCLE_1)
	v_cmp_gt_i32_e32 vcc_lo, s54, v18
	s_and_b32 s100, vcc_lo, s0
	s_and_saveexec_b32 s99, s100
	s_cbranch_execz .LBB96_452
; %bb.468:                              ;   in Loop: Header=BB96_453 Depth=2
	v_cmp_ne_u32_e32 vcc_lo, 1, v3
	v_mov_b64_e32 v[18:19], v[10:11]
	s_cbranch_vccnz .LBB96_470
; %bb.469:                              ;   in Loop: Header=BB96_453 Depth=2
	global_load_b64 v[18:19], v[4:5], off offset:256
.LBB96_470:                             ;   in Loop: Header=BB96_453 Depth=2
	v_cmp_ne_u32_e32 vcc_lo, 1, v3
	v_mov_b64_e32 v[20:21], v[12:13]
	s_cbranch_vccnz .LBB96_451
; %bb.471:                              ;   in Loop: Header=BB96_453 Depth=2
	global_load_b64 v[20:21], v[4:5], off offset:264
	s_branch .LBB96_451
.LBB96_472:                             ;   in Loop: Header=BB96_3 Depth=1
	ds_store_b128 v197, v[14:17]
	s_wait_dscnt 0x0
	s_barrier_signal -1
	s_barrier_wait -1
	s_and_saveexec_b32 s58, s3
	s_cbranch_execz .LBB96_474
; %bb.473:                              ;   in Loop: Header=BB96_3 Depth=1
	ds_load_b128 v[18:21], v198 offset:512
	s_wait_dscnt 0x0
	v_add_f64_e32 v[4:5], v[14:15], v[18:19]
	v_add_f64_e32 v[18:19], v[16:17], v[20:21]
	ds_load_b128 v[14:17], v198 offset:1024
	s_wait_dscnt 0x0
	v_add_f64_e32 v[4:5], v[4:5], v[14:15]
	v_add_f64_e32 v[18:19], v[18:19], v[16:17]
	;; [unrolled: 4-line block ×15, first 2 shown]
	s_delay_alu instid0(VALU_DEP_2) | instskip(NEXT) | instid1(VALU_DEP_2)
	v_xor_b32_e32 v3, 0x80000000, v5
	v_xor_b32_e32 v5, 0x80000000, v17
	s_delay_alu instid0(VALU_DEP_4) | instskip(NEXT) | instid1(VALU_DEP_4)
	v_cndmask_b32_e64 v14, v4, 0, s90
	v_cndmask_b32_e64 v16, v16, 0, s90
	s_delay_alu instid0(VALU_DEP_4) | instskip(NEXT) | instid1(VALU_DEP_4)
	v_cndmask_b32_e64 v15, v3, 0, s90
	v_cndmask_b32_e64 v17, v5, 0, s90
.LBB96_474:                             ;   in Loop: Header=BB96_3 Depth=1
	s_or_b32 exec_lo, exec_lo, s58
	s_delay_alu instid0(SALU_CYCLE_1)
	s_and_not1_b32 vcc_lo, exec_lo, s64
	s_cbranch_vccnz .LBB96_483
; %bb.475:                              ;   in Loop: Header=BB96_3 Depth=1
	s_and_saveexec_b32 s58, s3
; %bb.476:                              ;   in Loop: Header=BB96_3 Depth=1
	ds_store_b128 v199, v[14:17]
; %bb.477:                              ;   in Loop: Header=BB96_3 Depth=1
	s_or_b32 exec_lo, exec_lo, s58
	v_mov_b64_e32 v[18:19], 0
	v_mov_b64_e32 v[20:21], 0
	s_wait_dscnt 0x0
	s_barrier_signal -1
	s_barrier_wait -1
	s_and_saveexec_b32 s58, s1
	s_cbranch_execz .LBB96_479
; %bb.478:                              ;   in Loop: Header=BB96_3 Depth=1
	ds_load_b128 v[18:21], v128
	ds_load_b128 v[36:39], v127
	s_wait_dscnt 0x0
	v_mul_f64_e32 v[4:5], v[20:21], v[38:39]
	v_mul_f64_e32 v[38:39], v[18:19], v[38:39]
	s_delay_alu instid0(VALU_DEP_2) | instskip(NEXT) | instid1(VALU_DEP_2)
	v_fma_f64 v[4:5], v[18:19], v[36:37], -v[4:5]
	v_fmac_f64_e32 v[38:39], v[20:21], v[36:37]
	s_delay_alu instid0(VALU_DEP_2) | instskip(NEXT) | instid1(VALU_DEP_2)
	v_add_f64_e32 v[18:19], 0, v[4:5]
	v_add_f64_e32 v[20:21], 0, v[38:39]
.LBB96_479:                             ;   in Loop: Header=BB96_3 Depth=1
	s_or_b32 exec_lo, exec_lo, s58
	s_and_saveexec_b32 s58, s7
	s_cbranch_execz .LBB96_481
; %bb.480:                              ;   in Loop: Header=BB96_3 Depth=1
	ds_load_b128 v[36:39], v128 offset:256
	ds_load_b128 v[202:205], v127 offset:8192
	s_wait_dscnt 0x0
	v_mul_f64_e32 v[4:5], v[38:39], v[204:205]
	s_delay_alu instid0(VALU_DEP_1) | instskip(SKIP_1) | instid1(VALU_DEP_2)
	v_fma_f64 v[4:5], v[36:37], v[202:203], -v[4:5]
	v_mul_f64_e32 v[36:37], v[36:37], v[204:205]
	v_add_f64_e32 v[18:19], v[18:19], v[4:5]
	s_delay_alu instid0(VALU_DEP_2) | instskip(NEXT) | instid1(VALU_DEP_1)
	v_fmac_f64_e32 v[36:37], v[38:39], v[202:203]
	v_add_f64_e32 v[20:21], v[20:21], v[36:37]
.LBB96_481:                             ;   in Loop: Header=BB96_3 Depth=1
	s_or_b32 exec_lo, exec_lo, s58
	s_mov_b32 s59, 0
	s_mov_b32 s58, 0
	ds_store_b128 v197, v[18:21]
	s_wait_dscnt 0x0
	s_barrier_signal -1
	s_barrier_wait -1
                                        ; implicit-def: $vgpr4_vgpr5
                                        ; implicit-def: $vgpr36_vgpr37
	s_and_saveexec_b32 vcc_lo, s3
	s_cbranch_execz .LBB96_546
; %bb.482:                              ;   in Loop: Header=BB96_3 Depth=1
	ds_load_b128 v[36:39], v198 offset:512
	s_mov_b32 s58, exec_lo
	s_wait_dscnt 0x0
	v_add_f64_e32 v[4:5], v[18:19], v[36:37]
	v_add_f64_e32 v[36:37], v[20:21], v[38:39]
	ds_load_b128 v[18:21], v198 offset:1024
	s_wait_dscnt 0x0
	v_add_f64_e32 v[4:5], v[4:5], v[18:19]
	v_add_f64_e32 v[36:37], v[36:37], v[20:21]
	ds_load_b128 v[18:21], v198 offset:1536
	;; [unrolled: 4-line block ×14, first 2 shown]
	s_wait_dscnt 0x0
	v_add_f64_e32 v[36:37], v[4:5], v[18:19]
	v_add_f64_e32 v[4:5], v[38:39], v[20:21]
	s_or_b32 exec_lo, exec_lo, vcc_lo
	s_delay_alu instid0(SALU_CYCLE_1)
	s_and_b32 vcc_lo, exec_lo, s59
	s_cbranch_vccnz .LBB96_484
	s_branch .LBB96_547
.LBB96_483:                             ;   in Loop: Header=BB96_3 Depth=1
	s_mov_b32 s58, 0
                                        ; implicit-def: $vgpr4_vgpr5
                                        ; implicit-def: $vgpr36_vgpr37
	s_cbranch_execz .LBB96_547
.LBB96_484:                             ;   in Loop: Header=BB96_3 Depth=1
	v_mov_b32_e32 v3, v146
	s_mov_b32 s59, 31
	s_branch .LBB96_486
.LBB96_485:                             ;   in Loop: Header=BB96_486 Depth=2
	s_or_b32 exec_lo, exec_lo, s99
	v_add_nc_u32_e32 v3, 0xfffffc00, v3
	s_add_co_i32 s59, s59, -2
	s_cmp_lg_u32 s98, 0
	s_barrier_signal -1
	s_barrier_wait -1
	s_cbranch_scc0 .LBB96_494
.LBB96_486:                             ;   Parent Loop BB96_3 Depth=1
                                        ; =>  This Inner Loop Header: Depth=2
	s_delay_alu instid0(VALU_DEP_1) | instskip(SKIP_1) | instid1(SALU_CYCLE_1)
	v_cmp_eq_u32_e32 vcc_lo, 0xffffc200, v3
	s_and_b32 s99, s3, vcc_lo
	s_and_saveexec_b32 s98, s99
	s_cbranch_execz .LBB96_488
; %bb.487:                              ;   in Loop: Header=BB96_486 Depth=2
	ds_load_b128 v[18:21], v200
	s_wait_dscnt 0x0
	v_mul_f64_e32 v[4:5], v[16:17], v[20:21]
	v_mul_f64_e32 v[38:39], v[14:15], v[20:21]
	s_delay_alu instid0(VALU_DEP_2) | instskip(NEXT) | instid1(VALU_DEP_2)
	v_fma_f64 v[36:37], v[14:15], v[18:19], -v[4:5]
	v_fmac_f64_e32 v[38:39], v[16:17], v[18:19]
	s_delay_alu instid0(VALU_DEP_2) | instskip(NEXT) | instid1(VALU_DEP_2)
	v_mov_b64_e32 v[14:15], v[36:37]
	v_mov_b64_e32 v[16:17], v[38:39]
	ds_store_b128 v2, v[36:39] offset:25088
.LBB96_488:                             ;   in Loop: Header=BB96_486 Depth=2
	s_or_b32 exec_lo, exec_lo, s98
	v_cmp_gt_u32_e32 vcc_lo, s59, v22
	v_add_nc_u32_e32 v4, v25, v3
	s_wait_dscnt 0x0
	s_barrier_signal -1
	s_barrier_wait -1
	s_and_b32 s99, s3, vcc_lo
	s_delay_alu instid0(SALU_CYCLE_1)
	s_and_saveexec_b32 s98, s99
	s_cbranch_execz .LBB96_490
; %bb.489:                              ;   in Loop: Header=BB96_486 Depth=2
	ds_load_b128 v[18:21], v2 offset:25088
	ds_load_b128 v[36:39], v4 offset:512
	s_wait_dscnt 0x0
	v_mul_f64_e32 v[202:203], v[20:21], v[38:39]
	s_delay_alu instid0(VALU_DEP_1) | instskip(SKIP_1) | instid1(VALU_DEP_2)
	v_fma_f64 v[202:203], v[18:19], v[36:37], -v[202:203]
	v_mul_f64_e32 v[18:19], v[18:19], v[38:39]
	v_add_f64_e32 v[14:15], v[14:15], v[202:203]
	s_delay_alu instid0(VALU_DEP_2) | instskip(NEXT) | instid1(VALU_DEP_1)
	v_fmac_f64_e32 v[18:19], v[20:21], v[36:37]
	v_add_f64_e32 v[16:17], v[16:17], v[18:19]
.LBB96_490:                             ;   in Loop: Header=BB96_486 Depth=2
	s_or_b32 exec_lo, exec_lo, s98
	s_add_co_i32 s98, s59, -1
	s_delay_alu instid0(SALU_CYCLE_1) | instskip(SKIP_3) | instid1(SALU_CYCLE_1)
	v_cmp_eq_u32_e32 vcc_lo, s98, v22
	s_barrier_signal -1
	s_barrier_wait -1
	s_and_b32 s100, s3, vcc_lo
	s_and_saveexec_b32 s99, s100
	s_cbranch_execz .LBB96_492
; %bb.491:                              ;   in Loop: Header=BB96_486 Depth=2
	ds_load_b128 v[18:21], v200
	s_wait_dscnt 0x0
	v_mul_f64_e32 v[36:37], v[16:17], v[20:21]
	v_mul_f64_e32 v[38:39], v[14:15], v[20:21]
	s_delay_alu instid0(VALU_DEP_2) | instskip(NEXT) | instid1(VALU_DEP_2)
	v_fma_f64 v[36:37], v[14:15], v[18:19], -v[36:37]
	v_fmac_f64_e32 v[38:39], v[16:17], v[18:19]
	s_delay_alu instid0(VALU_DEP_2) | instskip(NEXT) | instid1(VALU_DEP_2)
	v_mov_b64_e32 v[14:15], v[36:37]
	v_mov_b64_e32 v[16:17], v[38:39]
	ds_store_b128 v2, v[36:39] offset:25088
.LBB96_492:                             ;   in Loop: Header=BB96_486 Depth=2
	s_or_b32 exec_lo, exec_lo, s99
	v_cmp_gt_u32_e32 vcc_lo, s98, v22
	s_wait_dscnt 0x0
	s_barrier_signal -1
	s_barrier_wait -1
	s_and_b32 s100, s3, vcc_lo
	s_delay_alu instid0(SALU_CYCLE_1)
	s_and_saveexec_b32 s99, s100
	s_cbranch_execz .LBB96_485
; %bb.493:                              ;   in Loop: Header=BB96_486 Depth=2
	ds_load_b128 v[18:21], v2 offset:25088
	ds_load_b128 v[36:39], v4
	s_wait_dscnt 0x0
	v_mul_f64_e32 v[4:5], v[20:21], v[38:39]
	s_delay_alu instid0(VALU_DEP_1) | instskip(SKIP_1) | instid1(VALU_DEP_2)
	v_fma_f64 v[4:5], v[18:19], v[36:37], -v[4:5]
	v_mul_f64_e32 v[18:19], v[18:19], v[38:39]
	v_add_f64_e32 v[14:15], v[14:15], v[4:5]
	s_delay_alu instid0(VALU_DEP_2) | instskip(NEXT) | instid1(VALU_DEP_1)
	v_fmac_f64_e32 v[18:19], v[20:21], v[36:37]
	v_add_f64_e32 v[16:17], v[16:17], v[18:19]
	s_branch .LBB96_485
.LBB96_494:                             ;   in Loop: Header=BB96_3 Depth=1
	s_and_b32 vcc_lo, exec_lo, s62
	s_mov_b32 s59, -1
	s_cbranch_vccnz .LBB96_548
; %bb.495:                              ;   in Loop: Header=BB96_3 Depth=1
	s_and_not1_b32 vcc_lo, exec_lo, s59
	s_cbranch_vccz .LBB96_549
.LBB96_496:                             ;   in Loop: Header=BB96_3 Depth=1
	s_and_saveexec_b32 s59, s58
	s_cbranch_execz .LBB96_498
.LBB96_497:                             ;   in Loop: Header=BB96_3 Depth=1
	v_lshl_add_u64 v[4:5], v[0:1], 4, s[40:41]
	global_store_b128 v[4:5], v[14:17], off
.LBB96_498:                             ;   in Loop: Header=BB96_3 Depth=1
	s_wait_xcnt 0x0
	s_or_b32 exec_lo, exec_lo, s59
	global_wb scope:SCOPE_DEV
	s_wait_storecnt 0x0
	global_inv scope:SCOPE_DEV
	s_wait_loadcnt 0x0
	s_barrier_signal -1
	s_barrier_wait -1
	s_and_saveexec_b32 s40, s33
	s_cbranch_execz .LBB96_2
; %bb.499:                              ;   in Loop: Header=BB96_3 Depth=1
	s_lshl_b64 s[58:59], s[52:53], 2
	s_delay_alu instid0(SALU_CYCLE_1)
	s_add_nc_u64 s[58:59], s[56:57], s[58:59]
	global_load_b32 v3, v2, s[58:59]
	s_wait_loadcnt 0x0
	v_add_nc_u32_e32 v3, 1, v3
	global_store_b32 v2, v3, s[58:59]
	s_branch .LBB96_2
.LBB96_500:                             ;   in Loop: Header=BB96_3 Depth=1
	s_mov_b32 s59, exec_lo
	v_readlane_b32 s98, v208, 15
	s_and_b32 s98, s59, s98
	s_delay_alu instid0(SALU_CYCLE_1)
	s_xor_b32 s59, s98, s59
	s_mov_b32 exec_lo, s98
	s_cbranch_execz .LBB96_504
; %bb.501:                              ;   in Loop: Header=BB96_3 Depth=1
	s_mov_b32 s98, exec_lo
	v_readlane_b32 s99, v208, 30
	s_and_b32 s99, s98, s99
	s_delay_alu instid0(SALU_CYCLE_1)
	s_mov_b32 exec_lo, s99
; %bb.502:                              ;   in Loop: Header=BB96_3 Depth=1
	v_dual_mov_b32 v3, v2 :: v_dual_mov_b32 v4, v2
	v_mov_b32_e32 v5, v2
	ds_store_b128 v147, v[2:5]
; %bb.503:                              ;   in Loop: Header=BB96_3 Depth=1
	s_or_b32 exec_lo, exec_lo, s98
.LBB96_504:                             ;   in Loop: Header=BB96_3 Depth=1
	s_and_not1_saveexec_b32 s59, s59
	s_cbranch_execz .LBB96_510
; %bb.505:                              ;   in Loop: Header=BB96_3 Depth=1
	v_lshl_add_u64 v[4:5], v[28:29], 4, s[40:41]
                                        ; implicit-def: $vgpr18_vgpr19
	global_load_b128 v[14:17], v[4:5], off
	s_wait_loadcnt 0x0
	v_cmp_ngt_f64_e64 s98, |v[14:15]|, |v[16:17]|
	s_and_saveexec_b32 s99, s98
	s_delay_alu instid0(SALU_CYCLE_1)
	s_xor_b32 s98, exec_lo, s99
	s_cbranch_execz .LBB96_507
; %bb.506:                              ;   in Loop: Header=BB96_3 Depth=1
	v_div_scale_f64 v[4:5], null, -v[16:17], -v[16:17], v[14:15]
	v_div_scale_f64 v[38:39], vcc_lo, v[14:15], -v[16:17], v[14:15]
	s_delay_alu instid0(VALU_DEP_2) | instskip(SKIP_1) | instid1(TRANS32_DEP_1)
	v_rcp_f64_e32 v[18:19], v[4:5]
	v_nop
	v_fma_f64 v[20:21], -v[4:5], v[18:19], 1.0
	s_delay_alu instid0(VALU_DEP_1) | instskip(NEXT) | instid1(VALU_DEP_1)
	v_fmac_f64_e32 v[18:19], v[18:19], v[20:21]
	v_fma_f64 v[20:21], -v[4:5], v[18:19], 1.0
	s_delay_alu instid0(VALU_DEP_1) | instskip(NEXT) | instid1(VALU_DEP_1)
	v_fmac_f64_e32 v[18:19], v[18:19], v[20:21]
	v_mul_f64_e32 v[20:21], v[38:39], v[18:19]
	s_delay_alu instid0(VALU_DEP_1) | instskip(NEXT) | instid1(VALU_DEP_1)
	v_fma_f64 v[4:5], -v[4:5], v[20:21], v[38:39]
	v_div_fmas_f64 v[4:5], v[4:5], v[18:19], v[20:21]
	s_delay_alu instid0(VALU_DEP_1) | instskip(NEXT) | instid1(VALU_DEP_1)
	v_div_fixup_f64 v[4:5], v[4:5], -v[16:17], v[14:15]
	v_fma_f64 v[14:15], v[14:15], v[4:5], -v[16:17]
	s_delay_alu instid0(VALU_DEP_1) | instskip(NEXT) | instid1(VALU_DEP_1)
	v_div_scale_f64 v[16:17], null, v[14:15], v[14:15], 1.0
	v_rcp_f64_e32 v[18:19], v[16:17]
	v_nop
	s_delay_alu instid0(TRANS32_DEP_1) | instskip(NEXT) | instid1(VALU_DEP_1)
	v_fma_f64 v[20:21], -v[16:17], v[18:19], 1.0
	v_fmac_f64_e32 v[18:19], v[18:19], v[20:21]
	s_delay_alu instid0(VALU_DEP_1) | instskip(NEXT) | instid1(VALU_DEP_1)
	v_fma_f64 v[20:21], -v[16:17], v[18:19], 1.0
	v_fmac_f64_e32 v[18:19], v[18:19], v[20:21]
	v_div_scale_f64 v[20:21], vcc_lo, 1.0, v[14:15], 1.0
	s_delay_alu instid0(VALU_DEP_1) | instskip(NEXT) | instid1(VALU_DEP_1)
	v_mul_f64_e32 v[38:39], v[20:21], v[18:19]
	v_fma_f64 v[16:17], -v[16:17], v[38:39], v[20:21]
	s_delay_alu instid0(VALU_DEP_1) | instskip(NEXT) | instid1(VALU_DEP_1)
	v_div_fmas_f64 v[16:17], v[16:17], v[18:19], v[38:39]
	v_div_fixup_f64 v[20:21], v[16:17], v[14:15], 1.0
                                        ; implicit-def: $vgpr14_vgpr15
	s_delay_alu instid0(VALU_DEP_1)
	v_mul_f64_e32 v[18:19], v[4:5], v[20:21]
	v_xor_b32_e32 v21, 0x80000000, v21
.LBB96_507:                             ;   in Loop: Header=BB96_3 Depth=1
	s_and_not1_saveexec_b32 s98, s98
	s_cbranch_execz .LBB96_509
; %bb.508:                              ;   in Loop: Header=BB96_3 Depth=1
	v_div_scale_f64 v[4:5], null, v[14:15], v[14:15], -v[16:17]
	v_div_scale_f64 v[38:39], vcc_lo, -v[16:17], v[14:15], -v[16:17]
	s_delay_alu instid0(VALU_DEP_2) | instskip(SKIP_1) | instid1(TRANS32_DEP_1)
	v_rcp_f64_e32 v[18:19], v[4:5]
	v_nop
	v_fma_f64 v[20:21], -v[4:5], v[18:19], 1.0
	s_delay_alu instid0(VALU_DEP_1) | instskip(NEXT) | instid1(VALU_DEP_1)
	v_fmac_f64_e32 v[18:19], v[18:19], v[20:21]
	v_fma_f64 v[20:21], -v[4:5], v[18:19], 1.0
	s_delay_alu instid0(VALU_DEP_1) | instskip(NEXT) | instid1(VALU_DEP_1)
	v_fmac_f64_e32 v[18:19], v[18:19], v[20:21]
	v_mul_f64_e32 v[20:21], v[38:39], v[18:19]
	s_delay_alu instid0(VALU_DEP_1) | instskip(NEXT) | instid1(VALU_DEP_1)
	v_fma_f64 v[4:5], -v[4:5], v[20:21], v[38:39]
	v_div_fmas_f64 v[4:5], v[4:5], v[18:19], v[20:21]
	s_delay_alu instid0(VALU_DEP_1) | instskip(NEXT) | instid1(VALU_DEP_1)
	v_div_fixup_f64 v[4:5], v[4:5], v[14:15], -v[16:17]
	v_fma_f64 v[14:15], -v[16:17], v[4:5], v[14:15]
	s_delay_alu instid0(VALU_DEP_1) | instskip(NEXT) | instid1(VALU_DEP_1)
	v_div_scale_f64 v[16:17], null, v[14:15], v[14:15], 1.0
	v_rcp_f64_e32 v[18:19], v[16:17]
	v_nop
	s_delay_alu instid0(TRANS32_DEP_1) | instskip(NEXT) | instid1(VALU_DEP_1)
	v_fma_f64 v[20:21], -v[16:17], v[18:19], 1.0
	v_fmac_f64_e32 v[18:19], v[18:19], v[20:21]
	s_delay_alu instid0(VALU_DEP_1) | instskip(NEXT) | instid1(VALU_DEP_1)
	v_fma_f64 v[20:21], -v[16:17], v[18:19], 1.0
	v_fmac_f64_e32 v[18:19], v[18:19], v[20:21]
	v_div_scale_f64 v[20:21], vcc_lo, 1.0, v[14:15], 1.0
	s_delay_alu instid0(VALU_DEP_1) | instskip(NEXT) | instid1(VALU_DEP_1)
	v_mul_f64_e32 v[38:39], v[20:21], v[18:19]
	v_fma_f64 v[16:17], -v[16:17], v[38:39], v[20:21]
	s_delay_alu instid0(VALU_DEP_1) | instskip(NEXT) | instid1(VALU_DEP_1)
	v_div_fmas_f64 v[16:17], v[16:17], v[18:19], v[38:39]
	v_div_fixup_f64 v[18:19], v[16:17], v[14:15], 1.0
	s_delay_alu instid0(VALU_DEP_1)
	v_mul_f64_e64 v[20:21], v[4:5], -v[18:19]
.LBB96_509:                             ;   in Loop: Header=BB96_3 Depth=1
	s_or_b32 exec_lo, exec_lo, s98
	ds_store_b128 v147, v[18:21]
.LBB96_510:                             ;   in Loop: Header=BB96_3 Depth=1
	s_or_b32 exec_lo, exec_lo, s59
	s_and_not1_saveexec_b32 s58, s58
	s_cbranch_execz .LBB96_12
.LBB96_511:                             ;   in Loop: Header=BB96_3 Depth=1
	v_lshl_add_u64 v[4:5], v[28:29], 4, s[40:41]
	global_load_b128 v[14:17], v[4:5], off
	s_wait_loadcnt 0x0
	v_xor_b32_e32 v15, 0x80000000, v15
	ds_store_b128 v147, v[14:17]
	s_or_b32 exec_lo, exec_lo, s58
	s_and_saveexec_b32 s58, s7
	s_delay_alu instid0(SALU_CYCLE_1)
	s_xor_b32 s58, exec_lo, s58
	s_cbranch_execz .LBB96_13
.LBB96_512:                             ;   in Loop: Header=BB96_3 Depth=1
	s_mov_b32 s59, exec_lo
	v_readlane_b32 s98, v208, 17
	s_and_b32 s98, s59, s98
	s_delay_alu instid0(SALU_CYCLE_1)
	s_xor_b32 s59, s98, s59
	s_mov_b32 exec_lo, s98
	s_cbranch_execz .LBB96_516
; %bb.513:                              ;   in Loop: Header=BB96_3 Depth=1
	s_mov_b32 s98, exec_lo
	v_readlane_b32 s99, v208, 31
	s_and_b32 s99, s98, s99
	s_delay_alu instid0(SALU_CYCLE_1)
	s_mov_b32 exec_lo, s99
; %bb.514:                              ;   in Loop: Header=BB96_3 Depth=1
	v_dual_mov_b32 v3, v2 :: v_dual_mov_b32 v4, v2
	v_mov_b32_e32 v5, v2
	ds_store_b128 v148, v[2:5]
; %bb.515:                              ;   in Loop: Header=BB96_3 Depth=1
	s_or_b32 exec_lo, exec_lo, s98
.LBB96_516:                             ;   in Loop: Header=BB96_3 Depth=1
	s_and_not1_saveexec_b32 s59, s59
	s_cbranch_execz .LBB96_522
; %bb.517:                              ;   in Loop: Header=BB96_3 Depth=1
	v_lshl_add_u64 v[4:5], v[30:31], 4, s[40:41]
                                        ; implicit-def: $vgpr18_vgpr19
	global_load_b128 v[14:17], v[4:5], off
	s_wait_loadcnt 0x0
	v_cmp_ngt_f64_e64 s98, |v[14:15]|, |v[16:17]|
	s_and_saveexec_b32 s99, s98
	s_delay_alu instid0(SALU_CYCLE_1)
	s_xor_b32 s98, exec_lo, s99
	s_cbranch_execz .LBB96_519
; %bb.518:                              ;   in Loop: Header=BB96_3 Depth=1
	v_div_scale_f64 v[4:5], null, -v[16:17], -v[16:17], v[14:15]
	v_div_scale_f64 v[38:39], vcc_lo, v[14:15], -v[16:17], v[14:15]
	s_delay_alu instid0(VALU_DEP_2) | instskip(SKIP_1) | instid1(TRANS32_DEP_1)
	v_rcp_f64_e32 v[18:19], v[4:5]
	v_nop
	v_fma_f64 v[20:21], -v[4:5], v[18:19], 1.0
	s_delay_alu instid0(VALU_DEP_1) | instskip(NEXT) | instid1(VALU_DEP_1)
	v_fmac_f64_e32 v[18:19], v[18:19], v[20:21]
	v_fma_f64 v[20:21], -v[4:5], v[18:19], 1.0
	s_delay_alu instid0(VALU_DEP_1) | instskip(NEXT) | instid1(VALU_DEP_1)
	v_fmac_f64_e32 v[18:19], v[18:19], v[20:21]
	v_mul_f64_e32 v[20:21], v[38:39], v[18:19]
	s_delay_alu instid0(VALU_DEP_1) | instskip(NEXT) | instid1(VALU_DEP_1)
	v_fma_f64 v[4:5], -v[4:5], v[20:21], v[38:39]
	v_div_fmas_f64 v[4:5], v[4:5], v[18:19], v[20:21]
	s_delay_alu instid0(VALU_DEP_1) | instskip(NEXT) | instid1(VALU_DEP_1)
	v_div_fixup_f64 v[4:5], v[4:5], -v[16:17], v[14:15]
	v_fma_f64 v[14:15], v[14:15], v[4:5], -v[16:17]
	s_delay_alu instid0(VALU_DEP_1) | instskip(NEXT) | instid1(VALU_DEP_1)
	v_div_scale_f64 v[16:17], null, v[14:15], v[14:15], 1.0
	v_rcp_f64_e32 v[18:19], v[16:17]
	v_nop
	s_delay_alu instid0(TRANS32_DEP_1) | instskip(NEXT) | instid1(VALU_DEP_1)
	v_fma_f64 v[20:21], -v[16:17], v[18:19], 1.0
	v_fmac_f64_e32 v[18:19], v[18:19], v[20:21]
	s_delay_alu instid0(VALU_DEP_1) | instskip(NEXT) | instid1(VALU_DEP_1)
	v_fma_f64 v[20:21], -v[16:17], v[18:19], 1.0
	v_fmac_f64_e32 v[18:19], v[18:19], v[20:21]
	v_div_scale_f64 v[20:21], vcc_lo, 1.0, v[14:15], 1.0
	s_delay_alu instid0(VALU_DEP_1) | instskip(NEXT) | instid1(VALU_DEP_1)
	v_mul_f64_e32 v[38:39], v[20:21], v[18:19]
	v_fma_f64 v[16:17], -v[16:17], v[38:39], v[20:21]
	s_delay_alu instid0(VALU_DEP_1) | instskip(NEXT) | instid1(VALU_DEP_1)
	v_div_fmas_f64 v[16:17], v[16:17], v[18:19], v[38:39]
	v_div_fixup_f64 v[20:21], v[16:17], v[14:15], 1.0
                                        ; implicit-def: $vgpr14_vgpr15
	s_delay_alu instid0(VALU_DEP_1)
	v_mul_f64_e32 v[18:19], v[4:5], v[20:21]
	v_xor_b32_e32 v21, 0x80000000, v21
.LBB96_519:                             ;   in Loop: Header=BB96_3 Depth=1
	s_and_not1_saveexec_b32 s98, s98
	s_cbranch_execz .LBB96_521
; %bb.520:                              ;   in Loop: Header=BB96_3 Depth=1
	v_div_scale_f64 v[4:5], null, v[14:15], v[14:15], -v[16:17]
	v_div_scale_f64 v[38:39], vcc_lo, -v[16:17], v[14:15], -v[16:17]
	s_delay_alu instid0(VALU_DEP_2) | instskip(SKIP_1) | instid1(TRANS32_DEP_1)
	v_rcp_f64_e32 v[18:19], v[4:5]
	v_nop
	v_fma_f64 v[20:21], -v[4:5], v[18:19], 1.0
	s_delay_alu instid0(VALU_DEP_1) | instskip(NEXT) | instid1(VALU_DEP_1)
	v_fmac_f64_e32 v[18:19], v[18:19], v[20:21]
	v_fma_f64 v[20:21], -v[4:5], v[18:19], 1.0
	s_delay_alu instid0(VALU_DEP_1) | instskip(NEXT) | instid1(VALU_DEP_1)
	v_fmac_f64_e32 v[18:19], v[18:19], v[20:21]
	v_mul_f64_e32 v[20:21], v[38:39], v[18:19]
	s_delay_alu instid0(VALU_DEP_1) | instskip(NEXT) | instid1(VALU_DEP_1)
	v_fma_f64 v[4:5], -v[4:5], v[20:21], v[38:39]
	v_div_fmas_f64 v[4:5], v[4:5], v[18:19], v[20:21]
	s_delay_alu instid0(VALU_DEP_1) | instskip(NEXT) | instid1(VALU_DEP_1)
	v_div_fixup_f64 v[4:5], v[4:5], v[14:15], -v[16:17]
	v_fma_f64 v[14:15], -v[16:17], v[4:5], v[14:15]
	s_delay_alu instid0(VALU_DEP_1) | instskip(NEXT) | instid1(VALU_DEP_1)
	v_div_scale_f64 v[16:17], null, v[14:15], v[14:15], 1.0
	v_rcp_f64_e32 v[18:19], v[16:17]
	v_nop
	s_delay_alu instid0(TRANS32_DEP_1) | instskip(NEXT) | instid1(VALU_DEP_1)
	v_fma_f64 v[20:21], -v[16:17], v[18:19], 1.0
	v_fmac_f64_e32 v[18:19], v[18:19], v[20:21]
	s_delay_alu instid0(VALU_DEP_1) | instskip(NEXT) | instid1(VALU_DEP_1)
	v_fma_f64 v[20:21], -v[16:17], v[18:19], 1.0
	v_fmac_f64_e32 v[18:19], v[18:19], v[20:21]
	v_div_scale_f64 v[20:21], vcc_lo, 1.0, v[14:15], 1.0
	s_delay_alu instid0(VALU_DEP_1) | instskip(NEXT) | instid1(VALU_DEP_1)
	v_mul_f64_e32 v[38:39], v[20:21], v[18:19]
	v_fma_f64 v[16:17], -v[16:17], v[38:39], v[20:21]
	s_delay_alu instid0(VALU_DEP_1) | instskip(NEXT) | instid1(VALU_DEP_1)
	v_div_fmas_f64 v[16:17], v[16:17], v[18:19], v[38:39]
	v_div_fixup_f64 v[18:19], v[16:17], v[14:15], 1.0
	s_delay_alu instid0(VALU_DEP_1)
	v_mul_f64_e64 v[20:21], v[4:5], -v[18:19]
.LBB96_521:                             ;   in Loop: Header=BB96_3 Depth=1
	s_or_b32 exec_lo, exec_lo, s98
	ds_store_b128 v148, v[18:21]
.LBB96_522:                             ;   in Loop: Header=BB96_3 Depth=1
	s_or_b32 exec_lo, exec_lo, s59
	s_and_not1_saveexec_b32 s58, s58
	s_cbranch_execnz .LBB96_14
	s_branch .LBB96_15
.LBB96_523:                             ;   in Loop: Header=BB96_3 Depth=1
	s_mov_b32 s59, exec_lo
	v_readlane_b32 s98, v208, 16
	s_and_b32 s98, s59, s98
	s_delay_alu instid0(SALU_CYCLE_1)
	s_xor_b32 s59, s98, s59
	s_mov_b32 exec_lo, s98
	s_cbranch_execz .LBB96_527
; %bb.524:                              ;   in Loop: Header=BB96_3 Depth=1
	s_mov_b32 s98, exec_lo
	v_readlane_b32 s99, v208, 30
	s_and_b32 s99, s98, s99
	s_delay_alu instid0(SALU_CYCLE_1)
	s_mov_b32 exec_lo, s99
; %bb.525:                              ;   in Loop: Header=BB96_3 Depth=1
	v_dual_mov_b32 v3, v2 :: v_dual_mov_b32 v4, v2
	v_mov_b32_e32 v5, v2
	ds_store_b128 v129, v[2:5]
; %bb.526:                              ;   in Loop: Header=BB96_3 Depth=1
	s_or_b32 exec_lo, exec_lo, s98
.LBB96_527:                             ;   in Loop: Header=BB96_3 Depth=1
	s_and_not1_saveexec_b32 s59, s59
	s_cbranch_execz .LBB96_533
; %bb.528:                              ;   in Loop: Header=BB96_3 Depth=1
	v_lshl_add_u64 v[4:5], v[28:29], 4, s[40:41]
                                        ; implicit-def: $vgpr18_vgpr19
	global_load_b128 v[14:17], v[4:5], off
	s_wait_loadcnt 0x0
	v_cmp_ngt_f64_e64 s98, |v[14:15]|, |v[16:17]|
	s_and_saveexec_b32 s99, s98
	s_delay_alu instid0(SALU_CYCLE_1)
	s_xor_b32 s98, exec_lo, s99
	s_cbranch_execz .LBB96_530
; %bb.529:                              ;   in Loop: Header=BB96_3 Depth=1
	v_div_scale_f64 v[4:5], null, -v[16:17], -v[16:17], v[14:15]
	v_div_scale_f64 v[38:39], vcc_lo, v[14:15], -v[16:17], v[14:15]
	s_delay_alu instid0(VALU_DEP_2) | instskip(SKIP_1) | instid1(TRANS32_DEP_1)
	v_rcp_f64_e32 v[18:19], v[4:5]
	v_nop
	v_fma_f64 v[20:21], -v[4:5], v[18:19], 1.0
	s_delay_alu instid0(VALU_DEP_1) | instskip(NEXT) | instid1(VALU_DEP_1)
	v_fmac_f64_e32 v[18:19], v[18:19], v[20:21]
	v_fma_f64 v[20:21], -v[4:5], v[18:19], 1.0
	s_delay_alu instid0(VALU_DEP_1) | instskip(NEXT) | instid1(VALU_DEP_1)
	v_fmac_f64_e32 v[18:19], v[18:19], v[20:21]
	v_mul_f64_e32 v[20:21], v[38:39], v[18:19]
	s_delay_alu instid0(VALU_DEP_1) | instskip(NEXT) | instid1(VALU_DEP_1)
	v_fma_f64 v[4:5], -v[4:5], v[20:21], v[38:39]
	v_div_fmas_f64 v[4:5], v[4:5], v[18:19], v[20:21]
	s_delay_alu instid0(VALU_DEP_1) | instskip(NEXT) | instid1(VALU_DEP_1)
	v_div_fixup_f64 v[4:5], v[4:5], -v[16:17], v[14:15]
	v_fma_f64 v[14:15], v[14:15], v[4:5], -v[16:17]
	s_delay_alu instid0(VALU_DEP_1) | instskip(NEXT) | instid1(VALU_DEP_1)
	v_div_scale_f64 v[16:17], null, v[14:15], v[14:15], 1.0
	v_rcp_f64_e32 v[18:19], v[16:17]
	v_nop
	s_delay_alu instid0(TRANS32_DEP_1) | instskip(NEXT) | instid1(VALU_DEP_1)
	v_fma_f64 v[20:21], -v[16:17], v[18:19], 1.0
	v_fmac_f64_e32 v[18:19], v[18:19], v[20:21]
	s_delay_alu instid0(VALU_DEP_1) | instskip(NEXT) | instid1(VALU_DEP_1)
	v_fma_f64 v[20:21], -v[16:17], v[18:19], 1.0
	v_fmac_f64_e32 v[18:19], v[18:19], v[20:21]
	v_div_scale_f64 v[20:21], vcc_lo, 1.0, v[14:15], 1.0
	s_delay_alu instid0(VALU_DEP_1) | instskip(NEXT) | instid1(VALU_DEP_1)
	v_mul_f64_e32 v[38:39], v[20:21], v[18:19]
	v_fma_f64 v[16:17], -v[16:17], v[38:39], v[20:21]
	s_delay_alu instid0(VALU_DEP_1) | instskip(NEXT) | instid1(VALU_DEP_1)
	v_div_fmas_f64 v[16:17], v[16:17], v[18:19], v[38:39]
	v_div_fixup_f64 v[20:21], v[16:17], v[14:15], 1.0
                                        ; implicit-def: $vgpr14_vgpr15
	s_delay_alu instid0(VALU_DEP_1)
	v_mul_f64_e32 v[18:19], v[4:5], v[20:21]
	v_xor_b32_e32 v21, 0x80000000, v21
.LBB96_530:                             ;   in Loop: Header=BB96_3 Depth=1
	s_and_not1_saveexec_b32 s98, s98
	s_cbranch_execz .LBB96_532
; %bb.531:                              ;   in Loop: Header=BB96_3 Depth=1
	v_div_scale_f64 v[4:5], null, v[14:15], v[14:15], -v[16:17]
	v_div_scale_f64 v[38:39], vcc_lo, -v[16:17], v[14:15], -v[16:17]
	s_delay_alu instid0(VALU_DEP_2) | instskip(SKIP_1) | instid1(TRANS32_DEP_1)
	v_rcp_f64_e32 v[18:19], v[4:5]
	v_nop
	v_fma_f64 v[20:21], -v[4:5], v[18:19], 1.0
	s_delay_alu instid0(VALU_DEP_1) | instskip(NEXT) | instid1(VALU_DEP_1)
	v_fmac_f64_e32 v[18:19], v[18:19], v[20:21]
	v_fma_f64 v[20:21], -v[4:5], v[18:19], 1.0
	s_delay_alu instid0(VALU_DEP_1) | instskip(NEXT) | instid1(VALU_DEP_1)
	v_fmac_f64_e32 v[18:19], v[18:19], v[20:21]
	v_mul_f64_e32 v[20:21], v[38:39], v[18:19]
	s_delay_alu instid0(VALU_DEP_1) | instskip(NEXT) | instid1(VALU_DEP_1)
	v_fma_f64 v[4:5], -v[4:5], v[20:21], v[38:39]
	v_div_fmas_f64 v[4:5], v[4:5], v[18:19], v[20:21]
	s_delay_alu instid0(VALU_DEP_1) | instskip(NEXT) | instid1(VALU_DEP_1)
	v_div_fixup_f64 v[4:5], v[4:5], v[14:15], -v[16:17]
	v_fma_f64 v[14:15], -v[16:17], v[4:5], v[14:15]
	s_delay_alu instid0(VALU_DEP_1) | instskip(NEXT) | instid1(VALU_DEP_1)
	v_div_scale_f64 v[16:17], null, v[14:15], v[14:15], 1.0
	v_rcp_f64_e32 v[18:19], v[16:17]
	v_nop
	s_delay_alu instid0(TRANS32_DEP_1) | instskip(NEXT) | instid1(VALU_DEP_1)
	v_fma_f64 v[20:21], -v[16:17], v[18:19], 1.0
	v_fmac_f64_e32 v[18:19], v[18:19], v[20:21]
	s_delay_alu instid0(VALU_DEP_1) | instskip(NEXT) | instid1(VALU_DEP_1)
	v_fma_f64 v[20:21], -v[16:17], v[18:19], 1.0
	v_fmac_f64_e32 v[18:19], v[18:19], v[20:21]
	v_div_scale_f64 v[20:21], vcc_lo, 1.0, v[14:15], 1.0
	s_delay_alu instid0(VALU_DEP_1) | instskip(NEXT) | instid1(VALU_DEP_1)
	v_mul_f64_e32 v[38:39], v[20:21], v[18:19]
	v_fma_f64 v[16:17], -v[16:17], v[38:39], v[20:21]
	s_delay_alu instid0(VALU_DEP_1) | instskip(NEXT) | instid1(VALU_DEP_1)
	v_div_fmas_f64 v[16:17], v[16:17], v[18:19], v[38:39]
	v_div_fixup_f64 v[18:19], v[16:17], v[14:15], 1.0
	s_delay_alu instid0(VALU_DEP_1)
	v_mul_f64_e64 v[20:21], v[4:5], -v[18:19]
.LBB96_532:                             ;   in Loop: Header=BB96_3 Depth=1
	s_or_b32 exec_lo, exec_lo, s98
	ds_store_b128 v129, v[18:21]
.LBB96_533:                             ;   in Loop: Header=BB96_3 Depth=1
	s_or_b32 exec_lo, exec_lo, s59
	s_and_not1_saveexec_b32 s58, s58
	s_cbranch_execz .LBB96_19
.LBB96_534:                             ;   in Loop: Header=BB96_3 Depth=1
	v_lshl_add_u64 v[4:5], v[28:29], 4, s[40:41]
	global_load_b128 v[14:17], v[4:5], off
	s_wait_loadcnt 0x0
	v_xor_b32_e32 v15, 0x80000000, v15
	ds_store_b128 v129, v[14:17]
	s_or_b32 exec_lo, exec_lo, s58
	s_and_saveexec_b32 s58, s97
	s_delay_alu instid0(SALU_CYCLE_1)
	s_xor_b32 s58, exec_lo, s58
	s_cbranch_execz .LBB96_20
.LBB96_535:                             ;   in Loop: Header=BB96_3 Depth=1
	s_mov_b32 s59, exec_lo
	v_readlane_b32 s98, v208, 18
	s_and_b32 s98, s59, s98
	s_delay_alu instid0(SALU_CYCLE_1)
	s_xor_b32 s59, s98, s59
	s_mov_b32 exec_lo, s98
	s_cbranch_execz .LBB96_539
; %bb.536:                              ;   in Loop: Header=BB96_3 Depth=1
	s_mov_b32 s98, exec_lo
	v_readlane_b32 s99, v208, 31
	s_and_b32 s99, s98, s99
	s_delay_alu instid0(SALU_CYCLE_1)
	s_mov_b32 exec_lo, s99
; %bb.537:                              ;   in Loop: Header=BB96_3 Depth=1
	v_dual_mov_b32 v3, v2 :: v_dual_mov_b32 v4, v2
	v_mov_b32_e32 v5, v2
	ds_store_b128 v148, v[2:5]
; %bb.538:                              ;   in Loop: Header=BB96_3 Depth=1
	s_or_b32 exec_lo, exec_lo, s98
.LBB96_539:                             ;   in Loop: Header=BB96_3 Depth=1
	s_and_not1_saveexec_b32 s59, s59
	s_cbranch_execz .LBB96_545
; %bb.540:                              ;   in Loop: Header=BB96_3 Depth=1
	v_lshl_add_u64 v[4:5], v[30:31], 4, s[40:41]
                                        ; implicit-def: $vgpr18_vgpr19
	global_load_b128 v[14:17], v[4:5], off
	s_wait_loadcnt 0x0
	v_cmp_ngt_f64_e64 s98, |v[14:15]|, |v[16:17]|
	s_and_saveexec_b32 s99, s98
	s_delay_alu instid0(SALU_CYCLE_1)
	s_xor_b32 s98, exec_lo, s99
	s_cbranch_execz .LBB96_542
; %bb.541:                              ;   in Loop: Header=BB96_3 Depth=1
	v_div_scale_f64 v[4:5], null, -v[16:17], -v[16:17], v[14:15]
	v_div_scale_f64 v[38:39], vcc_lo, v[14:15], -v[16:17], v[14:15]
	s_delay_alu instid0(VALU_DEP_2) | instskip(SKIP_1) | instid1(TRANS32_DEP_1)
	v_rcp_f64_e32 v[18:19], v[4:5]
	v_nop
	v_fma_f64 v[20:21], -v[4:5], v[18:19], 1.0
	s_delay_alu instid0(VALU_DEP_1) | instskip(NEXT) | instid1(VALU_DEP_1)
	v_fmac_f64_e32 v[18:19], v[18:19], v[20:21]
	v_fma_f64 v[20:21], -v[4:5], v[18:19], 1.0
	s_delay_alu instid0(VALU_DEP_1) | instskip(NEXT) | instid1(VALU_DEP_1)
	v_fmac_f64_e32 v[18:19], v[18:19], v[20:21]
	v_mul_f64_e32 v[20:21], v[38:39], v[18:19]
	s_delay_alu instid0(VALU_DEP_1) | instskip(NEXT) | instid1(VALU_DEP_1)
	v_fma_f64 v[4:5], -v[4:5], v[20:21], v[38:39]
	v_div_fmas_f64 v[4:5], v[4:5], v[18:19], v[20:21]
	s_delay_alu instid0(VALU_DEP_1) | instskip(NEXT) | instid1(VALU_DEP_1)
	v_div_fixup_f64 v[4:5], v[4:5], -v[16:17], v[14:15]
	v_fma_f64 v[14:15], v[14:15], v[4:5], -v[16:17]
	s_delay_alu instid0(VALU_DEP_1) | instskip(NEXT) | instid1(VALU_DEP_1)
	v_div_scale_f64 v[16:17], null, v[14:15], v[14:15], 1.0
	v_rcp_f64_e32 v[18:19], v[16:17]
	v_nop
	s_delay_alu instid0(TRANS32_DEP_1) | instskip(NEXT) | instid1(VALU_DEP_1)
	v_fma_f64 v[20:21], -v[16:17], v[18:19], 1.0
	v_fmac_f64_e32 v[18:19], v[18:19], v[20:21]
	s_delay_alu instid0(VALU_DEP_1) | instskip(NEXT) | instid1(VALU_DEP_1)
	v_fma_f64 v[20:21], -v[16:17], v[18:19], 1.0
	v_fmac_f64_e32 v[18:19], v[18:19], v[20:21]
	v_div_scale_f64 v[20:21], vcc_lo, 1.0, v[14:15], 1.0
	s_delay_alu instid0(VALU_DEP_1) | instskip(NEXT) | instid1(VALU_DEP_1)
	v_mul_f64_e32 v[38:39], v[20:21], v[18:19]
	v_fma_f64 v[16:17], -v[16:17], v[38:39], v[20:21]
	s_delay_alu instid0(VALU_DEP_1) | instskip(NEXT) | instid1(VALU_DEP_1)
	v_div_fmas_f64 v[16:17], v[16:17], v[18:19], v[38:39]
	v_div_fixup_f64 v[20:21], v[16:17], v[14:15], 1.0
                                        ; implicit-def: $vgpr14_vgpr15
	s_delay_alu instid0(VALU_DEP_1)
	v_mul_f64_e32 v[18:19], v[4:5], v[20:21]
	v_xor_b32_e32 v21, 0x80000000, v21
.LBB96_542:                             ;   in Loop: Header=BB96_3 Depth=1
	s_and_not1_saveexec_b32 s98, s98
	s_cbranch_execz .LBB96_544
; %bb.543:                              ;   in Loop: Header=BB96_3 Depth=1
	v_div_scale_f64 v[4:5], null, v[14:15], v[14:15], -v[16:17]
	v_div_scale_f64 v[38:39], vcc_lo, -v[16:17], v[14:15], -v[16:17]
	s_delay_alu instid0(VALU_DEP_2) | instskip(SKIP_1) | instid1(TRANS32_DEP_1)
	v_rcp_f64_e32 v[18:19], v[4:5]
	v_nop
	v_fma_f64 v[20:21], -v[4:5], v[18:19], 1.0
	s_delay_alu instid0(VALU_DEP_1) | instskip(NEXT) | instid1(VALU_DEP_1)
	v_fmac_f64_e32 v[18:19], v[18:19], v[20:21]
	v_fma_f64 v[20:21], -v[4:5], v[18:19], 1.0
	s_delay_alu instid0(VALU_DEP_1) | instskip(NEXT) | instid1(VALU_DEP_1)
	v_fmac_f64_e32 v[18:19], v[18:19], v[20:21]
	v_mul_f64_e32 v[20:21], v[38:39], v[18:19]
	s_delay_alu instid0(VALU_DEP_1) | instskip(NEXT) | instid1(VALU_DEP_1)
	v_fma_f64 v[4:5], -v[4:5], v[20:21], v[38:39]
	v_div_fmas_f64 v[4:5], v[4:5], v[18:19], v[20:21]
	s_delay_alu instid0(VALU_DEP_1) | instskip(NEXT) | instid1(VALU_DEP_1)
	v_div_fixup_f64 v[4:5], v[4:5], v[14:15], -v[16:17]
	v_fma_f64 v[14:15], -v[16:17], v[4:5], v[14:15]
	s_delay_alu instid0(VALU_DEP_1) | instskip(NEXT) | instid1(VALU_DEP_1)
	v_div_scale_f64 v[16:17], null, v[14:15], v[14:15], 1.0
	v_rcp_f64_e32 v[18:19], v[16:17]
	v_nop
	s_delay_alu instid0(TRANS32_DEP_1) | instskip(NEXT) | instid1(VALU_DEP_1)
	v_fma_f64 v[20:21], -v[16:17], v[18:19], 1.0
	v_fmac_f64_e32 v[18:19], v[18:19], v[20:21]
	s_delay_alu instid0(VALU_DEP_1) | instskip(NEXT) | instid1(VALU_DEP_1)
	v_fma_f64 v[20:21], -v[16:17], v[18:19], 1.0
	v_fmac_f64_e32 v[18:19], v[18:19], v[20:21]
	v_div_scale_f64 v[20:21], vcc_lo, 1.0, v[14:15], 1.0
	s_delay_alu instid0(VALU_DEP_1) | instskip(NEXT) | instid1(VALU_DEP_1)
	v_mul_f64_e32 v[38:39], v[20:21], v[18:19]
	v_fma_f64 v[16:17], -v[16:17], v[38:39], v[20:21]
	s_delay_alu instid0(VALU_DEP_1) | instskip(NEXT) | instid1(VALU_DEP_1)
	v_div_fmas_f64 v[16:17], v[16:17], v[18:19], v[38:39]
	v_div_fixup_f64 v[18:19], v[16:17], v[14:15], 1.0
	s_delay_alu instid0(VALU_DEP_1)
	v_mul_f64_e64 v[20:21], v[4:5], -v[18:19]
.LBB96_544:                             ;   in Loop: Header=BB96_3 Depth=1
	s_or_b32 exec_lo, exec_lo, s98
	ds_store_b128 v148, v[18:21]
.LBB96_545:                             ;   in Loop: Header=BB96_3 Depth=1
	s_or_b32 exec_lo, exec_lo, s59
	s_and_not1_saveexec_b32 s58, s58
	s_cbranch_execnz .LBB96_21
	s_branch .LBB96_22
.LBB96_546:                             ;   in Loop: Header=BB96_3 Depth=1
	s_or_b32 exec_lo, exec_lo, vcc_lo
	s_delay_alu instid0(SALU_CYCLE_1)
	s_and_b32 vcc_lo, exec_lo, s59
	s_cbranch_vccnz .LBB96_484
.LBB96_547:                             ;   in Loop: Header=BB96_3 Depth=1
	s_delay_alu instid0(VALU_DEP_1) | instskip(NEXT) | instid1(VALU_DEP_3)
	v_mov_b64_e32 v[16:17], v[4:5]
	v_mov_b64_e32 v[14:15], v[36:37]
	s_and_saveexec_b32 s59, s58
	s_cbranch_execnz .LBB96_497
	s_branch .LBB96_498
.LBB96_548:                             ;   in Loop: Header=BB96_3 Depth=1
	s_and_not1_b32 s58, s58, exec_lo
	s_and_b32 s98, s3, exec_lo
	s_delay_alu instid0(SALU_CYCLE_1)
	s_or_b32 s58, s58, s98
	s_cbranch_execnz .LBB96_496
.LBB96_549:                             ;   in Loop: Header=BB96_3 Depth=1
	v_readlane_b32 s59, v208, 14
	s_and_not1_b32 s58, s58, exec_lo
	s_and_b32 s59, s59, exec_lo
	s_delay_alu instid0(SALU_CYCLE_1) | instskip(NEXT) | instid1(SALU_CYCLE_1)
	s_or_b32 s58, s58, s59
	s_and_saveexec_b32 s59, s58
	s_cbranch_execnz .LBB96_497
	s_branch .LBB96_498
.LBB96_550:                             ;   in Loop: Header=BB96_3 Depth=1
	ds_load_b128 v[18:21], v44 offset:16
	ds_load_b128 v[202:205], v51 offset:576
	s_wait_dscnt 0x0
	v_mul_f64_e32 v[4:5], v[20:21], v[204:205]
	s_delay_alu instid0(VALU_DEP_1) | instskip(SKIP_1) | instid1(VALU_DEP_2)
	v_fma_f64 v[4:5], v[18:19], v[202:203], -v[4:5]
	v_mul_f64_e32 v[18:19], v[18:19], v[204:205]
	v_add_f64_e32 v[14:15], v[14:15], v[4:5]
	s_delay_alu instid0(VALU_DEP_2) | instskip(NEXT) | instid1(VALU_DEP_1)
	v_fmac_f64_e32 v[18:19], v[20:21], v[202:203]
	v_add_f64_e32 v[16:17], v[16:17], v[18:19]
	s_or_b32 exec_lo, exec_lo, s41
	s_and_saveexec_b32 s41, s12
	s_cbranch_execz .LBB96_45
.LBB96_551:                             ;   in Loop: Header=BB96_3 Depth=1
	ds_load_b128 v[18:21], v44 offset:32
	ds_load_b128 v[202:205], v50 offset:1088
	s_wait_dscnt 0x0
	v_mul_f64_e32 v[4:5], v[20:21], v[204:205]
	s_delay_alu instid0(VALU_DEP_1) | instskip(SKIP_1) | instid1(VALU_DEP_2)
	v_fma_f64 v[4:5], v[18:19], v[202:203], -v[4:5]
	v_mul_f64_e32 v[18:19], v[18:19], v[204:205]
	v_add_f64_e32 v[14:15], v[14:15], v[4:5]
	s_delay_alu instid0(VALU_DEP_2) | instskip(NEXT) | instid1(VALU_DEP_1)
	v_fmac_f64_e32 v[18:19], v[20:21], v[202:203]
	v_add_f64_e32 v[16:17], v[16:17], v[18:19]
	s_or_b32 exec_lo, exec_lo, s41
	s_and_saveexec_b32 s41, s2
	s_cbranch_execnz .LBB96_46
	s_branch .LBB96_47
.LBB96_552:                             ;   in Loop: Header=BB96_3 Depth=1
	ds_load_b128 v[18:21], v52 offset:16
	ds_load_b128 v[202:205], v57 offset:640
	s_wait_dscnt 0x0
	v_mul_f64_e32 v[4:5], v[20:21], v[204:205]
	s_delay_alu instid0(VALU_DEP_1) | instskip(SKIP_1) | instid1(VALU_DEP_2)
	v_fma_f64 v[4:5], v[18:19], v[202:203], -v[4:5]
	v_mul_f64_e32 v[18:19], v[18:19], v[204:205]
	v_add_f64_e32 v[14:15], v[14:15], v[4:5]
	s_delay_alu instid0(VALU_DEP_2) | instskip(NEXT) | instid1(VALU_DEP_1)
	v_fmac_f64_e32 v[18:19], v[20:21], v[202:203]
	v_add_f64_e32 v[16:17], v[16:17], v[18:19]
	s_or_b32 exec_lo, exec_lo, s41
	s_and_saveexec_b32 s41, s14
	s_cbranch_execz .LBB96_87
.LBB96_553:                             ;   in Loop: Header=BB96_3 Depth=1
	ds_load_b128 v[18:21], v52 offset:32
	ds_load_b128 v[202:205], v57 offset:1152
	s_wait_dscnt 0x0
	v_mul_f64_e32 v[4:5], v[20:21], v[204:205]
	s_delay_alu instid0(VALU_DEP_1) | instskip(SKIP_1) | instid1(VALU_DEP_2)
	v_fma_f64 v[4:5], v[18:19], v[202:203], -v[4:5]
	v_mul_f64_e32 v[18:19], v[18:19], v[204:205]
	v_add_f64_e32 v[14:15], v[14:15], v[4:5]
	s_delay_alu instid0(VALU_DEP_2) | instskip(NEXT) | instid1(VALU_DEP_1)
	v_fmac_f64_e32 v[18:19], v[20:21], v[202:203]
	v_add_f64_e32 v[16:17], v[16:17], v[18:19]
	s_or_b32 exec_lo, exec_lo, s41
	s_and_saveexec_b32 s41, s15
	s_cbranch_execz .LBB96_88
.LBB96_554:                             ;   in Loop: Header=BB96_3 Depth=1
	ds_load_b128 v[18:21], v52 offset:48
	ds_load_b128 v[202:205], v57 offset:1664
	s_wait_dscnt 0x0
	v_mul_f64_e32 v[4:5], v[20:21], v[204:205]
	s_delay_alu instid0(VALU_DEP_1) | instskip(SKIP_1) | instid1(VALU_DEP_2)
	v_fma_f64 v[4:5], v[18:19], v[202:203], -v[4:5]
	v_mul_f64_e32 v[18:19], v[18:19], v[204:205]
	v_add_f64_e32 v[14:15], v[14:15], v[4:5]
	s_delay_alu instid0(VALU_DEP_2) | instskip(NEXT) | instid1(VALU_DEP_1)
	v_fmac_f64_e32 v[18:19], v[20:21], v[202:203]
	v_add_f64_e32 v[16:17], v[16:17], v[18:19]
	s_or_b32 exec_lo, exec_lo, s41
	s_and_saveexec_b32 s41, s16
	s_cbranch_execz .LBB96_89
.LBB96_555:                             ;   in Loop: Header=BB96_3 Depth=1
	ds_load_b128 v[18:21], v52 offset:64
	ds_load_b128 v[202:205], v56 offset:2176
	s_wait_dscnt 0x0
	v_mul_f64_e32 v[4:5], v[20:21], v[204:205]
	s_delay_alu instid0(VALU_DEP_1) | instskip(SKIP_1) | instid1(VALU_DEP_2)
	v_fma_f64 v[4:5], v[18:19], v[202:203], -v[4:5]
	v_mul_f64_e32 v[18:19], v[18:19], v[204:205]
	v_add_f64_e32 v[14:15], v[14:15], v[4:5]
	s_delay_alu instid0(VALU_DEP_2) | instskip(NEXT) | instid1(VALU_DEP_1)
	v_fmac_f64_e32 v[18:19], v[20:21], v[202:203]
	v_add_f64_e32 v[16:17], v[16:17], v[18:19]
	s_or_b32 exec_lo, exec_lo, s41
	s_and_saveexec_b32 s41, s17
	s_cbranch_execz .LBB96_90
.LBB96_556:                             ;   in Loop: Header=BB96_3 Depth=1
	ds_load_b128 v[18:21], v52 offset:80
	ds_load_b128 v[202:205], v57 offset:2688
	s_wait_dscnt 0x0
	v_mul_f64_e32 v[4:5], v[20:21], v[204:205]
	s_delay_alu instid0(VALU_DEP_1) | instskip(SKIP_1) | instid1(VALU_DEP_2)
	v_fma_f64 v[4:5], v[18:19], v[202:203], -v[4:5]
	v_mul_f64_e32 v[18:19], v[18:19], v[204:205]
	v_add_f64_e32 v[14:15], v[14:15], v[4:5]
	s_delay_alu instid0(VALU_DEP_2) | instskip(NEXT) | instid1(VALU_DEP_1)
	v_fmac_f64_e32 v[18:19], v[20:21], v[202:203]
	v_add_f64_e32 v[16:17], v[16:17], v[18:19]
	s_or_b32 exec_lo, exec_lo, s41
	s_and_saveexec_b32 s41, s4
	s_cbranch_execz .LBB96_91
.LBB96_557:                             ;   in Loop: Header=BB96_3 Depth=1
	ds_load_b128 v[18:21], v52 offset:96
	ds_load_b128 v[202:205], v56 offset:3200
	s_wait_dscnt 0x0
	v_mul_f64_e32 v[4:5], v[20:21], v[204:205]
	s_delay_alu instid0(VALU_DEP_1) | instskip(SKIP_1) | instid1(VALU_DEP_2)
	v_fma_f64 v[4:5], v[18:19], v[202:203], -v[4:5]
	v_mul_f64_e32 v[18:19], v[18:19], v[204:205]
	v_add_f64_e32 v[14:15], v[14:15], v[4:5]
	s_delay_alu instid0(VALU_DEP_2) | instskip(NEXT) | instid1(VALU_DEP_1)
	v_fmac_f64_e32 v[18:19], v[20:21], v[202:203]
	v_add_f64_e32 v[16:17], v[16:17], v[18:19]
	s_or_b32 exec_lo, exec_lo, s41
	s_and_saveexec_b32 s41, s12
	s_cbranch_execnz .LBB96_92
	s_branch .LBB96_93
.LBB96_558:                             ;   in Loop: Header=BB96_3 Depth=1
	ds_load_b128 v[18:21], v44 offset:4240
	ds_load_b128 v[202:205], v51 offset:4800
	s_wait_dscnt 0x0
	v_mul_f64_e32 v[4:5], v[20:21], v[204:205]
	s_delay_alu instid0(VALU_DEP_1) | instskip(SKIP_1) | instid1(VALU_DEP_2)
	v_fma_f64 v[4:5], v[18:19], v[202:203], -v[4:5]
	v_mul_f64_e32 v[18:19], v[18:19], v[204:205]
	v_add_f64_e32 v[14:15], v[14:15], v[4:5]
	s_delay_alu instid0(VALU_DEP_2) | instskip(NEXT) | instid1(VALU_DEP_1)
	v_fmac_f64_e32 v[18:19], v[20:21], v[202:203]
	v_add_f64_e32 v[16:17], v[16:17], v[18:19]
	s_or_b32 exec_lo, exec_lo, s41
	s_and_saveexec_b32 s41, s12
	s_cbranch_execz .LBB96_149
.LBB96_559:                             ;   in Loop: Header=BB96_3 Depth=1
	ds_load_b128 v[18:21], v44 offset:4256
	ds_load_b128 v[202:205], v50 offset:5312
	s_wait_dscnt 0x0
	v_mul_f64_e32 v[4:5], v[20:21], v[204:205]
	s_delay_alu instid0(VALU_DEP_1) | instskip(SKIP_1) | instid1(VALU_DEP_2)
	v_fma_f64 v[4:5], v[18:19], v[202:203], -v[4:5]
	v_mul_f64_e32 v[18:19], v[18:19], v[204:205]
	v_add_f64_e32 v[14:15], v[14:15], v[4:5]
	s_delay_alu instid0(VALU_DEP_2) | instskip(NEXT) | instid1(VALU_DEP_1)
	v_fmac_f64_e32 v[18:19], v[20:21], v[202:203]
	v_add_f64_e32 v[16:17], v[16:17], v[18:19]
	s_or_b32 exec_lo, exec_lo, s41
	s_and_saveexec_b32 s41, s2
	s_cbranch_execnz .LBB96_150
	s_branch .LBB96_151
.LBB96_560:                             ;   in Loop: Header=BB96_3 Depth=1
	ds_load_b128 v[18:21], v3 offset:176
	ds_load_b128 v[202:205], v173 offset:5888
	s_wait_dscnt 0x0
	v_mul_f64_e32 v[4:5], v[20:21], v[204:205]
	s_delay_alu instid0(VALU_DEP_1) | instskip(SKIP_1) | instid1(VALU_DEP_2)
	v_fma_f64 v[4:5], v[18:19], v[202:203], -v[4:5]
	v_mul_f64_e32 v[18:19], v[18:19], v[204:205]
	v_add_f64_e32 v[14:15], v[14:15], v[4:5]
	s_delay_alu instid0(VALU_DEP_2) | instskip(NEXT) | instid1(VALU_DEP_1)
	v_fmac_f64_e32 v[18:19], v[20:21], v[202:203]
	v_add_f64_e32 v[16:17], v[16:17], v[18:19]
	s_or_b32 exec_lo, exec_lo, s41
	s_and_saveexec_b32 s41, s5
	s_cbranch_execz .LBB96_211
.LBB96_561:                             ;   in Loop: Header=BB96_3 Depth=1
	ds_load_b128 v[18:21], v3 offset:192
	ds_load_b128 v[202:205], v173 offset:6400
	s_wait_dscnt 0x0
	v_mul_f64_e32 v[4:5], v[20:21], v[204:205]
	s_delay_alu instid0(VALU_DEP_1) | instskip(SKIP_1) | instid1(VALU_DEP_2)
	v_fma_f64 v[4:5], v[18:19], v[202:203], -v[4:5]
	v_mul_f64_e32 v[18:19], v[18:19], v[204:205]
	v_add_f64_e32 v[14:15], v[14:15], v[4:5]
	s_delay_alu instid0(VALU_DEP_2) | instskip(NEXT) | instid1(VALU_DEP_1)
	v_fmac_f64_e32 v[18:19], v[20:21], v[202:203]
	v_add_f64_e32 v[16:17], v[16:17], v[18:19]
	s_or_b32 exec_lo, exec_lo, s41
	s_and_saveexec_b32 s41, s14
	s_cbranch_execz .LBB96_212
.LBB96_562:                             ;   in Loop: Header=BB96_3 Depth=1
	ds_load_b128 v[18:21], v3 offset:208
	ds_load_b128 v[202:205], v173 offset:6912
	s_wait_dscnt 0x0
	v_mul_f64_e32 v[4:5], v[20:21], v[204:205]
	s_delay_alu instid0(VALU_DEP_1) | instskip(SKIP_1) | instid1(VALU_DEP_2)
	v_fma_f64 v[4:5], v[18:19], v[202:203], -v[4:5]
	v_mul_f64_e32 v[18:19], v[18:19], v[204:205]
	v_add_f64_e32 v[14:15], v[14:15], v[4:5]
	s_delay_alu instid0(VALU_DEP_2) | instskip(NEXT) | instid1(VALU_DEP_1)
	v_fmac_f64_e32 v[18:19], v[20:21], v[202:203]
	v_add_f64_e32 v[16:17], v[16:17], v[18:19]
	s_or_b32 exec_lo, exec_lo, s41
	s_and_saveexec_b32 s41, s16
	s_cbranch_execz .LBB96_213
.LBB96_563:                             ;   in Loop: Header=BB96_3 Depth=1
	ds_load_b128 v[18:21], v3 offset:224
	ds_load_b128 v[202:205], v173 offset:7424
	s_wait_dscnt 0x0
	v_mul_f64_e32 v[4:5], v[20:21], v[204:205]
	s_delay_alu instid0(VALU_DEP_1) | instskip(SKIP_1) | instid1(VALU_DEP_2)
	v_fma_f64 v[4:5], v[18:19], v[202:203], -v[4:5]
	v_mul_f64_e32 v[18:19], v[18:19], v[204:205]
	v_add_f64_e32 v[14:15], v[14:15], v[4:5]
	s_delay_alu instid0(VALU_DEP_2) | instskip(NEXT) | instid1(VALU_DEP_1)
	v_fmac_f64_e32 v[18:19], v[20:21], v[202:203]
	v_add_f64_e32 v[16:17], v[16:17], v[18:19]
	s_or_b32 exec_lo, exec_lo, s41
	s_and_saveexec_b32 s41, s4
	s_cbranch_execnz .LBB96_214
	s_branch .LBB96_215
.LBB96_564:                             ;   in Loop: Header=BB96_3 Depth=1
	ds_load_b128 v[18:21], v44 offset:8464
	ds_load_b128 v[202:205], v51 offset:9024
	s_wait_dscnt 0x0
	v_mul_f64_e32 v[4:5], v[20:21], v[204:205]
	s_delay_alu instid0(VALU_DEP_1) | instskip(SKIP_1) | instid1(VALU_DEP_2)
	v_fma_f64 v[4:5], v[18:19], v[202:203], -v[4:5]
	v_mul_f64_e32 v[18:19], v[18:19], v[204:205]
	v_add_f64_e32 v[14:15], v[14:15], v[4:5]
	s_delay_alu instid0(VALU_DEP_2) | instskip(NEXT) | instid1(VALU_DEP_1)
	v_fmac_f64_e32 v[18:19], v[20:21], v[202:203]
	v_add_f64_e32 v[16:17], v[16:17], v[18:19]
	s_or_b32 exec_lo, exec_lo, s41
	s_and_saveexec_b32 s41, s12
	s_cbranch_execz .LBB96_303
.LBB96_565:                             ;   in Loop: Header=BB96_3 Depth=1
	ds_load_b128 v[18:21], v44 offset:8480
	ds_load_b128 v[202:205], v50 offset:9536
	s_wait_dscnt 0x0
	v_mul_f64_e32 v[4:5], v[20:21], v[204:205]
	s_delay_alu instid0(VALU_DEP_1) | instskip(SKIP_1) | instid1(VALU_DEP_2)
	v_fma_f64 v[4:5], v[18:19], v[202:203], -v[4:5]
	v_mul_f64_e32 v[18:19], v[18:19], v[204:205]
	v_add_f64_e32 v[14:15], v[14:15], v[4:5]
	s_delay_alu instid0(VALU_DEP_2) | instskip(NEXT) | instid1(VALU_DEP_1)
	v_fmac_f64_e32 v[18:19], v[20:21], v[202:203]
	v_add_f64_e32 v[16:17], v[16:17], v[18:19]
	s_or_b32 exec_lo, exec_lo, s41
	s_and_saveexec_b32 s41, s2
	s_cbranch_execnz .LBB96_304
	s_branch .LBB96_305
.LBB96_566:                             ;   in Loop: Header=BB96_3 Depth=1
	ds_load_b128 v[18:21], v52 offset:8464
	ds_load_b128 v[202:205], v57 offset:9088
	s_wait_dscnt 0x0
	v_mul_f64_e32 v[4:5], v[20:21], v[204:205]
	s_delay_alu instid0(VALU_DEP_1) | instskip(SKIP_1) | instid1(VALU_DEP_2)
	v_fma_f64 v[4:5], v[18:19], v[202:203], -v[4:5]
	v_mul_f64_e32 v[18:19], v[18:19], v[204:205]
	v_add_f64_e32 v[14:15], v[14:15], v[4:5]
	s_delay_alu instid0(VALU_DEP_2) | instskip(NEXT) | instid1(VALU_DEP_1)
	v_fmac_f64_e32 v[18:19], v[20:21], v[202:203]
	v_add_f64_e32 v[16:17], v[16:17], v[18:19]
	s_or_b32 exec_lo, exec_lo, s41
	s_and_saveexec_b32 s41, s14
	s_cbranch_execz .LBB96_345
.LBB96_567:                             ;   in Loop: Header=BB96_3 Depth=1
	ds_load_b128 v[18:21], v52 offset:8480
	ds_load_b128 v[202:205], v57 offset:9600
	s_wait_dscnt 0x0
	v_mul_f64_e32 v[4:5], v[20:21], v[204:205]
	s_delay_alu instid0(VALU_DEP_1) | instskip(SKIP_1) | instid1(VALU_DEP_2)
	v_fma_f64 v[4:5], v[18:19], v[202:203], -v[4:5]
	v_mul_f64_e32 v[18:19], v[18:19], v[204:205]
	v_add_f64_e32 v[14:15], v[14:15], v[4:5]
	s_delay_alu instid0(VALU_DEP_2) | instskip(NEXT) | instid1(VALU_DEP_1)
	v_fmac_f64_e32 v[18:19], v[20:21], v[202:203]
	v_add_f64_e32 v[16:17], v[16:17], v[18:19]
	s_or_b32 exec_lo, exec_lo, s41
	s_and_saveexec_b32 s41, s15
	s_cbranch_execz .LBB96_346
.LBB96_568:                             ;   in Loop: Header=BB96_3 Depth=1
	ds_load_b128 v[18:21], v52 offset:8496
	ds_load_b128 v[202:205], v57 offset:10112
	s_wait_dscnt 0x0
	v_mul_f64_e32 v[4:5], v[20:21], v[204:205]
	s_delay_alu instid0(VALU_DEP_1) | instskip(SKIP_1) | instid1(VALU_DEP_2)
	v_fma_f64 v[4:5], v[18:19], v[202:203], -v[4:5]
	v_mul_f64_e32 v[18:19], v[18:19], v[204:205]
	v_add_f64_e32 v[14:15], v[14:15], v[4:5]
	s_delay_alu instid0(VALU_DEP_2) | instskip(NEXT) | instid1(VALU_DEP_1)
	v_fmac_f64_e32 v[18:19], v[20:21], v[202:203]
	v_add_f64_e32 v[16:17], v[16:17], v[18:19]
	s_or_b32 exec_lo, exec_lo, s41
	s_and_saveexec_b32 s41, s16
	s_cbranch_execz .LBB96_347
.LBB96_569:                             ;   in Loop: Header=BB96_3 Depth=1
	ds_load_b128 v[18:21], v52 offset:8512
	ds_load_b128 v[202:205], v56 offset:10624
	s_wait_dscnt 0x0
	v_mul_f64_e32 v[4:5], v[20:21], v[204:205]
	s_delay_alu instid0(VALU_DEP_1) | instskip(SKIP_1) | instid1(VALU_DEP_2)
	v_fma_f64 v[4:5], v[18:19], v[202:203], -v[4:5]
	v_mul_f64_e32 v[18:19], v[18:19], v[204:205]
	v_add_f64_e32 v[14:15], v[14:15], v[4:5]
	s_delay_alu instid0(VALU_DEP_2) | instskip(NEXT) | instid1(VALU_DEP_1)
	v_fmac_f64_e32 v[18:19], v[20:21], v[202:203]
	v_add_f64_e32 v[16:17], v[16:17], v[18:19]
	s_or_b32 exec_lo, exec_lo, s41
	s_and_saveexec_b32 s41, s17
	s_cbranch_execz .LBB96_348
.LBB96_570:                             ;   in Loop: Header=BB96_3 Depth=1
	ds_load_b128 v[18:21], v52 offset:8528
	ds_load_b128 v[202:205], v57 offset:11136
	s_wait_dscnt 0x0
	v_mul_f64_e32 v[4:5], v[20:21], v[204:205]
	s_delay_alu instid0(VALU_DEP_1) | instskip(SKIP_1) | instid1(VALU_DEP_2)
	v_fma_f64 v[4:5], v[18:19], v[202:203], -v[4:5]
	v_mul_f64_e32 v[18:19], v[18:19], v[204:205]
	v_add_f64_e32 v[14:15], v[14:15], v[4:5]
	s_delay_alu instid0(VALU_DEP_2) | instskip(NEXT) | instid1(VALU_DEP_1)
	v_fmac_f64_e32 v[18:19], v[20:21], v[202:203]
	v_add_f64_e32 v[16:17], v[16:17], v[18:19]
	s_or_b32 exec_lo, exec_lo, s41
	s_and_saveexec_b32 s41, s4
	s_cbranch_execz .LBB96_349
.LBB96_571:                             ;   in Loop: Header=BB96_3 Depth=1
	ds_load_b128 v[18:21], v52 offset:8544
	ds_load_b128 v[202:205], v56 offset:11648
	s_wait_dscnt 0x0
	v_mul_f64_e32 v[4:5], v[20:21], v[204:205]
	s_delay_alu instid0(VALU_DEP_1) | instskip(SKIP_1) | instid1(VALU_DEP_2)
	v_fma_f64 v[4:5], v[18:19], v[202:203], -v[4:5]
	v_mul_f64_e32 v[18:19], v[18:19], v[204:205]
	v_add_f64_e32 v[14:15], v[14:15], v[4:5]
	s_delay_alu instid0(VALU_DEP_2) | instskip(NEXT) | instid1(VALU_DEP_1)
	v_fmac_f64_e32 v[18:19], v[20:21], v[202:203]
	v_add_f64_e32 v[16:17], v[16:17], v[18:19]
	s_or_b32 exec_lo, exec_lo, s41
	s_and_saveexec_b32 s41, s12
	s_cbranch_execnz .LBB96_350
	s_branch .LBB96_351
.LBB96_572:                             ;   in Loop: Header=BB96_3 Depth=1
	ds_load_b128 v[18:21], v44 offset:12688
	ds_load_b128 v[202:205], v51 offset:13248
	s_wait_dscnt 0x0
	v_mul_f64_e32 v[4:5], v[20:21], v[204:205]
	s_delay_alu instid0(VALU_DEP_1) | instskip(SKIP_1) | instid1(VALU_DEP_2)
	v_fma_f64 v[4:5], v[18:19], v[202:203], -v[4:5]
	v_mul_f64_e32 v[18:19], v[18:19], v[204:205]
	v_add_f64_e32 v[14:15], v[14:15], v[4:5]
	s_delay_alu instid0(VALU_DEP_2) | instskip(NEXT) | instid1(VALU_DEP_1)
	v_fmac_f64_e32 v[18:19], v[20:21], v[202:203]
	v_add_f64_e32 v[16:17], v[16:17], v[18:19]
	s_or_b32 exec_lo, exec_lo, s41
	s_and_saveexec_b32 s41, s12
	s_cbranch_execz .LBB96_407
.LBB96_573:                             ;   in Loop: Header=BB96_3 Depth=1
	ds_load_b128 v[18:21], v44 offset:12704
	ds_load_b128 v[202:205], v50 offset:13760
	s_wait_dscnt 0x0
	v_mul_f64_e32 v[4:5], v[20:21], v[204:205]
	s_delay_alu instid0(VALU_DEP_1) | instskip(SKIP_1) | instid1(VALU_DEP_2)
	v_fma_f64 v[4:5], v[18:19], v[202:203], -v[4:5]
	v_mul_f64_e32 v[18:19], v[18:19], v[204:205]
	v_add_f64_e32 v[14:15], v[14:15], v[4:5]
	s_delay_alu instid0(VALU_DEP_2) | instskip(NEXT) | instid1(VALU_DEP_1)
	v_fmac_f64_e32 v[18:19], v[20:21], v[202:203]
	v_add_f64_e32 v[16:17], v[16:17], v[18:19]
	s_or_b32 exec_lo, exec_lo, s41
	s_and_saveexec_b32 s41, s2
	s_cbranch_execnz .LBB96_408
	s_branch .LBB96_409
.LBB96_574:
	s_endpgm
	.section	.rodata,"a",@progbits
	.p2align	6, 0x0
	.amdhsa_kernel _ZL19rocblas_trsv_deviceILi32ELi16ELb1ELb1ELb1ELb0E19rocblas_complex_numIdES1_PKS1_PS1_EviT7_lllT6_T8_lllPii
		.amdhsa_group_segment_fixed_size 25104
		.amdhsa_private_segment_fixed_size 0
		.amdhsa_kernarg_size 360
		.amdhsa_user_sgpr_count 2
		.amdhsa_user_sgpr_dispatch_ptr 0
		.amdhsa_user_sgpr_queue_ptr 0
		.amdhsa_user_sgpr_kernarg_segment_ptr 1
		.amdhsa_user_sgpr_dispatch_id 0
		.amdhsa_user_sgpr_kernarg_preload_length 0
		.amdhsa_user_sgpr_kernarg_preload_offset 0
		.amdhsa_user_sgpr_private_segment_size 0
		.amdhsa_wavefront_size32 1
		.amdhsa_uses_dynamic_stack 0
		.amdhsa_enable_private_segment 0
		.amdhsa_system_sgpr_workgroup_id_x 1
		.amdhsa_system_sgpr_workgroup_id_y 0
		.amdhsa_system_sgpr_workgroup_id_z 1
		.amdhsa_system_sgpr_workgroup_info 0
		.amdhsa_system_vgpr_workitem_id 1
		.amdhsa_next_free_vgpr 209
		.amdhsa_next_free_sgpr 105
		.amdhsa_named_barrier_count 0
		.amdhsa_reserve_vcc 1
		.amdhsa_float_round_mode_32 0
		.amdhsa_float_round_mode_16_64 0
		.amdhsa_float_denorm_mode_32 3
		.amdhsa_float_denorm_mode_16_64 3
		.amdhsa_fp16_overflow 0
		.amdhsa_memory_ordered 1
		.amdhsa_forward_progress 1
		.amdhsa_inst_pref_size 215
		.amdhsa_round_robin_scheduling 0
		.amdhsa_exception_fp_ieee_invalid_op 0
		.amdhsa_exception_fp_denorm_src 0
		.amdhsa_exception_fp_ieee_div_zero 0
		.amdhsa_exception_fp_ieee_overflow 0
		.amdhsa_exception_fp_ieee_underflow 0
		.amdhsa_exception_fp_ieee_inexact 0
		.amdhsa_exception_int_div_zero 0
	.end_amdhsa_kernel
	.section	.text._ZL19rocblas_trsv_deviceILi32ELi16ELb1ELb1ELb1ELb0E19rocblas_complex_numIdES1_PKS1_PS1_EviT7_lllT6_T8_lllPii,"axG",@progbits,_ZL19rocblas_trsv_deviceILi32ELi16ELb1ELb1ELb1ELb0E19rocblas_complex_numIdES1_PKS1_PS1_EviT7_lllT6_T8_lllPii,comdat
.Lfunc_end96:
	.size	_ZL19rocblas_trsv_deviceILi32ELi16ELb1ELb1ELb1ELb0E19rocblas_complex_numIdES1_PKS1_PS1_EviT7_lllT6_T8_lllPii, .Lfunc_end96-_ZL19rocblas_trsv_deviceILi32ELi16ELb1ELb1ELb1ELb0E19rocblas_complex_numIdES1_PKS1_PS1_EviT7_lllT6_T8_lllPii
                                        ; -- End function
	.set _ZL19rocblas_trsv_deviceILi32ELi16ELb1ELb1ELb1ELb0E19rocblas_complex_numIdES1_PKS1_PS1_EviT7_lllT6_T8_lllPii.num_vgpr, 209
	.set _ZL19rocblas_trsv_deviceILi32ELi16ELb1ELb1ELb1ELb0E19rocblas_complex_numIdES1_PKS1_PS1_EviT7_lllT6_T8_lllPii.num_agpr, 0
	.set _ZL19rocblas_trsv_deviceILi32ELi16ELb1ELb1ELb1ELb0E19rocblas_complex_numIdES1_PKS1_PS1_EviT7_lllT6_T8_lllPii.numbered_sgpr, 105
	.set _ZL19rocblas_trsv_deviceILi32ELi16ELb1ELb1ELb1ELb0E19rocblas_complex_numIdES1_PKS1_PS1_EviT7_lllT6_T8_lllPii.num_named_barrier, 0
	.set _ZL19rocblas_trsv_deviceILi32ELi16ELb1ELb1ELb1ELb0E19rocblas_complex_numIdES1_PKS1_PS1_EviT7_lllT6_T8_lllPii.private_seg_size, 0
	.set _ZL19rocblas_trsv_deviceILi32ELi16ELb1ELb1ELb1ELb0E19rocblas_complex_numIdES1_PKS1_PS1_EviT7_lllT6_T8_lllPii.uses_vcc, 1
	.set _ZL19rocblas_trsv_deviceILi32ELi16ELb1ELb1ELb1ELb0E19rocblas_complex_numIdES1_PKS1_PS1_EviT7_lllT6_T8_lllPii.uses_flat_scratch, 0
	.set _ZL19rocblas_trsv_deviceILi32ELi16ELb1ELb1ELb1ELb0E19rocblas_complex_numIdES1_PKS1_PS1_EviT7_lllT6_T8_lllPii.has_dyn_sized_stack, 0
	.set _ZL19rocblas_trsv_deviceILi32ELi16ELb1ELb1ELb1ELb0E19rocblas_complex_numIdES1_PKS1_PS1_EviT7_lllT6_T8_lllPii.has_recursion, 0
	.set _ZL19rocblas_trsv_deviceILi32ELi16ELb1ELb1ELb1ELb0E19rocblas_complex_numIdES1_PKS1_PS1_EviT7_lllT6_T8_lllPii.has_indirect_call, 0
	.section	.AMDGPU.csdata,"",@progbits
; Kernel info:
; codeLenInByte = 27460
; TotalNumSgprs: 107
; NumVgprs: 209
; ScratchSize: 0
; MemoryBound: 1
; FloatMode: 240
; IeeeMode: 1
; LDSByteSize: 25104 bytes/workgroup (compile time only)
; SGPRBlocks: 0
; VGPRBlocks: 13
; NumSGPRsForWavesPerEU: 107
; NumVGPRsForWavesPerEU: 209
; NamedBarCnt: 0
; Occupancy: 4
; WaveLimiterHint : 0
; COMPUTE_PGM_RSRC2:SCRATCH_EN: 0
; COMPUTE_PGM_RSRC2:USER_SGPR: 2
; COMPUTE_PGM_RSRC2:TRAP_HANDLER: 0
; COMPUTE_PGM_RSRC2:TGID_X_EN: 1
; COMPUTE_PGM_RSRC2:TGID_Y_EN: 0
; COMPUTE_PGM_RSRC2:TGID_Z_EN: 1
; COMPUTE_PGM_RSRC2:TIDIG_COMP_CNT: 1
	.section	.text._ZL19rocblas_trsv_deviceILi64ELi16ELb0ELb0ELb0ELb1EfPKfPKS1_PKPfEviT7_lllT6_T8_lllPii,"axG",@progbits,_ZL19rocblas_trsv_deviceILi64ELi16ELb0ELb0ELb0ELb1EfPKfPKS1_PKPfEviT7_lllT6_T8_lllPii,comdat
	.globl	_ZL19rocblas_trsv_deviceILi64ELi16ELb0ELb0ELb0ELb1EfPKfPKS1_PKPfEviT7_lllT6_T8_lllPii ; -- Begin function _ZL19rocblas_trsv_deviceILi64ELi16ELb0ELb0ELb0ELb1EfPKfPKS1_PKPfEviT7_lllT6_T8_lllPii
	.p2align	8
	.type	_ZL19rocblas_trsv_deviceILi64ELi16ELb0ELb0ELb0ELb1EfPKfPKS1_PKPfEviT7_lllT6_T8_lllPii,@function
_ZL19rocblas_trsv_deviceILi64ELi16ELb0ELb0ELb0ELb1EfPKfPKS1_PKPfEviT7_lllT6_T8_lllPii: ; @_ZL19rocblas_trsv_deviceILi64ELi16ELb0ELb0ELb0ELb1EfPKfPKS1_PKPfEviT7_lllT6_T8_lllPii
; %bb.0:
	s_load_b32 s6, s[0:1], 0x58
	s_bfe_u32 s2, ttmp6, 0x40014
	s_lshr_b32 s3, ttmp7, 16
	s_add_co_i32 s2, s2, 1
	s_bfe_u32 s5, ttmp6, 0x40008
	s_mul_i32 s4, s3, s2
	s_getreg_b32 s2, hwreg(HW_REG_IB_STS2, 6, 4)
	s_add_co_i32 s5, s5, s4
	s_cmp_eq_u32 s2, 0
	s_mov_b32 s67, 0
	s_cselect_b32 s66, s3, s5
                                        ; implicit-def: $vgpr77 : SGPR spill to VGPR lane
	s_wait_kmcnt 0x0
	s_cmp_ge_u32 s66, s6
	v_writelane_b32 v77, s6, 0
	s_cbranch_scc1 .LBB97_1163
; %bb.1:
	s_clause 0x2
	s_load_b32 s3, s[0:1], 0x6c
	s_load_b32 s97, s[0:1], 0x60
	;; [unrolled: 1-line block ×3, first 2 shown]
	s_bfe_u32 s5, ttmp6, 0x4000c
	s_and_b32 s4, ttmp6, 15
	s_add_co_i32 s5, s5, 1
	s_clause 0x1
	s_load_b64 s[82:83], s[0:1], 0x18
	s_load_b128 s[76:79], s[0:1], 0x8
	s_mul_i32 s5, ttmp9, s5
	v_bfe_u32 v2, v0, 10, 10
	s_add_co_i32 s4, s4, s5
	s_cmp_eq_u32 s2, 0
	v_and_b32_e32 v4, 0x3ff, v0
	s_cselect_b32 s96, ttmp9, s4
	v_dual_mov_b32 v7, 0 :: v_dual_bitop2_b32 v14, 1, v0 bitop3:0x40
	v_dual_add_nc_u32 v26, 32, v2 :: v_dual_bitop2_b32 v15, 7, v0 bitop3:0x40
	s_delay_alu instid0(VALU_DEP_3)
	v_lshl_add_u32 v30, v2, 6, v4
	v_dual_add_nc_u32 v24, 48, v2 :: v_dual_bitop2_b32 v16, 15, v0 bitop3:0x40
	s_wait_kmcnt 0x0
	s_add_co_i32 s97, s97, -1
	s_add_co_i32 s2, s80, -1
	s_ashr_i32 s81, s80, 31
	s_ashr_i32 s4, s2, 31
	s_lshr_b32 s5, s81, 26
	s_lshr_b32 s4, s4, 26
	s_add_co_i32 s5, s80, s5
	s_add_co_i32 s2, s2, s4
	s_and_not1_b32 s5, s5, 63
	s_sub_co_i32 s11, s97, s96
	s_ashr_i32 s2, s2, 6
	s_and_b32 s3, s3, 0xffff
	s_sub_co_i32 s16, s80, s5
	s_cmp_eq_u32 s2, s11
	v_mad_u32_u24 v6, v2, s3, v4
	s_cselect_b32 s2, -1, 0
	s_cmp_lg_u32 s16, 0
	v_cmp_eq_u32_e32 vcc_lo, 0, v14
	s_cselect_b32 s4, -1, 0
	v_cmp_ne_u32_e64 s8, 15, v16
	s_and_b32 s17, s4, s2
	s_add_nc_u64 s[4:5], s[82:83], 1
	s_xor_b32 s98, s17, -1
	s_cmp_lg_u32 s96, 0
	v_cmp_gt_u32_e64 s2, 4, v30
	s_cselect_b32 s6, -1, 0
	s_lshl_b32 s14, s11, 6
	s_delay_alu instid0(SALU_CYCLE_1)
	v_dual_add_nc_u32 v3, s14, v2 :: v_dual_bitop2_b32 v1, 3, v0 bitop3:0x40
	s_ashr_i32 s15, s14, 31
	s_cmp_gt_i32 s96, 4
	s_mul_u64 s[12:13], s[4:5], s[14:15]
	s_cselect_b32 s3, -1, 0
	v_cmp_eq_u32_e64 s5, 3, v1
	s_and_b32 s100, s3, s98
	v_cmp_gt_u32_e64 s3, 16, v30
	v_writelane_b32 v77, s6, 1
	v_cmp_eq_u32_e64 s4, 1, v14
	v_cmp_ne_u32_e64 s6, 3, v1
	v_cmp_eq_u32_e64 s7, 2, v1
	s_and_b32 s102, vcc_lo, s2
	s_and_b32 s103, s5, s3
	v_cmp_gt_u32_e32 vcc_lo, 2, v1
	v_cmp_eq_u32_e64 s5, 1, v1
	s_and_b32 s101, s4, s2
	s_and_b32 s104, s6, s3
	s_and_b32 vcc_hi, s7, s3
	v_cmp_eq_u32_e64 s6, 0, v1
	v_cmp_gt_u32_e64 s4, 64, v30
	v_cmp_eq_u32_e64 s7, 7, v15
	s_and_b32 s31, vcc_lo, s3
	v_cmp_ne_u32_e32 vcc_lo, 7, v15
	s_and_b32 s33, s5, s3
	v_cmp_eq_u32_e64 s5, 6, v15
	s_and_b32 s34, s6, s3
	s_and_b32 s35, s7, s4
	s_and_b32 s36, vcc_lo, s4
	v_cmp_gt_u32_e32 vcc_lo, 6, v15
	v_cmp_eq_u32_e64 s6, 5, v15
	v_cmp_gt_u32_e64 s7, 5, v15
	s_and_b32 s37, s5, s4
	v_cmp_eq_u32_e64 s5, 4, v15
	s_and_b32 s38, vcc_lo, s4
	s_and_b32 s39, s6, s4
	s_and_b32 s40, s7, s4
	v_cmp_gt_u32_e32 vcc_lo, 4, v15
	s_and_b32 s41, s5, s4
	v_cmp_eq_u32_e64 s5, 3, v15
	v_cmp_gt_u32_e64 s6, 3, v15
	v_cmp_eq_u32_e64 s7, 2, v15
	s_and_b32 s42, vcc_lo, s4
	v_cmp_gt_u32_e32 vcc_lo, 2, v15
	s_and_b32 s43, s5, s4
	s_and_b32 s44, s6, s4
	;; [unrolled: 1-line block ×3, first 2 shown]
	v_cmp_eq_u32_e64 s6, 0, v15
	v_cmp_gt_u32_e64 s5, 0x100, v30
	v_cmp_eq_u32_e64 s7, 15, v16
	s_and_b32 s46, vcc_lo, s4
	v_cmp_eq_u32_e32 vcc_lo, 1, v15
	s_and_b32 s48, s6, s4
	v_dual_add_nc_u32 v18, 64, v3 :: v_dual_bitop2_b32 v17, 31, v0 bitop3:0x40
	s_and_b32 s6, s7, s5
	s_and_b32 s47, vcc_lo, s4
	v_writelane_b32 v77, s6, 2
	v_cmp_eq_u32_e32 vcc_lo, 14, v16
	s_and_b32 s6, s8, s5
	v_cmp_eq_u32_e64 s8, 12, v16
	v_cmp_eq_u32_e64 s10, 30, v17
	v_writelane_b32 v77, s6, 3
	v_cmp_gt_u32_e64 s6, 14, v16
	s_and_b32 s7, vcc_lo, s5
	v_cmp_eq_u32_e32 vcc_lo, 13, v16
                                        ; implicit-def: $vgpr76 : SGPR spill to VGPR lane
                                        ; implicit-def: $vgpr75 : SGPR spill to VGPR lane
	v_dual_add_nc_u32 v8, s14, v4 :: v_dual_add_nc_u32 v28, 16, v2
	v_writelane_b32 v77, s7, 4
	s_and_b32 s6, s6, s5
	v_cmp_gt_u32_e64 s7, 13, v16
	s_and_b32 s9, vcc_lo, s5
	v_cmp_eq_u32_e32 vcc_lo, 11, v16
	v_writelane_b32 v77, s6, 5
	v_cmp_gt_u32_e64 s6, 12, v16
	s_and_b32 s7, s7, s5
	v_add_nc_u64_e32 v[12:13], s[14:15], v[6:7]
	s_and_b32 s24, vcc_lo, s5
	v_writelane_b32 v77, s9, 6
	s_and_b32 s6, s6, s5
	v_cmp_eq_u32_e32 vcc_lo, 9, v16
	v_cmp_ne_u32_e64 s9, 31, v17
	v_dual_ashrrev_i32 v19, 31, v18 :: v_dual_lshrrev_b32 v20, 10, v0
	v_writelane_b32 v77, s7, 7
	s_and_b32 s7, s8, s5
	v_cmp_gt_u32_e64 s8, 10, v16
	s_and_b32 s57, vcc_lo, s5
	v_cmp_eq_u32_e32 vcc_lo, 8, v16
	v_writelane_b32 v77, s7, 8
	v_cmp_eq_u32_e64 s7, 10, v16
	s_and_b32 s30, s8, s5
	v_cmp_eq_u32_e64 s8, 7, v16
	s_and_b32 s59, vcc_lo, s5
	v_writelane_b32 v77, s6, 9
	v_cmp_gt_u32_e64 s6, 11, v16
	s_and_b32 s28, s7, s5
	v_cmp_gt_u32_e64 s7, 8, v16
	s_and_b32 s61, s8, s5
	;; [unrolled: 2-line block ×4, first 2 shown]
	v_cmp_eq_u32_e64 s7, 5, v16
	v_cmp_eq_u32_e32 vcc_lo, 6, v16
	s_and_b32 s23, s8, s5
	s_and_b32 s58, s6, s5
	v_cmp_gt_u32_e64 s6, 7, v16
	s_and_b32 s21, s7, s5
	v_cmp_gt_u32_e64 s7, 3, v16
	v_cmp_eq_u32_e64 s8, 2, v16
	s_and_b32 s63, vcc_lo, s5
	s_and_b32 s62, s6, s5
	v_cmp_gt_u32_e64 s6, 6, v16
	v_cmp_eq_u32_e32 vcc_lo, 4, v16
	s_and_b32 s65, s7, s5
	s_and_b32 s99, s8, s5
	v_cmp_eq_u32_e64 s7, 0, v16
	s_and_b32 s64, s6, s5
	v_cmp_gt_u32_e64 s6, 4, v16
	v_cmp_eq_u32_e64 s8, 31, v17
	s_and_b32 s25, vcc_lo, s5
	v_cmp_eq_u32_e32 vcc_lo, 3, v16
	s_and_b32 s51, s7, s5
	s_and_b32 s27, s6, s5
	v_cmp_gt_u32_e64 s6, 2, v16
	v_dual_lshrrev_b32 v5, 1, v30 :: v_dual_ashrrev_i32 v9, 31, v8
	s_and_b32 s29, vcc_lo, s5
	v_cmp_eq_u32_e32 vcc_lo, 1, v16
	s_and_b32 s49, s6, s5
	v_cmp_gt_u32_e64 s6, 0x400, v30
	v_mul_u64_e32 v[10:11], s[82:83], v[18:19]
	v_lshlrev_b32_e32 v19, 8, v5
	s_and_b32 s50, vcc_lo, s5
	v_cmp_gt_u32_e32 vcc_lo, 30, v17
	s_and_b32 s7, s8, s6
	v_cmp_gt_u32_e64 s8, 29, v17
	v_writelane_b32 v77, s7, 10
	s_and_b32 s7, s9, s6
	s_and_b32 s18, vcc_lo, s6
	v_cmp_eq_u32_e64 s9, 28, v17
	v_cmp_eq_u32_e32 vcc_lo, 27, v17
	v_writelane_b32 v77, s7, 11
	s_and_b32 s7, s10, s6
	v_cmp_gt_u32_e64 s10, 28, v17
	v_bitop3_b32 v31, v0, v20, 0x3ff bitop3:0xa8
	v_lshlrev_b32_e32 v0, 6, v30
	v_writelane_b32 v77, s7, 12
	v_cmp_eq_u32_e64 s7, 29, v17
	v_dual_sub_nc_u32 v32, 0, v19 :: v_dual_lshlrev_b32 v33, 2, v14
	v_dual_lshlrev_b32 v34, 2, v4 :: v_dual_lshrrev_b32 v20, 3, v30
	v_writelane_b32 v77, s18, 13
	s_and_b32 s7, s7, s6
	s_and_b32 s18, vcc_lo, s6
	v_cmp_gt_u32_e32 vcc_lo, 25, v17
	v_and_b32_e32 v14, 0x1fffc, v30
	v_writelane_b32 v77, s7, 14
	s_and_b32 s7, s8, s6
	v_cmp_eq_u32_e64 s8, 26, v17
	v_and_b32_e32 v0, 0xffffff00, v0
	v_dual_lshlrev_b32 v35, 2, v1 :: v_dual_sub_nc_u32 v36, v33, v19
	v_writelane_b32 v77, s7, 15
	s_and_b32 s7, s9, s6
	v_cmp_gt_u32_e64 s9, 26, v17
	v_dual_mov_b32 v62, 1.0 :: v_dual_add_nc_u32 v37, 0x4000, v14
	v_writelane_b32 v77, s7, 16
	s_and_b32 s7, s10, s6
	v_cmp_eq_u32_e64 s10, 25, v17
	v_dual_sub_nc_u32 v38, 0, v0 :: v_dual_sub_nc_u32 v39, v35, v0
	v_writelane_b32 v77, s7, 17
	v_cmp_gt_u32_e64 s7, 27, v17
	v_dual_lshlrev_b32 v1, 8, v20 :: v_dual_lshlrev_b32 v40, 2, v15
	v_lshrrev_b32_e32 v0, 4, v30
	v_writelane_b32 v77, s18, 18
	s_and_b32 s7, s7, s6
	s_and_b32 s18, vcc_lo, s6
	v_cmp_eq_u32_e32 vcc_lo, 22, v17
	v_dual_lshrrev_b32 v14, 5, v30 :: v_dual_sub_nc_u32 v43, v40, v1
	v_writelane_b32 v77, s7, 19
	s_and_b32 s7, s8, s6
	v_cmp_gt_u32_e64 s8, 24, v17
	s_clause 0x1
	s_load_b64 s[84:85], s[0:1], 0x50
	s_load_b256 s[68:75], s[0:1], 0x28
	v_writelane_b32 v77, s7, 20
	s_and_b32 s7, s9, s6
	v_cmp_eq_u32_e64 s9, 23, v17
	s_and_b32 s8, s8, s6
	v_sub_nc_u32_e32 v42, 0, v1
	v_writelane_b32 v77, s7, 21
	s_and_b32 s7, s10, s6
	v_cmp_gt_u32_e64 s10, 23, v17
	s_and_b32 s9, s9, s6
	v_lshlrev_b32_e32 v1, 8, v0
	v_writelane_b32 v77, s7, 22
	v_cmp_eq_u32_e64 s7, 24, v17
	v_lshl_add_u32 v45, v0, 2, 0x4000
	v_lshlrev_b32_e32 v0, 8, v14
	v_lshl_add_u32 v49, v14, 2, 0x4000
	v_writelane_b32 v77, s18, 23
	s_and_b32 s7, s7, s6
	v_dual_mov_b32 v29, v7 :: v_dual_add_nc_u32 v14, 0x50, v3
	v_add_nc_u32_e32 v15, 0x60, v3
	v_writelane_b32 v77, s7, 24
	v_cmp_gt_u32_e64 s7, 22, v17
                                        ; implicit-def: $vgpr74 : SGPR spill to VGPR lane
	v_lshl_add_u32 v53, v2, 2, 0x5000
	v_dual_lshlrev_b32 v44, 2, v16 :: v_dual_lshlrev_b32 v46, 2, v17
	v_writelane_b32 v77, s8, 25
	v_cmp_eq_u32_e64 s8, 21, v17
	s_and_b32 s7, s7, s6
	v_dual_add_nc_u32 v57, v53, v34 :: v_dual_bitop2_b32 v68, v28, v4 bitop3:0x54
	v_mov_b32_e32 v25, v7
	v_writelane_b32 v77, s9, 26
	s_and_b32 s9, s10, s6
	v_lshl_add_u32 v41, v20, 2, 0x4000
	v_dual_sub_nc_u32 v47, 0, v1 :: v_dual_sub_nc_u32 v48, v44, v1
	v_writelane_b32 v77, s9, 27
	s_and_b32 s9, vcc_lo, s6
	v_cmp_gt_u32_e32 vcc_lo, 21, v17
	v_dual_sub_nc_u32 v50, 0, v0 :: v_dual_sub_nc_u32 v51, v46, v0
	v_writelane_b32 v77, s9, 28
	s_wait_kmcnt 0x0
	v_mul_u64_e32 v[0:1], s[74:75], v[8:9]
	v_mul_u64_e32 v[12:13], s[74:75], v[12:13]
	;; [unrolled: 1-line block ×3, first 2 shown]
	v_lshl_add_u32 v5, v5, 2, 0x4000
	v_writelane_b32 v77, s7, 29
	s_and_b32 s7, s8, s6
	v_lshl_add_u32 v52, v6, 2, 0x5000
	v_lshl_add_u32 v54, v30, 2, 0x4000
	v_add_nc_u32_e32 v55, 0x4000, v34
	v_writelane_b32 v77, s7, 30
	s_and_b32 s7, vcc_lo, s6
	v_cmp_eq_u32_e32 vcc_lo, 20, v17
	v_lshl_add_u32 v56, v2, 8, v34
	v_lshl_add_u32 v58, v26, 8, v34
	v_writelane_b32 v77, s7, 31
	v_lshl_add_u32 v59, v24, 8, v34
	s_and_b32 s7, vcc_lo, s6
	v_cmp_gt_u32_e32 vcc_lo, 20, v17
	v_writelane_b32 v76, s7, 0
	v_add_nc_u32_e32 v60, 0x3c00, v34
	v_subrev_nc_u32_e32 v61, 63, v4
	v_add_nc_u32_e64 v63, 0x3c00, 0
	s_and_b32 s7, vcc_lo, s6
	v_cmp_eq_u32_e32 vcc_lo, 19, v17
	v_writelane_b32 v76, s7, 1
	v_cmp_gt_u32_e64 s19, 24, v30
	v_cmp_eq_u32_e64 s55, 0, v6
	v_cmp_gt_u32_e64 s56, 64, v6
	s_and_b32 s7, vcc_lo, s6
	v_cmp_gt_u32_e32 vcc_lo, 19, v17
	v_writelane_b32 v76, s7, 2
	s_mul_u64 s[92:93], s[82:83], 0xc0
                                        ; implicit-def: $vgpr64
                                        ; implicit-def: $vgpr65
                                        ; implicit-def: $vgpr66
                                        ; implicit-def: $vgpr67
	v_dual_mov_b32 v27, v7 :: v_dual_lshlrev_b32 v22, 2, v4
	s_and_b32 s7, vcc_lo, s6
	v_cmp_eq_u32_e32 vcc_lo, 18, v17
	v_writelane_b32 v76, s7, 3
	v_mov_b32_e32 v23, v7
	s_and_b32 s7, vcc_lo, s6
	v_cmp_gt_u32_e32 vcc_lo, 18, v17
	v_writelane_b32 v76, s7, 4
	s_and_b32 s7, vcc_lo, s6
	v_cmp_eq_u32_e32 vcc_lo, 17, v17
	v_writelane_b32 v76, s7, 5
	s_and_b32 s7, vcc_lo, s6
	v_cmp_gt_u32_e32 vcc_lo, 17, v17
	v_writelane_b32 v76, s7, 6
	s_and_b32 s7, vcc_lo, s6
	v_cmp_eq_u32_e32 vcc_lo, 16, v17
	v_writelane_b32 v76, s7, 7
	;; [unrolled: 6-line block ×17, first 2 shown]
	s_and_b32 s7, vcc_lo, s6
	v_cmp_eq_u32_e32 vcc_lo, 0, v17
	v_writelane_b32 v75, s7, 6
	v_cmp_eq_u32_e64 s7, 0, v2
	v_mul_u64_e32 v[16:17], s[82:83], v[28:29]
	v_or_b32_e32 v29, v26, v4
	s_and_b32 s9, vcc_lo, s6
	v_cmp_le_i32_e32 vcc_lo, s16, v4
	s_and_b32 s8, vcc_lo, s17
	s_delay_alu instid0(SALU_CYCLE_1) | instskip(SKIP_1) | instid1(SALU_CYCLE_1)
	v_writelane_b32 v75, s8, 7
	s_xor_b32 s8, s8, -1
	s_and_b32 s10, s7, s8
	v_cmp_le_i32_e64 s8, s16, v2
	s_cmp_gt_i32 s96, 0
	s_cselect_b32 s52, -1, 0
	s_lshl_b64 s[86:87], s[12:13], 2
	s_or_b32 s14, s8, vcc_lo
	v_cmp_le_i32_e64 s8, s16, v28
	v_cmp_gt_u32_e64 s12, 2, v30
	v_cmp_gt_u32_e64 s13, 12, v30
	s_lshl_b64 s[88:89], s[82:83], 6
	s_lshl_b64 s[90:91], s[82:83], 7
	s_or_b32 s15, s8, vcc_lo
	v_cmp_le_i32_e64 s8, s16, v26
	s_lshl_b64 s[78:79], s[78:79], 2
	s_lshl_b64 s[72:73], s[72:73], 2
	s_or_b32 s17, s8, vcc_lo
	v_cmp_le_i32_e64 s8, s16, v24
	s_or_b32 s18, s8, vcc_lo
	v_cmp_gt_i32_e32 vcc_lo, s16, v4
	s_add_co_i32 s8, s11, 1
	v_cmp_eq_u32_e64 s11, 0, v31
	v_cmp_gt_u32_e64 s16, 48, v30
	s_and_b32 s0, s7, vcc_lo
	v_cmp_gt_i32_e32 vcc_lo, s80, v18
	v_writelane_b32 v75, s0, 8
	v_cmp_gt_i32_e64 s0, s80, v8
	v_mul_u64_e32 v[18:19], s[82:83], v[26:27]
	v_or_b32_e32 v27, v24, v4
	s_and_b32 s1, s0, vcc_lo
	v_cmp_gt_i32_e32 vcc_lo, s80, v14
	v_writelane_b32 v75, s1, 9
	v_dual_mov_b32 v3, v7 :: v_dual_add_nc_u32 v14, 0x70, v3
	s_and_b32 s1, s0, vcc_lo
	v_cmp_gt_i32_e32 vcc_lo, s80, v15
	v_writelane_b32 v75, s1, 10
	s_and_b32 s1, s0, vcc_lo
	v_cmp_gt_i32_e32 vcc_lo, s80, v14
	v_writelane_b32 v75, s1, 11
	v_mul_u64_e32 v[14:15], s[82:83], v[2:3]
	v_lshl_add_u32 v3, v28, 8, v34
	s_and_b32 s1, s0, vcc_lo
	s_delay_alu instid0(SALU_CYCLE_1) | instskip(SKIP_1) | instid1(VALU_DEP_1)
	v_writelane_b32 v75, s1, 12
	v_cmp_le_u32_e64 s1, v2, v4
	v_writelane_b32 v75, s1, 13
	s_or_b32 s1, s14, s1
	v_cmp_gt_u32_e64 s14, 8, v30
	v_writelane_b32 v75, s1, 14
	v_cmp_le_u32_e64 s1, v28, v4
	s_delay_alu instid0(VALU_DEP_1) | instskip(SKIP_4) | instid1(VALU_DEP_1)
	v_writelane_b32 v75, s1, 15
	s_or_b32 s1, s15, s1
	v_cmp_gt_u32_e64 s15, 56, v30
	v_writelane_b32 v75, s1, 16
	v_cmp_le_u32_e64 s1, v26, v4
	v_writelane_b32 v75, s1, 17
	s_or_b32 s1, s17, s1
	v_cmp_gt_u32_e64 s17, 40, v30
	v_writelane_b32 v75, s1, 18
	v_cmp_le_u32_e64 s1, v24, v4
	s_delay_alu instid0(VALU_DEP_1) | instskip(SKIP_4) | instid1(VALU_DEP_1)
	v_writelane_b32 v75, s1, 19
	s_or_b32 s1, s18, s1
	v_cmp_gt_u32_e64 s18, 32, v30
	v_writelane_b32 v75, s1, 20
	v_cmp_gt_u32_e64 s1, 0xf0, v30
	v_writelane_b32 v75, s1, 21
	v_cmp_gt_u32_e64 s1, 0xe0, v30
	s_delay_alu instid0(VALU_DEP_1) | instskip(SKIP_1) | instid1(VALU_DEP_1)
	v_writelane_b32 v75, s1, 22
	v_cmp_gt_u32_e64 s1, 0xd0, v30
	v_writelane_b32 v75, s1, 23
	v_cmp_gt_u32_e64 s1, 0xc0, v30
	s_delay_alu instid0(VALU_DEP_1) | instskip(SKIP_1) | instid1(VALU_DEP_1)
	v_writelane_b32 v75, s1, 24
	v_cmp_gt_u32_e64 s1, 0xb0, v30
	v_writelane_b32 v75, s1, 25
	v_cmp_gt_u32_e64 s1, 0xa0, v30
	s_delay_alu instid0(VALU_DEP_1) | instskip(SKIP_1) | instid1(VALU_DEP_1)
	v_writelane_b32 v75, s1, 26
	v_cmp_gt_u32_e64 s1, 0x90, v30
	v_writelane_b32 v75, s1, 27
	v_cmp_gt_u32_e64 s1, 0x80, v30
	s_delay_alu instid0(VALU_DEP_1) | instskip(SKIP_1) | instid1(VALU_DEP_1)
	v_writelane_b32 v75, s1, 28
	v_cmp_gt_u32_e64 s1, 0x70, v30
	v_writelane_b32 v75, s1, 29
	v_cmp_gt_u32_e64 s1, 0x60, v30
	s_delay_alu instid0(VALU_DEP_1) | instskip(SKIP_1) | instid1(VALU_DEP_1)
	v_writelane_b32 v75, s1, 30
	v_cmp_gt_u32_e64 s1, 0x50, v30
	v_writelane_b32 v75, s1, 31
	v_cmp_gt_u32_e64 s1, 0x3e0, v30
	s_delay_alu instid0(VALU_DEP_1) | instskip(SKIP_1) | instid1(VALU_DEP_1)
	v_writelane_b32 v74, s1, 0
	v_cmp_gt_u32_e64 s1, 0x3c0, v30
	v_writelane_b32 v74, s1, 1
	v_cmp_gt_u32_e64 s1, 0x3a0, v30
	s_delay_alu instid0(VALU_DEP_1) | instskip(SKIP_1) | instid1(VALU_DEP_1)
	v_writelane_b32 v74, s1, 2
	v_cmp_gt_u32_e64 s1, 0x380, v30
	v_writelane_b32 v74, s1, 3
	v_cmp_gt_u32_e64 s1, 0x360, v30
	s_delay_alu instid0(VALU_DEP_1) | instskip(SKIP_1) | instid1(VALU_DEP_1)
	v_writelane_b32 v74, s1, 4
	v_cmp_gt_u32_e64 s1, 0x340, v30
	v_writelane_b32 v74, s1, 5
	v_cmp_gt_u32_e64 s1, 0x320, v30
	s_delay_alu instid0(VALU_DEP_1) | instskip(SKIP_1) | instid1(VALU_DEP_1)
	v_writelane_b32 v74, s1, 6
	v_cmp_gt_u32_e64 s1, 0x300, v30
	v_writelane_b32 v74, s1, 7
	v_cmp_gt_u32_e64 s1, 0x2e0, v30
	s_delay_alu instid0(VALU_DEP_1) | instskip(SKIP_1) | instid1(VALU_DEP_1)
	v_writelane_b32 v74, s1, 8
	v_cmp_gt_u32_e64 s1, 0x2c0, v30
	v_writelane_b32 v74, s1, 9
	v_cmp_gt_u32_e64 s1, 0x2a0, v30
	s_delay_alu instid0(VALU_DEP_1) | instskip(SKIP_1) | instid1(VALU_DEP_1)
	v_writelane_b32 v74, s1, 10
	v_cmp_gt_u32_e64 s1, 0x280, v30
	v_writelane_b32 v74, s1, 11
	v_cmp_gt_u32_e64 s1, 0x260, v30
	s_delay_alu instid0(VALU_DEP_1) | instskip(SKIP_1) | instid1(VALU_DEP_1)
	v_writelane_b32 v74, s1, 12
	v_cmp_gt_u32_e64 s1, 0x240, v30
	v_writelane_b32 v74, s1, 13
	v_cmp_gt_u32_e64 s1, 0x220, v30
	s_delay_alu instid0(VALU_DEP_1) | instskip(SKIP_1) | instid1(VALU_DEP_1)
	v_writelane_b32 v74, s1, 14
	v_cmp_gt_u32_e64 s1, 0x200, v30
	v_writelane_b32 v74, s1, 15
	v_cmp_gt_u32_e64 s1, 0x1e0, v30
	s_delay_alu instid0(VALU_DEP_1) | instskip(SKIP_1) | instid1(VALU_DEP_1)
	v_writelane_b32 v74, s1, 16
	v_cmp_gt_u32_e64 s1, 0x1c0, v30
	v_writelane_b32 v74, s1, 17
	v_cmp_gt_u32_e64 s1, 0x1a0, v30
	s_delay_alu instid0(VALU_DEP_1) | instskip(SKIP_1) | instid1(VALU_DEP_1)
	v_writelane_b32 v74, s1, 18
	v_cmp_gt_u32_e64 s1, 0x180, v30
	v_writelane_b32 v74, s1, 19
	v_cmp_gt_u32_e64 s1, 0x160, v30
	s_delay_alu instid0(VALU_DEP_1) | instskip(SKIP_1) | instid1(VALU_DEP_1)
	v_writelane_b32 v74, s1, 20
	v_cmp_gt_u32_e64 s1, 0x140, v30
	v_writelane_b32 v74, s1, 21
	v_cmp_gt_u32_e64 s1, 0x120, v30
	s_delay_alu instid0(VALU_DEP_1) | instskip(SKIP_1) | instid1(VALU_DEP_1)
	v_writelane_b32 v74, s1, 22
	v_cmp_le_u32_e64 s1, v4, v2
	v_writelane_b32 v74, s1, 23
	v_cmp_le_u32_e64 s1, v4, v28
	s_delay_alu instid0(VALU_DEP_1) | instskip(SKIP_1) | instid1(VALU_DEP_1)
	v_writelane_b32 v74, s1, 24
	v_cmp_le_u32_e64 s1, v4, v26
	v_writelane_b32 v74, s1, 25
	v_cmp_le_u32_e64 s1, v4, v24
	s_delay_alu instid0(VALU_DEP_1) | instskip(SKIP_1) | instid1(VALU_DEP_1)
	v_writelane_b32 v74, s1, 26
	v_cmp_gt_u32_e64 s1, 64, v31
	v_writelane_b32 v74, s1, 27
	v_cmp_gt_u32_e64 s1, 64, v68
	s_delay_alu instid0(VALU_DEP_1) | instskip(SKIP_1) | instid1(VALU_DEP_1)
	v_writelane_b32 v74, s1, 28
	v_cmp_gt_u32_e64 s1, 64, v29
	v_writelane_b32 v74, s1, 29
	v_cmp_gt_u32_e64 s1, 64, v27
	s_delay_alu instid0(VALU_DEP_1)
	v_writelane_b32 v74, s1, 30
	s_branch .LBB97_3
.LBB97_2:                               ;   in Loop: Header=BB97_3 Depth=1
	s_wait_xcnt 0x0
	s_or_b32 exec_lo, exec_lo, s1
	v_readlane_b32 s1, v77, 0
	s_add_co_i32 s66, s66, 0x10000
	global_wb scope:SCOPE_DEV
	s_wait_storecnt 0x0
	global_inv scope:SCOPE_DEV
	s_cmp_lt_u32 s66, s1
	s_cbranch_scc0 .LBB97_1163
.LBB97_3:                               ; =>This Loop Header: Depth=1
                                        ;     Child Loop BB97_1043 Depth 2
                                        ;       Child Loop BB97_1045 Depth 3
                                        ;     Child Loop BB97_1083 Depth 2
	v_mov_b32_e32 v26, s66
	v_readlane_b32 s1, v77, 1
	s_clause 0x1
	global_load_b64 v[24:25], v26, s[76:77] scale_offset
	global_load_b64 v[26:27], v26, s[70:71] scale_offset
	global_load_b32 v30, v7, s[68:69]
	s_and_not1_b32 vcc_lo, exec_lo, s1
	s_wait_loadcnt 0x2
	v_add_nc_u64_e32 v[24:25], s[78:79], v[24:25]
	s_cbranch_vccnz .LBB97_13
; %bb.4:                                ;   in Loop: Header=BB97_3 Depth=1
	s_delay_alu instid0(VALU_DEP_1) | instskip(SKIP_3) | instid1(VALU_DEP_2)
	v_lshl_add_u64 v[28:29], v[10:11], 2, v[24:25]
	v_dual_mov_b32 v65, 0 :: v_dual_mov_b32 v64, 0
	s_wait_loadcnt 0x0
	s_barrier_signal -1
	v_lshl_add_u64 v[28:29], v[8:9], 2, v[28:29]
	s_barrier_wait -1
	s_wait_xcnt 0x0
	s_mov_b32 s1, exec_lo
	v_readlane_b32 s20, v75, 9
	s_and_b32 s20, s1, s20
	s_delay_alu instid0(SALU_CYCLE_1)
	s_mov_b32 exec_lo, s20
	s_cbranch_execz .LBB97_6
; %bb.5:                                ;   in Loop: Header=BB97_3 Depth=1
	flat_load_b32 v64, v[28:29]
.LBB97_6:                               ;   in Loop: Header=BB97_3 Depth=1
	s_wait_xcnt 0x0
	s_or_b32 exec_lo, exec_lo, s1
	s_wait_loadcnt_dscnt 0x0
	s_barrier_signal -1
	s_barrier_wait -1
	s_mov_b32 s1, exec_lo
	v_readlane_b32 s20, v75, 10
	s_and_b32 s20, s1, s20
	s_delay_alu instid0(SALU_CYCLE_1)
	s_mov_b32 exec_lo, s20
	s_cbranch_execz .LBB97_8
; %bb.7:                                ;   in Loop: Header=BB97_3 Depth=1
	v_add_nc_u64_e32 v[66:67], s[88:89], v[28:29]
	flat_load_b32 v65, v[66:67]
.LBB97_8:                               ;   in Loop: Header=BB97_3 Depth=1
	s_wait_xcnt 0x0
	s_or_b32 exec_lo, exec_lo, s1
	v_dual_mov_b32 v67, 0 :: v_dual_mov_b32 v66, 0
	s_wait_loadcnt_dscnt 0x0
	s_barrier_signal -1
	s_barrier_wait -1
	s_mov_b32 s1, exec_lo
	v_readlane_b32 s20, v75, 11
	s_and_b32 s20, s1, s20
	s_delay_alu instid0(SALU_CYCLE_1)
	s_mov_b32 exec_lo, s20
	s_cbranch_execz .LBB97_10
; %bb.9:                                ;   in Loop: Header=BB97_3 Depth=1
	v_add_nc_u64_e32 v[68:69], s[90:91], v[28:29]
	flat_load_b32 v66, v[68:69]
.LBB97_10:                              ;   in Loop: Header=BB97_3 Depth=1
	s_wait_xcnt 0x0
	s_or_b32 exec_lo, exec_lo, s1
	s_wait_loadcnt_dscnt 0x0
	s_barrier_signal -1
	s_barrier_wait -1
	s_mov_b32 s1, exec_lo
	v_readlane_b32 s20, v75, 12
	s_and_b32 s20, s1, s20
	s_delay_alu instid0(SALU_CYCLE_1)
	s_mov_b32 exec_lo, s20
	s_cbranch_execz .LBB97_12
; %bb.11:                               ;   in Loop: Header=BB97_3 Depth=1
	v_add_nc_u64_e32 v[28:29], s[92:93], v[28:29]
	flat_load_b32 v67, v[28:29]
.LBB97_12:                              ;   in Loop: Header=BB97_3 Depth=1
	s_wait_xcnt 0x0
	s_or_b32 exec_lo, exec_lo, s1
.LBB97_13:                              ;   in Loop: Header=BB97_3 Depth=1
	s_delay_alu instid0(VALU_DEP_1) | instskip(SKIP_2) | instid1(VALU_DEP_1)
	v_add_nc_u64_e32 v[28:29], s[86:87], v[24:25]
	s_and_not1_b32 vcc_lo, exec_lo, s98
	s_mov_b32 s1, -1
	v_add_nc_u64_e32 v[28:29], v[28:29], v[22:23]
	s_cbranch_vccnz .LBB97_37
; %bb.14:                               ;   in Loop: Header=BB97_3 Depth=1
	s_mov_b32 s1, 0
	s_wait_xcnt 0x0
	s_mov_b32 s20, exec_lo
	v_readlane_b32 s22, v75, 13
	s_and_b32 s22, s20, s22
	s_delay_alu instid0(SALU_CYCLE_1)
	s_xor_b32 s20, s22, s20
	s_mov_b32 exec_lo, s22
	s_cbranch_execnz .LBB97_1105
; %bb.15:                               ;   in Loop: Header=BB97_3 Depth=1
	s_or_saveexec_b32 s20, s20
	v_mov_b32_e32 v31, 0
	s_xor_b32 exec_lo, exec_lo, s20
	s_cbranch_execnz .LBB97_1106
.LBB97_16:                              ;   in Loop: Header=BB97_3 Depth=1
	s_or_b32 exec_lo, exec_lo, s20
	s_and_saveexec_b32 s20, s1
.LBB97_17:                              ;   in Loop: Header=BB97_3 Depth=1
	ds_store_b32 v56, v31
.LBB97_18:                              ;   in Loop: Header=BB97_3 Depth=1
	s_or_b32 exec_lo, exec_lo, s20
	s_delay_alu instid0(SALU_CYCLE_1) | instskip(SKIP_2) | instid1(SALU_CYCLE_1)
	s_mov_b32 s1, exec_lo
	v_readlane_b32 s20, v75, 15
	s_and_b32 s20, s1, s20
	s_xor_b32 s1, s20, s1
	s_mov_b32 exec_lo, s20
	s_cbranch_execz .LBB97_22
; %bb.19:                               ;   in Loop: Header=BB97_3 Depth=1
	s_mov_b32 s20, exec_lo
	v_readlane_b32 s22, v74, 28
	s_and_b32 s22, s20, s22
	s_delay_alu instid0(SALU_CYCLE_1)
	s_mov_b32 exec_lo, s22
; %bb.20:                               ;   in Loop: Header=BB97_3 Depth=1
	ds_store_b32 v3, v7
; %bb.21:                               ;   in Loop: Header=BB97_3 Depth=1
	s_or_b32 exec_lo, exec_lo, s20
.LBB97_22:                              ;   in Loop: Header=BB97_3 Depth=1
	s_and_not1_saveexec_b32 s1, s1
	s_cbranch_execz .LBB97_24
; %bb.23:                               ;   in Loop: Header=BB97_3 Depth=1
	v_lshl_add_u64 v[68:69], v[16:17], 2, v[28:29]
	flat_load_b32 v31, v[68:69]
	s_wait_loadcnt_dscnt 0x0
	v_xor_b32_e32 v31, 0x80000000, v31
	ds_store_b32 v3, v31
.LBB97_24:                              ;   in Loop: Header=BB97_3 Depth=1
	s_or_b32 exec_lo, exec_lo, s1
	s_delay_alu instid0(SALU_CYCLE_1) | instskip(SKIP_2) | instid1(SALU_CYCLE_1)
	s_mov_b32 s1, exec_lo
	v_readlane_b32 s20, v75, 17
	s_and_b32 s20, s1, s20
	s_xor_b32 s1, s20, s1
	s_mov_b32 exec_lo, s20
	s_cbranch_execz .LBB97_28
; %bb.25:                               ;   in Loop: Header=BB97_3 Depth=1
	s_mov_b32 s20, exec_lo
	v_readlane_b32 s22, v74, 29
	s_and_b32 s22, s20, s22
	s_delay_alu instid0(SALU_CYCLE_1)
	s_mov_b32 exec_lo, s22
; %bb.26:                               ;   in Loop: Header=BB97_3 Depth=1
	ds_store_b32 v58, v7
; %bb.27:                               ;   in Loop: Header=BB97_3 Depth=1
	s_or_b32 exec_lo, exec_lo, s20
.LBB97_28:                              ;   in Loop: Header=BB97_3 Depth=1
	s_and_not1_saveexec_b32 s1, s1
	s_cbranch_execz .LBB97_30
; %bb.29:                               ;   in Loop: Header=BB97_3 Depth=1
	v_lshl_add_u64 v[68:69], v[18:19], 2, v[28:29]
	flat_load_b32 v31, v[68:69]
	s_wait_loadcnt_dscnt 0x0
	v_xor_b32_e32 v31, 0x80000000, v31
	ds_store_b32 v58, v31
.LBB97_30:                              ;   in Loop: Header=BB97_3 Depth=1
	;; [unrolled: 28-line block ×3, first 2 shown]
	s_or_b32 exec_lo, exec_lo, s1
	s_mov_b32 s1, 0
.LBB97_37:                              ;   in Loop: Header=BB97_3 Depth=1
	s_delay_alu instid0(SALU_CYCLE_1)
	s_and_b32 vcc_lo, exec_lo, s1
	s_cbranch_vccz .LBB97_61
; %bb.38:                               ;   in Loop: Header=BB97_3 Depth=1
	s_mov_b32 s1, 0
	s_wait_xcnt 0x0
	s_mov_b32 s20, exec_lo
	v_readlane_b32 s22, v75, 14
	s_and_b32 s22, s20, s22
	s_delay_alu instid0(SALU_CYCLE_1)
	s_xor_b32 s20, s22, s20
	s_mov_b32 exec_lo, s22
	s_cbranch_execnz .LBB97_1107
; %bb.39:                               ;   in Loop: Header=BB97_3 Depth=1
	s_or_saveexec_b32 s20, s20
	v_mov_b32_e32 v31, 0
	s_xor_b32 exec_lo, exec_lo, s20
	s_cbranch_execnz .LBB97_1108
.LBB97_40:                              ;   in Loop: Header=BB97_3 Depth=1
	s_or_b32 exec_lo, exec_lo, s20
	s_and_saveexec_b32 s20, s1
.LBB97_41:                              ;   in Loop: Header=BB97_3 Depth=1
	ds_store_b32 v56, v31
.LBB97_42:                              ;   in Loop: Header=BB97_3 Depth=1
	s_or_b32 exec_lo, exec_lo, s20
	s_delay_alu instid0(SALU_CYCLE_1) | instskip(SKIP_2) | instid1(SALU_CYCLE_1)
	s_mov_b32 s1, exec_lo
	v_readlane_b32 s20, v75, 16
	s_and_b32 s20, s1, s20
	s_xor_b32 s1, s20, s1
	s_mov_b32 exec_lo, s20
	s_cbranch_execz .LBB97_46
; %bb.43:                               ;   in Loop: Header=BB97_3 Depth=1
	s_mov_b32 s20, exec_lo
	v_readlane_b32 s22, v74, 28
	s_and_b32 s22, s20, s22
	s_delay_alu instid0(SALU_CYCLE_1)
	s_mov_b32 exec_lo, s22
; %bb.44:                               ;   in Loop: Header=BB97_3 Depth=1
	ds_store_b32 v3, v7
; %bb.45:                               ;   in Loop: Header=BB97_3 Depth=1
	s_or_b32 exec_lo, exec_lo, s20
.LBB97_46:                              ;   in Loop: Header=BB97_3 Depth=1
	s_and_not1_saveexec_b32 s1, s1
	s_cbranch_execz .LBB97_48
; %bb.47:                               ;   in Loop: Header=BB97_3 Depth=1
	v_lshl_add_u64 v[68:69], v[16:17], 2, v[28:29]
	flat_load_b32 v31, v[68:69]
	s_wait_loadcnt_dscnt 0x0
	v_xor_b32_e32 v31, 0x80000000, v31
	ds_store_b32 v3, v31
.LBB97_48:                              ;   in Loop: Header=BB97_3 Depth=1
	s_or_b32 exec_lo, exec_lo, s1
	s_delay_alu instid0(SALU_CYCLE_1) | instskip(SKIP_2) | instid1(SALU_CYCLE_1)
	s_mov_b32 s1, exec_lo
	v_readlane_b32 s20, v75, 18
	s_and_b32 s20, s1, s20
	s_xor_b32 s1, s20, s1
	s_mov_b32 exec_lo, s20
	s_cbranch_execz .LBB97_52
; %bb.49:                               ;   in Loop: Header=BB97_3 Depth=1
	s_mov_b32 s20, exec_lo
	v_readlane_b32 s22, v74, 29
	s_and_b32 s22, s20, s22
	s_delay_alu instid0(SALU_CYCLE_1)
	s_mov_b32 exec_lo, s22
; %bb.50:                               ;   in Loop: Header=BB97_3 Depth=1
	ds_store_b32 v58, v7
; %bb.51:                               ;   in Loop: Header=BB97_3 Depth=1
	s_or_b32 exec_lo, exec_lo, s20
.LBB97_52:                              ;   in Loop: Header=BB97_3 Depth=1
	s_and_not1_saveexec_b32 s1, s1
	s_cbranch_execz .LBB97_54
; %bb.53:                               ;   in Loop: Header=BB97_3 Depth=1
	v_lshl_add_u64 v[68:69], v[18:19], 2, v[28:29]
	flat_load_b32 v31, v[68:69]
	s_wait_loadcnt_dscnt 0x0
	v_xor_b32_e32 v31, 0x80000000, v31
	ds_store_b32 v58, v31
.LBB97_54:                              ;   in Loop: Header=BB97_3 Depth=1
	s_or_b32 exec_lo, exec_lo, s1
	s_delay_alu instid0(SALU_CYCLE_1) | instskip(SKIP_2) | instid1(SALU_CYCLE_1)
	s_mov_b32 s1, exec_lo
	v_readlane_b32 s20, v75, 20
	s_and_b32 s20, s1, s20
	s_xor_b32 s1, s20, s1
	s_mov_b32 exec_lo, s20
	s_cbranch_execz .LBB97_58
; %bb.55:                               ;   in Loop: Header=BB97_3 Depth=1
	s_mov_b32 s20, exec_lo
	v_readlane_b32 s22, v74, 30
	s_and_b32 s22, s20, s22
	s_delay_alu instid0(SALU_CYCLE_1)
	s_mov_b32 exec_lo, s22
; %bb.56:                               ;   in Loop: Header=BB97_3 Depth=1
	ds_store_b32 v59, v7
; %bb.57:                               ;   in Loop: Header=BB97_3 Depth=1
	s_or_b32 exec_lo, exec_lo, s20
                                        ; implicit-def: $vgpr28_vgpr29
.LBB97_58:                              ;   in Loop: Header=BB97_3 Depth=1
	s_and_not1_saveexec_b32 s1, s1
	s_cbranch_execz .LBB97_60
; %bb.59:                               ;   in Loop: Header=BB97_3 Depth=1
	v_lshl_add_u64 v[28:29], v[20:21], 2, v[28:29]
	flat_load_b32 v28, v[28:29]
	s_wait_loadcnt_dscnt 0x0
	v_xor_b32_e32 v28, 0x80000000, v28
	ds_store_b32 v59, v28
.LBB97_60:                              ;   in Loop: Header=BB97_3 Depth=1
	s_or_b32 exec_lo, exec_lo, s1
.LBB97_61:                              ;   in Loop: Header=BB97_3 Depth=1
	s_delay_alu instid0(SALU_CYCLE_1)
	s_and_not1_b32 vcc_lo, exec_lo, s100
	s_wait_loadcnt_dscnt 0x0
	s_barrier_signal -1
	s_barrier_wait -1
	s_cbranch_vccnz .LBB97_1037
; %bb.62:                               ;   in Loop: Header=BB97_3 Depth=1
	s_and_saveexec_b32 s1, s11
; %bb.63:                               ;   in Loop: Header=BB97_3 Depth=1
	ds_store_2addr_b32 v63, v62, v62 offset0:190 offset1:255
; %bb.64:                               ;   in Loop: Header=BB97_3 Depth=1
	s_or_b32 exec_lo, exec_lo, s1
	v_mov_b32_e32 v28, 0
	s_wait_dscnt 0x0
	s_barrier_signal -1
	s_barrier_wait -1
	global_wb scope:SCOPE_DEV
	s_wait_storecnt 0x0
	global_inv scope:SCOPE_DEV
	s_and_saveexec_b32 s1, s2
	s_cbranch_execz .LBB97_68
; %bb.65:                               ;   in Loop: Header=BB97_3 Depth=1
	ds_load_b32 v28, v33 offset:16112
	ds_load_b32 v29, v32 offset:16376
	s_wait_dscnt 0x0
	v_fma_f32 v28, v28, v29, 0
	s_and_saveexec_b32 s20, s12
	s_cbranch_execz .LBB97_67
; %bb.66:                               ;   in Loop: Header=BB97_3 Depth=1
	ds_load_b32 v29, v34 offset:16368
	ds_load_b32 v31, v7 offset:16380
	s_wait_dscnt 0x0
	v_fmac_f32_e32 v28, v29, v31
.LBB97_67:                              ;   in Loop: Header=BB97_3 Depth=1
	s_or_b32 exec_lo, exec_lo, s20
.LBB97_68:                              ;   in Loop: Header=BB97_3 Depth=1
	s_delay_alu instid0(SALU_CYCLE_1)
	s_or_b32 exec_lo, exec_lo, s1
	s_and_saveexec_b32 s1, s101
; %bb.69:                               ;   in Loop: Header=BB97_3 Depth=1
	s_delay_alu instid0(VALU_DEP_1)
	v_xor_b32_e32 v29, 0x80000000, v28
	ds_store_b32 v5, v29
; %bb.70:                               ;   in Loop: Header=BB97_3 Depth=1
	s_or_b32 exec_lo, exec_lo, s1
	s_wait_loadcnt_dscnt 0x0
	s_barrier_signal -1
	s_barrier_wait -1
	s_and_saveexec_b32 s1, s102
	s_cbranch_execz .LBB97_72
; %bb.71:                               ;   in Loop: Header=BB97_3 Depth=1
	ds_load_b32 v29, v7 offset:15856
	ds_load_b32 v31, v5
	s_wait_dscnt 0x0
	v_fma_f32 v28, -v29, v31, v28
.LBB97_72:                              ;   in Loop: Header=BB97_3 Depth=1
	s_or_b32 exec_lo, exec_lo, s1
	s_barrier_signal -1
	s_barrier_wait -1
	s_and_saveexec_b32 s1, s102
; %bb.73:                               ;   in Loop: Header=BB97_3 Depth=1
	v_xor_b32_e32 v29, 0x80000000, v28
	ds_store_b32 v5, v29
; %bb.74:                               ;   in Loop: Header=BB97_3 Depth=1
	s_or_b32 exec_lo, exec_lo, s1
	s_wait_dscnt 0x0
	s_barrier_signal -1
	s_barrier_wait -1
	s_barrier_signal -1
	s_barrier_wait -1
	s_and_saveexec_b32 s1, s2
; %bb.75:                               ;   in Loop: Header=BB97_3 Depth=1
	ds_store_b32 v36, v28 offset:16368
; %bb.76:                               ;   in Loop: Header=BB97_3 Depth=1
	s_or_b32 exec_lo, exec_lo, s1
	s_wait_dscnt 0x0
	s_barrier_signal -1
	s_barrier_wait -1
	s_barrier_signal -1
	s_barrier_wait -1
	s_and_saveexec_b32 s1, s11
; %bb.77:                               ;   in Loop: Header=BB97_3 Depth=1
	ds_store_2addr_b32 v63, v62, v62 offset0:60 offset1:125
; %bb.78:                               ;   in Loop: Header=BB97_3 Depth=1
	s_or_b32 exec_lo, exec_lo, s1
	v_mov_b32_e32 v28, 0
	s_wait_dscnt 0x0
	s_barrier_signal -1
	s_barrier_wait -1
	global_wb scope:SCOPE_DEV
	s_wait_storecnt 0x0
	global_inv scope:SCOPE_DEV
	s_and_saveexec_b32 s1, s3
	s_cbranch_execz .LBB97_84
; %bb.79:                               ;   in Loop: Header=BB97_3 Depth=1
	ds_load_b32 v28, v35 offset:15584
	ds_load_b32 v29, v38 offset:16368
	s_wait_dscnt 0x0
	v_fma_f32 v28, v28, v29, 0
	s_and_saveexec_b32 s20, s13
	s_cbranch_execnz .LBB97_1113
; %bb.80:                               ;   in Loop: Header=BB97_3 Depth=1
	s_or_b32 exec_lo, exec_lo, s20
	s_and_saveexec_b32 s20, s14
	s_cbranch_execnz .LBB97_1114
.LBB97_81:                              ;   in Loop: Header=BB97_3 Depth=1
	s_or_b32 exec_lo, exec_lo, s20
	s_and_saveexec_b32 s20, s2
	s_cbranch_execz .LBB97_83
.LBB97_82:                              ;   in Loop: Header=BB97_3 Depth=1
	ds_load_b32 v29, v34 offset:16352
	ds_load_b32 v31, v7 offset:16380
	s_wait_dscnt 0x0
	v_fmac_f32_e32 v28, v29, v31
.LBB97_83:                              ;   in Loop: Header=BB97_3 Depth=1
	s_or_b32 exec_lo, exec_lo, s20
.LBB97_84:                              ;   in Loop: Header=BB97_3 Depth=1
	s_delay_alu instid0(SALU_CYCLE_1)
	s_or_b32 exec_lo, exec_lo, s1
	s_and_saveexec_b32 s1, s103
; %bb.85:                               ;   in Loop: Header=BB97_3 Depth=1
	s_delay_alu instid0(VALU_DEP_1)
	v_xor_b32_e32 v29, 0x80000000, v28
	ds_store_b32 v37, v29
; %bb.86:                               ;   in Loop: Header=BB97_3 Depth=1
	s_or_b32 exec_lo, exec_lo, s1
	s_wait_loadcnt_dscnt 0x0
	s_barrier_signal -1
	s_barrier_wait -1
	s_and_saveexec_b32 s1, s104
	s_cbranch_execz .LBB97_88
; %bb.87:                               ;   in Loop: Header=BB97_3 Depth=1
	ds_load_b32 v29, v35 offset:15328
	ds_load_b32 v31, v37
	s_wait_dscnt 0x0
	v_fma_f32 v28, -v29, v31, v28
.LBB97_88:                              ;   in Loop: Header=BB97_3 Depth=1
	s_or_b32 exec_lo, exec_lo, s1
	s_barrier_signal -1
	s_barrier_wait -1
	s_and_saveexec_b32 s1, vcc_hi
; %bb.89:                               ;   in Loop: Header=BB97_3 Depth=1
	v_xor_b32_e32 v29, 0x80000000, v28
	ds_store_b32 v37, v29
; %bb.90:                               ;   in Loop: Header=BB97_3 Depth=1
	s_or_b32 exec_lo, exec_lo, s1
	s_wait_dscnt 0x0
	s_barrier_signal -1
	s_barrier_wait -1
	s_and_saveexec_b32 s1, s31
	s_cbranch_execz .LBB97_92
; %bb.91:                               ;   in Loop: Header=BB97_3 Depth=1
	ds_load_b32 v29, v35 offset:15072
	ds_load_b32 v31, v37
	s_wait_dscnt 0x0
	v_fma_f32 v28, -v29, v31, v28
.LBB97_92:                              ;   in Loop: Header=BB97_3 Depth=1
	s_or_b32 exec_lo, exec_lo, s1
	s_barrier_signal -1
	s_barrier_wait -1
	s_and_saveexec_b32 s1, s33
; %bb.93:                               ;   in Loop: Header=BB97_3 Depth=1
	v_xor_b32_e32 v29, 0x80000000, v28
	ds_store_b32 v37, v29
; %bb.94:                               ;   in Loop: Header=BB97_3 Depth=1
	s_or_b32 exec_lo, exec_lo, s1
	s_wait_dscnt 0x0
	s_barrier_signal -1
	s_barrier_wait -1
	s_and_saveexec_b32 s1, s34
	s_cbranch_execz .LBB97_96
; %bb.95:                               ;   in Loop: Header=BB97_3 Depth=1
	ds_load_b32 v29, v7 offset:14816
	ds_load_b32 v31, v37
	s_wait_dscnt 0x0
	v_fma_f32 v28, -v29, v31, v28
.LBB97_96:                              ;   in Loop: Header=BB97_3 Depth=1
	s_or_b32 exec_lo, exec_lo, s1
	s_barrier_signal -1
	s_barrier_wait -1
	s_and_saveexec_b32 s1, s34
; %bb.97:                               ;   in Loop: Header=BB97_3 Depth=1
	v_xor_b32_e32 v29, 0x80000000, v28
	ds_store_b32 v37, v29
; %bb.98:                               ;   in Loop: Header=BB97_3 Depth=1
	s_or_b32 exec_lo, exec_lo, s1
	s_wait_dscnt 0x0
	s_barrier_signal -1
	s_barrier_wait -1
	s_barrier_signal -1
	s_barrier_wait -1
	s_and_saveexec_b32 s1, s3
; %bb.99:                               ;   in Loop: Header=BB97_3 Depth=1
	ds_store_b32 v39, v28 offset:16352
; %bb.100:                              ;   in Loop: Header=BB97_3 Depth=1
	s_or_b32 exec_lo, exec_lo, s1
	s_wait_dscnt 0x0
	s_barrier_signal -1
	s_barrier_wait -1
	s_barrier_signal -1
	s_barrier_wait -1
	s_and_saveexec_b32 s1, s11
; %bb.101:                              ;   in Loop: Header=BB97_3 Depth=1
	v_add_nc_u32_e64 v28, 0x3800, 0
	ds_store_2addr_b32 v28, v62, v62 offset0:186 offset1:251
; %bb.102:                              ;   in Loop: Header=BB97_3 Depth=1
	s_or_b32 exec_lo, exec_lo, s1
	v_mov_b32_e32 v28, 0
	s_wait_dscnt 0x0
	s_barrier_signal -1
	s_barrier_wait -1
	global_wb scope:SCOPE_DEV
	s_wait_storecnt 0x0
	global_inv scope:SCOPE_DEV
	s_and_saveexec_b32 s1, s2
	s_cbranch_execz .LBB97_106
; %bb.103:                              ;   in Loop: Header=BB97_3 Depth=1
	ds_load_b32 v28, v33 offset:15072
	ds_load_b32 v29, v32 offset:15336
	s_wait_dscnt 0x0
	v_fma_f32 v28, v28, v29, 0
	s_and_saveexec_b32 s20, s12
	s_cbranch_execz .LBB97_105
; %bb.104:                              ;   in Loop: Header=BB97_3 Depth=1
	ds_load_b32 v29, v34 offset:15328
	ds_load_b32 v31, v7 offset:15340
	s_wait_dscnt 0x0
	v_fmac_f32_e32 v28, v29, v31
.LBB97_105:                             ;   in Loop: Header=BB97_3 Depth=1
	s_or_b32 exec_lo, exec_lo, s20
.LBB97_106:                             ;   in Loop: Header=BB97_3 Depth=1
	s_delay_alu instid0(SALU_CYCLE_1)
	s_or_b32 exec_lo, exec_lo, s1
	s_and_saveexec_b32 s1, s101
; %bb.107:                              ;   in Loop: Header=BB97_3 Depth=1
	s_delay_alu instid0(VALU_DEP_1)
	v_xor_b32_e32 v29, 0x80000000, v28
	ds_store_b32 v5, v29
; %bb.108:                              ;   in Loop: Header=BB97_3 Depth=1
	s_or_b32 exec_lo, exec_lo, s1
	s_wait_loadcnt_dscnt 0x0
	s_barrier_signal -1
	s_barrier_wait -1
	s_and_saveexec_b32 s1, s102
	s_cbranch_execz .LBB97_110
; %bb.109:                              ;   in Loop: Header=BB97_3 Depth=1
	ds_load_b32 v29, v7 offset:14816
	ds_load_b32 v31, v5
	s_wait_dscnt 0x0
	v_fma_f32 v28, -v29, v31, v28
.LBB97_110:                             ;   in Loop: Header=BB97_3 Depth=1
	s_or_b32 exec_lo, exec_lo, s1
	s_barrier_signal -1
	s_barrier_wait -1
	s_and_saveexec_b32 s1, s102
; %bb.111:                              ;   in Loop: Header=BB97_3 Depth=1
	v_xor_b32_e32 v29, 0x80000000, v28
	ds_store_b32 v5, v29
; %bb.112:                              ;   in Loop: Header=BB97_3 Depth=1
	s_or_b32 exec_lo, exec_lo, s1
	s_wait_dscnt 0x0
	s_barrier_signal -1
	s_barrier_wait -1
	s_barrier_signal -1
	s_barrier_wait -1
	s_and_saveexec_b32 s1, s2
; %bb.113:                              ;   in Loop: Header=BB97_3 Depth=1
	ds_store_b32 v36, v28 offset:15328
; %bb.114:                              ;   in Loop: Header=BB97_3 Depth=1
	s_or_b32 exec_lo, exec_lo, s1
	s_wait_dscnt 0x0
	s_barrier_signal -1
	s_barrier_wait -1
	s_barrier_signal -1
	s_barrier_wait -1
	s_and_saveexec_b32 s1, s11
; %bb.115:                              ;   in Loop: Header=BB97_3 Depth=1
	v_add_nc_u32_e64 v28, 0x3800, 0
	ds_store_2addr_b32 v28, v62, v62 offset0:56 offset1:121
; %bb.116:                              ;   in Loop: Header=BB97_3 Depth=1
	s_or_b32 exec_lo, exec_lo, s1
	v_mov_b32_e32 v28, 0
	s_wait_dscnt 0x0
	s_barrier_signal -1
	s_barrier_wait -1
	global_wb scope:SCOPE_DEV
	s_wait_storecnt 0x0
	global_inv scope:SCOPE_DEV
	s_and_saveexec_b32 s1, s4
	s_cbranch_execz .LBB97_126
; %bb.117:                              ;   in Loop: Header=BB97_3 Depth=1
	ds_load_b32 v28, v40 offset:14528
	ds_load_b32 v29, v42 offset:16352
	s_wait_dscnt 0x0
	v_fma_f32 v28, v28, v29, 0
	s_and_saveexec_b32 s20, s15
	s_cbranch_execnz .LBB97_1115
; %bb.118:                              ;   in Loop: Header=BB97_3 Depth=1
	s_or_b32 exec_lo, exec_lo, s20
	s_and_saveexec_b32 s20, s16
	s_cbranch_execnz .LBB97_1116
.LBB97_119:                             ;   in Loop: Header=BB97_3 Depth=1
	s_or_b32 exec_lo, exec_lo, s20
	s_and_saveexec_b32 s20, s17
	s_cbranch_execnz .LBB97_1117
.LBB97_120:                             ;   in Loop: Header=BB97_3 Depth=1
	s_or_b32 exec_lo, exec_lo, s20
	s_and_saveexec_b32 s20, s18
	s_cbranch_execnz .LBB97_1118
.LBB97_121:                             ;   in Loop: Header=BB97_3 Depth=1
	s_or_b32 exec_lo, exec_lo, s20
	s_and_saveexec_b32 s20, s19
	s_cbranch_execnz .LBB97_1119
.LBB97_122:                             ;   in Loop: Header=BB97_3 Depth=1
	s_or_b32 exec_lo, exec_lo, s20
	s_and_saveexec_b32 s20, s3
	s_cbranch_execnz .LBB97_1120
.LBB97_123:                             ;   in Loop: Header=BB97_3 Depth=1
	s_or_b32 exec_lo, exec_lo, s20
	s_and_saveexec_b32 s20, s14
	s_cbranch_execz .LBB97_125
.LBB97_124:                             ;   in Loop: Header=BB97_3 Depth=1
	ds_load_b32 v29, v34 offset:16320
	ds_load_b32 v31, v7 offset:16380
	s_wait_dscnt 0x0
	v_fmac_f32_e32 v28, v29, v31
.LBB97_125:                             ;   in Loop: Header=BB97_3 Depth=1
	s_or_b32 exec_lo, exec_lo, s20
.LBB97_126:                             ;   in Loop: Header=BB97_3 Depth=1
	s_delay_alu instid0(SALU_CYCLE_1)
	s_or_b32 exec_lo, exec_lo, s1
	s_and_saveexec_b32 s1, s35
; %bb.127:                              ;   in Loop: Header=BB97_3 Depth=1
	s_delay_alu instid0(VALU_DEP_1)
	v_xor_b32_e32 v29, 0x80000000, v28
	ds_store_b32 v41, v29
; %bb.128:                              ;   in Loop: Header=BB97_3 Depth=1
	s_or_b32 exec_lo, exec_lo, s1
	s_wait_loadcnt_dscnt 0x0
	s_barrier_signal -1
	s_barrier_wait -1
	s_and_saveexec_b32 s1, s36
	s_cbranch_execz .LBB97_130
; %bb.129:                              ;   in Loop: Header=BB97_3 Depth=1
	ds_load_b32 v29, v40 offset:14272
	ds_load_b32 v31, v41
	s_wait_dscnt 0x0
	v_fma_f32 v28, -v29, v31, v28
.LBB97_130:                             ;   in Loop: Header=BB97_3 Depth=1
	s_or_b32 exec_lo, exec_lo, s1
	s_barrier_signal -1
	s_barrier_wait -1
	s_and_saveexec_b32 s1, s37
; %bb.131:                              ;   in Loop: Header=BB97_3 Depth=1
	v_xor_b32_e32 v29, 0x80000000, v28
	ds_store_b32 v41, v29
; %bb.132:                              ;   in Loop: Header=BB97_3 Depth=1
	s_or_b32 exec_lo, exec_lo, s1
	s_wait_dscnt 0x0
	s_barrier_signal -1
	s_barrier_wait -1
	s_and_saveexec_b32 s1, s38
	s_cbranch_execz .LBB97_134
; %bb.133:                              ;   in Loop: Header=BB97_3 Depth=1
	ds_load_b32 v29, v40 offset:14016
	ds_load_b32 v31, v41
	s_wait_dscnt 0x0
	v_fma_f32 v28, -v29, v31, v28
.LBB97_134:                             ;   in Loop: Header=BB97_3 Depth=1
	s_or_b32 exec_lo, exec_lo, s1
	s_barrier_signal -1
	s_barrier_wait -1
	s_and_saveexec_b32 s1, s39
; %bb.135:                              ;   in Loop: Header=BB97_3 Depth=1
	v_xor_b32_e32 v29, 0x80000000, v28
	ds_store_b32 v41, v29
; %bb.136:                              ;   in Loop: Header=BB97_3 Depth=1
	s_or_b32 exec_lo, exec_lo, s1
	s_wait_dscnt 0x0
	s_barrier_signal -1
	s_barrier_wait -1
	s_and_saveexec_b32 s1, s40
	s_cbranch_execz .LBB97_138
; %bb.137:                              ;   in Loop: Header=BB97_3 Depth=1
	ds_load_b32 v29, v40 offset:13760
	ds_load_b32 v31, v41
	s_wait_dscnt 0x0
	v_fma_f32 v28, -v29, v31, v28
.LBB97_138:                             ;   in Loop: Header=BB97_3 Depth=1
	s_or_b32 exec_lo, exec_lo, s1
	s_barrier_signal -1
	s_barrier_wait -1
	s_and_saveexec_b32 s1, s41
; %bb.139:                              ;   in Loop: Header=BB97_3 Depth=1
	v_xor_b32_e32 v29, 0x80000000, v28
	ds_store_b32 v41, v29
; %bb.140:                              ;   in Loop: Header=BB97_3 Depth=1
	s_or_b32 exec_lo, exec_lo, s1
	s_wait_dscnt 0x0
	s_barrier_signal -1
	s_barrier_wait -1
	s_and_saveexec_b32 s1, s42
	s_cbranch_execz .LBB97_142
; %bb.141:                              ;   in Loop: Header=BB97_3 Depth=1
	ds_load_b32 v29, v40 offset:13504
	ds_load_b32 v31, v41
	s_wait_dscnt 0x0
	v_fma_f32 v28, -v29, v31, v28
.LBB97_142:                             ;   in Loop: Header=BB97_3 Depth=1
	s_or_b32 exec_lo, exec_lo, s1
	s_barrier_signal -1
	s_barrier_wait -1
	s_and_saveexec_b32 s1, s43
; %bb.143:                              ;   in Loop: Header=BB97_3 Depth=1
	v_xor_b32_e32 v29, 0x80000000, v28
	ds_store_b32 v41, v29
; %bb.144:                              ;   in Loop: Header=BB97_3 Depth=1
	s_or_b32 exec_lo, exec_lo, s1
	s_wait_dscnt 0x0
	s_barrier_signal -1
	s_barrier_wait -1
	s_and_saveexec_b32 s1, s44
	s_cbranch_execz .LBB97_146
; %bb.145:                              ;   in Loop: Header=BB97_3 Depth=1
	ds_load_b32 v29, v40 offset:13248
	ds_load_b32 v31, v41
	s_wait_dscnt 0x0
	v_fma_f32 v28, -v29, v31, v28
.LBB97_146:                             ;   in Loop: Header=BB97_3 Depth=1
	s_or_b32 exec_lo, exec_lo, s1
	s_barrier_signal -1
	s_barrier_wait -1
	s_and_saveexec_b32 s1, s45
; %bb.147:                              ;   in Loop: Header=BB97_3 Depth=1
	v_xor_b32_e32 v29, 0x80000000, v28
	ds_store_b32 v41, v29
; %bb.148:                              ;   in Loop: Header=BB97_3 Depth=1
	s_or_b32 exec_lo, exec_lo, s1
	s_wait_dscnt 0x0
	s_barrier_signal -1
	s_barrier_wait -1
	s_and_saveexec_b32 s1, s46
	s_cbranch_execz .LBB97_150
; %bb.149:                              ;   in Loop: Header=BB97_3 Depth=1
	ds_load_b32 v29, v40 offset:12992
	ds_load_b32 v31, v41
	s_wait_dscnt 0x0
	v_fma_f32 v28, -v29, v31, v28
.LBB97_150:                             ;   in Loop: Header=BB97_3 Depth=1
	s_or_b32 exec_lo, exec_lo, s1
	s_barrier_signal -1
	s_barrier_wait -1
	s_and_saveexec_b32 s1, s47
; %bb.151:                              ;   in Loop: Header=BB97_3 Depth=1
	v_xor_b32_e32 v29, 0x80000000, v28
	ds_store_b32 v41, v29
; %bb.152:                              ;   in Loop: Header=BB97_3 Depth=1
	s_or_b32 exec_lo, exec_lo, s1
	s_wait_dscnt 0x0
	s_barrier_signal -1
	s_barrier_wait -1
	s_and_saveexec_b32 s1, s48
	s_cbranch_execz .LBB97_154
; %bb.153:                              ;   in Loop: Header=BB97_3 Depth=1
	ds_load_b32 v29, v7 offset:12736
	ds_load_b32 v31, v41
	s_wait_dscnt 0x0
	v_fma_f32 v28, -v29, v31, v28
.LBB97_154:                             ;   in Loop: Header=BB97_3 Depth=1
	s_or_b32 exec_lo, exec_lo, s1
	s_barrier_signal -1
	s_barrier_wait -1
	s_and_saveexec_b32 s1, s48
; %bb.155:                              ;   in Loop: Header=BB97_3 Depth=1
	v_xor_b32_e32 v29, 0x80000000, v28
	ds_store_b32 v41, v29
; %bb.156:                              ;   in Loop: Header=BB97_3 Depth=1
	s_or_b32 exec_lo, exec_lo, s1
	s_wait_dscnt 0x0
	s_barrier_signal -1
	s_barrier_wait -1
	s_barrier_signal -1
	s_barrier_wait -1
	s_and_saveexec_b32 s1, s4
; %bb.157:                              ;   in Loop: Header=BB97_3 Depth=1
	ds_store_b32 v43, v28 offset:16320
; %bb.158:                              ;   in Loop: Header=BB97_3 Depth=1
	s_or_b32 exec_lo, exec_lo, s1
	s_wait_dscnt 0x0
	s_barrier_signal -1
	s_barrier_wait -1
	s_barrier_signal -1
	s_barrier_wait -1
	s_and_saveexec_b32 s1, s11
; %bb.159:                              ;   in Loop: Header=BB97_3 Depth=1
	v_add_nc_u32_e64 v28, 0x3400, 0
	ds_store_2addr_b32 v28, v62, v62 offset0:182 offset1:247
; %bb.160:                              ;   in Loop: Header=BB97_3 Depth=1
	s_or_b32 exec_lo, exec_lo, s1
	v_mov_b32_e32 v28, 0
	s_wait_dscnt 0x0
	s_barrier_signal -1
	s_barrier_wait -1
	global_wb scope:SCOPE_DEV
	s_wait_storecnt 0x0
	global_inv scope:SCOPE_DEV
	s_and_saveexec_b32 s1, s2
	s_cbranch_execz .LBB97_164
; %bb.161:                              ;   in Loop: Header=BB97_3 Depth=1
	ds_load_b32 v28, v33 offset:14032
	ds_load_b32 v29, v32 offset:14296
	s_wait_dscnt 0x0
	v_fma_f32 v28, v28, v29, 0
	s_and_saveexec_b32 s20, s12
	s_cbranch_execz .LBB97_163
; %bb.162:                              ;   in Loop: Header=BB97_3 Depth=1
	ds_load_b32 v29, v34 offset:14288
	ds_load_b32 v31, v7 offset:14300
	s_wait_dscnt 0x0
	v_fmac_f32_e32 v28, v29, v31
.LBB97_163:                             ;   in Loop: Header=BB97_3 Depth=1
	s_or_b32 exec_lo, exec_lo, s20
.LBB97_164:                             ;   in Loop: Header=BB97_3 Depth=1
	s_delay_alu instid0(SALU_CYCLE_1)
	s_or_b32 exec_lo, exec_lo, s1
	s_and_saveexec_b32 s1, s101
; %bb.165:                              ;   in Loop: Header=BB97_3 Depth=1
	s_delay_alu instid0(VALU_DEP_1)
	v_xor_b32_e32 v29, 0x80000000, v28
	ds_store_b32 v5, v29
; %bb.166:                              ;   in Loop: Header=BB97_3 Depth=1
	s_or_b32 exec_lo, exec_lo, s1
	s_wait_loadcnt_dscnt 0x0
	s_barrier_signal -1
	s_barrier_wait -1
	s_and_saveexec_b32 s1, s102
	s_cbranch_execz .LBB97_168
; %bb.167:                              ;   in Loop: Header=BB97_3 Depth=1
	ds_load_b32 v29, v7 offset:13776
	ds_load_b32 v31, v5
	s_wait_dscnt 0x0
	v_fma_f32 v28, -v29, v31, v28
.LBB97_168:                             ;   in Loop: Header=BB97_3 Depth=1
	s_or_b32 exec_lo, exec_lo, s1
	s_barrier_signal -1
	s_barrier_wait -1
	s_and_saveexec_b32 s1, s102
; %bb.169:                              ;   in Loop: Header=BB97_3 Depth=1
	v_xor_b32_e32 v29, 0x80000000, v28
	ds_store_b32 v5, v29
; %bb.170:                              ;   in Loop: Header=BB97_3 Depth=1
	s_or_b32 exec_lo, exec_lo, s1
	s_wait_dscnt 0x0
	s_barrier_signal -1
	s_barrier_wait -1
	s_barrier_signal -1
	s_barrier_wait -1
	s_and_saveexec_b32 s1, s2
; %bb.171:                              ;   in Loop: Header=BB97_3 Depth=1
	ds_store_b32 v36, v28 offset:14288
; %bb.172:                              ;   in Loop: Header=BB97_3 Depth=1
	s_or_b32 exec_lo, exec_lo, s1
	s_wait_dscnt 0x0
	s_barrier_signal -1
	s_barrier_wait -1
	s_barrier_signal -1
	s_barrier_wait -1
	s_and_saveexec_b32 s1, s11
; %bb.173:                              ;   in Loop: Header=BB97_3 Depth=1
	v_add_nc_u32_e64 v28, 0x3400, 0
	ds_store_2addr_b32 v28, v62, v62 offset0:52 offset1:117
; %bb.174:                              ;   in Loop: Header=BB97_3 Depth=1
	s_or_b32 exec_lo, exec_lo, s1
	v_mov_b32_e32 v28, 0
	s_wait_dscnt 0x0
	s_barrier_signal -1
	s_barrier_wait -1
	global_wb scope:SCOPE_DEV
	s_wait_storecnt 0x0
	global_inv scope:SCOPE_DEV
	s_and_saveexec_b32 s1, s3
	s_cbranch_execz .LBB97_180
; %bb.175:                              ;   in Loop: Header=BB97_3 Depth=1
	ds_load_b32 v28, v35 offset:13504
	ds_load_b32 v29, v38 offset:14288
	s_wait_dscnt 0x0
	v_fma_f32 v28, v28, v29, 0
	s_and_saveexec_b32 s20, s13
	s_cbranch_execnz .LBB97_1121
; %bb.176:                              ;   in Loop: Header=BB97_3 Depth=1
	s_or_b32 exec_lo, exec_lo, s20
	s_and_saveexec_b32 s20, s14
	s_cbranch_execnz .LBB97_1122
.LBB97_177:                             ;   in Loop: Header=BB97_3 Depth=1
	s_or_b32 exec_lo, exec_lo, s20
	s_and_saveexec_b32 s20, s2
	s_cbranch_execz .LBB97_179
.LBB97_178:                             ;   in Loop: Header=BB97_3 Depth=1
	ds_load_b32 v29, v34 offset:14272
	ds_load_b32 v31, v7 offset:14300
	s_wait_dscnt 0x0
	v_fmac_f32_e32 v28, v29, v31
.LBB97_179:                             ;   in Loop: Header=BB97_3 Depth=1
	s_or_b32 exec_lo, exec_lo, s20
.LBB97_180:                             ;   in Loop: Header=BB97_3 Depth=1
	s_delay_alu instid0(SALU_CYCLE_1)
	s_or_b32 exec_lo, exec_lo, s1
	s_and_saveexec_b32 s1, s103
; %bb.181:                              ;   in Loop: Header=BB97_3 Depth=1
	s_delay_alu instid0(VALU_DEP_1)
	v_xor_b32_e32 v29, 0x80000000, v28
	ds_store_b32 v37, v29
; %bb.182:                              ;   in Loop: Header=BB97_3 Depth=1
	s_or_b32 exec_lo, exec_lo, s1
	s_wait_loadcnt_dscnt 0x0
	s_barrier_signal -1
	s_barrier_wait -1
	s_and_saveexec_b32 s1, s104
	s_cbranch_execz .LBB97_184
; %bb.183:                              ;   in Loop: Header=BB97_3 Depth=1
	ds_load_b32 v29, v35 offset:13248
	ds_load_b32 v31, v37
	s_wait_dscnt 0x0
	v_fma_f32 v28, -v29, v31, v28
.LBB97_184:                             ;   in Loop: Header=BB97_3 Depth=1
	s_or_b32 exec_lo, exec_lo, s1
	s_barrier_signal -1
	s_barrier_wait -1
	s_and_saveexec_b32 s1, vcc_hi
; %bb.185:                              ;   in Loop: Header=BB97_3 Depth=1
	v_xor_b32_e32 v29, 0x80000000, v28
	ds_store_b32 v37, v29
; %bb.186:                              ;   in Loop: Header=BB97_3 Depth=1
	s_or_b32 exec_lo, exec_lo, s1
	s_wait_dscnt 0x0
	s_barrier_signal -1
	s_barrier_wait -1
	s_and_saveexec_b32 s1, s31
	s_cbranch_execz .LBB97_188
; %bb.187:                              ;   in Loop: Header=BB97_3 Depth=1
	ds_load_b32 v29, v35 offset:12992
	ds_load_b32 v31, v37
	s_wait_dscnt 0x0
	v_fma_f32 v28, -v29, v31, v28
.LBB97_188:                             ;   in Loop: Header=BB97_3 Depth=1
	s_or_b32 exec_lo, exec_lo, s1
	s_barrier_signal -1
	s_barrier_wait -1
	s_and_saveexec_b32 s1, s33
; %bb.189:                              ;   in Loop: Header=BB97_3 Depth=1
	v_xor_b32_e32 v29, 0x80000000, v28
	ds_store_b32 v37, v29
; %bb.190:                              ;   in Loop: Header=BB97_3 Depth=1
	s_or_b32 exec_lo, exec_lo, s1
	s_wait_dscnt 0x0
	s_barrier_signal -1
	s_barrier_wait -1
	s_and_saveexec_b32 s1, s34
	s_cbranch_execz .LBB97_192
; %bb.191:                              ;   in Loop: Header=BB97_3 Depth=1
	ds_load_b32 v29, v7 offset:12736
	ds_load_b32 v31, v37
	s_wait_dscnt 0x0
	v_fma_f32 v28, -v29, v31, v28
.LBB97_192:                             ;   in Loop: Header=BB97_3 Depth=1
	s_or_b32 exec_lo, exec_lo, s1
	s_barrier_signal -1
	s_barrier_wait -1
	s_and_saveexec_b32 s1, s34
; %bb.193:                              ;   in Loop: Header=BB97_3 Depth=1
	v_xor_b32_e32 v29, 0x80000000, v28
	ds_store_b32 v37, v29
; %bb.194:                              ;   in Loop: Header=BB97_3 Depth=1
	s_or_b32 exec_lo, exec_lo, s1
	s_wait_dscnt 0x0
	s_barrier_signal -1
	s_barrier_wait -1
	s_barrier_signal -1
	s_barrier_wait -1
	s_and_saveexec_b32 s1, s3
; %bb.195:                              ;   in Loop: Header=BB97_3 Depth=1
	ds_store_b32 v39, v28 offset:14272
; %bb.196:                              ;   in Loop: Header=BB97_3 Depth=1
	s_or_b32 exec_lo, exec_lo, s1
	s_wait_dscnt 0x0
	s_barrier_signal -1
	s_barrier_wait -1
	s_barrier_signal -1
	s_barrier_wait -1
	s_and_saveexec_b32 s1, s11
; %bb.197:                              ;   in Loop: Header=BB97_3 Depth=1
	v_add_nc_u32_e64 v28, 0x3000, 0
	ds_store_2addr_b32 v28, v62, v62 offset0:178 offset1:243
; %bb.198:                              ;   in Loop: Header=BB97_3 Depth=1
	s_or_b32 exec_lo, exec_lo, s1
	v_mov_b32_e32 v28, 0
	s_wait_dscnt 0x0
	s_barrier_signal -1
	s_barrier_wait -1
	global_wb scope:SCOPE_DEV
	s_wait_storecnt 0x0
	global_inv scope:SCOPE_DEV
	s_and_saveexec_b32 s1, s2
	s_cbranch_execz .LBB97_202
; %bb.199:                              ;   in Loop: Header=BB97_3 Depth=1
	ds_load_b32 v28, v33 offset:12992
	ds_load_b32 v29, v32 offset:13256
	s_wait_dscnt 0x0
	v_fma_f32 v28, v28, v29, 0
	s_and_saveexec_b32 s20, s12
	s_cbranch_execz .LBB97_201
; %bb.200:                              ;   in Loop: Header=BB97_3 Depth=1
	ds_load_b32 v29, v34 offset:13248
	ds_load_b32 v31, v7 offset:13260
	s_wait_dscnt 0x0
	v_fmac_f32_e32 v28, v29, v31
.LBB97_201:                             ;   in Loop: Header=BB97_3 Depth=1
	s_or_b32 exec_lo, exec_lo, s20
.LBB97_202:                             ;   in Loop: Header=BB97_3 Depth=1
	s_delay_alu instid0(SALU_CYCLE_1)
	s_or_b32 exec_lo, exec_lo, s1
	s_and_saveexec_b32 s1, s101
; %bb.203:                              ;   in Loop: Header=BB97_3 Depth=1
	s_delay_alu instid0(VALU_DEP_1)
	v_xor_b32_e32 v29, 0x80000000, v28
	ds_store_b32 v5, v29
; %bb.204:                              ;   in Loop: Header=BB97_3 Depth=1
	s_or_b32 exec_lo, exec_lo, s1
	s_wait_loadcnt_dscnt 0x0
	s_barrier_signal -1
	s_barrier_wait -1
	s_and_saveexec_b32 s1, s102
	s_cbranch_execz .LBB97_206
; %bb.205:                              ;   in Loop: Header=BB97_3 Depth=1
	ds_load_b32 v29, v7 offset:12736
	ds_load_b32 v31, v5
	s_wait_dscnt 0x0
	v_fma_f32 v28, -v29, v31, v28
.LBB97_206:                             ;   in Loop: Header=BB97_3 Depth=1
	s_or_b32 exec_lo, exec_lo, s1
	s_barrier_signal -1
	s_barrier_wait -1
	s_and_saveexec_b32 s1, s102
; %bb.207:                              ;   in Loop: Header=BB97_3 Depth=1
	v_xor_b32_e32 v29, 0x80000000, v28
	ds_store_b32 v5, v29
; %bb.208:                              ;   in Loop: Header=BB97_3 Depth=1
	s_or_b32 exec_lo, exec_lo, s1
	s_wait_dscnt 0x0
	s_barrier_signal -1
	s_barrier_wait -1
	s_barrier_signal -1
	s_barrier_wait -1
	s_and_saveexec_b32 s1, s2
; %bb.209:                              ;   in Loop: Header=BB97_3 Depth=1
	ds_store_b32 v36, v28 offset:13248
; %bb.210:                              ;   in Loop: Header=BB97_3 Depth=1
	s_or_b32 exec_lo, exec_lo, s1
	s_wait_dscnt 0x0
	s_barrier_signal -1
	s_barrier_wait -1
	s_barrier_signal -1
	s_barrier_wait -1
	s_and_saveexec_b32 s1, s11
; %bb.211:                              ;   in Loop: Header=BB97_3 Depth=1
	v_add_nc_u32_e64 v28, 0x3000, 0
	ds_store_2addr_b32 v28, v62, v62 offset0:48 offset1:113
; %bb.212:                              ;   in Loop: Header=BB97_3 Depth=1
	s_or_b32 exec_lo, exec_lo, s1
	v_mov_b32_e32 v28, 0
	s_wait_dscnt 0x0
	s_barrier_signal -1
	s_barrier_wait -1
	global_wb scope:SCOPE_DEV
	s_wait_storecnt 0x0
	global_inv scope:SCOPE_DEV
	s_and_saveexec_b32 s1, s5
	s_cbranch_execz .LBB97_240
; %bb.213:                              ;   in Loop: Header=BB97_3 Depth=1
	ds_load_b32 v28, v44 offset:12416
	ds_load_b32 v29, v47 offset:16320
	s_wait_dscnt 0x0
	v_fma_f32 v28, v28, v29, 0
	s_mov_b32 s20, exec_lo
	v_readlane_b32 s22, v75, 21
	s_and_b32 s22, s20, s22
	s_delay_alu instid0(SALU_CYCLE_1)
	s_mov_b32 exec_lo, s22
	s_cbranch_execz .LBB97_215
; %bb.214:                              ;   in Loop: Header=BB97_3 Depth=1
	ds_load_b32 v29, v44 offset:12672
	ds_load_b32 v31, v47 offset:16324
	s_wait_dscnt 0x0
	v_fmac_f32_e32 v28, v29, v31
.LBB97_215:                             ;   in Loop: Header=BB97_3 Depth=1
	s_or_b32 exec_lo, exec_lo, s20
	s_delay_alu instid0(SALU_CYCLE_1) | instskip(SKIP_2) | instid1(SALU_CYCLE_1)
	s_mov_b32 s20, exec_lo
	v_readlane_b32 s22, v75, 22
	s_and_b32 s22, s20, s22
	s_mov_b32 exec_lo, s22
	s_cbranch_execz .LBB97_217
; %bb.216:                              ;   in Loop: Header=BB97_3 Depth=1
	ds_load_b32 v29, v44 offset:12928
	ds_load_b32 v31, v47 offset:16328
	s_wait_dscnt 0x0
	v_fmac_f32_e32 v28, v29, v31
.LBB97_217:                             ;   in Loop: Header=BB97_3 Depth=1
	s_or_b32 exec_lo, exec_lo, s20
	s_delay_alu instid0(SALU_CYCLE_1) | instskip(SKIP_2) | instid1(SALU_CYCLE_1)
	s_mov_b32 s20, exec_lo
	v_readlane_b32 s22, v75, 23
	s_and_b32 s22, s20, s22
	;; [unrolled: 13-line block ×10, first 2 shown]
	s_mov_b32 exec_lo, s22
	s_cbranch_execnz .LBB97_1123
; %bb.234:                              ;   in Loop: Header=BB97_3 Depth=1
	s_or_b32 exec_lo, exec_lo, s20
	s_and_saveexec_b32 s20, s4
	s_cbranch_execnz .LBB97_1124
.LBB97_235:                             ;   in Loop: Header=BB97_3 Depth=1
	s_or_b32 exec_lo, exec_lo, s20
	s_and_saveexec_b32 s20, s16
	s_cbranch_execnz .LBB97_1125
.LBB97_236:                             ;   in Loop: Header=BB97_3 Depth=1
	s_or_b32 exec_lo, exec_lo, s20
	s_and_saveexec_b32 s20, s18
	s_cbranch_execnz .LBB97_1126
.LBB97_237:                             ;   in Loop: Header=BB97_3 Depth=1
	s_or_b32 exec_lo, exec_lo, s20
	s_and_saveexec_b32 s20, s3
	s_cbranch_execz .LBB97_239
.LBB97_238:                             ;   in Loop: Header=BB97_3 Depth=1
	ds_load_b32 v29, v34 offset:16256
	ds_load_b32 v31, v7 offset:16380
	s_wait_dscnt 0x0
	v_fmac_f32_e32 v28, v29, v31
.LBB97_239:                             ;   in Loop: Header=BB97_3 Depth=1
	s_or_b32 exec_lo, exec_lo, s20
.LBB97_240:                             ;   in Loop: Header=BB97_3 Depth=1
	s_delay_alu instid0(SALU_CYCLE_1) | instskip(NEXT) | instid1(SALU_CYCLE_1)
	s_or_b32 exec_lo, exec_lo, s1
	s_mov_b32 s1, exec_lo
	v_readlane_b32 s20, v77, 2
	s_and_b32 s20, s1, s20
	s_delay_alu instid0(SALU_CYCLE_1)
	s_mov_b32 exec_lo, s20
; %bb.241:                              ;   in Loop: Header=BB97_3 Depth=1
	v_xor_b32_e32 v29, 0x80000000, v28
	ds_store_b32 v45, v29
; %bb.242:                              ;   in Loop: Header=BB97_3 Depth=1
	s_or_b32 exec_lo, exec_lo, s1
	s_wait_loadcnt_dscnt 0x0
	s_barrier_signal -1
	s_barrier_wait -1
	s_mov_b32 s1, exec_lo
	v_readlane_b32 s20, v77, 3
	s_and_b32 s20, s1, s20
	s_delay_alu instid0(SALU_CYCLE_1)
	s_mov_b32 exec_lo, s20
	s_cbranch_execz .LBB97_244
; %bb.243:                              ;   in Loop: Header=BB97_3 Depth=1
	ds_load_b32 v29, v44 offset:12160
	ds_load_b32 v31, v45
	s_wait_dscnt 0x0
	v_fma_f32 v28, -v29, v31, v28
.LBB97_244:                             ;   in Loop: Header=BB97_3 Depth=1
	s_or_b32 exec_lo, exec_lo, s1
	s_barrier_signal -1
	s_barrier_wait -1
	s_mov_b32 s1, exec_lo
	v_readlane_b32 s20, v77, 4
	s_and_b32 s20, s1, s20
	s_delay_alu instid0(SALU_CYCLE_1)
	s_mov_b32 exec_lo, s20
; %bb.245:                              ;   in Loop: Header=BB97_3 Depth=1
	v_xor_b32_e32 v29, 0x80000000, v28
	ds_store_b32 v45, v29
; %bb.246:                              ;   in Loop: Header=BB97_3 Depth=1
	s_or_b32 exec_lo, exec_lo, s1
	s_wait_dscnt 0x0
	s_barrier_signal -1
	s_barrier_wait -1
	s_mov_b32 s1, exec_lo
	v_readlane_b32 s20, v77, 5
	s_and_b32 s20, s1, s20
	s_delay_alu instid0(SALU_CYCLE_1)
	s_mov_b32 exec_lo, s20
	s_cbranch_execz .LBB97_248
; %bb.247:                              ;   in Loop: Header=BB97_3 Depth=1
	ds_load_b32 v29, v44 offset:11904
	ds_load_b32 v31, v45
	s_wait_dscnt 0x0
	v_fma_f32 v28, -v29, v31, v28
.LBB97_248:                             ;   in Loop: Header=BB97_3 Depth=1
	s_or_b32 exec_lo, exec_lo, s1
	s_barrier_signal -1
	s_barrier_wait -1
	s_mov_b32 s1, exec_lo
	v_readlane_b32 s20, v77, 6
	s_and_b32 s20, s1, s20
	s_delay_alu instid0(SALU_CYCLE_1)
	s_mov_b32 exec_lo, s20
; %bb.249:                              ;   in Loop: Header=BB97_3 Depth=1
	v_xor_b32_e32 v29, 0x80000000, v28
	ds_store_b32 v45, v29
; %bb.250:                              ;   in Loop: Header=BB97_3 Depth=1
	s_or_b32 exec_lo, exec_lo, s1
	s_wait_dscnt 0x0
	;; [unrolled: 28-line block ×3, first 2 shown]
	s_barrier_signal -1
	s_barrier_wait -1
	s_mov_b32 s1, exec_lo
	v_readlane_b32 s20, v77, 9
	s_and_b32 s20, s1, s20
	s_delay_alu instid0(SALU_CYCLE_1)
	s_mov_b32 exec_lo, s20
	s_cbranch_execz .LBB97_256
; %bb.255:                              ;   in Loop: Header=BB97_3 Depth=1
	ds_load_b32 v29, v44 offset:11392
	ds_load_b32 v31, v45
	s_wait_dscnt 0x0
	v_fma_f32 v28, -v29, v31, v28
.LBB97_256:                             ;   in Loop: Header=BB97_3 Depth=1
	s_or_b32 exec_lo, exec_lo, s1
	s_barrier_signal -1
	s_barrier_wait -1
	s_and_saveexec_b32 s1, s24
; %bb.257:                              ;   in Loop: Header=BB97_3 Depth=1
	v_xor_b32_e32 v29, 0x80000000, v28
	ds_store_b32 v45, v29
; %bb.258:                              ;   in Loop: Header=BB97_3 Depth=1
	s_or_b32 exec_lo, exec_lo, s1
	s_wait_dscnt 0x0
	s_barrier_signal -1
	s_barrier_wait -1
	s_and_saveexec_b32 s1, s26
	s_cbranch_execz .LBB97_260
; %bb.259:                              ;   in Loop: Header=BB97_3 Depth=1
	ds_load_b32 v29, v44 offset:11136
	ds_load_b32 v31, v45
	s_wait_dscnt 0x0
	v_fma_f32 v28, -v29, v31, v28
.LBB97_260:                             ;   in Loop: Header=BB97_3 Depth=1
	s_or_b32 exec_lo, exec_lo, s1
	s_barrier_signal -1
	s_barrier_wait -1
	s_and_saveexec_b32 s1, s28
; %bb.261:                              ;   in Loop: Header=BB97_3 Depth=1
	v_xor_b32_e32 v29, 0x80000000, v28
	ds_store_b32 v45, v29
; %bb.262:                              ;   in Loop: Header=BB97_3 Depth=1
	s_or_b32 exec_lo, exec_lo, s1
	s_wait_dscnt 0x0
	s_barrier_signal -1
	s_barrier_wait -1
	s_and_saveexec_b32 s1, s30
	;; [unrolled: 20-line block ×11, first 2 shown]
	s_cbranch_execz .LBB97_300
; %bb.299:                              ;   in Loop: Header=BB97_3 Depth=1
	ds_load_b32 v29, v7 offset:8576
	ds_load_b32 v31, v45
	s_wait_dscnt 0x0
	v_fma_f32 v28, -v29, v31, v28
.LBB97_300:                             ;   in Loop: Header=BB97_3 Depth=1
	s_or_b32 exec_lo, exec_lo, s1
	s_barrier_signal -1
	s_barrier_wait -1
	s_and_saveexec_b32 s1, s51
; %bb.301:                              ;   in Loop: Header=BB97_3 Depth=1
	v_xor_b32_e32 v29, 0x80000000, v28
	ds_store_b32 v45, v29
; %bb.302:                              ;   in Loop: Header=BB97_3 Depth=1
	s_or_b32 exec_lo, exec_lo, s1
	s_wait_dscnt 0x0
	s_barrier_signal -1
	s_barrier_wait -1
	s_barrier_signal -1
	s_barrier_wait -1
	s_and_saveexec_b32 s1, s5
; %bb.303:                              ;   in Loop: Header=BB97_3 Depth=1
	ds_store_b32 v48, v28 offset:16256
; %bb.304:                              ;   in Loop: Header=BB97_3 Depth=1
	s_or_b32 exec_lo, exec_lo, s1
	s_wait_dscnt 0x0
	s_barrier_signal -1
	s_barrier_wait -1
	s_barrier_signal -1
	s_barrier_wait -1
	s_and_saveexec_b32 s1, s11
; %bb.305:                              ;   in Loop: Header=BB97_3 Depth=1
	v_add_nc_u32_e64 v28, 0x2c00, 0
	ds_store_2addr_b32 v28, v62, v62 offset0:174 offset1:239
; %bb.306:                              ;   in Loop: Header=BB97_3 Depth=1
	s_or_b32 exec_lo, exec_lo, s1
	v_mov_b32_e32 v28, 0
	s_wait_dscnt 0x0
	s_barrier_signal -1
	s_barrier_wait -1
	global_wb scope:SCOPE_DEV
	s_wait_storecnt 0x0
	global_inv scope:SCOPE_DEV
	s_and_saveexec_b32 s1, s2
	s_cbranch_execz .LBB97_310
; %bb.307:                              ;   in Loop: Header=BB97_3 Depth=1
	ds_load_b32 v28, v33 offset:11952
	ds_load_b32 v29, v32 offset:12216
	s_wait_dscnt 0x0
	v_fma_f32 v28, v28, v29, 0
	s_and_saveexec_b32 s20, s12
	s_cbranch_execz .LBB97_309
; %bb.308:                              ;   in Loop: Header=BB97_3 Depth=1
	ds_load_b32 v29, v34 offset:12208
	ds_load_b32 v31, v7 offset:12220
	s_wait_dscnt 0x0
	v_fmac_f32_e32 v28, v29, v31
.LBB97_309:                             ;   in Loop: Header=BB97_3 Depth=1
	s_or_b32 exec_lo, exec_lo, s20
.LBB97_310:                             ;   in Loop: Header=BB97_3 Depth=1
	s_delay_alu instid0(SALU_CYCLE_1)
	s_or_b32 exec_lo, exec_lo, s1
	s_and_saveexec_b32 s1, s101
; %bb.311:                              ;   in Loop: Header=BB97_3 Depth=1
	s_delay_alu instid0(VALU_DEP_1)
	v_xor_b32_e32 v29, 0x80000000, v28
	ds_store_b32 v5, v29
; %bb.312:                              ;   in Loop: Header=BB97_3 Depth=1
	s_or_b32 exec_lo, exec_lo, s1
	s_wait_loadcnt_dscnt 0x0
	s_barrier_signal -1
	s_barrier_wait -1
	s_and_saveexec_b32 s1, s102
	s_cbranch_execz .LBB97_314
; %bb.313:                              ;   in Loop: Header=BB97_3 Depth=1
	ds_load_b32 v29, v7 offset:11696
	ds_load_b32 v31, v5
	s_wait_dscnt 0x0
	v_fma_f32 v28, -v29, v31, v28
.LBB97_314:                             ;   in Loop: Header=BB97_3 Depth=1
	s_or_b32 exec_lo, exec_lo, s1
	s_barrier_signal -1
	s_barrier_wait -1
	s_and_saveexec_b32 s1, s102
; %bb.315:                              ;   in Loop: Header=BB97_3 Depth=1
	v_xor_b32_e32 v29, 0x80000000, v28
	ds_store_b32 v5, v29
; %bb.316:                              ;   in Loop: Header=BB97_3 Depth=1
	s_or_b32 exec_lo, exec_lo, s1
	s_wait_dscnt 0x0
	s_barrier_signal -1
	s_barrier_wait -1
	s_barrier_signal -1
	s_barrier_wait -1
	s_and_saveexec_b32 s1, s2
; %bb.317:                              ;   in Loop: Header=BB97_3 Depth=1
	ds_store_b32 v36, v28 offset:12208
; %bb.318:                              ;   in Loop: Header=BB97_3 Depth=1
	s_or_b32 exec_lo, exec_lo, s1
	s_wait_dscnt 0x0
	s_barrier_signal -1
	s_barrier_wait -1
	s_barrier_signal -1
	s_barrier_wait -1
	s_and_saveexec_b32 s1, s11
; %bb.319:                              ;   in Loop: Header=BB97_3 Depth=1
	v_add_nc_u32_e64 v28, 0x2c00, 0
	ds_store_2addr_b32 v28, v62, v62 offset0:44 offset1:109
; %bb.320:                              ;   in Loop: Header=BB97_3 Depth=1
	s_or_b32 exec_lo, exec_lo, s1
	v_mov_b32_e32 v28, 0
	s_wait_dscnt 0x0
	s_barrier_signal -1
	s_barrier_wait -1
	global_wb scope:SCOPE_DEV
	s_wait_storecnt 0x0
	global_inv scope:SCOPE_DEV
	s_and_saveexec_b32 s1, s3
	s_cbranch_execz .LBB97_326
; %bb.321:                              ;   in Loop: Header=BB97_3 Depth=1
	ds_load_b32 v28, v35 offset:11424
	ds_load_b32 v29, v38 offset:12208
	s_wait_dscnt 0x0
	v_fma_f32 v28, v28, v29, 0
	s_and_saveexec_b32 s20, s13
	s_cbranch_execnz .LBB97_1127
; %bb.322:                              ;   in Loop: Header=BB97_3 Depth=1
	s_or_b32 exec_lo, exec_lo, s20
	s_and_saveexec_b32 s20, s14
	s_cbranch_execnz .LBB97_1128
.LBB97_323:                             ;   in Loop: Header=BB97_3 Depth=1
	s_or_b32 exec_lo, exec_lo, s20
	s_and_saveexec_b32 s20, s2
	s_cbranch_execz .LBB97_325
.LBB97_324:                             ;   in Loop: Header=BB97_3 Depth=1
	ds_load_b32 v29, v34 offset:12192
	ds_load_b32 v31, v7 offset:12220
	s_wait_dscnt 0x0
	v_fmac_f32_e32 v28, v29, v31
.LBB97_325:                             ;   in Loop: Header=BB97_3 Depth=1
	s_or_b32 exec_lo, exec_lo, s20
.LBB97_326:                             ;   in Loop: Header=BB97_3 Depth=1
	s_delay_alu instid0(SALU_CYCLE_1)
	s_or_b32 exec_lo, exec_lo, s1
	s_and_saveexec_b32 s1, s103
; %bb.327:                              ;   in Loop: Header=BB97_3 Depth=1
	s_delay_alu instid0(VALU_DEP_1)
	v_xor_b32_e32 v29, 0x80000000, v28
	ds_store_b32 v37, v29
; %bb.328:                              ;   in Loop: Header=BB97_3 Depth=1
	s_or_b32 exec_lo, exec_lo, s1
	s_wait_loadcnt_dscnt 0x0
	s_barrier_signal -1
	s_barrier_wait -1
	s_and_saveexec_b32 s1, s104
	s_cbranch_execz .LBB97_330
; %bb.329:                              ;   in Loop: Header=BB97_3 Depth=1
	ds_load_b32 v29, v35 offset:11168
	ds_load_b32 v31, v37
	s_wait_dscnt 0x0
	v_fma_f32 v28, -v29, v31, v28
.LBB97_330:                             ;   in Loop: Header=BB97_3 Depth=1
	s_or_b32 exec_lo, exec_lo, s1
	s_barrier_signal -1
	s_barrier_wait -1
	s_and_saveexec_b32 s1, vcc_hi
; %bb.331:                              ;   in Loop: Header=BB97_3 Depth=1
	v_xor_b32_e32 v29, 0x80000000, v28
	ds_store_b32 v37, v29
; %bb.332:                              ;   in Loop: Header=BB97_3 Depth=1
	s_or_b32 exec_lo, exec_lo, s1
	s_wait_dscnt 0x0
	s_barrier_signal -1
	s_barrier_wait -1
	s_and_saveexec_b32 s1, s31
	s_cbranch_execz .LBB97_334
; %bb.333:                              ;   in Loop: Header=BB97_3 Depth=1
	ds_load_b32 v29, v35 offset:10912
	ds_load_b32 v31, v37
	s_wait_dscnt 0x0
	v_fma_f32 v28, -v29, v31, v28
.LBB97_334:                             ;   in Loop: Header=BB97_3 Depth=1
	s_or_b32 exec_lo, exec_lo, s1
	s_barrier_signal -1
	s_barrier_wait -1
	s_and_saveexec_b32 s1, s33
; %bb.335:                              ;   in Loop: Header=BB97_3 Depth=1
	v_xor_b32_e32 v29, 0x80000000, v28
	ds_store_b32 v37, v29
; %bb.336:                              ;   in Loop: Header=BB97_3 Depth=1
	s_or_b32 exec_lo, exec_lo, s1
	s_wait_dscnt 0x0
	s_barrier_signal -1
	s_barrier_wait -1
	s_and_saveexec_b32 s1, s34
	s_cbranch_execz .LBB97_338
; %bb.337:                              ;   in Loop: Header=BB97_3 Depth=1
	ds_load_b32 v29, v7 offset:10656
	ds_load_b32 v31, v37
	s_wait_dscnt 0x0
	v_fma_f32 v28, -v29, v31, v28
.LBB97_338:                             ;   in Loop: Header=BB97_3 Depth=1
	s_or_b32 exec_lo, exec_lo, s1
	s_barrier_signal -1
	s_barrier_wait -1
	s_and_saveexec_b32 s1, s34
; %bb.339:                              ;   in Loop: Header=BB97_3 Depth=1
	v_xor_b32_e32 v29, 0x80000000, v28
	ds_store_b32 v37, v29
; %bb.340:                              ;   in Loop: Header=BB97_3 Depth=1
	s_or_b32 exec_lo, exec_lo, s1
	s_wait_dscnt 0x0
	s_barrier_signal -1
	s_barrier_wait -1
	s_barrier_signal -1
	s_barrier_wait -1
	s_and_saveexec_b32 s1, s3
; %bb.341:                              ;   in Loop: Header=BB97_3 Depth=1
	ds_store_b32 v39, v28 offset:12192
; %bb.342:                              ;   in Loop: Header=BB97_3 Depth=1
	s_or_b32 exec_lo, exec_lo, s1
	s_wait_dscnt 0x0
	s_barrier_signal -1
	s_barrier_wait -1
	s_barrier_signal -1
	s_barrier_wait -1
	s_and_saveexec_b32 s1, s11
; %bb.343:                              ;   in Loop: Header=BB97_3 Depth=1
	v_add_nc_u32_e64 v28, 0x2800, 0
	ds_store_2addr_b32 v28, v62, v62 offset0:170 offset1:235
; %bb.344:                              ;   in Loop: Header=BB97_3 Depth=1
	s_or_b32 exec_lo, exec_lo, s1
	v_mov_b32_e32 v28, 0
	s_wait_dscnt 0x0
	s_barrier_signal -1
	s_barrier_wait -1
	global_wb scope:SCOPE_DEV
	s_wait_storecnt 0x0
	global_inv scope:SCOPE_DEV
	s_and_saveexec_b32 s1, s2
	s_cbranch_execz .LBB97_348
; %bb.345:                              ;   in Loop: Header=BB97_3 Depth=1
	ds_load_b32 v28, v33 offset:10912
	ds_load_b32 v29, v32 offset:11176
	s_wait_dscnt 0x0
	v_fma_f32 v28, v28, v29, 0
	s_and_saveexec_b32 s20, s12
	s_cbranch_execz .LBB97_347
; %bb.346:                              ;   in Loop: Header=BB97_3 Depth=1
	ds_load_b32 v29, v34 offset:11168
	ds_load_b32 v31, v7 offset:11180
	s_wait_dscnt 0x0
	v_fmac_f32_e32 v28, v29, v31
.LBB97_347:                             ;   in Loop: Header=BB97_3 Depth=1
	s_or_b32 exec_lo, exec_lo, s20
.LBB97_348:                             ;   in Loop: Header=BB97_3 Depth=1
	s_delay_alu instid0(SALU_CYCLE_1)
	s_or_b32 exec_lo, exec_lo, s1
	s_and_saveexec_b32 s1, s101
; %bb.349:                              ;   in Loop: Header=BB97_3 Depth=1
	s_delay_alu instid0(VALU_DEP_1)
	v_xor_b32_e32 v29, 0x80000000, v28
	ds_store_b32 v5, v29
; %bb.350:                              ;   in Loop: Header=BB97_3 Depth=1
	s_or_b32 exec_lo, exec_lo, s1
	s_wait_loadcnt_dscnt 0x0
	s_barrier_signal -1
	s_barrier_wait -1
	s_and_saveexec_b32 s1, s102
	s_cbranch_execz .LBB97_352
; %bb.351:                              ;   in Loop: Header=BB97_3 Depth=1
	ds_load_b32 v29, v7 offset:10656
	ds_load_b32 v31, v5
	s_wait_dscnt 0x0
	v_fma_f32 v28, -v29, v31, v28
.LBB97_352:                             ;   in Loop: Header=BB97_3 Depth=1
	s_or_b32 exec_lo, exec_lo, s1
	s_barrier_signal -1
	s_barrier_wait -1
	s_and_saveexec_b32 s1, s102
; %bb.353:                              ;   in Loop: Header=BB97_3 Depth=1
	v_xor_b32_e32 v29, 0x80000000, v28
	ds_store_b32 v5, v29
; %bb.354:                              ;   in Loop: Header=BB97_3 Depth=1
	s_or_b32 exec_lo, exec_lo, s1
	s_wait_dscnt 0x0
	s_barrier_signal -1
	s_barrier_wait -1
	s_barrier_signal -1
	s_barrier_wait -1
	s_and_saveexec_b32 s1, s2
; %bb.355:                              ;   in Loop: Header=BB97_3 Depth=1
	ds_store_b32 v36, v28 offset:11168
; %bb.356:                              ;   in Loop: Header=BB97_3 Depth=1
	s_or_b32 exec_lo, exec_lo, s1
	s_wait_dscnt 0x0
	s_barrier_signal -1
	s_barrier_wait -1
	s_barrier_signal -1
	s_barrier_wait -1
	s_and_saveexec_b32 s1, s11
; %bb.357:                              ;   in Loop: Header=BB97_3 Depth=1
	v_add_nc_u32_e64 v28, 0x2800, 0
	ds_store_2addr_b32 v28, v62, v62 offset0:40 offset1:105
; %bb.358:                              ;   in Loop: Header=BB97_3 Depth=1
	s_or_b32 exec_lo, exec_lo, s1
	v_mov_b32_e32 v28, 0
	s_wait_dscnt 0x0
	s_barrier_signal -1
	s_barrier_wait -1
	global_wb scope:SCOPE_DEV
	s_wait_storecnt 0x0
	global_inv scope:SCOPE_DEV
	s_and_saveexec_b32 s1, s4
	s_cbranch_execz .LBB97_368
; %bb.359:                              ;   in Loop: Header=BB97_3 Depth=1
	ds_load_b32 v28, v40 offset:10368
	ds_load_b32 v29, v42 offset:12192
	s_wait_dscnt 0x0
	v_fma_f32 v28, v28, v29, 0
	s_and_saveexec_b32 s20, s15
	s_cbranch_execnz .LBB97_1129
; %bb.360:                              ;   in Loop: Header=BB97_3 Depth=1
	s_or_b32 exec_lo, exec_lo, s20
	s_and_saveexec_b32 s20, s16
	s_cbranch_execnz .LBB97_1130
.LBB97_361:                             ;   in Loop: Header=BB97_3 Depth=1
	s_or_b32 exec_lo, exec_lo, s20
	s_and_saveexec_b32 s20, s17
	s_cbranch_execnz .LBB97_1131
.LBB97_362:                             ;   in Loop: Header=BB97_3 Depth=1
	s_or_b32 exec_lo, exec_lo, s20
	s_and_saveexec_b32 s20, s18
	s_cbranch_execnz .LBB97_1132
.LBB97_363:                             ;   in Loop: Header=BB97_3 Depth=1
	s_or_b32 exec_lo, exec_lo, s20
	s_and_saveexec_b32 s20, s19
	s_cbranch_execnz .LBB97_1133
.LBB97_364:                             ;   in Loop: Header=BB97_3 Depth=1
	s_or_b32 exec_lo, exec_lo, s20
	s_and_saveexec_b32 s20, s3
	s_cbranch_execnz .LBB97_1134
.LBB97_365:                             ;   in Loop: Header=BB97_3 Depth=1
	s_or_b32 exec_lo, exec_lo, s20
	s_and_saveexec_b32 s20, s14
	s_cbranch_execz .LBB97_367
.LBB97_366:                             ;   in Loop: Header=BB97_3 Depth=1
	ds_load_b32 v29, v34 offset:12160
	ds_load_b32 v31, v7 offset:12220
	s_wait_dscnt 0x0
	v_fmac_f32_e32 v28, v29, v31
.LBB97_367:                             ;   in Loop: Header=BB97_3 Depth=1
	s_or_b32 exec_lo, exec_lo, s20
.LBB97_368:                             ;   in Loop: Header=BB97_3 Depth=1
	s_delay_alu instid0(SALU_CYCLE_1)
	s_or_b32 exec_lo, exec_lo, s1
	s_and_saveexec_b32 s1, s35
; %bb.369:                              ;   in Loop: Header=BB97_3 Depth=1
	s_delay_alu instid0(VALU_DEP_1)
	v_xor_b32_e32 v29, 0x80000000, v28
	ds_store_b32 v41, v29
; %bb.370:                              ;   in Loop: Header=BB97_3 Depth=1
	s_or_b32 exec_lo, exec_lo, s1
	s_wait_loadcnt_dscnt 0x0
	s_barrier_signal -1
	s_barrier_wait -1
	s_and_saveexec_b32 s1, s36
	s_cbranch_execz .LBB97_372
; %bb.371:                              ;   in Loop: Header=BB97_3 Depth=1
	ds_load_b32 v29, v40 offset:10112
	ds_load_b32 v31, v41
	s_wait_dscnt 0x0
	v_fma_f32 v28, -v29, v31, v28
.LBB97_372:                             ;   in Loop: Header=BB97_3 Depth=1
	s_or_b32 exec_lo, exec_lo, s1
	s_barrier_signal -1
	s_barrier_wait -1
	s_and_saveexec_b32 s1, s37
; %bb.373:                              ;   in Loop: Header=BB97_3 Depth=1
	v_xor_b32_e32 v29, 0x80000000, v28
	ds_store_b32 v41, v29
; %bb.374:                              ;   in Loop: Header=BB97_3 Depth=1
	s_or_b32 exec_lo, exec_lo, s1
	s_wait_dscnt 0x0
	s_barrier_signal -1
	s_barrier_wait -1
	s_and_saveexec_b32 s1, s38
	s_cbranch_execz .LBB97_376
; %bb.375:                              ;   in Loop: Header=BB97_3 Depth=1
	ds_load_b32 v29, v40 offset:9856
	ds_load_b32 v31, v41
	s_wait_dscnt 0x0
	v_fma_f32 v28, -v29, v31, v28
.LBB97_376:                             ;   in Loop: Header=BB97_3 Depth=1
	s_or_b32 exec_lo, exec_lo, s1
	s_barrier_signal -1
	s_barrier_wait -1
	s_and_saveexec_b32 s1, s39
; %bb.377:                              ;   in Loop: Header=BB97_3 Depth=1
	v_xor_b32_e32 v29, 0x80000000, v28
	ds_store_b32 v41, v29
; %bb.378:                              ;   in Loop: Header=BB97_3 Depth=1
	s_or_b32 exec_lo, exec_lo, s1
	s_wait_dscnt 0x0
	;; [unrolled: 20-line block ×7, first 2 shown]
	s_barrier_signal -1
	s_barrier_wait -1
	s_barrier_signal -1
	s_barrier_wait -1
	s_and_saveexec_b32 s1, s4
; %bb.399:                              ;   in Loop: Header=BB97_3 Depth=1
	ds_store_b32 v43, v28 offset:12160
; %bb.400:                              ;   in Loop: Header=BB97_3 Depth=1
	s_or_b32 exec_lo, exec_lo, s1
	s_wait_dscnt 0x0
	s_barrier_signal -1
	s_barrier_wait -1
	s_barrier_signal -1
	s_barrier_wait -1
	s_and_saveexec_b32 s1, s11
; %bb.401:                              ;   in Loop: Header=BB97_3 Depth=1
	v_add_nc_u32_e64 v28, 0x2400, 0
	ds_store_2addr_b32 v28, v62, v62 offset0:166 offset1:231
; %bb.402:                              ;   in Loop: Header=BB97_3 Depth=1
	s_or_b32 exec_lo, exec_lo, s1
	v_mov_b32_e32 v28, 0
	s_wait_dscnt 0x0
	s_barrier_signal -1
	s_barrier_wait -1
	global_wb scope:SCOPE_DEV
	s_wait_storecnt 0x0
	global_inv scope:SCOPE_DEV
	s_and_saveexec_b32 s1, s2
	s_cbranch_execz .LBB97_406
; %bb.403:                              ;   in Loop: Header=BB97_3 Depth=1
	ds_load_b32 v28, v33 offset:9872
	ds_load_b32 v29, v32 offset:10136
	s_wait_dscnt 0x0
	v_fma_f32 v28, v28, v29, 0
	s_and_saveexec_b32 s20, s12
	s_cbranch_execz .LBB97_405
; %bb.404:                              ;   in Loop: Header=BB97_3 Depth=1
	ds_load_b32 v29, v34 offset:10128
	ds_load_b32 v31, v7 offset:10140
	s_wait_dscnt 0x0
	v_fmac_f32_e32 v28, v29, v31
.LBB97_405:                             ;   in Loop: Header=BB97_3 Depth=1
	s_or_b32 exec_lo, exec_lo, s20
.LBB97_406:                             ;   in Loop: Header=BB97_3 Depth=1
	s_delay_alu instid0(SALU_CYCLE_1)
	s_or_b32 exec_lo, exec_lo, s1
	s_and_saveexec_b32 s1, s101
; %bb.407:                              ;   in Loop: Header=BB97_3 Depth=1
	s_delay_alu instid0(VALU_DEP_1)
	v_xor_b32_e32 v29, 0x80000000, v28
	ds_store_b32 v5, v29
; %bb.408:                              ;   in Loop: Header=BB97_3 Depth=1
	s_or_b32 exec_lo, exec_lo, s1
	s_wait_loadcnt_dscnt 0x0
	s_barrier_signal -1
	s_barrier_wait -1
	s_and_saveexec_b32 s1, s102
	s_cbranch_execz .LBB97_410
; %bb.409:                              ;   in Loop: Header=BB97_3 Depth=1
	ds_load_b32 v29, v7 offset:9616
	ds_load_b32 v31, v5
	s_wait_dscnt 0x0
	v_fma_f32 v28, -v29, v31, v28
.LBB97_410:                             ;   in Loop: Header=BB97_3 Depth=1
	s_or_b32 exec_lo, exec_lo, s1
	s_barrier_signal -1
	s_barrier_wait -1
	s_and_saveexec_b32 s1, s102
; %bb.411:                              ;   in Loop: Header=BB97_3 Depth=1
	v_xor_b32_e32 v29, 0x80000000, v28
	ds_store_b32 v5, v29
; %bb.412:                              ;   in Loop: Header=BB97_3 Depth=1
	s_or_b32 exec_lo, exec_lo, s1
	s_wait_dscnt 0x0
	s_barrier_signal -1
	s_barrier_wait -1
	s_barrier_signal -1
	s_barrier_wait -1
	s_and_saveexec_b32 s1, s2
; %bb.413:                              ;   in Loop: Header=BB97_3 Depth=1
	ds_store_b32 v36, v28 offset:10128
; %bb.414:                              ;   in Loop: Header=BB97_3 Depth=1
	s_or_b32 exec_lo, exec_lo, s1
	s_wait_dscnt 0x0
	s_barrier_signal -1
	s_barrier_wait -1
	s_barrier_signal -1
	s_barrier_wait -1
	s_and_saveexec_b32 s1, s11
; %bb.415:                              ;   in Loop: Header=BB97_3 Depth=1
	v_add_nc_u32_e64 v28, 0x2400, 0
	ds_store_2addr_b32 v28, v62, v62 offset0:36 offset1:101
; %bb.416:                              ;   in Loop: Header=BB97_3 Depth=1
	s_or_b32 exec_lo, exec_lo, s1
	v_mov_b32_e32 v28, 0
	s_wait_dscnt 0x0
	s_barrier_signal -1
	s_barrier_wait -1
	global_wb scope:SCOPE_DEV
	s_wait_storecnt 0x0
	global_inv scope:SCOPE_DEV
	s_and_saveexec_b32 s1, s3
	s_cbranch_execz .LBB97_422
; %bb.417:                              ;   in Loop: Header=BB97_3 Depth=1
	ds_load_b32 v28, v35 offset:9344
	ds_load_b32 v29, v38 offset:10128
	s_wait_dscnt 0x0
	v_fma_f32 v28, v28, v29, 0
	s_and_saveexec_b32 s20, s13
	s_cbranch_execnz .LBB97_1135
; %bb.418:                              ;   in Loop: Header=BB97_3 Depth=1
	s_or_b32 exec_lo, exec_lo, s20
	s_and_saveexec_b32 s20, s14
	s_cbranch_execnz .LBB97_1136
.LBB97_419:                             ;   in Loop: Header=BB97_3 Depth=1
	s_or_b32 exec_lo, exec_lo, s20
	s_and_saveexec_b32 s20, s2
	s_cbranch_execz .LBB97_421
.LBB97_420:                             ;   in Loop: Header=BB97_3 Depth=1
	ds_load_b32 v29, v34 offset:10112
	ds_load_b32 v31, v7 offset:10140
	s_wait_dscnt 0x0
	v_fmac_f32_e32 v28, v29, v31
.LBB97_421:                             ;   in Loop: Header=BB97_3 Depth=1
	s_or_b32 exec_lo, exec_lo, s20
.LBB97_422:                             ;   in Loop: Header=BB97_3 Depth=1
	s_delay_alu instid0(SALU_CYCLE_1)
	s_or_b32 exec_lo, exec_lo, s1
	s_and_saveexec_b32 s1, s103
; %bb.423:                              ;   in Loop: Header=BB97_3 Depth=1
	s_delay_alu instid0(VALU_DEP_1)
	v_xor_b32_e32 v29, 0x80000000, v28
	ds_store_b32 v37, v29
; %bb.424:                              ;   in Loop: Header=BB97_3 Depth=1
	s_or_b32 exec_lo, exec_lo, s1
	s_wait_loadcnt_dscnt 0x0
	s_barrier_signal -1
	s_barrier_wait -1
	s_and_saveexec_b32 s1, s104
	s_cbranch_execz .LBB97_426
; %bb.425:                              ;   in Loop: Header=BB97_3 Depth=1
	ds_load_b32 v29, v35 offset:9088
	ds_load_b32 v31, v37
	s_wait_dscnt 0x0
	v_fma_f32 v28, -v29, v31, v28
.LBB97_426:                             ;   in Loop: Header=BB97_3 Depth=1
	s_or_b32 exec_lo, exec_lo, s1
	s_barrier_signal -1
	s_barrier_wait -1
	s_and_saveexec_b32 s1, vcc_hi
; %bb.427:                              ;   in Loop: Header=BB97_3 Depth=1
	v_xor_b32_e32 v29, 0x80000000, v28
	ds_store_b32 v37, v29
; %bb.428:                              ;   in Loop: Header=BB97_3 Depth=1
	s_or_b32 exec_lo, exec_lo, s1
	s_wait_dscnt 0x0
	s_barrier_signal -1
	s_barrier_wait -1
	s_and_saveexec_b32 s1, s31
	s_cbranch_execz .LBB97_430
; %bb.429:                              ;   in Loop: Header=BB97_3 Depth=1
	ds_load_b32 v29, v35 offset:8832
	ds_load_b32 v31, v37
	s_wait_dscnt 0x0
	v_fma_f32 v28, -v29, v31, v28
.LBB97_430:                             ;   in Loop: Header=BB97_3 Depth=1
	s_or_b32 exec_lo, exec_lo, s1
	s_barrier_signal -1
	s_barrier_wait -1
	s_and_saveexec_b32 s1, s33
; %bb.431:                              ;   in Loop: Header=BB97_3 Depth=1
	v_xor_b32_e32 v29, 0x80000000, v28
	ds_store_b32 v37, v29
; %bb.432:                              ;   in Loop: Header=BB97_3 Depth=1
	s_or_b32 exec_lo, exec_lo, s1
	s_wait_dscnt 0x0
	s_barrier_signal -1
	s_barrier_wait -1
	s_and_saveexec_b32 s1, s34
	s_cbranch_execz .LBB97_434
; %bb.433:                              ;   in Loop: Header=BB97_3 Depth=1
	ds_load_b32 v29, v7 offset:8576
	ds_load_b32 v31, v37
	s_wait_dscnt 0x0
	v_fma_f32 v28, -v29, v31, v28
.LBB97_434:                             ;   in Loop: Header=BB97_3 Depth=1
	s_or_b32 exec_lo, exec_lo, s1
	s_barrier_signal -1
	s_barrier_wait -1
	s_and_saveexec_b32 s1, s34
; %bb.435:                              ;   in Loop: Header=BB97_3 Depth=1
	v_xor_b32_e32 v29, 0x80000000, v28
	ds_store_b32 v37, v29
; %bb.436:                              ;   in Loop: Header=BB97_3 Depth=1
	s_or_b32 exec_lo, exec_lo, s1
	s_wait_dscnt 0x0
	s_barrier_signal -1
	s_barrier_wait -1
	s_barrier_signal -1
	s_barrier_wait -1
	s_and_saveexec_b32 s1, s3
; %bb.437:                              ;   in Loop: Header=BB97_3 Depth=1
	ds_store_b32 v39, v28 offset:10112
; %bb.438:                              ;   in Loop: Header=BB97_3 Depth=1
	s_or_b32 exec_lo, exec_lo, s1
	s_wait_dscnt 0x0
	s_barrier_signal -1
	s_barrier_wait -1
	s_barrier_signal -1
	s_barrier_wait -1
	s_and_saveexec_b32 s1, s11
; %bb.439:                              ;   in Loop: Header=BB97_3 Depth=1
	v_add_nc_u32_e64 v28, 0x2000, 0
	ds_store_2addr_b32 v28, v62, v62 offset0:162 offset1:227
; %bb.440:                              ;   in Loop: Header=BB97_3 Depth=1
	s_or_b32 exec_lo, exec_lo, s1
	v_mov_b32_e32 v28, 0
	s_wait_dscnt 0x0
	s_barrier_signal -1
	s_barrier_wait -1
	global_wb scope:SCOPE_DEV
	s_wait_storecnt 0x0
	global_inv scope:SCOPE_DEV
	s_and_saveexec_b32 s1, s2
	s_cbranch_execz .LBB97_444
; %bb.441:                              ;   in Loop: Header=BB97_3 Depth=1
	ds_load_b32 v28, v33 offset:8832
	ds_load_b32 v29, v32 offset:9096
	s_wait_dscnt 0x0
	v_fma_f32 v28, v28, v29, 0
	s_and_saveexec_b32 s20, s12
	s_cbranch_execz .LBB97_443
; %bb.442:                              ;   in Loop: Header=BB97_3 Depth=1
	ds_load_b32 v29, v34 offset:9088
	ds_load_b32 v31, v7 offset:9100
	s_wait_dscnt 0x0
	v_fmac_f32_e32 v28, v29, v31
.LBB97_443:                             ;   in Loop: Header=BB97_3 Depth=1
	s_or_b32 exec_lo, exec_lo, s20
.LBB97_444:                             ;   in Loop: Header=BB97_3 Depth=1
	s_delay_alu instid0(SALU_CYCLE_1)
	s_or_b32 exec_lo, exec_lo, s1
	s_and_saveexec_b32 s1, s101
; %bb.445:                              ;   in Loop: Header=BB97_3 Depth=1
	s_delay_alu instid0(VALU_DEP_1)
	v_xor_b32_e32 v29, 0x80000000, v28
	ds_store_b32 v5, v29
; %bb.446:                              ;   in Loop: Header=BB97_3 Depth=1
	s_or_b32 exec_lo, exec_lo, s1
	s_wait_loadcnt_dscnt 0x0
	s_barrier_signal -1
	s_barrier_wait -1
	s_and_saveexec_b32 s1, s102
	s_cbranch_execz .LBB97_448
; %bb.447:                              ;   in Loop: Header=BB97_3 Depth=1
	ds_load_b32 v29, v7 offset:8576
	ds_load_b32 v31, v5
	s_wait_dscnt 0x0
	v_fma_f32 v28, -v29, v31, v28
.LBB97_448:                             ;   in Loop: Header=BB97_3 Depth=1
	s_or_b32 exec_lo, exec_lo, s1
	s_barrier_signal -1
	s_barrier_wait -1
	s_and_saveexec_b32 s1, s102
; %bb.449:                              ;   in Loop: Header=BB97_3 Depth=1
	v_xor_b32_e32 v29, 0x80000000, v28
	ds_store_b32 v5, v29
; %bb.450:                              ;   in Loop: Header=BB97_3 Depth=1
	s_or_b32 exec_lo, exec_lo, s1
	s_wait_dscnt 0x0
	s_barrier_signal -1
	s_barrier_wait -1
	s_barrier_signal -1
	s_barrier_wait -1
	s_and_saveexec_b32 s1, s2
; %bb.451:                              ;   in Loop: Header=BB97_3 Depth=1
	ds_store_b32 v36, v28 offset:9088
; %bb.452:                              ;   in Loop: Header=BB97_3 Depth=1
	s_or_b32 exec_lo, exec_lo, s1
	s_wait_dscnt 0x0
	s_barrier_signal -1
	s_barrier_wait -1
	s_barrier_signal -1
	s_barrier_wait -1
	s_and_saveexec_b32 s1, s11
; %bb.453:                              ;   in Loop: Header=BB97_3 Depth=1
	v_add_nc_u32_e64 v28, 0x2000, 0
	ds_store_2addr_b32 v28, v62, v62 offset0:32 offset1:97
; %bb.454:                              ;   in Loop: Header=BB97_3 Depth=1
	s_or_b32 exec_lo, exec_lo, s1
	v_mov_b32_e32 v28, 0
	s_wait_dscnt 0x0
	s_barrier_signal -1
	s_barrier_wait -1
	global_wb scope:SCOPE_DEV
	s_wait_storecnt 0x0
	global_inv scope:SCOPE_DEV
	s_and_saveexec_b32 s94, s6
	s_cbranch_execz .LBB97_516
; %bb.455:                              ;   in Loop: Header=BB97_3 Depth=1
	ds_load_b32 v28, v46 offset:8192
	ds_load_b32 v29, v50 offset:16256
	s_wait_dscnt 0x0
	v_fma_f32 v28, v28, v29, 0
	s_mov_b32 s1, exec_lo
	v_readlane_b32 s20, v74, 0
	s_and_b32 s20, s1, s20
	s_delay_alu instid0(SALU_CYCLE_1)
	s_mov_b32 exec_lo, s20
	s_cbranch_execz .LBB97_457
; %bb.456:                              ;   in Loop: Header=BB97_3 Depth=1
	ds_load_b32 v29, v46 offset:8448
	ds_load_b32 v31, v50 offset:16260
	s_wait_dscnt 0x0
	v_fmac_f32_e32 v28, v29, v31
.LBB97_457:                             ;   in Loop: Header=BB97_3 Depth=1
	s_or_b32 exec_lo, exec_lo, s1
	s_delay_alu instid0(SALU_CYCLE_1) | instskip(SKIP_2) | instid1(SALU_CYCLE_1)
	s_mov_b32 s1, exec_lo
	v_readlane_b32 s20, v74, 1
	s_and_b32 s20, s1, s20
	s_mov_b32 exec_lo, s20
	s_cbranch_execz .LBB97_459
; %bb.458:                              ;   in Loop: Header=BB97_3 Depth=1
	ds_load_b32 v29, v46 offset:8704
	ds_load_b32 v31, v50 offset:16264
	s_wait_dscnt 0x0
	v_fmac_f32_e32 v28, v29, v31
.LBB97_459:                             ;   in Loop: Header=BB97_3 Depth=1
	s_or_b32 exec_lo, exec_lo, s1
	s_delay_alu instid0(SALU_CYCLE_1) | instskip(SKIP_2) | instid1(SALU_CYCLE_1)
	s_mov_b32 s1, exec_lo
	v_readlane_b32 s20, v74, 2
	s_and_b32 s20, s1, s20
	;; [unrolled: 13-line block ×22, first 2 shown]
	s_mov_b32 exec_lo, s20
	s_cbranch_execz .LBB97_501
; %bb.500:                              ;   in Loop: Header=BB97_3 Depth=1
	ds_load_b32 v29, v46 offset:14080
	ds_load_b32 v31, v50 offset:16348
	s_wait_dscnt 0x0
	v_fmac_f32_e32 v28, v29, v31
.LBB97_501:                             ;   in Loop: Header=BB97_3 Depth=1
	s_or_b32 exec_lo, exec_lo, s1
	s_and_saveexec_b32 s1, s5
	s_cbranch_execz .LBB97_503
; %bb.502:                              ;   in Loop: Header=BB97_3 Depth=1
	ds_load_b32 v29, v46 offset:14336
	ds_load_b32 v31, v50 offset:16352
	s_wait_dscnt 0x0
	v_fmac_f32_e32 v28, v29, v31
.LBB97_503:                             ;   in Loop: Header=BB97_3 Depth=1
	s_or_b32 exec_lo, exec_lo, s1
	s_delay_alu instid0(SALU_CYCLE_1) | instskip(SKIP_2) | instid1(SALU_CYCLE_1)
	s_mov_b32 s1, exec_lo
	v_readlane_b32 s20, v75, 22
	s_and_b32 s20, s1, s20
	s_mov_b32 exec_lo, s20
	s_cbranch_execz .LBB97_505
; %bb.504:                              ;   in Loop: Header=BB97_3 Depth=1
	ds_load_b32 v29, v46 offset:14592
	ds_load_b32 v31, v50 offset:16356
	s_wait_dscnt 0x0
	v_fmac_f32_e32 v28, v29, v31
.LBB97_505:                             ;   in Loop: Header=BB97_3 Depth=1
	s_or_b32 exec_lo, exec_lo, s1
	s_delay_alu instid0(SALU_CYCLE_1) | instskip(SKIP_2) | instid1(SALU_CYCLE_1)
	s_mov_b32 s1, exec_lo
	v_readlane_b32 s20, v75, 24
	s_and_b32 s20, s1, s20
	s_mov_b32 exec_lo, s20
	;; [unrolled: 13-line block ×5, first 2 shown]
	s_cbranch_execnz .LBB97_1137
; %bb.512:                              ;   in Loop: Header=BB97_3 Depth=1
	s_or_b32 exec_lo, exec_lo, s1
	s_and_saveexec_b32 s1, s4
	s_cbranch_execnz .LBB97_1138
.LBB97_513:                             ;   in Loop: Header=BB97_3 Depth=1
	s_or_b32 exec_lo, exec_lo, s1
	s_and_saveexec_b32 s1, s18
	s_cbranch_execz .LBB97_515
.LBB97_514:                             ;   in Loop: Header=BB97_3 Depth=1
	ds_load_b32 v29, v34 offset:16128
	ds_load_b32 v31, v7 offset:16380
	s_wait_dscnt 0x0
	v_fmac_f32_e32 v28, v29, v31
.LBB97_515:                             ;   in Loop: Header=BB97_3 Depth=1
	s_or_b32 exec_lo, exec_lo, s1
.LBB97_516:                             ;   in Loop: Header=BB97_3 Depth=1
	s_delay_alu instid0(SALU_CYCLE_1) | instskip(NEXT) | instid1(SALU_CYCLE_1)
	s_or_b32 exec_lo, exec_lo, s94
	s_mov_b32 s1, exec_lo
	v_readlane_b32 s20, v77, 10
	s_and_b32 s20, s1, s20
	s_delay_alu instid0(SALU_CYCLE_1)
	s_mov_b32 exec_lo, s20
; %bb.517:                              ;   in Loop: Header=BB97_3 Depth=1
	v_xor_b32_e32 v29, 0x80000000, v28
	ds_store_b32 v49, v29
; %bb.518:                              ;   in Loop: Header=BB97_3 Depth=1
	s_or_b32 exec_lo, exec_lo, s1
	s_wait_loadcnt_dscnt 0x0
	s_barrier_signal -1
	s_barrier_wait -1
	s_mov_b32 s1, exec_lo
	v_readlane_b32 s20, v77, 11
	s_and_b32 s20, s1, s20
	s_delay_alu instid0(SALU_CYCLE_1)
	s_mov_b32 exec_lo, s20
	s_cbranch_execz .LBB97_520
; %bb.519:                              ;   in Loop: Header=BB97_3 Depth=1
	ds_load_b32 v29, v46 offset:7936
	ds_load_b32 v31, v49
	s_wait_dscnt 0x0
	v_fma_f32 v28, -v29, v31, v28
.LBB97_520:                             ;   in Loop: Header=BB97_3 Depth=1
	s_or_b32 exec_lo, exec_lo, s1
	s_barrier_signal -1
	s_barrier_wait -1
	s_mov_b32 s1, exec_lo
	v_readlane_b32 s20, v77, 12
	s_and_b32 s20, s1, s20
	s_delay_alu instid0(SALU_CYCLE_1)
	s_mov_b32 exec_lo, s20
; %bb.521:                              ;   in Loop: Header=BB97_3 Depth=1
	v_xor_b32_e32 v29, 0x80000000, v28
	ds_store_b32 v49, v29
; %bb.522:                              ;   in Loop: Header=BB97_3 Depth=1
	s_or_b32 exec_lo, exec_lo, s1
	s_wait_dscnt 0x0
	s_barrier_signal -1
	s_barrier_wait -1
	s_mov_b32 s1, exec_lo
	v_readlane_b32 s20, v77, 13
	s_and_b32 s20, s1, s20
	s_delay_alu instid0(SALU_CYCLE_1)
	s_mov_b32 exec_lo, s20
	s_cbranch_execz .LBB97_524
; %bb.523:                              ;   in Loop: Header=BB97_3 Depth=1
	ds_load_b32 v29, v46 offset:7680
	ds_load_b32 v31, v49
	s_wait_dscnt 0x0
	v_fma_f32 v28, -v29, v31, v28
.LBB97_524:                             ;   in Loop: Header=BB97_3 Depth=1
	s_or_b32 exec_lo, exec_lo, s1
	s_barrier_signal -1
	s_barrier_wait -1
	s_mov_b32 s1, exec_lo
	v_readlane_b32 s20, v77, 14
	s_and_b32 s20, s1, s20
	s_delay_alu instid0(SALU_CYCLE_1)
	s_mov_b32 exec_lo, s20
; %bb.525:                              ;   in Loop: Header=BB97_3 Depth=1
	v_xor_b32_e32 v29, 0x80000000, v28
	ds_store_b32 v49, v29
; %bb.526:                              ;   in Loop: Header=BB97_3 Depth=1
	s_or_b32 exec_lo, exec_lo, s1
	s_wait_dscnt 0x0
	s_barrier_signal -1
	s_barrier_wait -1
	s_mov_b32 s1, exec_lo
	v_readlane_b32 s20, v77, 15
	s_and_b32 s20, s1, s20
	s_delay_alu instid0(SALU_CYCLE_1)
	s_mov_b32 exec_lo, s20
	s_cbranch_execz .LBB97_528
; %bb.527:                              ;   in Loop: Header=BB97_3 Depth=1
	ds_load_b32 v29, v46 offset:7424
	ds_load_b32 v31, v49
	s_wait_dscnt 0x0
	v_fma_f32 v28, -v29, v31, v28
.LBB97_528:                             ;   in Loop: Header=BB97_3 Depth=1
	s_or_b32 exec_lo, exec_lo, s1
	s_barrier_signal -1
	s_barrier_wait -1
	s_mov_b32 s1, exec_lo
	v_readlane_b32 s20, v77, 16
	s_and_b32 s20, s1, s20
	s_delay_alu instid0(SALU_CYCLE_1)
	s_mov_b32 exec_lo, s20
; %bb.529:                              ;   in Loop: Header=BB97_3 Depth=1
	v_xor_b32_e32 v29, 0x80000000, v28
	ds_store_b32 v49, v29
; %bb.530:                              ;   in Loop: Header=BB97_3 Depth=1
	s_or_b32 exec_lo, exec_lo, s1
	s_wait_dscnt 0x0
	s_barrier_signal -1
	s_barrier_wait -1
	s_mov_b32 s1, exec_lo
	v_readlane_b32 s20, v77, 17
	s_and_b32 s20, s1, s20
	s_delay_alu instid0(SALU_CYCLE_1)
	s_mov_b32 exec_lo, s20
	s_cbranch_execz .LBB97_532
; %bb.531:                              ;   in Loop: Header=BB97_3 Depth=1
	ds_load_b32 v29, v46 offset:7168
	ds_load_b32 v31, v49
	s_wait_dscnt 0x0
	v_fma_f32 v28, -v29, v31, v28
.LBB97_532:                             ;   in Loop: Header=BB97_3 Depth=1
	s_or_b32 exec_lo, exec_lo, s1
	s_barrier_signal -1
	s_barrier_wait -1
	s_mov_b32 s1, exec_lo
	v_readlane_b32 s20, v77, 18
	s_and_b32 s20, s1, s20
	s_delay_alu instid0(SALU_CYCLE_1)
	s_mov_b32 exec_lo, s20
; %bb.533:                              ;   in Loop: Header=BB97_3 Depth=1
	v_xor_b32_e32 v29, 0x80000000, v28
	ds_store_b32 v49, v29
; %bb.534:                              ;   in Loop: Header=BB97_3 Depth=1
	s_or_b32 exec_lo, exec_lo, s1
	s_wait_dscnt 0x0
	s_barrier_signal -1
	s_barrier_wait -1
	s_mov_b32 s1, exec_lo
	v_readlane_b32 s20, v77, 19
	s_and_b32 s20, s1, s20
	s_delay_alu instid0(SALU_CYCLE_1)
	s_mov_b32 exec_lo, s20
	s_cbranch_execz .LBB97_536
; %bb.535:                              ;   in Loop: Header=BB97_3 Depth=1
	ds_load_b32 v29, v46 offset:6912
	ds_load_b32 v31, v49
	s_wait_dscnt 0x0
	v_fma_f32 v28, -v29, v31, v28
.LBB97_536:                             ;   in Loop: Header=BB97_3 Depth=1
	s_or_b32 exec_lo, exec_lo, s1
	s_barrier_signal -1
	s_barrier_wait -1
	s_mov_b32 s1, exec_lo
	v_readlane_b32 s20, v77, 20
	s_and_b32 s20, s1, s20
	s_delay_alu instid0(SALU_CYCLE_1)
	s_mov_b32 exec_lo, s20
; %bb.537:                              ;   in Loop: Header=BB97_3 Depth=1
	v_xor_b32_e32 v29, 0x80000000, v28
	ds_store_b32 v49, v29
; %bb.538:                              ;   in Loop: Header=BB97_3 Depth=1
	s_or_b32 exec_lo, exec_lo, s1
	s_wait_dscnt 0x0
	s_barrier_signal -1
	s_barrier_wait -1
	s_mov_b32 s1, exec_lo
	v_readlane_b32 s20, v77, 21
	s_and_b32 s20, s1, s20
	s_delay_alu instid0(SALU_CYCLE_1)
	s_mov_b32 exec_lo, s20
	s_cbranch_execz .LBB97_540
; %bb.539:                              ;   in Loop: Header=BB97_3 Depth=1
	ds_load_b32 v29, v46 offset:6656
	ds_load_b32 v31, v49
	s_wait_dscnt 0x0
	v_fma_f32 v28, -v29, v31, v28
.LBB97_540:                             ;   in Loop: Header=BB97_3 Depth=1
	s_or_b32 exec_lo, exec_lo, s1
	s_barrier_signal -1
	s_barrier_wait -1
	s_mov_b32 s1, exec_lo
	v_readlane_b32 s20, v77, 22
	s_and_b32 s20, s1, s20
	s_delay_alu instid0(SALU_CYCLE_1)
	s_mov_b32 exec_lo, s20
; %bb.541:                              ;   in Loop: Header=BB97_3 Depth=1
	v_xor_b32_e32 v29, 0x80000000, v28
	ds_store_b32 v49, v29
; %bb.542:                              ;   in Loop: Header=BB97_3 Depth=1
	s_or_b32 exec_lo, exec_lo, s1
	s_wait_dscnt 0x0
	s_barrier_signal -1
	s_barrier_wait -1
	s_mov_b32 s1, exec_lo
	v_readlane_b32 s20, v77, 23
	s_and_b32 s20, s1, s20
	s_delay_alu instid0(SALU_CYCLE_1)
	s_mov_b32 exec_lo, s20
	s_cbranch_execz .LBB97_544
; %bb.543:                              ;   in Loop: Header=BB97_3 Depth=1
	ds_load_b32 v29, v46 offset:6400
	ds_load_b32 v31, v49
	s_wait_dscnt 0x0
	v_fma_f32 v28, -v29, v31, v28
.LBB97_544:                             ;   in Loop: Header=BB97_3 Depth=1
	s_or_b32 exec_lo, exec_lo, s1
	s_barrier_signal -1
	s_barrier_wait -1
	s_mov_b32 s1, exec_lo
	v_readlane_b32 s20, v77, 24
	s_and_b32 s20, s1, s20
	s_delay_alu instid0(SALU_CYCLE_1)
	s_mov_b32 exec_lo, s20
; %bb.545:                              ;   in Loop: Header=BB97_3 Depth=1
	v_xor_b32_e32 v29, 0x80000000, v28
	ds_store_b32 v49, v29
; %bb.546:                              ;   in Loop: Header=BB97_3 Depth=1
	s_or_b32 exec_lo, exec_lo, s1
	s_wait_dscnt 0x0
	s_barrier_signal -1
	s_barrier_wait -1
	s_mov_b32 s1, exec_lo
	v_readlane_b32 s20, v77, 25
	s_and_b32 s20, s1, s20
	s_delay_alu instid0(SALU_CYCLE_1)
	s_mov_b32 exec_lo, s20
	s_cbranch_execz .LBB97_548
; %bb.547:                              ;   in Loop: Header=BB97_3 Depth=1
	ds_load_b32 v29, v46 offset:6144
	ds_load_b32 v31, v49
	s_wait_dscnt 0x0
	v_fma_f32 v28, -v29, v31, v28
.LBB97_548:                             ;   in Loop: Header=BB97_3 Depth=1
	s_or_b32 exec_lo, exec_lo, s1
	s_barrier_signal -1
	s_barrier_wait -1
	s_mov_b32 s1, exec_lo
	v_readlane_b32 s20, v77, 26
	s_and_b32 s20, s1, s20
	s_delay_alu instid0(SALU_CYCLE_1)
	s_mov_b32 exec_lo, s20
; %bb.549:                              ;   in Loop: Header=BB97_3 Depth=1
	v_xor_b32_e32 v29, 0x80000000, v28
	ds_store_b32 v49, v29
; %bb.550:                              ;   in Loop: Header=BB97_3 Depth=1
	s_or_b32 exec_lo, exec_lo, s1
	s_wait_dscnt 0x0
	s_barrier_signal -1
	s_barrier_wait -1
	s_mov_b32 s1, exec_lo
	v_readlane_b32 s20, v77, 27
	s_and_b32 s20, s1, s20
	s_delay_alu instid0(SALU_CYCLE_1)
	s_mov_b32 exec_lo, s20
	s_cbranch_execz .LBB97_552
; %bb.551:                              ;   in Loop: Header=BB97_3 Depth=1
	ds_load_b32 v29, v46 offset:5888
	ds_load_b32 v31, v49
	s_wait_dscnt 0x0
	v_fma_f32 v28, -v29, v31, v28
.LBB97_552:                             ;   in Loop: Header=BB97_3 Depth=1
	s_or_b32 exec_lo, exec_lo, s1
	s_barrier_signal -1
	s_barrier_wait -1
	s_mov_b32 s1, exec_lo
	v_readlane_b32 s20, v77, 28
	s_and_b32 s20, s1, s20
	s_delay_alu instid0(SALU_CYCLE_1)
	s_mov_b32 exec_lo, s20
; %bb.553:                              ;   in Loop: Header=BB97_3 Depth=1
	v_xor_b32_e32 v29, 0x80000000, v28
	ds_store_b32 v49, v29
; %bb.554:                              ;   in Loop: Header=BB97_3 Depth=1
	s_or_b32 exec_lo, exec_lo, s1
	s_wait_dscnt 0x0
	s_barrier_signal -1
	s_barrier_wait -1
	s_mov_b32 s1, exec_lo
	v_readlane_b32 s20, v77, 29
	s_and_b32 s20, s1, s20
	s_delay_alu instid0(SALU_CYCLE_1)
	s_mov_b32 exec_lo, s20
	s_cbranch_execz .LBB97_556
; %bb.555:                              ;   in Loop: Header=BB97_3 Depth=1
	ds_load_b32 v29, v46 offset:5632
	ds_load_b32 v31, v49
	s_wait_dscnt 0x0
	v_fma_f32 v28, -v29, v31, v28
.LBB97_556:                             ;   in Loop: Header=BB97_3 Depth=1
	s_or_b32 exec_lo, exec_lo, s1
	s_barrier_signal -1
	s_barrier_wait -1
	s_mov_b32 s1, exec_lo
	v_readlane_b32 s20, v77, 30
	s_and_b32 s20, s1, s20
	s_delay_alu instid0(SALU_CYCLE_1)
	s_mov_b32 exec_lo, s20
; %bb.557:                              ;   in Loop: Header=BB97_3 Depth=1
	v_xor_b32_e32 v29, 0x80000000, v28
	ds_store_b32 v49, v29
; %bb.558:                              ;   in Loop: Header=BB97_3 Depth=1
	s_or_b32 exec_lo, exec_lo, s1
	s_wait_dscnt 0x0
	s_barrier_signal -1
	s_barrier_wait -1
	s_mov_b32 s1, exec_lo
	v_readlane_b32 s20, v77, 31
	s_and_b32 s20, s1, s20
	s_delay_alu instid0(SALU_CYCLE_1)
	s_mov_b32 exec_lo, s20
	s_cbranch_execz .LBB97_560
; %bb.559:                              ;   in Loop: Header=BB97_3 Depth=1
	ds_load_b32 v29, v46 offset:5376
	ds_load_b32 v31, v49
	s_wait_dscnt 0x0
	v_fma_f32 v28, -v29, v31, v28
.LBB97_560:                             ;   in Loop: Header=BB97_3 Depth=1
	s_or_b32 exec_lo, exec_lo, s1
	s_barrier_signal -1
	s_barrier_wait -1
	s_mov_b32 s1, exec_lo
	v_readlane_b32 s20, v76, 0
	s_and_b32 s20, s1, s20
	s_delay_alu instid0(SALU_CYCLE_1)
	s_mov_b32 exec_lo, s20
; %bb.561:                              ;   in Loop: Header=BB97_3 Depth=1
	v_xor_b32_e32 v29, 0x80000000, v28
	ds_store_b32 v49, v29
; %bb.562:                              ;   in Loop: Header=BB97_3 Depth=1
	s_or_b32 exec_lo, exec_lo, s1
	s_wait_dscnt 0x0
	s_barrier_signal -1
	s_barrier_wait -1
	s_mov_b32 s1, exec_lo
	v_readlane_b32 s20, v76, 1
	s_and_b32 s20, s1, s20
	s_delay_alu instid0(SALU_CYCLE_1)
	s_mov_b32 exec_lo, s20
	s_cbranch_execz .LBB97_564
; %bb.563:                              ;   in Loop: Header=BB97_3 Depth=1
	ds_load_b32 v29, v46 offset:5120
	ds_load_b32 v31, v49
	s_wait_dscnt 0x0
	v_fma_f32 v28, -v29, v31, v28
.LBB97_564:                             ;   in Loop: Header=BB97_3 Depth=1
	s_or_b32 exec_lo, exec_lo, s1
	s_barrier_signal -1
	s_barrier_wait -1
	s_mov_b32 s1, exec_lo
	v_readlane_b32 s20, v76, 2
	s_and_b32 s20, s1, s20
	s_delay_alu instid0(SALU_CYCLE_1)
	s_mov_b32 exec_lo, s20
; %bb.565:                              ;   in Loop: Header=BB97_3 Depth=1
	v_xor_b32_e32 v29, 0x80000000, v28
	ds_store_b32 v49, v29
; %bb.566:                              ;   in Loop: Header=BB97_3 Depth=1
	s_or_b32 exec_lo, exec_lo, s1
	s_wait_dscnt 0x0
	s_barrier_signal -1
	s_barrier_wait -1
	s_mov_b32 s1, exec_lo
	v_readlane_b32 s20, v76, 3
	s_and_b32 s20, s1, s20
	s_delay_alu instid0(SALU_CYCLE_1)
	s_mov_b32 exec_lo, s20
	s_cbranch_execz .LBB97_568
; %bb.567:                              ;   in Loop: Header=BB97_3 Depth=1
	ds_load_b32 v29, v46 offset:4864
	ds_load_b32 v31, v49
	s_wait_dscnt 0x0
	v_fma_f32 v28, -v29, v31, v28
.LBB97_568:                             ;   in Loop: Header=BB97_3 Depth=1
	s_or_b32 exec_lo, exec_lo, s1
	s_barrier_signal -1
	s_barrier_wait -1
	s_mov_b32 s1, exec_lo
	v_readlane_b32 s20, v76, 4
	s_and_b32 s20, s1, s20
	s_delay_alu instid0(SALU_CYCLE_1)
	s_mov_b32 exec_lo, s20
; %bb.569:                              ;   in Loop: Header=BB97_3 Depth=1
	v_xor_b32_e32 v29, 0x80000000, v28
	ds_store_b32 v49, v29
; %bb.570:                              ;   in Loop: Header=BB97_3 Depth=1
	s_or_b32 exec_lo, exec_lo, s1
	s_wait_dscnt 0x0
	s_barrier_signal -1
	s_barrier_wait -1
	s_mov_b32 s1, exec_lo
	v_readlane_b32 s20, v76, 5
	s_and_b32 s20, s1, s20
	s_delay_alu instid0(SALU_CYCLE_1)
	s_mov_b32 exec_lo, s20
	s_cbranch_execz .LBB97_572
; %bb.571:                              ;   in Loop: Header=BB97_3 Depth=1
	ds_load_b32 v29, v46 offset:4608
	ds_load_b32 v31, v49
	s_wait_dscnt 0x0
	v_fma_f32 v28, -v29, v31, v28
.LBB97_572:                             ;   in Loop: Header=BB97_3 Depth=1
	s_or_b32 exec_lo, exec_lo, s1
	s_barrier_signal -1
	s_barrier_wait -1
	s_mov_b32 s1, exec_lo
	v_readlane_b32 s20, v76, 6
	s_and_b32 s20, s1, s20
	s_delay_alu instid0(SALU_CYCLE_1)
	s_mov_b32 exec_lo, s20
; %bb.573:                              ;   in Loop: Header=BB97_3 Depth=1
	v_xor_b32_e32 v29, 0x80000000, v28
	ds_store_b32 v49, v29
; %bb.574:                              ;   in Loop: Header=BB97_3 Depth=1
	s_or_b32 exec_lo, exec_lo, s1
	s_wait_dscnt 0x0
	s_barrier_signal -1
	s_barrier_wait -1
	s_mov_b32 s1, exec_lo
	v_readlane_b32 s20, v76, 7
	s_and_b32 s20, s1, s20
	s_delay_alu instid0(SALU_CYCLE_1)
	s_mov_b32 exec_lo, s20
	s_cbranch_execz .LBB97_576
; %bb.575:                              ;   in Loop: Header=BB97_3 Depth=1
	ds_load_b32 v29, v46 offset:4352
	ds_load_b32 v31, v49
	s_wait_dscnt 0x0
	v_fma_f32 v28, -v29, v31, v28
.LBB97_576:                             ;   in Loop: Header=BB97_3 Depth=1
	s_or_b32 exec_lo, exec_lo, s1
	s_barrier_signal -1
	s_barrier_wait -1
	s_mov_b32 s1, exec_lo
	v_readlane_b32 s20, v76, 8
	s_and_b32 s20, s1, s20
	s_delay_alu instid0(SALU_CYCLE_1)
	s_mov_b32 exec_lo, s20
; %bb.577:                              ;   in Loop: Header=BB97_3 Depth=1
	v_xor_b32_e32 v29, 0x80000000, v28
	ds_store_b32 v49, v29
; %bb.578:                              ;   in Loop: Header=BB97_3 Depth=1
	s_or_b32 exec_lo, exec_lo, s1
	s_wait_dscnt 0x0
	s_barrier_signal -1
	s_barrier_wait -1
	s_mov_b32 s1, exec_lo
	v_readlane_b32 s20, v76, 9
	s_and_b32 s20, s1, s20
	s_delay_alu instid0(SALU_CYCLE_1)
	s_mov_b32 exec_lo, s20
	s_cbranch_execz .LBB97_580
; %bb.579:                              ;   in Loop: Header=BB97_3 Depth=1
	ds_load_b32 v29, v46 offset:4096
	ds_load_b32 v31, v49
	s_wait_dscnt 0x0
	v_fma_f32 v28, -v29, v31, v28
.LBB97_580:                             ;   in Loop: Header=BB97_3 Depth=1
	s_or_b32 exec_lo, exec_lo, s1
	s_barrier_signal -1
	s_barrier_wait -1
	s_mov_b32 s1, exec_lo
	v_readlane_b32 s20, v76, 10
	s_and_b32 s20, s1, s20
	s_delay_alu instid0(SALU_CYCLE_1)
	s_mov_b32 exec_lo, s20
; %bb.581:                              ;   in Loop: Header=BB97_3 Depth=1
	v_xor_b32_e32 v29, 0x80000000, v28
	ds_store_b32 v49, v29
; %bb.582:                              ;   in Loop: Header=BB97_3 Depth=1
	s_or_b32 exec_lo, exec_lo, s1
	s_wait_dscnt 0x0
	s_barrier_signal -1
	s_barrier_wait -1
	s_mov_b32 s1, exec_lo
	v_readlane_b32 s20, v76, 11
	s_and_b32 s20, s1, s20
	s_delay_alu instid0(SALU_CYCLE_1)
	s_mov_b32 exec_lo, s20
	s_cbranch_execz .LBB97_584
; %bb.583:                              ;   in Loop: Header=BB97_3 Depth=1
	ds_load_b32 v29, v46 offset:3840
	ds_load_b32 v31, v49
	s_wait_dscnt 0x0
	v_fma_f32 v28, -v29, v31, v28
.LBB97_584:                             ;   in Loop: Header=BB97_3 Depth=1
	s_or_b32 exec_lo, exec_lo, s1
	s_barrier_signal -1
	s_barrier_wait -1
	s_mov_b32 s1, exec_lo
	v_readlane_b32 s20, v76, 12
	s_and_b32 s20, s1, s20
	s_delay_alu instid0(SALU_CYCLE_1)
	s_mov_b32 exec_lo, s20
; %bb.585:                              ;   in Loop: Header=BB97_3 Depth=1
	v_xor_b32_e32 v29, 0x80000000, v28
	ds_store_b32 v49, v29
; %bb.586:                              ;   in Loop: Header=BB97_3 Depth=1
	s_or_b32 exec_lo, exec_lo, s1
	s_wait_dscnt 0x0
	s_barrier_signal -1
	s_barrier_wait -1
	s_mov_b32 s1, exec_lo
	v_readlane_b32 s20, v76, 13
	s_and_b32 s20, s1, s20
	s_delay_alu instid0(SALU_CYCLE_1)
	s_mov_b32 exec_lo, s20
	s_cbranch_execz .LBB97_588
; %bb.587:                              ;   in Loop: Header=BB97_3 Depth=1
	ds_load_b32 v29, v46 offset:3584
	ds_load_b32 v31, v49
	s_wait_dscnt 0x0
	v_fma_f32 v28, -v29, v31, v28
.LBB97_588:                             ;   in Loop: Header=BB97_3 Depth=1
	s_or_b32 exec_lo, exec_lo, s1
	s_barrier_signal -1
	s_barrier_wait -1
	s_mov_b32 s1, exec_lo
	v_readlane_b32 s20, v76, 14
	s_and_b32 s20, s1, s20
	s_delay_alu instid0(SALU_CYCLE_1)
	s_mov_b32 exec_lo, s20
; %bb.589:                              ;   in Loop: Header=BB97_3 Depth=1
	v_xor_b32_e32 v29, 0x80000000, v28
	ds_store_b32 v49, v29
; %bb.590:                              ;   in Loop: Header=BB97_3 Depth=1
	s_or_b32 exec_lo, exec_lo, s1
	s_wait_dscnt 0x0
	s_barrier_signal -1
	s_barrier_wait -1
	s_mov_b32 s1, exec_lo
	v_readlane_b32 s20, v76, 15
	s_and_b32 s20, s1, s20
	s_delay_alu instid0(SALU_CYCLE_1)
	s_mov_b32 exec_lo, s20
	s_cbranch_execz .LBB97_592
; %bb.591:                              ;   in Loop: Header=BB97_3 Depth=1
	ds_load_b32 v29, v46 offset:3328
	ds_load_b32 v31, v49
	s_wait_dscnt 0x0
	v_fma_f32 v28, -v29, v31, v28
.LBB97_592:                             ;   in Loop: Header=BB97_3 Depth=1
	s_or_b32 exec_lo, exec_lo, s1
	s_barrier_signal -1
	s_barrier_wait -1
	s_mov_b32 s1, exec_lo
	v_readlane_b32 s20, v76, 16
	s_and_b32 s20, s1, s20
	s_delay_alu instid0(SALU_CYCLE_1)
	s_mov_b32 exec_lo, s20
; %bb.593:                              ;   in Loop: Header=BB97_3 Depth=1
	v_xor_b32_e32 v29, 0x80000000, v28
	ds_store_b32 v49, v29
; %bb.594:                              ;   in Loop: Header=BB97_3 Depth=1
	s_or_b32 exec_lo, exec_lo, s1
	s_wait_dscnt 0x0
	s_barrier_signal -1
	s_barrier_wait -1
	s_mov_b32 s1, exec_lo
	v_readlane_b32 s20, v76, 17
	s_and_b32 s20, s1, s20
	s_delay_alu instid0(SALU_CYCLE_1)
	s_mov_b32 exec_lo, s20
	s_cbranch_execz .LBB97_596
; %bb.595:                              ;   in Loop: Header=BB97_3 Depth=1
	ds_load_b32 v29, v46 offset:3072
	ds_load_b32 v31, v49
	s_wait_dscnt 0x0
	v_fma_f32 v28, -v29, v31, v28
.LBB97_596:                             ;   in Loop: Header=BB97_3 Depth=1
	s_or_b32 exec_lo, exec_lo, s1
	s_barrier_signal -1
	s_barrier_wait -1
	s_mov_b32 s1, exec_lo
	v_readlane_b32 s20, v76, 18
	s_and_b32 s20, s1, s20
	s_delay_alu instid0(SALU_CYCLE_1)
	s_mov_b32 exec_lo, s20
; %bb.597:                              ;   in Loop: Header=BB97_3 Depth=1
	v_xor_b32_e32 v29, 0x80000000, v28
	ds_store_b32 v49, v29
; %bb.598:                              ;   in Loop: Header=BB97_3 Depth=1
	s_or_b32 exec_lo, exec_lo, s1
	s_wait_dscnt 0x0
	s_barrier_signal -1
	s_barrier_wait -1
	s_mov_b32 s1, exec_lo
	v_readlane_b32 s20, v76, 19
	s_and_b32 s20, s1, s20
	s_delay_alu instid0(SALU_CYCLE_1)
	s_mov_b32 exec_lo, s20
	s_cbranch_execz .LBB97_600
; %bb.599:                              ;   in Loop: Header=BB97_3 Depth=1
	ds_load_b32 v29, v46 offset:2816
	ds_load_b32 v31, v49
	s_wait_dscnt 0x0
	v_fma_f32 v28, -v29, v31, v28
.LBB97_600:                             ;   in Loop: Header=BB97_3 Depth=1
	s_or_b32 exec_lo, exec_lo, s1
	s_barrier_signal -1
	s_barrier_wait -1
	s_mov_b32 s1, exec_lo
	v_readlane_b32 s20, v76, 20
	s_and_b32 s20, s1, s20
	s_delay_alu instid0(SALU_CYCLE_1)
	s_mov_b32 exec_lo, s20
; %bb.601:                              ;   in Loop: Header=BB97_3 Depth=1
	v_xor_b32_e32 v29, 0x80000000, v28
	ds_store_b32 v49, v29
; %bb.602:                              ;   in Loop: Header=BB97_3 Depth=1
	s_or_b32 exec_lo, exec_lo, s1
	s_wait_dscnt 0x0
	s_barrier_signal -1
	s_barrier_wait -1
	s_mov_b32 s1, exec_lo
	v_readlane_b32 s20, v76, 21
	s_and_b32 s20, s1, s20
	s_delay_alu instid0(SALU_CYCLE_1)
	s_mov_b32 exec_lo, s20
	s_cbranch_execz .LBB97_604
; %bb.603:                              ;   in Loop: Header=BB97_3 Depth=1
	ds_load_b32 v29, v46 offset:2560
	ds_load_b32 v31, v49
	s_wait_dscnt 0x0
	v_fma_f32 v28, -v29, v31, v28
.LBB97_604:                             ;   in Loop: Header=BB97_3 Depth=1
	s_or_b32 exec_lo, exec_lo, s1
	s_barrier_signal -1
	s_barrier_wait -1
	s_mov_b32 s1, exec_lo
	v_readlane_b32 s20, v76, 22
	s_and_b32 s20, s1, s20
	s_delay_alu instid0(SALU_CYCLE_1)
	s_mov_b32 exec_lo, s20
; %bb.605:                              ;   in Loop: Header=BB97_3 Depth=1
	v_xor_b32_e32 v29, 0x80000000, v28
	ds_store_b32 v49, v29
; %bb.606:                              ;   in Loop: Header=BB97_3 Depth=1
	s_or_b32 exec_lo, exec_lo, s1
	s_wait_dscnt 0x0
	s_barrier_signal -1
	s_barrier_wait -1
	s_mov_b32 s1, exec_lo
	v_readlane_b32 s20, v76, 23
	s_and_b32 s20, s1, s20
	s_delay_alu instid0(SALU_CYCLE_1)
	s_mov_b32 exec_lo, s20
	s_cbranch_execz .LBB97_608
; %bb.607:                              ;   in Loop: Header=BB97_3 Depth=1
	ds_load_b32 v29, v46 offset:2304
	ds_load_b32 v31, v49
	s_wait_dscnt 0x0
	v_fma_f32 v28, -v29, v31, v28
.LBB97_608:                             ;   in Loop: Header=BB97_3 Depth=1
	s_or_b32 exec_lo, exec_lo, s1
	s_barrier_signal -1
	s_barrier_wait -1
	s_mov_b32 s1, exec_lo
	v_readlane_b32 s20, v76, 24
	s_and_b32 s20, s1, s20
	s_delay_alu instid0(SALU_CYCLE_1)
	s_mov_b32 exec_lo, s20
; %bb.609:                              ;   in Loop: Header=BB97_3 Depth=1
	v_xor_b32_e32 v29, 0x80000000, v28
	ds_store_b32 v49, v29
; %bb.610:                              ;   in Loop: Header=BB97_3 Depth=1
	s_or_b32 exec_lo, exec_lo, s1
	s_wait_dscnt 0x0
	s_barrier_signal -1
	s_barrier_wait -1
	s_mov_b32 s1, exec_lo
	v_readlane_b32 s20, v76, 25
	s_and_b32 s20, s1, s20
	s_delay_alu instid0(SALU_CYCLE_1)
	s_mov_b32 exec_lo, s20
	s_cbranch_execz .LBB97_612
; %bb.611:                              ;   in Loop: Header=BB97_3 Depth=1
	ds_load_b32 v29, v46 offset:2048
	ds_load_b32 v31, v49
	s_wait_dscnt 0x0
	v_fma_f32 v28, -v29, v31, v28
.LBB97_612:                             ;   in Loop: Header=BB97_3 Depth=1
	s_or_b32 exec_lo, exec_lo, s1
	s_barrier_signal -1
	s_barrier_wait -1
	s_mov_b32 s1, exec_lo
	v_readlane_b32 s20, v76, 26
	s_and_b32 s20, s1, s20
	s_delay_alu instid0(SALU_CYCLE_1)
	s_mov_b32 exec_lo, s20
; %bb.613:                              ;   in Loop: Header=BB97_3 Depth=1
	v_xor_b32_e32 v29, 0x80000000, v28
	ds_store_b32 v49, v29
; %bb.614:                              ;   in Loop: Header=BB97_3 Depth=1
	s_or_b32 exec_lo, exec_lo, s1
	s_wait_dscnt 0x0
	s_barrier_signal -1
	s_barrier_wait -1
	s_mov_b32 s1, exec_lo
	v_readlane_b32 s20, v76, 27
	s_and_b32 s20, s1, s20
	s_delay_alu instid0(SALU_CYCLE_1)
	s_mov_b32 exec_lo, s20
	s_cbranch_execz .LBB97_616
; %bb.615:                              ;   in Loop: Header=BB97_3 Depth=1
	ds_load_b32 v29, v46 offset:1792
	ds_load_b32 v31, v49
	s_wait_dscnt 0x0
	v_fma_f32 v28, -v29, v31, v28
.LBB97_616:                             ;   in Loop: Header=BB97_3 Depth=1
	s_or_b32 exec_lo, exec_lo, s1
	s_barrier_signal -1
	s_barrier_wait -1
	s_mov_b32 s1, exec_lo
	v_readlane_b32 s20, v76, 28
	s_and_b32 s20, s1, s20
	s_delay_alu instid0(SALU_CYCLE_1)
	s_mov_b32 exec_lo, s20
; %bb.617:                              ;   in Loop: Header=BB97_3 Depth=1
	v_xor_b32_e32 v29, 0x80000000, v28
	ds_store_b32 v49, v29
; %bb.618:                              ;   in Loop: Header=BB97_3 Depth=1
	s_or_b32 exec_lo, exec_lo, s1
	s_wait_dscnt 0x0
	s_barrier_signal -1
	s_barrier_wait -1
	s_mov_b32 s1, exec_lo
	v_readlane_b32 s20, v76, 29
	s_and_b32 s20, s1, s20
	s_delay_alu instid0(SALU_CYCLE_1)
	s_mov_b32 exec_lo, s20
	s_cbranch_execz .LBB97_620
; %bb.619:                              ;   in Loop: Header=BB97_3 Depth=1
	ds_load_b32 v29, v46 offset:1536
	ds_load_b32 v31, v49
	s_wait_dscnt 0x0
	v_fma_f32 v28, -v29, v31, v28
.LBB97_620:                             ;   in Loop: Header=BB97_3 Depth=1
	s_or_b32 exec_lo, exec_lo, s1
	s_barrier_signal -1
	s_barrier_wait -1
	s_mov_b32 s1, exec_lo
	v_readlane_b32 s20, v76, 30
	s_and_b32 s20, s1, s20
	s_delay_alu instid0(SALU_CYCLE_1)
	s_mov_b32 exec_lo, s20
; %bb.621:                              ;   in Loop: Header=BB97_3 Depth=1
	v_xor_b32_e32 v29, 0x80000000, v28
	ds_store_b32 v49, v29
; %bb.622:                              ;   in Loop: Header=BB97_3 Depth=1
	s_or_b32 exec_lo, exec_lo, s1
	s_wait_dscnt 0x0
	s_barrier_signal -1
	s_barrier_wait -1
	s_mov_b32 s1, exec_lo
	v_readlane_b32 s20, v76, 31
	s_and_b32 s20, s1, s20
	s_delay_alu instid0(SALU_CYCLE_1)
	s_mov_b32 exec_lo, s20
	s_cbranch_execz .LBB97_624
; %bb.623:                              ;   in Loop: Header=BB97_3 Depth=1
	ds_load_b32 v29, v46 offset:1280
	ds_load_b32 v31, v49
	s_wait_dscnt 0x0
	v_fma_f32 v28, -v29, v31, v28
.LBB97_624:                             ;   in Loop: Header=BB97_3 Depth=1
	s_or_b32 exec_lo, exec_lo, s1
	s_barrier_signal -1
	s_barrier_wait -1
	s_mov_b32 s1, exec_lo
	v_readlane_b32 s20, v75, 0
	s_and_b32 s20, s1, s20
	s_delay_alu instid0(SALU_CYCLE_1)
	s_mov_b32 exec_lo, s20
; %bb.625:                              ;   in Loop: Header=BB97_3 Depth=1
	v_xor_b32_e32 v29, 0x80000000, v28
	ds_store_b32 v49, v29
; %bb.626:                              ;   in Loop: Header=BB97_3 Depth=1
	s_or_b32 exec_lo, exec_lo, s1
	s_wait_dscnt 0x0
	s_barrier_signal -1
	s_barrier_wait -1
	s_mov_b32 s1, exec_lo
	v_readlane_b32 s20, v75, 1
	s_and_b32 s20, s1, s20
	s_delay_alu instid0(SALU_CYCLE_1)
	s_mov_b32 exec_lo, s20
	s_cbranch_execz .LBB97_628
; %bb.627:                              ;   in Loop: Header=BB97_3 Depth=1
	ds_load_b32 v29, v46 offset:1024
	ds_load_b32 v31, v49
	s_wait_dscnt 0x0
	v_fma_f32 v28, -v29, v31, v28
.LBB97_628:                             ;   in Loop: Header=BB97_3 Depth=1
	s_or_b32 exec_lo, exec_lo, s1
	s_barrier_signal -1
	s_barrier_wait -1
	s_mov_b32 s1, exec_lo
	v_readlane_b32 s20, v75, 2
	s_and_b32 s20, s1, s20
	s_delay_alu instid0(SALU_CYCLE_1)
	s_mov_b32 exec_lo, s20
; %bb.629:                              ;   in Loop: Header=BB97_3 Depth=1
	v_xor_b32_e32 v29, 0x80000000, v28
	ds_store_b32 v49, v29
; %bb.630:                              ;   in Loop: Header=BB97_3 Depth=1
	s_or_b32 exec_lo, exec_lo, s1
	s_wait_dscnt 0x0
	s_barrier_signal -1
	s_barrier_wait -1
	s_mov_b32 s1, exec_lo
	v_readlane_b32 s20, v75, 3
	s_and_b32 s20, s1, s20
	s_delay_alu instid0(SALU_CYCLE_1)
	s_mov_b32 exec_lo, s20
	s_cbranch_execz .LBB97_632
; %bb.631:                              ;   in Loop: Header=BB97_3 Depth=1
	ds_load_b32 v29, v46 offset:768
	ds_load_b32 v31, v49
	s_wait_dscnt 0x0
	v_fma_f32 v28, -v29, v31, v28
.LBB97_632:                             ;   in Loop: Header=BB97_3 Depth=1
	s_or_b32 exec_lo, exec_lo, s1
	s_barrier_signal -1
	s_barrier_wait -1
	s_mov_b32 s1, exec_lo
	v_readlane_b32 s20, v75, 4
	s_and_b32 s20, s1, s20
	s_delay_alu instid0(SALU_CYCLE_1)
	s_mov_b32 exec_lo, s20
; %bb.633:                              ;   in Loop: Header=BB97_3 Depth=1
	v_xor_b32_e32 v29, 0x80000000, v28
	ds_store_b32 v49, v29
; %bb.634:                              ;   in Loop: Header=BB97_3 Depth=1
	s_or_b32 exec_lo, exec_lo, s1
	s_wait_dscnt 0x0
	s_barrier_signal -1
	s_barrier_wait -1
	s_mov_b32 s1, exec_lo
	v_readlane_b32 s20, v75, 5
	s_and_b32 s20, s1, s20
	s_delay_alu instid0(SALU_CYCLE_1)
	s_mov_b32 exec_lo, s20
	s_cbranch_execz .LBB97_636
; %bb.635:                              ;   in Loop: Header=BB97_3 Depth=1
	ds_load_b32 v29, v46 offset:512
	ds_load_b32 v31, v49
	s_wait_dscnt 0x0
	v_fma_f32 v28, -v29, v31, v28
.LBB97_636:                             ;   in Loop: Header=BB97_3 Depth=1
	s_or_b32 exec_lo, exec_lo, s1
	s_barrier_signal -1
	s_barrier_wait -1
	s_mov_b32 s1, exec_lo
	v_readlane_b32 s20, v75, 6
	s_and_b32 s20, s1, s20
	s_delay_alu instid0(SALU_CYCLE_1)
	s_mov_b32 exec_lo, s20
; %bb.637:                              ;   in Loop: Header=BB97_3 Depth=1
	v_xor_b32_e32 v29, 0x80000000, v28
	ds_store_b32 v49, v29
; %bb.638:                              ;   in Loop: Header=BB97_3 Depth=1
	s_or_b32 exec_lo, exec_lo, s1
	s_wait_dscnt 0x0
	s_barrier_signal -1
	s_barrier_wait -1
	s_and_saveexec_b32 s1, s9
	s_cbranch_execz .LBB97_640
; %bb.639:                              ;   in Loop: Header=BB97_3 Depth=1
	ds_load_b32 v29, v7 offset:256
	ds_load_b32 v31, v49
	s_wait_dscnt 0x0
	v_fma_f32 v28, -v29, v31, v28
.LBB97_640:                             ;   in Loop: Header=BB97_3 Depth=1
	s_or_b32 exec_lo, exec_lo, s1
	s_barrier_signal -1
	s_barrier_wait -1
	s_and_saveexec_b32 s1, s9
; %bb.641:                              ;   in Loop: Header=BB97_3 Depth=1
	v_xor_b32_e32 v29, 0x80000000, v28
	ds_store_b32 v49, v29
; %bb.642:                              ;   in Loop: Header=BB97_3 Depth=1
	s_or_b32 exec_lo, exec_lo, s1
	s_wait_dscnt 0x0
	s_barrier_signal -1
	s_barrier_wait -1
	s_barrier_signal -1
	s_barrier_wait -1
	s_and_saveexec_b32 s1, s6
; %bb.643:                              ;   in Loop: Header=BB97_3 Depth=1
	ds_store_b32 v51, v28 offset:16128
; %bb.644:                              ;   in Loop: Header=BB97_3 Depth=1
	s_or_b32 exec_lo, exec_lo, s1
	s_wait_dscnt 0x0
	s_barrier_signal -1
	s_barrier_wait -1
	s_barrier_signal -1
	s_barrier_wait -1
	s_and_saveexec_b32 s1, s11
; %bb.645:                              ;   in Loop: Header=BB97_3 Depth=1
	v_add_nc_u32_e64 v28, 0x1c00, 0
	ds_store_2addr_b32 v28, v62, v62 offset0:158 offset1:223
; %bb.646:                              ;   in Loop: Header=BB97_3 Depth=1
	s_or_b32 exec_lo, exec_lo, s1
	v_mov_b32_e32 v28, 0
	s_wait_dscnt 0x0
	s_barrier_signal -1
	s_barrier_wait -1
	global_wb scope:SCOPE_DEV
	s_wait_storecnt 0x0
	global_inv scope:SCOPE_DEV
	s_and_saveexec_b32 s1, s2
	s_cbranch_execz .LBB97_650
; %bb.647:                              ;   in Loop: Header=BB97_3 Depth=1
	ds_load_b32 v28, v33 offset:7792
	ds_load_b32 v29, v32 offset:8056
	s_wait_dscnt 0x0
	v_fma_f32 v28, v28, v29, 0
	s_and_saveexec_b32 s20, s12
	s_cbranch_execz .LBB97_649
; %bb.648:                              ;   in Loop: Header=BB97_3 Depth=1
	ds_load_b32 v29, v34 offset:8048
	ds_load_b32 v31, v7 offset:8060
	s_wait_dscnt 0x0
	v_fmac_f32_e32 v28, v29, v31
.LBB97_649:                             ;   in Loop: Header=BB97_3 Depth=1
	s_or_b32 exec_lo, exec_lo, s20
.LBB97_650:                             ;   in Loop: Header=BB97_3 Depth=1
	s_delay_alu instid0(SALU_CYCLE_1)
	s_or_b32 exec_lo, exec_lo, s1
	s_and_saveexec_b32 s1, s101
; %bb.651:                              ;   in Loop: Header=BB97_3 Depth=1
	s_delay_alu instid0(VALU_DEP_1)
	v_xor_b32_e32 v29, 0x80000000, v28
	ds_store_b32 v5, v29
; %bb.652:                              ;   in Loop: Header=BB97_3 Depth=1
	s_or_b32 exec_lo, exec_lo, s1
	s_wait_loadcnt_dscnt 0x0
	s_barrier_signal -1
	s_barrier_wait -1
	s_and_saveexec_b32 s1, s102
	s_cbranch_execz .LBB97_654
; %bb.653:                              ;   in Loop: Header=BB97_3 Depth=1
	ds_load_b32 v29, v7 offset:7536
	ds_load_b32 v31, v5
	s_wait_dscnt 0x0
	v_fma_f32 v28, -v29, v31, v28
.LBB97_654:                             ;   in Loop: Header=BB97_3 Depth=1
	s_or_b32 exec_lo, exec_lo, s1
	s_barrier_signal -1
	s_barrier_wait -1
	s_and_saveexec_b32 s1, s102
; %bb.655:                              ;   in Loop: Header=BB97_3 Depth=1
	v_xor_b32_e32 v29, 0x80000000, v28
	ds_store_b32 v5, v29
; %bb.656:                              ;   in Loop: Header=BB97_3 Depth=1
	s_or_b32 exec_lo, exec_lo, s1
	s_wait_dscnt 0x0
	s_barrier_signal -1
	s_barrier_wait -1
	s_barrier_signal -1
	s_barrier_wait -1
	s_and_saveexec_b32 s1, s2
; %bb.657:                              ;   in Loop: Header=BB97_3 Depth=1
	ds_store_b32 v36, v28 offset:8048
; %bb.658:                              ;   in Loop: Header=BB97_3 Depth=1
	s_or_b32 exec_lo, exec_lo, s1
	s_wait_dscnt 0x0
	s_barrier_signal -1
	s_barrier_wait -1
	s_barrier_signal -1
	s_barrier_wait -1
	s_and_saveexec_b32 s1, s11
; %bb.659:                              ;   in Loop: Header=BB97_3 Depth=1
	v_add_nc_u32_e64 v28, 0x1c00, 0
	ds_store_2addr_b32 v28, v62, v62 offset0:28 offset1:93
; %bb.660:                              ;   in Loop: Header=BB97_3 Depth=1
	s_or_b32 exec_lo, exec_lo, s1
	v_mov_b32_e32 v28, 0
	s_wait_dscnt 0x0
	s_barrier_signal -1
	s_barrier_wait -1
	global_wb scope:SCOPE_DEV
	s_wait_storecnt 0x0
	global_inv scope:SCOPE_DEV
	s_and_saveexec_b32 s1, s3
	s_cbranch_execz .LBB97_666
; %bb.661:                              ;   in Loop: Header=BB97_3 Depth=1
	ds_load_b32 v28, v35 offset:7264
	ds_load_b32 v29, v38 offset:8048
	s_wait_dscnt 0x0
	v_fma_f32 v28, v28, v29, 0
	s_and_saveexec_b32 s20, s13
	s_cbranch_execnz .LBB97_1139
; %bb.662:                              ;   in Loop: Header=BB97_3 Depth=1
	s_or_b32 exec_lo, exec_lo, s20
	s_and_saveexec_b32 s20, s14
	s_cbranch_execnz .LBB97_1140
.LBB97_663:                             ;   in Loop: Header=BB97_3 Depth=1
	s_or_b32 exec_lo, exec_lo, s20
	s_and_saveexec_b32 s20, s2
	s_cbranch_execz .LBB97_665
.LBB97_664:                             ;   in Loop: Header=BB97_3 Depth=1
	ds_load_b32 v29, v34 offset:8032
	ds_load_b32 v31, v7 offset:8060
	s_wait_dscnt 0x0
	v_fmac_f32_e32 v28, v29, v31
.LBB97_665:                             ;   in Loop: Header=BB97_3 Depth=1
	s_or_b32 exec_lo, exec_lo, s20
.LBB97_666:                             ;   in Loop: Header=BB97_3 Depth=1
	s_delay_alu instid0(SALU_CYCLE_1)
	s_or_b32 exec_lo, exec_lo, s1
	s_and_saveexec_b32 s1, s103
; %bb.667:                              ;   in Loop: Header=BB97_3 Depth=1
	s_delay_alu instid0(VALU_DEP_1)
	v_xor_b32_e32 v29, 0x80000000, v28
	ds_store_b32 v37, v29
; %bb.668:                              ;   in Loop: Header=BB97_3 Depth=1
	s_or_b32 exec_lo, exec_lo, s1
	s_wait_loadcnt_dscnt 0x0
	s_barrier_signal -1
	s_barrier_wait -1
	s_and_saveexec_b32 s1, s104
	s_cbranch_execz .LBB97_670
; %bb.669:                              ;   in Loop: Header=BB97_3 Depth=1
	ds_load_b32 v29, v35 offset:7008
	ds_load_b32 v31, v37
	s_wait_dscnt 0x0
	v_fma_f32 v28, -v29, v31, v28
.LBB97_670:                             ;   in Loop: Header=BB97_3 Depth=1
	s_or_b32 exec_lo, exec_lo, s1
	s_barrier_signal -1
	s_barrier_wait -1
	s_and_saveexec_b32 s1, vcc_hi
; %bb.671:                              ;   in Loop: Header=BB97_3 Depth=1
	v_xor_b32_e32 v29, 0x80000000, v28
	ds_store_b32 v37, v29
; %bb.672:                              ;   in Loop: Header=BB97_3 Depth=1
	s_or_b32 exec_lo, exec_lo, s1
	s_wait_dscnt 0x0
	s_barrier_signal -1
	s_barrier_wait -1
	s_and_saveexec_b32 s1, s31
	s_cbranch_execz .LBB97_674
; %bb.673:                              ;   in Loop: Header=BB97_3 Depth=1
	ds_load_b32 v29, v35 offset:6752
	ds_load_b32 v31, v37
	s_wait_dscnt 0x0
	v_fma_f32 v28, -v29, v31, v28
.LBB97_674:                             ;   in Loop: Header=BB97_3 Depth=1
	s_or_b32 exec_lo, exec_lo, s1
	s_barrier_signal -1
	s_barrier_wait -1
	s_and_saveexec_b32 s1, s33
; %bb.675:                              ;   in Loop: Header=BB97_3 Depth=1
	v_xor_b32_e32 v29, 0x80000000, v28
	ds_store_b32 v37, v29
; %bb.676:                              ;   in Loop: Header=BB97_3 Depth=1
	s_or_b32 exec_lo, exec_lo, s1
	s_wait_dscnt 0x0
	s_barrier_signal -1
	s_barrier_wait -1
	s_and_saveexec_b32 s1, s34
	s_cbranch_execz .LBB97_678
; %bb.677:                              ;   in Loop: Header=BB97_3 Depth=1
	ds_load_b32 v29, v7 offset:6496
	ds_load_b32 v31, v37
	s_wait_dscnt 0x0
	v_fma_f32 v28, -v29, v31, v28
.LBB97_678:                             ;   in Loop: Header=BB97_3 Depth=1
	s_or_b32 exec_lo, exec_lo, s1
	s_barrier_signal -1
	s_barrier_wait -1
	s_and_saveexec_b32 s1, s34
; %bb.679:                              ;   in Loop: Header=BB97_3 Depth=1
	v_xor_b32_e32 v29, 0x80000000, v28
	ds_store_b32 v37, v29
; %bb.680:                              ;   in Loop: Header=BB97_3 Depth=1
	s_or_b32 exec_lo, exec_lo, s1
	s_wait_dscnt 0x0
	s_barrier_signal -1
	s_barrier_wait -1
	s_barrier_signal -1
	s_barrier_wait -1
	s_and_saveexec_b32 s1, s3
; %bb.681:                              ;   in Loop: Header=BB97_3 Depth=1
	ds_store_b32 v39, v28 offset:8032
; %bb.682:                              ;   in Loop: Header=BB97_3 Depth=1
	s_or_b32 exec_lo, exec_lo, s1
	s_wait_dscnt 0x0
	s_barrier_signal -1
	s_barrier_wait -1
	s_barrier_signal -1
	s_barrier_wait -1
	s_and_saveexec_b32 s1, s11
; %bb.683:                              ;   in Loop: Header=BB97_3 Depth=1
	v_add_nc_u32_e64 v28, 0x1800, 0
	ds_store_2addr_b32 v28, v62, v62 offset0:154 offset1:219
; %bb.684:                              ;   in Loop: Header=BB97_3 Depth=1
	s_or_b32 exec_lo, exec_lo, s1
	v_mov_b32_e32 v28, 0
	s_wait_dscnt 0x0
	s_barrier_signal -1
	s_barrier_wait -1
	global_wb scope:SCOPE_DEV
	s_wait_storecnt 0x0
	global_inv scope:SCOPE_DEV
	s_and_saveexec_b32 s1, s2
	s_cbranch_execz .LBB97_688
; %bb.685:                              ;   in Loop: Header=BB97_3 Depth=1
	ds_load_b32 v28, v33 offset:6752
	ds_load_b32 v29, v32 offset:7016
	s_wait_dscnt 0x0
	v_fma_f32 v28, v28, v29, 0
	s_and_saveexec_b32 s20, s12
	s_cbranch_execz .LBB97_687
; %bb.686:                              ;   in Loop: Header=BB97_3 Depth=1
	ds_load_b32 v29, v34 offset:7008
	ds_load_b32 v31, v7 offset:7020
	s_wait_dscnt 0x0
	v_fmac_f32_e32 v28, v29, v31
.LBB97_687:                             ;   in Loop: Header=BB97_3 Depth=1
	s_or_b32 exec_lo, exec_lo, s20
.LBB97_688:                             ;   in Loop: Header=BB97_3 Depth=1
	s_delay_alu instid0(SALU_CYCLE_1)
	s_or_b32 exec_lo, exec_lo, s1
	s_and_saveexec_b32 s1, s101
; %bb.689:                              ;   in Loop: Header=BB97_3 Depth=1
	s_delay_alu instid0(VALU_DEP_1)
	v_xor_b32_e32 v29, 0x80000000, v28
	ds_store_b32 v5, v29
; %bb.690:                              ;   in Loop: Header=BB97_3 Depth=1
	s_or_b32 exec_lo, exec_lo, s1
	s_wait_loadcnt_dscnt 0x0
	s_barrier_signal -1
	s_barrier_wait -1
	s_and_saveexec_b32 s1, s102
	s_cbranch_execz .LBB97_692
; %bb.691:                              ;   in Loop: Header=BB97_3 Depth=1
	ds_load_b32 v29, v7 offset:6496
	ds_load_b32 v31, v5
	s_wait_dscnt 0x0
	v_fma_f32 v28, -v29, v31, v28
.LBB97_692:                             ;   in Loop: Header=BB97_3 Depth=1
	s_or_b32 exec_lo, exec_lo, s1
	s_barrier_signal -1
	s_barrier_wait -1
	s_and_saveexec_b32 s1, s102
; %bb.693:                              ;   in Loop: Header=BB97_3 Depth=1
	v_xor_b32_e32 v29, 0x80000000, v28
	ds_store_b32 v5, v29
; %bb.694:                              ;   in Loop: Header=BB97_3 Depth=1
	s_or_b32 exec_lo, exec_lo, s1
	s_wait_dscnt 0x0
	s_barrier_signal -1
	s_barrier_wait -1
	s_barrier_signal -1
	s_barrier_wait -1
	s_and_saveexec_b32 s1, s2
; %bb.695:                              ;   in Loop: Header=BB97_3 Depth=1
	ds_store_b32 v36, v28 offset:7008
; %bb.696:                              ;   in Loop: Header=BB97_3 Depth=1
	s_or_b32 exec_lo, exec_lo, s1
	s_wait_dscnt 0x0
	s_barrier_signal -1
	s_barrier_wait -1
	s_barrier_signal -1
	s_barrier_wait -1
	s_and_saveexec_b32 s1, s11
; %bb.697:                              ;   in Loop: Header=BB97_3 Depth=1
	v_add_nc_u32_e64 v28, 0x1800, 0
	ds_store_2addr_b32 v28, v62, v62 offset0:24 offset1:89
; %bb.698:                              ;   in Loop: Header=BB97_3 Depth=1
	s_or_b32 exec_lo, exec_lo, s1
	v_mov_b32_e32 v28, 0
	s_wait_dscnt 0x0
	s_barrier_signal -1
	s_barrier_wait -1
	global_wb scope:SCOPE_DEV
	s_wait_storecnt 0x0
	global_inv scope:SCOPE_DEV
	s_and_saveexec_b32 s1, s4
	s_cbranch_execz .LBB97_708
; %bb.699:                              ;   in Loop: Header=BB97_3 Depth=1
	ds_load_b32 v28, v40 offset:6208
	ds_load_b32 v29, v42 offset:8032
	s_wait_dscnt 0x0
	v_fma_f32 v28, v28, v29, 0
	s_and_saveexec_b32 s20, s15
	s_cbranch_execnz .LBB97_1141
; %bb.700:                              ;   in Loop: Header=BB97_3 Depth=1
	s_or_b32 exec_lo, exec_lo, s20
	s_and_saveexec_b32 s20, s16
	s_cbranch_execnz .LBB97_1142
.LBB97_701:                             ;   in Loop: Header=BB97_3 Depth=1
	s_or_b32 exec_lo, exec_lo, s20
	s_and_saveexec_b32 s20, s17
	s_cbranch_execnz .LBB97_1143
.LBB97_702:                             ;   in Loop: Header=BB97_3 Depth=1
	s_or_b32 exec_lo, exec_lo, s20
	s_and_saveexec_b32 s20, s18
	s_cbranch_execnz .LBB97_1144
.LBB97_703:                             ;   in Loop: Header=BB97_3 Depth=1
	s_or_b32 exec_lo, exec_lo, s20
	s_and_saveexec_b32 s20, s19
	s_cbranch_execnz .LBB97_1145
.LBB97_704:                             ;   in Loop: Header=BB97_3 Depth=1
	s_or_b32 exec_lo, exec_lo, s20
	s_and_saveexec_b32 s20, s3
	s_cbranch_execnz .LBB97_1146
.LBB97_705:                             ;   in Loop: Header=BB97_3 Depth=1
	s_or_b32 exec_lo, exec_lo, s20
	s_and_saveexec_b32 s20, s14
	s_cbranch_execz .LBB97_707
.LBB97_706:                             ;   in Loop: Header=BB97_3 Depth=1
	ds_load_b32 v29, v34 offset:8000
	ds_load_b32 v31, v7 offset:8060
	s_wait_dscnt 0x0
	v_fmac_f32_e32 v28, v29, v31
.LBB97_707:                             ;   in Loop: Header=BB97_3 Depth=1
	s_or_b32 exec_lo, exec_lo, s20
.LBB97_708:                             ;   in Loop: Header=BB97_3 Depth=1
	s_delay_alu instid0(SALU_CYCLE_1)
	s_or_b32 exec_lo, exec_lo, s1
	s_and_saveexec_b32 s1, s35
; %bb.709:                              ;   in Loop: Header=BB97_3 Depth=1
	s_delay_alu instid0(VALU_DEP_1)
	v_xor_b32_e32 v29, 0x80000000, v28
	ds_store_b32 v41, v29
; %bb.710:                              ;   in Loop: Header=BB97_3 Depth=1
	s_or_b32 exec_lo, exec_lo, s1
	s_wait_loadcnt_dscnt 0x0
	s_barrier_signal -1
	s_barrier_wait -1
	s_and_saveexec_b32 s1, s36
	s_cbranch_execz .LBB97_712
; %bb.711:                              ;   in Loop: Header=BB97_3 Depth=1
	ds_load_b32 v29, v40 offset:5952
	ds_load_b32 v31, v41
	s_wait_dscnt 0x0
	v_fma_f32 v28, -v29, v31, v28
.LBB97_712:                             ;   in Loop: Header=BB97_3 Depth=1
	s_or_b32 exec_lo, exec_lo, s1
	s_barrier_signal -1
	s_barrier_wait -1
	s_and_saveexec_b32 s1, s37
; %bb.713:                              ;   in Loop: Header=BB97_3 Depth=1
	v_xor_b32_e32 v29, 0x80000000, v28
	ds_store_b32 v41, v29
; %bb.714:                              ;   in Loop: Header=BB97_3 Depth=1
	s_or_b32 exec_lo, exec_lo, s1
	s_wait_dscnt 0x0
	s_barrier_signal -1
	s_barrier_wait -1
	s_and_saveexec_b32 s1, s38
	s_cbranch_execz .LBB97_716
; %bb.715:                              ;   in Loop: Header=BB97_3 Depth=1
	ds_load_b32 v29, v40 offset:5696
	ds_load_b32 v31, v41
	s_wait_dscnt 0x0
	v_fma_f32 v28, -v29, v31, v28
.LBB97_716:                             ;   in Loop: Header=BB97_3 Depth=1
	s_or_b32 exec_lo, exec_lo, s1
	s_barrier_signal -1
	s_barrier_wait -1
	s_and_saveexec_b32 s1, s39
; %bb.717:                              ;   in Loop: Header=BB97_3 Depth=1
	v_xor_b32_e32 v29, 0x80000000, v28
	ds_store_b32 v41, v29
; %bb.718:                              ;   in Loop: Header=BB97_3 Depth=1
	s_or_b32 exec_lo, exec_lo, s1
	s_wait_dscnt 0x0
	s_barrier_signal -1
	s_barrier_wait -1
	s_and_saveexec_b32 s1, s40
	s_cbranch_execz .LBB97_720
; %bb.719:                              ;   in Loop: Header=BB97_3 Depth=1
	ds_load_b32 v29, v40 offset:5440
	ds_load_b32 v31, v41
	s_wait_dscnt 0x0
	v_fma_f32 v28, -v29, v31, v28
.LBB97_720:                             ;   in Loop: Header=BB97_3 Depth=1
	s_or_b32 exec_lo, exec_lo, s1
	s_barrier_signal -1
	s_barrier_wait -1
	s_and_saveexec_b32 s1, s41
; %bb.721:                              ;   in Loop: Header=BB97_3 Depth=1
	v_xor_b32_e32 v29, 0x80000000, v28
	ds_store_b32 v41, v29
; %bb.722:                              ;   in Loop: Header=BB97_3 Depth=1
	s_or_b32 exec_lo, exec_lo, s1
	s_wait_dscnt 0x0
	s_barrier_signal -1
	s_barrier_wait -1
	s_and_saveexec_b32 s1, s42
	s_cbranch_execz .LBB97_724
; %bb.723:                              ;   in Loop: Header=BB97_3 Depth=1
	ds_load_b32 v29, v40 offset:5184
	ds_load_b32 v31, v41
	s_wait_dscnt 0x0
	v_fma_f32 v28, -v29, v31, v28
.LBB97_724:                             ;   in Loop: Header=BB97_3 Depth=1
	s_or_b32 exec_lo, exec_lo, s1
	s_barrier_signal -1
	s_barrier_wait -1
	s_and_saveexec_b32 s1, s43
; %bb.725:                              ;   in Loop: Header=BB97_3 Depth=1
	v_xor_b32_e32 v29, 0x80000000, v28
	ds_store_b32 v41, v29
; %bb.726:                              ;   in Loop: Header=BB97_3 Depth=1
	s_or_b32 exec_lo, exec_lo, s1
	s_wait_dscnt 0x0
	s_barrier_signal -1
	s_barrier_wait -1
	s_and_saveexec_b32 s1, s44
	s_cbranch_execz .LBB97_728
; %bb.727:                              ;   in Loop: Header=BB97_3 Depth=1
	ds_load_b32 v29, v40 offset:4928
	ds_load_b32 v31, v41
	s_wait_dscnt 0x0
	v_fma_f32 v28, -v29, v31, v28
.LBB97_728:                             ;   in Loop: Header=BB97_3 Depth=1
	s_or_b32 exec_lo, exec_lo, s1
	s_barrier_signal -1
	s_barrier_wait -1
	s_and_saveexec_b32 s1, s45
; %bb.729:                              ;   in Loop: Header=BB97_3 Depth=1
	v_xor_b32_e32 v29, 0x80000000, v28
	ds_store_b32 v41, v29
; %bb.730:                              ;   in Loop: Header=BB97_3 Depth=1
	s_or_b32 exec_lo, exec_lo, s1
	s_wait_dscnt 0x0
	s_barrier_signal -1
	s_barrier_wait -1
	s_and_saveexec_b32 s1, s46
	s_cbranch_execz .LBB97_732
; %bb.731:                              ;   in Loop: Header=BB97_3 Depth=1
	ds_load_b32 v29, v40 offset:4672
	ds_load_b32 v31, v41
	s_wait_dscnt 0x0
	v_fma_f32 v28, -v29, v31, v28
.LBB97_732:                             ;   in Loop: Header=BB97_3 Depth=1
	s_or_b32 exec_lo, exec_lo, s1
	s_barrier_signal -1
	s_barrier_wait -1
	s_and_saveexec_b32 s1, s47
; %bb.733:                              ;   in Loop: Header=BB97_3 Depth=1
	v_xor_b32_e32 v29, 0x80000000, v28
	ds_store_b32 v41, v29
; %bb.734:                              ;   in Loop: Header=BB97_3 Depth=1
	s_or_b32 exec_lo, exec_lo, s1
	s_wait_dscnt 0x0
	s_barrier_signal -1
	s_barrier_wait -1
	s_and_saveexec_b32 s1, s48
	s_cbranch_execz .LBB97_736
; %bb.735:                              ;   in Loop: Header=BB97_3 Depth=1
	ds_load_b32 v29, v7 offset:4416
	ds_load_b32 v31, v41
	s_wait_dscnt 0x0
	v_fma_f32 v28, -v29, v31, v28
.LBB97_736:                             ;   in Loop: Header=BB97_3 Depth=1
	s_or_b32 exec_lo, exec_lo, s1
	s_barrier_signal -1
	s_barrier_wait -1
	s_and_saveexec_b32 s1, s48
; %bb.737:                              ;   in Loop: Header=BB97_3 Depth=1
	v_xor_b32_e32 v29, 0x80000000, v28
	ds_store_b32 v41, v29
; %bb.738:                              ;   in Loop: Header=BB97_3 Depth=1
	s_or_b32 exec_lo, exec_lo, s1
	s_wait_dscnt 0x0
	s_barrier_signal -1
	s_barrier_wait -1
	s_barrier_signal -1
	s_barrier_wait -1
	s_and_saveexec_b32 s1, s4
; %bb.739:                              ;   in Loop: Header=BB97_3 Depth=1
	ds_store_b32 v43, v28 offset:8000
; %bb.740:                              ;   in Loop: Header=BB97_3 Depth=1
	s_or_b32 exec_lo, exec_lo, s1
	s_wait_dscnt 0x0
	s_barrier_signal -1
	s_barrier_wait -1
	s_barrier_signal -1
	s_barrier_wait -1
	s_and_saveexec_b32 s1, s11
; %bb.741:                              ;   in Loop: Header=BB97_3 Depth=1
	v_add_nc_u32_e64 v28, 0x1400, 0
	ds_store_2addr_b32 v28, v62, v62 offset0:150 offset1:215
; %bb.742:                              ;   in Loop: Header=BB97_3 Depth=1
	s_or_b32 exec_lo, exec_lo, s1
	v_mov_b32_e32 v28, 0
	s_wait_dscnt 0x0
	s_barrier_signal -1
	s_barrier_wait -1
	global_wb scope:SCOPE_DEV
	s_wait_storecnt 0x0
	global_inv scope:SCOPE_DEV
	s_and_saveexec_b32 s1, s2
	s_cbranch_execz .LBB97_746
; %bb.743:                              ;   in Loop: Header=BB97_3 Depth=1
	ds_load_b32 v28, v33 offset:5712
	ds_load_b32 v29, v32 offset:5976
	s_wait_dscnt 0x0
	v_fma_f32 v28, v28, v29, 0
	s_and_saveexec_b32 s20, s12
	s_cbranch_execz .LBB97_745
; %bb.744:                              ;   in Loop: Header=BB97_3 Depth=1
	ds_load_b32 v29, v34 offset:5968
	ds_load_b32 v31, v7 offset:5980
	s_wait_dscnt 0x0
	v_fmac_f32_e32 v28, v29, v31
.LBB97_745:                             ;   in Loop: Header=BB97_3 Depth=1
	s_or_b32 exec_lo, exec_lo, s20
.LBB97_746:                             ;   in Loop: Header=BB97_3 Depth=1
	s_delay_alu instid0(SALU_CYCLE_1)
	s_or_b32 exec_lo, exec_lo, s1
	s_and_saveexec_b32 s1, s101
; %bb.747:                              ;   in Loop: Header=BB97_3 Depth=1
	s_delay_alu instid0(VALU_DEP_1)
	v_xor_b32_e32 v29, 0x80000000, v28
	ds_store_b32 v5, v29
; %bb.748:                              ;   in Loop: Header=BB97_3 Depth=1
	s_or_b32 exec_lo, exec_lo, s1
	s_wait_loadcnt_dscnt 0x0
	s_barrier_signal -1
	s_barrier_wait -1
	s_and_saveexec_b32 s1, s102
	s_cbranch_execz .LBB97_750
; %bb.749:                              ;   in Loop: Header=BB97_3 Depth=1
	ds_load_b32 v29, v7 offset:5456
	ds_load_b32 v31, v5
	s_wait_dscnt 0x0
	v_fma_f32 v28, -v29, v31, v28
.LBB97_750:                             ;   in Loop: Header=BB97_3 Depth=1
	s_or_b32 exec_lo, exec_lo, s1
	s_barrier_signal -1
	s_barrier_wait -1
	s_and_saveexec_b32 s1, s102
; %bb.751:                              ;   in Loop: Header=BB97_3 Depth=1
	v_xor_b32_e32 v29, 0x80000000, v28
	ds_store_b32 v5, v29
; %bb.752:                              ;   in Loop: Header=BB97_3 Depth=1
	s_or_b32 exec_lo, exec_lo, s1
	s_wait_dscnt 0x0
	s_barrier_signal -1
	s_barrier_wait -1
	s_barrier_signal -1
	s_barrier_wait -1
	s_and_saveexec_b32 s1, s2
; %bb.753:                              ;   in Loop: Header=BB97_3 Depth=1
	ds_store_b32 v36, v28 offset:5968
; %bb.754:                              ;   in Loop: Header=BB97_3 Depth=1
	s_or_b32 exec_lo, exec_lo, s1
	s_wait_dscnt 0x0
	s_barrier_signal -1
	s_barrier_wait -1
	s_barrier_signal -1
	s_barrier_wait -1
	s_and_saveexec_b32 s1, s11
; %bb.755:                              ;   in Loop: Header=BB97_3 Depth=1
	v_add_nc_u32_e64 v28, 0x1400, 0
	ds_store_2addr_b32 v28, v62, v62 offset0:20 offset1:85
; %bb.756:                              ;   in Loop: Header=BB97_3 Depth=1
	s_or_b32 exec_lo, exec_lo, s1
	v_mov_b32_e32 v28, 0
	s_wait_dscnt 0x0
	s_barrier_signal -1
	s_barrier_wait -1
	global_wb scope:SCOPE_DEV
	s_wait_storecnt 0x0
	global_inv scope:SCOPE_DEV
	s_and_saveexec_b32 s1, s3
	s_cbranch_execz .LBB97_762
; %bb.757:                              ;   in Loop: Header=BB97_3 Depth=1
	ds_load_b32 v28, v35 offset:5184
	ds_load_b32 v29, v38 offset:5968
	s_wait_dscnt 0x0
	v_fma_f32 v28, v28, v29, 0
	s_and_saveexec_b32 s20, s13
	s_cbranch_execnz .LBB97_1147
; %bb.758:                              ;   in Loop: Header=BB97_3 Depth=1
	s_or_b32 exec_lo, exec_lo, s20
	s_and_saveexec_b32 s20, s14
	s_cbranch_execnz .LBB97_1148
.LBB97_759:                             ;   in Loop: Header=BB97_3 Depth=1
	s_or_b32 exec_lo, exec_lo, s20
	s_and_saveexec_b32 s20, s2
	s_cbranch_execz .LBB97_761
.LBB97_760:                             ;   in Loop: Header=BB97_3 Depth=1
	ds_load_b32 v29, v34 offset:5952
	ds_load_b32 v31, v7 offset:5980
	s_wait_dscnt 0x0
	v_fmac_f32_e32 v28, v29, v31
.LBB97_761:                             ;   in Loop: Header=BB97_3 Depth=1
	s_or_b32 exec_lo, exec_lo, s20
.LBB97_762:                             ;   in Loop: Header=BB97_3 Depth=1
	s_delay_alu instid0(SALU_CYCLE_1)
	s_or_b32 exec_lo, exec_lo, s1
	s_and_saveexec_b32 s1, s103
; %bb.763:                              ;   in Loop: Header=BB97_3 Depth=1
	s_delay_alu instid0(VALU_DEP_1)
	v_xor_b32_e32 v29, 0x80000000, v28
	ds_store_b32 v37, v29
; %bb.764:                              ;   in Loop: Header=BB97_3 Depth=1
	s_or_b32 exec_lo, exec_lo, s1
	s_wait_loadcnt_dscnt 0x0
	s_barrier_signal -1
	s_barrier_wait -1
	s_and_saveexec_b32 s1, s104
	s_cbranch_execz .LBB97_766
; %bb.765:                              ;   in Loop: Header=BB97_3 Depth=1
	ds_load_b32 v29, v35 offset:4928
	ds_load_b32 v31, v37
	s_wait_dscnt 0x0
	v_fma_f32 v28, -v29, v31, v28
.LBB97_766:                             ;   in Loop: Header=BB97_3 Depth=1
	s_or_b32 exec_lo, exec_lo, s1
	s_barrier_signal -1
	s_barrier_wait -1
	s_and_saveexec_b32 s1, vcc_hi
; %bb.767:                              ;   in Loop: Header=BB97_3 Depth=1
	v_xor_b32_e32 v29, 0x80000000, v28
	ds_store_b32 v37, v29
; %bb.768:                              ;   in Loop: Header=BB97_3 Depth=1
	s_or_b32 exec_lo, exec_lo, s1
	s_wait_dscnt 0x0
	s_barrier_signal -1
	s_barrier_wait -1
	s_and_saveexec_b32 s1, s31
	s_cbranch_execz .LBB97_770
; %bb.769:                              ;   in Loop: Header=BB97_3 Depth=1
	ds_load_b32 v29, v35 offset:4672
	ds_load_b32 v31, v37
	s_wait_dscnt 0x0
	v_fma_f32 v28, -v29, v31, v28
.LBB97_770:                             ;   in Loop: Header=BB97_3 Depth=1
	s_or_b32 exec_lo, exec_lo, s1
	s_barrier_signal -1
	s_barrier_wait -1
	s_and_saveexec_b32 s1, s33
; %bb.771:                              ;   in Loop: Header=BB97_3 Depth=1
	v_xor_b32_e32 v29, 0x80000000, v28
	ds_store_b32 v37, v29
; %bb.772:                              ;   in Loop: Header=BB97_3 Depth=1
	s_or_b32 exec_lo, exec_lo, s1
	s_wait_dscnt 0x0
	s_barrier_signal -1
	s_barrier_wait -1
	s_and_saveexec_b32 s1, s34
	s_cbranch_execz .LBB97_774
; %bb.773:                              ;   in Loop: Header=BB97_3 Depth=1
	ds_load_b32 v29, v7 offset:4416
	ds_load_b32 v31, v37
	s_wait_dscnt 0x0
	v_fma_f32 v28, -v29, v31, v28
.LBB97_774:                             ;   in Loop: Header=BB97_3 Depth=1
	s_or_b32 exec_lo, exec_lo, s1
	s_barrier_signal -1
	s_barrier_wait -1
	s_and_saveexec_b32 s1, s34
; %bb.775:                              ;   in Loop: Header=BB97_3 Depth=1
	v_xor_b32_e32 v29, 0x80000000, v28
	ds_store_b32 v37, v29
; %bb.776:                              ;   in Loop: Header=BB97_3 Depth=1
	s_or_b32 exec_lo, exec_lo, s1
	s_wait_dscnt 0x0
	s_barrier_signal -1
	s_barrier_wait -1
	s_barrier_signal -1
	s_barrier_wait -1
	s_and_saveexec_b32 s1, s3
; %bb.777:                              ;   in Loop: Header=BB97_3 Depth=1
	ds_store_b32 v39, v28 offset:5952
; %bb.778:                              ;   in Loop: Header=BB97_3 Depth=1
	s_or_b32 exec_lo, exec_lo, s1
	s_wait_dscnt 0x0
	s_barrier_signal -1
	s_barrier_wait -1
	s_barrier_signal -1
	s_barrier_wait -1
	s_and_saveexec_b32 s1, s11
; %bb.779:                              ;   in Loop: Header=BB97_3 Depth=1
	v_add_nc_u32_e64 v28, 0x1000, 0
	ds_store_2addr_b32 v28, v62, v62 offset0:146 offset1:211
; %bb.780:                              ;   in Loop: Header=BB97_3 Depth=1
	s_or_b32 exec_lo, exec_lo, s1
	v_mov_b32_e32 v28, 0
	s_wait_dscnt 0x0
	s_barrier_signal -1
	s_barrier_wait -1
	global_wb scope:SCOPE_DEV
	s_wait_storecnt 0x0
	global_inv scope:SCOPE_DEV
	s_and_saveexec_b32 s1, s2
	s_cbranch_execz .LBB97_784
; %bb.781:                              ;   in Loop: Header=BB97_3 Depth=1
	ds_load_b32 v28, v33 offset:4672
	ds_load_b32 v29, v32 offset:4936
	s_wait_dscnt 0x0
	v_fma_f32 v28, v28, v29, 0
	s_and_saveexec_b32 s20, s12
	s_cbranch_execz .LBB97_783
; %bb.782:                              ;   in Loop: Header=BB97_3 Depth=1
	ds_load_b32 v29, v34 offset:4928
	ds_load_b32 v31, v7 offset:4940
	s_wait_dscnt 0x0
	v_fmac_f32_e32 v28, v29, v31
.LBB97_783:                             ;   in Loop: Header=BB97_3 Depth=1
	s_or_b32 exec_lo, exec_lo, s20
.LBB97_784:                             ;   in Loop: Header=BB97_3 Depth=1
	s_delay_alu instid0(SALU_CYCLE_1)
	s_or_b32 exec_lo, exec_lo, s1
	s_and_saveexec_b32 s1, s101
; %bb.785:                              ;   in Loop: Header=BB97_3 Depth=1
	s_delay_alu instid0(VALU_DEP_1)
	v_xor_b32_e32 v29, 0x80000000, v28
	ds_store_b32 v5, v29
; %bb.786:                              ;   in Loop: Header=BB97_3 Depth=1
	s_or_b32 exec_lo, exec_lo, s1
	s_wait_loadcnt_dscnt 0x0
	s_barrier_signal -1
	s_barrier_wait -1
	s_and_saveexec_b32 s1, s102
	s_cbranch_execz .LBB97_788
; %bb.787:                              ;   in Loop: Header=BB97_3 Depth=1
	ds_load_b32 v29, v7 offset:4416
	ds_load_b32 v31, v5
	s_wait_dscnt 0x0
	v_fma_f32 v28, -v29, v31, v28
.LBB97_788:                             ;   in Loop: Header=BB97_3 Depth=1
	s_or_b32 exec_lo, exec_lo, s1
	s_barrier_signal -1
	s_barrier_wait -1
	s_and_saveexec_b32 s1, s102
; %bb.789:                              ;   in Loop: Header=BB97_3 Depth=1
	v_xor_b32_e32 v29, 0x80000000, v28
	ds_store_b32 v5, v29
; %bb.790:                              ;   in Loop: Header=BB97_3 Depth=1
	s_or_b32 exec_lo, exec_lo, s1
	s_wait_dscnt 0x0
	s_barrier_signal -1
	s_barrier_wait -1
	s_barrier_signal -1
	s_barrier_wait -1
	s_and_saveexec_b32 s1, s2
; %bb.791:                              ;   in Loop: Header=BB97_3 Depth=1
	ds_store_b32 v36, v28 offset:4928
; %bb.792:                              ;   in Loop: Header=BB97_3 Depth=1
	s_or_b32 exec_lo, exec_lo, s1
	s_wait_dscnt 0x0
	s_barrier_signal -1
	s_barrier_wait -1
	s_barrier_signal -1
	s_barrier_wait -1
	s_and_saveexec_b32 s1, s11
; %bb.793:                              ;   in Loop: Header=BB97_3 Depth=1
	v_add_nc_u32_e64 v28, 0x1000, 0
	ds_store_2addr_b32 v28, v62, v62 offset0:16 offset1:81
; %bb.794:                              ;   in Loop: Header=BB97_3 Depth=1
	s_or_b32 exec_lo, exec_lo, s1
	v_mov_b32_e32 v28, 0
	s_wait_dscnt 0x0
	s_barrier_signal -1
	s_barrier_wait -1
	global_wb scope:SCOPE_DEV
	s_wait_storecnt 0x0
	global_inv scope:SCOPE_DEV
	s_and_saveexec_b32 s1, s5
	s_cbranch_execz .LBB97_822
; %bb.795:                              ;   in Loop: Header=BB97_3 Depth=1
	ds_load_b32 v28, v44 offset:4096
	ds_load_b32 v29, v47 offset:8000
	s_wait_dscnt 0x0
	v_fma_f32 v28, v28, v29, 0
	s_mov_b32 s20, exec_lo
	v_readlane_b32 s22, v75, 21
	s_and_b32 s22, s20, s22
	s_delay_alu instid0(SALU_CYCLE_1)
	s_mov_b32 exec_lo, s22
	s_cbranch_execz .LBB97_797
; %bb.796:                              ;   in Loop: Header=BB97_3 Depth=1
	ds_load_b32 v29, v44 offset:4352
	ds_load_b32 v31, v47 offset:8004
	s_wait_dscnt 0x0
	v_fmac_f32_e32 v28, v29, v31
.LBB97_797:                             ;   in Loop: Header=BB97_3 Depth=1
	s_or_b32 exec_lo, exec_lo, s20
	s_delay_alu instid0(SALU_CYCLE_1) | instskip(SKIP_2) | instid1(SALU_CYCLE_1)
	s_mov_b32 s20, exec_lo
	v_readlane_b32 s22, v75, 22
	s_and_b32 s22, s20, s22
	s_mov_b32 exec_lo, s22
	s_cbranch_execz .LBB97_799
; %bb.798:                              ;   in Loop: Header=BB97_3 Depth=1
	ds_load_b32 v29, v44 offset:4608
	ds_load_b32 v31, v47 offset:8008
	s_wait_dscnt 0x0
	v_fmac_f32_e32 v28, v29, v31
.LBB97_799:                             ;   in Loop: Header=BB97_3 Depth=1
	s_or_b32 exec_lo, exec_lo, s20
	s_delay_alu instid0(SALU_CYCLE_1) | instskip(SKIP_2) | instid1(SALU_CYCLE_1)
	s_mov_b32 s20, exec_lo
	v_readlane_b32 s22, v75, 23
	s_and_b32 s22, s20, s22
	;; [unrolled: 13-line block ×10, first 2 shown]
	s_mov_b32 exec_lo, s22
	s_cbranch_execnz .LBB97_1149
; %bb.816:                              ;   in Loop: Header=BB97_3 Depth=1
	s_or_b32 exec_lo, exec_lo, s20
	s_and_saveexec_b32 s20, s4
	s_cbranch_execnz .LBB97_1150
.LBB97_817:                             ;   in Loop: Header=BB97_3 Depth=1
	s_or_b32 exec_lo, exec_lo, s20
	s_and_saveexec_b32 s20, s16
	s_cbranch_execnz .LBB97_1151
.LBB97_818:                             ;   in Loop: Header=BB97_3 Depth=1
	s_or_b32 exec_lo, exec_lo, s20
	s_and_saveexec_b32 s20, s18
	s_cbranch_execnz .LBB97_1152
.LBB97_819:                             ;   in Loop: Header=BB97_3 Depth=1
	s_or_b32 exec_lo, exec_lo, s20
	s_and_saveexec_b32 s20, s3
	s_cbranch_execz .LBB97_821
.LBB97_820:                             ;   in Loop: Header=BB97_3 Depth=1
	ds_load_b32 v29, v34 offset:7936
	ds_load_b32 v31, v7 offset:8060
	s_wait_dscnt 0x0
	v_fmac_f32_e32 v28, v29, v31
.LBB97_821:                             ;   in Loop: Header=BB97_3 Depth=1
	s_or_b32 exec_lo, exec_lo, s20
.LBB97_822:                             ;   in Loop: Header=BB97_3 Depth=1
	s_delay_alu instid0(SALU_CYCLE_1) | instskip(NEXT) | instid1(SALU_CYCLE_1)
	s_or_b32 exec_lo, exec_lo, s1
	s_mov_b32 s1, exec_lo
	v_readlane_b32 s20, v77, 2
	s_and_b32 s20, s1, s20
	s_delay_alu instid0(SALU_CYCLE_1)
	s_mov_b32 exec_lo, s20
; %bb.823:                              ;   in Loop: Header=BB97_3 Depth=1
	v_xor_b32_e32 v29, 0x80000000, v28
	ds_store_b32 v45, v29
; %bb.824:                              ;   in Loop: Header=BB97_3 Depth=1
	s_or_b32 exec_lo, exec_lo, s1
	s_wait_loadcnt_dscnt 0x0
	s_barrier_signal -1
	s_barrier_wait -1
	s_mov_b32 s1, exec_lo
	v_readlane_b32 s20, v77, 3
	s_and_b32 s20, s1, s20
	s_delay_alu instid0(SALU_CYCLE_1)
	s_mov_b32 exec_lo, s20
	s_cbranch_execz .LBB97_826
; %bb.825:                              ;   in Loop: Header=BB97_3 Depth=1
	ds_load_b32 v29, v44 offset:3840
	ds_load_b32 v31, v45
	s_wait_dscnt 0x0
	v_fma_f32 v28, -v29, v31, v28
.LBB97_826:                             ;   in Loop: Header=BB97_3 Depth=1
	s_or_b32 exec_lo, exec_lo, s1
	s_barrier_signal -1
	s_barrier_wait -1
	s_mov_b32 s1, exec_lo
	v_readlane_b32 s20, v77, 4
	s_and_b32 s20, s1, s20
	s_delay_alu instid0(SALU_CYCLE_1)
	s_mov_b32 exec_lo, s20
; %bb.827:                              ;   in Loop: Header=BB97_3 Depth=1
	v_xor_b32_e32 v29, 0x80000000, v28
	ds_store_b32 v45, v29
; %bb.828:                              ;   in Loop: Header=BB97_3 Depth=1
	s_or_b32 exec_lo, exec_lo, s1
	s_wait_dscnt 0x0
	s_barrier_signal -1
	s_barrier_wait -1
	s_mov_b32 s1, exec_lo
	v_readlane_b32 s20, v77, 5
	s_and_b32 s20, s1, s20
	s_delay_alu instid0(SALU_CYCLE_1)
	s_mov_b32 exec_lo, s20
	s_cbranch_execz .LBB97_830
; %bb.829:                              ;   in Loop: Header=BB97_3 Depth=1
	ds_load_b32 v29, v44 offset:3584
	ds_load_b32 v31, v45
	s_wait_dscnt 0x0
	v_fma_f32 v28, -v29, v31, v28
.LBB97_830:                             ;   in Loop: Header=BB97_3 Depth=1
	s_or_b32 exec_lo, exec_lo, s1
	s_barrier_signal -1
	s_barrier_wait -1
	s_mov_b32 s1, exec_lo
	v_readlane_b32 s20, v77, 6
	s_and_b32 s20, s1, s20
	s_delay_alu instid0(SALU_CYCLE_1)
	s_mov_b32 exec_lo, s20
; %bb.831:                              ;   in Loop: Header=BB97_3 Depth=1
	v_xor_b32_e32 v29, 0x80000000, v28
	ds_store_b32 v45, v29
; %bb.832:                              ;   in Loop: Header=BB97_3 Depth=1
	s_or_b32 exec_lo, exec_lo, s1
	s_wait_dscnt 0x0
	;; [unrolled: 28-line block ×3, first 2 shown]
	s_barrier_signal -1
	s_barrier_wait -1
	s_mov_b32 s1, exec_lo
	v_readlane_b32 s20, v77, 9
	s_and_b32 s20, s1, s20
	s_delay_alu instid0(SALU_CYCLE_1)
	s_mov_b32 exec_lo, s20
	s_cbranch_execz .LBB97_838
; %bb.837:                              ;   in Loop: Header=BB97_3 Depth=1
	ds_load_b32 v29, v44 offset:3072
	ds_load_b32 v31, v45
	s_wait_dscnt 0x0
	v_fma_f32 v28, -v29, v31, v28
.LBB97_838:                             ;   in Loop: Header=BB97_3 Depth=1
	s_or_b32 exec_lo, exec_lo, s1
	s_barrier_signal -1
	s_barrier_wait -1
	s_and_saveexec_b32 s1, s24
; %bb.839:                              ;   in Loop: Header=BB97_3 Depth=1
	v_xor_b32_e32 v29, 0x80000000, v28
	ds_store_b32 v45, v29
; %bb.840:                              ;   in Loop: Header=BB97_3 Depth=1
	s_or_b32 exec_lo, exec_lo, s1
	s_wait_dscnt 0x0
	s_barrier_signal -1
	s_barrier_wait -1
	s_and_saveexec_b32 s1, s26
	s_cbranch_execz .LBB97_842
; %bb.841:                              ;   in Loop: Header=BB97_3 Depth=1
	ds_load_b32 v29, v44 offset:2816
	ds_load_b32 v31, v45
	s_wait_dscnt 0x0
	v_fma_f32 v28, -v29, v31, v28
.LBB97_842:                             ;   in Loop: Header=BB97_3 Depth=1
	s_or_b32 exec_lo, exec_lo, s1
	s_barrier_signal -1
	s_barrier_wait -1
	s_and_saveexec_b32 s1, s28
; %bb.843:                              ;   in Loop: Header=BB97_3 Depth=1
	v_xor_b32_e32 v29, 0x80000000, v28
	ds_store_b32 v45, v29
; %bb.844:                              ;   in Loop: Header=BB97_3 Depth=1
	s_or_b32 exec_lo, exec_lo, s1
	s_wait_dscnt 0x0
	s_barrier_signal -1
	s_barrier_wait -1
	s_and_saveexec_b32 s1, s30
	;; [unrolled: 20-line block ×11, first 2 shown]
	s_cbranch_execz .LBB97_882
; %bb.881:                              ;   in Loop: Header=BB97_3 Depth=1
	ds_load_b32 v29, v7 offset:256
	ds_load_b32 v31, v45
	s_wait_dscnt 0x0
	v_fma_f32 v28, -v29, v31, v28
.LBB97_882:                             ;   in Loop: Header=BB97_3 Depth=1
	s_or_b32 exec_lo, exec_lo, s1
	s_barrier_signal -1
	s_barrier_wait -1
	s_and_saveexec_b32 s1, s51
; %bb.883:                              ;   in Loop: Header=BB97_3 Depth=1
	v_xor_b32_e32 v29, 0x80000000, v28
	ds_store_b32 v45, v29
; %bb.884:                              ;   in Loop: Header=BB97_3 Depth=1
	s_or_b32 exec_lo, exec_lo, s1
	s_wait_dscnt 0x0
	s_barrier_signal -1
	s_barrier_wait -1
	s_barrier_signal -1
	s_barrier_wait -1
	s_and_saveexec_b32 s1, s5
; %bb.885:                              ;   in Loop: Header=BB97_3 Depth=1
	ds_store_b32 v48, v28 offset:7936
; %bb.886:                              ;   in Loop: Header=BB97_3 Depth=1
	s_or_b32 exec_lo, exec_lo, s1
	s_wait_dscnt 0x0
	s_barrier_signal -1
	s_barrier_wait -1
	s_barrier_signal -1
	s_barrier_wait -1
	s_and_saveexec_b32 s1, s11
; %bb.887:                              ;   in Loop: Header=BB97_3 Depth=1
	v_add_nc_u32_e64 v28, 0xc00, 0
	ds_store_2addr_b32 v28, v62, v62 offset0:142 offset1:207
; %bb.888:                              ;   in Loop: Header=BB97_3 Depth=1
	s_or_b32 exec_lo, exec_lo, s1
	v_mov_b32_e32 v28, 0
	s_wait_dscnt 0x0
	s_barrier_signal -1
	s_barrier_wait -1
	global_wb scope:SCOPE_DEV
	s_wait_storecnt 0x0
	global_inv scope:SCOPE_DEV
	s_and_saveexec_b32 s1, s2
	s_cbranch_execz .LBB97_892
; %bb.889:                              ;   in Loop: Header=BB97_3 Depth=1
	ds_load_b32 v28, v33 offset:3632
	ds_load_b32 v29, v32 offset:3896
	s_wait_dscnt 0x0
	v_fma_f32 v28, v28, v29, 0
	s_and_saveexec_b32 s20, s12
	s_cbranch_execz .LBB97_891
; %bb.890:                              ;   in Loop: Header=BB97_3 Depth=1
	ds_load_b32 v29, v34 offset:3888
	ds_load_b32 v31, v7 offset:3900
	s_wait_dscnt 0x0
	v_fmac_f32_e32 v28, v29, v31
.LBB97_891:                             ;   in Loop: Header=BB97_3 Depth=1
	s_or_b32 exec_lo, exec_lo, s20
.LBB97_892:                             ;   in Loop: Header=BB97_3 Depth=1
	s_delay_alu instid0(SALU_CYCLE_1)
	s_or_b32 exec_lo, exec_lo, s1
	s_and_saveexec_b32 s1, s101
; %bb.893:                              ;   in Loop: Header=BB97_3 Depth=1
	s_delay_alu instid0(VALU_DEP_1)
	v_xor_b32_e32 v29, 0x80000000, v28
	ds_store_b32 v5, v29
; %bb.894:                              ;   in Loop: Header=BB97_3 Depth=1
	s_or_b32 exec_lo, exec_lo, s1
	s_wait_loadcnt_dscnt 0x0
	s_barrier_signal -1
	s_barrier_wait -1
	s_and_saveexec_b32 s1, s102
	s_cbranch_execz .LBB97_896
; %bb.895:                              ;   in Loop: Header=BB97_3 Depth=1
	ds_load_b32 v29, v7 offset:3376
	ds_load_b32 v31, v5
	s_wait_dscnt 0x0
	v_fma_f32 v28, -v29, v31, v28
.LBB97_896:                             ;   in Loop: Header=BB97_3 Depth=1
	s_or_b32 exec_lo, exec_lo, s1
	s_barrier_signal -1
	s_barrier_wait -1
	s_and_saveexec_b32 s1, s102
; %bb.897:                              ;   in Loop: Header=BB97_3 Depth=1
	v_xor_b32_e32 v29, 0x80000000, v28
	ds_store_b32 v5, v29
; %bb.898:                              ;   in Loop: Header=BB97_3 Depth=1
	s_or_b32 exec_lo, exec_lo, s1
	s_wait_dscnt 0x0
	s_barrier_signal -1
	s_barrier_wait -1
	s_barrier_signal -1
	s_barrier_wait -1
	s_and_saveexec_b32 s1, s2
; %bb.899:                              ;   in Loop: Header=BB97_3 Depth=1
	ds_store_b32 v36, v28 offset:3888
; %bb.900:                              ;   in Loop: Header=BB97_3 Depth=1
	s_or_b32 exec_lo, exec_lo, s1
	s_wait_dscnt 0x0
	s_barrier_signal -1
	s_barrier_wait -1
	s_barrier_signal -1
	s_barrier_wait -1
	s_and_saveexec_b32 s1, s11
; %bb.901:                              ;   in Loop: Header=BB97_3 Depth=1
	v_add_nc_u32_e64 v28, 0xc00, 0
	ds_store_2addr_b32 v28, v62, v62 offset0:12 offset1:77
; %bb.902:                              ;   in Loop: Header=BB97_3 Depth=1
	s_or_b32 exec_lo, exec_lo, s1
	v_mov_b32_e32 v28, 0
	s_wait_dscnt 0x0
	s_barrier_signal -1
	s_barrier_wait -1
	global_wb scope:SCOPE_DEV
	s_wait_storecnt 0x0
	global_inv scope:SCOPE_DEV
	s_and_saveexec_b32 s1, s3
	s_cbranch_execz .LBB97_908
; %bb.903:                              ;   in Loop: Header=BB97_3 Depth=1
	ds_load_b32 v28, v35 offset:3104
	ds_load_b32 v29, v38 offset:3888
	s_wait_dscnt 0x0
	v_fma_f32 v28, v28, v29, 0
	s_and_saveexec_b32 s20, s13
	s_cbranch_execnz .LBB97_1153
; %bb.904:                              ;   in Loop: Header=BB97_3 Depth=1
	s_or_b32 exec_lo, exec_lo, s20
	s_and_saveexec_b32 s20, s14
	s_cbranch_execnz .LBB97_1154
.LBB97_905:                             ;   in Loop: Header=BB97_3 Depth=1
	s_or_b32 exec_lo, exec_lo, s20
	s_and_saveexec_b32 s20, s2
	s_cbranch_execz .LBB97_907
.LBB97_906:                             ;   in Loop: Header=BB97_3 Depth=1
	ds_load_b32 v29, v34 offset:3872
	ds_load_b32 v31, v7 offset:3900
	s_wait_dscnt 0x0
	v_fmac_f32_e32 v28, v29, v31
.LBB97_907:                             ;   in Loop: Header=BB97_3 Depth=1
	s_or_b32 exec_lo, exec_lo, s20
.LBB97_908:                             ;   in Loop: Header=BB97_3 Depth=1
	s_delay_alu instid0(SALU_CYCLE_1)
	s_or_b32 exec_lo, exec_lo, s1
	s_and_saveexec_b32 s1, s103
; %bb.909:                              ;   in Loop: Header=BB97_3 Depth=1
	s_delay_alu instid0(VALU_DEP_1)
	v_xor_b32_e32 v29, 0x80000000, v28
	ds_store_b32 v37, v29
; %bb.910:                              ;   in Loop: Header=BB97_3 Depth=1
	s_or_b32 exec_lo, exec_lo, s1
	s_wait_loadcnt_dscnt 0x0
	s_barrier_signal -1
	s_barrier_wait -1
	s_and_saveexec_b32 s1, s104
	s_cbranch_execz .LBB97_912
; %bb.911:                              ;   in Loop: Header=BB97_3 Depth=1
	ds_load_b32 v29, v35 offset:2848
	ds_load_b32 v31, v37
	s_wait_dscnt 0x0
	v_fma_f32 v28, -v29, v31, v28
.LBB97_912:                             ;   in Loop: Header=BB97_3 Depth=1
	s_or_b32 exec_lo, exec_lo, s1
	s_barrier_signal -1
	s_barrier_wait -1
	s_and_saveexec_b32 s1, vcc_hi
; %bb.913:                              ;   in Loop: Header=BB97_3 Depth=1
	v_xor_b32_e32 v29, 0x80000000, v28
	ds_store_b32 v37, v29
; %bb.914:                              ;   in Loop: Header=BB97_3 Depth=1
	s_or_b32 exec_lo, exec_lo, s1
	s_wait_dscnt 0x0
	s_barrier_signal -1
	s_barrier_wait -1
	s_and_saveexec_b32 s1, s31
	s_cbranch_execz .LBB97_916
; %bb.915:                              ;   in Loop: Header=BB97_3 Depth=1
	ds_load_b32 v29, v35 offset:2592
	ds_load_b32 v31, v37
	s_wait_dscnt 0x0
	v_fma_f32 v28, -v29, v31, v28
.LBB97_916:                             ;   in Loop: Header=BB97_3 Depth=1
	s_or_b32 exec_lo, exec_lo, s1
	s_barrier_signal -1
	s_barrier_wait -1
	s_and_saveexec_b32 s1, s33
; %bb.917:                              ;   in Loop: Header=BB97_3 Depth=1
	v_xor_b32_e32 v29, 0x80000000, v28
	ds_store_b32 v37, v29
; %bb.918:                              ;   in Loop: Header=BB97_3 Depth=1
	s_or_b32 exec_lo, exec_lo, s1
	s_wait_dscnt 0x0
	s_barrier_signal -1
	s_barrier_wait -1
	s_and_saveexec_b32 s1, s34
	s_cbranch_execz .LBB97_920
; %bb.919:                              ;   in Loop: Header=BB97_3 Depth=1
	ds_load_b32 v29, v7 offset:2336
	ds_load_b32 v31, v37
	s_wait_dscnt 0x0
	v_fma_f32 v28, -v29, v31, v28
.LBB97_920:                             ;   in Loop: Header=BB97_3 Depth=1
	s_or_b32 exec_lo, exec_lo, s1
	s_barrier_signal -1
	s_barrier_wait -1
	s_and_saveexec_b32 s1, s34
; %bb.921:                              ;   in Loop: Header=BB97_3 Depth=1
	v_xor_b32_e32 v29, 0x80000000, v28
	ds_store_b32 v37, v29
; %bb.922:                              ;   in Loop: Header=BB97_3 Depth=1
	s_or_b32 exec_lo, exec_lo, s1
	s_wait_dscnt 0x0
	s_barrier_signal -1
	s_barrier_wait -1
	s_barrier_signal -1
	s_barrier_wait -1
	s_and_saveexec_b32 s1, s3
; %bb.923:                              ;   in Loop: Header=BB97_3 Depth=1
	ds_store_b32 v39, v28 offset:3872
; %bb.924:                              ;   in Loop: Header=BB97_3 Depth=1
	s_or_b32 exec_lo, exec_lo, s1
	s_wait_dscnt 0x0
	s_barrier_signal -1
	s_barrier_wait -1
	s_barrier_signal -1
	s_barrier_wait -1
	s_and_saveexec_b32 s1, s11
; %bb.925:                              ;   in Loop: Header=BB97_3 Depth=1
	v_add_nc_u32_e64 v28, 0x800, 0
	ds_store_2addr_b32 v28, v62, v62 offset0:138 offset1:203
; %bb.926:                              ;   in Loop: Header=BB97_3 Depth=1
	s_or_b32 exec_lo, exec_lo, s1
	v_mov_b32_e32 v28, 0
	s_wait_dscnt 0x0
	s_barrier_signal -1
	s_barrier_wait -1
	global_wb scope:SCOPE_DEV
	s_wait_storecnt 0x0
	global_inv scope:SCOPE_DEV
	s_and_saveexec_b32 s1, s2
	s_cbranch_execz .LBB97_930
; %bb.927:                              ;   in Loop: Header=BB97_3 Depth=1
	ds_load_b32 v28, v33 offset:2592
	ds_load_b32 v29, v32 offset:2856
	s_wait_dscnt 0x0
	v_fma_f32 v28, v28, v29, 0
	s_and_saveexec_b32 s20, s12
	s_cbranch_execz .LBB97_929
; %bb.928:                              ;   in Loop: Header=BB97_3 Depth=1
	ds_load_b32 v29, v34 offset:2848
	ds_load_b32 v31, v7 offset:2860
	s_wait_dscnt 0x0
	v_fmac_f32_e32 v28, v29, v31
.LBB97_929:                             ;   in Loop: Header=BB97_3 Depth=1
	s_or_b32 exec_lo, exec_lo, s20
.LBB97_930:                             ;   in Loop: Header=BB97_3 Depth=1
	s_delay_alu instid0(SALU_CYCLE_1)
	s_or_b32 exec_lo, exec_lo, s1
	s_and_saveexec_b32 s1, s101
; %bb.931:                              ;   in Loop: Header=BB97_3 Depth=1
	s_delay_alu instid0(VALU_DEP_1)
	v_xor_b32_e32 v29, 0x80000000, v28
	ds_store_b32 v5, v29
; %bb.932:                              ;   in Loop: Header=BB97_3 Depth=1
	s_or_b32 exec_lo, exec_lo, s1
	s_wait_loadcnt_dscnt 0x0
	s_barrier_signal -1
	s_barrier_wait -1
	s_and_saveexec_b32 s1, s102
	s_cbranch_execz .LBB97_934
; %bb.933:                              ;   in Loop: Header=BB97_3 Depth=1
	ds_load_b32 v29, v7 offset:2336
	ds_load_b32 v31, v5
	s_wait_dscnt 0x0
	v_fma_f32 v28, -v29, v31, v28
.LBB97_934:                             ;   in Loop: Header=BB97_3 Depth=1
	s_or_b32 exec_lo, exec_lo, s1
	s_barrier_signal -1
	s_barrier_wait -1
	s_and_saveexec_b32 s1, s102
; %bb.935:                              ;   in Loop: Header=BB97_3 Depth=1
	v_xor_b32_e32 v29, 0x80000000, v28
	ds_store_b32 v5, v29
; %bb.936:                              ;   in Loop: Header=BB97_3 Depth=1
	s_or_b32 exec_lo, exec_lo, s1
	s_wait_dscnt 0x0
	s_barrier_signal -1
	s_barrier_wait -1
	s_barrier_signal -1
	s_barrier_wait -1
	s_and_saveexec_b32 s1, s2
; %bb.937:                              ;   in Loop: Header=BB97_3 Depth=1
	ds_store_b32 v36, v28 offset:2848
; %bb.938:                              ;   in Loop: Header=BB97_3 Depth=1
	s_or_b32 exec_lo, exec_lo, s1
	s_wait_dscnt 0x0
	s_barrier_signal -1
	s_barrier_wait -1
	s_barrier_signal -1
	s_barrier_wait -1
	s_and_saveexec_b32 s1, s11
; %bb.939:                              ;   in Loop: Header=BB97_3 Depth=1
	v_add_nc_u32_e64 v28, 0x800, 0
	ds_store_2addr_b32 v28, v62, v62 offset0:8 offset1:73
; %bb.940:                              ;   in Loop: Header=BB97_3 Depth=1
	s_or_b32 exec_lo, exec_lo, s1
	v_mov_b32_e32 v28, 0
	s_wait_dscnt 0x0
	s_barrier_signal -1
	s_barrier_wait -1
	global_wb scope:SCOPE_DEV
	s_wait_storecnt 0x0
	global_inv scope:SCOPE_DEV
	s_and_saveexec_b32 s1, s4
	s_cbranch_execz .LBB97_950
; %bb.941:                              ;   in Loop: Header=BB97_3 Depth=1
	ds_load_b32 v28, v40 offset:2048
	ds_load_b32 v29, v42 offset:3872
	s_wait_dscnt 0x0
	v_fma_f32 v28, v28, v29, 0
	s_and_saveexec_b32 s20, s15
	s_cbranch_execnz .LBB97_1155
; %bb.942:                              ;   in Loop: Header=BB97_3 Depth=1
	s_or_b32 exec_lo, exec_lo, s20
	s_and_saveexec_b32 s20, s16
	s_cbranch_execnz .LBB97_1156
.LBB97_943:                             ;   in Loop: Header=BB97_3 Depth=1
	s_or_b32 exec_lo, exec_lo, s20
	s_and_saveexec_b32 s20, s17
	s_cbranch_execnz .LBB97_1157
.LBB97_944:                             ;   in Loop: Header=BB97_3 Depth=1
	s_or_b32 exec_lo, exec_lo, s20
	s_and_saveexec_b32 s20, s18
	s_cbranch_execnz .LBB97_1158
.LBB97_945:                             ;   in Loop: Header=BB97_3 Depth=1
	s_or_b32 exec_lo, exec_lo, s20
	s_and_saveexec_b32 s20, s19
	s_cbranch_execnz .LBB97_1159
.LBB97_946:                             ;   in Loop: Header=BB97_3 Depth=1
	s_or_b32 exec_lo, exec_lo, s20
	s_and_saveexec_b32 s20, s3
	s_cbranch_execnz .LBB97_1160
.LBB97_947:                             ;   in Loop: Header=BB97_3 Depth=1
	s_or_b32 exec_lo, exec_lo, s20
	s_and_saveexec_b32 s20, s14
	s_cbranch_execz .LBB97_949
.LBB97_948:                             ;   in Loop: Header=BB97_3 Depth=1
	ds_load_b32 v29, v34 offset:3840
	ds_load_b32 v31, v7 offset:3900
	s_wait_dscnt 0x0
	v_fmac_f32_e32 v28, v29, v31
.LBB97_949:                             ;   in Loop: Header=BB97_3 Depth=1
	s_or_b32 exec_lo, exec_lo, s20
.LBB97_950:                             ;   in Loop: Header=BB97_3 Depth=1
	s_delay_alu instid0(SALU_CYCLE_1)
	s_or_b32 exec_lo, exec_lo, s1
	s_and_saveexec_b32 s1, s35
; %bb.951:                              ;   in Loop: Header=BB97_3 Depth=1
	s_delay_alu instid0(VALU_DEP_1)
	v_xor_b32_e32 v29, 0x80000000, v28
	ds_store_b32 v41, v29
; %bb.952:                              ;   in Loop: Header=BB97_3 Depth=1
	s_or_b32 exec_lo, exec_lo, s1
	s_wait_loadcnt_dscnt 0x0
	s_barrier_signal -1
	s_barrier_wait -1
	s_and_saveexec_b32 s1, s36
	s_cbranch_execz .LBB97_954
; %bb.953:                              ;   in Loop: Header=BB97_3 Depth=1
	ds_load_b32 v29, v40 offset:1792
	ds_load_b32 v31, v41
	s_wait_dscnt 0x0
	v_fma_f32 v28, -v29, v31, v28
.LBB97_954:                             ;   in Loop: Header=BB97_3 Depth=1
	s_or_b32 exec_lo, exec_lo, s1
	s_barrier_signal -1
	s_barrier_wait -1
	s_and_saveexec_b32 s1, s37
; %bb.955:                              ;   in Loop: Header=BB97_3 Depth=1
	v_xor_b32_e32 v29, 0x80000000, v28
	ds_store_b32 v41, v29
; %bb.956:                              ;   in Loop: Header=BB97_3 Depth=1
	s_or_b32 exec_lo, exec_lo, s1
	s_wait_dscnt 0x0
	s_barrier_signal -1
	s_barrier_wait -1
	s_and_saveexec_b32 s1, s38
	s_cbranch_execz .LBB97_958
; %bb.957:                              ;   in Loop: Header=BB97_3 Depth=1
	ds_load_b32 v29, v40 offset:1536
	ds_load_b32 v31, v41
	s_wait_dscnt 0x0
	v_fma_f32 v28, -v29, v31, v28
.LBB97_958:                             ;   in Loop: Header=BB97_3 Depth=1
	s_or_b32 exec_lo, exec_lo, s1
	s_barrier_signal -1
	s_barrier_wait -1
	s_and_saveexec_b32 s1, s39
; %bb.959:                              ;   in Loop: Header=BB97_3 Depth=1
	v_xor_b32_e32 v29, 0x80000000, v28
	ds_store_b32 v41, v29
; %bb.960:                              ;   in Loop: Header=BB97_3 Depth=1
	s_or_b32 exec_lo, exec_lo, s1
	s_wait_dscnt 0x0
	;; [unrolled: 20-line block ×7, first 2 shown]
	s_barrier_signal -1
	s_barrier_wait -1
	s_barrier_signal -1
	s_barrier_wait -1
	s_and_saveexec_b32 s1, s4
; %bb.981:                              ;   in Loop: Header=BB97_3 Depth=1
	ds_store_b32 v43, v28 offset:3840
; %bb.982:                              ;   in Loop: Header=BB97_3 Depth=1
	s_or_b32 exec_lo, exec_lo, s1
	s_wait_dscnt 0x0
	s_barrier_signal -1
	s_barrier_wait -1
	s_barrier_signal -1
	s_barrier_wait -1
	s_and_saveexec_b32 s1, s11
; %bb.983:                              ;   in Loop: Header=BB97_3 Depth=1
	v_add_nc_u32_e64 v28, 0x400, 0
	ds_store_2addr_b32 v28, v62, v62 offset0:134 offset1:199
; %bb.984:                              ;   in Loop: Header=BB97_3 Depth=1
	s_or_b32 exec_lo, exec_lo, s1
	v_mov_b32_e32 v28, 0
	s_wait_dscnt 0x0
	s_barrier_signal -1
	s_barrier_wait -1
	global_wb scope:SCOPE_DEV
	s_wait_storecnt 0x0
	global_inv scope:SCOPE_DEV
	s_and_saveexec_b32 s1, s2
	s_cbranch_execz .LBB97_988
; %bb.985:                              ;   in Loop: Header=BB97_3 Depth=1
	ds_load_b32 v28, v33 offset:1552
	ds_load_b32 v29, v32 offset:1816
	s_wait_dscnt 0x0
	v_fma_f32 v28, v28, v29, 0
	s_and_saveexec_b32 s20, s12
	s_cbranch_execz .LBB97_987
; %bb.986:                              ;   in Loop: Header=BB97_3 Depth=1
	ds_load_b32 v29, v34 offset:1808
	ds_load_b32 v31, v7 offset:1820
	s_wait_dscnt 0x0
	v_fmac_f32_e32 v28, v29, v31
.LBB97_987:                             ;   in Loop: Header=BB97_3 Depth=1
	s_or_b32 exec_lo, exec_lo, s20
.LBB97_988:                             ;   in Loop: Header=BB97_3 Depth=1
	s_delay_alu instid0(SALU_CYCLE_1)
	s_or_b32 exec_lo, exec_lo, s1
	s_and_saveexec_b32 s1, s101
; %bb.989:                              ;   in Loop: Header=BB97_3 Depth=1
	s_delay_alu instid0(VALU_DEP_1)
	v_xor_b32_e32 v29, 0x80000000, v28
	ds_store_b32 v5, v29
; %bb.990:                              ;   in Loop: Header=BB97_3 Depth=1
	s_or_b32 exec_lo, exec_lo, s1
	s_wait_loadcnt_dscnt 0x0
	s_barrier_signal -1
	s_barrier_wait -1
	s_and_saveexec_b32 s1, s102
	s_cbranch_execz .LBB97_992
; %bb.991:                              ;   in Loop: Header=BB97_3 Depth=1
	ds_load_b32 v29, v7 offset:1296
	ds_load_b32 v31, v5
	s_wait_dscnt 0x0
	v_fma_f32 v28, -v29, v31, v28
.LBB97_992:                             ;   in Loop: Header=BB97_3 Depth=1
	s_or_b32 exec_lo, exec_lo, s1
	s_barrier_signal -1
	s_barrier_wait -1
	s_and_saveexec_b32 s1, s102
; %bb.993:                              ;   in Loop: Header=BB97_3 Depth=1
	v_xor_b32_e32 v29, 0x80000000, v28
	ds_store_b32 v5, v29
; %bb.994:                              ;   in Loop: Header=BB97_3 Depth=1
	s_or_b32 exec_lo, exec_lo, s1
	s_wait_dscnt 0x0
	s_barrier_signal -1
	s_barrier_wait -1
	s_barrier_signal -1
	s_barrier_wait -1
	s_and_saveexec_b32 s1, s2
; %bb.995:                              ;   in Loop: Header=BB97_3 Depth=1
	ds_store_b32 v36, v28 offset:1808
; %bb.996:                              ;   in Loop: Header=BB97_3 Depth=1
	s_or_b32 exec_lo, exec_lo, s1
	s_wait_dscnt 0x0
	s_barrier_signal -1
	s_barrier_wait -1
	s_barrier_signal -1
	s_barrier_wait -1
	s_and_saveexec_b32 s1, s11
; %bb.997:                              ;   in Loop: Header=BB97_3 Depth=1
	v_add_nc_u32_e64 v28, 0x400, 0
	ds_store_2addr_b32 v28, v62, v62 offset0:4 offset1:69
; %bb.998:                              ;   in Loop: Header=BB97_3 Depth=1
	s_or_b32 exec_lo, exec_lo, s1
	v_mov_b32_e32 v28, 0
	s_wait_dscnt 0x0
	s_barrier_signal -1
	s_barrier_wait -1
	global_wb scope:SCOPE_DEV
	s_wait_storecnt 0x0
	global_inv scope:SCOPE_DEV
	s_and_saveexec_b32 s1, s3
	s_cbranch_execz .LBB97_1004
; %bb.999:                              ;   in Loop: Header=BB97_3 Depth=1
	ds_load_b32 v28, v35 offset:1024
	ds_load_b32 v29, v38 offset:1808
	s_wait_dscnt 0x0
	v_fma_f32 v28, v28, v29, 0
	s_and_saveexec_b32 s20, s13
	s_cbranch_execnz .LBB97_1161
; %bb.1000:                             ;   in Loop: Header=BB97_3 Depth=1
	s_or_b32 exec_lo, exec_lo, s20
	s_and_saveexec_b32 s20, s14
	s_cbranch_execnz .LBB97_1162
.LBB97_1001:                            ;   in Loop: Header=BB97_3 Depth=1
	s_or_b32 exec_lo, exec_lo, s20
	s_and_saveexec_b32 s20, s2
	s_cbranch_execz .LBB97_1003
.LBB97_1002:                            ;   in Loop: Header=BB97_3 Depth=1
	ds_load_b32 v29, v34 offset:1792
	ds_load_b32 v31, v7 offset:1820
	s_wait_dscnt 0x0
	v_fmac_f32_e32 v28, v29, v31
.LBB97_1003:                            ;   in Loop: Header=BB97_3 Depth=1
	s_or_b32 exec_lo, exec_lo, s20
.LBB97_1004:                            ;   in Loop: Header=BB97_3 Depth=1
	s_delay_alu instid0(SALU_CYCLE_1)
	s_or_b32 exec_lo, exec_lo, s1
	s_and_saveexec_b32 s1, s103
; %bb.1005:                             ;   in Loop: Header=BB97_3 Depth=1
	s_delay_alu instid0(VALU_DEP_1)
	v_xor_b32_e32 v29, 0x80000000, v28
	ds_store_b32 v37, v29
; %bb.1006:                             ;   in Loop: Header=BB97_3 Depth=1
	s_or_b32 exec_lo, exec_lo, s1
	s_wait_loadcnt_dscnt 0x0
	s_barrier_signal -1
	s_barrier_wait -1
	s_and_saveexec_b32 s1, s104
	s_cbranch_execz .LBB97_1008
; %bb.1007:                             ;   in Loop: Header=BB97_3 Depth=1
	ds_load_b32 v29, v35 offset:768
	ds_load_b32 v31, v37
	s_wait_dscnt 0x0
	v_fma_f32 v28, -v29, v31, v28
.LBB97_1008:                            ;   in Loop: Header=BB97_3 Depth=1
	s_or_b32 exec_lo, exec_lo, s1
	s_barrier_signal -1
	s_barrier_wait -1
	s_and_saveexec_b32 s1, vcc_hi
; %bb.1009:                             ;   in Loop: Header=BB97_3 Depth=1
	v_xor_b32_e32 v29, 0x80000000, v28
	ds_store_b32 v37, v29
; %bb.1010:                             ;   in Loop: Header=BB97_3 Depth=1
	s_or_b32 exec_lo, exec_lo, s1
	s_wait_dscnt 0x0
	s_barrier_signal -1
	s_barrier_wait -1
	s_and_saveexec_b32 s1, s31
	s_cbranch_execz .LBB97_1012
; %bb.1011:                             ;   in Loop: Header=BB97_3 Depth=1
	ds_load_b32 v29, v35 offset:512
	ds_load_b32 v31, v37
	s_wait_dscnt 0x0
	v_fma_f32 v28, -v29, v31, v28
.LBB97_1012:                            ;   in Loop: Header=BB97_3 Depth=1
	s_or_b32 exec_lo, exec_lo, s1
	s_barrier_signal -1
	s_barrier_wait -1
	s_and_saveexec_b32 s1, s33
; %bb.1013:                             ;   in Loop: Header=BB97_3 Depth=1
	v_xor_b32_e32 v29, 0x80000000, v28
	ds_store_b32 v37, v29
; %bb.1014:                             ;   in Loop: Header=BB97_3 Depth=1
	s_or_b32 exec_lo, exec_lo, s1
	s_wait_dscnt 0x0
	s_barrier_signal -1
	s_barrier_wait -1
	s_and_saveexec_b32 s1, s34
	s_cbranch_execz .LBB97_1016
; %bb.1015:                             ;   in Loop: Header=BB97_3 Depth=1
	ds_load_b32 v29, v7 offset:256
	ds_load_b32 v31, v37
	s_wait_dscnt 0x0
	v_fma_f32 v28, -v29, v31, v28
.LBB97_1016:                            ;   in Loop: Header=BB97_3 Depth=1
	s_or_b32 exec_lo, exec_lo, s1
	s_barrier_signal -1
	s_barrier_wait -1
	s_and_saveexec_b32 s1, s34
; %bb.1017:                             ;   in Loop: Header=BB97_3 Depth=1
	v_xor_b32_e32 v29, 0x80000000, v28
	ds_store_b32 v37, v29
; %bb.1018:                             ;   in Loop: Header=BB97_3 Depth=1
	s_or_b32 exec_lo, exec_lo, s1
	s_wait_dscnt 0x0
	s_barrier_signal -1
	s_barrier_wait -1
	s_barrier_signal -1
	s_barrier_wait -1
	s_and_saveexec_b32 s1, s3
; %bb.1019:                             ;   in Loop: Header=BB97_3 Depth=1
	ds_store_b32 v39, v28 offset:1792
; %bb.1020:                             ;   in Loop: Header=BB97_3 Depth=1
	s_or_b32 exec_lo, exec_lo, s1
	s_wait_dscnt 0x0
	s_barrier_signal -1
	s_barrier_wait -1
	s_barrier_signal -1
	s_barrier_wait -1
	s_and_saveexec_b32 s1, s11
; %bb.1021:                             ;   in Loop: Header=BB97_3 Depth=1
	ds_store_2addr_b32 v7, v62, v62 offset0:130 offset1:195
; %bb.1022:                             ;   in Loop: Header=BB97_3 Depth=1
	s_or_b32 exec_lo, exec_lo, s1
	v_mov_b32_e32 v28, 0
	s_wait_dscnt 0x0
	s_barrier_signal -1
	s_barrier_wait -1
	global_wb scope:SCOPE_DEV
	s_wait_storecnt 0x0
	global_inv scope:SCOPE_DEV
	s_and_saveexec_b32 s1, s2
	s_cbranch_execz .LBB97_1026
; %bb.1023:                             ;   in Loop: Header=BB97_3 Depth=1
	ds_load_b32 v28, v33 offset:512
	ds_load_b32 v29, v32 offset:776
	s_wait_dscnt 0x0
	v_fma_f32 v28, v28, v29, 0
	s_and_saveexec_b32 s20, s12
	s_cbranch_execz .LBB97_1025
; %bb.1024:                             ;   in Loop: Header=BB97_3 Depth=1
	ds_load_b32 v29, v34 offset:768
	ds_load_b32 v31, v7 offset:780
	s_wait_dscnt 0x0
	v_fmac_f32_e32 v28, v29, v31
.LBB97_1025:                            ;   in Loop: Header=BB97_3 Depth=1
	s_or_b32 exec_lo, exec_lo, s20
.LBB97_1026:                            ;   in Loop: Header=BB97_3 Depth=1
	s_delay_alu instid0(SALU_CYCLE_1)
	s_or_b32 exec_lo, exec_lo, s1
	s_and_saveexec_b32 s1, s101
; %bb.1027:                             ;   in Loop: Header=BB97_3 Depth=1
	s_delay_alu instid0(VALU_DEP_1)
	v_xor_b32_e32 v29, 0x80000000, v28
	ds_store_b32 v5, v29
; %bb.1028:                             ;   in Loop: Header=BB97_3 Depth=1
	s_or_b32 exec_lo, exec_lo, s1
	s_wait_loadcnt_dscnt 0x0
	s_barrier_signal -1
	s_barrier_wait -1
	s_and_saveexec_b32 s1, s102
	s_cbranch_execz .LBB97_1030
; %bb.1029:                             ;   in Loop: Header=BB97_3 Depth=1
	ds_load_b32 v29, v7 offset:256
	ds_load_b32 v31, v5
	s_wait_dscnt 0x0
	v_fma_f32 v28, -v29, v31, v28
.LBB97_1030:                            ;   in Loop: Header=BB97_3 Depth=1
	s_or_b32 exec_lo, exec_lo, s1
	s_barrier_signal -1
	s_barrier_wait -1
	s_and_saveexec_b32 s1, s102
; %bb.1031:                             ;   in Loop: Header=BB97_3 Depth=1
	v_xor_b32_e32 v29, 0x80000000, v28
	ds_store_b32 v5, v29
; %bb.1032:                             ;   in Loop: Header=BB97_3 Depth=1
	s_or_b32 exec_lo, exec_lo, s1
	s_wait_dscnt 0x0
	s_barrier_signal -1
	s_barrier_wait -1
	s_barrier_signal -1
	s_barrier_wait -1
	s_and_saveexec_b32 s1, s2
; %bb.1033:                             ;   in Loop: Header=BB97_3 Depth=1
	ds_store_b32 v36, v28 offset:768
; %bb.1034:                             ;   in Loop: Header=BB97_3 Depth=1
	s_or_b32 exec_lo, exec_lo, s1
	s_wait_dscnt 0x0
	s_barrier_signal -1
	s_barrier_wait -1
	s_barrier_signal -1
	s_barrier_wait -1
	s_and_saveexec_b32 s1, s11
; %bb.1035:                             ;   in Loop: Header=BB97_3 Depth=1
	ds_store_2addr_b32 v7, v62, v62 offset1:65
; %bb.1036:                             ;   in Loop: Header=BB97_3 Depth=1
	s_or_b32 exec_lo, exec_lo, s1
.LBB97_1037:                            ;   in Loop: Header=BB97_3 Depth=1
	v_add_nc_u64_e32 v[26:27], s[72:73], v[26:27]
	v_mov_b32_e32 v68, 0
	s_wait_dscnt 0x0
	s_barrier_signal -1
	s_barrier_wait -1
	s_and_saveexec_b32 s1, s10
	s_cbranch_execz .LBB97_1039
; %bb.1038:                             ;   in Loop: Header=BB97_3 Depth=1
	v_lshl_add_u64 v[28:29], v[0:1], 2, v[26:27]
	flat_load_b32 v28, v[28:29]
	s_wait_loadcnt_dscnt 0x0
	v_mul_f32_e64 v68, v28, -v30
.LBB97_1039:                            ;   in Loop: Header=BB97_3 Depth=1
	s_or_b32 exec_lo, exec_lo, s1
	s_delay_alu instid0(SALU_CYCLE_1)
	s_and_not1_b32 vcc_lo, exec_lo, s52
	s_cbranch_vccnz .LBB97_1065
; %bb.1040:                             ;   in Loop: Header=BB97_3 Depth=1
	v_lshl_add_u64 v[24:25], v[8:9], 2, v[24:25]
	v_mov_b32_e32 v69, -1
	s_lshl_b64 s[94:95], s[66:67], 2
	s_mov_b32 s1, 0
	s_add_nc_u64 s[94:95], s[84:85], s[94:95]
	s_branch .LBB97_1043
.LBB97_1041:                            ;   in Loop: Header=BB97_1043 Depth=2
	s_wait_xcnt 0x0
	ds_load_b32 v28, v53 offset:192
	s_wait_loadcnt_dscnt 0x0
	v_fmac_f32_e32 v68, v30, v28
.LBB97_1042:                            ;   in Loop: Header=BB97_1043 Depth=2
	s_or_b32 exec_lo, exec_lo, s20
	s_add_co_i32 s1, s1, 1
	s_delay_alu instid0(SALU_CYCLE_1)
	s_cmp_eq_u32 s1, s96
	s_cbranch_scc1 .LBB97_1065
.LBB97_1043:                            ;   Parent Loop BB97_3 Depth=1
                                        ; =>  This Loop Header: Depth=2
                                        ;       Child Loop BB97_1045 Depth 3
	v_cmp_gt_i32_e32 vcc_lo, s1, v69
	s_and_b32 s22, s55, vcc_lo
	s_delay_alu instid0(SALU_CYCLE_1)
	s_and_saveexec_b32 s20, s22
	s_cbranch_execz .LBB97_1046
; %bb.1044:                             ;   in Loop: Header=BB97_1043 Depth=2
	global_load_b32 v69, v7, s[94:95]
	s_wait_loadcnt 0x0
	v_cmp_le_i32_e32 vcc_lo, s1, v69
	s_cbranch_vccnz .LBB97_1046
.LBB97_1045:                            ;   Parent Loop BB97_3 Depth=1
                                        ;     Parent Loop BB97_1043 Depth=2
                                        ; =>    This Inner Loop Header: Depth=3
	global_wb scope:SCOPE_DEV
	s_wait_storecnt 0x0
	global_inv scope:SCOPE_DEV
	global_load_b32 v69, v7, s[94:95]
	s_wait_loadcnt 0x0
	v_cmp_gt_i32_e32 vcc_lo, s1, v69
	s_cbranch_vccnz .LBB97_1045
.LBB97_1046:                            ;   in Loop: Header=BB97_1043 Depth=2
	s_or_b32 exec_lo, exec_lo, s20
	s_sub_co_i32 s53, s97, s1
	global_wb scope:SCOPE_DEV
	s_wait_storecnt 0x0
	global_inv scope:SCOPE_DEV
	s_lshl_b32 s54, s53, 6
	s_wait_loadcnt 0x0
	s_barrier_signal -1
	s_barrier_wait -1
	s_and_saveexec_b32 s20, s56
	s_cbranch_execz .LBB97_1050
; %bb.1047:                             ;   in Loop: Header=BB97_1043 Depth=2
	s_ashr_i32 s22, s54, 31
	s_delay_alu instid0(SALU_CYCLE_1) | instskip(SKIP_2) | instid1(VALU_DEP_1)
	v_dual_mov_b32 v30, 0 :: v_dual_mov_b32 v29, s22
	v_or_b32_e32 v28, s54, v6
	s_mov_b32 s22, exec_lo
	v_cmpx_gt_i64_e64 s[80:81], v[28:29]
	s_cbranch_execz .LBB97_1049
; %bb.1048:                             ;   in Loop: Header=BB97_1043 Depth=2
	v_mul_u64_e32 v[28:29], s[74:75], v[28:29]
	s_delay_alu instid0(VALU_DEP_1)
	v_lshl_add_u64 v[28:29], v[28:29], 2, v[26:27]
	flat_load_b32 v30, v[28:29]
.LBB97_1049:                            ;   in Loop: Header=BB97_1043 Depth=2
	s_wait_xcnt 0x0
	s_or_b32 exec_lo, exec_lo, s22
	s_wait_loadcnt_dscnt 0x0
	ds_store_b32 v52, v30
.LBB97_1050:                            ;   in Loop: Header=BB97_1043 Depth=2
	s_or_b32 exec_lo, exec_lo, s20
	v_add_nc_u32_e32 v30, s54, v2
	s_cmp_lg_u32 s53, s8
	s_wait_dscnt 0x0
	s_cselect_b32 s53, -1, 0
	s_barrier_signal -1
	v_ashrrev_i32_e32 v31, 31, v30
	v_cmp_gt_i32_e32 vcc_lo, s80, v30
	s_barrier_wait -1
	s_delay_alu instid0(VALU_DEP_2) | instskip(SKIP_2) | instid1(VALU_DEP_2)
	v_mul_u64_e32 v[28:29], s[82:83], v[30:31]
	v_cndmask_b32_e64 v31, 0, 1, s53
	s_and_b32 s22, s0, vcc_lo
	v_lshl_add_u64 v[28:29], v[28:29], 2, v[24:25]
	s_and_saveexec_b32 s20, s22
	s_cbranch_execz .LBB97_1054
; %bb.1051:                             ;   in Loop: Header=BB97_1043 Depth=2
	v_mov_b32_e32 v70, v64
	s_and_not1_b32 vcc_lo, exec_lo, s53
	s_cbranch_vccnz .LBB97_1053
; %bb.1052:                             ;   in Loop: Header=BB97_1043 Depth=2
	flat_load_b32 v70, v[28:29]
.LBB97_1053:                            ;   in Loop: Header=BB97_1043 Depth=2
	ds_load_b32 v71, v53
	s_wait_loadcnt_dscnt 0x0
	v_fmac_f32_e32 v68, v70, v71
.LBB97_1054:                            ;   in Loop: Header=BB97_1043 Depth=2
	s_or_b32 exec_lo, exec_lo, s20
	v_add_nc_u32_e32 v70, 16, v30
	s_delay_alu instid0(VALU_DEP_1) | instskip(SKIP_1) | instid1(SALU_CYCLE_1)
	v_cmp_gt_i32_e32 vcc_lo, s80, v70
	s_and_b32 s22, s0, vcc_lo
	s_and_saveexec_b32 s20, s22
	s_cbranch_execz .LBB97_1058
; %bb.1055:                             ;   in Loop: Header=BB97_1043 Depth=2
	v_cmp_ne_u32_e32 vcc_lo, 1, v31
	v_mov_b32_e32 v70, v65
	s_cbranch_vccnz .LBB97_1057
; %bb.1056:                             ;   in Loop: Header=BB97_1043 Depth=2
	v_add_nc_u64_e32 v[70:71], s[88:89], v[28:29]
	flat_load_b32 v70, v[70:71]
.LBB97_1057:                            ;   in Loop: Header=BB97_1043 Depth=2
	s_wait_xcnt 0x0
	ds_load_b32 v71, v53 offset:64
	s_wait_loadcnt_dscnt 0x0
	v_fmac_f32_e32 v68, v70, v71
.LBB97_1058:                            ;   in Loop: Header=BB97_1043 Depth=2
	s_or_b32 exec_lo, exec_lo, s20
	v_add_nc_u32_e32 v70, 32, v30
	s_delay_alu instid0(VALU_DEP_1) | instskip(SKIP_1) | instid1(SALU_CYCLE_1)
	v_cmp_gt_i32_e32 vcc_lo, s80, v70
	s_and_b32 s22, s0, vcc_lo
	s_and_saveexec_b32 s20, s22
	s_cbranch_execz .LBB97_1062
; %bb.1059:                             ;   in Loop: Header=BB97_1043 Depth=2
	v_cmp_ne_u32_e32 vcc_lo, 1, v31
	v_mov_b32_e32 v70, v66
	s_cbranch_vccnz .LBB97_1061
; %bb.1060:                             ;   in Loop: Header=BB97_1043 Depth=2
	v_add_nc_u64_e32 v[70:71], s[90:91], v[28:29]
	flat_load_b32 v70, v[70:71]
.LBB97_1061:                            ;   in Loop: Header=BB97_1043 Depth=2
	s_wait_xcnt 0x0
	ds_load_b32 v71, v53 offset:128
	s_wait_loadcnt_dscnt 0x0
	v_fmac_f32_e32 v68, v70, v71
.LBB97_1062:                            ;   in Loop: Header=BB97_1043 Depth=2
	s_or_b32 exec_lo, exec_lo, s20
	v_add_nc_u32_e32 v30, 48, v30
	s_delay_alu instid0(VALU_DEP_1) | instskip(SKIP_1) | instid1(SALU_CYCLE_1)
	v_cmp_gt_i32_e32 vcc_lo, s80, v30
	s_and_b32 s22, s0, vcc_lo
	s_and_saveexec_b32 s20, s22
	s_cbranch_execz .LBB97_1042
; %bb.1063:                             ;   in Loop: Header=BB97_1043 Depth=2
	v_cmp_ne_u32_e32 vcc_lo, 1, v31
	v_mov_b32_e32 v30, v67
	s_cbranch_vccnz .LBB97_1041
; %bb.1064:                             ;   in Loop: Header=BB97_1043 Depth=2
	v_add_nc_u64_e32 v[28:29], s[92:93], v[28:29]
	flat_load_b32 v30, v[28:29]
	s_branch .LBB97_1041
.LBB97_1065:                            ;   in Loop: Header=BB97_3 Depth=1
	ds_store_b32 v54, v68
	s_wait_dscnt 0x0
	s_barrier_signal -1
	s_barrier_wait -1
	s_and_saveexec_b32 s1, s7
	s_cbranch_execz .LBB97_1067
; %bb.1066:                             ;   in Loop: Header=BB97_3 Depth=1
	ds_load_2addr_stride64_b32 v[24:25], v55 offset0:1 offset1:2
	ds_load_2addr_stride64_b32 v[28:29], v55 offset0:3 offset1:4
	;; [unrolled: 1-line block ×4, first 2 shown]
	v_readlane_b32 s20, v75, 7
	s_wait_dscnt 0x3
	v_add_f32_e32 v24, v68, v24
	s_delay_alu instid0(VALU_DEP_1) | instskip(SKIP_1) | instid1(VALU_DEP_1)
	v_add_f32_e32 v24, v24, v25
	s_wait_dscnt 0x2
	v_add_f32_e32 v24, v24, v28
	s_delay_alu instid0(VALU_DEP_1) | instskip(SKIP_1) | instid1(VALU_DEP_1)
	v_add_f32_e32 v24, v24, v29
	s_wait_dscnt 0x1
	v_add_f32_e32 v28, v24, v30
	ds_load_2addr_stride64_b32 v[24:25], v55 offset0:9 offset1:10
	v_add_f32_e32 v28, v28, v31
	s_wait_dscnt 0x1
	s_delay_alu instid0(VALU_DEP_1)
	v_add_f32_e32 v30, v28, v70
	ds_load_2addr_stride64_b32 v[28:29], v55 offset0:11 offset1:12
	v_add_f32_e32 v68, v30, v71
	ds_load_2addr_stride64_b32 v[30:31], v55 offset0:13 offset1:14
	ds_load_b32 v69, v55 offset:3840
	s_wait_dscnt 0x3
	v_add_f32_e32 v24, v68, v24
	s_delay_alu instid0(VALU_DEP_1) | instskip(SKIP_1) | instid1(VALU_DEP_1)
	v_add_f32_e32 v24, v24, v25
	s_wait_dscnt 0x2
	v_add_f32_e32 v24, v24, v28
	s_delay_alu instid0(VALU_DEP_1) | instskip(SKIP_1) | instid1(VALU_DEP_1)
	v_add_f32_e32 v24, v24, v29
	;; [unrolled: 4-line block ×3, first 2 shown]
	s_wait_dscnt 0x0
	v_add_f32_e32 v24, v24, v69
	s_delay_alu instid0(VALU_DEP_1)
	v_cndmask_b32_e64 v68, -v24, 0, s20
.LBB97_1067:                            ;   in Loop: Header=BB97_3 Depth=1
	s_or_b32 exec_lo, exec_lo, s1
	s_delay_alu instid0(SALU_CYCLE_1)
	s_and_not1_b32 vcc_lo, exec_lo, s100
	s_cbranch_vccnz .LBB97_1080
; %bb.1068:                             ;   in Loop: Header=BB97_3 Depth=1
	s_and_saveexec_b32 s1, s7
; %bb.1069:                             ;   in Loop: Header=BB97_3 Depth=1
	ds_store_b32 v57, v68
; %bb.1070:                             ;   in Loop: Header=BB97_3 Depth=1
	s_or_b32 exec_lo, exec_lo, s1
	v_mov_b32_e32 v24, 0
	s_wait_dscnt 0x0
	s_barrier_signal -1
	s_barrier_wait -1
	s_mov_b32 s1, exec_lo
	v_readlane_b32 s20, v74, 23
	s_and_b32 s20, s1, s20
	s_delay_alu instid0(SALU_CYCLE_1)
	s_mov_b32 exec_lo, s20
	s_cbranch_execz .LBB97_1072
; %bb.1071:                             ;   in Loop: Header=BB97_3 Depth=1
	ds_load_b32 v24, v56
	ds_load_b32 v25, v53
	s_wait_dscnt 0x0
	v_fma_f32 v24, v24, v25, 0
.LBB97_1072:                            ;   in Loop: Header=BB97_3 Depth=1
	s_or_b32 exec_lo, exec_lo, s1
	s_delay_alu instid0(SALU_CYCLE_1) | instskip(SKIP_2) | instid1(SALU_CYCLE_1)
	s_mov_b32 s1, exec_lo
	v_readlane_b32 s20, v74, 24
	s_and_b32 s20, s1, s20
	s_mov_b32 exec_lo, s20
	s_cbranch_execz .LBB97_1074
; %bb.1073:                             ;   in Loop: Header=BB97_3 Depth=1
	ds_load_b32 v25, v56 offset:4096
	ds_load_b32 v28, v53 offset:64
	s_wait_dscnt 0x0
	v_fmac_f32_e32 v24, v25, v28
.LBB97_1074:                            ;   in Loop: Header=BB97_3 Depth=1
	s_or_b32 exec_lo, exec_lo, s1
	s_delay_alu instid0(SALU_CYCLE_1) | instskip(SKIP_2) | instid1(SALU_CYCLE_1)
	s_mov_b32 s1, exec_lo
	v_readlane_b32 s20, v74, 25
	s_and_b32 s20, s1, s20
	s_mov_b32 exec_lo, s20
	s_cbranch_execz .LBB97_1076
; %bb.1075:                             ;   in Loop: Header=BB97_3 Depth=1
	ds_load_b32 v25, v56 offset:8192
	ds_load_b32 v28, v53 offset:128
	s_wait_dscnt 0x0
	v_fmac_f32_e32 v24, v25, v28
.LBB97_1076:                            ;   in Loop: Header=BB97_3 Depth=1
	;; [unrolled: 13-line block ×3, first 2 shown]
	s_or_b32 exec_lo, exec_lo, s1
	s_mov_b32 s1, 0
	s_mov_b32 s94, 0
	ds_store_b32 v54, v24
	s_wait_dscnt 0x0
	s_barrier_signal -1
	s_barrier_wait -1
                                        ; implicit-def: $vgpr25
	s_and_saveexec_b32 s95, s7
	s_cbranch_execz .LBB97_1109
; %bb.1079:                             ;   in Loop: Header=BB97_3 Depth=1
	ds_load_2addr_stride64_b32 v[28:29], v55 offset0:1 offset1:2
	ds_load_2addr_stride64_b32 v[30:31], v55 offset0:3 offset1:4
	;; [unrolled: 1-line block ×4, first 2 shown]
	s_mov_b32 s94, exec_lo
	s_wait_dscnt 0x3
	v_add_f32_e32 v24, v24, v28
	s_delay_alu instid0(VALU_DEP_1) | instskip(SKIP_1) | instid1(VALU_DEP_1)
	v_add_f32_e32 v24, v29, v24
	s_wait_dscnt 0x2
	v_add_f32_e32 v24, v30, v24
	s_delay_alu instid0(VALU_DEP_1) | instskip(SKIP_1) | instid1(VALU_DEP_1)
	v_add_f32_e32 v24, v31, v24
	s_wait_dscnt 0x1
	v_add_f32_e32 v28, v70, v24
	ds_load_2addr_stride64_b32 v[24:25], v55 offset0:9 offset1:10
	v_add_f32_e32 v28, v71, v28
	s_wait_dscnt 0x1
	s_delay_alu instid0(VALU_DEP_1)
	v_add_f32_e32 v30, v72, v28
	ds_load_2addr_stride64_b32 v[28:29], v55 offset0:11 offset1:12
	v_add_f32_e32 v69, v73, v30
	ds_load_2addr_stride64_b32 v[30:31], v55 offset0:13 offset1:14
	ds_load_b32 v70, v55 offset:3840
	s_wait_dscnt 0x3
	v_add_f32_e32 v24, v24, v69
	s_delay_alu instid0(VALU_DEP_1) | instskip(SKIP_1) | instid1(VALU_DEP_1)
	v_add_f32_e32 v24, v25, v24
	s_wait_dscnt 0x2
	v_add_f32_e32 v24, v28, v24
	s_delay_alu instid0(VALU_DEP_1) | instskip(SKIP_1) | instid1(VALU_DEP_1)
	v_add_f32_e32 v24, v29, v24
	;; [unrolled: 4-line block ×3, first 2 shown]
	s_wait_dscnt 0x0
	v_add_f32_e32 v25, v70, v24
	s_or_b32 exec_lo, exec_lo, s95
	s_delay_alu instid0(SALU_CYCLE_1)
	s_and_b32 vcc_lo, exec_lo, s1
	s_cbranch_vccnz .LBB97_1081
	s_branch .LBB97_1110
.LBB97_1080:                            ;   in Loop: Header=BB97_3 Depth=1
	s_mov_b32 s94, 0
                                        ; implicit-def: $vgpr25
	s_cbranch_execz .LBB97_1110
.LBB97_1081:                            ;   in Loop: Header=BB97_3 Depth=1
	v_dual_mov_b32 v24, v61 :: v_dual_mov_b32 v25, v60
	s_mov_b32 s1, 63
	s_branch .LBB97_1083
.LBB97_1082:                            ;   in Loop: Header=BB97_1083 Depth=2
	s_or_b32 exec_lo, exec_lo, s20
	v_add_nc_u32_e32 v25, 0xfffffc00, v25
	v_add_nc_u32_e32 v24, 4, v24
	s_add_co_i32 s1, s1, -4
	s_cmp_lg_u32 s53, 0
	s_barrier_signal -1
	s_barrier_wait -1
	s_cbranch_scc0 .LBB97_1099
.LBB97_1083:                            ;   Parent Loop BB97_3 Depth=1
                                        ; =>  This Inner Loop Header: Depth=2
	s_delay_alu instid0(VALU_DEP_1) | instskip(SKIP_1) | instid1(SALU_CYCLE_1)
	v_cmp_eq_u32_e32 vcc_lo, 0, v24
	s_and_b32 s22, s7, vcc_lo
	s_and_saveexec_b32 s20, s22
; %bb.1084:                             ;   in Loop: Header=BB97_1083 Depth=2
	ds_store_b32 v7, v68 offset:20736
; %bb.1085:                             ;   in Loop: Header=BB97_1083 Depth=2
	s_or_b32 exec_lo, exec_lo, s20
	v_cmp_gt_u32_e32 vcc_lo, s1, v4
	s_wait_dscnt 0x0
	s_barrier_signal -1
	s_barrier_wait -1
	s_and_b32 s22, s7, vcc_lo
	s_delay_alu instid0(SALU_CYCLE_1)
	s_and_saveexec_b32 s20, s22
	s_cbranch_execz .LBB97_1087
; %bb.1086:                             ;   in Loop: Header=BB97_1083 Depth=2
	ds_load_b32 v28, v25 offset:768
	ds_load_b32 v29, v7 offset:20736
	s_wait_dscnt 0x0
	v_fmac_f32_e32 v68, v28, v29
.LBB97_1087:                            ;   in Loop: Header=BB97_1083 Depth=2
	s_or_b32 exec_lo, exec_lo, s20
	s_add_co_i32 s20, s1, -1
	s_delay_alu instid0(SALU_CYCLE_1) | instskip(SKIP_3) | instid1(SALU_CYCLE_1)
	v_cmp_eq_u32_e32 vcc_lo, s20, v4
	s_barrier_signal -1
	s_barrier_wait -1
	s_and_b32 s53, s7, vcc_lo
	s_and_saveexec_b32 s22, s53
; %bb.1088:                             ;   in Loop: Header=BB97_1083 Depth=2
	ds_store_b32 v7, v68 offset:20736
; %bb.1089:                             ;   in Loop: Header=BB97_1083 Depth=2
	s_or_b32 exec_lo, exec_lo, s22
	v_cmp_gt_u32_e32 vcc_lo, s20, v4
	s_wait_dscnt 0x0
	s_barrier_signal -1
	s_barrier_wait -1
	s_and_b32 s22, s7, vcc_lo
	s_delay_alu instid0(SALU_CYCLE_1)
	s_and_saveexec_b32 s20, s22
	s_cbranch_execz .LBB97_1091
; %bb.1090:                             ;   in Loop: Header=BB97_1083 Depth=2
	ds_load_b32 v28, v25 offset:512
	ds_load_b32 v29, v7 offset:20736
	s_wait_dscnt 0x0
	v_fmac_f32_e32 v68, v28, v29
.LBB97_1091:                            ;   in Loop: Header=BB97_1083 Depth=2
	s_or_b32 exec_lo, exec_lo, s20
	s_add_co_i32 s20, s1, -2
	s_delay_alu instid0(SALU_CYCLE_1) | instskip(SKIP_3) | instid1(SALU_CYCLE_1)
	v_cmp_eq_u32_e32 vcc_lo, s20, v4
	s_barrier_signal -1
	s_barrier_wait -1
	;; [unrolled: 26-line block ×3, first 2 shown]
	s_and_b32 s22, s7, vcc_lo
	s_and_saveexec_b32 s20, s22
; %bb.1096:                             ;   in Loop: Header=BB97_1083 Depth=2
	ds_store_b32 v7, v68 offset:20736
; %bb.1097:                             ;   in Loop: Header=BB97_1083 Depth=2
	s_or_b32 exec_lo, exec_lo, s20
	v_cmp_gt_u32_e32 vcc_lo, s53, v4
	s_wait_dscnt 0x0
	s_barrier_signal -1
	s_barrier_wait -1
	s_and_b32 s22, s7, vcc_lo
	s_delay_alu instid0(SALU_CYCLE_1)
	s_and_saveexec_b32 s20, s22
	s_cbranch_execz .LBB97_1082
; %bb.1098:                             ;   in Loop: Header=BB97_1083 Depth=2
	ds_load_b32 v28, v25
	ds_load_b32 v29, v7 offset:20736
	s_wait_dscnt 0x0
	v_fmac_f32_e32 v68, v28, v29
	s_branch .LBB97_1082
.LBB97_1099:                            ;   in Loop: Header=BB97_3 Depth=1
	s_and_b32 vcc_lo, exec_lo, s98
	s_mov_b32 s1, -1
	s_cbranch_vccnz .LBB97_1111
; %bb.1100:                             ;   in Loop: Header=BB97_3 Depth=1
	s_and_not1_b32 vcc_lo, exec_lo, s1
	s_cbranch_vccz .LBB97_1112
.LBB97_1101:                            ;   in Loop: Header=BB97_3 Depth=1
	s_and_saveexec_b32 s1, s94
	s_cbranch_execz .LBB97_1103
.LBB97_1102:                            ;   in Loop: Header=BB97_3 Depth=1
	v_lshl_add_u64 v[24:25], v[12:13], 2, v[26:27]
	flat_store_b32 v[24:25], v68
.LBB97_1103:                            ;   in Loop: Header=BB97_3 Depth=1
	s_wait_xcnt 0x0
	s_or_b32 exec_lo, exec_lo, s1
	global_wb scope:SCOPE_DEV
	s_wait_storecnt_dscnt 0x0
	global_inv scope:SCOPE_DEV
	s_wait_loadcnt 0x0
	s_barrier_signal -1
	s_barrier_wait -1
	s_and_saveexec_b32 s1, s55
	s_cbranch_execz .LBB97_2
; %bb.1104:                             ;   in Loop: Header=BB97_3 Depth=1
	s_lshl_b64 s[94:95], s[66:67], 2
	s_delay_alu instid0(SALU_CYCLE_1)
	s_add_nc_u64 s[94:95], s[84:85], s[94:95]
	global_load_b32 v24, v7, s[94:95]
	s_wait_loadcnt 0x0
	v_add_nc_u32_e32 v24, 1, v24
	global_store_b32 v7, v24, s[94:95]
	s_branch .LBB97_2
.LBB97_1105:                            ;   in Loop: Header=BB97_3 Depth=1
	v_readlane_b32 s1, v74, 27
	s_and_b32 s1, s1, exec_lo
	s_or_saveexec_b32 s20, s20
	v_mov_b32_e32 v31, 0
	s_xor_b32 exec_lo, exec_lo, s20
	s_cbranch_execz .LBB97_16
.LBB97_1106:                            ;   in Loop: Header=BB97_3 Depth=1
	v_lshl_add_u64 v[68:69], v[14:15], 2, v[28:29]
	s_or_b32 s1, s1, exec_lo
	flat_load_b32 v31, v[68:69]
	s_wait_loadcnt_dscnt 0x0
	v_xor_b32_e32 v31, 0x80000000, v31
	s_or_b32 exec_lo, exec_lo, s20
	s_and_saveexec_b32 s20, s1
	s_cbranch_execnz .LBB97_17
	s_branch .LBB97_18
.LBB97_1107:                            ;   in Loop: Header=BB97_3 Depth=1
	v_readlane_b32 s1, v74, 27
	s_and_b32 s1, s1, exec_lo
	s_or_saveexec_b32 s20, s20
	v_mov_b32_e32 v31, 0
	s_xor_b32 exec_lo, exec_lo, s20
	s_cbranch_execz .LBB97_40
.LBB97_1108:                            ;   in Loop: Header=BB97_3 Depth=1
	v_lshl_add_u64 v[68:69], v[14:15], 2, v[28:29]
	s_or_b32 s1, s1, exec_lo
	flat_load_b32 v31, v[68:69]
	s_wait_loadcnt_dscnt 0x0
	v_xor_b32_e32 v31, 0x80000000, v31
	s_or_b32 exec_lo, exec_lo, s20
	s_and_saveexec_b32 s20, s1
	s_cbranch_execnz .LBB97_41
	s_branch .LBB97_42
.LBB97_1109:                            ;   in Loop: Header=BB97_3 Depth=1
	s_or_b32 exec_lo, exec_lo, s95
	s_delay_alu instid0(SALU_CYCLE_1)
	s_and_b32 vcc_lo, exec_lo, s1
	s_cbranch_vccnz .LBB97_1081
.LBB97_1110:                            ;   in Loop: Header=BB97_3 Depth=1
	v_mov_b32_e32 v68, v25
	s_and_saveexec_b32 s1, s94
	s_cbranch_execnz .LBB97_1102
	s_branch .LBB97_1103
.LBB97_1111:                            ;   in Loop: Header=BB97_3 Depth=1
	s_and_not1_b32 s20, s94, exec_lo
	s_and_b32 s22, s7, exec_lo
	s_delay_alu instid0(SALU_CYCLE_1)
	s_or_b32 s94, s20, s22
	s_cbranch_execnz .LBB97_1101
.LBB97_1112:                            ;   in Loop: Header=BB97_3 Depth=1
	v_readlane_b32 s20, v75, 8
	s_and_not1_b32 s1, s94, exec_lo
	s_and_b32 s20, s20, exec_lo
	s_delay_alu instid0(SALU_CYCLE_1) | instskip(NEXT) | instid1(SALU_CYCLE_1)
	s_or_b32 s94, s1, s20
	s_and_saveexec_b32 s1, s94
	s_cbranch_execnz .LBB97_1102
	s_branch .LBB97_1103
.LBB97_1113:                            ;   in Loop: Header=BB97_3 Depth=1
	ds_load_b32 v29, v35 offset:15840
	ds_load_b32 v31, v38 offset:16372
	s_wait_dscnt 0x0
	v_fmac_f32_e32 v28, v29, v31
	s_or_b32 exec_lo, exec_lo, s20
	s_and_saveexec_b32 s20, s14
	s_cbranch_execz .LBB97_81
.LBB97_1114:                            ;   in Loop: Header=BB97_3 Depth=1
	ds_load_b32 v29, v35 offset:16096
	ds_load_b32 v31, v38 offset:16376
	s_wait_dscnt 0x0
	v_fmac_f32_e32 v28, v29, v31
	s_or_b32 exec_lo, exec_lo, s20
	s_and_saveexec_b32 s20, s2
	s_cbranch_execnz .LBB97_82
	s_branch .LBB97_83
.LBB97_1115:                            ;   in Loop: Header=BB97_3 Depth=1
	ds_load_b32 v29, v40 offset:14784
	ds_load_b32 v31, v42 offset:16356
	s_wait_dscnt 0x0
	v_fmac_f32_e32 v28, v29, v31
	s_or_b32 exec_lo, exec_lo, s20
	s_and_saveexec_b32 s20, s16
	s_cbranch_execz .LBB97_119
.LBB97_1116:                            ;   in Loop: Header=BB97_3 Depth=1
	ds_load_b32 v29, v40 offset:15040
	ds_load_b32 v31, v42 offset:16360
	s_wait_dscnt 0x0
	v_fmac_f32_e32 v28, v29, v31
	s_or_b32 exec_lo, exec_lo, s20
	s_and_saveexec_b32 s20, s17
	s_cbranch_execz .LBB97_120
.LBB97_1117:                            ;   in Loop: Header=BB97_3 Depth=1
	ds_load_b32 v29, v40 offset:15296
	ds_load_b32 v31, v42 offset:16364
	s_wait_dscnt 0x0
	v_fmac_f32_e32 v28, v29, v31
	s_or_b32 exec_lo, exec_lo, s20
	s_and_saveexec_b32 s20, s18
	s_cbranch_execz .LBB97_121
.LBB97_1118:                            ;   in Loop: Header=BB97_3 Depth=1
	ds_load_b32 v29, v40 offset:15552
	ds_load_b32 v31, v42 offset:16368
	s_wait_dscnt 0x0
	v_fmac_f32_e32 v28, v29, v31
	s_or_b32 exec_lo, exec_lo, s20
	s_and_saveexec_b32 s20, s19
	s_cbranch_execz .LBB97_122
.LBB97_1119:                            ;   in Loop: Header=BB97_3 Depth=1
	ds_load_b32 v29, v40 offset:15808
	ds_load_b32 v31, v42 offset:16372
	s_wait_dscnt 0x0
	v_fmac_f32_e32 v28, v29, v31
	s_or_b32 exec_lo, exec_lo, s20
	s_and_saveexec_b32 s20, s3
	s_cbranch_execz .LBB97_123
.LBB97_1120:                            ;   in Loop: Header=BB97_3 Depth=1
	ds_load_b32 v29, v40 offset:16064
	ds_load_b32 v31, v42 offset:16376
	s_wait_dscnt 0x0
	v_fmac_f32_e32 v28, v29, v31
	s_or_b32 exec_lo, exec_lo, s20
	s_and_saveexec_b32 s20, s14
	s_cbranch_execnz .LBB97_124
	s_branch .LBB97_125
.LBB97_1121:                            ;   in Loop: Header=BB97_3 Depth=1
	ds_load_b32 v29, v35 offset:13760
	ds_load_b32 v31, v38 offset:14292
	s_wait_dscnt 0x0
	v_fmac_f32_e32 v28, v29, v31
	s_or_b32 exec_lo, exec_lo, s20
	s_and_saveexec_b32 s20, s14
	s_cbranch_execz .LBB97_177
.LBB97_1122:                            ;   in Loop: Header=BB97_3 Depth=1
	ds_load_b32 v29, v35 offset:14016
	ds_load_b32 v31, v38 offset:14296
	s_wait_dscnt 0x0
	v_fmac_f32_e32 v28, v29, v31
	s_or_b32 exec_lo, exec_lo, s20
	s_and_saveexec_b32 s20, s2
	s_cbranch_execnz .LBB97_178
	s_branch .LBB97_179
.LBB97_1123:                            ;   in Loop: Header=BB97_3 Depth=1
	ds_load_b32 v29, v44 offset:15232
	ds_load_b32 v31, v47 offset:16364
	s_wait_dscnt 0x0
	v_fmac_f32_e32 v28, v29, v31
	s_or_b32 exec_lo, exec_lo, s20
	s_and_saveexec_b32 s20, s4
	s_cbranch_execz .LBB97_235
.LBB97_1124:                            ;   in Loop: Header=BB97_3 Depth=1
	ds_load_b32 v29, v44 offset:15488
	ds_load_b32 v31, v47 offset:16368
	s_wait_dscnt 0x0
	v_fmac_f32_e32 v28, v29, v31
	s_or_b32 exec_lo, exec_lo, s20
	s_and_saveexec_b32 s20, s16
	s_cbranch_execz .LBB97_236
.LBB97_1125:                            ;   in Loop: Header=BB97_3 Depth=1
	ds_load_b32 v29, v44 offset:15744
	ds_load_b32 v31, v47 offset:16372
	s_wait_dscnt 0x0
	v_fmac_f32_e32 v28, v29, v31
	s_or_b32 exec_lo, exec_lo, s20
	s_and_saveexec_b32 s20, s18
	s_cbranch_execz .LBB97_237
.LBB97_1126:                            ;   in Loop: Header=BB97_3 Depth=1
	ds_load_b32 v29, v44 offset:16000
	ds_load_b32 v31, v47 offset:16376
	s_wait_dscnt 0x0
	v_fmac_f32_e32 v28, v29, v31
	s_or_b32 exec_lo, exec_lo, s20
	s_and_saveexec_b32 s20, s3
	s_cbranch_execnz .LBB97_238
	s_branch .LBB97_239
.LBB97_1127:                            ;   in Loop: Header=BB97_3 Depth=1
	ds_load_b32 v29, v35 offset:11680
	ds_load_b32 v31, v38 offset:12212
	s_wait_dscnt 0x0
	v_fmac_f32_e32 v28, v29, v31
	s_or_b32 exec_lo, exec_lo, s20
	s_and_saveexec_b32 s20, s14
	s_cbranch_execz .LBB97_323
.LBB97_1128:                            ;   in Loop: Header=BB97_3 Depth=1
	ds_load_b32 v29, v35 offset:11936
	ds_load_b32 v31, v38 offset:12216
	s_wait_dscnt 0x0
	v_fmac_f32_e32 v28, v29, v31
	s_or_b32 exec_lo, exec_lo, s20
	s_and_saveexec_b32 s20, s2
	s_cbranch_execnz .LBB97_324
	s_branch .LBB97_325
.LBB97_1129:                            ;   in Loop: Header=BB97_3 Depth=1
	ds_load_b32 v29, v40 offset:10624
	ds_load_b32 v31, v42 offset:12196
	s_wait_dscnt 0x0
	v_fmac_f32_e32 v28, v29, v31
	s_or_b32 exec_lo, exec_lo, s20
	s_and_saveexec_b32 s20, s16
	s_cbranch_execz .LBB97_361
.LBB97_1130:                            ;   in Loop: Header=BB97_3 Depth=1
	ds_load_b32 v29, v40 offset:10880
	ds_load_b32 v31, v42 offset:12200
	s_wait_dscnt 0x0
	v_fmac_f32_e32 v28, v29, v31
	s_or_b32 exec_lo, exec_lo, s20
	s_and_saveexec_b32 s20, s17
	s_cbranch_execz .LBB97_362
.LBB97_1131:                            ;   in Loop: Header=BB97_3 Depth=1
	ds_load_b32 v29, v40 offset:11136
	ds_load_b32 v31, v42 offset:12204
	s_wait_dscnt 0x0
	v_fmac_f32_e32 v28, v29, v31
	s_or_b32 exec_lo, exec_lo, s20
	s_and_saveexec_b32 s20, s18
	s_cbranch_execz .LBB97_363
.LBB97_1132:                            ;   in Loop: Header=BB97_3 Depth=1
	ds_load_b32 v29, v40 offset:11392
	ds_load_b32 v31, v42 offset:12208
	s_wait_dscnt 0x0
	v_fmac_f32_e32 v28, v29, v31
	s_or_b32 exec_lo, exec_lo, s20
	s_and_saveexec_b32 s20, s19
	s_cbranch_execz .LBB97_364
.LBB97_1133:                            ;   in Loop: Header=BB97_3 Depth=1
	ds_load_b32 v29, v40 offset:11648
	ds_load_b32 v31, v42 offset:12212
	s_wait_dscnt 0x0
	v_fmac_f32_e32 v28, v29, v31
	s_or_b32 exec_lo, exec_lo, s20
	s_and_saveexec_b32 s20, s3
	s_cbranch_execz .LBB97_365
.LBB97_1134:                            ;   in Loop: Header=BB97_3 Depth=1
	ds_load_b32 v29, v40 offset:11904
	ds_load_b32 v31, v42 offset:12216
	s_wait_dscnt 0x0
	v_fmac_f32_e32 v28, v29, v31
	s_or_b32 exec_lo, exec_lo, s20
	s_and_saveexec_b32 s20, s14
	s_cbranch_execnz .LBB97_366
	s_branch .LBB97_367
.LBB97_1135:                            ;   in Loop: Header=BB97_3 Depth=1
	ds_load_b32 v29, v35 offset:9600
	ds_load_b32 v31, v38 offset:10132
	s_wait_dscnt 0x0
	v_fmac_f32_e32 v28, v29, v31
	s_or_b32 exec_lo, exec_lo, s20
	s_and_saveexec_b32 s20, s14
	s_cbranch_execz .LBB97_419
.LBB97_1136:                            ;   in Loop: Header=BB97_3 Depth=1
	ds_load_b32 v29, v35 offset:9856
	ds_load_b32 v31, v38 offset:10136
	s_wait_dscnt 0x0
	v_fmac_f32_e32 v28, v29, v31
	s_or_b32 exec_lo, exec_lo, s20
	s_and_saveexec_b32 s20, s2
	s_cbranch_execnz .LBB97_420
	s_branch .LBB97_421
.LBB97_1137:                            ;   in Loop: Header=BB97_3 Depth=1
	ds_load_b32 v29, v46 offset:15616
	ds_load_b32 v31, v50 offset:16372
	s_wait_dscnt 0x0
	v_fmac_f32_e32 v28, v29, v31
	s_or_b32 exec_lo, exec_lo, s1
	s_and_saveexec_b32 s1, s4
	s_cbranch_execz .LBB97_513
.LBB97_1138:                            ;   in Loop: Header=BB97_3 Depth=1
	ds_load_b32 v29, v46 offset:15872
	ds_load_b32 v31, v50 offset:16376
	s_wait_dscnt 0x0
	v_fmac_f32_e32 v28, v29, v31
	s_or_b32 exec_lo, exec_lo, s1
	s_and_saveexec_b32 s1, s18
	s_cbranch_execnz .LBB97_514
	s_branch .LBB97_515
.LBB97_1139:                            ;   in Loop: Header=BB97_3 Depth=1
	ds_load_b32 v29, v35 offset:7520
	ds_load_b32 v31, v38 offset:8052
	s_wait_dscnt 0x0
	v_fmac_f32_e32 v28, v29, v31
	s_or_b32 exec_lo, exec_lo, s20
	s_and_saveexec_b32 s20, s14
	s_cbranch_execz .LBB97_663
.LBB97_1140:                            ;   in Loop: Header=BB97_3 Depth=1
	ds_load_b32 v29, v35 offset:7776
	ds_load_b32 v31, v38 offset:8056
	s_wait_dscnt 0x0
	v_fmac_f32_e32 v28, v29, v31
	s_or_b32 exec_lo, exec_lo, s20
	s_and_saveexec_b32 s20, s2
	s_cbranch_execnz .LBB97_664
	s_branch .LBB97_665
.LBB97_1141:                            ;   in Loop: Header=BB97_3 Depth=1
	ds_load_b32 v29, v40 offset:6464
	ds_load_b32 v31, v42 offset:8036
	s_wait_dscnt 0x0
	v_fmac_f32_e32 v28, v29, v31
	s_or_b32 exec_lo, exec_lo, s20
	s_and_saveexec_b32 s20, s16
	s_cbranch_execz .LBB97_701
.LBB97_1142:                            ;   in Loop: Header=BB97_3 Depth=1
	ds_load_b32 v29, v40 offset:6720
	ds_load_b32 v31, v42 offset:8040
	s_wait_dscnt 0x0
	v_fmac_f32_e32 v28, v29, v31
	s_or_b32 exec_lo, exec_lo, s20
	s_and_saveexec_b32 s20, s17
	s_cbranch_execz .LBB97_702
.LBB97_1143:                            ;   in Loop: Header=BB97_3 Depth=1
	ds_load_b32 v29, v40 offset:6976
	ds_load_b32 v31, v42 offset:8044
	s_wait_dscnt 0x0
	v_fmac_f32_e32 v28, v29, v31
	s_or_b32 exec_lo, exec_lo, s20
	s_and_saveexec_b32 s20, s18
	s_cbranch_execz .LBB97_703
.LBB97_1144:                            ;   in Loop: Header=BB97_3 Depth=1
	ds_load_b32 v29, v40 offset:7232
	ds_load_b32 v31, v42 offset:8048
	s_wait_dscnt 0x0
	v_fmac_f32_e32 v28, v29, v31
	s_or_b32 exec_lo, exec_lo, s20
	s_and_saveexec_b32 s20, s19
	s_cbranch_execz .LBB97_704
.LBB97_1145:                            ;   in Loop: Header=BB97_3 Depth=1
	ds_load_b32 v29, v40 offset:7488
	ds_load_b32 v31, v42 offset:8052
	s_wait_dscnt 0x0
	v_fmac_f32_e32 v28, v29, v31
	s_or_b32 exec_lo, exec_lo, s20
	s_and_saveexec_b32 s20, s3
	s_cbranch_execz .LBB97_705
.LBB97_1146:                            ;   in Loop: Header=BB97_3 Depth=1
	ds_load_b32 v29, v40 offset:7744
	ds_load_b32 v31, v42 offset:8056
	s_wait_dscnt 0x0
	v_fmac_f32_e32 v28, v29, v31
	s_or_b32 exec_lo, exec_lo, s20
	s_and_saveexec_b32 s20, s14
	s_cbranch_execnz .LBB97_706
	s_branch .LBB97_707
.LBB97_1147:                            ;   in Loop: Header=BB97_3 Depth=1
	ds_load_b32 v29, v35 offset:5440
	ds_load_b32 v31, v38 offset:5972
	s_wait_dscnt 0x0
	v_fmac_f32_e32 v28, v29, v31
	s_or_b32 exec_lo, exec_lo, s20
	s_and_saveexec_b32 s20, s14
	s_cbranch_execz .LBB97_759
.LBB97_1148:                            ;   in Loop: Header=BB97_3 Depth=1
	ds_load_b32 v29, v35 offset:5696
	ds_load_b32 v31, v38 offset:5976
	s_wait_dscnt 0x0
	v_fmac_f32_e32 v28, v29, v31
	s_or_b32 exec_lo, exec_lo, s20
	s_and_saveexec_b32 s20, s2
	s_cbranch_execnz .LBB97_760
	s_branch .LBB97_761
.LBB97_1149:                            ;   in Loop: Header=BB97_3 Depth=1
	ds_load_b32 v29, v44 offset:6912
	ds_load_b32 v31, v47 offset:8044
	s_wait_dscnt 0x0
	v_fmac_f32_e32 v28, v29, v31
	s_or_b32 exec_lo, exec_lo, s20
	s_and_saveexec_b32 s20, s4
	s_cbranch_execz .LBB97_817
.LBB97_1150:                            ;   in Loop: Header=BB97_3 Depth=1
	ds_load_b32 v29, v44 offset:7168
	ds_load_b32 v31, v47 offset:8048
	s_wait_dscnt 0x0
	v_fmac_f32_e32 v28, v29, v31
	s_or_b32 exec_lo, exec_lo, s20
	s_and_saveexec_b32 s20, s16
	s_cbranch_execz .LBB97_818
.LBB97_1151:                            ;   in Loop: Header=BB97_3 Depth=1
	ds_load_b32 v29, v44 offset:7424
	ds_load_b32 v31, v47 offset:8052
	s_wait_dscnt 0x0
	v_fmac_f32_e32 v28, v29, v31
	s_or_b32 exec_lo, exec_lo, s20
	s_and_saveexec_b32 s20, s18
	s_cbranch_execz .LBB97_819
.LBB97_1152:                            ;   in Loop: Header=BB97_3 Depth=1
	ds_load_b32 v29, v44 offset:7680
	ds_load_b32 v31, v47 offset:8056
	s_wait_dscnt 0x0
	v_fmac_f32_e32 v28, v29, v31
	s_or_b32 exec_lo, exec_lo, s20
	s_and_saveexec_b32 s20, s3
	s_cbranch_execnz .LBB97_820
	s_branch .LBB97_821
.LBB97_1153:                            ;   in Loop: Header=BB97_3 Depth=1
	ds_load_b32 v29, v35 offset:3360
	ds_load_b32 v31, v38 offset:3892
	s_wait_dscnt 0x0
	v_fmac_f32_e32 v28, v29, v31
	s_or_b32 exec_lo, exec_lo, s20
	s_and_saveexec_b32 s20, s14
	s_cbranch_execz .LBB97_905
.LBB97_1154:                            ;   in Loop: Header=BB97_3 Depth=1
	ds_load_b32 v29, v35 offset:3616
	ds_load_b32 v31, v38 offset:3896
	s_wait_dscnt 0x0
	v_fmac_f32_e32 v28, v29, v31
	s_or_b32 exec_lo, exec_lo, s20
	s_and_saveexec_b32 s20, s2
	s_cbranch_execnz .LBB97_906
	s_branch .LBB97_907
.LBB97_1155:                            ;   in Loop: Header=BB97_3 Depth=1
	ds_load_b32 v29, v40 offset:2304
	ds_load_b32 v31, v42 offset:3876
	s_wait_dscnt 0x0
	v_fmac_f32_e32 v28, v29, v31
	s_or_b32 exec_lo, exec_lo, s20
	s_and_saveexec_b32 s20, s16
	s_cbranch_execz .LBB97_943
.LBB97_1156:                            ;   in Loop: Header=BB97_3 Depth=1
	ds_load_b32 v29, v40 offset:2560
	ds_load_b32 v31, v42 offset:3880
	s_wait_dscnt 0x0
	v_fmac_f32_e32 v28, v29, v31
	s_or_b32 exec_lo, exec_lo, s20
	s_and_saveexec_b32 s20, s17
	s_cbranch_execz .LBB97_944
.LBB97_1157:                            ;   in Loop: Header=BB97_3 Depth=1
	ds_load_b32 v29, v40 offset:2816
	ds_load_b32 v31, v42 offset:3884
	s_wait_dscnt 0x0
	v_fmac_f32_e32 v28, v29, v31
	s_or_b32 exec_lo, exec_lo, s20
	s_and_saveexec_b32 s20, s18
	s_cbranch_execz .LBB97_945
.LBB97_1158:                            ;   in Loop: Header=BB97_3 Depth=1
	ds_load_b32 v29, v40 offset:3072
	ds_load_b32 v31, v42 offset:3888
	s_wait_dscnt 0x0
	v_fmac_f32_e32 v28, v29, v31
	s_or_b32 exec_lo, exec_lo, s20
	s_and_saveexec_b32 s20, s19
	s_cbranch_execz .LBB97_946
.LBB97_1159:                            ;   in Loop: Header=BB97_3 Depth=1
	ds_load_b32 v29, v40 offset:3328
	ds_load_b32 v31, v42 offset:3892
	s_wait_dscnt 0x0
	v_fmac_f32_e32 v28, v29, v31
	s_or_b32 exec_lo, exec_lo, s20
	s_and_saveexec_b32 s20, s3
	s_cbranch_execz .LBB97_947
.LBB97_1160:                            ;   in Loop: Header=BB97_3 Depth=1
	ds_load_b32 v29, v40 offset:3584
	ds_load_b32 v31, v42 offset:3896
	s_wait_dscnt 0x0
	v_fmac_f32_e32 v28, v29, v31
	s_or_b32 exec_lo, exec_lo, s20
	s_and_saveexec_b32 s20, s14
	s_cbranch_execnz .LBB97_948
	s_branch .LBB97_949
.LBB97_1161:                            ;   in Loop: Header=BB97_3 Depth=1
	ds_load_b32 v29, v35 offset:1280
	ds_load_b32 v31, v38 offset:1812
	s_wait_dscnt 0x0
	v_fmac_f32_e32 v28, v29, v31
	s_or_b32 exec_lo, exec_lo, s20
	s_and_saveexec_b32 s20, s14
	s_cbranch_execz .LBB97_1001
.LBB97_1162:                            ;   in Loop: Header=BB97_3 Depth=1
	ds_load_b32 v29, v35 offset:1536
	ds_load_b32 v31, v38 offset:1816
	s_wait_dscnt 0x0
	v_fmac_f32_e32 v28, v29, v31
	s_or_b32 exec_lo, exec_lo, s20
	s_and_saveexec_b32 s20, s2
	s_cbranch_execnz .LBB97_1002
	s_branch .LBB97_1003
.LBB97_1163:
	s_endpgm
	.section	.rodata,"a",@progbits
	.p2align	6, 0x0
	.amdhsa_kernel _ZL19rocblas_trsv_deviceILi64ELi16ELb0ELb0ELb0ELb1EfPKfPKS1_PKPfEviT7_lllT6_T8_lllPii
		.amdhsa_group_segment_fixed_size 20740
		.amdhsa_private_segment_fixed_size 0
		.amdhsa_kernarg_size 352
		.amdhsa_user_sgpr_count 2
		.amdhsa_user_sgpr_dispatch_ptr 0
		.amdhsa_user_sgpr_queue_ptr 0
		.amdhsa_user_sgpr_kernarg_segment_ptr 1
		.amdhsa_user_sgpr_dispatch_id 0
		.amdhsa_user_sgpr_kernarg_preload_length 0
		.amdhsa_user_sgpr_kernarg_preload_offset 0
		.amdhsa_user_sgpr_private_segment_size 0
		.amdhsa_wavefront_size32 1
		.amdhsa_uses_dynamic_stack 0
		.amdhsa_enable_private_segment 0
		.amdhsa_system_sgpr_workgroup_id_x 1
		.amdhsa_system_sgpr_workgroup_id_y 0
		.amdhsa_system_sgpr_workgroup_id_z 1
		.amdhsa_system_sgpr_workgroup_info 0
		.amdhsa_system_vgpr_workitem_id 1
		.amdhsa_next_free_vgpr 78
		.amdhsa_next_free_sgpr 105
		.amdhsa_named_barrier_count 0
		.amdhsa_reserve_vcc 1
		.amdhsa_float_round_mode_32 0
		.amdhsa_float_round_mode_16_64 0
		.amdhsa_float_denorm_mode_32 3
		.amdhsa_float_denorm_mode_16_64 3
		.amdhsa_fp16_overflow 0
		.amdhsa_memory_ordered 1
		.amdhsa_forward_progress 1
		.amdhsa_inst_pref_size 254
		.amdhsa_round_robin_scheduling 0
		.amdhsa_exception_fp_ieee_invalid_op 0
		.amdhsa_exception_fp_denorm_src 0
		.amdhsa_exception_fp_ieee_div_zero 0
		.amdhsa_exception_fp_ieee_overflow 0
		.amdhsa_exception_fp_ieee_underflow 0
		.amdhsa_exception_fp_ieee_inexact 0
		.amdhsa_exception_int_div_zero 0
	.end_amdhsa_kernel
	.section	.text._ZL19rocblas_trsv_deviceILi64ELi16ELb0ELb0ELb0ELb1EfPKfPKS1_PKPfEviT7_lllT6_T8_lllPii,"axG",@progbits,_ZL19rocblas_trsv_deviceILi64ELi16ELb0ELb0ELb0ELb1EfPKfPKS1_PKPfEviT7_lllT6_T8_lllPii,comdat
.Lfunc_end97:
	.size	_ZL19rocblas_trsv_deviceILi64ELi16ELb0ELb0ELb0ELb1EfPKfPKS1_PKPfEviT7_lllT6_T8_lllPii, .Lfunc_end97-_ZL19rocblas_trsv_deviceILi64ELi16ELb0ELb0ELb0ELb1EfPKfPKS1_PKPfEviT7_lllT6_T8_lllPii
                                        ; -- End function
	.set _ZL19rocblas_trsv_deviceILi64ELi16ELb0ELb0ELb0ELb1EfPKfPKS1_PKPfEviT7_lllT6_T8_lllPii.num_vgpr, 78
	.set _ZL19rocblas_trsv_deviceILi64ELi16ELb0ELb0ELb0ELb1EfPKfPKS1_PKPfEviT7_lllT6_T8_lllPii.num_agpr, 0
	.set _ZL19rocblas_trsv_deviceILi64ELi16ELb0ELb0ELb0ELb1EfPKfPKS1_PKPfEviT7_lllT6_T8_lllPii.numbered_sgpr, 105
	.set _ZL19rocblas_trsv_deviceILi64ELi16ELb0ELb0ELb0ELb1EfPKfPKS1_PKPfEviT7_lllT6_T8_lllPii.num_named_barrier, 0
	.set _ZL19rocblas_trsv_deviceILi64ELi16ELb0ELb0ELb0ELb1EfPKfPKS1_PKPfEviT7_lllT6_T8_lllPii.private_seg_size, 0
	.set _ZL19rocblas_trsv_deviceILi64ELi16ELb0ELb0ELb0ELb1EfPKfPKS1_PKPfEviT7_lllT6_T8_lllPii.uses_vcc, 1
	.set _ZL19rocblas_trsv_deviceILi64ELi16ELb0ELb0ELb0ELb1EfPKfPKS1_PKPfEviT7_lllT6_T8_lllPii.uses_flat_scratch, 0
	.set _ZL19rocblas_trsv_deviceILi64ELi16ELb0ELb0ELb0ELb1EfPKfPKS1_PKPfEviT7_lllT6_T8_lllPii.has_dyn_sized_stack, 0
	.set _ZL19rocblas_trsv_deviceILi64ELi16ELb0ELb0ELb0ELb1EfPKfPKS1_PKPfEviT7_lllT6_T8_lllPii.has_recursion, 0
	.set _ZL19rocblas_trsv_deviceILi64ELi16ELb0ELb0ELb0ELb1EfPKfPKS1_PKPfEviT7_lllT6_T8_lllPii.has_indirect_call, 0
	.section	.AMDGPU.csdata,"",@progbits
; Kernel info:
; codeLenInByte = 32416
; TotalNumSgprs: 107
; NumVgprs: 78
; ScratchSize: 0
; MemoryBound: 0
; FloatMode: 240
; IeeeMode: 1
; LDSByteSize: 20740 bytes/workgroup (compile time only)
; SGPRBlocks: 0
; VGPRBlocks: 4
; NumSGPRsForWavesPerEU: 107
; NumVGPRsForWavesPerEU: 78
; NamedBarCnt: 0
; Occupancy: 12
; WaveLimiterHint : 1
; COMPUTE_PGM_RSRC2:SCRATCH_EN: 0
; COMPUTE_PGM_RSRC2:USER_SGPR: 2
; COMPUTE_PGM_RSRC2:TRAP_HANDLER: 0
; COMPUTE_PGM_RSRC2:TGID_X_EN: 1
; COMPUTE_PGM_RSRC2:TGID_Y_EN: 0
; COMPUTE_PGM_RSRC2:TGID_Z_EN: 1
; COMPUTE_PGM_RSRC2:TIDIG_COMP_CNT: 1
	.section	.text._ZL19rocblas_trsv_deviceILi64ELi16ELb0ELb1ELb0ELb1EfPKfPKS1_PKPfEviT7_lllT6_T8_lllPii,"axG",@progbits,_ZL19rocblas_trsv_deviceILi64ELi16ELb0ELb1ELb0ELb1EfPKfPKS1_PKPfEviT7_lllT6_T8_lllPii,comdat
	.globl	_ZL19rocblas_trsv_deviceILi64ELi16ELb0ELb1ELb0ELb1EfPKfPKS1_PKPfEviT7_lllT6_T8_lllPii ; -- Begin function _ZL19rocblas_trsv_deviceILi64ELi16ELb0ELb1ELb0ELb1EfPKfPKS1_PKPfEviT7_lllT6_T8_lllPii
	.p2align	8
	.type	_ZL19rocblas_trsv_deviceILi64ELi16ELb0ELb1ELb0ELb1EfPKfPKS1_PKPfEviT7_lllT6_T8_lllPii,@function
_ZL19rocblas_trsv_deviceILi64ELi16ELb0ELb1ELb0ELb1EfPKfPKS1_PKPfEviT7_lllT6_T8_lllPii: ; @_ZL19rocblas_trsv_deviceILi64ELi16ELb0ELb1ELb0ELb1EfPKfPKS1_PKPfEviT7_lllT6_T8_lllPii
; %bb.0:
	s_load_b32 s6, s[0:1], 0x58
	s_bfe_u32 s2, ttmp6, 0x40014
	s_lshr_b32 s3, ttmp7, 16
	s_add_co_i32 s2, s2, 1
	s_bfe_u32 s5, ttmp6, 0x40008
	s_mul_i32 s4, s3, s2
	s_getreg_b32 s2, hwreg(HW_REG_IB_STS2, 6, 4)
	s_add_co_i32 s5, s5, s4
	s_cmp_eq_u32 s2, 0
	s_mov_b32 s63, 0
	s_cselect_b32 s62, s3, s5
                                        ; implicit-def: $vgpr91 : SGPR spill to VGPR lane
	s_wait_kmcnt 0x0
	s_cmp_ge_u32 s62, s6
	v_writelane_b32 v91, s6, 0
	s_cbranch_scc1 .LBB98_1225
; %bb.1:
	s_clause 0x2
	s_load_b32 s3, s[0:1], 0x6c
	s_load_b32 s83, s[0:1], 0x0
	s_load_b64 s[14:15], s[0:1], 0x18
	s_bfe_u32 s5, ttmp6, 0x4000c
	s_and_b32 s4, ttmp6, 15
	s_add_co_i32 s5, s5, 1
	v_and_b32_e32 v4, 0x3ff, v0
	s_mul_i32 s5, ttmp9, s5
	v_mov_b32_e32 v3, 0
	s_add_co_i32 s4, s4, s5
	s_cmp_eq_u32 s2, 0
	v_bfe_u32 v6, v0, 10, 10
	s_cselect_b32 s84, ttmp9, s4
	v_dual_mov_b32 v9, v3 :: v_dual_lshlrev_b32 v20, 6, v4
	v_sub_co_u32 v5, s7, s84, 1
	s_delay_alu instid0(VALU_DEP_3)
	v_add_nc_u32_e32 v26, 16, v6
	v_lshl_add_u32 v34, v6, 6, v4
	v_and_b32_e32 v1, 1, v0
	s_wait_kmcnt 0x0
	s_and_b32 s2, s3, 0xffff
	s_add_co_i32 s3, s83, -1
	s_ashr_i32 s4, s83, 31
	s_ashr_i32 s5, s3, 31
	s_lshr_b32 s4, s4, 26
	s_lshr_b32 s5, s5, 26
	s_add_co_i32 s4, s83, s4
	s_add_co_i32 s3, s3, s5
	s_and_not1_b32 s4, s4, 63
	s_ashr_i32 s3, s3, 6
	s_sub_co_i32 s13, s83, s4
	s_cmp_eq_u32 s3, s84
	v_mad_u32_u24 v8, v6, s2, v4
	s_cselect_b32 s3, -1, 0
	s_cmp_lg_u32 s13, 0
	v_dual_add_nc_u32 v7, v26, v20 :: v_dual_mov_b32 v27, v3
	s_cselect_b32 s6, -1, 0
	s_lshl_b32 s18, s84, 6
	s_and_b32 s39, s6, s3
	s_xor_b32 s2, s7, -1
	s_xor_b32 s86, s39, -1
	v_dual_add_nc_u32 v2, v6, v20 :: v_dual_add_nc_u32 v35, s18, v6
	s_cmp_lt_i32 s84, 5
	v_lshl_add_u32 v12, v26, 6, v4
	s_cselect_b32 vcc_lo, -1, 0
	s_delay_alu instid0(VALU_DEP_2) | instid1(SALU_CYCLE_1)
	v_dual_add_nc_u32 v28, s18, v4 :: v_dual_cndmask_b32 v36, v34, v2, vcc_lo
	s_or_b32 vcc_lo, vcc_lo, s39
	v_writelane_b32 v91, s2, 1
	v_cmp_gt_u32_e64 s2, 4, v34
	s_delay_alu instid0(VALU_DEP_3)
	v_dual_ashrrev_i32 v29, 31, v28 :: v_dual_cndmask_b32 v37, v12, v7, vcc_lo
	v_mov_b32_e32 v7, v3
	v_cmp_eq_u32_e64 s3, 1, v1
	s_add_nc_u64 s[4:5], s[14:15], 1
	s_ashr_i32 s19, s18, 31
	v_dual_add_nc_u32 v32, 32, v6 :: v_dual_bitop2_b32 v22, 3, v0 bitop3:0x40
	s_mul_u64 s[16:17], s[4:5], s[18:19]
	v_cmp_eq_u32_e64 s5, 0, v1
	s_and_b32 s88, s3, s2
	v_cmp_eq_u32_e64 s3, 0, v6
	v_cmp_gt_u32_e64 s6, 2, v4
	v_cmp_gt_u32_e64 s4, 16, v34
	s_and_b32 s89, s5, s2
	v_cmp_ne_u32_e64 s5, 3, v22
	v_cmp_eq_u32_e64 s7, 3, v22
	s_and_b32 s90, s3, s6
	v_cmp_eq_u32_e64 s6, 2, v22
	v_dual_add_nc_u32 v30, 48, v6 :: v_dual_bitop2_b32 v23, 7, v0 bitop3:0x40
	s_and_b32 s92, s5, s4
	v_cmp_eq_u32_e64 s5, 1, v22
	s_and_b32 s93, s6, s4
	v_cmp_eq_u32_e64 s6, 0, v22
	s_and_b32 s91, s7, s4
	v_cmp_gt_u32_e64 s7, 2, v22
	s_and_b32 s95, s5, s4
	v_cmp_gt_u32_e64 s5, 64, v34
	s_and_b32 s96, s6, s4
	v_cmp_eq_u32_e64 s6, 7, v23
	s_and_b32 s94, s7, s4
	v_cmp_gt_u32_e64 s7, 4, v4
	v_cmp_ne_u32_e64 s8, 7, v23
	v_cmp_gt_u32_e64 s9, 6, v23
	s_and_b32 s98, s6, s5
	v_cmp_eq_u32_e64 s6, 5, v23
	s_and_b32 s97, s3, s7
	v_cmp_eq_u32_e64 s7, 6, v23
	;; [unrolled: 2-line block ×3, first 2 shown]
	s_and_b32 s102, s6, s5
	v_cmp_gt_u32_e64 s6, 4, v23
	s_and_b32 s100, s7, s5
	s_and_b32 s101, s9, s5
	v_cmp_gt_u32_e64 s7, 5, v23
	v_cmp_eq_u32_e64 s9, 3, v23
	s_and_b32 s104, s8, s5
	s_and_b32 vcc_hi, s6, s5
	v_cmp_eq_u32_e64 s6, 2, v23
	v_cmp_gt_u32_e64 s8, 2, v23
	v_dual_mov_b32 v33, v3 :: v_dual_bitop2_b32 v62, 15, v0 bitop3:0x40
	s_and_b32 s103, s7, s5
	v_cmp_gt_u32_e64 s7, 3, v23
	s_and_b32 s31, s9, s5
	v_cmp_eq_u32_e64 s9, 0, v23
	s_and_b32 s34, s6, s5
	s_and_b32 s35, s8, s5
	v_cmp_gt_u32_e64 s6, 0x100, v34
	v_cmp_eq_u32_e64 s8, 15, v62
	s_and_b32 s33, s7, s5
	v_cmp_eq_u32_e64 s7, 1, v23
	s_and_b32 s37, s9, s5
	v_cmp_ne_u32_e64 s9, 15, v62
	s_and_b32 s8, s8, s6
	v_cmp_eq_u32_e64 s10, 14, v62
	v_writelane_b32 v91, s8, 2
	s_and_b32 s36, s7, s5
	v_cmp_gt_u32_e64 s7, 8, v4
	s_and_b32 s8, s9, s6
	v_cmp_eq_u32_e64 s9, 12, v62
	v_writelane_b32 v91, s8, 3
	s_and_b32 s8, s10, s6
	s_and_b32 s38, s3, s7
	v_cmp_gt_u32_e64 s7, 14, v62
	v_cmp_gt_u32_e64 s10, 12, v62
	v_writelane_b32 v91, s8, 4
	v_cmp_eq_u32_e64 s8, 13, v62
	v_dual_mov_b32 v31, v3 :: v_dual_bitop2_b32 v64, 31, v0 bitop3:0x40
	s_and_b32 s7, s7, s6
	s_and_b32 s46, s10, s6
	v_writelane_b32 v91, s7, 5
	v_cmp_gt_u32_e64 s7, 13, v62
	s_and_b32 s43, s8, s6
	v_cmp_eq_u32_e64 s8, 11, v62
	v_cmp_eq_u32_e64 s10, 9, v62
	s_and_b32 s45, s9, s6
	s_and_b32 s44, s7, s6
	v_cmp_gt_u32_e64 s7, 11, v62
	s_and_b32 s47, s8, s6
	v_cmp_eq_u32_e64 s8, 10, v62
	s_and_b32 s51, s10, s6
	v_cmp_gt_u32_e64 s10, 7, v62
	s_and_b32 s48, s7, s6
	v_cmp_gt_u32_e64 s7, 9, v62
	s_and_b32 s49, s8, s6
	v_cmp_eq_u32_e64 s8, 8, v62
	s_and_b32 s22, s10, s6
	v_cmp_eq_u32_e64 s10, 4, v62
	s_and_b32 s52, s7, s6
	v_cmp_gt_u32_e64 s7, 8, v62
	s_and_b32 s53, s8, s6
	v_cmp_eq_u32_e64 s8, 6, v62
	s_and_b32 s57, s10, s6
	v_cmp_gt_u32_e64 s10, 2, v62
	s_and_b32 s54, s7, s6
	v_cmp_gt_u32_e64 s7, 6, v62
	s_and_b32 s24, s8, s6
	v_cmp_eq_u32_e64 s8, 5, v62
	v_cmp_gt_u32_e64 s9, 10, v62
	s_and_b32 s23, s10, s6
	s_and_b32 s26, s7, s6
	v_cmp_gt_u32_e64 s7, 4, v62
	s_and_b32 s28, s8, s6
	v_cmp_eq_u32_e64 s8, 3, v62
	v_cmp_eq_u32_e64 s10, 31, v64
	s_and_b32 s50, s9, s6
	s_and_b32 s58, s7, s6
	v_cmp_gt_u32_e64 s7, 3, v62
	s_and_b32 s59, s8, s6
	v_cmp_eq_u32_e64 s8, 1, v62
	v_cmp_eq_u32_e64 s9, 7, v62
	v_cmp_ne_u32_e64 s11, 31, v64
	s_and_b32 s60, s7, s6
	v_cmp_gt_u32_e64 s7, 0x400, v34
	s_and_b32 s25, s8, s6
	v_cmp_eq_u32_e64 s8, 0, v62
	s_and_b32 s20, s9, s6
	v_cmp_gt_u32_e64 s9, 5, v62
	v_cmp_eq_u32_e64 s12, 30, v64
	v_add_nc_u64_e32 v[24:25], s[18:19], v[8:9]
	s_and_b32 s27, s8, s6
	s_and_b32 s8, s10, s7
	;; [unrolled: 1-line block ×3, first 2 shown]
	v_writelane_b32 v91, s8, 6
	s_and_b32 s8, s11, s7
	v_cmp_eq_u32_e64 s9, 2, v62
	v_cmp_gt_u32_e64 s10, 29, v64
	v_cmp_eq_u32_e64 s11, 28, v64
	v_writelane_b32 v91, s8, 7
	s_and_b32 s8, s12, s7
	s_and_b32 s21, s9, s6
	v_cmp_gt_u32_e64 s9, 16, v4
	v_cmp_gt_u32_e64 s12, 28, v64
	v_writelane_b32 v91, s8, 8
	v_cmp_gt_u32_e64 s8, 30, v64
	v_mul_u64_e32 v[12:13], s[14:15], v[6:7]
	s_and_b32 s29, s3, s9
	v_cmp_eq_u32_e64 s9, 29, v64
	v_dual_add_nc_u32 v7, v32, v20 :: v_dual_add_nc_u32 v20, v30, v20
	s_and_b32 s8, s8, s7
	v_lshl_add_u32 v9, v32, 6, v4
	v_writelane_b32 v91, s8, 9
	s_and_b32 s8, s9, s7
	v_cmp_gt_u32_e64 s9, 27, v64
	v_lshl_add_u32 v21, v30, 6, v4
	s_xor_b32 s87, vcc_lo, -1
	v_writelane_b32 v91, s8, 10
	s_and_b32 s8, s10, s7
	v_cmp_eq_u32_e64 s10, 26, v64
	v_add_nc_u32_e32 v2, s18, v8
	v_mul_u64_e32 v[14:15], s[14:15], v[26:27]
	v_writelane_b32 v91, s8, 11
	s_and_b32 s8, s11, s7
	v_cmp_gt_u32_e64 s11, 26, v64
	v_mul_u64_e32 v[18:19], s[14:15], v[30:31]
	v_cndmask_b32_e32 v27, v9, v7, vcc_lo
	v_writelane_b32 v91, s8, 12
	s_and_b32 s8, s12, s7
	v_cmp_eq_u32_e64 s12, 25, v64
	v_dual_cndmask_b32 v31, v21, v20 :: v_dual_lshrrev_b32 v46, 1, v34
	v_writelane_b32 v91, s8, 13
	v_cmp_eq_u32_e64 s8, 27, v64
	v_cmp_gt_u32_e32 vcc_lo, 22, v64
                                        ; implicit-def: $vgpr90 : SGPR spill to VGPR lane
                                        ; implicit-def: $vgpr89 : SGPR spill to VGPR lane
	v_mul_u64_e32 v[16:17], s[14:15], v[32:33]
	v_subrev_nc_u32_e32 v20, 64, v35
	v_lshrrev_b32_e32 v33, 10, v0
	s_and_b32 s8, s8, s7
	v_lshlrev_b32_e32 v7, 2, v4
	v_writelane_b32 v91, s8, 14
	s_and_b32 s8, s9, s7
	v_cmp_eq_u32_e64 s9, 24, v64
	v_ashrrev_i32_e32 v21, 31, v20
	v_bitop3_b32 v33, v0, v33, 0x3ff bitop3:0xa8
	v_writelane_b32 v91, s8, 15
	s_and_b32 s8, s10, s7
	v_cmp_gt_u32_e64 s10, 24, v64
	v_lshl_add_u32 v44, v46, 2, 0x4000
	v_lshlrev_b32_e32 v0, 8, v46
	v_writelane_b32 v91, s8, 16
	s_and_b32 s8, s11, s7
	v_cmp_eq_u32_e64 s11, 23, v64
	v_dual_lshlrev_b32 v46, 2, v1 :: v_dual_lshlrev_b32 v1, 6, v34
	v_writelane_b32 v91, s8, 17
	s_and_b32 s8, s12, s7
	v_cmp_gt_u32_e64 s12, 23, v64
	s_load_b256 s[64:71], s[0:1], 0x28
	v_dual_sub_nc_u32 v48, 0, v0 :: v_dual_bitop2_b32 v50, -4, v34 bitop3:0x40
	v_writelane_b32 v91, s8, 18
	v_cmp_gt_u32_e64 s8, 25, v64
	v_dual_sub_nc_u32 v49, v46, v0 :: v_dual_lshlrev_b32 v52, 2, v22
	v_and_b32_e32 v0, 0xffffff00, v1
	v_lshrrev_b32_e32 v1, 3, v34
	s_and_b32 s8, s8, s7
	v_lshlrev_b32_e32 v56, 2, v23
	v_writelane_b32 v91, s8, 19
	s_and_b32 s8, s9, s7
	s_and_b32 s9, s10, s7
	s_and_b32 s10, s11, s7
	v_sub_nc_u32_e32 v53, 0, v0
	v_writelane_b32 v91, s8, 20
	v_cmp_eq_u32_e64 s8, 22, v64
	v_dual_sub_nc_u32 v55, v52, v0 :: v_dual_lshlrev_b32 v0, 8, v1
	v_lshl_add_u32 v57, v1, 2, 0x4000
	v_writelane_b32 v91, s9, 21
	s_and_b32 s8, s8, s7
	v_cmp_eq_u32_e64 s9, 21, v64
	v_dual_lshrrev_b32 v1, 4, v34 :: v_dual_sub_nc_u32 v59, 0, v0
	v_sub_nc_u32_e32 v60, v56, v0
	v_writelane_b32 v91, s10, 22
	s_and_b32 s10, s12, s7
	s_delay_alu instid0(VALU_DEP_3)
	v_dual_lshrrev_b32 v0, 5, v34 :: v_dual_lshlrev_b32 v22, 8, v1
	v_lshlrev_b32_e32 v62, 2, v62
	v_writelane_b32 v91, s10, 23
	s_clause 0x1
	s_load_b64 s[76:77], s[0:1], 0x50
	s_load_b128 s[72:75], s[0:1], 0x8
	v_lshl_add_u32 v63, v1, 2, 0x4000
	v_lshlrev_b32_e32 v1, 8, v0
	v_writelane_b32 v91, s8, 24
	s_and_b32 s8, vcc_lo, s7
	v_cmp_gt_u32_e32 vcc_lo, 21, v64
	s_delay_alu instid0(VALU_DEP_3)
	v_dual_sub_nc_u32 v66, v62, v22 :: v_dual_sub_nc_u32 v68, 0, v1
	v_writelane_b32 v91, s8, 25
	s_and_b32 s8, s9, s7
	v_mul_u64_e32 v[10:11], s[14:15], v[28:29]
	v_lshl_add_u32 v67, v0, 2, 0x4000
	v_cmp_gt_u32_e64 s40, 0xf0, v34
	v_writelane_b32 v91, s8, 26
	s_and_b32 s8, vcc_lo, s7
	v_cmp_eq_u32_e32 vcc_lo, 20, v64
                                        ; implicit-def: $vgpr88 : SGPR spill to VGPR lane
	v_mad_u32_u24 v9, 0xfc, v4, v7
	s_wait_kmcnt 0x0
	v_mul_u64_e32 v[24:25], s[70:71], v[24:25]
	v_writelane_b32 v91, s8, 27
	v_mul_i32_i24_e32 v81, 0xffffff04, v4
	s_and_b32 s8, vcc_lo, s7
	v_cmp_gt_u32_e32 vcc_lo, 20, v64
	v_mad_i32_i24 v38, 0xffffff04, v4, v9
	v_writelane_b32 v91, s8, 28
	v_add_nc_u32_e32 v50, 0x4000, v50
	v_lshl_add_u32 v71, v8, 2, 0x5000
	s_and_b32 s8, vcc_lo, s7
	v_cmp_eq_u32_e32 vcc_lo, 19, v64
	v_writelane_b32 v91, s8, 29
	v_mad_u32_u24 v39, 0xfc, v4, v38
	v_lshl_add_u32 v72, v34, 2, 0x4000
	v_add_nc_u32_e32 v73, 0x4000, v7
	s_and_b32 s8, vcc_lo, s7
	v_cmp_gt_u32_e32 vcc_lo, 19, v64
	v_writelane_b32 v91, s8, 30
	v_mad_i32_i24 v40, 0xffffff04, v4, v39
	v_cmp_gt_u32_e64 s14, 8, v34
	v_cmp_gt_u32_e64 s15, 56, v34
	s_and_b32 s8, vcc_lo, s7
	v_cmp_eq_u32_e32 vcc_lo, 18, v64
	v_writelane_b32 v91, s8, 31
	v_mad_u32_u24 v41, 0xfc, v4, v40
	v_cmp_gt_u32_e64 s18, 32, v34
	v_cmp_gt_u32_e64 s19, 24, v34
	s_and_b32 s8, vcc_lo, s7
	v_cmp_gt_u32_e32 vcc_lo, 18, v64
	v_writelane_b32 v90, s8, 0
	v_mad_i32_i24 v42, 0xffffff04, v4, v41
	v_cmp_eq_u32_e64 s55, 0, v8
	v_cmp_gt_u32_e64 s56, 64, v8
	s_and_b32 s8, vcc_lo, s7
	v_cmp_eq_u32_e32 vcc_lo, 17, v64
	v_writelane_b32 v90, s8, 1
	v_mad_u32_u24 v43, 0xfc, v4, v42
                                        ; implicit-def: $vgpr82
                                        ; implicit-def: $vgpr83
                                        ; implicit-def: $vgpr84
                                        ; implicit-def: $vgpr85
	v_sub_nc_u32_e32 v65, 0, v22
	v_mul_u64_e32 v[22:23], s[70:71], v[2:3]
	s_and_b32 s8, vcc_lo, s7
	v_cmp_gt_u32_e32 vcc_lo, 17, v64
	v_writelane_b32 v90, s8, 2
	v_subrev_nc_u32_e32 v2, 48, v35
	v_mad_i32_i24 v45, 0xffffff04, v4, v43
	v_lshlrev_b32_e32 v80, 2, v6
	s_and_b32 s8, vcc_lo, s7
	v_cmp_eq_u32_e32 vcc_lo, 16, v64
	v_writelane_b32 v90, s8, 3
	v_mad_u32_u24 v47, 0xfc, v4, v45
	v_lshlrev_b32_e32 v79, 2, v31
	v_or_b32_e32 v70, 0x5000, v80
	s_and_b32 s8, vcc_lo, s7
	v_cmp_gt_u32_e32 vcc_lo, 16, v64
	v_writelane_b32 v90, s8, 4
	v_mad_i32_i24 v51, 0xffffff04, v4, v47
	v_dual_add_nc_u32 v75, v70, v7 :: v_dual_lshlrev_b32 v76, 2, v36
	s_and_b32 s8, vcc_lo, s7
	v_cmp_eq_u32_e32 vcc_lo, 15, v64
	v_writelane_b32 v90, s8, 5
	v_mad_u32_u24 v54, 0xfc, v4, v51
	v_lshl_add_u32 v74, v6, 8, v51
	v_lshlrev_b32_e32 v77, 2, v37
	s_and_b32 s8, vcc_lo, s7
	v_cmp_gt_u32_e32 vcc_lo, 15, v64
	v_writelane_b32 v90, s8, 6
	v_mad_i32_i24 v58, 0xffffff04, v4, v54
	v_dual_mov_b32 v27, v3 :: v_dual_lshlrev_b32 v78, 2, v27
	s_and_b32 s8, vcc_lo, s7
	v_cmp_eq_u32_e32 vcc_lo, 14, v64
	v_writelane_b32 v90, s8, 7
	v_mad_u32_u24 v61, 0xfc, v4, v58
	s_and_b32 s8, vcc_lo, s7
	v_cmp_gt_u32_e32 vcc_lo, 14, v64
	v_writelane_b32 v90, s8, 8
	s_delay_alu instid0(VALU_DEP_3)
	v_add_nc_u32_e32 v80, v61, v80
	s_and_b32 s8, vcc_lo, s7
	v_cmp_eq_u32_e32 vcc_lo, 13, v64
	v_writelane_b32 v90, s8, 9
	s_and_b32 s8, vcc_lo, s7
	v_cmp_gt_u32_e32 vcc_lo, 13, v64
	v_writelane_b32 v90, s8, 10
	s_and_b32 s8, vcc_lo, s7
	v_cmp_eq_u32_e32 vcc_lo, 12, v64
	v_writelane_b32 v90, s8, 11
	s_and_b32 s8, vcc_lo, s7
	v_cmp_gt_u32_e32 vcc_lo, 12, v64
	v_writelane_b32 v90, s8, 12
	;; [unrolled: 6-line block ×12, first 2 shown]
	s_and_b32 s8, vcc_lo, s7
	v_cmp_eq_u32_e32 vcc_lo, 1, v64
	v_writelane_b32 v89, s8, 1
	s_and_b32 s8, vcc_lo, s7
	v_cmp_eq_u32_e32 vcc_lo, 0, v64
	v_writelane_b32 v89, s8, 2
	v_cmp_gt_u32_e64 s8, 32, v4
	v_lshlrev_b32_e32 v64, 2, v64
	s_and_b32 s82, vcc_lo, s7
	v_cmp_le_i32_e32 vcc_lo, s13, v4
	s_and_b32 s8, s3, s8
	s_delay_alu instid0(VALU_DEP_2)
	v_sub_nc_u32_e32 v69, v64, v1
	v_writelane_b32 v89, s8, 3
	v_mul_u64_e32 v[0:1], s[70:71], v[28:29]
	s_and_b32 s9, vcc_lo, s39
	v_or_b32_e32 v29, v32, v4
	s_xor_b32 s8, s9, -1
	v_writelane_b32 v89, s9, 4
	s_and_b32 s85, s3, s8
	v_cmp_le_i32_e64 s8, s13, v6
	s_cmp_gt_i32 s84, 0
	s_cselect_b32 s39, -1, 0
	s_lshl_b64 s[78:79], s[16:17], 2
	s_or_b32 s9, s8, vcc_lo
	v_cmp_le_i32_e64 s8, s13, v26
	v_cmp_gt_u32_e64 s16, 48, v34
	v_cmp_gt_u32_e64 s17, 40, v34
	s_lshl_b64 s[74:75], s[74:75], 2
	s_lshl_b64 s[68:69], s[68:69], 2
	s_or_b32 s10, s8, vcc_lo
	v_cmp_le_i32_e64 s8, s13, v32
	s_or_b32 s11, s8, vcc_lo
	v_cmp_le_i32_e64 s8, s13, v30
	s_or_b32 s12, s8, vcc_lo
	v_cmp_gt_i32_e32 vcc_lo, s13, v4
	v_cmp_gt_u32_e64 s13, 12, v34
	s_and_b32 s0, s3, vcc_lo
	v_cmp_gt_i32_e32 vcc_lo, s83, v20
	v_writelane_b32 v89, s0, 5
	v_cmp_gt_i32_e64 s0, s83, v28
	v_subrev_nc_u32_e32 v28, 32, v35
	s_and_b32 s1, vcc_lo, s0
	v_cmp_gt_i32_e32 vcc_lo, s83, v2
	v_writelane_b32 v89, s1, 6
	v_dual_add_nc_u32 v2, -16, v35 :: v_dual_bitop2_b32 v35, v30, v4 bitop3:0x54
	s_and_b32 s1, vcc_lo, s0
	v_cmp_gt_i32_e32 vcc_lo, s83, v28
	v_writelane_b32 v89, s1, 7
	v_mov_b32_e32 v28, 1.0
	s_and_b32 s1, vcc_lo, s0
	v_cmp_gt_i32_e32 vcc_lo, s83, v2
	v_writelane_b32 v89, s1, 8
	v_or_b32_e32 v2, v26, v4
	s_and_b32 s1, vcc_lo, s0
	s_delay_alu instid0(SALU_CYCLE_1) | instskip(SKIP_2) | instid1(SALU_CYCLE_1)
	v_writelane_b32 v89, s1, 9
	v_cmp_ge_u32_e64 s1, v4, v6
	s_or_b32 s8, s9, s1
	v_writelane_b32 v89, s8, 10
	v_cmp_ge_u32_e64 s8, v4, v26
	v_mad_u32_u24 v26, 0xfc, v4, v81
	s_or_b32 s9, s10, s8
	s_delay_alu instid0(VALU_DEP_1) | instskip(SKIP_4) | instid1(SALU_CYCLE_1)
	v_mad_u32 v81, v26, 7, v7
	v_writelane_b32 v89, s9, 11
	v_cmp_ge_u32_e64 s9, v4, v32
	v_lshlrev_b32_e32 v26, 2, v4
	s_or_b32 s10, s11, s9
	v_writelane_b32 v89, s10, 12
	v_cmp_ge_u32_e64 s10, v4, v30
	s_or_b32 s11, s12, s10
	v_cmp_gt_u32_e64 s12, 2, v34
	v_writelane_b32 v89, s11, 13
	v_cmp_eq_u32_e64 s11, 0, v33
	v_writelane_b32 v89, s40, 14
	v_cmp_gt_u32_e64 s40, 0xe0, v34
	s_delay_alu instid0(VALU_DEP_1) | instskip(SKIP_1) | instid1(VALU_DEP_1)
	v_writelane_b32 v89, s40, 15
	v_cmp_gt_u32_e64 s40, 0xd0, v34
	v_writelane_b32 v89, s40, 16
	v_cmp_gt_u32_e64 s40, 0xc0, v34
	s_delay_alu instid0(VALU_DEP_1) | instskip(SKIP_1) | instid1(VALU_DEP_1)
	v_writelane_b32 v89, s40, 17
	v_cmp_gt_u32_e64 s40, 0xb0, v34
	;; [unrolled: 5-line block ×18, first 2 shown]
	v_writelane_b32 v88, s40, 18
	v_cmp_gt_u32_e64 s40, 64, v35
	s_delay_alu instid0(VALU_DEP_1)
	v_writelane_b32 v88, s40, 19
	s_branch .LBB98_3
.LBB98_2:                               ;   in Loop: Header=BB98_3 Depth=1
	s_wait_xcnt 0x0
	s_or_b32 exec_lo, exec_lo, s40
	v_readlane_b32 s40, v91, 0
	s_add_co_i32 s62, s62, 0x10000
	global_wb scope:SCOPE_DEV
	s_wait_storecnt 0x0
	global_inv scope:SCOPE_DEV
	s_cmp_lt_u32 s62, s40
	s_cbranch_scc0 .LBB98_1225
.LBB98_3:                               ; =>This Loop Header: Depth=1
                                        ;     Child Loop BB98_1094 Depth 2
                                        ;       Child Loop BB98_1096 Depth 3
                                        ;     Child Loop BB98_1131 Depth 2
	v_mov_b32_e32 v2, s62
	v_readlane_b32 s40, v91, 1
	s_clause 0x1
	global_load_b64 v[30:31], v2, s[72:73] scale_offset
	global_load_b64 v[32:33], v2, s[66:67] scale_offset
	global_load_b32 v2, v3, s[64:65]
	s_and_not1_b32 vcc_lo, exec_lo, s40
	s_wait_loadcnt 0x2
	v_add_nc_u64_e32 v[34:35], s[74:75], v[30:31]
	s_delay_alu instid0(VALU_DEP_1)
	v_lshl_add_u64 v[30:31], v[10:11], 2, v[34:35]
	s_cbranch_vccnz .LBB98_13
; %bb.4:                                ;   in Loop: Header=BB98_3 Depth=1
	s_delay_alu instid0(VALU_DEP_1)
	v_lshl_add_u64 v[36:37], v[20:21], 2, v[30:31]
	v_dual_mov_b32 v83, 0 :: v_dual_mov_b32 v82, 0
	s_wait_loadcnt 0x0
	s_barrier_signal -1
	s_barrier_wait -1
	s_wait_xcnt 0x0
	s_mov_b32 s40, exec_lo
	v_readlane_b32 s41, v89, 6
	s_and_b32 s41, s40, s41
	s_delay_alu instid0(SALU_CYCLE_1)
	s_mov_b32 exec_lo, s41
	s_cbranch_execz .LBB98_6
; %bb.5:                                ;   in Loop: Header=BB98_3 Depth=1
	flat_load_b32 v82, v[36:37]
.LBB98_6:                               ;   in Loop: Header=BB98_3 Depth=1
	s_wait_xcnt 0x0
	s_or_b32 exec_lo, exec_lo, s40
	s_wait_loadcnt_dscnt 0x0
	s_barrier_signal -1
	s_barrier_wait -1
	s_mov_b32 s40, exec_lo
	v_readlane_b32 s41, v89, 7
	s_and_b32 s41, s40, s41
	s_delay_alu instid0(SALU_CYCLE_1)
	s_mov_b32 exec_lo, s41
	s_cbranch_execz .LBB98_8
; %bb.7:                                ;   in Loop: Header=BB98_3 Depth=1
	flat_load_b32 v83, v[36:37] offset:64
.LBB98_8:                               ;   in Loop: Header=BB98_3 Depth=1
	s_wait_xcnt 0x0
	s_or_b32 exec_lo, exec_lo, s40
	v_dual_mov_b32 v85, 0 :: v_dual_mov_b32 v84, 0
	s_wait_loadcnt_dscnt 0x0
	s_barrier_signal -1
	s_barrier_wait -1
	s_mov_b32 s40, exec_lo
	v_readlane_b32 s41, v89, 8
	s_and_b32 s41, s40, s41
	s_delay_alu instid0(SALU_CYCLE_1)
	s_mov_b32 exec_lo, s41
	s_cbranch_execz .LBB98_10
; %bb.9:                                ;   in Loop: Header=BB98_3 Depth=1
	flat_load_b32 v84, v[36:37] offset:128
.LBB98_10:                              ;   in Loop: Header=BB98_3 Depth=1
	s_wait_xcnt 0x0
	s_or_b32 exec_lo, exec_lo, s40
	s_wait_loadcnt_dscnt 0x0
	s_barrier_signal -1
	s_barrier_wait -1
	s_mov_b32 s40, exec_lo
	v_readlane_b32 s41, v89, 9
	s_and_b32 s41, s40, s41
	s_delay_alu instid0(SALU_CYCLE_1)
	s_mov_b32 exec_lo, s41
	s_cbranch_execz .LBB98_12
; %bb.11:                               ;   in Loop: Header=BB98_3 Depth=1
	flat_load_b32 v85, v[36:37] offset:192
.LBB98_12:                              ;   in Loop: Header=BB98_3 Depth=1
	s_wait_xcnt 0x0
	s_or_b32 exec_lo, exec_lo, s40
.LBB98_13:                              ;   in Loop: Header=BB98_3 Depth=1
	v_add_nc_u64_e32 v[34:35], s[78:79], v[34:35]
	s_and_not1_b32 vcc_lo, exec_lo, s86
	s_mov_b32 s40, -1
	s_delay_alu instid0(VALU_DEP_1)
	v_add_nc_u64_e32 v[34:35], v[34:35], v[26:27]
	s_cbranch_vccnz .LBB98_24
; %bb.14:                               ;   in Loop: Header=BB98_3 Depth=1
	s_wait_xcnt 0x0
	s_and_saveexec_b32 s40, s1
	s_delay_alu instid0(SALU_CYCLE_1)
	s_xor_b32 s40, exec_lo, s40
	s_cbranch_execnz .LBB98_1152
; %bb.15:                               ;   in Loop: Header=BB98_3 Depth=1
	s_and_not1_saveexec_b32 s40, s40
	s_cbranch_execnz .LBB98_1155
.LBB98_16:                              ;   in Loop: Header=BB98_3 Depth=1
	s_or_b32 exec_lo, exec_lo, s40
	s_and_saveexec_b32 s40, s8
	s_delay_alu instid0(SALU_CYCLE_1)
	s_xor_b32 s40, exec_lo, s40
	s_cbranch_execnz .LBB98_1156
.LBB98_17:                              ;   in Loop: Header=BB98_3 Depth=1
	s_and_not1_saveexec_b32 s40, s40
	s_cbranch_execnz .LBB98_1159
.LBB98_18:                              ;   in Loop: Header=BB98_3 Depth=1
	s_or_b32 exec_lo, exec_lo, s40
	s_and_saveexec_b32 s40, s9
	s_delay_alu instid0(SALU_CYCLE_1)
	s_xor_b32 s40, exec_lo, s40
	s_cbranch_execnz .LBB98_1160
.LBB98_19:                              ;   in Loop: Header=BB98_3 Depth=1
	s_and_not1_saveexec_b32 s40, s40
	s_cbranch_execnz .LBB98_1163
.LBB98_20:                              ;   in Loop: Header=BB98_3 Depth=1
	s_or_b32 exec_lo, exec_lo, s40
	s_and_saveexec_b32 s40, s10
	s_delay_alu instid0(SALU_CYCLE_1)
	s_xor_b32 s40, exec_lo, s40
	s_cbranch_execnz .LBB98_1164
.LBB98_21:                              ;   in Loop: Header=BB98_3 Depth=1
	s_and_not1_saveexec_b32 s40, s40
	s_cbranch_execz .LBB98_23
.LBB98_22:                              ;   in Loop: Header=BB98_3 Depth=1
	v_lshl_add_u64 v[36:37], v[18:19], 2, v[34:35]
	flat_load_b32 v29, v[36:37]
	s_wait_loadcnt_dscnt 0x0
	v_xor_b32_e32 v29, 0x80000000, v29
	ds_store_b32 v79, v29
.LBB98_23:                              ;   in Loop: Header=BB98_3 Depth=1
	s_or_b32 exec_lo, exec_lo, s40
	s_mov_b32 s40, 0
.LBB98_24:                              ;   in Loop: Header=BB98_3 Depth=1
	s_delay_alu instid0(SALU_CYCLE_1)
	s_and_b32 vcc_lo, exec_lo, s40
	s_cbranch_vccz .LBB98_50
; %bb.25:                               ;   in Loop: Header=BB98_3 Depth=1
	s_wait_xcnt 0x0
	s_mov_b32 s40, exec_lo
	v_readlane_b32 s41, v89, 10
	s_and_b32 s41, s40, s41
	s_delay_alu instid0(SALU_CYCLE_1)
	s_xor_b32 s40, s41, s40
	s_mov_b32 exec_lo, s41
	s_cbranch_execz .LBB98_29
; %bb.26:                               ;   in Loop: Header=BB98_3 Depth=1
	s_mov_b32 s41, exec_lo
	v_readlane_b32 s42, v88, 16
	s_and_b32 s42, s41, s42
	s_delay_alu instid0(SALU_CYCLE_1)
	s_mov_b32 exec_lo, s42
; %bb.27:                               ;   in Loop: Header=BB98_3 Depth=1
	ds_store_b32 v80, v3
; %bb.28:                               ;   in Loop: Header=BB98_3 Depth=1
	s_or_b32 exec_lo, exec_lo, s41
.LBB98_29:                              ;   in Loop: Header=BB98_3 Depth=1
	s_and_not1_saveexec_b32 s40, s40
	s_cbranch_execz .LBB98_31
; %bb.30:                               ;   in Loop: Header=BB98_3 Depth=1
	v_lshl_add_u64 v[36:37], v[12:13], 2, v[34:35]
	flat_load_b32 v29, v[36:37]
	s_wait_loadcnt_dscnt 0x0
	v_xor_b32_e32 v29, 0x80000000, v29
	ds_store_b32 v80, v29
.LBB98_31:                              ;   in Loop: Header=BB98_3 Depth=1
	s_or_b32 exec_lo, exec_lo, s40
	s_delay_alu instid0(SALU_CYCLE_1) | instskip(SKIP_2) | instid1(SALU_CYCLE_1)
	s_mov_b32 s40, exec_lo
	v_readlane_b32 s41, v89, 11
	s_and_b32 s41, s40, s41
	s_xor_b32 s40, s41, s40
	s_mov_b32 exec_lo, s41
	s_cbranch_execz .LBB98_35
; %bb.32:                               ;   in Loop: Header=BB98_3 Depth=1
	s_mov_b32 s41, exec_lo
	v_readlane_b32 s42, v88, 17
	s_and_b32 s42, s41, s42
	s_delay_alu instid0(SALU_CYCLE_1)
	s_mov_b32 exec_lo, s42
; %bb.33:                               ;   in Loop: Header=BB98_3 Depth=1
	ds_store_b32 v77, v3
; %bb.34:                               ;   in Loop: Header=BB98_3 Depth=1
	s_or_b32 exec_lo, exec_lo, s41
.LBB98_35:                              ;   in Loop: Header=BB98_3 Depth=1
	s_and_not1_saveexec_b32 s40, s40
	s_cbranch_execz .LBB98_37
; %bb.36:                               ;   in Loop: Header=BB98_3 Depth=1
	v_lshl_add_u64 v[36:37], v[14:15], 2, v[34:35]
	flat_load_b32 v29, v[36:37]
	s_wait_loadcnt_dscnt 0x0
	v_xor_b32_e32 v29, 0x80000000, v29
	ds_store_b32 v77, v29
.LBB98_37:                              ;   in Loop: Header=BB98_3 Depth=1
	s_or_b32 exec_lo, exec_lo, s40
	s_delay_alu instid0(SALU_CYCLE_1) | instskip(SKIP_2) | instid1(SALU_CYCLE_1)
	s_mov_b32 s40, exec_lo
	v_readlane_b32 s41, v89, 12
	s_and_b32 s41, s40, s41
	;; [unrolled: 28-line block ×3, first 2 shown]
	s_xor_b32 s40, s41, s40
	s_mov_b32 exec_lo, s41
	s_cbranch_execz .LBB98_47
; %bb.44:                               ;   in Loop: Header=BB98_3 Depth=1
	s_mov_b32 s41, exec_lo
	v_readlane_b32 s42, v88, 19
	s_and_b32 s42, s41, s42
	s_delay_alu instid0(SALU_CYCLE_1)
	s_mov_b32 exec_lo, s42
; %bb.45:                               ;   in Loop: Header=BB98_3 Depth=1
	ds_store_b32 v79, v3
; %bb.46:                               ;   in Loop: Header=BB98_3 Depth=1
	s_or_b32 exec_lo, exec_lo, s41
                                        ; implicit-def: $vgpr34_vgpr35
.LBB98_47:                              ;   in Loop: Header=BB98_3 Depth=1
	s_and_not1_saveexec_b32 s40, s40
	s_cbranch_execz .LBB98_49
; %bb.48:                               ;   in Loop: Header=BB98_3 Depth=1
	v_lshl_add_u64 v[34:35], v[18:19], 2, v[34:35]
	flat_load_b32 v29, v[34:35]
	s_wait_loadcnt_dscnt 0x0
	v_xor_b32_e32 v29, 0x80000000, v29
	ds_store_b32 v79, v29
.LBB98_49:                              ;   in Loop: Header=BB98_3 Depth=1
	s_or_b32 exec_lo, exec_lo, s40
.LBB98_50:                              ;   in Loop: Header=BB98_3 Depth=1
	s_delay_alu instid0(SALU_CYCLE_1)
	s_and_not1_b32 vcc_lo, exec_lo, s87
	s_wait_loadcnt_dscnt 0x0
	s_barrier_signal -1
	s_barrier_wait -1
	s_cbranch_vccnz .LBB98_1088
; %bb.51:                               ;   in Loop: Header=BB98_3 Depth=1
	s_and_saveexec_b32 s40, s11
	s_cbranch_execz .LBB98_53
; %bb.52:                               ;   in Loop: Header=BB98_3 Depth=1
	ds_load_b32 v29, v3 offset:16376
	ds_store_b32 v3, v28 offset:16380
	s_wait_dscnt 0x1
	ds_store_b64 v3, v[28:29] offset:16120
.LBB98_53:                              ;   in Loop: Header=BB98_3 Depth=1
	s_or_b32 exec_lo, exec_lo, s40
	v_mov_b32_e32 v29, 0
	s_wait_dscnt 0x0
	s_barrier_signal -1
	s_barrier_wait -1
	global_wb scope:SCOPE_DEV
	s_wait_storecnt 0x0
	global_inv scope:SCOPE_DEV
	s_and_saveexec_b32 s40, s2
	s_cbranch_execz .LBB98_57
; %bb.54:                               ;   in Loop: Header=BB98_3 Depth=1
	ds_load_b32 v29, v46 offset:16112
	ds_load_b32 v34, v48 offset:16376
	s_wait_dscnt 0x0
	v_fma_f32 v29, v29, v34, 0
	s_and_saveexec_b32 s41, s12
	s_cbranch_execz .LBB98_56
; %bb.55:                               ;   in Loop: Header=BB98_3 Depth=1
	ds_load_b32 v34, v7 offset:16368
	ds_load_b32 v35, v3 offset:16380
	s_wait_dscnt 0x0
	v_fmac_f32_e32 v29, v34, v35
.LBB98_56:                              ;   in Loop: Header=BB98_3 Depth=1
	s_or_b32 exec_lo, exec_lo, s41
.LBB98_57:                              ;   in Loop: Header=BB98_3 Depth=1
	s_delay_alu instid0(SALU_CYCLE_1)
	s_or_b32 exec_lo, exec_lo, s40
	s_and_saveexec_b32 s40, s88
; %bb.58:                               ;   in Loop: Header=BB98_3 Depth=1
	s_delay_alu instid0(VALU_DEP_1)
	v_xor_b32_e32 v34, 0x80000000, v29
	ds_store_b32 v44, v34
; %bb.59:                               ;   in Loop: Header=BB98_3 Depth=1
	s_or_b32 exec_lo, exec_lo, s40
	s_wait_loadcnt_dscnt 0x0
	s_barrier_signal -1
	s_barrier_wait -1
	s_and_saveexec_b32 s40, s89
	s_cbranch_execz .LBB98_61
; %bb.60:                               ;   in Loop: Header=BB98_3 Depth=1
	ds_load_b32 v34, v3 offset:15856
	ds_load_b32 v35, v44
	s_wait_dscnt 0x0
	v_fma_f32 v29, -v34, v35, v29
.LBB98_61:                              ;   in Loop: Header=BB98_3 Depth=1
	s_or_b32 exec_lo, exec_lo, s40
	s_barrier_signal -1
	s_barrier_wait -1
	s_and_saveexec_b32 s40, s89
; %bb.62:                               ;   in Loop: Header=BB98_3 Depth=1
	v_xor_b32_e32 v34, 0x80000000, v29
	ds_store_b32 v44, v34
; %bb.63:                               ;   in Loop: Header=BB98_3 Depth=1
	s_or_b32 exec_lo, exec_lo, s40
	s_wait_dscnt 0x0
	s_barrier_signal -1
	s_barrier_wait -1
	s_barrier_signal -1
	s_barrier_wait -1
	s_and_saveexec_b32 s40, s2
; %bb.64:                               ;   in Loop: Header=BB98_3 Depth=1
	ds_store_b32 v49, v29 offset:16368
; %bb.65:                               ;   in Loop: Header=BB98_3 Depth=1
	s_or_b32 exec_lo, exec_lo, s40
	s_wait_dscnt 0x0
	s_barrier_signal -1
	s_barrier_wait -1
	s_barrier_signal -1
	s_barrier_wait -1
	s_and_saveexec_b32 s40, s90
	s_cbranch_execz .LBB98_67
; %bb.66:                               ;   in Loop: Header=BB98_3 Depth=1
	ds_load_b32 v29, v9 offset:16112
	s_wait_dscnt 0x0
	ds_store_b32 v7, v29 offset:15608
	ds_load_b32 v29, v9 offset:16116
	s_wait_dscnt 0x0
	ds_store_b32 v7, v29 offset:15864
.LBB98_67:                              ;   in Loop: Header=BB98_3 Depth=1
	s_or_b32 exec_lo, exec_lo, s40
	s_wait_dscnt 0x0
	s_barrier_signal -1
	s_barrier_wait -1
	s_and_saveexec_b32 s40, s11
	s_cbranch_execz .LBB98_69
; %bb.68:                               ;   in Loop: Header=BB98_3 Depth=1
	ds_load_b32 v29, v3 offset:15856
	ds_store_b32 v3, v28 offset:15860
	s_wait_dscnt 0x1
	ds_store_b64 v3, v[28:29] offset:15600
.LBB98_69:                              ;   in Loop: Header=BB98_3 Depth=1
	s_or_b32 exec_lo, exec_lo, s40
	v_mov_b32_e32 v29, 0
	s_wait_dscnt 0x0
	s_barrier_signal -1
	s_barrier_wait -1
	global_wb scope:SCOPE_DEV
	s_wait_storecnt 0x0
	global_inv scope:SCOPE_DEV
	s_and_saveexec_b32 s40, s4
	s_cbranch_execz .LBB98_75
; %bb.70:                               ;   in Loop: Header=BB98_3 Depth=1
	ds_load_b32 v29, v52 offset:15584
	ds_load_b32 v34, v53 offset:16368
	s_wait_dscnt 0x0
	v_fma_f32 v29, v29, v34, 0
	s_and_saveexec_b32 s41, s13
	s_cbranch_execnz .LBB98_1175
; %bb.71:                               ;   in Loop: Header=BB98_3 Depth=1
	s_or_b32 exec_lo, exec_lo, s41
	s_and_saveexec_b32 s41, s14
	s_cbranch_execnz .LBB98_1176
.LBB98_72:                              ;   in Loop: Header=BB98_3 Depth=1
	s_or_b32 exec_lo, exec_lo, s41
	s_and_saveexec_b32 s41, s2
	s_cbranch_execz .LBB98_74
.LBB98_73:                              ;   in Loop: Header=BB98_3 Depth=1
	ds_load_b32 v34, v38 offset:16352
	ds_load_b32 v35, v3 offset:16380
	s_wait_dscnt 0x0
	v_fmac_f32_e32 v29, v34, v35
.LBB98_74:                              ;   in Loop: Header=BB98_3 Depth=1
	s_or_b32 exec_lo, exec_lo, s41
.LBB98_75:                              ;   in Loop: Header=BB98_3 Depth=1
	s_delay_alu instid0(SALU_CYCLE_1)
	s_or_b32 exec_lo, exec_lo, s40
	s_and_saveexec_b32 s40, s91
; %bb.76:                               ;   in Loop: Header=BB98_3 Depth=1
	s_delay_alu instid0(VALU_DEP_1)
	v_xor_b32_e32 v34, 0x80000000, v29
	ds_store_b32 v50, v34
; %bb.77:                               ;   in Loop: Header=BB98_3 Depth=1
	s_or_b32 exec_lo, exec_lo, s40
	s_wait_loadcnt_dscnt 0x0
	s_barrier_signal -1
	s_barrier_wait -1
	s_and_saveexec_b32 s40, s92
	s_cbranch_execz .LBB98_79
; %bb.78:                               ;   in Loop: Header=BB98_3 Depth=1
	ds_load_b32 v34, v52 offset:15328
	ds_load_b32 v35, v50
	s_wait_dscnt 0x0
	v_fma_f32 v29, -v34, v35, v29
.LBB98_79:                              ;   in Loop: Header=BB98_3 Depth=1
	s_or_b32 exec_lo, exec_lo, s40
	s_barrier_signal -1
	s_barrier_wait -1
	s_and_saveexec_b32 s40, s93
; %bb.80:                               ;   in Loop: Header=BB98_3 Depth=1
	v_xor_b32_e32 v34, 0x80000000, v29
	ds_store_b32 v50, v34
; %bb.81:                               ;   in Loop: Header=BB98_3 Depth=1
	s_or_b32 exec_lo, exec_lo, s40
	s_wait_dscnt 0x0
	s_barrier_signal -1
	s_barrier_wait -1
	s_and_saveexec_b32 s40, s94
	s_cbranch_execz .LBB98_83
; %bb.82:                               ;   in Loop: Header=BB98_3 Depth=1
	ds_load_b32 v34, v52 offset:15072
	ds_load_b32 v35, v50
	s_wait_dscnt 0x0
	v_fma_f32 v29, -v34, v35, v29
.LBB98_83:                              ;   in Loop: Header=BB98_3 Depth=1
	s_or_b32 exec_lo, exec_lo, s40
	s_barrier_signal -1
	s_barrier_wait -1
	s_and_saveexec_b32 s40, s95
; %bb.84:                               ;   in Loop: Header=BB98_3 Depth=1
	v_xor_b32_e32 v34, 0x80000000, v29
	ds_store_b32 v50, v34
; %bb.85:                               ;   in Loop: Header=BB98_3 Depth=1
	s_or_b32 exec_lo, exec_lo, s40
	s_wait_dscnt 0x0
	;; [unrolled: 20-line block ×3, first 2 shown]
	s_barrier_signal -1
	s_barrier_wait -1
	s_barrier_signal -1
	s_barrier_wait -1
	s_and_saveexec_b32 s40, s4
; %bb.90:                               ;   in Loop: Header=BB98_3 Depth=1
	ds_store_b32 v55, v29 offset:16352
; %bb.91:                               ;   in Loop: Header=BB98_3 Depth=1
	s_or_b32 exec_lo, exec_lo, s40
	s_wait_dscnt 0x0
	s_barrier_signal -1
	s_barrier_wait -1
	s_barrier_signal -1
	s_barrier_wait -1
	s_and_saveexec_b32 s40, s97
	s_cbranch_execz .LBB98_93
; %bb.92:                               ;   in Loop: Header=BB98_3 Depth=1
	ds_load_b32 v29, v39 offset:15584
	s_wait_dscnt 0x0
	ds_store_b32 v40, v29 offset:14576
	ds_load_b32 v29, v39 offset:15588
	s_wait_dscnt 0x0
	ds_store_b32 v40, v29 offset:14832
	;; [unrolled: 3-line block ×4, first 2 shown]
.LBB98_93:                              ;   in Loop: Header=BB98_3 Depth=1
	s_or_b32 exec_lo, exec_lo, s40
	s_wait_dscnt 0x0
	s_barrier_signal -1
	s_barrier_wait -1
	s_and_saveexec_b32 s40, s11
	s_cbranch_execz .LBB98_95
; %bb.94:                               ;   in Loop: Header=BB98_3 Depth=1
	ds_load_b32 v29, v3 offset:15336
	ds_store_b32 v3, v28 offset:15340
	s_wait_dscnt 0x1
	ds_store_b64 v3, v[28:29] offset:15080
.LBB98_95:                              ;   in Loop: Header=BB98_3 Depth=1
	s_or_b32 exec_lo, exec_lo, s40
	v_mov_b32_e32 v29, 0
	s_wait_dscnt 0x0
	s_barrier_signal -1
	s_barrier_wait -1
	global_wb scope:SCOPE_DEV
	s_wait_storecnt 0x0
	global_inv scope:SCOPE_DEV
	s_and_saveexec_b32 s40, s2
	s_cbranch_execz .LBB98_99
; %bb.96:                               ;   in Loop: Header=BB98_3 Depth=1
	ds_load_b32 v29, v46 offset:15072
	ds_load_b32 v34, v48 offset:15336
	s_wait_dscnt 0x0
	v_fma_f32 v29, v29, v34, 0
	s_and_saveexec_b32 s41, s12
	s_cbranch_execz .LBB98_98
; %bb.97:                               ;   in Loop: Header=BB98_3 Depth=1
	ds_load_b32 v34, v40 offset:15328
	ds_load_b32 v35, v3 offset:15340
	s_wait_dscnt 0x0
	v_fmac_f32_e32 v29, v34, v35
.LBB98_98:                              ;   in Loop: Header=BB98_3 Depth=1
	s_or_b32 exec_lo, exec_lo, s41
.LBB98_99:                              ;   in Loop: Header=BB98_3 Depth=1
	s_delay_alu instid0(SALU_CYCLE_1)
	s_or_b32 exec_lo, exec_lo, s40
	s_and_saveexec_b32 s40, s88
; %bb.100:                              ;   in Loop: Header=BB98_3 Depth=1
	s_delay_alu instid0(VALU_DEP_1)
	v_xor_b32_e32 v34, 0x80000000, v29
	ds_store_b32 v44, v34
; %bb.101:                              ;   in Loop: Header=BB98_3 Depth=1
	s_or_b32 exec_lo, exec_lo, s40
	s_wait_loadcnt_dscnt 0x0
	s_barrier_signal -1
	s_barrier_wait -1
	s_and_saveexec_b32 s40, s89
	s_cbranch_execz .LBB98_103
; %bb.102:                              ;   in Loop: Header=BB98_3 Depth=1
	ds_load_b32 v34, v3 offset:14816
	ds_load_b32 v35, v44
	s_wait_dscnt 0x0
	v_fma_f32 v29, -v34, v35, v29
.LBB98_103:                             ;   in Loop: Header=BB98_3 Depth=1
	s_or_b32 exec_lo, exec_lo, s40
	s_barrier_signal -1
	s_barrier_wait -1
	s_and_saveexec_b32 s40, s89
; %bb.104:                              ;   in Loop: Header=BB98_3 Depth=1
	v_xor_b32_e32 v34, 0x80000000, v29
	ds_store_b32 v44, v34
; %bb.105:                              ;   in Loop: Header=BB98_3 Depth=1
	s_or_b32 exec_lo, exec_lo, s40
	s_wait_dscnt 0x0
	s_barrier_signal -1
	s_barrier_wait -1
	s_barrier_signal -1
	s_barrier_wait -1
	s_and_saveexec_b32 s40, s2
; %bb.106:                              ;   in Loop: Header=BB98_3 Depth=1
	ds_store_b32 v49, v29 offset:15328
; %bb.107:                              ;   in Loop: Header=BB98_3 Depth=1
	s_or_b32 exec_lo, exec_lo, s40
	s_wait_dscnt 0x0
	s_barrier_signal -1
	s_barrier_wait -1
	s_barrier_signal -1
	s_barrier_wait -1
	s_and_saveexec_b32 s40, s90
	s_cbranch_execz .LBB98_109
; %bb.108:                              ;   in Loop: Header=BB98_3 Depth=1
	ds_load_b32 v29, v41 offset:15072
	s_wait_dscnt 0x0
	ds_store_b32 v40, v29 offset:14568
	ds_load_b32 v29, v41 offset:15076
	s_wait_dscnt 0x0
	ds_store_b32 v40, v29 offset:14824
.LBB98_109:                             ;   in Loop: Header=BB98_3 Depth=1
	s_or_b32 exec_lo, exec_lo, s40
	s_wait_dscnt 0x0
	s_barrier_signal -1
	s_barrier_wait -1
	s_and_saveexec_b32 s40, s11
	s_cbranch_execz .LBB98_111
; %bb.110:                              ;   in Loop: Header=BB98_3 Depth=1
	ds_load_b32 v29, v3 offset:14816
	ds_store_b32 v3, v28 offset:14820
	s_wait_dscnt 0x1
	ds_store_b64 v3, v[28:29] offset:14560
.LBB98_111:                             ;   in Loop: Header=BB98_3 Depth=1
	s_or_b32 exec_lo, exec_lo, s40
	v_mov_b32_e32 v29, 0
	s_wait_dscnt 0x0
	s_barrier_signal -1
	s_barrier_wait -1
	global_wb scope:SCOPE_DEV
	s_wait_storecnt 0x0
	global_inv scope:SCOPE_DEV
	s_and_saveexec_b32 s40, s5
	s_cbranch_execz .LBB98_121
; %bb.112:                              ;   in Loop: Header=BB98_3 Depth=1
	ds_load_b32 v29, v56 offset:14528
	ds_load_b32 v34, v59 offset:16352
	s_wait_dscnt 0x0
	v_fma_f32 v29, v29, v34, 0
	s_and_saveexec_b32 s41, s15
	s_cbranch_execnz .LBB98_1177
; %bb.113:                              ;   in Loop: Header=BB98_3 Depth=1
	s_or_b32 exec_lo, exec_lo, s41
	s_and_saveexec_b32 s41, s16
	s_cbranch_execnz .LBB98_1178
.LBB98_114:                             ;   in Loop: Header=BB98_3 Depth=1
	s_or_b32 exec_lo, exec_lo, s41
	s_and_saveexec_b32 s41, s17
	s_cbranch_execnz .LBB98_1179
.LBB98_115:                             ;   in Loop: Header=BB98_3 Depth=1
	s_or_b32 exec_lo, exec_lo, s41
	s_and_saveexec_b32 s41, s18
	s_cbranch_execnz .LBB98_1180
.LBB98_116:                             ;   in Loop: Header=BB98_3 Depth=1
	s_or_b32 exec_lo, exec_lo, s41
	s_and_saveexec_b32 s41, s19
	s_cbranch_execnz .LBB98_1181
.LBB98_117:                             ;   in Loop: Header=BB98_3 Depth=1
	s_or_b32 exec_lo, exec_lo, s41
	s_and_saveexec_b32 s41, s4
	s_cbranch_execnz .LBB98_1182
.LBB98_118:                             ;   in Loop: Header=BB98_3 Depth=1
	s_or_b32 exec_lo, exec_lo, s41
	s_and_saveexec_b32 s41, s14
	s_cbranch_execz .LBB98_120
.LBB98_119:                             ;   in Loop: Header=BB98_3 Depth=1
	ds_load_b32 v34, v42 offset:16320
	ds_load_b32 v35, v3 offset:16380
	s_wait_dscnt 0x0
	v_fmac_f32_e32 v29, v34, v35
.LBB98_120:                             ;   in Loop: Header=BB98_3 Depth=1
	s_or_b32 exec_lo, exec_lo, s41
.LBB98_121:                             ;   in Loop: Header=BB98_3 Depth=1
	s_delay_alu instid0(SALU_CYCLE_1)
	s_or_b32 exec_lo, exec_lo, s40
	s_and_saveexec_b32 s40, s98
; %bb.122:                              ;   in Loop: Header=BB98_3 Depth=1
	s_delay_alu instid0(VALU_DEP_1)
	v_xor_b32_e32 v34, 0x80000000, v29
	ds_store_b32 v57, v34
; %bb.123:                              ;   in Loop: Header=BB98_3 Depth=1
	s_or_b32 exec_lo, exec_lo, s40
	s_wait_loadcnt_dscnt 0x0
	s_barrier_signal -1
	s_barrier_wait -1
	s_and_saveexec_b32 s40, s99
	s_cbranch_execz .LBB98_125
; %bb.124:                              ;   in Loop: Header=BB98_3 Depth=1
	ds_load_b32 v34, v56 offset:14272
	ds_load_b32 v35, v57
	s_wait_dscnt 0x0
	v_fma_f32 v29, -v34, v35, v29
.LBB98_125:                             ;   in Loop: Header=BB98_3 Depth=1
	s_or_b32 exec_lo, exec_lo, s40
	s_barrier_signal -1
	s_barrier_wait -1
	s_and_saveexec_b32 s40, s100
; %bb.126:                              ;   in Loop: Header=BB98_3 Depth=1
	v_xor_b32_e32 v34, 0x80000000, v29
	ds_store_b32 v57, v34
; %bb.127:                              ;   in Loop: Header=BB98_3 Depth=1
	s_or_b32 exec_lo, exec_lo, s40
	s_wait_dscnt 0x0
	s_barrier_signal -1
	s_barrier_wait -1
	s_and_saveexec_b32 s40, s101
	s_cbranch_execz .LBB98_129
; %bb.128:                              ;   in Loop: Header=BB98_3 Depth=1
	ds_load_b32 v34, v56 offset:14016
	ds_load_b32 v35, v57
	s_wait_dscnt 0x0
	v_fma_f32 v29, -v34, v35, v29
.LBB98_129:                             ;   in Loop: Header=BB98_3 Depth=1
	s_or_b32 exec_lo, exec_lo, s40
	s_barrier_signal -1
	s_barrier_wait -1
	s_and_saveexec_b32 s40, s102
; %bb.130:                              ;   in Loop: Header=BB98_3 Depth=1
	v_xor_b32_e32 v34, 0x80000000, v29
	ds_store_b32 v57, v34
; %bb.131:                              ;   in Loop: Header=BB98_3 Depth=1
	s_or_b32 exec_lo, exec_lo, s40
	s_wait_dscnt 0x0
	;; [unrolled: 20-line block ×3, first 2 shown]
	s_barrier_signal -1
	s_barrier_wait -1
	s_and_saveexec_b32 s40, vcc_hi
	s_cbranch_execz .LBB98_137
; %bb.136:                              ;   in Loop: Header=BB98_3 Depth=1
	ds_load_b32 v34, v56 offset:13504
	ds_load_b32 v35, v57
	s_wait_dscnt 0x0
	v_fma_f32 v29, -v34, v35, v29
.LBB98_137:                             ;   in Loop: Header=BB98_3 Depth=1
	s_or_b32 exec_lo, exec_lo, s40
	s_barrier_signal -1
	s_barrier_wait -1
	s_and_saveexec_b32 s40, s31
; %bb.138:                              ;   in Loop: Header=BB98_3 Depth=1
	v_xor_b32_e32 v34, 0x80000000, v29
	ds_store_b32 v57, v34
; %bb.139:                              ;   in Loop: Header=BB98_3 Depth=1
	s_or_b32 exec_lo, exec_lo, s40
	s_wait_dscnt 0x0
	s_barrier_signal -1
	s_barrier_wait -1
	s_and_saveexec_b32 s40, s33
	s_cbranch_execz .LBB98_141
; %bb.140:                              ;   in Loop: Header=BB98_3 Depth=1
	ds_load_b32 v34, v56 offset:13248
	ds_load_b32 v35, v57
	s_wait_dscnt 0x0
	v_fma_f32 v29, -v34, v35, v29
.LBB98_141:                             ;   in Loop: Header=BB98_3 Depth=1
	s_or_b32 exec_lo, exec_lo, s40
	s_barrier_signal -1
	s_barrier_wait -1
	s_and_saveexec_b32 s40, s34
; %bb.142:                              ;   in Loop: Header=BB98_3 Depth=1
	v_xor_b32_e32 v34, 0x80000000, v29
	ds_store_b32 v57, v34
; %bb.143:                              ;   in Loop: Header=BB98_3 Depth=1
	s_or_b32 exec_lo, exec_lo, s40
	s_wait_dscnt 0x0
	s_barrier_signal -1
	s_barrier_wait -1
	s_and_saveexec_b32 s40, s35
	;; [unrolled: 20-line block ×3, first 2 shown]
	s_cbranch_execz .LBB98_149
; %bb.148:                              ;   in Loop: Header=BB98_3 Depth=1
	ds_load_b32 v34, v3 offset:12736
	ds_load_b32 v35, v57
	s_wait_dscnt 0x0
	v_fma_f32 v29, -v34, v35, v29
.LBB98_149:                             ;   in Loop: Header=BB98_3 Depth=1
	s_or_b32 exec_lo, exec_lo, s40
	s_barrier_signal -1
	s_barrier_wait -1
	s_and_saveexec_b32 s40, s37
; %bb.150:                              ;   in Loop: Header=BB98_3 Depth=1
	v_xor_b32_e32 v34, 0x80000000, v29
	ds_store_b32 v57, v34
; %bb.151:                              ;   in Loop: Header=BB98_3 Depth=1
	s_or_b32 exec_lo, exec_lo, s40
	s_wait_dscnt 0x0
	s_barrier_signal -1
	s_barrier_wait -1
	s_barrier_signal -1
	s_barrier_wait -1
	s_and_saveexec_b32 s40, s5
; %bb.152:                              ;   in Loop: Header=BB98_3 Depth=1
	ds_store_b32 v60, v29 offset:16320
; %bb.153:                              ;   in Loop: Header=BB98_3 Depth=1
	s_or_b32 exec_lo, exec_lo, s40
	s_wait_dscnt 0x0
	s_barrier_signal -1
	s_barrier_wait -1
	s_barrier_signal -1
	s_barrier_wait -1
	s_and_saveexec_b32 s40, s38
	s_cbranch_execz .LBB98_155
; %bb.154:                              ;   in Loop: Header=BB98_3 Depth=1
	ds_load_b32 v29, v43 offset:14528
	s_wait_dscnt 0x0
	ds_store_b32 v45, v29 offset:12512
	ds_load_b32 v29, v43 offset:14532
	s_wait_dscnt 0x0
	ds_store_b32 v45, v29 offset:12768
	;; [unrolled: 3-line block ×8, first 2 shown]
.LBB98_155:                             ;   in Loop: Header=BB98_3 Depth=1
	s_or_b32 exec_lo, exec_lo, s40
	s_wait_dscnt 0x0
	s_barrier_signal -1
	s_barrier_wait -1
	s_and_saveexec_b32 s40, s11
	s_cbranch_execz .LBB98_157
; %bb.156:                              ;   in Loop: Header=BB98_3 Depth=1
	ds_load_b32 v29, v3 offset:14296
	ds_store_b32 v3, v28 offset:14300
	s_wait_dscnt 0x1
	ds_store_b64 v3, v[28:29] offset:14040
.LBB98_157:                             ;   in Loop: Header=BB98_3 Depth=1
	s_or_b32 exec_lo, exec_lo, s40
	v_mov_b32_e32 v29, 0
	s_wait_dscnt 0x0
	s_barrier_signal -1
	s_barrier_wait -1
	global_wb scope:SCOPE_DEV
	s_wait_storecnt 0x0
	global_inv scope:SCOPE_DEV
	s_and_saveexec_b32 s40, s2
	s_cbranch_execz .LBB98_161
; %bb.158:                              ;   in Loop: Header=BB98_3 Depth=1
	ds_load_b32 v29, v46 offset:14032
	ds_load_b32 v34, v48 offset:14296
	s_wait_dscnt 0x0
	v_fma_f32 v29, v29, v34, 0
	s_and_saveexec_b32 s41, s12
	s_cbranch_execz .LBB98_160
; %bb.159:                              ;   in Loop: Header=BB98_3 Depth=1
	ds_load_b32 v34, v45 offset:14288
	ds_load_b32 v35, v3 offset:14300
	s_wait_dscnt 0x0
	v_fmac_f32_e32 v29, v34, v35
.LBB98_160:                             ;   in Loop: Header=BB98_3 Depth=1
	s_or_b32 exec_lo, exec_lo, s41
.LBB98_161:                             ;   in Loop: Header=BB98_3 Depth=1
	s_delay_alu instid0(SALU_CYCLE_1)
	s_or_b32 exec_lo, exec_lo, s40
	s_and_saveexec_b32 s40, s88
; %bb.162:                              ;   in Loop: Header=BB98_3 Depth=1
	s_delay_alu instid0(VALU_DEP_1)
	v_xor_b32_e32 v34, 0x80000000, v29
	ds_store_b32 v44, v34
; %bb.163:                              ;   in Loop: Header=BB98_3 Depth=1
	s_or_b32 exec_lo, exec_lo, s40
	s_wait_loadcnt_dscnt 0x0
	s_barrier_signal -1
	s_barrier_wait -1
	s_and_saveexec_b32 s40, s89
	s_cbranch_execz .LBB98_165
; %bb.164:                              ;   in Loop: Header=BB98_3 Depth=1
	ds_load_b32 v34, v3 offset:13776
	ds_load_b32 v35, v44
	s_wait_dscnt 0x0
	v_fma_f32 v29, -v34, v35, v29
.LBB98_165:                             ;   in Loop: Header=BB98_3 Depth=1
	s_or_b32 exec_lo, exec_lo, s40
	s_barrier_signal -1
	s_barrier_wait -1
	s_and_saveexec_b32 s40, s89
; %bb.166:                              ;   in Loop: Header=BB98_3 Depth=1
	v_xor_b32_e32 v34, 0x80000000, v29
	ds_store_b32 v44, v34
; %bb.167:                              ;   in Loop: Header=BB98_3 Depth=1
	s_or_b32 exec_lo, exec_lo, s40
	s_wait_dscnt 0x0
	s_barrier_signal -1
	s_barrier_wait -1
	s_barrier_signal -1
	s_barrier_wait -1
	s_and_saveexec_b32 s40, s2
; %bb.168:                              ;   in Loop: Header=BB98_3 Depth=1
	ds_store_b32 v49, v29 offset:14288
; %bb.169:                              ;   in Loop: Header=BB98_3 Depth=1
	s_or_b32 exec_lo, exec_lo, s40
	s_wait_dscnt 0x0
	s_barrier_signal -1
	s_barrier_wait -1
	s_barrier_signal -1
	s_barrier_wait -1
	s_and_saveexec_b32 s40, s90
	s_cbranch_execz .LBB98_171
; %bb.170:                              ;   in Loop: Header=BB98_3 Depth=1
	ds_load_b32 v29, v47 offset:14032
	s_wait_dscnt 0x0
	ds_store_b32 v45, v29 offset:13528
	ds_load_b32 v29, v47 offset:14036
	s_wait_dscnt 0x0
	ds_store_b32 v45, v29 offset:13784
.LBB98_171:                             ;   in Loop: Header=BB98_3 Depth=1
	s_or_b32 exec_lo, exec_lo, s40
	s_wait_dscnt 0x0
	s_barrier_signal -1
	s_barrier_wait -1
	s_and_saveexec_b32 s40, s11
	s_cbranch_execz .LBB98_173
; %bb.172:                              ;   in Loop: Header=BB98_3 Depth=1
	ds_load_b32 v29, v3 offset:13776
	ds_store_b32 v3, v28 offset:13780
	s_wait_dscnt 0x1
	ds_store_b64 v3, v[28:29] offset:13520
.LBB98_173:                             ;   in Loop: Header=BB98_3 Depth=1
	s_or_b32 exec_lo, exec_lo, s40
	v_mov_b32_e32 v29, 0
	s_wait_dscnt 0x0
	s_barrier_signal -1
	s_barrier_wait -1
	global_wb scope:SCOPE_DEV
	s_wait_storecnt 0x0
	global_inv scope:SCOPE_DEV
	s_and_saveexec_b32 s40, s4
	s_cbranch_execz .LBB98_179
; %bb.174:                              ;   in Loop: Header=BB98_3 Depth=1
	ds_load_b32 v29, v52 offset:13504
	ds_load_b32 v34, v53 offset:14288
	s_wait_dscnt 0x0
	v_fma_f32 v29, v29, v34, 0
	s_and_saveexec_b32 s41, s13
	s_cbranch_execnz .LBB98_1183
; %bb.175:                              ;   in Loop: Header=BB98_3 Depth=1
	s_or_b32 exec_lo, exec_lo, s41
	s_and_saveexec_b32 s41, s14
	s_cbranch_execnz .LBB98_1184
.LBB98_176:                             ;   in Loop: Header=BB98_3 Depth=1
	s_or_b32 exec_lo, exec_lo, s41
	s_and_saveexec_b32 s41, s2
	s_cbranch_execz .LBB98_178
.LBB98_177:                             ;   in Loop: Header=BB98_3 Depth=1
	ds_load_b32 v34, v51 offset:14272
	ds_load_b32 v35, v3 offset:14300
	s_wait_dscnt 0x0
	v_fmac_f32_e32 v29, v34, v35
.LBB98_178:                             ;   in Loop: Header=BB98_3 Depth=1
	s_or_b32 exec_lo, exec_lo, s41
.LBB98_179:                             ;   in Loop: Header=BB98_3 Depth=1
	s_delay_alu instid0(SALU_CYCLE_1)
	s_or_b32 exec_lo, exec_lo, s40
	s_and_saveexec_b32 s40, s91
; %bb.180:                              ;   in Loop: Header=BB98_3 Depth=1
	s_delay_alu instid0(VALU_DEP_1)
	v_xor_b32_e32 v34, 0x80000000, v29
	ds_store_b32 v50, v34
; %bb.181:                              ;   in Loop: Header=BB98_3 Depth=1
	s_or_b32 exec_lo, exec_lo, s40
	s_wait_loadcnt_dscnt 0x0
	s_barrier_signal -1
	s_barrier_wait -1
	s_and_saveexec_b32 s40, s92
	s_cbranch_execz .LBB98_183
; %bb.182:                              ;   in Loop: Header=BB98_3 Depth=1
	ds_load_b32 v34, v52 offset:13248
	ds_load_b32 v35, v50
	s_wait_dscnt 0x0
	v_fma_f32 v29, -v34, v35, v29
.LBB98_183:                             ;   in Loop: Header=BB98_3 Depth=1
	s_or_b32 exec_lo, exec_lo, s40
	s_barrier_signal -1
	s_barrier_wait -1
	s_and_saveexec_b32 s40, s93
; %bb.184:                              ;   in Loop: Header=BB98_3 Depth=1
	v_xor_b32_e32 v34, 0x80000000, v29
	ds_store_b32 v50, v34
; %bb.185:                              ;   in Loop: Header=BB98_3 Depth=1
	s_or_b32 exec_lo, exec_lo, s40
	s_wait_dscnt 0x0
	s_barrier_signal -1
	s_barrier_wait -1
	s_and_saveexec_b32 s40, s94
	s_cbranch_execz .LBB98_187
; %bb.186:                              ;   in Loop: Header=BB98_3 Depth=1
	ds_load_b32 v34, v52 offset:12992
	ds_load_b32 v35, v50
	s_wait_dscnt 0x0
	v_fma_f32 v29, -v34, v35, v29
.LBB98_187:                             ;   in Loop: Header=BB98_3 Depth=1
	s_or_b32 exec_lo, exec_lo, s40
	s_barrier_signal -1
	s_barrier_wait -1
	s_and_saveexec_b32 s40, s95
; %bb.188:                              ;   in Loop: Header=BB98_3 Depth=1
	v_xor_b32_e32 v34, 0x80000000, v29
	ds_store_b32 v50, v34
; %bb.189:                              ;   in Loop: Header=BB98_3 Depth=1
	s_or_b32 exec_lo, exec_lo, s40
	s_wait_dscnt 0x0
	;; [unrolled: 20-line block ×3, first 2 shown]
	s_barrier_signal -1
	s_barrier_wait -1
	s_barrier_signal -1
	s_barrier_wait -1
	s_and_saveexec_b32 s40, s4
; %bb.194:                              ;   in Loop: Header=BB98_3 Depth=1
	ds_store_b32 v55, v29 offset:14272
; %bb.195:                              ;   in Loop: Header=BB98_3 Depth=1
	s_or_b32 exec_lo, exec_lo, s40
	s_wait_dscnt 0x0
	s_barrier_signal -1
	s_barrier_wait -1
	s_barrier_signal -1
	s_barrier_wait -1
	s_and_saveexec_b32 s40, s97
	s_cbranch_execz .LBB98_197
; %bb.196:                              ;   in Loop: Header=BB98_3 Depth=1
	ds_load_b32 v29, v54 offset:13504
	s_wait_dscnt 0x0
	ds_store_b32 v58, v29 offset:12496
	ds_load_b32 v29, v54 offset:13508
	s_wait_dscnt 0x0
	ds_store_b32 v58, v29 offset:12752
	;; [unrolled: 3-line block ×4, first 2 shown]
.LBB98_197:                             ;   in Loop: Header=BB98_3 Depth=1
	s_or_b32 exec_lo, exec_lo, s40
	s_wait_dscnt 0x0
	s_barrier_signal -1
	s_barrier_wait -1
	s_and_saveexec_b32 s40, s11
	s_cbranch_execz .LBB98_199
; %bb.198:                              ;   in Loop: Header=BB98_3 Depth=1
	ds_load_b32 v29, v3 offset:13256
	ds_store_b32 v3, v28 offset:13260
	s_wait_dscnt 0x1
	ds_store_b64 v3, v[28:29] offset:13000
.LBB98_199:                             ;   in Loop: Header=BB98_3 Depth=1
	s_or_b32 exec_lo, exec_lo, s40
	v_mov_b32_e32 v29, 0
	s_wait_dscnt 0x0
	s_barrier_signal -1
	s_barrier_wait -1
	global_wb scope:SCOPE_DEV
	s_wait_storecnt 0x0
	global_inv scope:SCOPE_DEV
	s_and_saveexec_b32 s40, s2
	s_cbranch_execz .LBB98_203
; %bb.200:                              ;   in Loop: Header=BB98_3 Depth=1
	ds_load_b32 v29, v46 offset:12992
	ds_load_b32 v34, v48 offset:13256
	s_wait_dscnt 0x0
	v_fma_f32 v29, v29, v34, 0
	s_and_saveexec_b32 s41, s12
	s_cbranch_execz .LBB98_202
; %bb.201:                              ;   in Loop: Header=BB98_3 Depth=1
	ds_load_b32 v34, v58 offset:13248
	ds_load_b32 v35, v3 offset:13260
	s_wait_dscnt 0x0
	v_fmac_f32_e32 v29, v34, v35
.LBB98_202:                             ;   in Loop: Header=BB98_3 Depth=1
	s_or_b32 exec_lo, exec_lo, s41
.LBB98_203:                             ;   in Loop: Header=BB98_3 Depth=1
	s_delay_alu instid0(SALU_CYCLE_1)
	s_or_b32 exec_lo, exec_lo, s40
	s_and_saveexec_b32 s40, s88
; %bb.204:                              ;   in Loop: Header=BB98_3 Depth=1
	s_delay_alu instid0(VALU_DEP_1)
	v_xor_b32_e32 v34, 0x80000000, v29
	ds_store_b32 v44, v34
; %bb.205:                              ;   in Loop: Header=BB98_3 Depth=1
	s_or_b32 exec_lo, exec_lo, s40
	s_wait_loadcnt_dscnt 0x0
	s_barrier_signal -1
	s_barrier_wait -1
	s_and_saveexec_b32 s40, s89
	s_cbranch_execz .LBB98_207
; %bb.206:                              ;   in Loop: Header=BB98_3 Depth=1
	ds_load_b32 v34, v3 offset:12736
	ds_load_b32 v35, v44
	s_wait_dscnt 0x0
	v_fma_f32 v29, -v34, v35, v29
.LBB98_207:                             ;   in Loop: Header=BB98_3 Depth=1
	s_or_b32 exec_lo, exec_lo, s40
	s_barrier_signal -1
	s_barrier_wait -1
	s_and_saveexec_b32 s40, s89
; %bb.208:                              ;   in Loop: Header=BB98_3 Depth=1
	v_xor_b32_e32 v34, 0x80000000, v29
	ds_store_b32 v44, v34
; %bb.209:                              ;   in Loop: Header=BB98_3 Depth=1
	s_or_b32 exec_lo, exec_lo, s40
	s_wait_dscnt 0x0
	s_barrier_signal -1
	s_barrier_wait -1
	s_barrier_signal -1
	s_barrier_wait -1
	s_and_saveexec_b32 s40, s2
; %bb.210:                              ;   in Loop: Header=BB98_3 Depth=1
	ds_store_b32 v49, v29 offset:13248
; %bb.211:                              ;   in Loop: Header=BB98_3 Depth=1
	s_or_b32 exec_lo, exec_lo, s40
	s_wait_dscnt 0x0
	s_barrier_signal -1
	s_barrier_wait -1
	s_barrier_signal -1
	s_barrier_wait -1
	s_and_saveexec_b32 s40, s90
	s_cbranch_execz .LBB98_213
; %bb.212:                              ;   in Loop: Header=BB98_3 Depth=1
	ds_load_b32 v29, v61 offset:12992
	s_wait_dscnt 0x0
	ds_store_b32 v58, v29 offset:12488
	ds_load_b32 v29, v61 offset:12996
	s_wait_dscnt 0x0
	ds_store_b32 v58, v29 offset:12744
.LBB98_213:                             ;   in Loop: Header=BB98_3 Depth=1
	s_or_b32 exec_lo, exec_lo, s40
	s_wait_dscnt 0x0
	s_barrier_signal -1
	s_barrier_wait -1
	s_and_saveexec_b32 s40, s11
	s_cbranch_execz .LBB98_215
; %bb.214:                              ;   in Loop: Header=BB98_3 Depth=1
	ds_load_b32 v29, v3 offset:12736
	ds_store_b32 v3, v28 offset:12740
	s_wait_dscnt 0x1
	ds_store_b64 v3, v[28:29] offset:12480
.LBB98_215:                             ;   in Loop: Header=BB98_3 Depth=1
	s_or_b32 exec_lo, exec_lo, s40
	v_mov_b32_e32 v29, 0
	s_wait_dscnt 0x0
	s_barrier_signal -1
	s_barrier_wait -1
	global_wb scope:SCOPE_DEV
	s_wait_storecnt 0x0
	global_inv scope:SCOPE_DEV
	s_and_saveexec_b32 s61, s6
	s_cbranch_execz .LBB98_243
; %bb.216:                              ;   in Loop: Header=BB98_3 Depth=1
	ds_load_b32 v29, v62 offset:12416
	ds_load_b32 v34, v65 offset:16320
	s_wait_dscnt 0x0
	v_fma_f32 v29, v29, v34, 0
	s_mov_b32 s40, exec_lo
	v_readlane_b32 s41, v89, 14
	s_and_b32 s41, s40, s41
	s_delay_alu instid0(SALU_CYCLE_1)
	s_mov_b32 exec_lo, s41
	s_cbranch_execz .LBB98_218
; %bb.217:                              ;   in Loop: Header=BB98_3 Depth=1
	ds_load_b32 v34, v62 offset:12672
	ds_load_b32 v35, v65 offset:16324
	s_wait_dscnt 0x0
	v_fmac_f32_e32 v29, v34, v35
.LBB98_218:                             ;   in Loop: Header=BB98_3 Depth=1
	s_or_b32 exec_lo, exec_lo, s40
	s_delay_alu instid0(SALU_CYCLE_1) | instskip(SKIP_2) | instid1(SALU_CYCLE_1)
	s_mov_b32 s40, exec_lo
	v_readlane_b32 s41, v89, 15
	s_and_b32 s41, s40, s41
	s_mov_b32 exec_lo, s41
	s_cbranch_execz .LBB98_220
; %bb.219:                              ;   in Loop: Header=BB98_3 Depth=1
	ds_load_b32 v34, v62 offset:12928
	ds_load_b32 v35, v65 offset:16328
	s_wait_dscnt 0x0
	v_fmac_f32_e32 v29, v34, v35
.LBB98_220:                             ;   in Loop: Header=BB98_3 Depth=1
	s_or_b32 exec_lo, exec_lo, s40
	s_delay_alu instid0(SALU_CYCLE_1) | instskip(SKIP_2) | instid1(SALU_CYCLE_1)
	s_mov_b32 s40, exec_lo
	v_readlane_b32 s41, v89, 16
	s_and_b32 s41, s40, s41
	s_mov_b32 exec_lo, s41
	s_cbranch_execz .LBB98_222
; %bb.221:                              ;   in Loop: Header=BB98_3 Depth=1
	ds_load_b32 v34, v62 offset:13184
	ds_load_b32 v35, v65 offset:16332
	s_wait_dscnt 0x0
	v_fmac_f32_e32 v29, v34, v35
.LBB98_222:                             ;   in Loop: Header=BB98_3 Depth=1
	s_or_b32 exec_lo, exec_lo, s40
	s_delay_alu instid0(SALU_CYCLE_1) | instskip(SKIP_2) | instid1(SALU_CYCLE_1)
	s_mov_b32 s40, exec_lo
	v_readlane_b32 s41, v89, 17
	s_and_b32 s41, s40, s41
	s_mov_b32 exec_lo, s41
	s_cbranch_execz .LBB98_224
; %bb.223:                              ;   in Loop: Header=BB98_3 Depth=1
	ds_load_b32 v34, v62 offset:13440
	ds_load_b32 v35, v65 offset:16336
	s_wait_dscnt 0x0
	v_fmac_f32_e32 v29, v34, v35
.LBB98_224:                             ;   in Loop: Header=BB98_3 Depth=1
	s_or_b32 exec_lo, exec_lo, s40
	s_delay_alu instid0(SALU_CYCLE_1) | instskip(SKIP_2) | instid1(SALU_CYCLE_1)
	s_mov_b32 s40, exec_lo
	v_readlane_b32 s41, v89, 18
	s_and_b32 s41, s40, s41
	s_mov_b32 exec_lo, s41
	s_cbranch_execz .LBB98_226
; %bb.225:                              ;   in Loop: Header=BB98_3 Depth=1
	ds_load_b32 v34, v62 offset:13696
	ds_load_b32 v35, v65 offset:16340
	s_wait_dscnt 0x0
	v_fmac_f32_e32 v29, v34, v35
.LBB98_226:                             ;   in Loop: Header=BB98_3 Depth=1
	s_or_b32 exec_lo, exec_lo, s40
	s_delay_alu instid0(SALU_CYCLE_1) | instskip(SKIP_2) | instid1(SALU_CYCLE_1)
	s_mov_b32 s40, exec_lo
	v_readlane_b32 s41, v89, 19
	s_and_b32 s41, s40, s41
	s_mov_b32 exec_lo, s41
	s_cbranch_execz .LBB98_228
; %bb.227:                              ;   in Loop: Header=BB98_3 Depth=1
	ds_load_b32 v34, v62 offset:13952
	ds_load_b32 v35, v65 offset:16344
	s_wait_dscnt 0x0
	v_fmac_f32_e32 v29, v34, v35
.LBB98_228:                             ;   in Loop: Header=BB98_3 Depth=1
	s_or_b32 exec_lo, exec_lo, s40
	s_delay_alu instid0(SALU_CYCLE_1) | instskip(SKIP_2) | instid1(SALU_CYCLE_1)
	s_mov_b32 s40, exec_lo
	v_readlane_b32 s41, v89, 20
	s_and_b32 s41, s40, s41
	s_mov_b32 exec_lo, s41
	s_cbranch_execz .LBB98_230
; %bb.229:                              ;   in Loop: Header=BB98_3 Depth=1
	ds_load_b32 v34, v62 offset:14208
	ds_load_b32 v35, v65 offset:16348
	s_wait_dscnt 0x0
	v_fmac_f32_e32 v29, v34, v35
.LBB98_230:                             ;   in Loop: Header=BB98_3 Depth=1
	s_or_b32 exec_lo, exec_lo, s40
	s_delay_alu instid0(SALU_CYCLE_1) | instskip(SKIP_2) | instid1(SALU_CYCLE_1)
	s_mov_b32 s40, exec_lo
	v_readlane_b32 s41, v89, 21
	s_and_b32 s41, s40, s41
	s_mov_b32 exec_lo, s41
	s_cbranch_execz .LBB98_232
; %bb.231:                              ;   in Loop: Header=BB98_3 Depth=1
	ds_load_b32 v34, v62 offset:14464
	ds_load_b32 v35, v65 offset:16352
	s_wait_dscnt 0x0
	v_fmac_f32_e32 v29, v34, v35
.LBB98_232:                             ;   in Loop: Header=BB98_3 Depth=1
	s_or_b32 exec_lo, exec_lo, s40
	s_delay_alu instid0(SALU_CYCLE_1) | instskip(SKIP_2) | instid1(SALU_CYCLE_1)
	s_mov_b32 s40, exec_lo
	v_readlane_b32 s41, v89, 22
	s_and_b32 s41, s40, s41
	s_mov_b32 exec_lo, s41
	s_cbranch_execz .LBB98_234
; %bb.233:                              ;   in Loop: Header=BB98_3 Depth=1
	ds_load_b32 v34, v62 offset:14720
	ds_load_b32 v35, v65 offset:16356
	s_wait_dscnt 0x0
	v_fmac_f32_e32 v29, v34, v35
.LBB98_234:                             ;   in Loop: Header=BB98_3 Depth=1
	s_or_b32 exec_lo, exec_lo, s40
	s_delay_alu instid0(SALU_CYCLE_1) | instskip(SKIP_2) | instid1(SALU_CYCLE_1)
	s_mov_b32 s40, exec_lo
	v_readlane_b32 s41, v89, 23
	s_and_b32 s41, s40, s41
	s_mov_b32 exec_lo, s41
	s_cbranch_execz .LBB98_236
; %bb.235:                              ;   in Loop: Header=BB98_3 Depth=1
	ds_load_b32 v34, v62 offset:14976
	ds_load_b32 v35, v65 offset:16360
	s_wait_dscnt 0x0
	v_fmac_f32_e32 v29, v34, v35
.LBB98_236:                             ;   in Loop: Header=BB98_3 Depth=1
	s_or_b32 exec_lo, exec_lo, s40
	s_delay_alu instid0(SALU_CYCLE_1) | instskip(SKIP_2) | instid1(SALU_CYCLE_1)
	s_mov_b32 s40, exec_lo
	v_readlane_b32 s41, v89, 24
	s_and_b32 s41, s40, s41
	s_mov_b32 exec_lo, s41
	s_cbranch_execnz .LBB98_1185
; %bb.237:                              ;   in Loop: Header=BB98_3 Depth=1
	s_or_b32 exec_lo, exec_lo, s40
	s_and_saveexec_b32 s40, s5
	s_cbranch_execnz .LBB98_1186
.LBB98_238:                             ;   in Loop: Header=BB98_3 Depth=1
	s_or_b32 exec_lo, exec_lo, s40
	s_and_saveexec_b32 s40, s16
	s_cbranch_execnz .LBB98_1187
.LBB98_239:                             ;   in Loop: Header=BB98_3 Depth=1
	s_or_b32 exec_lo, exec_lo, s40
	s_and_saveexec_b32 s40, s18
	s_cbranch_execnz .LBB98_1188
.LBB98_240:                             ;   in Loop: Header=BB98_3 Depth=1
	s_or_b32 exec_lo, exec_lo, s40
	s_and_saveexec_b32 s40, s4
	s_cbranch_execz .LBB98_242
.LBB98_241:                             ;   in Loop: Header=BB98_3 Depth=1
	ds_load_b32 v34, v7 offset:16256
	ds_load_b32 v35, v3 offset:16380
	s_wait_dscnt 0x0
	v_fmac_f32_e32 v29, v34, v35
.LBB98_242:                             ;   in Loop: Header=BB98_3 Depth=1
	s_or_b32 exec_lo, exec_lo, s40
.LBB98_243:                             ;   in Loop: Header=BB98_3 Depth=1
	s_delay_alu instid0(SALU_CYCLE_1) | instskip(NEXT) | instid1(SALU_CYCLE_1)
	s_or_b32 exec_lo, exec_lo, s61
	s_mov_b32 s40, exec_lo
	v_readlane_b32 s41, v91, 2
	s_and_b32 s41, s40, s41
	s_delay_alu instid0(SALU_CYCLE_1)
	s_mov_b32 exec_lo, s41
; %bb.244:                              ;   in Loop: Header=BB98_3 Depth=1
	v_xor_b32_e32 v34, 0x80000000, v29
	ds_store_b32 v63, v34
; %bb.245:                              ;   in Loop: Header=BB98_3 Depth=1
	s_or_b32 exec_lo, exec_lo, s40
	s_wait_loadcnt_dscnt 0x0
	s_barrier_signal -1
	s_barrier_wait -1
	s_mov_b32 s40, exec_lo
	v_readlane_b32 s41, v91, 3
	s_and_b32 s41, s40, s41
	s_delay_alu instid0(SALU_CYCLE_1)
	s_mov_b32 exec_lo, s41
	s_cbranch_execz .LBB98_247
; %bb.246:                              ;   in Loop: Header=BB98_3 Depth=1
	ds_load_b32 v34, v62 offset:12160
	ds_load_b32 v35, v63
	s_wait_dscnt 0x0
	v_fma_f32 v29, -v34, v35, v29
.LBB98_247:                             ;   in Loop: Header=BB98_3 Depth=1
	s_or_b32 exec_lo, exec_lo, s40
	s_barrier_signal -1
	s_barrier_wait -1
	s_mov_b32 s40, exec_lo
	v_readlane_b32 s41, v91, 4
	s_and_b32 s41, s40, s41
	s_delay_alu instid0(SALU_CYCLE_1)
	s_mov_b32 exec_lo, s41
; %bb.248:                              ;   in Loop: Header=BB98_3 Depth=1
	v_xor_b32_e32 v34, 0x80000000, v29
	ds_store_b32 v63, v34
; %bb.249:                              ;   in Loop: Header=BB98_3 Depth=1
	s_or_b32 exec_lo, exec_lo, s40
	s_wait_dscnt 0x0
	s_barrier_signal -1
	s_barrier_wait -1
	s_mov_b32 s40, exec_lo
	v_readlane_b32 s41, v91, 5
	s_and_b32 s41, s40, s41
	s_delay_alu instid0(SALU_CYCLE_1)
	s_mov_b32 exec_lo, s41
	s_cbranch_execz .LBB98_251
; %bb.250:                              ;   in Loop: Header=BB98_3 Depth=1
	ds_load_b32 v34, v62 offset:11904
	ds_load_b32 v35, v63
	s_wait_dscnt 0x0
	v_fma_f32 v29, -v34, v35, v29
.LBB98_251:                             ;   in Loop: Header=BB98_3 Depth=1
	s_or_b32 exec_lo, exec_lo, s40
	s_barrier_signal -1
	s_barrier_wait -1
	s_and_saveexec_b32 s40, s43
; %bb.252:                              ;   in Loop: Header=BB98_3 Depth=1
	v_xor_b32_e32 v34, 0x80000000, v29
	ds_store_b32 v63, v34
; %bb.253:                              ;   in Loop: Header=BB98_3 Depth=1
	s_or_b32 exec_lo, exec_lo, s40
	s_wait_dscnt 0x0
	s_barrier_signal -1
	s_barrier_wait -1
	s_and_saveexec_b32 s40, s44
	s_cbranch_execz .LBB98_255
; %bb.254:                              ;   in Loop: Header=BB98_3 Depth=1
	ds_load_b32 v34, v62 offset:11648
	ds_load_b32 v35, v63
	s_wait_dscnt 0x0
	v_fma_f32 v29, -v34, v35, v29
.LBB98_255:                             ;   in Loop: Header=BB98_3 Depth=1
	s_or_b32 exec_lo, exec_lo, s40
	s_barrier_signal -1
	s_barrier_wait -1
	s_and_saveexec_b32 s40, s45
; %bb.256:                              ;   in Loop: Header=BB98_3 Depth=1
	v_xor_b32_e32 v34, 0x80000000, v29
	ds_store_b32 v63, v34
; %bb.257:                              ;   in Loop: Header=BB98_3 Depth=1
	s_or_b32 exec_lo, exec_lo, s40
	s_wait_dscnt 0x0
	s_barrier_signal -1
	s_barrier_wait -1
	s_and_saveexec_b32 s40, s46
	;; [unrolled: 20-line block ×13, first 2 shown]
	s_cbranch_execz .LBB98_303
; %bb.302:                              ;   in Loop: Header=BB98_3 Depth=1
	ds_load_b32 v34, v3 offset:8576
	ds_load_b32 v35, v63
	s_wait_dscnt 0x0
	v_fma_f32 v29, -v34, v35, v29
.LBB98_303:                             ;   in Loop: Header=BB98_3 Depth=1
	s_or_b32 exec_lo, exec_lo, s40
	s_barrier_signal -1
	s_barrier_wait -1
	s_and_saveexec_b32 s40, s27
; %bb.304:                              ;   in Loop: Header=BB98_3 Depth=1
	v_xor_b32_e32 v34, 0x80000000, v29
	ds_store_b32 v63, v34
; %bb.305:                              ;   in Loop: Header=BB98_3 Depth=1
	s_or_b32 exec_lo, exec_lo, s40
	s_wait_dscnt 0x0
	s_barrier_signal -1
	s_barrier_wait -1
	s_barrier_signal -1
	s_barrier_wait -1
	s_and_saveexec_b32 s40, s6
; %bb.306:                              ;   in Loop: Header=BB98_3 Depth=1
	ds_store_b32 v66, v29 offset:16256
; %bb.307:                              ;   in Loop: Header=BB98_3 Depth=1
	s_or_b32 exec_lo, exec_lo, s40
	s_wait_dscnt 0x0
	s_barrier_signal -1
	s_barrier_wait -1
	s_barrier_signal -1
	s_barrier_wait -1
	s_and_saveexec_b32 s40, s29
	s_cbranch_execz .LBB98_309
; %bb.308:                              ;   in Loop: Header=BB98_3 Depth=1
	ds_load_b32 v29, v9 offset:12416
	s_wait_dscnt 0x0
	ds_store_b32 v38, v29 offset:8384
	ds_load_b32 v29, v9 offset:12420
	s_wait_dscnt 0x0
	ds_store_b32 v38, v29 offset:8640
	;; [unrolled: 3-line block ×16, first 2 shown]
.LBB98_309:                             ;   in Loop: Header=BB98_3 Depth=1
	s_or_b32 exec_lo, exec_lo, s40
	s_wait_dscnt 0x0
	s_barrier_signal -1
	s_barrier_wait -1
	s_and_saveexec_b32 s40, s11
	s_cbranch_execz .LBB98_311
; %bb.310:                              ;   in Loop: Header=BB98_3 Depth=1
	ds_load_b32 v29, v3 offset:12216
	ds_store_b32 v3, v28 offset:12220
	s_wait_dscnt 0x1
	ds_store_b64 v3, v[28:29] offset:11960
.LBB98_311:                             ;   in Loop: Header=BB98_3 Depth=1
	s_or_b32 exec_lo, exec_lo, s40
	v_mov_b32_e32 v29, 0
	s_wait_dscnt 0x0
	s_barrier_signal -1
	s_barrier_wait -1
	global_wb scope:SCOPE_DEV
	s_wait_storecnt 0x0
	global_inv scope:SCOPE_DEV
	s_and_saveexec_b32 s40, s2
	s_cbranch_execz .LBB98_315
; %bb.312:                              ;   in Loop: Header=BB98_3 Depth=1
	ds_load_b32 v29, v46 offset:11952
	ds_load_b32 v34, v48 offset:12216
	s_wait_dscnt 0x0
	v_fma_f32 v29, v29, v34, 0
	s_and_saveexec_b32 s41, s12
	s_cbranch_execz .LBB98_314
; %bb.313:                              ;   in Loop: Header=BB98_3 Depth=1
	ds_load_b32 v34, v7 offset:12208
	ds_load_b32 v35, v3 offset:12220
	s_wait_dscnt 0x0
	v_fmac_f32_e32 v29, v34, v35
.LBB98_314:                             ;   in Loop: Header=BB98_3 Depth=1
	s_or_b32 exec_lo, exec_lo, s41
.LBB98_315:                             ;   in Loop: Header=BB98_3 Depth=1
	s_delay_alu instid0(SALU_CYCLE_1)
	s_or_b32 exec_lo, exec_lo, s40
	s_and_saveexec_b32 s40, s88
; %bb.316:                              ;   in Loop: Header=BB98_3 Depth=1
	s_delay_alu instid0(VALU_DEP_1)
	v_xor_b32_e32 v34, 0x80000000, v29
	ds_store_b32 v44, v34
; %bb.317:                              ;   in Loop: Header=BB98_3 Depth=1
	s_or_b32 exec_lo, exec_lo, s40
	s_wait_loadcnt_dscnt 0x0
	s_barrier_signal -1
	s_barrier_wait -1
	s_and_saveexec_b32 s40, s89
	s_cbranch_execz .LBB98_319
; %bb.318:                              ;   in Loop: Header=BB98_3 Depth=1
	ds_load_b32 v34, v3 offset:11696
	ds_load_b32 v35, v44
	s_wait_dscnt 0x0
	v_fma_f32 v29, -v34, v35, v29
.LBB98_319:                             ;   in Loop: Header=BB98_3 Depth=1
	s_or_b32 exec_lo, exec_lo, s40
	s_barrier_signal -1
	s_barrier_wait -1
	s_and_saveexec_b32 s40, s89
; %bb.320:                              ;   in Loop: Header=BB98_3 Depth=1
	v_xor_b32_e32 v34, 0x80000000, v29
	ds_store_b32 v44, v34
; %bb.321:                              ;   in Loop: Header=BB98_3 Depth=1
	s_or_b32 exec_lo, exec_lo, s40
	s_wait_dscnt 0x0
	s_barrier_signal -1
	s_barrier_wait -1
	s_barrier_signal -1
	s_barrier_wait -1
	s_and_saveexec_b32 s40, s2
; %bb.322:                              ;   in Loop: Header=BB98_3 Depth=1
	ds_store_b32 v49, v29 offset:12208
; %bb.323:                              ;   in Loop: Header=BB98_3 Depth=1
	s_or_b32 exec_lo, exec_lo, s40
	s_wait_dscnt 0x0
	s_barrier_signal -1
	s_barrier_wait -1
	s_barrier_signal -1
	s_barrier_wait -1
	s_and_saveexec_b32 s40, s90
	s_cbranch_execz .LBB98_325
; %bb.324:                              ;   in Loop: Header=BB98_3 Depth=1
	ds_load_b32 v29, v9 offset:11952
	s_wait_dscnt 0x0
	ds_store_b32 v7, v29 offset:11448
	ds_load_b32 v29, v9 offset:11956
	s_wait_dscnt 0x0
	ds_store_b32 v7, v29 offset:11704
.LBB98_325:                             ;   in Loop: Header=BB98_3 Depth=1
	s_or_b32 exec_lo, exec_lo, s40
	s_wait_dscnt 0x0
	s_barrier_signal -1
	s_barrier_wait -1
	s_and_saveexec_b32 s40, s11
	s_cbranch_execz .LBB98_327
; %bb.326:                              ;   in Loop: Header=BB98_3 Depth=1
	ds_load_b32 v29, v3 offset:11696
	ds_store_b32 v3, v28 offset:11700
	s_wait_dscnt 0x1
	ds_store_b64 v3, v[28:29] offset:11440
.LBB98_327:                             ;   in Loop: Header=BB98_3 Depth=1
	s_or_b32 exec_lo, exec_lo, s40
	v_mov_b32_e32 v29, 0
	s_wait_dscnt 0x0
	s_barrier_signal -1
	s_barrier_wait -1
	global_wb scope:SCOPE_DEV
	s_wait_storecnt 0x0
	global_inv scope:SCOPE_DEV
	s_and_saveexec_b32 s40, s4
	s_cbranch_execz .LBB98_333
; %bb.328:                              ;   in Loop: Header=BB98_3 Depth=1
	ds_load_b32 v29, v52 offset:11424
	ds_load_b32 v34, v53 offset:12208
	s_wait_dscnt 0x0
	v_fma_f32 v29, v29, v34, 0
	s_and_saveexec_b32 s41, s13
	s_cbranch_execnz .LBB98_1189
; %bb.329:                              ;   in Loop: Header=BB98_3 Depth=1
	s_or_b32 exec_lo, exec_lo, s41
	s_and_saveexec_b32 s41, s14
	s_cbranch_execnz .LBB98_1190
.LBB98_330:                             ;   in Loop: Header=BB98_3 Depth=1
	s_or_b32 exec_lo, exec_lo, s41
	s_and_saveexec_b32 s41, s2
	s_cbranch_execz .LBB98_332
.LBB98_331:                             ;   in Loop: Header=BB98_3 Depth=1
	ds_load_b32 v34, v38 offset:12192
	ds_load_b32 v35, v3 offset:12220
	s_wait_dscnt 0x0
	v_fmac_f32_e32 v29, v34, v35
.LBB98_332:                             ;   in Loop: Header=BB98_3 Depth=1
	s_or_b32 exec_lo, exec_lo, s41
.LBB98_333:                             ;   in Loop: Header=BB98_3 Depth=1
	s_delay_alu instid0(SALU_CYCLE_1)
	s_or_b32 exec_lo, exec_lo, s40
	s_and_saveexec_b32 s40, s91
; %bb.334:                              ;   in Loop: Header=BB98_3 Depth=1
	s_delay_alu instid0(VALU_DEP_1)
	v_xor_b32_e32 v34, 0x80000000, v29
	ds_store_b32 v50, v34
; %bb.335:                              ;   in Loop: Header=BB98_3 Depth=1
	s_or_b32 exec_lo, exec_lo, s40
	s_wait_loadcnt_dscnt 0x0
	s_barrier_signal -1
	s_barrier_wait -1
	s_and_saveexec_b32 s40, s92
	s_cbranch_execz .LBB98_337
; %bb.336:                              ;   in Loop: Header=BB98_3 Depth=1
	ds_load_b32 v34, v52 offset:11168
	ds_load_b32 v35, v50
	s_wait_dscnt 0x0
	v_fma_f32 v29, -v34, v35, v29
.LBB98_337:                             ;   in Loop: Header=BB98_3 Depth=1
	s_or_b32 exec_lo, exec_lo, s40
	s_barrier_signal -1
	s_barrier_wait -1
	s_and_saveexec_b32 s40, s93
; %bb.338:                              ;   in Loop: Header=BB98_3 Depth=1
	v_xor_b32_e32 v34, 0x80000000, v29
	ds_store_b32 v50, v34
; %bb.339:                              ;   in Loop: Header=BB98_3 Depth=1
	s_or_b32 exec_lo, exec_lo, s40
	s_wait_dscnt 0x0
	s_barrier_signal -1
	s_barrier_wait -1
	s_and_saveexec_b32 s40, s94
	s_cbranch_execz .LBB98_341
; %bb.340:                              ;   in Loop: Header=BB98_3 Depth=1
	ds_load_b32 v34, v52 offset:10912
	ds_load_b32 v35, v50
	s_wait_dscnt 0x0
	v_fma_f32 v29, -v34, v35, v29
.LBB98_341:                             ;   in Loop: Header=BB98_3 Depth=1
	s_or_b32 exec_lo, exec_lo, s40
	s_barrier_signal -1
	s_barrier_wait -1
	s_and_saveexec_b32 s40, s95
; %bb.342:                              ;   in Loop: Header=BB98_3 Depth=1
	v_xor_b32_e32 v34, 0x80000000, v29
	ds_store_b32 v50, v34
; %bb.343:                              ;   in Loop: Header=BB98_3 Depth=1
	s_or_b32 exec_lo, exec_lo, s40
	s_wait_dscnt 0x0
	;; [unrolled: 20-line block ×3, first 2 shown]
	s_barrier_signal -1
	s_barrier_wait -1
	s_barrier_signal -1
	s_barrier_wait -1
	s_and_saveexec_b32 s40, s4
; %bb.348:                              ;   in Loop: Header=BB98_3 Depth=1
	ds_store_b32 v55, v29 offset:12192
; %bb.349:                              ;   in Loop: Header=BB98_3 Depth=1
	s_or_b32 exec_lo, exec_lo, s40
	s_wait_dscnt 0x0
	s_barrier_signal -1
	s_barrier_wait -1
	s_barrier_signal -1
	s_barrier_wait -1
	s_and_saveexec_b32 s40, s97
	s_cbranch_execz .LBB98_351
; %bb.350:                              ;   in Loop: Header=BB98_3 Depth=1
	ds_load_b32 v29, v39 offset:11424
	s_wait_dscnt 0x0
	ds_store_b32 v40, v29 offset:10416
	ds_load_b32 v29, v39 offset:11428
	s_wait_dscnt 0x0
	ds_store_b32 v40, v29 offset:10672
	;; [unrolled: 3-line block ×4, first 2 shown]
.LBB98_351:                             ;   in Loop: Header=BB98_3 Depth=1
	s_or_b32 exec_lo, exec_lo, s40
	s_wait_dscnt 0x0
	s_barrier_signal -1
	s_barrier_wait -1
	s_and_saveexec_b32 s40, s11
	s_cbranch_execz .LBB98_353
; %bb.352:                              ;   in Loop: Header=BB98_3 Depth=1
	ds_load_b32 v29, v3 offset:11176
	ds_store_b32 v3, v28 offset:11180
	s_wait_dscnt 0x1
	ds_store_b64 v3, v[28:29] offset:10920
.LBB98_353:                             ;   in Loop: Header=BB98_3 Depth=1
	s_or_b32 exec_lo, exec_lo, s40
	v_mov_b32_e32 v29, 0
	s_wait_dscnt 0x0
	s_barrier_signal -1
	s_barrier_wait -1
	global_wb scope:SCOPE_DEV
	s_wait_storecnt 0x0
	global_inv scope:SCOPE_DEV
	s_and_saveexec_b32 s40, s2
	s_cbranch_execz .LBB98_357
; %bb.354:                              ;   in Loop: Header=BB98_3 Depth=1
	ds_load_b32 v29, v46 offset:10912
	ds_load_b32 v34, v48 offset:11176
	s_wait_dscnt 0x0
	v_fma_f32 v29, v29, v34, 0
	s_and_saveexec_b32 s41, s12
	s_cbranch_execz .LBB98_356
; %bb.355:                              ;   in Loop: Header=BB98_3 Depth=1
	ds_load_b32 v34, v40 offset:11168
	ds_load_b32 v35, v3 offset:11180
	s_wait_dscnt 0x0
	v_fmac_f32_e32 v29, v34, v35
.LBB98_356:                             ;   in Loop: Header=BB98_3 Depth=1
	s_or_b32 exec_lo, exec_lo, s41
.LBB98_357:                             ;   in Loop: Header=BB98_3 Depth=1
	s_delay_alu instid0(SALU_CYCLE_1)
	s_or_b32 exec_lo, exec_lo, s40
	s_and_saveexec_b32 s40, s88
; %bb.358:                              ;   in Loop: Header=BB98_3 Depth=1
	s_delay_alu instid0(VALU_DEP_1)
	v_xor_b32_e32 v34, 0x80000000, v29
	ds_store_b32 v44, v34
; %bb.359:                              ;   in Loop: Header=BB98_3 Depth=1
	s_or_b32 exec_lo, exec_lo, s40
	s_wait_loadcnt_dscnt 0x0
	s_barrier_signal -1
	s_barrier_wait -1
	s_and_saveexec_b32 s40, s89
	s_cbranch_execz .LBB98_361
; %bb.360:                              ;   in Loop: Header=BB98_3 Depth=1
	ds_load_b32 v34, v3 offset:10656
	ds_load_b32 v35, v44
	s_wait_dscnt 0x0
	v_fma_f32 v29, -v34, v35, v29
.LBB98_361:                             ;   in Loop: Header=BB98_3 Depth=1
	s_or_b32 exec_lo, exec_lo, s40
	s_barrier_signal -1
	s_barrier_wait -1
	s_and_saveexec_b32 s40, s89
; %bb.362:                              ;   in Loop: Header=BB98_3 Depth=1
	v_xor_b32_e32 v34, 0x80000000, v29
	ds_store_b32 v44, v34
; %bb.363:                              ;   in Loop: Header=BB98_3 Depth=1
	s_or_b32 exec_lo, exec_lo, s40
	s_wait_dscnt 0x0
	s_barrier_signal -1
	s_barrier_wait -1
	s_barrier_signal -1
	s_barrier_wait -1
	s_and_saveexec_b32 s40, s2
; %bb.364:                              ;   in Loop: Header=BB98_3 Depth=1
	ds_store_b32 v49, v29 offset:11168
; %bb.365:                              ;   in Loop: Header=BB98_3 Depth=1
	s_or_b32 exec_lo, exec_lo, s40
	s_wait_dscnt 0x0
	s_barrier_signal -1
	s_barrier_wait -1
	s_barrier_signal -1
	s_barrier_wait -1
	s_and_saveexec_b32 s40, s90
	s_cbranch_execz .LBB98_367
; %bb.366:                              ;   in Loop: Header=BB98_3 Depth=1
	ds_load_b32 v29, v41 offset:10912
	s_wait_dscnt 0x0
	ds_store_b32 v40, v29 offset:10408
	ds_load_b32 v29, v41 offset:10916
	s_wait_dscnt 0x0
	ds_store_b32 v40, v29 offset:10664
.LBB98_367:                             ;   in Loop: Header=BB98_3 Depth=1
	s_or_b32 exec_lo, exec_lo, s40
	s_wait_dscnt 0x0
	s_barrier_signal -1
	s_barrier_wait -1
	s_and_saveexec_b32 s40, s11
	s_cbranch_execz .LBB98_369
; %bb.368:                              ;   in Loop: Header=BB98_3 Depth=1
	ds_load_b32 v29, v3 offset:10656
	ds_store_b32 v3, v28 offset:10660
	s_wait_dscnt 0x1
	ds_store_b64 v3, v[28:29] offset:10400
.LBB98_369:                             ;   in Loop: Header=BB98_3 Depth=1
	s_or_b32 exec_lo, exec_lo, s40
	v_mov_b32_e32 v29, 0
	s_wait_dscnt 0x0
	s_barrier_signal -1
	s_barrier_wait -1
	global_wb scope:SCOPE_DEV
	s_wait_storecnt 0x0
	global_inv scope:SCOPE_DEV
	s_and_saveexec_b32 s40, s5
	s_cbranch_execz .LBB98_379
; %bb.370:                              ;   in Loop: Header=BB98_3 Depth=1
	ds_load_b32 v29, v56 offset:10368
	ds_load_b32 v34, v59 offset:12192
	s_wait_dscnt 0x0
	v_fma_f32 v29, v29, v34, 0
	s_and_saveexec_b32 s41, s15
	s_cbranch_execnz .LBB98_1191
; %bb.371:                              ;   in Loop: Header=BB98_3 Depth=1
	s_or_b32 exec_lo, exec_lo, s41
	s_and_saveexec_b32 s41, s16
	s_cbranch_execnz .LBB98_1192
.LBB98_372:                             ;   in Loop: Header=BB98_3 Depth=1
	s_or_b32 exec_lo, exec_lo, s41
	s_and_saveexec_b32 s41, s17
	s_cbranch_execnz .LBB98_1193
.LBB98_373:                             ;   in Loop: Header=BB98_3 Depth=1
	s_or_b32 exec_lo, exec_lo, s41
	s_and_saveexec_b32 s41, s18
	s_cbranch_execnz .LBB98_1194
.LBB98_374:                             ;   in Loop: Header=BB98_3 Depth=1
	s_or_b32 exec_lo, exec_lo, s41
	s_and_saveexec_b32 s41, s19
	s_cbranch_execnz .LBB98_1195
.LBB98_375:                             ;   in Loop: Header=BB98_3 Depth=1
	s_or_b32 exec_lo, exec_lo, s41
	s_and_saveexec_b32 s41, s4
	s_cbranch_execnz .LBB98_1196
.LBB98_376:                             ;   in Loop: Header=BB98_3 Depth=1
	s_or_b32 exec_lo, exec_lo, s41
	s_and_saveexec_b32 s41, s14
	s_cbranch_execz .LBB98_378
.LBB98_377:                             ;   in Loop: Header=BB98_3 Depth=1
	ds_load_b32 v34, v42 offset:12160
	ds_load_b32 v35, v3 offset:12220
	s_wait_dscnt 0x0
	v_fmac_f32_e32 v29, v34, v35
.LBB98_378:                             ;   in Loop: Header=BB98_3 Depth=1
	s_or_b32 exec_lo, exec_lo, s41
.LBB98_379:                             ;   in Loop: Header=BB98_3 Depth=1
	s_delay_alu instid0(SALU_CYCLE_1)
	s_or_b32 exec_lo, exec_lo, s40
	s_and_saveexec_b32 s40, s98
; %bb.380:                              ;   in Loop: Header=BB98_3 Depth=1
	s_delay_alu instid0(VALU_DEP_1)
	v_xor_b32_e32 v34, 0x80000000, v29
	ds_store_b32 v57, v34
; %bb.381:                              ;   in Loop: Header=BB98_3 Depth=1
	s_or_b32 exec_lo, exec_lo, s40
	s_wait_loadcnt_dscnt 0x0
	s_barrier_signal -1
	s_barrier_wait -1
	s_and_saveexec_b32 s40, s99
	s_cbranch_execz .LBB98_383
; %bb.382:                              ;   in Loop: Header=BB98_3 Depth=1
	ds_load_b32 v34, v56 offset:10112
	ds_load_b32 v35, v57
	s_wait_dscnt 0x0
	v_fma_f32 v29, -v34, v35, v29
.LBB98_383:                             ;   in Loop: Header=BB98_3 Depth=1
	s_or_b32 exec_lo, exec_lo, s40
	s_barrier_signal -1
	s_barrier_wait -1
	s_and_saveexec_b32 s40, s100
; %bb.384:                              ;   in Loop: Header=BB98_3 Depth=1
	v_xor_b32_e32 v34, 0x80000000, v29
	ds_store_b32 v57, v34
; %bb.385:                              ;   in Loop: Header=BB98_3 Depth=1
	s_or_b32 exec_lo, exec_lo, s40
	s_wait_dscnt 0x0
	s_barrier_signal -1
	s_barrier_wait -1
	s_and_saveexec_b32 s40, s101
	s_cbranch_execz .LBB98_387
; %bb.386:                              ;   in Loop: Header=BB98_3 Depth=1
	ds_load_b32 v34, v56 offset:9856
	ds_load_b32 v35, v57
	s_wait_dscnt 0x0
	v_fma_f32 v29, -v34, v35, v29
.LBB98_387:                             ;   in Loop: Header=BB98_3 Depth=1
	s_or_b32 exec_lo, exec_lo, s40
	s_barrier_signal -1
	s_barrier_wait -1
	s_and_saveexec_b32 s40, s102
; %bb.388:                              ;   in Loop: Header=BB98_3 Depth=1
	v_xor_b32_e32 v34, 0x80000000, v29
	ds_store_b32 v57, v34
; %bb.389:                              ;   in Loop: Header=BB98_3 Depth=1
	s_or_b32 exec_lo, exec_lo, s40
	s_wait_dscnt 0x0
	;; [unrolled: 20-line block ×3, first 2 shown]
	s_barrier_signal -1
	s_barrier_wait -1
	s_and_saveexec_b32 s40, vcc_hi
	s_cbranch_execz .LBB98_395
; %bb.394:                              ;   in Loop: Header=BB98_3 Depth=1
	ds_load_b32 v34, v56 offset:9344
	ds_load_b32 v35, v57
	s_wait_dscnt 0x0
	v_fma_f32 v29, -v34, v35, v29
.LBB98_395:                             ;   in Loop: Header=BB98_3 Depth=1
	s_or_b32 exec_lo, exec_lo, s40
	s_barrier_signal -1
	s_barrier_wait -1
	s_and_saveexec_b32 s40, s31
; %bb.396:                              ;   in Loop: Header=BB98_3 Depth=1
	v_xor_b32_e32 v34, 0x80000000, v29
	ds_store_b32 v57, v34
; %bb.397:                              ;   in Loop: Header=BB98_3 Depth=1
	s_or_b32 exec_lo, exec_lo, s40
	s_wait_dscnt 0x0
	s_barrier_signal -1
	s_barrier_wait -1
	s_and_saveexec_b32 s40, s33
	s_cbranch_execz .LBB98_399
; %bb.398:                              ;   in Loop: Header=BB98_3 Depth=1
	ds_load_b32 v34, v56 offset:9088
	ds_load_b32 v35, v57
	s_wait_dscnt 0x0
	v_fma_f32 v29, -v34, v35, v29
.LBB98_399:                             ;   in Loop: Header=BB98_3 Depth=1
	s_or_b32 exec_lo, exec_lo, s40
	s_barrier_signal -1
	s_barrier_wait -1
	s_and_saveexec_b32 s40, s34
; %bb.400:                              ;   in Loop: Header=BB98_3 Depth=1
	v_xor_b32_e32 v34, 0x80000000, v29
	ds_store_b32 v57, v34
; %bb.401:                              ;   in Loop: Header=BB98_3 Depth=1
	s_or_b32 exec_lo, exec_lo, s40
	s_wait_dscnt 0x0
	s_barrier_signal -1
	s_barrier_wait -1
	s_and_saveexec_b32 s40, s35
	;; [unrolled: 20-line block ×3, first 2 shown]
	s_cbranch_execz .LBB98_407
; %bb.406:                              ;   in Loop: Header=BB98_3 Depth=1
	ds_load_b32 v34, v3 offset:8576
	ds_load_b32 v35, v57
	s_wait_dscnt 0x0
	v_fma_f32 v29, -v34, v35, v29
.LBB98_407:                             ;   in Loop: Header=BB98_3 Depth=1
	s_or_b32 exec_lo, exec_lo, s40
	s_barrier_signal -1
	s_barrier_wait -1
	s_and_saveexec_b32 s40, s37
; %bb.408:                              ;   in Loop: Header=BB98_3 Depth=1
	v_xor_b32_e32 v34, 0x80000000, v29
	ds_store_b32 v57, v34
; %bb.409:                              ;   in Loop: Header=BB98_3 Depth=1
	s_or_b32 exec_lo, exec_lo, s40
	s_wait_dscnt 0x0
	s_barrier_signal -1
	s_barrier_wait -1
	s_barrier_signal -1
	s_barrier_wait -1
	s_and_saveexec_b32 s40, s5
; %bb.410:                              ;   in Loop: Header=BB98_3 Depth=1
	ds_store_b32 v60, v29 offset:12160
; %bb.411:                              ;   in Loop: Header=BB98_3 Depth=1
	s_or_b32 exec_lo, exec_lo, s40
	s_wait_dscnt 0x0
	s_barrier_signal -1
	s_barrier_wait -1
	s_barrier_signal -1
	s_barrier_wait -1
	s_and_saveexec_b32 s40, s38
	s_cbranch_execz .LBB98_413
; %bb.412:                              ;   in Loop: Header=BB98_3 Depth=1
	ds_load_b32 v29, v43 offset:10368
	s_wait_dscnt 0x0
	ds_store_b32 v45, v29 offset:8352
	ds_load_b32 v29, v43 offset:10372
	s_wait_dscnt 0x0
	ds_store_b32 v45, v29 offset:8608
	;; [unrolled: 3-line block ×8, first 2 shown]
.LBB98_413:                             ;   in Loop: Header=BB98_3 Depth=1
	s_or_b32 exec_lo, exec_lo, s40
	s_wait_dscnt 0x0
	s_barrier_signal -1
	s_barrier_wait -1
	s_and_saveexec_b32 s40, s11
	s_cbranch_execz .LBB98_415
; %bb.414:                              ;   in Loop: Header=BB98_3 Depth=1
	ds_load_b32 v29, v3 offset:10136
	ds_store_b32 v3, v28 offset:10140
	s_wait_dscnt 0x1
	ds_store_b64 v3, v[28:29] offset:9880
.LBB98_415:                             ;   in Loop: Header=BB98_3 Depth=1
	s_or_b32 exec_lo, exec_lo, s40
	v_mov_b32_e32 v29, 0
	s_wait_dscnt 0x0
	s_barrier_signal -1
	s_barrier_wait -1
	global_wb scope:SCOPE_DEV
	s_wait_storecnt 0x0
	global_inv scope:SCOPE_DEV
	s_and_saveexec_b32 s40, s2
	s_cbranch_execz .LBB98_419
; %bb.416:                              ;   in Loop: Header=BB98_3 Depth=1
	ds_load_b32 v29, v46 offset:9872
	ds_load_b32 v34, v48 offset:10136
	s_wait_dscnt 0x0
	v_fma_f32 v29, v29, v34, 0
	s_and_saveexec_b32 s41, s12
	s_cbranch_execz .LBB98_418
; %bb.417:                              ;   in Loop: Header=BB98_3 Depth=1
	ds_load_b32 v34, v45 offset:10128
	ds_load_b32 v35, v3 offset:10140
	s_wait_dscnt 0x0
	v_fmac_f32_e32 v29, v34, v35
.LBB98_418:                             ;   in Loop: Header=BB98_3 Depth=1
	s_or_b32 exec_lo, exec_lo, s41
.LBB98_419:                             ;   in Loop: Header=BB98_3 Depth=1
	s_delay_alu instid0(SALU_CYCLE_1)
	s_or_b32 exec_lo, exec_lo, s40
	s_and_saveexec_b32 s40, s88
; %bb.420:                              ;   in Loop: Header=BB98_3 Depth=1
	s_delay_alu instid0(VALU_DEP_1)
	v_xor_b32_e32 v34, 0x80000000, v29
	ds_store_b32 v44, v34
; %bb.421:                              ;   in Loop: Header=BB98_3 Depth=1
	s_or_b32 exec_lo, exec_lo, s40
	s_wait_loadcnt_dscnt 0x0
	s_barrier_signal -1
	s_barrier_wait -1
	s_and_saveexec_b32 s40, s89
	s_cbranch_execz .LBB98_423
; %bb.422:                              ;   in Loop: Header=BB98_3 Depth=1
	ds_load_b32 v34, v3 offset:9616
	ds_load_b32 v35, v44
	s_wait_dscnt 0x0
	v_fma_f32 v29, -v34, v35, v29
.LBB98_423:                             ;   in Loop: Header=BB98_3 Depth=1
	s_or_b32 exec_lo, exec_lo, s40
	s_barrier_signal -1
	s_barrier_wait -1
	s_and_saveexec_b32 s40, s89
; %bb.424:                              ;   in Loop: Header=BB98_3 Depth=1
	v_xor_b32_e32 v34, 0x80000000, v29
	ds_store_b32 v44, v34
; %bb.425:                              ;   in Loop: Header=BB98_3 Depth=1
	s_or_b32 exec_lo, exec_lo, s40
	s_wait_dscnt 0x0
	s_barrier_signal -1
	s_barrier_wait -1
	s_barrier_signal -1
	s_barrier_wait -1
	s_and_saveexec_b32 s40, s2
; %bb.426:                              ;   in Loop: Header=BB98_3 Depth=1
	ds_store_b32 v49, v29 offset:10128
; %bb.427:                              ;   in Loop: Header=BB98_3 Depth=1
	s_or_b32 exec_lo, exec_lo, s40
	s_wait_dscnt 0x0
	s_barrier_signal -1
	s_barrier_wait -1
	s_barrier_signal -1
	s_barrier_wait -1
	s_and_saveexec_b32 s40, s90
	s_cbranch_execz .LBB98_429
; %bb.428:                              ;   in Loop: Header=BB98_3 Depth=1
	ds_load_b32 v29, v47 offset:9872
	s_wait_dscnt 0x0
	ds_store_b32 v45, v29 offset:9368
	ds_load_b32 v29, v47 offset:9876
	s_wait_dscnt 0x0
	ds_store_b32 v45, v29 offset:9624
.LBB98_429:                             ;   in Loop: Header=BB98_3 Depth=1
	s_or_b32 exec_lo, exec_lo, s40
	s_wait_dscnt 0x0
	s_barrier_signal -1
	s_barrier_wait -1
	s_and_saveexec_b32 s40, s11
	s_cbranch_execz .LBB98_431
; %bb.430:                              ;   in Loop: Header=BB98_3 Depth=1
	ds_load_b32 v29, v3 offset:9616
	ds_store_b32 v3, v28 offset:9620
	s_wait_dscnt 0x1
	ds_store_b64 v3, v[28:29] offset:9360
.LBB98_431:                             ;   in Loop: Header=BB98_3 Depth=1
	s_or_b32 exec_lo, exec_lo, s40
	v_mov_b32_e32 v29, 0
	s_wait_dscnt 0x0
	s_barrier_signal -1
	s_barrier_wait -1
	global_wb scope:SCOPE_DEV
	s_wait_storecnt 0x0
	global_inv scope:SCOPE_DEV
	s_and_saveexec_b32 s40, s4
	s_cbranch_execz .LBB98_437
; %bb.432:                              ;   in Loop: Header=BB98_3 Depth=1
	ds_load_b32 v29, v52 offset:9344
	ds_load_b32 v34, v53 offset:10128
	s_wait_dscnt 0x0
	v_fma_f32 v29, v29, v34, 0
	s_and_saveexec_b32 s41, s13
	s_cbranch_execnz .LBB98_1197
; %bb.433:                              ;   in Loop: Header=BB98_3 Depth=1
	s_or_b32 exec_lo, exec_lo, s41
	s_and_saveexec_b32 s41, s14
	s_cbranch_execnz .LBB98_1198
.LBB98_434:                             ;   in Loop: Header=BB98_3 Depth=1
	s_or_b32 exec_lo, exec_lo, s41
	s_and_saveexec_b32 s41, s2
	s_cbranch_execz .LBB98_436
.LBB98_435:                             ;   in Loop: Header=BB98_3 Depth=1
	ds_load_b32 v34, v51 offset:10112
	ds_load_b32 v35, v3 offset:10140
	s_wait_dscnt 0x0
	v_fmac_f32_e32 v29, v34, v35
.LBB98_436:                             ;   in Loop: Header=BB98_3 Depth=1
	s_or_b32 exec_lo, exec_lo, s41
.LBB98_437:                             ;   in Loop: Header=BB98_3 Depth=1
	s_delay_alu instid0(SALU_CYCLE_1)
	s_or_b32 exec_lo, exec_lo, s40
	s_and_saveexec_b32 s40, s91
; %bb.438:                              ;   in Loop: Header=BB98_3 Depth=1
	s_delay_alu instid0(VALU_DEP_1)
	v_xor_b32_e32 v34, 0x80000000, v29
	ds_store_b32 v50, v34
; %bb.439:                              ;   in Loop: Header=BB98_3 Depth=1
	s_or_b32 exec_lo, exec_lo, s40
	s_wait_loadcnt_dscnt 0x0
	s_barrier_signal -1
	s_barrier_wait -1
	s_and_saveexec_b32 s40, s92
	s_cbranch_execz .LBB98_441
; %bb.440:                              ;   in Loop: Header=BB98_3 Depth=1
	ds_load_b32 v34, v52 offset:9088
	ds_load_b32 v35, v50
	s_wait_dscnt 0x0
	v_fma_f32 v29, -v34, v35, v29
.LBB98_441:                             ;   in Loop: Header=BB98_3 Depth=1
	s_or_b32 exec_lo, exec_lo, s40
	s_barrier_signal -1
	s_barrier_wait -1
	s_and_saveexec_b32 s40, s93
; %bb.442:                              ;   in Loop: Header=BB98_3 Depth=1
	v_xor_b32_e32 v34, 0x80000000, v29
	ds_store_b32 v50, v34
; %bb.443:                              ;   in Loop: Header=BB98_3 Depth=1
	s_or_b32 exec_lo, exec_lo, s40
	s_wait_dscnt 0x0
	s_barrier_signal -1
	s_barrier_wait -1
	s_and_saveexec_b32 s40, s94
	s_cbranch_execz .LBB98_445
; %bb.444:                              ;   in Loop: Header=BB98_3 Depth=1
	ds_load_b32 v34, v52 offset:8832
	ds_load_b32 v35, v50
	s_wait_dscnt 0x0
	v_fma_f32 v29, -v34, v35, v29
.LBB98_445:                             ;   in Loop: Header=BB98_3 Depth=1
	s_or_b32 exec_lo, exec_lo, s40
	s_barrier_signal -1
	s_barrier_wait -1
	s_and_saveexec_b32 s40, s95
; %bb.446:                              ;   in Loop: Header=BB98_3 Depth=1
	v_xor_b32_e32 v34, 0x80000000, v29
	ds_store_b32 v50, v34
; %bb.447:                              ;   in Loop: Header=BB98_3 Depth=1
	s_or_b32 exec_lo, exec_lo, s40
	s_wait_dscnt 0x0
	;; [unrolled: 20-line block ×3, first 2 shown]
	s_barrier_signal -1
	s_barrier_wait -1
	s_barrier_signal -1
	s_barrier_wait -1
	s_and_saveexec_b32 s40, s4
; %bb.452:                              ;   in Loop: Header=BB98_3 Depth=1
	ds_store_b32 v55, v29 offset:10112
; %bb.453:                              ;   in Loop: Header=BB98_3 Depth=1
	s_or_b32 exec_lo, exec_lo, s40
	s_wait_dscnt 0x0
	s_barrier_signal -1
	s_barrier_wait -1
	s_barrier_signal -1
	s_barrier_wait -1
	s_and_saveexec_b32 s40, s97
	s_cbranch_execz .LBB98_455
; %bb.454:                              ;   in Loop: Header=BB98_3 Depth=1
	ds_load_b32 v29, v54 offset:9344
	s_wait_dscnt 0x0
	ds_store_b32 v58, v29 offset:8336
	ds_load_b32 v29, v54 offset:9348
	s_wait_dscnt 0x0
	ds_store_b32 v58, v29 offset:8592
	ds_load_b32 v29, v54 offset:9352
	s_wait_dscnt 0x0
	ds_store_b32 v58, v29 offset:8848
	ds_load_b32 v29, v54 offset:9356
	s_wait_dscnt 0x0
	ds_store_b32 v58, v29 offset:9104
.LBB98_455:                             ;   in Loop: Header=BB98_3 Depth=1
	s_or_b32 exec_lo, exec_lo, s40
	s_wait_dscnt 0x0
	s_barrier_signal -1
	s_barrier_wait -1
	s_and_saveexec_b32 s40, s11
	s_cbranch_execz .LBB98_457
; %bb.456:                              ;   in Loop: Header=BB98_3 Depth=1
	ds_load_b32 v29, v3 offset:9096
	ds_store_b32 v3, v28 offset:9100
	s_wait_dscnt 0x1
	ds_store_b64 v3, v[28:29] offset:8840
.LBB98_457:                             ;   in Loop: Header=BB98_3 Depth=1
	s_or_b32 exec_lo, exec_lo, s40
	v_mov_b32_e32 v29, 0
	s_wait_dscnt 0x0
	s_barrier_signal -1
	s_barrier_wait -1
	global_wb scope:SCOPE_DEV
	s_wait_storecnt 0x0
	global_inv scope:SCOPE_DEV
	s_and_saveexec_b32 s40, s2
	s_cbranch_execz .LBB98_461
; %bb.458:                              ;   in Loop: Header=BB98_3 Depth=1
	ds_load_b32 v29, v46 offset:8832
	ds_load_b32 v34, v48 offset:9096
	s_wait_dscnt 0x0
	v_fma_f32 v29, v29, v34, 0
	s_and_saveexec_b32 s41, s12
	s_cbranch_execz .LBB98_460
; %bb.459:                              ;   in Loop: Header=BB98_3 Depth=1
	ds_load_b32 v34, v58 offset:9088
	ds_load_b32 v35, v3 offset:9100
	s_wait_dscnt 0x0
	v_fmac_f32_e32 v29, v34, v35
.LBB98_460:                             ;   in Loop: Header=BB98_3 Depth=1
	s_or_b32 exec_lo, exec_lo, s41
.LBB98_461:                             ;   in Loop: Header=BB98_3 Depth=1
	s_delay_alu instid0(SALU_CYCLE_1)
	s_or_b32 exec_lo, exec_lo, s40
	s_and_saveexec_b32 s40, s88
; %bb.462:                              ;   in Loop: Header=BB98_3 Depth=1
	s_delay_alu instid0(VALU_DEP_1)
	v_xor_b32_e32 v34, 0x80000000, v29
	ds_store_b32 v44, v34
; %bb.463:                              ;   in Loop: Header=BB98_3 Depth=1
	s_or_b32 exec_lo, exec_lo, s40
	s_wait_loadcnt_dscnt 0x0
	s_barrier_signal -1
	s_barrier_wait -1
	s_and_saveexec_b32 s40, s89
	s_cbranch_execz .LBB98_465
; %bb.464:                              ;   in Loop: Header=BB98_3 Depth=1
	ds_load_b32 v34, v3 offset:8576
	ds_load_b32 v35, v44
	s_wait_dscnt 0x0
	v_fma_f32 v29, -v34, v35, v29
.LBB98_465:                             ;   in Loop: Header=BB98_3 Depth=1
	s_or_b32 exec_lo, exec_lo, s40
	s_barrier_signal -1
	s_barrier_wait -1
	s_and_saveexec_b32 s40, s89
; %bb.466:                              ;   in Loop: Header=BB98_3 Depth=1
	v_xor_b32_e32 v34, 0x80000000, v29
	ds_store_b32 v44, v34
; %bb.467:                              ;   in Loop: Header=BB98_3 Depth=1
	s_or_b32 exec_lo, exec_lo, s40
	s_wait_dscnt 0x0
	s_barrier_signal -1
	s_barrier_wait -1
	s_barrier_signal -1
	s_barrier_wait -1
	s_and_saveexec_b32 s40, s2
; %bb.468:                              ;   in Loop: Header=BB98_3 Depth=1
	ds_store_b32 v49, v29 offset:9088
; %bb.469:                              ;   in Loop: Header=BB98_3 Depth=1
	s_or_b32 exec_lo, exec_lo, s40
	s_wait_dscnt 0x0
	s_barrier_signal -1
	s_barrier_wait -1
	s_barrier_signal -1
	s_barrier_wait -1
	s_and_saveexec_b32 s40, s90
	s_cbranch_execz .LBB98_471
; %bb.470:                              ;   in Loop: Header=BB98_3 Depth=1
	ds_load_b32 v29, v61 offset:8832
	s_wait_dscnt 0x0
	ds_store_b32 v58, v29 offset:8328
	ds_load_b32 v29, v61 offset:8836
	s_wait_dscnt 0x0
	ds_store_b32 v58, v29 offset:8584
.LBB98_471:                             ;   in Loop: Header=BB98_3 Depth=1
	s_or_b32 exec_lo, exec_lo, s40
	s_wait_dscnt 0x0
	s_barrier_signal -1
	s_barrier_wait -1
	s_and_saveexec_b32 s40, s11
	s_cbranch_execz .LBB98_473
; %bb.472:                              ;   in Loop: Header=BB98_3 Depth=1
	ds_load_b32 v29, v3 offset:8576
	ds_store_b32 v3, v28 offset:8580
	s_wait_dscnt 0x1
	ds_store_b64 v3, v[28:29] offset:8320
.LBB98_473:                             ;   in Loop: Header=BB98_3 Depth=1
	s_or_b32 exec_lo, exec_lo, s40
	v_mov_b32_e32 v29, 0
	s_wait_dscnt 0x0
	s_barrier_signal -1
	s_barrier_wait -1
	global_wb scope:SCOPE_DEV
	s_wait_storecnt 0x0
	global_inv scope:SCOPE_DEV
	s_and_saveexec_b32 s61, s7
	s_cbranch_execz .LBB98_535
; %bb.474:                              ;   in Loop: Header=BB98_3 Depth=1
	ds_load_b32 v29, v64 offset:8192
	ds_load_b32 v34, v68 offset:16256
	s_wait_dscnt 0x0
	v_fma_f32 v29, v29, v34, 0
	s_mov_b32 s40, exec_lo
	v_readlane_b32 s41, v89, 25
	s_and_b32 s41, s40, s41
	s_delay_alu instid0(SALU_CYCLE_1)
	s_mov_b32 exec_lo, s41
	s_cbranch_execz .LBB98_476
; %bb.475:                              ;   in Loop: Header=BB98_3 Depth=1
	ds_load_b32 v34, v64 offset:8448
	ds_load_b32 v35, v68 offset:16260
	s_wait_dscnt 0x0
	v_fmac_f32_e32 v29, v34, v35
.LBB98_476:                             ;   in Loop: Header=BB98_3 Depth=1
	s_or_b32 exec_lo, exec_lo, s40
	s_delay_alu instid0(SALU_CYCLE_1) | instskip(SKIP_2) | instid1(SALU_CYCLE_1)
	s_mov_b32 s40, exec_lo
	v_readlane_b32 s41, v89, 26
	s_and_b32 s41, s40, s41
	s_mov_b32 exec_lo, s41
	s_cbranch_execz .LBB98_478
; %bb.477:                              ;   in Loop: Header=BB98_3 Depth=1
	ds_load_b32 v34, v64 offset:8704
	ds_load_b32 v35, v68 offset:16264
	s_wait_dscnt 0x0
	v_fmac_f32_e32 v29, v34, v35
.LBB98_478:                             ;   in Loop: Header=BB98_3 Depth=1
	s_or_b32 exec_lo, exec_lo, s40
	s_delay_alu instid0(SALU_CYCLE_1) | instskip(SKIP_2) | instid1(SALU_CYCLE_1)
	s_mov_b32 s40, exec_lo
	v_readlane_b32 s41, v89, 27
	s_and_b32 s41, s40, s41
	;; [unrolled: 13-line block ×22, first 2 shown]
	s_mov_b32 exec_lo, s41
	s_cbranch_execz .LBB98_520
; %bb.519:                              ;   in Loop: Header=BB98_3 Depth=1
	ds_load_b32 v34, v64 offset:14080
	ds_load_b32 v35, v68 offset:16348
	s_wait_dscnt 0x0
	v_fmac_f32_e32 v29, v34, v35
.LBB98_520:                             ;   in Loop: Header=BB98_3 Depth=1
	s_or_b32 exec_lo, exec_lo, s40
	s_and_saveexec_b32 s40, s6
	s_cbranch_execz .LBB98_522
; %bb.521:                              ;   in Loop: Header=BB98_3 Depth=1
	ds_load_b32 v34, v64 offset:14336
	ds_load_b32 v35, v68 offset:16352
	s_wait_dscnt 0x0
	v_fmac_f32_e32 v29, v34, v35
.LBB98_522:                             ;   in Loop: Header=BB98_3 Depth=1
	s_or_b32 exec_lo, exec_lo, s40
	s_delay_alu instid0(SALU_CYCLE_1) | instskip(SKIP_2) | instid1(SALU_CYCLE_1)
	s_mov_b32 s40, exec_lo
	v_readlane_b32 s41, v89, 15
	s_and_b32 s41, s40, s41
	s_mov_b32 exec_lo, s41
	s_cbranch_execz .LBB98_524
; %bb.523:                              ;   in Loop: Header=BB98_3 Depth=1
	ds_load_b32 v34, v64 offset:14592
	ds_load_b32 v35, v68 offset:16356
	s_wait_dscnt 0x0
	v_fmac_f32_e32 v29, v34, v35
.LBB98_524:                             ;   in Loop: Header=BB98_3 Depth=1
	s_or_b32 exec_lo, exec_lo, s40
	s_delay_alu instid0(SALU_CYCLE_1) | instskip(SKIP_2) | instid1(SALU_CYCLE_1)
	s_mov_b32 s40, exec_lo
	v_readlane_b32 s41, v89, 17
	s_and_b32 s41, s40, s41
	s_mov_b32 exec_lo, s41
	;; [unrolled: 13-line block ×5, first 2 shown]
	s_cbranch_execnz .LBB98_1199
; %bb.531:                              ;   in Loop: Header=BB98_3 Depth=1
	s_or_b32 exec_lo, exec_lo, s40
	s_and_saveexec_b32 s40, s5
	s_cbranch_execnz .LBB98_1200
.LBB98_532:                             ;   in Loop: Header=BB98_3 Depth=1
	s_or_b32 exec_lo, exec_lo, s40
	s_and_saveexec_b32 s40, s18
	s_cbranch_execz .LBB98_534
.LBB98_533:                             ;   in Loop: Header=BB98_3 Depth=1
	ds_load_b32 v34, v7 offset:16128
	ds_load_b32 v35, v3 offset:16380
	s_wait_dscnt 0x0
	v_fmac_f32_e32 v29, v34, v35
.LBB98_534:                             ;   in Loop: Header=BB98_3 Depth=1
	s_or_b32 exec_lo, exec_lo, s40
.LBB98_535:                             ;   in Loop: Header=BB98_3 Depth=1
	s_delay_alu instid0(SALU_CYCLE_1) | instskip(NEXT) | instid1(SALU_CYCLE_1)
	s_or_b32 exec_lo, exec_lo, s61
	s_mov_b32 s40, exec_lo
	v_readlane_b32 s41, v91, 6
	s_and_b32 s41, s40, s41
	s_delay_alu instid0(SALU_CYCLE_1)
	s_mov_b32 exec_lo, s41
; %bb.536:                              ;   in Loop: Header=BB98_3 Depth=1
	v_xor_b32_e32 v34, 0x80000000, v29
	ds_store_b32 v67, v34
; %bb.537:                              ;   in Loop: Header=BB98_3 Depth=1
	s_or_b32 exec_lo, exec_lo, s40
	s_wait_loadcnt_dscnt 0x0
	s_barrier_signal -1
	s_barrier_wait -1
	s_mov_b32 s40, exec_lo
	v_readlane_b32 s41, v91, 7
	s_and_b32 s41, s40, s41
	s_delay_alu instid0(SALU_CYCLE_1)
	s_mov_b32 exec_lo, s41
	s_cbranch_execz .LBB98_539
; %bb.538:                              ;   in Loop: Header=BB98_3 Depth=1
	ds_load_b32 v34, v64 offset:7936
	ds_load_b32 v35, v67
	s_wait_dscnt 0x0
	v_fma_f32 v29, -v34, v35, v29
.LBB98_539:                             ;   in Loop: Header=BB98_3 Depth=1
	s_or_b32 exec_lo, exec_lo, s40
	s_barrier_signal -1
	s_barrier_wait -1
	s_mov_b32 s40, exec_lo
	v_readlane_b32 s41, v91, 8
	s_and_b32 s41, s40, s41
	s_delay_alu instid0(SALU_CYCLE_1)
	s_mov_b32 exec_lo, s41
; %bb.540:                              ;   in Loop: Header=BB98_3 Depth=1
	v_xor_b32_e32 v34, 0x80000000, v29
	ds_store_b32 v67, v34
; %bb.541:                              ;   in Loop: Header=BB98_3 Depth=1
	s_or_b32 exec_lo, exec_lo, s40
	s_wait_dscnt 0x0
	s_barrier_signal -1
	s_barrier_wait -1
	s_mov_b32 s40, exec_lo
	v_readlane_b32 s41, v91, 9
	s_and_b32 s41, s40, s41
	s_delay_alu instid0(SALU_CYCLE_1)
	s_mov_b32 exec_lo, s41
	s_cbranch_execz .LBB98_543
; %bb.542:                              ;   in Loop: Header=BB98_3 Depth=1
	ds_load_b32 v34, v64 offset:7680
	ds_load_b32 v35, v67
	s_wait_dscnt 0x0
	v_fma_f32 v29, -v34, v35, v29
.LBB98_543:                             ;   in Loop: Header=BB98_3 Depth=1
	s_or_b32 exec_lo, exec_lo, s40
	s_barrier_signal -1
	s_barrier_wait -1
	s_mov_b32 s40, exec_lo
	v_readlane_b32 s41, v91, 10
	s_and_b32 s41, s40, s41
	s_delay_alu instid0(SALU_CYCLE_1)
	s_mov_b32 exec_lo, s41
; %bb.544:                              ;   in Loop: Header=BB98_3 Depth=1
	v_xor_b32_e32 v34, 0x80000000, v29
	ds_store_b32 v67, v34
; %bb.545:                              ;   in Loop: Header=BB98_3 Depth=1
	s_or_b32 exec_lo, exec_lo, s40
	s_wait_dscnt 0x0
	;; [unrolled: 28-line block ×30, first 2 shown]
	s_barrier_signal -1
	s_barrier_wait -1
	s_and_saveexec_b32 s40, s82
	s_cbranch_execz .LBB98_659
; %bb.658:                              ;   in Loop: Header=BB98_3 Depth=1
	ds_load_b32 v34, v3 offset:256
	ds_load_b32 v35, v67
	s_wait_dscnt 0x0
	v_fma_f32 v29, -v34, v35, v29
.LBB98_659:                             ;   in Loop: Header=BB98_3 Depth=1
	s_or_b32 exec_lo, exec_lo, s40
	s_barrier_signal -1
	s_barrier_wait -1
	s_and_saveexec_b32 s40, s82
; %bb.660:                              ;   in Loop: Header=BB98_3 Depth=1
	v_xor_b32_e32 v34, 0x80000000, v29
	ds_store_b32 v67, v34
; %bb.661:                              ;   in Loop: Header=BB98_3 Depth=1
	s_or_b32 exec_lo, exec_lo, s40
	s_wait_dscnt 0x0
	s_barrier_signal -1
	s_barrier_wait -1
	s_barrier_signal -1
	s_barrier_wait -1
	s_and_saveexec_b32 s40, s7
; %bb.662:                              ;   in Loop: Header=BB98_3 Depth=1
	ds_store_b32 v69, v29 offset:16128
; %bb.663:                              ;   in Loop: Header=BB98_3 Depth=1
	s_or_b32 exec_lo, exec_lo, s40
	s_wait_dscnt 0x0
	s_barrier_signal -1
	s_barrier_wait -1
	s_barrier_signal -1
	s_barrier_wait -1
	s_mov_b32 s40, exec_lo
	v_readlane_b32 s41, v89, 3
	s_and_b32 s41, s40, s41
	s_delay_alu instid0(SALU_CYCLE_1)
	s_mov_b32 exec_lo, s41
	s_cbranch_execz .LBB98_665
; %bb.664:                              ;   in Loop: Header=BB98_3 Depth=1
	ds_load_b32 v29, v9 offset:8192
	s_wait_dscnt 0x0
	ds_store_b32 v38, v29 offset:128
	ds_load_b32 v29, v9 offset:8196
	s_wait_dscnt 0x0
	ds_store_b32 v38, v29 offset:384
	ds_load_b32 v29, v9 offset:8200
	s_wait_dscnt 0x0
	ds_store_b32 v38, v29 offset:640
	ds_load_b32 v29, v9 offset:8204
	s_wait_dscnt 0x0
	ds_store_b32 v38, v29 offset:896
	ds_load_b32 v29, v9 offset:8208
	s_wait_dscnt 0x0
	ds_store_b32 v38, v29 offset:1152
	ds_load_b32 v29, v9 offset:8212
	s_wait_dscnt 0x0
	ds_store_b32 v38, v29 offset:1408
	ds_load_b32 v29, v9 offset:8216
	s_wait_dscnt 0x0
	ds_store_b32 v38, v29 offset:1664
	ds_load_b32 v29, v9 offset:8220
	s_wait_dscnt 0x0
	ds_store_b32 v38, v29 offset:1920
	ds_load_b32 v29, v9 offset:8224
	s_wait_dscnt 0x0
	ds_store_b32 v38, v29 offset:2176
	ds_load_b32 v29, v9 offset:8228
	s_wait_dscnt 0x0
	ds_store_b32 v38, v29 offset:2432
	ds_load_b32 v29, v9 offset:8232
	s_wait_dscnt 0x0
	ds_store_b32 v38, v29 offset:2688
	ds_load_b32 v29, v9 offset:8236
	s_wait_dscnt 0x0
	ds_store_b32 v38, v29 offset:2944
	ds_load_b32 v29, v9 offset:8240
	s_wait_dscnt 0x0
	ds_store_b32 v38, v29 offset:3200
	ds_load_b32 v29, v9 offset:8244
	s_wait_dscnt 0x0
	ds_store_b32 v38, v29 offset:3456
	ds_load_b32 v29, v9 offset:8248
	s_wait_dscnt 0x0
	ds_store_b32 v38, v29 offset:3712
	ds_load_b32 v29, v9 offset:8252
	s_wait_dscnt 0x0
	ds_store_b32 v38, v29 offset:3968
	ds_load_b32 v29, v9 offset:8256
	s_wait_dscnt 0x0
	ds_store_b32 v38, v29 offset:4224
	ds_load_b32 v29, v9 offset:8260
	s_wait_dscnt 0x0
	ds_store_b32 v38, v29 offset:4480
	ds_load_b32 v29, v9 offset:8264
	s_wait_dscnt 0x0
	ds_store_b32 v38, v29 offset:4736
	ds_load_b32 v29, v9 offset:8268
	s_wait_dscnt 0x0
	ds_store_b32 v38, v29 offset:4992
	ds_load_b32 v29, v9 offset:8272
	s_wait_dscnt 0x0
	ds_store_b32 v38, v29 offset:5248
	ds_load_b32 v29, v9 offset:8276
	s_wait_dscnt 0x0
	ds_store_b32 v38, v29 offset:5504
	ds_load_b32 v29, v9 offset:8280
	s_wait_dscnt 0x0
	ds_store_b32 v38, v29 offset:5760
	ds_load_b32 v29, v9 offset:8284
	s_wait_dscnt 0x0
	ds_store_b32 v38, v29 offset:6016
	ds_load_b32 v29, v9 offset:8288
	s_wait_dscnt 0x0
	ds_store_b32 v38, v29 offset:6272
	ds_load_b32 v29, v9 offset:8292
	s_wait_dscnt 0x0
	ds_store_b32 v38, v29 offset:6528
	ds_load_b32 v29, v9 offset:8296
	s_wait_dscnt 0x0
	ds_store_b32 v38, v29 offset:6784
	ds_load_b32 v29, v9 offset:8300
	s_wait_dscnt 0x0
	ds_store_b32 v38, v29 offset:7040
	ds_load_b32 v29, v9 offset:8304
	s_wait_dscnt 0x0
	ds_store_b32 v38, v29 offset:7296
	ds_load_b32 v29, v9 offset:8308
	s_wait_dscnt 0x0
	ds_store_b32 v38, v29 offset:7552
	ds_load_b32 v29, v9 offset:8312
	s_wait_dscnt 0x0
	ds_store_b32 v38, v29 offset:7808
	ds_load_b32 v29, v9 offset:8316
	s_wait_dscnt 0x0
	ds_store_b32 v38, v29 offset:8064
.LBB98_665:                             ;   in Loop: Header=BB98_3 Depth=1
	s_or_b32 exec_lo, exec_lo, s40
	s_wait_dscnt 0x0
	s_barrier_signal -1
	s_barrier_wait -1
	s_and_saveexec_b32 s40, s11
	s_cbranch_execz .LBB98_667
; %bb.666:                              ;   in Loop: Header=BB98_3 Depth=1
	ds_load_b32 v29, v3 offset:8056
	ds_store_b32 v3, v28 offset:8060
	s_wait_dscnt 0x1
	ds_store_b64 v3, v[28:29] offset:7800
.LBB98_667:                             ;   in Loop: Header=BB98_3 Depth=1
	s_or_b32 exec_lo, exec_lo, s40
	v_mov_b32_e32 v29, 0
	s_wait_dscnt 0x0
	s_barrier_signal -1
	s_barrier_wait -1
	global_wb scope:SCOPE_DEV
	s_wait_storecnt 0x0
	global_inv scope:SCOPE_DEV
	s_and_saveexec_b32 s40, s2
	s_cbranch_execz .LBB98_671
; %bb.668:                              ;   in Loop: Header=BB98_3 Depth=1
	ds_load_b32 v29, v46 offset:7792
	ds_load_b32 v34, v48 offset:8056
	s_wait_dscnt 0x0
	v_fma_f32 v29, v29, v34, 0
	s_and_saveexec_b32 s41, s12
	s_cbranch_execz .LBB98_670
; %bb.669:                              ;   in Loop: Header=BB98_3 Depth=1
	ds_load_b32 v34, v7 offset:8048
	ds_load_b32 v35, v3 offset:8060
	s_wait_dscnt 0x0
	v_fmac_f32_e32 v29, v34, v35
.LBB98_670:                             ;   in Loop: Header=BB98_3 Depth=1
	s_or_b32 exec_lo, exec_lo, s41
.LBB98_671:                             ;   in Loop: Header=BB98_3 Depth=1
	s_delay_alu instid0(SALU_CYCLE_1)
	s_or_b32 exec_lo, exec_lo, s40
	s_and_saveexec_b32 s40, s88
; %bb.672:                              ;   in Loop: Header=BB98_3 Depth=1
	s_delay_alu instid0(VALU_DEP_1)
	v_xor_b32_e32 v34, 0x80000000, v29
	ds_store_b32 v44, v34
; %bb.673:                              ;   in Loop: Header=BB98_3 Depth=1
	s_or_b32 exec_lo, exec_lo, s40
	s_wait_loadcnt_dscnt 0x0
	s_barrier_signal -1
	s_barrier_wait -1
	s_and_saveexec_b32 s40, s89
	s_cbranch_execz .LBB98_675
; %bb.674:                              ;   in Loop: Header=BB98_3 Depth=1
	ds_load_b32 v34, v3 offset:7536
	ds_load_b32 v35, v44
	s_wait_dscnt 0x0
	v_fma_f32 v29, -v34, v35, v29
.LBB98_675:                             ;   in Loop: Header=BB98_3 Depth=1
	s_or_b32 exec_lo, exec_lo, s40
	s_barrier_signal -1
	s_barrier_wait -1
	s_and_saveexec_b32 s40, s89
; %bb.676:                              ;   in Loop: Header=BB98_3 Depth=1
	v_xor_b32_e32 v34, 0x80000000, v29
	ds_store_b32 v44, v34
; %bb.677:                              ;   in Loop: Header=BB98_3 Depth=1
	s_or_b32 exec_lo, exec_lo, s40
	s_wait_dscnt 0x0
	s_barrier_signal -1
	s_barrier_wait -1
	s_barrier_signal -1
	s_barrier_wait -1
	s_and_saveexec_b32 s40, s2
; %bb.678:                              ;   in Loop: Header=BB98_3 Depth=1
	ds_store_b32 v49, v29 offset:8048
; %bb.679:                              ;   in Loop: Header=BB98_3 Depth=1
	s_or_b32 exec_lo, exec_lo, s40
	s_wait_dscnt 0x0
	s_barrier_signal -1
	s_barrier_wait -1
	s_barrier_signal -1
	s_barrier_wait -1
	s_and_saveexec_b32 s40, s90
	s_cbranch_execz .LBB98_681
; %bb.680:                              ;   in Loop: Header=BB98_3 Depth=1
	ds_load_b32 v29, v9 offset:7792
	s_wait_dscnt 0x0
	ds_store_b32 v7, v29 offset:7288
	ds_load_b32 v29, v9 offset:7796
	s_wait_dscnt 0x0
	ds_store_b32 v7, v29 offset:7544
.LBB98_681:                             ;   in Loop: Header=BB98_3 Depth=1
	s_or_b32 exec_lo, exec_lo, s40
	s_wait_dscnt 0x0
	s_barrier_signal -1
	s_barrier_wait -1
	s_and_saveexec_b32 s40, s11
	s_cbranch_execz .LBB98_683
; %bb.682:                              ;   in Loop: Header=BB98_3 Depth=1
	ds_load_b32 v29, v3 offset:7536
	ds_store_b32 v3, v28 offset:7540
	s_wait_dscnt 0x1
	ds_store_b64 v3, v[28:29] offset:7280
.LBB98_683:                             ;   in Loop: Header=BB98_3 Depth=1
	s_or_b32 exec_lo, exec_lo, s40
	v_mov_b32_e32 v29, 0
	s_wait_dscnt 0x0
	s_barrier_signal -1
	s_barrier_wait -1
	global_wb scope:SCOPE_DEV
	s_wait_storecnt 0x0
	global_inv scope:SCOPE_DEV
	s_and_saveexec_b32 s40, s4
	s_cbranch_execz .LBB98_689
; %bb.684:                              ;   in Loop: Header=BB98_3 Depth=1
	ds_load_b32 v29, v52 offset:7264
	ds_load_b32 v34, v53 offset:8048
	s_wait_dscnt 0x0
	v_fma_f32 v29, v29, v34, 0
	s_and_saveexec_b32 s41, s13
	s_cbranch_execnz .LBB98_1201
; %bb.685:                              ;   in Loop: Header=BB98_3 Depth=1
	s_or_b32 exec_lo, exec_lo, s41
	s_and_saveexec_b32 s41, s14
	s_cbranch_execnz .LBB98_1202
.LBB98_686:                             ;   in Loop: Header=BB98_3 Depth=1
	s_or_b32 exec_lo, exec_lo, s41
	s_and_saveexec_b32 s41, s2
	s_cbranch_execz .LBB98_688
.LBB98_687:                             ;   in Loop: Header=BB98_3 Depth=1
	ds_load_b32 v34, v38 offset:8032
	ds_load_b32 v35, v3 offset:8060
	s_wait_dscnt 0x0
	v_fmac_f32_e32 v29, v34, v35
.LBB98_688:                             ;   in Loop: Header=BB98_3 Depth=1
	s_or_b32 exec_lo, exec_lo, s41
.LBB98_689:                             ;   in Loop: Header=BB98_3 Depth=1
	s_delay_alu instid0(SALU_CYCLE_1)
	s_or_b32 exec_lo, exec_lo, s40
	s_and_saveexec_b32 s40, s91
; %bb.690:                              ;   in Loop: Header=BB98_3 Depth=1
	s_delay_alu instid0(VALU_DEP_1)
	v_xor_b32_e32 v34, 0x80000000, v29
	ds_store_b32 v50, v34
; %bb.691:                              ;   in Loop: Header=BB98_3 Depth=1
	s_or_b32 exec_lo, exec_lo, s40
	s_wait_loadcnt_dscnt 0x0
	s_barrier_signal -1
	s_barrier_wait -1
	s_and_saveexec_b32 s40, s92
	s_cbranch_execz .LBB98_693
; %bb.692:                              ;   in Loop: Header=BB98_3 Depth=1
	ds_load_b32 v34, v52 offset:7008
	ds_load_b32 v35, v50
	s_wait_dscnt 0x0
	v_fma_f32 v29, -v34, v35, v29
.LBB98_693:                             ;   in Loop: Header=BB98_3 Depth=1
	s_or_b32 exec_lo, exec_lo, s40
	s_barrier_signal -1
	s_barrier_wait -1
	s_and_saveexec_b32 s40, s93
; %bb.694:                              ;   in Loop: Header=BB98_3 Depth=1
	v_xor_b32_e32 v34, 0x80000000, v29
	ds_store_b32 v50, v34
; %bb.695:                              ;   in Loop: Header=BB98_3 Depth=1
	s_or_b32 exec_lo, exec_lo, s40
	s_wait_dscnt 0x0
	s_barrier_signal -1
	s_barrier_wait -1
	s_and_saveexec_b32 s40, s94
	s_cbranch_execz .LBB98_697
; %bb.696:                              ;   in Loop: Header=BB98_3 Depth=1
	ds_load_b32 v34, v52 offset:6752
	ds_load_b32 v35, v50
	s_wait_dscnt 0x0
	v_fma_f32 v29, -v34, v35, v29
.LBB98_697:                             ;   in Loop: Header=BB98_3 Depth=1
	s_or_b32 exec_lo, exec_lo, s40
	s_barrier_signal -1
	s_barrier_wait -1
	s_and_saveexec_b32 s40, s95
; %bb.698:                              ;   in Loop: Header=BB98_3 Depth=1
	v_xor_b32_e32 v34, 0x80000000, v29
	ds_store_b32 v50, v34
; %bb.699:                              ;   in Loop: Header=BB98_3 Depth=1
	s_or_b32 exec_lo, exec_lo, s40
	s_wait_dscnt 0x0
	;; [unrolled: 20-line block ×3, first 2 shown]
	s_barrier_signal -1
	s_barrier_wait -1
	s_barrier_signal -1
	s_barrier_wait -1
	s_and_saveexec_b32 s40, s4
; %bb.704:                              ;   in Loop: Header=BB98_3 Depth=1
	ds_store_b32 v55, v29 offset:8032
; %bb.705:                              ;   in Loop: Header=BB98_3 Depth=1
	s_or_b32 exec_lo, exec_lo, s40
	s_wait_dscnt 0x0
	s_barrier_signal -1
	s_barrier_wait -1
	s_barrier_signal -1
	s_barrier_wait -1
	s_and_saveexec_b32 s40, s97
	s_cbranch_execz .LBB98_707
; %bb.706:                              ;   in Loop: Header=BB98_3 Depth=1
	ds_load_b32 v29, v39 offset:7264
	s_wait_dscnt 0x0
	ds_store_b32 v40, v29 offset:6256
	ds_load_b32 v29, v39 offset:7268
	s_wait_dscnt 0x0
	ds_store_b32 v40, v29 offset:6512
	;; [unrolled: 3-line block ×4, first 2 shown]
.LBB98_707:                             ;   in Loop: Header=BB98_3 Depth=1
	s_or_b32 exec_lo, exec_lo, s40
	s_wait_dscnt 0x0
	s_barrier_signal -1
	s_barrier_wait -1
	s_and_saveexec_b32 s40, s11
	s_cbranch_execz .LBB98_709
; %bb.708:                              ;   in Loop: Header=BB98_3 Depth=1
	ds_load_b32 v29, v3 offset:7016
	ds_store_b32 v3, v28 offset:7020
	s_wait_dscnt 0x1
	ds_store_b64 v3, v[28:29] offset:6760
.LBB98_709:                             ;   in Loop: Header=BB98_3 Depth=1
	s_or_b32 exec_lo, exec_lo, s40
	v_mov_b32_e32 v29, 0
	s_wait_dscnt 0x0
	s_barrier_signal -1
	s_barrier_wait -1
	global_wb scope:SCOPE_DEV
	s_wait_storecnt 0x0
	global_inv scope:SCOPE_DEV
	s_and_saveexec_b32 s40, s2
	s_cbranch_execz .LBB98_713
; %bb.710:                              ;   in Loop: Header=BB98_3 Depth=1
	ds_load_b32 v29, v46 offset:6752
	ds_load_b32 v34, v48 offset:7016
	s_wait_dscnt 0x0
	v_fma_f32 v29, v29, v34, 0
	s_and_saveexec_b32 s41, s12
	s_cbranch_execz .LBB98_712
; %bb.711:                              ;   in Loop: Header=BB98_3 Depth=1
	ds_load_b32 v34, v40 offset:7008
	ds_load_b32 v35, v3 offset:7020
	s_wait_dscnt 0x0
	v_fmac_f32_e32 v29, v34, v35
.LBB98_712:                             ;   in Loop: Header=BB98_3 Depth=1
	s_or_b32 exec_lo, exec_lo, s41
.LBB98_713:                             ;   in Loop: Header=BB98_3 Depth=1
	s_delay_alu instid0(SALU_CYCLE_1)
	s_or_b32 exec_lo, exec_lo, s40
	s_and_saveexec_b32 s40, s88
; %bb.714:                              ;   in Loop: Header=BB98_3 Depth=1
	s_delay_alu instid0(VALU_DEP_1)
	v_xor_b32_e32 v34, 0x80000000, v29
	ds_store_b32 v44, v34
; %bb.715:                              ;   in Loop: Header=BB98_3 Depth=1
	s_or_b32 exec_lo, exec_lo, s40
	s_wait_loadcnt_dscnt 0x0
	s_barrier_signal -1
	s_barrier_wait -1
	s_and_saveexec_b32 s40, s89
	s_cbranch_execz .LBB98_717
; %bb.716:                              ;   in Loop: Header=BB98_3 Depth=1
	ds_load_b32 v34, v3 offset:6496
	ds_load_b32 v35, v44
	s_wait_dscnt 0x0
	v_fma_f32 v29, -v34, v35, v29
.LBB98_717:                             ;   in Loop: Header=BB98_3 Depth=1
	s_or_b32 exec_lo, exec_lo, s40
	s_barrier_signal -1
	s_barrier_wait -1
	s_and_saveexec_b32 s40, s89
; %bb.718:                              ;   in Loop: Header=BB98_3 Depth=1
	v_xor_b32_e32 v34, 0x80000000, v29
	ds_store_b32 v44, v34
; %bb.719:                              ;   in Loop: Header=BB98_3 Depth=1
	s_or_b32 exec_lo, exec_lo, s40
	s_wait_dscnt 0x0
	s_barrier_signal -1
	s_barrier_wait -1
	s_barrier_signal -1
	s_barrier_wait -1
	s_and_saveexec_b32 s40, s2
; %bb.720:                              ;   in Loop: Header=BB98_3 Depth=1
	ds_store_b32 v49, v29 offset:7008
; %bb.721:                              ;   in Loop: Header=BB98_3 Depth=1
	s_or_b32 exec_lo, exec_lo, s40
	s_wait_dscnt 0x0
	s_barrier_signal -1
	s_barrier_wait -1
	s_barrier_signal -1
	s_barrier_wait -1
	s_and_saveexec_b32 s40, s90
	s_cbranch_execz .LBB98_723
; %bb.722:                              ;   in Loop: Header=BB98_3 Depth=1
	ds_load_b32 v29, v41 offset:6752
	s_wait_dscnt 0x0
	ds_store_b32 v40, v29 offset:6248
	ds_load_b32 v29, v41 offset:6756
	s_wait_dscnt 0x0
	ds_store_b32 v40, v29 offset:6504
.LBB98_723:                             ;   in Loop: Header=BB98_3 Depth=1
	s_or_b32 exec_lo, exec_lo, s40
	s_wait_dscnt 0x0
	s_barrier_signal -1
	s_barrier_wait -1
	s_and_saveexec_b32 s40, s11
	s_cbranch_execz .LBB98_725
; %bb.724:                              ;   in Loop: Header=BB98_3 Depth=1
	ds_load_b32 v29, v3 offset:6496
	ds_store_b32 v3, v28 offset:6500
	s_wait_dscnt 0x1
	ds_store_b64 v3, v[28:29] offset:6240
.LBB98_725:                             ;   in Loop: Header=BB98_3 Depth=1
	s_or_b32 exec_lo, exec_lo, s40
	v_mov_b32_e32 v29, 0
	s_wait_dscnt 0x0
	s_barrier_signal -1
	s_barrier_wait -1
	global_wb scope:SCOPE_DEV
	s_wait_storecnt 0x0
	global_inv scope:SCOPE_DEV
	s_and_saveexec_b32 s40, s5
	s_cbranch_execz .LBB98_735
; %bb.726:                              ;   in Loop: Header=BB98_3 Depth=1
	ds_load_b32 v29, v56 offset:6208
	ds_load_b32 v34, v59 offset:8032
	s_wait_dscnt 0x0
	v_fma_f32 v29, v29, v34, 0
	s_and_saveexec_b32 s41, s15
	s_cbranch_execnz .LBB98_1203
; %bb.727:                              ;   in Loop: Header=BB98_3 Depth=1
	s_or_b32 exec_lo, exec_lo, s41
	s_and_saveexec_b32 s41, s16
	s_cbranch_execnz .LBB98_1204
.LBB98_728:                             ;   in Loop: Header=BB98_3 Depth=1
	s_or_b32 exec_lo, exec_lo, s41
	s_and_saveexec_b32 s41, s17
	s_cbranch_execnz .LBB98_1205
.LBB98_729:                             ;   in Loop: Header=BB98_3 Depth=1
	s_or_b32 exec_lo, exec_lo, s41
	s_and_saveexec_b32 s41, s18
	s_cbranch_execnz .LBB98_1206
.LBB98_730:                             ;   in Loop: Header=BB98_3 Depth=1
	s_or_b32 exec_lo, exec_lo, s41
	s_and_saveexec_b32 s41, s19
	s_cbranch_execnz .LBB98_1207
.LBB98_731:                             ;   in Loop: Header=BB98_3 Depth=1
	s_or_b32 exec_lo, exec_lo, s41
	s_and_saveexec_b32 s41, s4
	s_cbranch_execnz .LBB98_1208
.LBB98_732:                             ;   in Loop: Header=BB98_3 Depth=1
	s_or_b32 exec_lo, exec_lo, s41
	s_and_saveexec_b32 s41, s14
	s_cbranch_execz .LBB98_734
.LBB98_733:                             ;   in Loop: Header=BB98_3 Depth=1
	ds_load_b32 v34, v42 offset:8000
	ds_load_b32 v35, v3 offset:8060
	s_wait_dscnt 0x0
	v_fmac_f32_e32 v29, v34, v35
.LBB98_734:                             ;   in Loop: Header=BB98_3 Depth=1
	s_or_b32 exec_lo, exec_lo, s41
.LBB98_735:                             ;   in Loop: Header=BB98_3 Depth=1
	s_delay_alu instid0(SALU_CYCLE_1)
	s_or_b32 exec_lo, exec_lo, s40
	s_and_saveexec_b32 s40, s98
; %bb.736:                              ;   in Loop: Header=BB98_3 Depth=1
	s_delay_alu instid0(VALU_DEP_1)
	v_xor_b32_e32 v34, 0x80000000, v29
	ds_store_b32 v57, v34
; %bb.737:                              ;   in Loop: Header=BB98_3 Depth=1
	s_or_b32 exec_lo, exec_lo, s40
	s_wait_loadcnt_dscnt 0x0
	s_barrier_signal -1
	s_barrier_wait -1
	s_and_saveexec_b32 s40, s99
	s_cbranch_execz .LBB98_739
; %bb.738:                              ;   in Loop: Header=BB98_3 Depth=1
	ds_load_b32 v34, v56 offset:5952
	ds_load_b32 v35, v57
	s_wait_dscnt 0x0
	v_fma_f32 v29, -v34, v35, v29
.LBB98_739:                             ;   in Loop: Header=BB98_3 Depth=1
	s_or_b32 exec_lo, exec_lo, s40
	s_barrier_signal -1
	s_barrier_wait -1
	s_and_saveexec_b32 s40, s100
; %bb.740:                              ;   in Loop: Header=BB98_3 Depth=1
	v_xor_b32_e32 v34, 0x80000000, v29
	ds_store_b32 v57, v34
; %bb.741:                              ;   in Loop: Header=BB98_3 Depth=1
	s_or_b32 exec_lo, exec_lo, s40
	s_wait_dscnt 0x0
	s_barrier_signal -1
	s_barrier_wait -1
	s_and_saveexec_b32 s40, s101
	s_cbranch_execz .LBB98_743
; %bb.742:                              ;   in Loop: Header=BB98_3 Depth=1
	ds_load_b32 v34, v56 offset:5696
	ds_load_b32 v35, v57
	s_wait_dscnt 0x0
	v_fma_f32 v29, -v34, v35, v29
.LBB98_743:                             ;   in Loop: Header=BB98_3 Depth=1
	s_or_b32 exec_lo, exec_lo, s40
	s_barrier_signal -1
	s_barrier_wait -1
	s_and_saveexec_b32 s40, s102
; %bb.744:                              ;   in Loop: Header=BB98_3 Depth=1
	v_xor_b32_e32 v34, 0x80000000, v29
	ds_store_b32 v57, v34
; %bb.745:                              ;   in Loop: Header=BB98_3 Depth=1
	s_or_b32 exec_lo, exec_lo, s40
	s_wait_dscnt 0x0
	;; [unrolled: 20-line block ×3, first 2 shown]
	s_barrier_signal -1
	s_barrier_wait -1
	s_and_saveexec_b32 s40, vcc_hi
	s_cbranch_execz .LBB98_751
; %bb.750:                              ;   in Loop: Header=BB98_3 Depth=1
	ds_load_b32 v34, v56 offset:5184
	ds_load_b32 v35, v57
	s_wait_dscnt 0x0
	v_fma_f32 v29, -v34, v35, v29
.LBB98_751:                             ;   in Loop: Header=BB98_3 Depth=1
	s_or_b32 exec_lo, exec_lo, s40
	s_barrier_signal -1
	s_barrier_wait -1
	s_and_saveexec_b32 s40, s31
; %bb.752:                              ;   in Loop: Header=BB98_3 Depth=1
	v_xor_b32_e32 v34, 0x80000000, v29
	ds_store_b32 v57, v34
; %bb.753:                              ;   in Loop: Header=BB98_3 Depth=1
	s_or_b32 exec_lo, exec_lo, s40
	s_wait_dscnt 0x0
	s_barrier_signal -1
	s_barrier_wait -1
	s_and_saveexec_b32 s40, s33
	s_cbranch_execz .LBB98_755
; %bb.754:                              ;   in Loop: Header=BB98_3 Depth=1
	ds_load_b32 v34, v56 offset:4928
	ds_load_b32 v35, v57
	s_wait_dscnt 0x0
	v_fma_f32 v29, -v34, v35, v29
.LBB98_755:                             ;   in Loop: Header=BB98_3 Depth=1
	s_or_b32 exec_lo, exec_lo, s40
	s_barrier_signal -1
	s_barrier_wait -1
	s_and_saveexec_b32 s40, s34
; %bb.756:                              ;   in Loop: Header=BB98_3 Depth=1
	v_xor_b32_e32 v34, 0x80000000, v29
	ds_store_b32 v57, v34
; %bb.757:                              ;   in Loop: Header=BB98_3 Depth=1
	s_or_b32 exec_lo, exec_lo, s40
	s_wait_dscnt 0x0
	s_barrier_signal -1
	s_barrier_wait -1
	s_and_saveexec_b32 s40, s35
	;; [unrolled: 20-line block ×3, first 2 shown]
	s_cbranch_execz .LBB98_763
; %bb.762:                              ;   in Loop: Header=BB98_3 Depth=1
	ds_load_b32 v34, v3 offset:4416
	ds_load_b32 v35, v57
	s_wait_dscnt 0x0
	v_fma_f32 v29, -v34, v35, v29
.LBB98_763:                             ;   in Loop: Header=BB98_3 Depth=1
	s_or_b32 exec_lo, exec_lo, s40
	s_barrier_signal -1
	s_barrier_wait -1
	s_and_saveexec_b32 s40, s37
; %bb.764:                              ;   in Loop: Header=BB98_3 Depth=1
	v_xor_b32_e32 v34, 0x80000000, v29
	ds_store_b32 v57, v34
; %bb.765:                              ;   in Loop: Header=BB98_3 Depth=1
	s_or_b32 exec_lo, exec_lo, s40
	s_wait_dscnt 0x0
	s_barrier_signal -1
	s_barrier_wait -1
	s_barrier_signal -1
	s_barrier_wait -1
	s_and_saveexec_b32 s40, s5
; %bb.766:                              ;   in Loop: Header=BB98_3 Depth=1
	ds_store_b32 v60, v29 offset:8000
; %bb.767:                              ;   in Loop: Header=BB98_3 Depth=1
	s_or_b32 exec_lo, exec_lo, s40
	s_wait_dscnt 0x0
	s_barrier_signal -1
	s_barrier_wait -1
	s_barrier_signal -1
	s_barrier_wait -1
	s_and_saveexec_b32 s40, s38
	s_cbranch_execz .LBB98_769
; %bb.768:                              ;   in Loop: Header=BB98_3 Depth=1
	ds_load_b32 v29, v43 offset:6208
	s_wait_dscnt 0x0
	ds_store_b32 v45, v29 offset:4192
	ds_load_b32 v29, v43 offset:6212
	s_wait_dscnt 0x0
	ds_store_b32 v45, v29 offset:4448
	;; [unrolled: 3-line block ×8, first 2 shown]
.LBB98_769:                             ;   in Loop: Header=BB98_3 Depth=1
	s_or_b32 exec_lo, exec_lo, s40
	s_wait_dscnt 0x0
	s_barrier_signal -1
	s_barrier_wait -1
	s_and_saveexec_b32 s40, s11
	s_cbranch_execz .LBB98_771
; %bb.770:                              ;   in Loop: Header=BB98_3 Depth=1
	ds_load_b32 v29, v3 offset:5976
	ds_store_b32 v3, v28 offset:5980
	s_wait_dscnt 0x1
	ds_store_b64 v3, v[28:29] offset:5720
.LBB98_771:                             ;   in Loop: Header=BB98_3 Depth=1
	s_or_b32 exec_lo, exec_lo, s40
	v_mov_b32_e32 v29, 0
	s_wait_dscnt 0x0
	s_barrier_signal -1
	s_barrier_wait -1
	global_wb scope:SCOPE_DEV
	s_wait_storecnt 0x0
	global_inv scope:SCOPE_DEV
	s_and_saveexec_b32 s40, s2
	s_cbranch_execz .LBB98_775
; %bb.772:                              ;   in Loop: Header=BB98_3 Depth=1
	ds_load_b32 v29, v46 offset:5712
	ds_load_b32 v34, v48 offset:5976
	s_wait_dscnt 0x0
	v_fma_f32 v29, v29, v34, 0
	s_and_saveexec_b32 s41, s12
	s_cbranch_execz .LBB98_774
; %bb.773:                              ;   in Loop: Header=BB98_3 Depth=1
	ds_load_b32 v34, v45 offset:5968
	ds_load_b32 v35, v3 offset:5980
	s_wait_dscnt 0x0
	v_fmac_f32_e32 v29, v34, v35
.LBB98_774:                             ;   in Loop: Header=BB98_3 Depth=1
	s_or_b32 exec_lo, exec_lo, s41
.LBB98_775:                             ;   in Loop: Header=BB98_3 Depth=1
	s_delay_alu instid0(SALU_CYCLE_1)
	s_or_b32 exec_lo, exec_lo, s40
	s_and_saveexec_b32 s40, s88
; %bb.776:                              ;   in Loop: Header=BB98_3 Depth=1
	s_delay_alu instid0(VALU_DEP_1)
	v_xor_b32_e32 v34, 0x80000000, v29
	ds_store_b32 v44, v34
; %bb.777:                              ;   in Loop: Header=BB98_3 Depth=1
	s_or_b32 exec_lo, exec_lo, s40
	s_wait_loadcnt_dscnt 0x0
	s_barrier_signal -1
	s_barrier_wait -1
	s_and_saveexec_b32 s40, s89
	s_cbranch_execz .LBB98_779
; %bb.778:                              ;   in Loop: Header=BB98_3 Depth=1
	ds_load_b32 v34, v3 offset:5456
	ds_load_b32 v35, v44
	s_wait_dscnt 0x0
	v_fma_f32 v29, -v34, v35, v29
.LBB98_779:                             ;   in Loop: Header=BB98_3 Depth=1
	s_or_b32 exec_lo, exec_lo, s40
	s_barrier_signal -1
	s_barrier_wait -1
	s_and_saveexec_b32 s40, s89
; %bb.780:                              ;   in Loop: Header=BB98_3 Depth=1
	v_xor_b32_e32 v34, 0x80000000, v29
	ds_store_b32 v44, v34
; %bb.781:                              ;   in Loop: Header=BB98_3 Depth=1
	s_or_b32 exec_lo, exec_lo, s40
	s_wait_dscnt 0x0
	s_barrier_signal -1
	s_barrier_wait -1
	s_barrier_signal -1
	s_barrier_wait -1
	s_and_saveexec_b32 s40, s2
; %bb.782:                              ;   in Loop: Header=BB98_3 Depth=1
	ds_store_b32 v49, v29 offset:5968
; %bb.783:                              ;   in Loop: Header=BB98_3 Depth=1
	s_or_b32 exec_lo, exec_lo, s40
	s_wait_dscnt 0x0
	s_barrier_signal -1
	s_barrier_wait -1
	s_barrier_signal -1
	s_barrier_wait -1
	s_and_saveexec_b32 s40, s90
	s_cbranch_execz .LBB98_785
; %bb.784:                              ;   in Loop: Header=BB98_3 Depth=1
	ds_load_b32 v29, v47 offset:5712
	s_wait_dscnt 0x0
	ds_store_b32 v45, v29 offset:5208
	ds_load_b32 v29, v47 offset:5716
	s_wait_dscnt 0x0
	ds_store_b32 v45, v29 offset:5464
.LBB98_785:                             ;   in Loop: Header=BB98_3 Depth=1
	s_or_b32 exec_lo, exec_lo, s40
	s_wait_dscnt 0x0
	s_barrier_signal -1
	s_barrier_wait -1
	s_and_saveexec_b32 s40, s11
	s_cbranch_execz .LBB98_787
; %bb.786:                              ;   in Loop: Header=BB98_3 Depth=1
	ds_load_b32 v29, v3 offset:5456
	ds_store_b32 v3, v28 offset:5460
	s_wait_dscnt 0x1
	ds_store_b64 v3, v[28:29] offset:5200
.LBB98_787:                             ;   in Loop: Header=BB98_3 Depth=1
	s_or_b32 exec_lo, exec_lo, s40
	v_mov_b32_e32 v29, 0
	s_wait_dscnt 0x0
	s_barrier_signal -1
	s_barrier_wait -1
	global_wb scope:SCOPE_DEV
	s_wait_storecnt 0x0
	global_inv scope:SCOPE_DEV
	s_and_saveexec_b32 s40, s4
	s_cbranch_execz .LBB98_793
; %bb.788:                              ;   in Loop: Header=BB98_3 Depth=1
	ds_load_b32 v29, v52 offset:5184
	ds_load_b32 v34, v53 offset:5968
	s_wait_dscnt 0x0
	v_fma_f32 v29, v29, v34, 0
	s_and_saveexec_b32 s41, s13
	s_cbranch_execnz .LBB98_1209
; %bb.789:                              ;   in Loop: Header=BB98_3 Depth=1
	s_or_b32 exec_lo, exec_lo, s41
	s_and_saveexec_b32 s41, s14
	s_cbranch_execnz .LBB98_1210
.LBB98_790:                             ;   in Loop: Header=BB98_3 Depth=1
	s_or_b32 exec_lo, exec_lo, s41
	s_and_saveexec_b32 s41, s2
	s_cbranch_execz .LBB98_792
.LBB98_791:                             ;   in Loop: Header=BB98_3 Depth=1
	ds_load_b32 v34, v51 offset:5952
	ds_load_b32 v35, v3 offset:5980
	s_wait_dscnt 0x0
	v_fmac_f32_e32 v29, v34, v35
.LBB98_792:                             ;   in Loop: Header=BB98_3 Depth=1
	s_or_b32 exec_lo, exec_lo, s41
.LBB98_793:                             ;   in Loop: Header=BB98_3 Depth=1
	s_delay_alu instid0(SALU_CYCLE_1)
	s_or_b32 exec_lo, exec_lo, s40
	s_and_saveexec_b32 s40, s91
; %bb.794:                              ;   in Loop: Header=BB98_3 Depth=1
	s_delay_alu instid0(VALU_DEP_1)
	v_xor_b32_e32 v34, 0x80000000, v29
	ds_store_b32 v50, v34
; %bb.795:                              ;   in Loop: Header=BB98_3 Depth=1
	s_or_b32 exec_lo, exec_lo, s40
	s_wait_loadcnt_dscnt 0x0
	s_barrier_signal -1
	s_barrier_wait -1
	s_and_saveexec_b32 s40, s92
	s_cbranch_execz .LBB98_797
; %bb.796:                              ;   in Loop: Header=BB98_3 Depth=1
	ds_load_b32 v34, v52 offset:4928
	ds_load_b32 v35, v50
	s_wait_dscnt 0x0
	v_fma_f32 v29, -v34, v35, v29
.LBB98_797:                             ;   in Loop: Header=BB98_3 Depth=1
	s_or_b32 exec_lo, exec_lo, s40
	s_barrier_signal -1
	s_barrier_wait -1
	s_and_saveexec_b32 s40, s93
; %bb.798:                              ;   in Loop: Header=BB98_3 Depth=1
	v_xor_b32_e32 v34, 0x80000000, v29
	ds_store_b32 v50, v34
; %bb.799:                              ;   in Loop: Header=BB98_3 Depth=1
	s_or_b32 exec_lo, exec_lo, s40
	s_wait_dscnt 0x0
	s_barrier_signal -1
	s_barrier_wait -1
	s_and_saveexec_b32 s40, s94
	s_cbranch_execz .LBB98_801
; %bb.800:                              ;   in Loop: Header=BB98_3 Depth=1
	ds_load_b32 v34, v52 offset:4672
	ds_load_b32 v35, v50
	s_wait_dscnt 0x0
	v_fma_f32 v29, -v34, v35, v29
.LBB98_801:                             ;   in Loop: Header=BB98_3 Depth=1
	s_or_b32 exec_lo, exec_lo, s40
	s_barrier_signal -1
	s_barrier_wait -1
	s_and_saveexec_b32 s40, s95
; %bb.802:                              ;   in Loop: Header=BB98_3 Depth=1
	v_xor_b32_e32 v34, 0x80000000, v29
	ds_store_b32 v50, v34
; %bb.803:                              ;   in Loop: Header=BB98_3 Depth=1
	s_or_b32 exec_lo, exec_lo, s40
	s_wait_dscnt 0x0
	s_barrier_signal -1
	s_barrier_wait -1
	s_and_saveexec_b32 s40, s96
	s_cbranch_execz .LBB98_805
; %bb.804:                              ;   in Loop: Header=BB98_3 Depth=1
	ds_load_b32 v34, v3 offset:4416
	ds_load_b32 v35, v50
	s_wait_dscnt 0x0
	v_fma_f32 v29, -v34, v35, v29
.LBB98_805:                             ;   in Loop: Header=BB98_3 Depth=1
	s_or_b32 exec_lo, exec_lo, s40
	s_barrier_signal -1
	s_barrier_wait -1
	s_and_saveexec_b32 s40, s96
; %bb.806:                              ;   in Loop: Header=BB98_3 Depth=1
	v_xor_b32_e32 v34, 0x80000000, v29
	ds_store_b32 v50, v34
; %bb.807:                              ;   in Loop: Header=BB98_3 Depth=1
	s_or_b32 exec_lo, exec_lo, s40
	s_wait_dscnt 0x0
	s_barrier_signal -1
	s_barrier_wait -1
	s_barrier_signal -1
	s_barrier_wait -1
	s_and_saveexec_b32 s40, s4
; %bb.808:                              ;   in Loop: Header=BB98_3 Depth=1
	ds_store_b32 v55, v29 offset:5952
; %bb.809:                              ;   in Loop: Header=BB98_3 Depth=1
	s_or_b32 exec_lo, exec_lo, s40
	s_wait_dscnt 0x0
	s_barrier_signal -1
	s_barrier_wait -1
	s_barrier_signal -1
	s_barrier_wait -1
	s_and_saveexec_b32 s40, s97
	s_cbranch_execz .LBB98_811
; %bb.810:                              ;   in Loop: Header=BB98_3 Depth=1
	ds_load_b32 v29, v54 offset:5184
	s_wait_dscnt 0x0
	ds_store_b32 v58, v29 offset:4176
	ds_load_b32 v29, v54 offset:5188
	s_wait_dscnt 0x0
	ds_store_b32 v58, v29 offset:4432
	;; [unrolled: 3-line block ×4, first 2 shown]
.LBB98_811:                             ;   in Loop: Header=BB98_3 Depth=1
	s_or_b32 exec_lo, exec_lo, s40
	s_wait_dscnt 0x0
	s_barrier_signal -1
	s_barrier_wait -1
	s_and_saveexec_b32 s40, s11
	s_cbranch_execz .LBB98_813
; %bb.812:                              ;   in Loop: Header=BB98_3 Depth=1
	ds_load_b32 v29, v3 offset:4936
	ds_store_b32 v3, v28 offset:4940
	s_wait_dscnt 0x1
	ds_store_b64 v3, v[28:29] offset:4680
.LBB98_813:                             ;   in Loop: Header=BB98_3 Depth=1
	s_or_b32 exec_lo, exec_lo, s40
	v_mov_b32_e32 v29, 0
	s_wait_dscnt 0x0
	s_barrier_signal -1
	s_barrier_wait -1
	global_wb scope:SCOPE_DEV
	s_wait_storecnt 0x0
	global_inv scope:SCOPE_DEV
	s_and_saveexec_b32 s40, s2
	s_cbranch_execz .LBB98_817
; %bb.814:                              ;   in Loop: Header=BB98_3 Depth=1
	ds_load_b32 v29, v46 offset:4672
	ds_load_b32 v34, v48 offset:4936
	s_wait_dscnt 0x0
	v_fma_f32 v29, v29, v34, 0
	s_and_saveexec_b32 s41, s12
	s_cbranch_execz .LBB98_816
; %bb.815:                              ;   in Loop: Header=BB98_3 Depth=1
	ds_load_b32 v34, v58 offset:4928
	ds_load_b32 v35, v3 offset:4940
	s_wait_dscnt 0x0
	v_fmac_f32_e32 v29, v34, v35
.LBB98_816:                             ;   in Loop: Header=BB98_3 Depth=1
	s_or_b32 exec_lo, exec_lo, s41
.LBB98_817:                             ;   in Loop: Header=BB98_3 Depth=1
	s_delay_alu instid0(SALU_CYCLE_1)
	s_or_b32 exec_lo, exec_lo, s40
	s_and_saveexec_b32 s40, s88
; %bb.818:                              ;   in Loop: Header=BB98_3 Depth=1
	s_delay_alu instid0(VALU_DEP_1)
	v_xor_b32_e32 v34, 0x80000000, v29
	ds_store_b32 v44, v34
; %bb.819:                              ;   in Loop: Header=BB98_3 Depth=1
	s_or_b32 exec_lo, exec_lo, s40
	s_wait_loadcnt_dscnt 0x0
	s_barrier_signal -1
	s_barrier_wait -1
	s_and_saveexec_b32 s40, s89
	s_cbranch_execz .LBB98_821
; %bb.820:                              ;   in Loop: Header=BB98_3 Depth=1
	ds_load_b32 v34, v3 offset:4416
	ds_load_b32 v35, v44
	s_wait_dscnt 0x0
	v_fma_f32 v29, -v34, v35, v29
.LBB98_821:                             ;   in Loop: Header=BB98_3 Depth=1
	s_or_b32 exec_lo, exec_lo, s40
	s_barrier_signal -1
	s_barrier_wait -1
	s_and_saveexec_b32 s40, s89
; %bb.822:                              ;   in Loop: Header=BB98_3 Depth=1
	v_xor_b32_e32 v34, 0x80000000, v29
	ds_store_b32 v44, v34
; %bb.823:                              ;   in Loop: Header=BB98_3 Depth=1
	s_or_b32 exec_lo, exec_lo, s40
	s_wait_dscnt 0x0
	s_barrier_signal -1
	s_barrier_wait -1
	s_barrier_signal -1
	s_barrier_wait -1
	s_and_saveexec_b32 s40, s2
; %bb.824:                              ;   in Loop: Header=BB98_3 Depth=1
	ds_store_b32 v49, v29 offset:4928
; %bb.825:                              ;   in Loop: Header=BB98_3 Depth=1
	s_or_b32 exec_lo, exec_lo, s40
	s_wait_dscnt 0x0
	s_barrier_signal -1
	s_barrier_wait -1
	s_barrier_signal -1
	s_barrier_wait -1
	s_and_saveexec_b32 s40, s90
	s_cbranch_execz .LBB98_827
; %bb.826:                              ;   in Loop: Header=BB98_3 Depth=1
	ds_load_b32 v29, v61 offset:4672
	s_wait_dscnt 0x0
	ds_store_b32 v58, v29 offset:4168
	ds_load_b32 v29, v61 offset:4676
	s_wait_dscnt 0x0
	ds_store_b32 v58, v29 offset:4424
.LBB98_827:                             ;   in Loop: Header=BB98_3 Depth=1
	s_or_b32 exec_lo, exec_lo, s40
	s_wait_dscnt 0x0
	s_barrier_signal -1
	s_barrier_wait -1
	s_and_saveexec_b32 s40, s11
	s_cbranch_execz .LBB98_829
; %bb.828:                              ;   in Loop: Header=BB98_3 Depth=1
	ds_load_b32 v29, v3 offset:4416
	ds_store_b32 v3, v28 offset:4420
	s_wait_dscnt 0x1
	ds_store_b64 v3, v[28:29] offset:4160
.LBB98_829:                             ;   in Loop: Header=BB98_3 Depth=1
	s_or_b32 exec_lo, exec_lo, s40
	v_mov_b32_e32 v29, 0
	s_wait_dscnt 0x0
	s_barrier_signal -1
	s_barrier_wait -1
	global_wb scope:SCOPE_DEV
	s_wait_storecnt 0x0
	global_inv scope:SCOPE_DEV
	s_and_saveexec_b32 s61, s6
	s_cbranch_execz .LBB98_857
; %bb.830:                              ;   in Loop: Header=BB98_3 Depth=1
	ds_load_b32 v29, v62 offset:4096
	ds_load_b32 v34, v65 offset:8000
	s_wait_dscnt 0x0
	v_fma_f32 v29, v29, v34, 0
	s_mov_b32 s40, exec_lo
	v_readlane_b32 s41, v89, 14
	s_and_b32 s41, s40, s41
	s_delay_alu instid0(SALU_CYCLE_1)
	s_mov_b32 exec_lo, s41
	s_cbranch_execz .LBB98_832
; %bb.831:                              ;   in Loop: Header=BB98_3 Depth=1
	ds_load_b32 v34, v62 offset:4352
	ds_load_b32 v35, v65 offset:8004
	s_wait_dscnt 0x0
	v_fmac_f32_e32 v29, v34, v35
.LBB98_832:                             ;   in Loop: Header=BB98_3 Depth=1
	s_or_b32 exec_lo, exec_lo, s40
	s_delay_alu instid0(SALU_CYCLE_1) | instskip(SKIP_2) | instid1(SALU_CYCLE_1)
	s_mov_b32 s40, exec_lo
	v_readlane_b32 s41, v89, 15
	s_and_b32 s41, s40, s41
	s_mov_b32 exec_lo, s41
	s_cbranch_execz .LBB98_834
; %bb.833:                              ;   in Loop: Header=BB98_3 Depth=1
	ds_load_b32 v34, v62 offset:4608
	ds_load_b32 v35, v65 offset:8008
	s_wait_dscnt 0x0
	v_fmac_f32_e32 v29, v34, v35
.LBB98_834:                             ;   in Loop: Header=BB98_3 Depth=1
	s_or_b32 exec_lo, exec_lo, s40
	s_delay_alu instid0(SALU_CYCLE_1) | instskip(SKIP_2) | instid1(SALU_CYCLE_1)
	s_mov_b32 s40, exec_lo
	v_readlane_b32 s41, v89, 16
	s_and_b32 s41, s40, s41
	;; [unrolled: 13-line block ×10, first 2 shown]
	s_mov_b32 exec_lo, s41
	s_cbranch_execnz .LBB98_1211
; %bb.851:                              ;   in Loop: Header=BB98_3 Depth=1
	s_or_b32 exec_lo, exec_lo, s40
	s_and_saveexec_b32 s40, s5
	s_cbranch_execnz .LBB98_1212
.LBB98_852:                             ;   in Loop: Header=BB98_3 Depth=1
	s_or_b32 exec_lo, exec_lo, s40
	s_and_saveexec_b32 s40, s16
	s_cbranch_execnz .LBB98_1213
.LBB98_853:                             ;   in Loop: Header=BB98_3 Depth=1
	s_or_b32 exec_lo, exec_lo, s40
	s_and_saveexec_b32 s40, s18
	s_cbranch_execnz .LBB98_1214
.LBB98_854:                             ;   in Loop: Header=BB98_3 Depth=1
	s_or_b32 exec_lo, exec_lo, s40
	s_and_saveexec_b32 s40, s4
	s_cbranch_execz .LBB98_856
.LBB98_855:                             ;   in Loop: Header=BB98_3 Depth=1
	ds_load_b32 v34, v7 offset:7936
	ds_load_b32 v35, v3 offset:8060
	s_wait_dscnt 0x0
	v_fmac_f32_e32 v29, v34, v35
.LBB98_856:                             ;   in Loop: Header=BB98_3 Depth=1
	s_or_b32 exec_lo, exec_lo, s40
.LBB98_857:                             ;   in Loop: Header=BB98_3 Depth=1
	s_delay_alu instid0(SALU_CYCLE_1) | instskip(NEXT) | instid1(SALU_CYCLE_1)
	s_or_b32 exec_lo, exec_lo, s61
	s_mov_b32 s40, exec_lo
	v_readlane_b32 s41, v91, 2
	s_and_b32 s41, s40, s41
	s_delay_alu instid0(SALU_CYCLE_1)
	s_mov_b32 exec_lo, s41
; %bb.858:                              ;   in Loop: Header=BB98_3 Depth=1
	v_xor_b32_e32 v34, 0x80000000, v29
	ds_store_b32 v63, v34
; %bb.859:                              ;   in Loop: Header=BB98_3 Depth=1
	s_or_b32 exec_lo, exec_lo, s40
	s_wait_loadcnt_dscnt 0x0
	s_barrier_signal -1
	s_barrier_wait -1
	s_mov_b32 s40, exec_lo
	v_readlane_b32 s41, v91, 3
	s_and_b32 s41, s40, s41
	s_delay_alu instid0(SALU_CYCLE_1)
	s_mov_b32 exec_lo, s41
	s_cbranch_execz .LBB98_861
; %bb.860:                              ;   in Loop: Header=BB98_3 Depth=1
	ds_load_b32 v34, v62 offset:3840
	ds_load_b32 v35, v63
	s_wait_dscnt 0x0
	v_fma_f32 v29, -v34, v35, v29
.LBB98_861:                             ;   in Loop: Header=BB98_3 Depth=1
	s_or_b32 exec_lo, exec_lo, s40
	s_barrier_signal -1
	s_barrier_wait -1
	s_mov_b32 s40, exec_lo
	v_readlane_b32 s41, v91, 4
	s_and_b32 s41, s40, s41
	s_delay_alu instid0(SALU_CYCLE_1)
	s_mov_b32 exec_lo, s41
; %bb.862:                              ;   in Loop: Header=BB98_3 Depth=1
	v_xor_b32_e32 v34, 0x80000000, v29
	ds_store_b32 v63, v34
; %bb.863:                              ;   in Loop: Header=BB98_3 Depth=1
	s_or_b32 exec_lo, exec_lo, s40
	s_wait_dscnt 0x0
	s_barrier_signal -1
	s_barrier_wait -1
	s_mov_b32 s40, exec_lo
	v_readlane_b32 s41, v91, 5
	s_and_b32 s41, s40, s41
	s_delay_alu instid0(SALU_CYCLE_1)
	s_mov_b32 exec_lo, s41
	s_cbranch_execz .LBB98_865
; %bb.864:                              ;   in Loop: Header=BB98_3 Depth=1
	ds_load_b32 v34, v62 offset:3584
	ds_load_b32 v35, v63
	s_wait_dscnt 0x0
	v_fma_f32 v29, -v34, v35, v29
.LBB98_865:                             ;   in Loop: Header=BB98_3 Depth=1
	s_or_b32 exec_lo, exec_lo, s40
	s_barrier_signal -1
	s_barrier_wait -1
	s_and_saveexec_b32 s40, s43
; %bb.866:                              ;   in Loop: Header=BB98_3 Depth=1
	v_xor_b32_e32 v34, 0x80000000, v29
	ds_store_b32 v63, v34
; %bb.867:                              ;   in Loop: Header=BB98_3 Depth=1
	s_or_b32 exec_lo, exec_lo, s40
	s_wait_dscnt 0x0
	s_barrier_signal -1
	s_barrier_wait -1
	s_and_saveexec_b32 s40, s44
	s_cbranch_execz .LBB98_869
; %bb.868:                              ;   in Loop: Header=BB98_3 Depth=1
	ds_load_b32 v34, v62 offset:3328
	ds_load_b32 v35, v63
	s_wait_dscnt 0x0
	v_fma_f32 v29, -v34, v35, v29
.LBB98_869:                             ;   in Loop: Header=BB98_3 Depth=1
	s_or_b32 exec_lo, exec_lo, s40
	s_barrier_signal -1
	s_barrier_wait -1
	s_and_saveexec_b32 s40, s45
; %bb.870:                              ;   in Loop: Header=BB98_3 Depth=1
	v_xor_b32_e32 v34, 0x80000000, v29
	ds_store_b32 v63, v34
; %bb.871:                              ;   in Loop: Header=BB98_3 Depth=1
	s_or_b32 exec_lo, exec_lo, s40
	s_wait_dscnt 0x0
	s_barrier_signal -1
	s_barrier_wait -1
	s_and_saveexec_b32 s40, s46
	;; [unrolled: 20-line block ×13, first 2 shown]
	s_cbranch_execz .LBB98_917
; %bb.916:                              ;   in Loop: Header=BB98_3 Depth=1
	ds_load_b32 v34, v3 offset:256
	ds_load_b32 v35, v63
	s_wait_dscnt 0x0
	v_fma_f32 v29, -v34, v35, v29
.LBB98_917:                             ;   in Loop: Header=BB98_3 Depth=1
	s_or_b32 exec_lo, exec_lo, s40
	s_barrier_signal -1
	s_barrier_wait -1
	s_and_saveexec_b32 s40, s27
; %bb.918:                              ;   in Loop: Header=BB98_3 Depth=1
	v_xor_b32_e32 v34, 0x80000000, v29
	ds_store_b32 v63, v34
; %bb.919:                              ;   in Loop: Header=BB98_3 Depth=1
	s_or_b32 exec_lo, exec_lo, s40
	s_wait_dscnt 0x0
	s_barrier_signal -1
	s_barrier_wait -1
	s_barrier_signal -1
	s_barrier_wait -1
	s_and_saveexec_b32 s40, s6
; %bb.920:                              ;   in Loop: Header=BB98_3 Depth=1
	ds_store_b32 v66, v29 offset:7936
; %bb.921:                              ;   in Loop: Header=BB98_3 Depth=1
	s_or_b32 exec_lo, exec_lo, s40
	s_wait_dscnt 0x0
	s_barrier_signal -1
	s_barrier_wait -1
	s_barrier_signal -1
	s_barrier_wait -1
	s_and_saveexec_b32 s40, s29
	s_cbranch_execz .LBB98_923
; %bb.922:                              ;   in Loop: Header=BB98_3 Depth=1
	ds_load_b32 v29, v9 offset:4096
	s_wait_dscnt 0x0
	ds_store_b32 v38, v29 offset:64
	ds_load_b32 v29, v9 offset:4100
	s_wait_dscnt 0x0
	ds_store_b32 v38, v29 offset:320
	;; [unrolled: 3-line block ×16, first 2 shown]
.LBB98_923:                             ;   in Loop: Header=BB98_3 Depth=1
	s_or_b32 exec_lo, exec_lo, s40
	s_wait_dscnt 0x0
	s_barrier_signal -1
	s_barrier_wait -1
	s_and_saveexec_b32 s40, s11
	s_cbranch_execz .LBB98_925
; %bb.924:                              ;   in Loop: Header=BB98_3 Depth=1
	ds_load_b32 v29, v3 offset:3896
	ds_store_b32 v3, v28 offset:3900
	s_wait_dscnt 0x1
	ds_store_b64 v3, v[28:29] offset:3640
.LBB98_925:                             ;   in Loop: Header=BB98_3 Depth=1
	s_or_b32 exec_lo, exec_lo, s40
	v_mov_b32_e32 v29, 0
	s_wait_dscnt 0x0
	s_barrier_signal -1
	s_barrier_wait -1
	global_wb scope:SCOPE_DEV
	s_wait_storecnt 0x0
	global_inv scope:SCOPE_DEV
	s_and_saveexec_b32 s40, s2
	s_cbranch_execz .LBB98_929
; %bb.926:                              ;   in Loop: Header=BB98_3 Depth=1
	ds_load_b32 v29, v46 offset:3632
	ds_load_b32 v34, v48 offset:3896
	s_wait_dscnt 0x0
	v_fma_f32 v29, v29, v34, 0
	s_and_saveexec_b32 s41, s12
	s_cbranch_execz .LBB98_928
; %bb.927:                              ;   in Loop: Header=BB98_3 Depth=1
	ds_load_b32 v34, v7 offset:3888
	ds_load_b32 v35, v3 offset:3900
	s_wait_dscnt 0x0
	v_fmac_f32_e32 v29, v34, v35
.LBB98_928:                             ;   in Loop: Header=BB98_3 Depth=1
	s_or_b32 exec_lo, exec_lo, s41
.LBB98_929:                             ;   in Loop: Header=BB98_3 Depth=1
	s_delay_alu instid0(SALU_CYCLE_1)
	s_or_b32 exec_lo, exec_lo, s40
	s_and_saveexec_b32 s40, s88
; %bb.930:                              ;   in Loop: Header=BB98_3 Depth=1
	s_delay_alu instid0(VALU_DEP_1)
	v_xor_b32_e32 v34, 0x80000000, v29
	ds_store_b32 v44, v34
; %bb.931:                              ;   in Loop: Header=BB98_3 Depth=1
	s_or_b32 exec_lo, exec_lo, s40
	s_wait_loadcnt_dscnt 0x0
	s_barrier_signal -1
	s_barrier_wait -1
	s_and_saveexec_b32 s40, s89
	s_cbranch_execz .LBB98_933
; %bb.932:                              ;   in Loop: Header=BB98_3 Depth=1
	ds_load_b32 v34, v3 offset:3376
	ds_load_b32 v35, v44
	s_wait_dscnt 0x0
	v_fma_f32 v29, -v34, v35, v29
.LBB98_933:                             ;   in Loop: Header=BB98_3 Depth=1
	s_or_b32 exec_lo, exec_lo, s40
	s_barrier_signal -1
	s_barrier_wait -1
	s_and_saveexec_b32 s40, s89
; %bb.934:                              ;   in Loop: Header=BB98_3 Depth=1
	v_xor_b32_e32 v34, 0x80000000, v29
	ds_store_b32 v44, v34
; %bb.935:                              ;   in Loop: Header=BB98_3 Depth=1
	s_or_b32 exec_lo, exec_lo, s40
	s_wait_dscnt 0x0
	s_barrier_signal -1
	s_barrier_wait -1
	s_barrier_signal -1
	s_barrier_wait -1
	s_and_saveexec_b32 s40, s2
; %bb.936:                              ;   in Loop: Header=BB98_3 Depth=1
	ds_store_b32 v49, v29 offset:3888
; %bb.937:                              ;   in Loop: Header=BB98_3 Depth=1
	s_or_b32 exec_lo, exec_lo, s40
	s_wait_dscnt 0x0
	s_barrier_signal -1
	s_barrier_wait -1
	s_barrier_signal -1
	s_barrier_wait -1
	s_and_saveexec_b32 s40, s90
	s_cbranch_execz .LBB98_939
; %bb.938:                              ;   in Loop: Header=BB98_3 Depth=1
	ds_load_b32 v29, v9 offset:3632
	s_wait_dscnt 0x0
	ds_store_b32 v7, v29 offset:3128
	ds_load_b32 v29, v9 offset:3636
	s_wait_dscnt 0x0
	ds_store_b32 v7, v29 offset:3384
.LBB98_939:                             ;   in Loop: Header=BB98_3 Depth=1
	s_or_b32 exec_lo, exec_lo, s40
	s_wait_dscnt 0x0
	s_barrier_signal -1
	s_barrier_wait -1
	s_and_saveexec_b32 s40, s11
	s_cbranch_execz .LBB98_941
; %bb.940:                              ;   in Loop: Header=BB98_3 Depth=1
	ds_load_b32 v29, v3 offset:3376
	ds_store_b32 v3, v28 offset:3380
	s_wait_dscnt 0x1
	ds_store_b64 v3, v[28:29] offset:3120
.LBB98_941:                             ;   in Loop: Header=BB98_3 Depth=1
	s_or_b32 exec_lo, exec_lo, s40
	v_mov_b32_e32 v29, 0
	s_wait_dscnt 0x0
	s_barrier_signal -1
	s_barrier_wait -1
	global_wb scope:SCOPE_DEV
	s_wait_storecnt 0x0
	global_inv scope:SCOPE_DEV
	s_and_saveexec_b32 s40, s4
	s_cbranch_execz .LBB98_947
; %bb.942:                              ;   in Loop: Header=BB98_3 Depth=1
	ds_load_b32 v29, v52 offset:3104
	ds_load_b32 v34, v53 offset:3888
	s_wait_dscnt 0x0
	v_fma_f32 v29, v29, v34, 0
	s_and_saveexec_b32 s41, s13
	s_cbranch_execnz .LBB98_1215
; %bb.943:                              ;   in Loop: Header=BB98_3 Depth=1
	s_or_b32 exec_lo, exec_lo, s41
	s_and_saveexec_b32 s41, s14
	s_cbranch_execnz .LBB98_1216
.LBB98_944:                             ;   in Loop: Header=BB98_3 Depth=1
	s_or_b32 exec_lo, exec_lo, s41
	s_and_saveexec_b32 s41, s2
	s_cbranch_execz .LBB98_946
.LBB98_945:                             ;   in Loop: Header=BB98_3 Depth=1
	ds_load_b32 v34, v38 offset:3872
	ds_load_b32 v35, v3 offset:3900
	s_wait_dscnt 0x0
	v_fmac_f32_e32 v29, v34, v35
.LBB98_946:                             ;   in Loop: Header=BB98_3 Depth=1
	s_or_b32 exec_lo, exec_lo, s41
.LBB98_947:                             ;   in Loop: Header=BB98_3 Depth=1
	s_delay_alu instid0(SALU_CYCLE_1)
	s_or_b32 exec_lo, exec_lo, s40
	s_and_saveexec_b32 s40, s91
; %bb.948:                              ;   in Loop: Header=BB98_3 Depth=1
	s_delay_alu instid0(VALU_DEP_1)
	v_xor_b32_e32 v34, 0x80000000, v29
	ds_store_b32 v50, v34
; %bb.949:                              ;   in Loop: Header=BB98_3 Depth=1
	s_or_b32 exec_lo, exec_lo, s40
	s_wait_loadcnt_dscnt 0x0
	s_barrier_signal -1
	s_barrier_wait -1
	s_and_saveexec_b32 s40, s92
	s_cbranch_execz .LBB98_951
; %bb.950:                              ;   in Loop: Header=BB98_3 Depth=1
	ds_load_b32 v34, v52 offset:2848
	ds_load_b32 v35, v50
	s_wait_dscnt 0x0
	v_fma_f32 v29, -v34, v35, v29
.LBB98_951:                             ;   in Loop: Header=BB98_3 Depth=1
	s_or_b32 exec_lo, exec_lo, s40
	s_barrier_signal -1
	s_barrier_wait -1
	s_and_saveexec_b32 s40, s93
; %bb.952:                              ;   in Loop: Header=BB98_3 Depth=1
	v_xor_b32_e32 v34, 0x80000000, v29
	ds_store_b32 v50, v34
; %bb.953:                              ;   in Loop: Header=BB98_3 Depth=1
	s_or_b32 exec_lo, exec_lo, s40
	s_wait_dscnt 0x0
	s_barrier_signal -1
	s_barrier_wait -1
	s_and_saveexec_b32 s40, s94
	s_cbranch_execz .LBB98_955
; %bb.954:                              ;   in Loop: Header=BB98_3 Depth=1
	ds_load_b32 v34, v52 offset:2592
	ds_load_b32 v35, v50
	s_wait_dscnt 0x0
	v_fma_f32 v29, -v34, v35, v29
.LBB98_955:                             ;   in Loop: Header=BB98_3 Depth=1
	s_or_b32 exec_lo, exec_lo, s40
	s_barrier_signal -1
	s_barrier_wait -1
	s_and_saveexec_b32 s40, s95
; %bb.956:                              ;   in Loop: Header=BB98_3 Depth=1
	v_xor_b32_e32 v34, 0x80000000, v29
	ds_store_b32 v50, v34
; %bb.957:                              ;   in Loop: Header=BB98_3 Depth=1
	s_or_b32 exec_lo, exec_lo, s40
	s_wait_dscnt 0x0
	;; [unrolled: 20-line block ×3, first 2 shown]
	s_barrier_signal -1
	s_barrier_wait -1
	s_barrier_signal -1
	s_barrier_wait -1
	s_and_saveexec_b32 s40, s4
; %bb.962:                              ;   in Loop: Header=BB98_3 Depth=1
	ds_store_b32 v55, v29 offset:3872
; %bb.963:                              ;   in Loop: Header=BB98_3 Depth=1
	s_or_b32 exec_lo, exec_lo, s40
	s_wait_dscnt 0x0
	s_barrier_signal -1
	s_barrier_wait -1
	s_barrier_signal -1
	s_barrier_wait -1
	s_and_saveexec_b32 s40, s97
	s_cbranch_execz .LBB98_965
; %bb.964:                              ;   in Loop: Header=BB98_3 Depth=1
	ds_load_b32 v29, v39 offset:3104
	s_wait_dscnt 0x0
	ds_store_b32 v40, v29 offset:2096
	ds_load_b32 v29, v39 offset:3108
	s_wait_dscnt 0x0
	ds_store_b32 v40, v29 offset:2352
	;; [unrolled: 3-line block ×4, first 2 shown]
.LBB98_965:                             ;   in Loop: Header=BB98_3 Depth=1
	s_or_b32 exec_lo, exec_lo, s40
	s_wait_dscnt 0x0
	s_barrier_signal -1
	s_barrier_wait -1
	s_and_saveexec_b32 s40, s11
	s_cbranch_execz .LBB98_967
; %bb.966:                              ;   in Loop: Header=BB98_3 Depth=1
	ds_load_b32 v29, v3 offset:2856
	ds_store_b32 v3, v28 offset:2860
	s_wait_dscnt 0x1
	ds_store_b64 v3, v[28:29] offset:2600
.LBB98_967:                             ;   in Loop: Header=BB98_3 Depth=1
	s_or_b32 exec_lo, exec_lo, s40
	v_mov_b32_e32 v29, 0
	s_wait_dscnt 0x0
	s_barrier_signal -1
	s_barrier_wait -1
	global_wb scope:SCOPE_DEV
	s_wait_storecnt 0x0
	global_inv scope:SCOPE_DEV
	s_and_saveexec_b32 s40, s2
	s_cbranch_execz .LBB98_971
; %bb.968:                              ;   in Loop: Header=BB98_3 Depth=1
	ds_load_b32 v29, v46 offset:2592
	ds_load_b32 v34, v48 offset:2856
	s_wait_dscnt 0x0
	v_fma_f32 v29, v29, v34, 0
	s_and_saveexec_b32 s41, s12
	s_cbranch_execz .LBB98_970
; %bb.969:                              ;   in Loop: Header=BB98_3 Depth=1
	ds_load_b32 v34, v40 offset:2848
	ds_load_b32 v35, v3 offset:2860
	s_wait_dscnt 0x0
	v_fmac_f32_e32 v29, v34, v35
.LBB98_970:                             ;   in Loop: Header=BB98_3 Depth=1
	s_or_b32 exec_lo, exec_lo, s41
.LBB98_971:                             ;   in Loop: Header=BB98_3 Depth=1
	s_delay_alu instid0(SALU_CYCLE_1)
	s_or_b32 exec_lo, exec_lo, s40
	s_and_saveexec_b32 s40, s88
; %bb.972:                              ;   in Loop: Header=BB98_3 Depth=1
	s_delay_alu instid0(VALU_DEP_1)
	v_xor_b32_e32 v34, 0x80000000, v29
	ds_store_b32 v44, v34
; %bb.973:                              ;   in Loop: Header=BB98_3 Depth=1
	s_or_b32 exec_lo, exec_lo, s40
	s_wait_loadcnt_dscnt 0x0
	s_barrier_signal -1
	s_barrier_wait -1
	s_and_saveexec_b32 s40, s89
	s_cbranch_execz .LBB98_975
; %bb.974:                              ;   in Loop: Header=BB98_3 Depth=1
	ds_load_b32 v34, v3 offset:2336
	ds_load_b32 v35, v44
	s_wait_dscnt 0x0
	v_fma_f32 v29, -v34, v35, v29
.LBB98_975:                             ;   in Loop: Header=BB98_3 Depth=1
	s_or_b32 exec_lo, exec_lo, s40
	s_barrier_signal -1
	s_barrier_wait -1
	s_and_saveexec_b32 s40, s89
; %bb.976:                              ;   in Loop: Header=BB98_3 Depth=1
	v_xor_b32_e32 v34, 0x80000000, v29
	ds_store_b32 v44, v34
; %bb.977:                              ;   in Loop: Header=BB98_3 Depth=1
	s_or_b32 exec_lo, exec_lo, s40
	s_wait_dscnt 0x0
	s_barrier_signal -1
	s_barrier_wait -1
	s_barrier_signal -1
	s_barrier_wait -1
	s_and_saveexec_b32 s40, s2
; %bb.978:                              ;   in Loop: Header=BB98_3 Depth=1
	ds_store_b32 v49, v29 offset:2848
; %bb.979:                              ;   in Loop: Header=BB98_3 Depth=1
	s_or_b32 exec_lo, exec_lo, s40
	s_wait_dscnt 0x0
	s_barrier_signal -1
	s_barrier_wait -1
	s_barrier_signal -1
	s_barrier_wait -1
	s_and_saveexec_b32 s40, s90
	s_cbranch_execz .LBB98_981
; %bb.980:                              ;   in Loop: Header=BB98_3 Depth=1
	ds_load_b32 v29, v41 offset:2592
	s_wait_dscnt 0x0
	ds_store_b32 v40, v29 offset:2088
	ds_load_b32 v29, v41 offset:2596
	s_wait_dscnt 0x0
	ds_store_b32 v40, v29 offset:2344
.LBB98_981:                             ;   in Loop: Header=BB98_3 Depth=1
	s_or_b32 exec_lo, exec_lo, s40
	s_wait_dscnt 0x0
	s_barrier_signal -1
	s_barrier_wait -1
	s_and_saveexec_b32 s40, s11
	s_cbranch_execz .LBB98_983
; %bb.982:                              ;   in Loop: Header=BB98_3 Depth=1
	ds_load_b32 v29, v3 offset:2336
	ds_store_b32 v3, v28 offset:2340
	s_wait_dscnt 0x1
	ds_store_b64 v3, v[28:29] offset:2080
.LBB98_983:                             ;   in Loop: Header=BB98_3 Depth=1
	s_or_b32 exec_lo, exec_lo, s40
	v_mov_b32_e32 v29, 0
	s_wait_dscnt 0x0
	s_barrier_signal -1
	s_barrier_wait -1
	global_wb scope:SCOPE_DEV
	s_wait_storecnt 0x0
	global_inv scope:SCOPE_DEV
	s_and_saveexec_b32 s40, s5
	s_cbranch_execz .LBB98_993
; %bb.984:                              ;   in Loop: Header=BB98_3 Depth=1
	ds_load_b32 v29, v56 offset:2048
	ds_load_b32 v34, v59 offset:3872
	s_wait_dscnt 0x0
	v_fma_f32 v29, v29, v34, 0
	s_and_saveexec_b32 s41, s15
	s_cbranch_execnz .LBB98_1217
; %bb.985:                              ;   in Loop: Header=BB98_3 Depth=1
	s_or_b32 exec_lo, exec_lo, s41
	s_and_saveexec_b32 s41, s16
	s_cbranch_execnz .LBB98_1218
.LBB98_986:                             ;   in Loop: Header=BB98_3 Depth=1
	s_or_b32 exec_lo, exec_lo, s41
	s_and_saveexec_b32 s41, s17
	s_cbranch_execnz .LBB98_1219
.LBB98_987:                             ;   in Loop: Header=BB98_3 Depth=1
	s_or_b32 exec_lo, exec_lo, s41
	s_and_saveexec_b32 s41, s18
	s_cbranch_execnz .LBB98_1220
.LBB98_988:                             ;   in Loop: Header=BB98_3 Depth=1
	s_or_b32 exec_lo, exec_lo, s41
	s_and_saveexec_b32 s41, s19
	s_cbranch_execnz .LBB98_1221
.LBB98_989:                             ;   in Loop: Header=BB98_3 Depth=1
	s_or_b32 exec_lo, exec_lo, s41
	s_and_saveexec_b32 s41, s4
	s_cbranch_execnz .LBB98_1222
.LBB98_990:                             ;   in Loop: Header=BB98_3 Depth=1
	s_or_b32 exec_lo, exec_lo, s41
	s_and_saveexec_b32 s41, s14
	s_cbranch_execz .LBB98_992
.LBB98_991:                             ;   in Loop: Header=BB98_3 Depth=1
	ds_load_b32 v34, v42 offset:3840
	ds_load_b32 v35, v3 offset:3900
	s_wait_dscnt 0x0
	v_fmac_f32_e32 v29, v34, v35
.LBB98_992:                             ;   in Loop: Header=BB98_3 Depth=1
	s_or_b32 exec_lo, exec_lo, s41
.LBB98_993:                             ;   in Loop: Header=BB98_3 Depth=1
	s_delay_alu instid0(SALU_CYCLE_1)
	s_or_b32 exec_lo, exec_lo, s40
	s_and_saveexec_b32 s40, s98
; %bb.994:                              ;   in Loop: Header=BB98_3 Depth=1
	s_delay_alu instid0(VALU_DEP_1)
	v_xor_b32_e32 v34, 0x80000000, v29
	ds_store_b32 v57, v34
; %bb.995:                              ;   in Loop: Header=BB98_3 Depth=1
	s_or_b32 exec_lo, exec_lo, s40
	s_wait_loadcnt_dscnt 0x0
	s_barrier_signal -1
	s_barrier_wait -1
	s_and_saveexec_b32 s40, s99
	s_cbranch_execz .LBB98_997
; %bb.996:                              ;   in Loop: Header=BB98_3 Depth=1
	ds_load_b32 v34, v56 offset:1792
	ds_load_b32 v35, v57
	s_wait_dscnt 0x0
	v_fma_f32 v29, -v34, v35, v29
.LBB98_997:                             ;   in Loop: Header=BB98_3 Depth=1
	s_or_b32 exec_lo, exec_lo, s40
	s_barrier_signal -1
	s_barrier_wait -1
	s_and_saveexec_b32 s40, s100
; %bb.998:                              ;   in Loop: Header=BB98_3 Depth=1
	v_xor_b32_e32 v34, 0x80000000, v29
	ds_store_b32 v57, v34
; %bb.999:                              ;   in Loop: Header=BB98_3 Depth=1
	s_or_b32 exec_lo, exec_lo, s40
	s_wait_dscnt 0x0
	s_barrier_signal -1
	s_barrier_wait -1
	s_and_saveexec_b32 s40, s101
	s_cbranch_execz .LBB98_1001
; %bb.1000:                             ;   in Loop: Header=BB98_3 Depth=1
	ds_load_b32 v34, v56 offset:1536
	ds_load_b32 v35, v57
	s_wait_dscnt 0x0
	v_fma_f32 v29, -v34, v35, v29
.LBB98_1001:                            ;   in Loop: Header=BB98_3 Depth=1
	s_or_b32 exec_lo, exec_lo, s40
	s_barrier_signal -1
	s_barrier_wait -1
	s_and_saveexec_b32 s40, s102
; %bb.1002:                             ;   in Loop: Header=BB98_3 Depth=1
	v_xor_b32_e32 v34, 0x80000000, v29
	ds_store_b32 v57, v34
; %bb.1003:                             ;   in Loop: Header=BB98_3 Depth=1
	s_or_b32 exec_lo, exec_lo, s40
	s_wait_dscnt 0x0
	s_barrier_signal -1
	s_barrier_wait -1
	s_and_saveexec_b32 s40, s103
	s_cbranch_execz .LBB98_1005
; %bb.1004:                             ;   in Loop: Header=BB98_3 Depth=1
	ds_load_b32 v34, v56 offset:1280
	ds_load_b32 v35, v57
	s_wait_dscnt 0x0
	v_fma_f32 v29, -v34, v35, v29
.LBB98_1005:                            ;   in Loop: Header=BB98_3 Depth=1
	s_or_b32 exec_lo, exec_lo, s40
	s_barrier_signal -1
	s_barrier_wait -1
	s_and_saveexec_b32 s40, s104
; %bb.1006:                             ;   in Loop: Header=BB98_3 Depth=1
	v_xor_b32_e32 v34, 0x80000000, v29
	ds_store_b32 v57, v34
; %bb.1007:                             ;   in Loop: Header=BB98_3 Depth=1
	s_or_b32 exec_lo, exec_lo, s40
	s_wait_dscnt 0x0
	s_barrier_signal -1
	s_barrier_wait -1
	s_and_saveexec_b32 s40, vcc_hi
	s_cbranch_execz .LBB98_1009
; %bb.1008:                             ;   in Loop: Header=BB98_3 Depth=1
	ds_load_b32 v34, v56 offset:1024
	ds_load_b32 v35, v57
	s_wait_dscnt 0x0
	v_fma_f32 v29, -v34, v35, v29
.LBB98_1009:                            ;   in Loop: Header=BB98_3 Depth=1
	s_or_b32 exec_lo, exec_lo, s40
	s_barrier_signal -1
	s_barrier_wait -1
	s_and_saveexec_b32 s40, s31
; %bb.1010:                             ;   in Loop: Header=BB98_3 Depth=1
	v_xor_b32_e32 v34, 0x80000000, v29
	ds_store_b32 v57, v34
; %bb.1011:                             ;   in Loop: Header=BB98_3 Depth=1
	s_or_b32 exec_lo, exec_lo, s40
	s_wait_dscnt 0x0
	s_barrier_signal -1
	s_barrier_wait -1
	s_and_saveexec_b32 s40, s33
	s_cbranch_execz .LBB98_1013
; %bb.1012:                             ;   in Loop: Header=BB98_3 Depth=1
	ds_load_b32 v34, v56 offset:768
	ds_load_b32 v35, v57
	s_wait_dscnt 0x0
	v_fma_f32 v29, -v34, v35, v29
.LBB98_1013:                            ;   in Loop: Header=BB98_3 Depth=1
	s_or_b32 exec_lo, exec_lo, s40
	s_barrier_signal -1
	s_barrier_wait -1
	s_and_saveexec_b32 s40, s34
; %bb.1014:                             ;   in Loop: Header=BB98_3 Depth=1
	v_xor_b32_e32 v34, 0x80000000, v29
	ds_store_b32 v57, v34
; %bb.1015:                             ;   in Loop: Header=BB98_3 Depth=1
	s_or_b32 exec_lo, exec_lo, s40
	s_wait_dscnt 0x0
	s_barrier_signal -1
	s_barrier_wait -1
	s_and_saveexec_b32 s40, s35
	;; [unrolled: 20-line block ×3, first 2 shown]
	s_cbranch_execz .LBB98_1021
; %bb.1020:                             ;   in Loop: Header=BB98_3 Depth=1
	ds_load_b32 v34, v3 offset:256
	ds_load_b32 v35, v57
	s_wait_dscnt 0x0
	v_fma_f32 v29, -v34, v35, v29
.LBB98_1021:                            ;   in Loop: Header=BB98_3 Depth=1
	s_or_b32 exec_lo, exec_lo, s40
	s_barrier_signal -1
	s_barrier_wait -1
	s_and_saveexec_b32 s40, s37
; %bb.1022:                             ;   in Loop: Header=BB98_3 Depth=1
	v_xor_b32_e32 v34, 0x80000000, v29
	ds_store_b32 v57, v34
; %bb.1023:                             ;   in Loop: Header=BB98_3 Depth=1
	s_or_b32 exec_lo, exec_lo, s40
	s_wait_dscnt 0x0
	s_barrier_signal -1
	s_barrier_wait -1
	s_barrier_signal -1
	s_barrier_wait -1
	s_and_saveexec_b32 s40, s5
; %bb.1024:                             ;   in Loop: Header=BB98_3 Depth=1
	ds_store_b32 v60, v29 offset:3840
; %bb.1025:                             ;   in Loop: Header=BB98_3 Depth=1
	s_or_b32 exec_lo, exec_lo, s40
	s_wait_dscnt 0x0
	s_barrier_signal -1
	s_barrier_wait -1
	s_barrier_signal -1
	s_barrier_wait -1
	s_and_saveexec_b32 s40, s38
	s_cbranch_execz .LBB98_1027
; %bb.1026:                             ;   in Loop: Header=BB98_3 Depth=1
	ds_load_b32 v29, v43 offset:2048
	s_wait_dscnt 0x0
	ds_store_b32 v45, v29 offset:32
	ds_load_b32 v29, v43 offset:2052
	s_wait_dscnt 0x0
	ds_store_b32 v45, v29 offset:288
	;; [unrolled: 3-line block ×8, first 2 shown]
.LBB98_1027:                            ;   in Loop: Header=BB98_3 Depth=1
	s_or_b32 exec_lo, exec_lo, s40
	s_wait_dscnt 0x0
	s_barrier_signal -1
	s_barrier_wait -1
	s_and_saveexec_b32 s40, s11
	s_cbranch_execz .LBB98_1029
; %bb.1028:                             ;   in Loop: Header=BB98_3 Depth=1
	ds_load_b32 v29, v3 offset:1816
	ds_store_b32 v3, v28 offset:1820
	s_wait_dscnt 0x1
	ds_store_b64 v3, v[28:29] offset:1560
.LBB98_1029:                            ;   in Loop: Header=BB98_3 Depth=1
	s_or_b32 exec_lo, exec_lo, s40
	v_mov_b32_e32 v29, 0
	s_wait_dscnt 0x0
	s_barrier_signal -1
	s_barrier_wait -1
	global_wb scope:SCOPE_DEV
	s_wait_storecnt 0x0
	global_inv scope:SCOPE_DEV
	s_and_saveexec_b32 s40, s2
	s_cbranch_execz .LBB98_1033
; %bb.1030:                             ;   in Loop: Header=BB98_3 Depth=1
	ds_load_b32 v29, v46 offset:1552
	ds_load_b32 v34, v48 offset:1816
	s_wait_dscnt 0x0
	v_fma_f32 v29, v29, v34, 0
	s_and_saveexec_b32 s41, s12
	s_cbranch_execz .LBB98_1032
; %bb.1031:                             ;   in Loop: Header=BB98_3 Depth=1
	ds_load_b32 v34, v45 offset:1808
	ds_load_b32 v35, v3 offset:1820
	s_wait_dscnt 0x0
	v_fmac_f32_e32 v29, v34, v35
.LBB98_1032:                            ;   in Loop: Header=BB98_3 Depth=1
	s_or_b32 exec_lo, exec_lo, s41
.LBB98_1033:                            ;   in Loop: Header=BB98_3 Depth=1
	s_delay_alu instid0(SALU_CYCLE_1)
	s_or_b32 exec_lo, exec_lo, s40
	s_and_saveexec_b32 s40, s88
; %bb.1034:                             ;   in Loop: Header=BB98_3 Depth=1
	s_delay_alu instid0(VALU_DEP_1)
	v_xor_b32_e32 v34, 0x80000000, v29
	ds_store_b32 v44, v34
; %bb.1035:                             ;   in Loop: Header=BB98_3 Depth=1
	s_or_b32 exec_lo, exec_lo, s40
	s_wait_loadcnt_dscnt 0x0
	s_barrier_signal -1
	s_barrier_wait -1
	s_and_saveexec_b32 s40, s89
	s_cbranch_execz .LBB98_1037
; %bb.1036:                             ;   in Loop: Header=BB98_3 Depth=1
	ds_load_b32 v34, v3 offset:1296
	ds_load_b32 v35, v44
	s_wait_dscnt 0x0
	v_fma_f32 v29, -v34, v35, v29
.LBB98_1037:                            ;   in Loop: Header=BB98_3 Depth=1
	s_or_b32 exec_lo, exec_lo, s40
	s_barrier_signal -1
	s_barrier_wait -1
	s_and_saveexec_b32 s40, s89
; %bb.1038:                             ;   in Loop: Header=BB98_3 Depth=1
	v_xor_b32_e32 v34, 0x80000000, v29
	ds_store_b32 v44, v34
; %bb.1039:                             ;   in Loop: Header=BB98_3 Depth=1
	s_or_b32 exec_lo, exec_lo, s40
	s_wait_dscnt 0x0
	s_barrier_signal -1
	s_barrier_wait -1
	s_barrier_signal -1
	s_barrier_wait -1
	s_and_saveexec_b32 s40, s2
; %bb.1040:                             ;   in Loop: Header=BB98_3 Depth=1
	ds_store_b32 v49, v29 offset:1808
; %bb.1041:                             ;   in Loop: Header=BB98_3 Depth=1
	s_or_b32 exec_lo, exec_lo, s40
	s_wait_dscnt 0x0
	s_barrier_signal -1
	s_barrier_wait -1
	s_barrier_signal -1
	s_barrier_wait -1
	s_and_saveexec_b32 s40, s90
	s_cbranch_execz .LBB98_1043
; %bb.1042:                             ;   in Loop: Header=BB98_3 Depth=1
	ds_load_b32 v29, v47 offset:1552
	s_wait_dscnt 0x0
	ds_store_b32 v45, v29 offset:1048
	ds_load_b32 v29, v47 offset:1556
	s_wait_dscnt 0x0
	ds_store_b32 v45, v29 offset:1304
.LBB98_1043:                            ;   in Loop: Header=BB98_3 Depth=1
	s_or_b32 exec_lo, exec_lo, s40
	s_wait_dscnt 0x0
	s_barrier_signal -1
	s_barrier_wait -1
	s_and_saveexec_b32 s40, s11
	s_cbranch_execz .LBB98_1045
; %bb.1044:                             ;   in Loop: Header=BB98_3 Depth=1
	ds_load_b32 v29, v3 offset:1296
	ds_store_b32 v3, v28 offset:1300
	s_wait_dscnt 0x1
	ds_store_b64 v3, v[28:29] offset:1040
.LBB98_1045:                            ;   in Loop: Header=BB98_3 Depth=1
	s_or_b32 exec_lo, exec_lo, s40
	v_mov_b32_e32 v29, 0
	s_wait_dscnt 0x0
	s_barrier_signal -1
	s_barrier_wait -1
	global_wb scope:SCOPE_DEV
	s_wait_storecnt 0x0
	global_inv scope:SCOPE_DEV
	s_and_saveexec_b32 s40, s4
	s_cbranch_execz .LBB98_1051
; %bb.1046:                             ;   in Loop: Header=BB98_3 Depth=1
	ds_load_b32 v29, v52 offset:1024
	ds_load_b32 v34, v53 offset:1808
	s_wait_dscnt 0x0
	v_fma_f32 v29, v29, v34, 0
	s_and_saveexec_b32 s41, s13
	s_cbranch_execnz .LBB98_1223
; %bb.1047:                             ;   in Loop: Header=BB98_3 Depth=1
	s_or_b32 exec_lo, exec_lo, s41
	s_and_saveexec_b32 s41, s14
	s_cbranch_execnz .LBB98_1224
.LBB98_1048:                            ;   in Loop: Header=BB98_3 Depth=1
	s_or_b32 exec_lo, exec_lo, s41
	s_and_saveexec_b32 s41, s2
	s_cbranch_execz .LBB98_1050
.LBB98_1049:                            ;   in Loop: Header=BB98_3 Depth=1
	ds_load_b32 v34, v51 offset:1792
	ds_load_b32 v35, v3 offset:1820
	s_wait_dscnt 0x0
	v_fmac_f32_e32 v29, v34, v35
.LBB98_1050:                            ;   in Loop: Header=BB98_3 Depth=1
	s_or_b32 exec_lo, exec_lo, s41
.LBB98_1051:                            ;   in Loop: Header=BB98_3 Depth=1
	s_delay_alu instid0(SALU_CYCLE_1)
	s_or_b32 exec_lo, exec_lo, s40
	s_and_saveexec_b32 s40, s91
; %bb.1052:                             ;   in Loop: Header=BB98_3 Depth=1
	s_delay_alu instid0(VALU_DEP_1)
	v_xor_b32_e32 v34, 0x80000000, v29
	ds_store_b32 v50, v34
; %bb.1053:                             ;   in Loop: Header=BB98_3 Depth=1
	s_or_b32 exec_lo, exec_lo, s40
	s_wait_loadcnt_dscnt 0x0
	s_barrier_signal -1
	s_barrier_wait -1
	s_and_saveexec_b32 s40, s92
	s_cbranch_execz .LBB98_1055
; %bb.1054:                             ;   in Loop: Header=BB98_3 Depth=1
	ds_load_b32 v34, v52 offset:768
	ds_load_b32 v35, v50
	s_wait_dscnt 0x0
	v_fma_f32 v29, -v34, v35, v29
.LBB98_1055:                            ;   in Loop: Header=BB98_3 Depth=1
	s_or_b32 exec_lo, exec_lo, s40
	s_barrier_signal -1
	s_barrier_wait -1
	s_and_saveexec_b32 s40, s93
; %bb.1056:                             ;   in Loop: Header=BB98_3 Depth=1
	v_xor_b32_e32 v34, 0x80000000, v29
	ds_store_b32 v50, v34
; %bb.1057:                             ;   in Loop: Header=BB98_3 Depth=1
	s_or_b32 exec_lo, exec_lo, s40
	s_wait_dscnt 0x0
	s_barrier_signal -1
	s_barrier_wait -1
	s_and_saveexec_b32 s40, s94
	s_cbranch_execz .LBB98_1059
; %bb.1058:                             ;   in Loop: Header=BB98_3 Depth=1
	ds_load_b32 v34, v52 offset:512
	ds_load_b32 v35, v50
	s_wait_dscnt 0x0
	v_fma_f32 v29, -v34, v35, v29
.LBB98_1059:                            ;   in Loop: Header=BB98_3 Depth=1
	s_or_b32 exec_lo, exec_lo, s40
	s_barrier_signal -1
	s_barrier_wait -1
	s_and_saveexec_b32 s40, s95
; %bb.1060:                             ;   in Loop: Header=BB98_3 Depth=1
	v_xor_b32_e32 v34, 0x80000000, v29
	ds_store_b32 v50, v34
; %bb.1061:                             ;   in Loop: Header=BB98_3 Depth=1
	s_or_b32 exec_lo, exec_lo, s40
	s_wait_dscnt 0x0
	;; [unrolled: 20-line block ×3, first 2 shown]
	s_barrier_signal -1
	s_barrier_wait -1
	s_barrier_signal -1
	s_barrier_wait -1
	s_and_saveexec_b32 s40, s4
; %bb.1066:                             ;   in Loop: Header=BB98_3 Depth=1
	ds_store_b32 v55, v29 offset:1792
; %bb.1067:                             ;   in Loop: Header=BB98_3 Depth=1
	s_or_b32 exec_lo, exec_lo, s40
	s_wait_dscnt 0x0
	s_barrier_signal -1
	s_barrier_wait -1
	s_barrier_signal -1
	s_barrier_wait -1
	s_and_saveexec_b32 s40, s97
	s_cbranch_execz .LBB98_1069
; %bb.1068:                             ;   in Loop: Header=BB98_3 Depth=1
	ds_load_b32 v29, v54 offset:1024
	s_wait_dscnt 0x0
	ds_store_b32 v58, v29 offset:16
	ds_load_b32 v29, v54 offset:1028
	s_wait_dscnt 0x0
	ds_store_b32 v58, v29 offset:272
	ds_load_b32 v29, v54 offset:1032
	s_wait_dscnt 0x0
	ds_store_b32 v58, v29 offset:528
	ds_load_b32 v29, v54 offset:1036
	s_wait_dscnt 0x0
	ds_store_b32 v58, v29 offset:784
.LBB98_1069:                            ;   in Loop: Header=BB98_3 Depth=1
	s_or_b32 exec_lo, exec_lo, s40
	s_wait_dscnt 0x0
	s_barrier_signal -1
	s_barrier_wait -1
	s_and_saveexec_b32 s40, s11
	s_cbranch_execz .LBB98_1071
; %bb.1070:                             ;   in Loop: Header=BB98_3 Depth=1
	ds_load_b32 v29, v3 offset:776
	ds_store_b32 v3, v28 offset:780
	s_wait_dscnt 0x1
	ds_store_b64 v3, v[28:29] offset:520
.LBB98_1071:                            ;   in Loop: Header=BB98_3 Depth=1
	s_or_b32 exec_lo, exec_lo, s40
	v_mov_b32_e32 v29, 0
	s_wait_dscnt 0x0
	s_barrier_signal -1
	s_barrier_wait -1
	global_wb scope:SCOPE_DEV
	s_wait_storecnt 0x0
	global_inv scope:SCOPE_DEV
	s_and_saveexec_b32 s40, s2
	s_cbranch_execz .LBB98_1075
; %bb.1072:                             ;   in Loop: Header=BB98_3 Depth=1
	ds_load_b32 v29, v46 offset:512
	ds_load_b32 v34, v48 offset:776
	s_wait_dscnt 0x0
	v_fma_f32 v29, v29, v34, 0
	s_and_saveexec_b32 s41, s12
	s_cbranch_execz .LBB98_1074
; %bb.1073:                             ;   in Loop: Header=BB98_3 Depth=1
	ds_load_b32 v34, v58 offset:768
	ds_load_b32 v35, v3 offset:780
	s_wait_dscnt 0x0
	v_fmac_f32_e32 v29, v34, v35
.LBB98_1074:                            ;   in Loop: Header=BB98_3 Depth=1
	s_or_b32 exec_lo, exec_lo, s41
.LBB98_1075:                            ;   in Loop: Header=BB98_3 Depth=1
	s_delay_alu instid0(SALU_CYCLE_1)
	s_or_b32 exec_lo, exec_lo, s40
	s_and_saveexec_b32 s40, s88
; %bb.1076:                             ;   in Loop: Header=BB98_3 Depth=1
	s_delay_alu instid0(VALU_DEP_1)
	v_xor_b32_e32 v34, 0x80000000, v29
	ds_store_b32 v44, v34
; %bb.1077:                             ;   in Loop: Header=BB98_3 Depth=1
	s_or_b32 exec_lo, exec_lo, s40
	s_wait_loadcnt_dscnt 0x0
	s_barrier_signal -1
	s_barrier_wait -1
	s_and_saveexec_b32 s40, s89
	s_cbranch_execz .LBB98_1079
; %bb.1078:                             ;   in Loop: Header=BB98_3 Depth=1
	ds_load_b32 v34, v3 offset:256
	ds_load_b32 v35, v44
	s_wait_dscnt 0x0
	v_fma_f32 v29, -v34, v35, v29
.LBB98_1079:                            ;   in Loop: Header=BB98_3 Depth=1
	s_or_b32 exec_lo, exec_lo, s40
	s_barrier_signal -1
	s_barrier_wait -1
	s_and_saveexec_b32 s40, s89
; %bb.1080:                             ;   in Loop: Header=BB98_3 Depth=1
	v_xor_b32_e32 v34, 0x80000000, v29
	ds_store_b32 v44, v34
; %bb.1081:                             ;   in Loop: Header=BB98_3 Depth=1
	s_or_b32 exec_lo, exec_lo, s40
	s_wait_dscnt 0x0
	s_barrier_signal -1
	s_barrier_wait -1
	s_barrier_signal -1
	s_barrier_wait -1
	s_and_saveexec_b32 s40, s2
; %bb.1082:                             ;   in Loop: Header=BB98_3 Depth=1
	ds_store_b32 v49, v29 offset:768
; %bb.1083:                             ;   in Loop: Header=BB98_3 Depth=1
	s_or_b32 exec_lo, exec_lo, s40
	s_wait_dscnt 0x0
	s_barrier_signal -1
	s_barrier_wait -1
	s_barrier_signal -1
	s_barrier_wait -1
	s_and_saveexec_b32 s40, s90
	s_cbranch_execz .LBB98_1085
; %bb.1084:                             ;   in Loop: Header=BB98_3 Depth=1
	ds_load_b32 v29, v61 offset:512
	s_wait_dscnt 0x0
	ds_store_b32 v58, v29 offset:8
	ds_load_b32 v29, v61 offset:516
	s_wait_dscnt 0x0
	ds_store_b32 v58, v29 offset:264
.LBB98_1085:                            ;   in Loop: Header=BB98_3 Depth=1
	s_or_b32 exec_lo, exec_lo, s40
	s_wait_dscnt 0x0
	s_barrier_signal -1
	s_barrier_wait -1
	s_and_saveexec_b32 s40, s11
	s_cbranch_execz .LBB98_1087
; %bb.1086:                             ;   in Loop: Header=BB98_3 Depth=1
	ds_load_b32 v29, v3 offset:256
	ds_store_b32 v3, v28 offset:260
	s_wait_dscnt 0x1
	ds_store_b64 v3, v[28:29]
.LBB98_1087:                            ;   in Loop: Header=BB98_3 Depth=1
	s_or_b32 exec_lo, exec_lo, s40
.LBB98_1088:                            ;   in Loop: Header=BB98_3 Depth=1
	v_add_nc_u64_e32 v[32:33], s[68:69], v[32:33]
	v_mov_b32_e32 v29, 0
	s_wait_dscnt 0x0
	s_barrier_signal -1
	s_barrier_wait -1
	s_and_saveexec_b32 s40, s85
	s_cbranch_execz .LBB98_1090
; %bb.1089:                             ;   in Loop: Header=BB98_3 Depth=1
	v_lshl_add_u64 v[34:35], v[0:1], 2, v[32:33]
	flat_load_b32 v29, v[34:35]
	s_wait_loadcnt_dscnt 0x0
	v_mul_f32_e64 v29, v29, -v2
.LBB98_1090:                            ;   in Loop: Header=BB98_3 Depth=1
	s_or_b32 exec_lo, exec_lo, s40
	s_delay_alu instid0(SALU_CYCLE_1)
	s_and_not1_b32 vcc_lo, exec_lo, s39
	s_cbranch_vccnz .LBB98_1116
; %bb.1091:                             ;   in Loop: Header=BB98_3 Depth=1
	v_mov_b32_e32 v36, -1
	s_lshl_b64 s[40:41], s[62:63], 2
	s_delay_alu instid0(SALU_CYCLE_1)
	s_add_nc_u64 s[80:81], s[76:77], s[40:41]
	s_mov_b32 s40, 0
	s_branch .LBB98_1094
.LBB98_1092:                            ;   in Loop: Header=BB98_1094 Depth=2
	s_wait_xcnt 0x0
	ds_load_b32 v34, v70 offset:192
	s_wait_loadcnt_dscnt 0x0
	v_fmac_f32_e32 v29, v2, v34
.LBB98_1093:                            ;   in Loop: Header=BB98_1094 Depth=2
	s_or_b32 exec_lo, exec_lo, s41
	s_add_co_i32 s40, s40, 1
	s_delay_alu instid0(SALU_CYCLE_1)
	s_cmp_eq_u32 s40, s84
	s_cbranch_scc1 .LBB98_1116
.LBB98_1094:                            ;   Parent Loop BB98_3 Depth=1
                                        ; =>  This Loop Header: Depth=2
                                        ;       Child Loop BB98_1096 Depth 3
	v_cmp_gt_i32_e32 vcc_lo, s40, v36
	s_and_b32 s42, s55, vcc_lo
	s_delay_alu instid0(SALU_CYCLE_1)
	s_and_saveexec_b32 s41, s42
	s_cbranch_execz .LBB98_1097
; %bb.1095:                             ;   in Loop: Header=BB98_1094 Depth=2
	global_load_b32 v36, v3, s[80:81]
	s_wait_loadcnt 0x0
	v_cmp_le_i32_e32 vcc_lo, s40, v36
	s_cbranch_vccnz .LBB98_1097
.LBB98_1096:                            ;   Parent Loop BB98_3 Depth=1
                                        ;     Parent Loop BB98_1094 Depth=2
                                        ; =>    This Inner Loop Header: Depth=3
	global_wb scope:SCOPE_DEV
	s_wait_storecnt 0x0
	global_inv scope:SCOPE_DEV
	global_load_b32 v36, v3, s[80:81]
	s_wait_loadcnt 0x0
	v_cmp_gt_i32_e32 vcc_lo, s40, v36
	s_cbranch_vccnz .LBB98_1096
.LBB98_1097:                            ;   in Loop: Header=BB98_1094 Depth=2
	s_or_b32 exec_lo, exec_lo, s41
	s_lshl_b32 s61, s40, 6
	global_wb scope:SCOPE_DEV
	s_wait_storecnt 0x0
	global_inv scope:SCOPE_DEV
	s_wait_loadcnt 0x0
	s_barrier_signal -1
	s_barrier_wait -1
	s_and_saveexec_b32 s41, s56
	s_cbranch_execz .LBB98_1101
; %bb.1098:                             ;   in Loop: Header=BB98_1094 Depth=2
	v_dual_mov_b32 v34, 0 :: v_dual_bitop2_b32 v2, s61, v8 bitop3:0x54
	s_mov_b32 s42, exec_lo
	s_delay_alu instid0(VALU_DEP_1)
	v_cmpx_gt_i32_e64 s83, v2
	s_cbranch_execz .LBB98_1100
; %bb.1099:                             ;   in Loop: Header=BB98_1094 Depth=2
	v_mul_u64_e32 v[34:35], s[70:71], v[2:3]
	s_delay_alu instid0(VALU_DEP_1)
	v_lshl_add_u64 v[34:35], v[34:35], 2, v[32:33]
	flat_load_b32 v34, v[34:35]
.LBB98_1100:                            ;   in Loop: Header=BB98_1094 Depth=2
	s_wait_xcnt 0x0
	s_or_b32 exec_lo, exec_lo, s42
	s_wait_loadcnt_dscnt 0x0
	ds_store_b32 v71, v34
.LBB98_1101:                            ;   in Loop: Header=BB98_1094 Depth=2
	s_or_b32 exec_lo, exec_lo, s41
	v_add_nc_u32_e32 v2, s61, v6
	v_cmp_ne_u32_e32 vcc_lo, s40, v5
	s_wait_dscnt 0x0
	s_barrier_signal -1
	s_barrier_wait -1
	v_cmp_gt_i32_e64 s61, s83, v2
	v_lshl_add_u64 v[34:35], v[2:3], 2, v[30:31]
	v_cndmask_b32_e64 v37, 0, 1, vcc_lo
	s_and_b32 s42, s61, s0
	s_delay_alu instid0(SALU_CYCLE_1)
	s_and_saveexec_b32 s41, s42
	s_cbranch_execz .LBB98_1105
; %bb.1102:                             ;   in Loop: Header=BB98_1094 Depth=2
	v_mov_b32_e32 v86, v82
	s_and_not1_b32 vcc_lo, exec_lo, vcc_lo
	s_cbranch_vccnz .LBB98_1104
; %bb.1103:                             ;   in Loop: Header=BB98_1094 Depth=2
	flat_load_b32 v86, v[34:35]
.LBB98_1104:                            ;   in Loop: Header=BB98_1094 Depth=2
	ds_load_b32 v87, v70
	s_wait_loadcnt_dscnt 0x0
	v_fmac_f32_e32 v29, v86, v87
.LBB98_1105:                            ;   in Loop: Header=BB98_1094 Depth=2
	s_or_b32 exec_lo, exec_lo, s41
	v_add_nc_u32_e32 v86, 16, v2
	s_delay_alu instid0(VALU_DEP_1) | instskip(SKIP_1) | instid1(SALU_CYCLE_1)
	v_cmp_gt_i32_e32 vcc_lo, s83, v86
	s_and_b32 s42, vcc_lo, s0
	s_and_saveexec_b32 s41, s42
	s_cbranch_execz .LBB98_1109
; %bb.1106:                             ;   in Loop: Header=BB98_1094 Depth=2
	v_cmp_ne_u32_e32 vcc_lo, 1, v37
	v_mov_b32_e32 v86, v83
	s_cbranch_vccnz .LBB98_1108
; %bb.1107:                             ;   in Loop: Header=BB98_1094 Depth=2
	flat_load_b32 v86, v[34:35] offset:64
.LBB98_1108:                            ;   in Loop: Header=BB98_1094 Depth=2
	ds_load_b32 v87, v70 offset:64
	s_wait_loadcnt_dscnt 0x0
	v_fmac_f32_e32 v29, v86, v87
.LBB98_1109:                            ;   in Loop: Header=BB98_1094 Depth=2
	s_or_b32 exec_lo, exec_lo, s41
	v_add_nc_u32_e32 v86, 32, v2
	s_delay_alu instid0(VALU_DEP_1) | instskip(SKIP_1) | instid1(SALU_CYCLE_1)
	v_cmp_gt_i32_e32 vcc_lo, s83, v86
	s_and_b32 s42, vcc_lo, s0
	s_and_saveexec_b32 s41, s42
	s_cbranch_execz .LBB98_1113
; %bb.1110:                             ;   in Loop: Header=BB98_1094 Depth=2
	v_cmp_ne_u32_e32 vcc_lo, 1, v37
	v_mov_b32_e32 v86, v84
	s_cbranch_vccnz .LBB98_1112
; %bb.1111:                             ;   in Loop: Header=BB98_1094 Depth=2
	flat_load_b32 v86, v[34:35] offset:128
.LBB98_1112:                            ;   in Loop: Header=BB98_1094 Depth=2
	ds_load_b32 v87, v70 offset:128
	s_wait_loadcnt_dscnt 0x0
	v_fmac_f32_e32 v29, v86, v87
.LBB98_1113:                            ;   in Loop: Header=BB98_1094 Depth=2
	s_or_b32 exec_lo, exec_lo, s41
	v_add_nc_u32_e32 v2, 48, v2
	s_delay_alu instid0(VALU_DEP_1) | instskip(SKIP_1) | instid1(SALU_CYCLE_1)
	v_cmp_gt_i32_e32 vcc_lo, s83, v2
	s_and_b32 s42, vcc_lo, s0
	s_and_saveexec_b32 s41, s42
	s_cbranch_execz .LBB98_1093
; %bb.1114:                             ;   in Loop: Header=BB98_1094 Depth=2
	v_cmp_ne_u32_e32 vcc_lo, 1, v37
	v_mov_b32_e32 v2, v85
	s_cbranch_vccnz .LBB98_1092
; %bb.1115:                             ;   in Loop: Header=BB98_1094 Depth=2
	flat_load_b32 v2, v[34:35] offset:192
	s_branch .LBB98_1092
.LBB98_1116:                            ;   in Loop: Header=BB98_3 Depth=1
	ds_store_b32 v72, v29
	s_wait_dscnt 0x0
	s_barrier_signal -1
	s_barrier_wait -1
	s_and_saveexec_b32 s40, s3
	s_cbranch_execz .LBB98_1118
; %bb.1117:                             ;   in Loop: Header=BB98_3 Depth=1
	ds_load_2addr_stride64_b32 v[30:31], v73 offset0:1 offset1:2
	ds_load_2addr_stride64_b32 v[34:35], v73 offset0:3 offset1:4
	;; [unrolled: 1-line block ×4, first 2 shown]
	v_readlane_b32 s41, v89, 4
	s_wait_dscnt 0x3
	v_add_f32_e32 v2, v29, v30
	s_delay_alu instid0(VALU_DEP_1) | instskip(SKIP_3) | instid1(VALU_DEP_1)
	v_add_f32_e32 v2, v2, v31
	ds_load_2addr_stride64_b32 v[30:31], v73 offset0:9 offset1:10
	s_wait_dscnt 0x3
	v_add_f32_e32 v2, v2, v34
	v_add_f32_e32 v2, v2, v35
	ds_load_2addr_stride64_b32 v[34:35], v73 offset0:11 offset1:12
	s_wait_dscnt 0x3
	v_add_f32_e32 v2, v2, v36
	s_delay_alu instid0(VALU_DEP_1) | instskip(SKIP_4) | instid1(VALU_DEP_1)
	v_add_f32_e32 v2, v2, v37
	ds_load_2addr_stride64_b32 v[36:37], v73 offset0:13 offset1:14
	ds_load_b32 v29, v73 offset:3840
	s_wait_dscnt 0x4
	v_add_f32_e32 v2, v2, v86
	v_add_f32_e32 v2, v2, v87
	s_wait_dscnt 0x3
	s_delay_alu instid0(VALU_DEP_1) | instskip(NEXT) | instid1(VALU_DEP_1)
	v_add_f32_e32 v2, v2, v30
	v_add_f32_e32 v2, v2, v31
	s_wait_dscnt 0x2
	s_delay_alu instid0(VALU_DEP_1) | instskip(NEXT) | instid1(VALU_DEP_1)
	;; [unrolled: 4-line block ×4, first 2 shown]
	v_add_f32_e32 v2, v2, v29
	v_cndmask_b32_e64 v29, -v2, 0, s41
.LBB98_1118:                            ;   in Loop: Header=BB98_3 Depth=1
	s_or_b32 exec_lo, exec_lo, s40
	s_delay_alu instid0(SALU_CYCLE_1)
	s_and_not1_b32 vcc_lo, exec_lo, s87
	s_cbranch_vccnz .LBB98_1128
; %bb.1119:                             ;   in Loop: Header=BB98_3 Depth=1
	s_and_saveexec_b32 s40, s3
; %bb.1120:                             ;   in Loop: Header=BB98_3 Depth=1
	ds_store_b32 v75, v29
; %bb.1121:                             ;   in Loop: Header=BB98_3 Depth=1
	s_or_b32 exec_lo, exec_lo, s40
	v_mov_b32_e32 v2, 0
	s_wait_dscnt 0x0
	s_barrier_signal -1
	s_barrier_wait -1
	s_and_saveexec_b32 s40, s1
	s_cbranch_execnz .LBB98_1167
; %bb.1122:                             ;   in Loop: Header=BB98_3 Depth=1
	s_or_b32 exec_lo, exec_lo, s40
	s_and_saveexec_b32 s40, s8
	s_cbranch_execnz .LBB98_1168
.LBB98_1123:                            ;   in Loop: Header=BB98_3 Depth=1
	s_or_b32 exec_lo, exec_lo, s40
	s_and_saveexec_b32 s40, s9
	s_cbranch_execnz .LBB98_1169
.LBB98_1124:                            ;   in Loop: Header=BB98_3 Depth=1
	s_or_b32 exec_lo, exec_lo, s40
	s_and_saveexec_b32 s40, s10
	s_cbranch_execz .LBB98_1126
.LBB98_1125:                            ;   in Loop: Header=BB98_3 Depth=1
	ds_load_b32 v30, v74 offset:12288
	ds_load_b32 v31, v70 offset:192
	s_wait_dscnt 0x0
	v_fmac_f32_e32 v2, v30, v31
.LBB98_1126:                            ;   in Loop: Header=BB98_3 Depth=1
	s_or_b32 exec_lo, exec_lo, s40
	s_mov_b32 s40, 0
	s_mov_b32 s61, 0
	ds_store_b32 v72, v2
	s_wait_dscnt 0x0
	s_barrier_signal -1
	s_barrier_wait -1
                                        ; implicit-def: $vgpr30
	s_and_saveexec_b32 s80, s3
	s_cbranch_execz .LBB98_1170
; %bb.1127:                             ;   in Loop: Header=BB98_3 Depth=1
	ds_load_2addr_stride64_b32 v[30:31], v73 offset0:1 offset1:2
	ds_load_2addr_stride64_b32 v[34:35], v73 offset0:3 offset1:4
	;; [unrolled: 1-line block ×4, first 2 shown]
	s_mov_b32 s61, exec_lo
	s_wait_dscnt 0x3
	v_add_f32_e32 v2, v2, v30
	s_delay_alu instid0(VALU_DEP_1) | instskip(SKIP_3) | instid1(VALU_DEP_1)
	v_add_f32_e32 v2, v31, v2
	ds_load_2addr_stride64_b32 v[30:31], v73 offset0:9 offset1:10
	s_wait_dscnt 0x3
	v_add_f32_e32 v2, v34, v2
	v_add_f32_e32 v2, v35, v2
	ds_load_2addr_stride64_b32 v[34:35], v73 offset0:11 offset1:12
	s_wait_dscnt 0x3
	v_add_f32_e32 v2, v36, v2
	s_delay_alu instid0(VALU_DEP_1) | instskip(SKIP_1) | instid1(VALU_DEP_1)
	v_add_f32_e32 v2, v37, v2
	s_wait_dscnt 0x2
	v_add_f32_e32 v2, v86, v2
	ds_load_2addr_stride64_b32 v[36:37], v73 offset0:13 offset1:14
	ds_load_b32 v86, v73 offset:3840
	v_add_f32_e32 v2, v87, v2
	s_wait_dscnt 0x3
	s_delay_alu instid0(VALU_DEP_1) | instskip(NEXT) | instid1(VALU_DEP_1)
	v_add_f32_e32 v2, v30, v2
	v_add_f32_e32 v2, v31, v2
	s_wait_dscnt 0x2
	s_delay_alu instid0(VALU_DEP_1) | instskip(NEXT) | instid1(VALU_DEP_1)
	v_add_f32_e32 v2, v34, v2
	;; [unrolled: 4-line block ×3, first 2 shown]
	v_add_f32_e32 v2, v37, v2
	s_wait_dscnt 0x0
	s_delay_alu instid0(VALU_DEP_1) | instskip(SKIP_1) | instid1(SALU_CYCLE_1)
	v_add_f32_e32 v30, v86, v2
	s_or_b32 exec_lo, exec_lo, s80
	s_and_b32 vcc_lo, exec_lo, s40
	s_cbranch_vccnz .LBB98_1129
	s_branch .LBB98_1171
.LBB98_1128:                            ;   in Loop: Header=BB98_3 Depth=1
	s_mov_b32 s61, 0
                                        ; implicit-def: $vgpr30
	s_cbranch_execz .LBB98_1171
.LBB98_1129:                            ;   in Loop: Header=BB98_3 Depth=1
	v_dual_mov_b32 v2, v4 :: v_dual_mov_b32 v30, v81
	s_mov_b32 s40, 0
	s_branch .LBB98_1131
.LBB98_1130:                            ;   in Loop: Header=BB98_1131 Depth=2
	s_or_b32 exec_lo, exec_lo, s41
	v_add_nc_u32_e32 v30, 0x400, v30
	v_add_nc_u32_e32 v2, -4, v2
	s_add_co_i32 s40, s40, 4
	s_delay_alu instid0(SALU_CYCLE_1)
	s_cmp_lg_u32 s40, 64
	s_barrier_signal -1
	s_barrier_wait -1
	s_cbranch_scc0 .LBB98_1147
.LBB98_1131:                            ;   Parent Loop BB98_3 Depth=1
                                        ; =>  This Inner Loop Header: Depth=2
	s_delay_alu instid0(VALU_DEP_1) | instskip(SKIP_1) | instid1(SALU_CYCLE_1)
	v_cmp_eq_u32_e32 vcc_lo, 0, v2
	s_and_b32 s42, s3, vcc_lo
	s_and_saveexec_b32 s41, s42
; %bb.1132:                             ;   in Loop: Header=BB98_1131 Depth=2
	ds_store_b32 v3, v29 offset:20736
; %bb.1133:                             ;   in Loop: Header=BB98_1131 Depth=2
	s_or_b32 exec_lo, exec_lo, s41
	v_cmp_lt_u32_e32 vcc_lo, s40, v4
	s_wait_dscnt 0x0
	s_barrier_signal -1
	s_barrier_wait -1
	s_and_b32 s42, s3, vcc_lo
	s_delay_alu instid0(SALU_CYCLE_1)
	s_and_saveexec_b32 s41, s42
	s_cbranch_execz .LBB98_1135
; %bb.1134:                             ;   in Loop: Header=BB98_1131 Depth=2
	ds_load_b32 v31, v30
	ds_load_b32 v34, v3 offset:20736
	s_wait_dscnt 0x0
	v_fmac_f32_e32 v29, v31, v34
.LBB98_1135:                            ;   in Loop: Header=BB98_1131 Depth=2
	s_or_b32 exec_lo, exec_lo, s41
	s_or_b32 s41, s40, 1
	s_delay_alu instid0(SALU_CYCLE_1) | instskip(SKIP_3) | instid1(SALU_CYCLE_1)
	v_cmp_eq_u32_e32 vcc_lo, s41, v4
	s_barrier_signal -1
	s_barrier_wait -1
	s_and_b32 s80, s3, vcc_lo
	s_and_saveexec_b32 s42, s80
; %bb.1136:                             ;   in Loop: Header=BB98_1131 Depth=2
	ds_store_b32 v3, v29 offset:20736
; %bb.1137:                             ;   in Loop: Header=BB98_1131 Depth=2
	s_or_b32 exec_lo, exec_lo, s42
	v_cmp_lt_u32_e32 vcc_lo, s41, v4
	s_wait_dscnt 0x0
	s_barrier_signal -1
	s_barrier_wait -1
	s_and_b32 s42, s3, vcc_lo
	s_delay_alu instid0(SALU_CYCLE_1)
	s_and_saveexec_b32 s41, s42
	s_cbranch_execz .LBB98_1139
; %bb.1138:                             ;   in Loop: Header=BB98_1131 Depth=2
	ds_load_b32 v31, v30 offset:256
	ds_load_b32 v34, v3 offset:20736
	s_wait_dscnt 0x0
	v_fmac_f32_e32 v29, v31, v34
.LBB98_1139:                            ;   in Loop: Header=BB98_1131 Depth=2
	s_or_b32 exec_lo, exec_lo, s41
	s_or_b32 s41, s40, 2
	s_delay_alu instid0(SALU_CYCLE_1) | instskip(SKIP_3) | instid1(SALU_CYCLE_1)
	v_cmp_eq_u32_e32 vcc_lo, s41, v4
	s_barrier_signal -1
	s_barrier_wait -1
	s_and_b32 s80, s3, vcc_lo
	s_and_saveexec_b32 s42, s80
; %bb.1140:                             ;   in Loop: Header=BB98_1131 Depth=2
	ds_store_b32 v3, v29 offset:20736
; %bb.1141:                             ;   in Loop: Header=BB98_1131 Depth=2
	s_or_b32 exec_lo, exec_lo, s42
	v_cmp_lt_u32_e32 vcc_lo, s41, v4
	s_wait_dscnt 0x0
	s_barrier_signal -1
	s_barrier_wait -1
	s_and_b32 s42, s3, vcc_lo
	s_delay_alu instid0(SALU_CYCLE_1)
	s_and_saveexec_b32 s41, s42
	s_cbranch_execz .LBB98_1143
; %bb.1142:                             ;   in Loop: Header=BB98_1131 Depth=2
	ds_load_b32 v31, v30 offset:512
	ds_load_b32 v34, v3 offset:20736
	s_wait_dscnt 0x0
	v_fmac_f32_e32 v29, v31, v34
.LBB98_1143:                            ;   in Loop: Header=BB98_1131 Depth=2
	s_or_b32 exec_lo, exec_lo, s41
	s_or_b32 s41, s40, 3
	s_delay_alu instid0(SALU_CYCLE_1) | instskip(SKIP_3) | instid1(SALU_CYCLE_1)
	v_cmp_eq_u32_e32 vcc_lo, s41, v4
	s_barrier_signal -1
	s_barrier_wait -1
	s_and_b32 s80, s3, vcc_lo
	s_and_saveexec_b32 s42, s80
; %bb.1144:                             ;   in Loop: Header=BB98_1131 Depth=2
	ds_store_b32 v3, v29 offset:20736
; %bb.1145:                             ;   in Loop: Header=BB98_1131 Depth=2
	s_or_b32 exec_lo, exec_lo, s42
	v_cmp_lt_u32_e32 vcc_lo, s41, v4
	s_wait_dscnt 0x0
	s_barrier_signal -1
	s_barrier_wait -1
	s_and_b32 s42, s3, vcc_lo
	s_delay_alu instid0(SALU_CYCLE_1)
	s_and_saveexec_b32 s41, s42
	s_cbranch_execz .LBB98_1130
; %bb.1146:                             ;   in Loop: Header=BB98_1131 Depth=2
	ds_load_b32 v31, v30 offset:768
	ds_load_b32 v34, v3 offset:20736
	s_wait_dscnt 0x0
	v_fmac_f32_e32 v29, v31, v34
	s_branch .LBB98_1130
.LBB98_1147:                            ;   in Loop: Header=BB98_3 Depth=1
	s_and_b32 vcc_lo, exec_lo, s86
	s_mov_b32 s40, -1
	s_cbranch_vccz .LBB98_1149
; %bb.1148:                             ;   in Loop: Header=BB98_3 Depth=1
	s_and_not1_b32 s41, s61, exec_lo
	s_and_b32 s42, s3, exec_lo
	s_mov_b32 s40, 0
	s_or_b32 s61, s41, s42
.LBB98_1149:                            ;   in Loop: Header=BB98_3 Depth=1
	s_and_not1_b32 vcc_lo, exec_lo, s40
	s_cbranch_vccnz .LBB98_1151
; %bb.1150:                             ;   in Loop: Header=BB98_3 Depth=1
	v_readlane_b32 s41, v89, 5
	s_and_not1_b32 s40, s61, exec_lo
	s_and_b32 s41, s41, exec_lo
	s_delay_alu instid0(SALU_CYCLE_1)
	s_or_b32 s61, s40, s41
.LBB98_1151:                            ;   in Loop: Header=BB98_3 Depth=1
	v_mov_b64_e32 v[30:31], v[24:25]
	s_and_saveexec_b32 s40, s61
	s_cbranch_execnz .LBB98_1172
	s_branch .LBB98_1173
.LBB98_1152:                            ;   in Loop: Header=BB98_3 Depth=1
	s_mov_b32 s41, exec_lo
	v_readlane_b32 s42, v88, 16
	s_and_b32 s42, s41, s42
	s_delay_alu instid0(SALU_CYCLE_1)
	s_mov_b32 exec_lo, s42
; %bb.1153:                             ;   in Loop: Header=BB98_3 Depth=1
	ds_store_b32 v76, v3
; %bb.1154:                             ;   in Loop: Header=BB98_3 Depth=1
	s_or_b32 exec_lo, exec_lo, s41
	s_and_not1_saveexec_b32 s40, s40
	s_cbranch_execz .LBB98_16
.LBB98_1155:                            ;   in Loop: Header=BB98_3 Depth=1
	v_lshl_add_u64 v[36:37], v[12:13], 2, v[34:35]
	flat_load_b32 v29, v[36:37]
	s_wait_loadcnt_dscnt 0x0
	v_xor_b32_e32 v29, 0x80000000, v29
	ds_store_b32 v76, v29
	s_or_b32 exec_lo, exec_lo, s40
	s_and_saveexec_b32 s40, s8
	s_delay_alu instid0(SALU_CYCLE_1)
	s_xor_b32 s40, exec_lo, s40
	s_cbranch_execz .LBB98_17
.LBB98_1156:                            ;   in Loop: Header=BB98_3 Depth=1
	s_mov_b32 s41, exec_lo
	v_readlane_b32 s42, v88, 17
	s_and_b32 s42, s41, s42
	s_delay_alu instid0(SALU_CYCLE_1)
	s_mov_b32 exec_lo, s42
; %bb.1157:                             ;   in Loop: Header=BB98_3 Depth=1
	ds_store_b32 v77, v3
; %bb.1158:                             ;   in Loop: Header=BB98_3 Depth=1
	s_or_b32 exec_lo, exec_lo, s41
	s_and_not1_saveexec_b32 s40, s40
	s_cbranch_execz .LBB98_18
.LBB98_1159:                            ;   in Loop: Header=BB98_3 Depth=1
	v_lshl_add_u64 v[36:37], v[14:15], 2, v[34:35]
	flat_load_b32 v29, v[36:37]
	s_wait_loadcnt_dscnt 0x0
	v_xor_b32_e32 v29, 0x80000000, v29
	ds_store_b32 v77, v29
	s_or_b32 exec_lo, exec_lo, s40
	s_and_saveexec_b32 s40, s9
	s_delay_alu instid0(SALU_CYCLE_1)
	s_xor_b32 s40, exec_lo, s40
	s_cbranch_execz .LBB98_19
.LBB98_1160:                            ;   in Loop: Header=BB98_3 Depth=1
	s_mov_b32 s41, exec_lo
	v_readlane_b32 s42, v88, 18
	s_and_b32 s42, s41, s42
	s_delay_alu instid0(SALU_CYCLE_1)
	s_mov_b32 exec_lo, s42
; %bb.1161:                             ;   in Loop: Header=BB98_3 Depth=1
	ds_store_b32 v78, v3
; %bb.1162:                             ;   in Loop: Header=BB98_3 Depth=1
	s_or_b32 exec_lo, exec_lo, s41
	s_and_not1_saveexec_b32 s40, s40
	s_cbranch_execz .LBB98_20
.LBB98_1163:                            ;   in Loop: Header=BB98_3 Depth=1
	v_lshl_add_u64 v[36:37], v[16:17], 2, v[34:35]
	flat_load_b32 v29, v[36:37]
	s_wait_loadcnt_dscnt 0x0
	v_xor_b32_e32 v29, 0x80000000, v29
	ds_store_b32 v78, v29
	s_or_b32 exec_lo, exec_lo, s40
	s_and_saveexec_b32 s40, s10
	s_delay_alu instid0(SALU_CYCLE_1)
	s_xor_b32 s40, exec_lo, s40
	s_cbranch_execz .LBB98_21
.LBB98_1164:                            ;   in Loop: Header=BB98_3 Depth=1
	s_mov_b32 s41, exec_lo
	v_readlane_b32 s42, v88, 19
	s_and_b32 s42, s41, s42
	s_delay_alu instid0(SALU_CYCLE_1)
	s_mov_b32 exec_lo, s42
; %bb.1165:                             ;   in Loop: Header=BB98_3 Depth=1
	ds_store_b32 v79, v3
; %bb.1166:                             ;   in Loop: Header=BB98_3 Depth=1
	s_or_b32 exec_lo, exec_lo, s41
	s_and_not1_saveexec_b32 s40, s40
	s_cbranch_execnz .LBB98_22
	s_branch .LBB98_23
.LBB98_1167:                            ;   in Loop: Header=BB98_3 Depth=1
	ds_load_b32 v2, v74
	ds_load_b32 v30, v70
	s_wait_dscnt 0x0
	v_fma_f32 v2, v2, v30, 0
	s_or_b32 exec_lo, exec_lo, s40
	s_and_saveexec_b32 s40, s8
	s_cbranch_execz .LBB98_1123
.LBB98_1168:                            ;   in Loop: Header=BB98_3 Depth=1
	ds_load_b32 v30, v74 offset:4096
	ds_load_b32 v31, v70 offset:64
	s_wait_dscnt 0x0
	v_fmac_f32_e32 v2, v30, v31
	s_or_b32 exec_lo, exec_lo, s40
	s_and_saveexec_b32 s40, s9
	s_cbranch_execz .LBB98_1124
.LBB98_1169:                            ;   in Loop: Header=BB98_3 Depth=1
	ds_load_b32 v30, v74 offset:8192
	ds_load_b32 v31, v70 offset:128
	s_wait_dscnt 0x0
	v_fmac_f32_e32 v2, v30, v31
	s_or_b32 exec_lo, exec_lo, s40
	s_and_saveexec_b32 s40, s10
	s_cbranch_execnz .LBB98_1125
	s_branch .LBB98_1126
.LBB98_1170:                            ;   in Loop: Header=BB98_3 Depth=1
	s_or_b32 exec_lo, exec_lo, s80
	s_delay_alu instid0(SALU_CYCLE_1)
	s_and_b32 vcc_lo, exec_lo, s40
	s_cbranch_vccnz .LBB98_1129
.LBB98_1171:                            ;   in Loop: Header=BB98_3 Depth=1
	v_mov_b32_e32 v29, v30
	v_mov_b64_e32 v[30:31], v[22:23]
	s_and_saveexec_b32 s40, s61
	s_cbranch_execz .LBB98_1173
.LBB98_1172:                            ;   in Loop: Header=BB98_3 Depth=1
	s_delay_alu instid0(VALU_DEP_1)
	v_lshl_add_u64 v[30:31], v[30:31], 2, v[32:33]
	flat_store_b32 v[30:31], v29
.LBB98_1173:                            ;   in Loop: Header=BB98_3 Depth=1
	s_wait_xcnt 0x0
	s_or_b32 exec_lo, exec_lo, s40
	global_wb scope:SCOPE_DEV
	s_wait_storecnt_dscnt 0x0
	global_inv scope:SCOPE_DEV
	s_wait_loadcnt 0x0
	s_barrier_signal -1
	s_barrier_wait -1
	s_and_saveexec_b32 s40, s55
	s_cbranch_execz .LBB98_2
; %bb.1174:                             ;   in Loop: Header=BB98_3 Depth=1
	s_lshl_b64 s[80:81], s[62:63], 2
	s_delay_alu instid0(SALU_CYCLE_1)
	s_add_nc_u64 s[80:81], s[76:77], s[80:81]
	global_load_b32 v2, v3, s[80:81]
	s_wait_loadcnt 0x0
	v_add_nc_u32_e32 v2, 1, v2
	global_store_b32 v3, v2, s[80:81]
	s_branch .LBB98_2
.LBB98_1175:                            ;   in Loop: Header=BB98_3 Depth=1
	ds_load_b32 v34, v52 offset:15840
	ds_load_b32 v35, v53 offset:16372
	s_wait_dscnt 0x0
	v_fmac_f32_e32 v29, v34, v35
	s_or_b32 exec_lo, exec_lo, s41
	s_and_saveexec_b32 s41, s14
	s_cbranch_execz .LBB98_72
.LBB98_1176:                            ;   in Loop: Header=BB98_3 Depth=1
	ds_load_b32 v34, v52 offset:16096
	ds_load_b32 v35, v53 offset:16376
	s_wait_dscnt 0x0
	v_fmac_f32_e32 v29, v34, v35
	s_or_b32 exec_lo, exec_lo, s41
	s_and_saveexec_b32 s41, s2
	s_cbranch_execnz .LBB98_73
	s_branch .LBB98_74
.LBB98_1177:                            ;   in Loop: Header=BB98_3 Depth=1
	ds_load_b32 v34, v56 offset:14784
	ds_load_b32 v35, v59 offset:16356
	s_wait_dscnt 0x0
	v_fmac_f32_e32 v29, v34, v35
	s_or_b32 exec_lo, exec_lo, s41
	s_and_saveexec_b32 s41, s16
	s_cbranch_execz .LBB98_114
.LBB98_1178:                            ;   in Loop: Header=BB98_3 Depth=1
	ds_load_b32 v34, v56 offset:15040
	ds_load_b32 v35, v59 offset:16360
	s_wait_dscnt 0x0
	v_fmac_f32_e32 v29, v34, v35
	s_or_b32 exec_lo, exec_lo, s41
	s_and_saveexec_b32 s41, s17
	s_cbranch_execz .LBB98_115
.LBB98_1179:                            ;   in Loop: Header=BB98_3 Depth=1
	ds_load_b32 v34, v56 offset:15296
	ds_load_b32 v35, v59 offset:16364
	s_wait_dscnt 0x0
	v_fmac_f32_e32 v29, v34, v35
	s_or_b32 exec_lo, exec_lo, s41
	s_and_saveexec_b32 s41, s18
	s_cbranch_execz .LBB98_116
.LBB98_1180:                            ;   in Loop: Header=BB98_3 Depth=1
	ds_load_b32 v34, v56 offset:15552
	ds_load_b32 v35, v59 offset:16368
	s_wait_dscnt 0x0
	v_fmac_f32_e32 v29, v34, v35
	s_or_b32 exec_lo, exec_lo, s41
	s_and_saveexec_b32 s41, s19
	s_cbranch_execz .LBB98_117
.LBB98_1181:                            ;   in Loop: Header=BB98_3 Depth=1
	ds_load_b32 v34, v56 offset:15808
	ds_load_b32 v35, v59 offset:16372
	s_wait_dscnt 0x0
	v_fmac_f32_e32 v29, v34, v35
	s_or_b32 exec_lo, exec_lo, s41
	s_and_saveexec_b32 s41, s4
	s_cbranch_execz .LBB98_118
.LBB98_1182:                            ;   in Loop: Header=BB98_3 Depth=1
	ds_load_b32 v34, v56 offset:16064
	ds_load_b32 v35, v59 offset:16376
	s_wait_dscnt 0x0
	v_fmac_f32_e32 v29, v34, v35
	s_or_b32 exec_lo, exec_lo, s41
	s_and_saveexec_b32 s41, s14
	s_cbranch_execnz .LBB98_119
	s_branch .LBB98_120
.LBB98_1183:                            ;   in Loop: Header=BB98_3 Depth=1
	ds_load_b32 v34, v52 offset:13760
	ds_load_b32 v35, v53 offset:14292
	s_wait_dscnt 0x0
	v_fmac_f32_e32 v29, v34, v35
	s_or_b32 exec_lo, exec_lo, s41
	s_and_saveexec_b32 s41, s14
	s_cbranch_execz .LBB98_176
.LBB98_1184:                            ;   in Loop: Header=BB98_3 Depth=1
	ds_load_b32 v34, v52 offset:14016
	ds_load_b32 v35, v53 offset:14296
	s_wait_dscnt 0x0
	v_fmac_f32_e32 v29, v34, v35
	s_or_b32 exec_lo, exec_lo, s41
	s_and_saveexec_b32 s41, s2
	s_cbranch_execnz .LBB98_177
	s_branch .LBB98_178
.LBB98_1185:                            ;   in Loop: Header=BB98_3 Depth=1
	ds_load_b32 v34, v62 offset:15232
	ds_load_b32 v35, v65 offset:16364
	s_wait_dscnt 0x0
	v_fmac_f32_e32 v29, v34, v35
	s_or_b32 exec_lo, exec_lo, s40
	s_and_saveexec_b32 s40, s5
	s_cbranch_execz .LBB98_238
.LBB98_1186:                            ;   in Loop: Header=BB98_3 Depth=1
	ds_load_b32 v34, v62 offset:15488
	ds_load_b32 v35, v65 offset:16368
	s_wait_dscnt 0x0
	v_fmac_f32_e32 v29, v34, v35
	s_or_b32 exec_lo, exec_lo, s40
	s_and_saveexec_b32 s40, s16
	s_cbranch_execz .LBB98_239
.LBB98_1187:                            ;   in Loop: Header=BB98_3 Depth=1
	ds_load_b32 v34, v62 offset:15744
	ds_load_b32 v35, v65 offset:16372
	s_wait_dscnt 0x0
	v_fmac_f32_e32 v29, v34, v35
	s_or_b32 exec_lo, exec_lo, s40
	s_and_saveexec_b32 s40, s18
	s_cbranch_execz .LBB98_240
.LBB98_1188:                            ;   in Loop: Header=BB98_3 Depth=1
	ds_load_b32 v34, v62 offset:16000
	ds_load_b32 v35, v65 offset:16376
	s_wait_dscnt 0x0
	v_fmac_f32_e32 v29, v34, v35
	s_or_b32 exec_lo, exec_lo, s40
	s_and_saveexec_b32 s40, s4
	s_cbranch_execnz .LBB98_241
	s_branch .LBB98_242
.LBB98_1189:                            ;   in Loop: Header=BB98_3 Depth=1
	ds_load_b32 v34, v52 offset:11680
	ds_load_b32 v35, v53 offset:12212
	s_wait_dscnt 0x0
	v_fmac_f32_e32 v29, v34, v35
	s_or_b32 exec_lo, exec_lo, s41
	s_and_saveexec_b32 s41, s14
	s_cbranch_execz .LBB98_330
.LBB98_1190:                            ;   in Loop: Header=BB98_3 Depth=1
	ds_load_b32 v34, v52 offset:11936
	ds_load_b32 v35, v53 offset:12216
	s_wait_dscnt 0x0
	v_fmac_f32_e32 v29, v34, v35
	s_or_b32 exec_lo, exec_lo, s41
	s_and_saveexec_b32 s41, s2
	s_cbranch_execnz .LBB98_331
	s_branch .LBB98_332
.LBB98_1191:                            ;   in Loop: Header=BB98_3 Depth=1
	ds_load_b32 v34, v56 offset:10624
	ds_load_b32 v35, v59 offset:12196
	s_wait_dscnt 0x0
	v_fmac_f32_e32 v29, v34, v35
	s_or_b32 exec_lo, exec_lo, s41
	s_and_saveexec_b32 s41, s16
	s_cbranch_execz .LBB98_372
.LBB98_1192:                            ;   in Loop: Header=BB98_3 Depth=1
	ds_load_b32 v34, v56 offset:10880
	ds_load_b32 v35, v59 offset:12200
	s_wait_dscnt 0x0
	v_fmac_f32_e32 v29, v34, v35
	s_or_b32 exec_lo, exec_lo, s41
	s_and_saveexec_b32 s41, s17
	s_cbranch_execz .LBB98_373
.LBB98_1193:                            ;   in Loop: Header=BB98_3 Depth=1
	ds_load_b32 v34, v56 offset:11136
	ds_load_b32 v35, v59 offset:12204
	s_wait_dscnt 0x0
	v_fmac_f32_e32 v29, v34, v35
	s_or_b32 exec_lo, exec_lo, s41
	s_and_saveexec_b32 s41, s18
	s_cbranch_execz .LBB98_374
.LBB98_1194:                            ;   in Loop: Header=BB98_3 Depth=1
	ds_load_b32 v34, v56 offset:11392
	ds_load_b32 v35, v59 offset:12208
	s_wait_dscnt 0x0
	v_fmac_f32_e32 v29, v34, v35
	s_or_b32 exec_lo, exec_lo, s41
	s_and_saveexec_b32 s41, s19
	s_cbranch_execz .LBB98_375
.LBB98_1195:                            ;   in Loop: Header=BB98_3 Depth=1
	ds_load_b32 v34, v56 offset:11648
	ds_load_b32 v35, v59 offset:12212
	s_wait_dscnt 0x0
	v_fmac_f32_e32 v29, v34, v35
	s_or_b32 exec_lo, exec_lo, s41
	s_and_saveexec_b32 s41, s4
	s_cbranch_execz .LBB98_376
.LBB98_1196:                            ;   in Loop: Header=BB98_3 Depth=1
	ds_load_b32 v34, v56 offset:11904
	ds_load_b32 v35, v59 offset:12216
	s_wait_dscnt 0x0
	v_fmac_f32_e32 v29, v34, v35
	s_or_b32 exec_lo, exec_lo, s41
	s_and_saveexec_b32 s41, s14
	s_cbranch_execnz .LBB98_377
	s_branch .LBB98_378
.LBB98_1197:                            ;   in Loop: Header=BB98_3 Depth=1
	ds_load_b32 v34, v52 offset:9600
	ds_load_b32 v35, v53 offset:10132
	s_wait_dscnt 0x0
	v_fmac_f32_e32 v29, v34, v35
	s_or_b32 exec_lo, exec_lo, s41
	s_and_saveexec_b32 s41, s14
	s_cbranch_execz .LBB98_434
.LBB98_1198:                            ;   in Loop: Header=BB98_3 Depth=1
	ds_load_b32 v34, v52 offset:9856
	ds_load_b32 v35, v53 offset:10136
	s_wait_dscnt 0x0
	v_fmac_f32_e32 v29, v34, v35
	s_or_b32 exec_lo, exec_lo, s41
	s_and_saveexec_b32 s41, s2
	s_cbranch_execnz .LBB98_435
	s_branch .LBB98_436
.LBB98_1199:                            ;   in Loop: Header=BB98_3 Depth=1
	ds_load_b32 v34, v64 offset:15616
	ds_load_b32 v35, v68 offset:16372
	s_wait_dscnt 0x0
	v_fmac_f32_e32 v29, v34, v35
	s_or_b32 exec_lo, exec_lo, s40
	s_and_saveexec_b32 s40, s5
	s_cbranch_execz .LBB98_532
.LBB98_1200:                            ;   in Loop: Header=BB98_3 Depth=1
	ds_load_b32 v34, v64 offset:15872
	ds_load_b32 v35, v68 offset:16376
	s_wait_dscnt 0x0
	v_fmac_f32_e32 v29, v34, v35
	s_or_b32 exec_lo, exec_lo, s40
	s_and_saveexec_b32 s40, s18
	s_cbranch_execnz .LBB98_533
	s_branch .LBB98_534
.LBB98_1201:                            ;   in Loop: Header=BB98_3 Depth=1
	ds_load_b32 v34, v52 offset:7520
	ds_load_b32 v35, v53 offset:8052
	s_wait_dscnt 0x0
	v_fmac_f32_e32 v29, v34, v35
	s_or_b32 exec_lo, exec_lo, s41
	s_and_saveexec_b32 s41, s14
	s_cbranch_execz .LBB98_686
.LBB98_1202:                            ;   in Loop: Header=BB98_3 Depth=1
	ds_load_b32 v34, v52 offset:7776
	ds_load_b32 v35, v53 offset:8056
	s_wait_dscnt 0x0
	v_fmac_f32_e32 v29, v34, v35
	s_or_b32 exec_lo, exec_lo, s41
	s_and_saveexec_b32 s41, s2
	s_cbranch_execnz .LBB98_687
	s_branch .LBB98_688
.LBB98_1203:                            ;   in Loop: Header=BB98_3 Depth=1
	ds_load_b32 v34, v56 offset:6464
	ds_load_b32 v35, v59 offset:8036
	s_wait_dscnt 0x0
	v_fmac_f32_e32 v29, v34, v35
	s_or_b32 exec_lo, exec_lo, s41
	s_and_saveexec_b32 s41, s16
	s_cbranch_execz .LBB98_728
.LBB98_1204:                            ;   in Loop: Header=BB98_3 Depth=1
	ds_load_b32 v34, v56 offset:6720
	ds_load_b32 v35, v59 offset:8040
	s_wait_dscnt 0x0
	v_fmac_f32_e32 v29, v34, v35
	s_or_b32 exec_lo, exec_lo, s41
	s_and_saveexec_b32 s41, s17
	s_cbranch_execz .LBB98_729
.LBB98_1205:                            ;   in Loop: Header=BB98_3 Depth=1
	ds_load_b32 v34, v56 offset:6976
	ds_load_b32 v35, v59 offset:8044
	s_wait_dscnt 0x0
	v_fmac_f32_e32 v29, v34, v35
	s_or_b32 exec_lo, exec_lo, s41
	s_and_saveexec_b32 s41, s18
	s_cbranch_execz .LBB98_730
.LBB98_1206:                            ;   in Loop: Header=BB98_3 Depth=1
	ds_load_b32 v34, v56 offset:7232
	ds_load_b32 v35, v59 offset:8048
	s_wait_dscnt 0x0
	v_fmac_f32_e32 v29, v34, v35
	s_or_b32 exec_lo, exec_lo, s41
	s_and_saveexec_b32 s41, s19
	s_cbranch_execz .LBB98_731
.LBB98_1207:                            ;   in Loop: Header=BB98_3 Depth=1
	ds_load_b32 v34, v56 offset:7488
	ds_load_b32 v35, v59 offset:8052
	s_wait_dscnt 0x0
	v_fmac_f32_e32 v29, v34, v35
	s_or_b32 exec_lo, exec_lo, s41
	s_and_saveexec_b32 s41, s4
	s_cbranch_execz .LBB98_732
.LBB98_1208:                            ;   in Loop: Header=BB98_3 Depth=1
	ds_load_b32 v34, v56 offset:7744
	ds_load_b32 v35, v59 offset:8056
	s_wait_dscnt 0x0
	v_fmac_f32_e32 v29, v34, v35
	s_or_b32 exec_lo, exec_lo, s41
	s_and_saveexec_b32 s41, s14
	s_cbranch_execnz .LBB98_733
	s_branch .LBB98_734
.LBB98_1209:                            ;   in Loop: Header=BB98_3 Depth=1
	ds_load_b32 v34, v52 offset:5440
	ds_load_b32 v35, v53 offset:5972
	s_wait_dscnt 0x0
	v_fmac_f32_e32 v29, v34, v35
	s_or_b32 exec_lo, exec_lo, s41
	s_and_saveexec_b32 s41, s14
	s_cbranch_execz .LBB98_790
.LBB98_1210:                            ;   in Loop: Header=BB98_3 Depth=1
	ds_load_b32 v34, v52 offset:5696
	ds_load_b32 v35, v53 offset:5976
	s_wait_dscnt 0x0
	v_fmac_f32_e32 v29, v34, v35
	s_or_b32 exec_lo, exec_lo, s41
	s_and_saveexec_b32 s41, s2
	s_cbranch_execnz .LBB98_791
	s_branch .LBB98_792
.LBB98_1211:                            ;   in Loop: Header=BB98_3 Depth=1
	ds_load_b32 v34, v62 offset:6912
	ds_load_b32 v35, v65 offset:8044
	s_wait_dscnt 0x0
	v_fmac_f32_e32 v29, v34, v35
	s_or_b32 exec_lo, exec_lo, s40
	s_and_saveexec_b32 s40, s5
	s_cbranch_execz .LBB98_852
.LBB98_1212:                            ;   in Loop: Header=BB98_3 Depth=1
	ds_load_b32 v34, v62 offset:7168
	ds_load_b32 v35, v65 offset:8048
	s_wait_dscnt 0x0
	v_fmac_f32_e32 v29, v34, v35
	s_or_b32 exec_lo, exec_lo, s40
	s_and_saveexec_b32 s40, s16
	s_cbranch_execz .LBB98_853
.LBB98_1213:                            ;   in Loop: Header=BB98_3 Depth=1
	ds_load_b32 v34, v62 offset:7424
	ds_load_b32 v35, v65 offset:8052
	s_wait_dscnt 0x0
	v_fmac_f32_e32 v29, v34, v35
	s_or_b32 exec_lo, exec_lo, s40
	s_and_saveexec_b32 s40, s18
	s_cbranch_execz .LBB98_854
.LBB98_1214:                            ;   in Loop: Header=BB98_3 Depth=1
	ds_load_b32 v34, v62 offset:7680
	ds_load_b32 v35, v65 offset:8056
	s_wait_dscnt 0x0
	v_fmac_f32_e32 v29, v34, v35
	s_or_b32 exec_lo, exec_lo, s40
	s_and_saveexec_b32 s40, s4
	s_cbranch_execnz .LBB98_855
	s_branch .LBB98_856
.LBB98_1215:                            ;   in Loop: Header=BB98_3 Depth=1
	ds_load_b32 v34, v52 offset:3360
	ds_load_b32 v35, v53 offset:3892
	s_wait_dscnt 0x0
	v_fmac_f32_e32 v29, v34, v35
	s_or_b32 exec_lo, exec_lo, s41
	s_and_saveexec_b32 s41, s14
	s_cbranch_execz .LBB98_944
.LBB98_1216:                            ;   in Loop: Header=BB98_3 Depth=1
	ds_load_b32 v34, v52 offset:3616
	ds_load_b32 v35, v53 offset:3896
	s_wait_dscnt 0x0
	v_fmac_f32_e32 v29, v34, v35
	s_or_b32 exec_lo, exec_lo, s41
	s_and_saveexec_b32 s41, s2
	s_cbranch_execnz .LBB98_945
	s_branch .LBB98_946
.LBB98_1217:                            ;   in Loop: Header=BB98_3 Depth=1
	ds_load_b32 v34, v56 offset:2304
	ds_load_b32 v35, v59 offset:3876
	s_wait_dscnt 0x0
	v_fmac_f32_e32 v29, v34, v35
	s_or_b32 exec_lo, exec_lo, s41
	s_and_saveexec_b32 s41, s16
	s_cbranch_execz .LBB98_986
.LBB98_1218:                            ;   in Loop: Header=BB98_3 Depth=1
	ds_load_b32 v34, v56 offset:2560
	ds_load_b32 v35, v59 offset:3880
	s_wait_dscnt 0x0
	v_fmac_f32_e32 v29, v34, v35
	s_or_b32 exec_lo, exec_lo, s41
	s_and_saveexec_b32 s41, s17
	s_cbranch_execz .LBB98_987
.LBB98_1219:                            ;   in Loop: Header=BB98_3 Depth=1
	ds_load_b32 v34, v56 offset:2816
	ds_load_b32 v35, v59 offset:3884
	s_wait_dscnt 0x0
	v_fmac_f32_e32 v29, v34, v35
	s_or_b32 exec_lo, exec_lo, s41
	s_and_saveexec_b32 s41, s18
	s_cbranch_execz .LBB98_988
.LBB98_1220:                            ;   in Loop: Header=BB98_3 Depth=1
	ds_load_b32 v34, v56 offset:3072
	ds_load_b32 v35, v59 offset:3888
	s_wait_dscnt 0x0
	v_fmac_f32_e32 v29, v34, v35
	s_or_b32 exec_lo, exec_lo, s41
	s_and_saveexec_b32 s41, s19
	s_cbranch_execz .LBB98_989
.LBB98_1221:                            ;   in Loop: Header=BB98_3 Depth=1
	ds_load_b32 v34, v56 offset:3328
	ds_load_b32 v35, v59 offset:3892
	s_wait_dscnt 0x0
	v_fmac_f32_e32 v29, v34, v35
	s_or_b32 exec_lo, exec_lo, s41
	s_and_saveexec_b32 s41, s4
	s_cbranch_execz .LBB98_990
.LBB98_1222:                            ;   in Loop: Header=BB98_3 Depth=1
	ds_load_b32 v34, v56 offset:3584
	ds_load_b32 v35, v59 offset:3896
	s_wait_dscnt 0x0
	v_fmac_f32_e32 v29, v34, v35
	s_or_b32 exec_lo, exec_lo, s41
	s_and_saveexec_b32 s41, s14
	s_cbranch_execnz .LBB98_991
	s_branch .LBB98_992
.LBB98_1223:                            ;   in Loop: Header=BB98_3 Depth=1
	ds_load_b32 v34, v52 offset:1280
	ds_load_b32 v35, v53 offset:1812
	s_wait_dscnt 0x0
	v_fmac_f32_e32 v29, v34, v35
	s_or_b32 exec_lo, exec_lo, s41
	s_and_saveexec_b32 s41, s14
	s_cbranch_execz .LBB98_1048
.LBB98_1224:                            ;   in Loop: Header=BB98_3 Depth=1
	ds_load_b32 v34, v52 offset:1536
	ds_load_b32 v35, v53 offset:1816
	s_wait_dscnt 0x0
	v_fmac_f32_e32 v29, v34, v35
	s_or_b32 exec_lo, exec_lo, s41
	s_and_saveexec_b32 s41, s2
	s_cbranch_execnz .LBB98_1049
	s_branch .LBB98_1050
.LBB98_1225:
	s_endpgm
	.section	.rodata,"a",@progbits
	.p2align	6, 0x0
	.amdhsa_kernel _ZL19rocblas_trsv_deviceILi64ELi16ELb0ELb1ELb0ELb1EfPKfPKS1_PKPfEviT7_lllT6_T8_lllPii
		.amdhsa_group_segment_fixed_size 20740
		.amdhsa_private_segment_fixed_size 0
		.amdhsa_kernarg_size 352
		.amdhsa_user_sgpr_count 2
		.amdhsa_user_sgpr_dispatch_ptr 0
		.amdhsa_user_sgpr_queue_ptr 0
		.amdhsa_user_sgpr_kernarg_segment_ptr 1
		.amdhsa_user_sgpr_dispatch_id 0
		.amdhsa_user_sgpr_kernarg_preload_length 0
		.amdhsa_user_sgpr_kernarg_preload_offset 0
		.amdhsa_user_sgpr_private_segment_size 0
		.amdhsa_wavefront_size32 1
		.amdhsa_uses_dynamic_stack 0
		.amdhsa_enable_private_segment 0
		.amdhsa_system_sgpr_workgroup_id_x 1
		.amdhsa_system_sgpr_workgroup_id_y 0
		.amdhsa_system_sgpr_workgroup_id_z 1
		.amdhsa_system_sgpr_workgroup_info 0
		.amdhsa_system_vgpr_workitem_id 1
		.amdhsa_next_free_vgpr 92
		.amdhsa_next_free_sgpr 105
		.amdhsa_named_barrier_count 0
		.amdhsa_reserve_vcc 1
		.amdhsa_float_round_mode_32 0
		.amdhsa_float_round_mode_16_64 0
		.amdhsa_float_denorm_mode_32 3
		.amdhsa_float_denorm_mode_16_64 3
		.amdhsa_fp16_overflow 0
		.amdhsa_memory_ordered 1
		.amdhsa_forward_progress 1
		.amdhsa_inst_pref_size 255
		.amdhsa_round_robin_scheduling 0
		.amdhsa_exception_fp_ieee_invalid_op 0
		.amdhsa_exception_fp_denorm_src 0
		.amdhsa_exception_fp_ieee_div_zero 0
		.amdhsa_exception_fp_ieee_overflow 0
		.amdhsa_exception_fp_ieee_underflow 0
		.amdhsa_exception_fp_ieee_inexact 0
		.amdhsa_exception_int_div_zero 0
	.end_amdhsa_kernel
	.section	.text._ZL19rocblas_trsv_deviceILi64ELi16ELb0ELb1ELb0ELb1EfPKfPKS1_PKPfEviT7_lllT6_T8_lllPii,"axG",@progbits,_ZL19rocblas_trsv_deviceILi64ELi16ELb0ELb1ELb0ELb1EfPKfPKS1_PKPfEviT7_lllT6_T8_lllPii,comdat
.Lfunc_end98:
	.size	_ZL19rocblas_trsv_deviceILi64ELi16ELb0ELb1ELb0ELb1EfPKfPKS1_PKPfEviT7_lllT6_T8_lllPii, .Lfunc_end98-_ZL19rocblas_trsv_deviceILi64ELi16ELb0ELb1ELb0ELb1EfPKfPKS1_PKPfEviT7_lllT6_T8_lllPii
                                        ; -- End function
	.set _ZL19rocblas_trsv_deviceILi64ELi16ELb0ELb1ELb0ELb1EfPKfPKS1_PKPfEviT7_lllT6_T8_lllPii.num_vgpr, 92
	.set _ZL19rocblas_trsv_deviceILi64ELi16ELb0ELb1ELb0ELb1EfPKfPKS1_PKPfEviT7_lllT6_T8_lllPii.num_agpr, 0
	.set _ZL19rocblas_trsv_deviceILi64ELi16ELb0ELb1ELb0ELb1EfPKfPKS1_PKPfEviT7_lllT6_T8_lllPii.numbered_sgpr, 105
	.set _ZL19rocblas_trsv_deviceILi64ELi16ELb0ELb1ELb0ELb1EfPKfPKS1_PKPfEviT7_lllT6_T8_lllPii.num_named_barrier, 0
	.set _ZL19rocblas_trsv_deviceILi64ELi16ELb0ELb1ELb0ELb1EfPKfPKS1_PKPfEviT7_lllT6_T8_lllPii.private_seg_size, 0
	.set _ZL19rocblas_trsv_deviceILi64ELi16ELb0ELb1ELb0ELb1EfPKfPKS1_PKPfEviT7_lllT6_T8_lllPii.uses_vcc, 1
	.set _ZL19rocblas_trsv_deviceILi64ELi16ELb0ELb1ELb0ELb1EfPKfPKS1_PKPfEviT7_lllT6_T8_lllPii.uses_flat_scratch, 0
	.set _ZL19rocblas_trsv_deviceILi64ELi16ELb0ELb1ELb0ELb1EfPKfPKS1_PKPfEviT7_lllT6_T8_lllPii.has_dyn_sized_stack, 0
	.set _ZL19rocblas_trsv_deviceILi64ELi16ELb0ELb1ELb0ELb1EfPKfPKS1_PKPfEviT7_lllT6_T8_lllPii.has_recursion, 0
	.set _ZL19rocblas_trsv_deviceILi64ELi16ELb0ELb1ELb0ELb1EfPKfPKS1_PKPfEviT7_lllT6_T8_lllPii.has_indirect_call, 0
	.section	.AMDGPU.csdata,"",@progbits
; Kernel info:
; codeLenInByte = 36728
; TotalNumSgprs: 107
; NumVgprs: 92
; ScratchSize: 0
; MemoryBound: 0
; FloatMode: 240
; IeeeMode: 1
; LDSByteSize: 20740 bytes/workgroup (compile time only)
; SGPRBlocks: 0
; VGPRBlocks: 5
; NumSGPRsForWavesPerEU: 107
; NumVGPRsForWavesPerEU: 92
; NamedBarCnt: 0
; Occupancy: 10
; WaveLimiterHint : 1
; COMPUTE_PGM_RSRC2:SCRATCH_EN: 0
; COMPUTE_PGM_RSRC2:USER_SGPR: 2
; COMPUTE_PGM_RSRC2:TRAP_HANDLER: 0
; COMPUTE_PGM_RSRC2:TGID_X_EN: 1
; COMPUTE_PGM_RSRC2:TGID_Y_EN: 0
; COMPUTE_PGM_RSRC2:TGID_Z_EN: 1
; COMPUTE_PGM_RSRC2:TIDIG_COMP_CNT: 1
	.section	.text._ZL19rocblas_trsv_deviceILi64ELi16ELb0ELb1ELb1ELb1EfPKfPKS1_PKPfEviT7_lllT6_T8_lllPii,"axG",@progbits,_ZL19rocblas_trsv_deviceILi64ELi16ELb0ELb1ELb1ELb1EfPKfPKS1_PKPfEviT7_lllT6_T8_lllPii,comdat
	.globl	_ZL19rocblas_trsv_deviceILi64ELi16ELb0ELb1ELb1ELb1EfPKfPKS1_PKPfEviT7_lllT6_T8_lllPii ; -- Begin function _ZL19rocblas_trsv_deviceILi64ELi16ELb0ELb1ELb1ELb1EfPKfPKS1_PKPfEviT7_lllT6_T8_lllPii
	.p2align	8
	.type	_ZL19rocblas_trsv_deviceILi64ELi16ELb0ELb1ELb1ELb1EfPKfPKS1_PKPfEviT7_lllT6_T8_lllPii,@function
_ZL19rocblas_trsv_deviceILi64ELi16ELb0ELb1ELb1ELb1EfPKfPKS1_PKPfEviT7_lllT6_T8_lllPii: ; @_ZL19rocblas_trsv_deviceILi64ELi16ELb0ELb1ELb1ELb1EfPKfPKS1_PKPfEviT7_lllT6_T8_lllPii
; %bb.0:
	s_load_b32 s6, s[0:1], 0x58
	s_bfe_u32 s2, ttmp6, 0x40014
	s_lshr_b32 s3, ttmp7, 16
	s_add_co_i32 s2, s2, 1
	s_bfe_u32 s5, ttmp6, 0x40008
	s_mul_i32 s4, s3, s2
	s_getreg_b32 s2, hwreg(HW_REG_IB_STS2, 6, 4)
	s_add_co_i32 s5, s5, s4
	s_cmp_eq_u32 s2, 0
	s_mov_b32 s63, 0
	s_cselect_b32 s62, s3, s5
                                        ; implicit-def: $vgpr91 : SGPR spill to VGPR lane
	s_wait_kmcnt 0x0
	s_cmp_ge_u32 s62, s6
	v_writelane_b32 v91, s6, 0
	s_cbranch_scc1 .LBB99_1225
; %bb.1:
	s_clause 0x2
	s_load_b32 s3, s[0:1], 0x6c
	s_load_b32 s83, s[0:1], 0x0
	s_load_b64 s[14:15], s[0:1], 0x18
	s_bfe_u32 s5, ttmp6, 0x4000c
	s_and_b32 s4, ttmp6, 15
	s_add_co_i32 s5, s5, 1
	v_and_b32_e32 v4, 0x3ff, v0
	s_mul_i32 s5, ttmp9, s5
	v_mov_b32_e32 v3, 0
	s_add_co_i32 s4, s4, s5
	s_cmp_eq_u32 s2, 0
	v_bfe_u32 v6, v0, 10, 10
	s_cselect_b32 s84, ttmp9, s4
	v_dual_mov_b32 v9, v3 :: v_dual_lshlrev_b32 v20, 6, v4
	v_sub_co_u32 v5, s7, s84, 1
	s_delay_alu instid0(VALU_DEP_3)
	v_add_nc_u32_e32 v26, 16, v6
	v_lshl_add_u32 v34, v6, 6, v4
	v_and_b32_e32 v1, 1, v0
	s_wait_kmcnt 0x0
	s_and_b32 s2, s3, 0xffff
	s_add_co_i32 s3, s83, -1
	s_ashr_i32 s4, s83, 31
	s_ashr_i32 s5, s3, 31
	s_lshr_b32 s4, s4, 26
	s_lshr_b32 s5, s5, 26
	s_add_co_i32 s4, s83, s4
	s_add_co_i32 s3, s3, s5
	s_and_not1_b32 s4, s4, 63
	s_ashr_i32 s3, s3, 6
	s_sub_co_i32 s13, s83, s4
	s_cmp_eq_u32 s3, s84
	v_mad_u32_u24 v8, v6, s2, v4
	s_cselect_b32 s3, -1, 0
	s_cmp_lg_u32 s13, 0
	v_dual_add_nc_u32 v7, v26, v20 :: v_dual_mov_b32 v27, v3
	s_cselect_b32 s6, -1, 0
	s_lshl_b32 s18, s84, 6
	s_and_b32 s39, s6, s3
	s_xor_b32 s2, s7, -1
	s_xor_b32 s86, s39, -1
	v_dual_add_nc_u32 v2, v6, v20 :: v_dual_add_nc_u32 v35, s18, v6
	s_cmp_lt_i32 s84, 5
	v_lshl_add_u32 v12, v26, 6, v4
	s_cselect_b32 vcc_lo, -1, 0
	s_delay_alu instid0(VALU_DEP_2) | instid1(SALU_CYCLE_1)
	v_dual_add_nc_u32 v28, s18, v4 :: v_dual_cndmask_b32 v36, v34, v2, vcc_lo
	s_or_b32 vcc_lo, vcc_lo, s39
	v_writelane_b32 v91, s2, 1
	v_cmp_gt_u32_e64 s2, 4, v34
	s_delay_alu instid0(VALU_DEP_3)
	v_dual_ashrrev_i32 v29, 31, v28 :: v_dual_cndmask_b32 v37, v12, v7, vcc_lo
	v_mov_b32_e32 v7, v3
	v_cmp_eq_u32_e64 s3, 1, v1
	s_add_nc_u64 s[4:5], s[14:15], 1
	s_ashr_i32 s19, s18, 31
	v_dual_add_nc_u32 v32, 32, v6 :: v_dual_bitop2_b32 v22, 3, v0 bitop3:0x40
	s_mul_u64 s[16:17], s[4:5], s[18:19]
	v_cmp_eq_u32_e64 s5, 0, v1
	s_and_b32 s88, s3, s2
	v_cmp_eq_u32_e64 s3, 0, v6
	v_cmp_gt_u32_e64 s6, 2, v4
	v_cmp_gt_u32_e64 s4, 16, v34
	s_and_b32 s89, s5, s2
	v_cmp_ne_u32_e64 s5, 3, v22
	v_cmp_eq_u32_e64 s7, 3, v22
	s_and_b32 s90, s3, s6
	v_cmp_eq_u32_e64 s6, 2, v22
	v_dual_add_nc_u32 v30, 48, v6 :: v_dual_bitop2_b32 v23, 7, v0 bitop3:0x40
	s_and_b32 s92, s5, s4
	v_cmp_eq_u32_e64 s5, 1, v22
	s_and_b32 s93, s6, s4
	v_cmp_eq_u32_e64 s6, 0, v22
	s_and_b32 s91, s7, s4
	v_cmp_gt_u32_e64 s7, 2, v22
	s_and_b32 s95, s5, s4
	v_cmp_gt_u32_e64 s5, 64, v34
	s_and_b32 s96, s6, s4
	v_cmp_eq_u32_e64 s6, 7, v23
	s_and_b32 s94, s7, s4
	v_cmp_gt_u32_e64 s7, 4, v4
	v_cmp_ne_u32_e64 s8, 7, v23
	v_cmp_gt_u32_e64 s9, 6, v23
	s_and_b32 s98, s6, s5
	v_cmp_eq_u32_e64 s6, 5, v23
	s_and_b32 s97, s3, s7
	v_cmp_eq_u32_e64 s7, 6, v23
	s_and_b32 s99, s8, s5
	v_cmp_eq_u32_e64 s8, 4, v23
	s_and_b32 s102, s6, s5
	v_cmp_gt_u32_e64 s6, 4, v23
	s_and_b32 s100, s7, s5
	s_and_b32 s101, s9, s5
	v_cmp_gt_u32_e64 s7, 5, v23
	v_cmp_eq_u32_e64 s9, 3, v23
	s_and_b32 s104, s8, s5
	s_and_b32 vcc_hi, s6, s5
	v_cmp_eq_u32_e64 s6, 2, v23
	v_cmp_gt_u32_e64 s8, 2, v23
	v_dual_mov_b32 v33, v3 :: v_dual_bitop2_b32 v62, 15, v0 bitop3:0x40
	s_and_b32 s103, s7, s5
	v_cmp_gt_u32_e64 s7, 3, v23
	s_and_b32 s31, s9, s5
	v_cmp_eq_u32_e64 s9, 0, v23
	s_and_b32 s34, s6, s5
	s_and_b32 s35, s8, s5
	v_cmp_gt_u32_e64 s6, 0x100, v34
	v_cmp_eq_u32_e64 s8, 15, v62
	s_and_b32 s33, s7, s5
	v_cmp_eq_u32_e64 s7, 1, v23
	s_and_b32 s37, s9, s5
	v_cmp_ne_u32_e64 s9, 15, v62
	s_and_b32 s8, s8, s6
	v_cmp_eq_u32_e64 s10, 14, v62
	v_writelane_b32 v91, s8, 2
	s_and_b32 s36, s7, s5
	v_cmp_gt_u32_e64 s7, 8, v4
	s_and_b32 s8, s9, s6
	v_cmp_eq_u32_e64 s9, 12, v62
	v_writelane_b32 v91, s8, 3
	s_and_b32 s8, s10, s6
	s_and_b32 s38, s3, s7
	v_cmp_gt_u32_e64 s7, 14, v62
	v_cmp_gt_u32_e64 s10, 12, v62
	v_writelane_b32 v91, s8, 4
	v_cmp_eq_u32_e64 s8, 13, v62
	v_dual_mov_b32 v31, v3 :: v_dual_bitop2_b32 v64, 31, v0 bitop3:0x40
	s_and_b32 s7, s7, s6
	s_and_b32 s46, s10, s6
	v_writelane_b32 v91, s7, 5
	v_cmp_gt_u32_e64 s7, 13, v62
	s_and_b32 s43, s8, s6
	v_cmp_eq_u32_e64 s8, 11, v62
	v_cmp_eq_u32_e64 s10, 9, v62
	s_and_b32 s45, s9, s6
	s_and_b32 s44, s7, s6
	v_cmp_gt_u32_e64 s7, 11, v62
	s_and_b32 s47, s8, s6
	v_cmp_eq_u32_e64 s8, 10, v62
	s_and_b32 s51, s10, s6
	v_cmp_gt_u32_e64 s10, 7, v62
	s_and_b32 s48, s7, s6
	v_cmp_gt_u32_e64 s7, 9, v62
	s_and_b32 s49, s8, s6
	v_cmp_eq_u32_e64 s8, 8, v62
	s_and_b32 s22, s10, s6
	v_cmp_eq_u32_e64 s10, 4, v62
	s_and_b32 s52, s7, s6
	v_cmp_gt_u32_e64 s7, 8, v62
	s_and_b32 s53, s8, s6
	v_cmp_eq_u32_e64 s8, 6, v62
	s_and_b32 s57, s10, s6
	v_cmp_gt_u32_e64 s10, 2, v62
	s_and_b32 s54, s7, s6
	v_cmp_gt_u32_e64 s7, 6, v62
	s_and_b32 s24, s8, s6
	v_cmp_eq_u32_e64 s8, 5, v62
	v_cmp_gt_u32_e64 s9, 10, v62
	s_and_b32 s23, s10, s6
	s_and_b32 s26, s7, s6
	v_cmp_gt_u32_e64 s7, 4, v62
	s_and_b32 s28, s8, s6
	v_cmp_eq_u32_e64 s8, 3, v62
	v_cmp_eq_u32_e64 s10, 31, v64
	s_and_b32 s50, s9, s6
	s_and_b32 s58, s7, s6
	v_cmp_gt_u32_e64 s7, 3, v62
	s_and_b32 s59, s8, s6
	v_cmp_eq_u32_e64 s8, 1, v62
	v_cmp_eq_u32_e64 s9, 7, v62
	v_cmp_ne_u32_e64 s11, 31, v64
	s_and_b32 s60, s7, s6
	v_cmp_gt_u32_e64 s7, 0x400, v34
	s_and_b32 s25, s8, s6
	v_cmp_eq_u32_e64 s8, 0, v62
	s_and_b32 s20, s9, s6
	v_cmp_gt_u32_e64 s9, 5, v62
	v_cmp_eq_u32_e64 s12, 30, v64
	v_add_nc_u64_e32 v[24:25], s[18:19], v[8:9]
	s_and_b32 s27, s8, s6
	s_and_b32 s8, s10, s7
	;; [unrolled: 1-line block ×3, first 2 shown]
	v_writelane_b32 v91, s8, 6
	s_and_b32 s8, s11, s7
	v_cmp_eq_u32_e64 s9, 2, v62
	v_cmp_gt_u32_e64 s10, 29, v64
	v_cmp_eq_u32_e64 s11, 28, v64
	v_writelane_b32 v91, s8, 7
	s_and_b32 s8, s12, s7
	s_and_b32 s21, s9, s6
	v_cmp_gt_u32_e64 s9, 16, v4
	v_cmp_gt_u32_e64 s12, 28, v64
	v_writelane_b32 v91, s8, 8
	v_cmp_gt_u32_e64 s8, 30, v64
	v_mul_u64_e32 v[12:13], s[14:15], v[6:7]
	s_and_b32 s29, s3, s9
	v_cmp_eq_u32_e64 s9, 29, v64
	v_dual_add_nc_u32 v7, v32, v20 :: v_dual_add_nc_u32 v20, v30, v20
	s_and_b32 s8, s8, s7
	v_lshl_add_u32 v9, v32, 6, v4
	v_writelane_b32 v91, s8, 9
	s_and_b32 s8, s9, s7
	v_cmp_gt_u32_e64 s9, 27, v64
	v_lshl_add_u32 v21, v30, 6, v4
	s_xor_b32 s87, vcc_lo, -1
	v_writelane_b32 v91, s8, 10
	s_and_b32 s8, s10, s7
	v_cmp_eq_u32_e64 s10, 26, v64
	v_add_nc_u32_e32 v2, s18, v8
	v_mul_u64_e32 v[14:15], s[14:15], v[26:27]
	v_writelane_b32 v91, s8, 11
	s_and_b32 s8, s11, s7
	v_cmp_gt_u32_e64 s11, 26, v64
	v_mul_u64_e32 v[18:19], s[14:15], v[30:31]
	v_cndmask_b32_e32 v27, v9, v7, vcc_lo
	v_writelane_b32 v91, s8, 12
	s_and_b32 s8, s12, s7
	v_cmp_eq_u32_e64 s12, 25, v64
	v_dual_cndmask_b32 v31, v21, v20 :: v_dual_lshrrev_b32 v46, 1, v34
	v_writelane_b32 v91, s8, 13
	v_cmp_eq_u32_e64 s8, 27, v64
	v_cmp_gt_u32_e32 vcc_lo, 22, v64
                                        ; implicit-def: $vgpr90 : SGPR spill to VGPR lane
                                        ; implicit-def: $vgpr89 : SGPR spill to VGPR lane
	v_mul_u64_e32 v[16:17], s[14:15], v[32:33]
	v_subrev_nc_u32_e32 v20, 64, v35
	v_lshrrev_b32_e32 v33, 10, v0
	s_and_b32 s8, s8, s7
	v_lshlrev_b32_e32 v7, 2, v4
	v_writelane_b32 v91, s8, 14
	s_and_b32 s8, s9, s7
	v_cmp_eq_u32_e64 s9, 24, v64
	v_ashrrev_i32_e32 v21, 31, v20
	v_bitop3_b32 v33, v0, v33, 0x3ff bitop3:0xa8
	v_writelane_b32 v91, s8, 15
	s_and_b32 s8, s10, s7
	v_cmp_gt_u32_e64 s10, 24, v64
	v_lshl_add_u32 v44, v46, 2, 0x4000
	v_lshlrev_b32_e32 v0, 8, v46
	v_writelane_b32 v91, s8, 16
	s_and_b32 s8, s11, s7
	v_cmp_eq_u32_e64 s11, 23, v64
	v_dual_lshlrev_b32 v46, 2, v1 :: v_dual_lshlrev_b32 v1, 6, v34
	v_writelane_b32 v91, s8, 17
	s_and_b32 s8, s12, s7
	v_cmp_gt_u32_e64 s12, 23, v64
	s_load_b256 s[64:71], s[0:1], 0x28
	v_dual_sub_nc_u32 v48, 0, v0 :: v_dual_bitop2_b32 v50, -4, v34 bitop3:0x40
	v_writelane_b32 v91, s8, 18
	v_cmp_gt_u32_e64 s8, 25, v64
	v_dual_sub_nc_u32 v49, v46, v0 :: v_dual_lshlrev_b32 v52, 2, v22
	v_and_b32_e32 v0, 0xffffff00, v1
	v_lshrrev_b32_e32 v1, 3, v34
	s_and_b32 s8, s8, s7
	v_lshlrev_b32_e32 v56, 2, v23
	v_writelane_b32 v91, s8, 19
	s_and_b32 s8, s9, s7
	s_and_b32 s9, s10, s7
	;; [unrolled: 1-line block ×3, first 2 shown]
	v_sub_nc_u32_e32 v53, 0, v0
	v_writelane_b32 v91, s8, 20
	v_cmp_eq_u32_e64 s8, 22, v64
	v_dual_sub_nc_u32 v55, v52, v0 :: v_dual_lshlrev_b32 v0, 8, v1
	v_lshl_add_u32 v57, v1, 2, 0x4000
	v_writelane_b32 v91, s9, 21
	s_and_b32 s8, s8, s7
	v_cmp_eq_u32_e64 s9, 21, v64
	v_dual_lshrrev_b32 v1, 4, v34 :: v_dual_sub_nc_u32 v59, 0, v0
	v_sub_nc_u32_e32 v60, v56, v0
	v_writelane_b32 v91, s10, 22
	s_and_b32 s10, s12, s7
	s_delay_alu instid0(VALU_DEP_3)
	v_dual_lshrrev_b32 v0, 5, v34 :: v_dual_lshlrev_b32 v22, 8, v1
	v_lshlrev_b32_e32 v62, 2, v62
	v_writelane_b32 v91, s10, 23
	s_clause 0x1
	s_load_b64 s[76:77], s[0:1], 0x50
	s_load_b128 s[72:75], s[0:1], 0x8
	v_lshl_add_u32 v63, v1, 2, 0x4000
	v_lshlrev_b32_e32 v1, 8, v0
	v_writelane_b32 v91, s8, 24
	s_and_b32 s8, vcc_lo, s7
	v_cmp_gt_u32_e32 vcc_lo, 21, v64
	s_delay_alu instid0(VALU_DEP_3)
	v_dual_sub_nc_u32 v66, v62, v22 :: v_dual_sub_nc_u32 v68, 0, v1
	v_writelane_b32 v91, s8, 25
	s_and_b32 s8, s9, s7
	v_mul_u64_e32 v[10:11], s[14:15], v[28:29]
	v_lshl_add_u32 v67, v0, 2, 0x4000
	v_cmp_gt_u32_e64 s40, 0xf0, v34
	v_writelane_b32 v91, s8, 26
	s_and_b32 s8, vcc_lo, s7
	v_cmp_eq_u32_e32 vcc_lo, 20, v64
                                        ; implicit-def: $vgpr88 : SGPR spill to VGPR lane
	v_mad_u32_u24 v9, 0xfc, v4, v7
	s_wait_kmcnt 0x0
	v_mul_u64_e32 v[24:25], s[70:71], v[24:25]
	v_writelane_b32 v91, s8, 27
	v_mul_i32_i24_e32 v81, 0xffffff04, v4
	s_and_b32 s8, vcc_lo, s7
	v_cmp_gt_u32_e32 vcc_lo, 20, v64
	v_mad_i32_i24 v38, 0xffffff04, v4, v9
	v_writelane_b32 v91, s8, 28
	v_add_nc_u32_e32 v50, 0x4000, v50
	v_lshl_add_u32 v71, v8, 2, 0x5000
	s_and_b32 s8, vcc_lo, s7
	v_cmp_eq_u32_e32 vcc_lo, 19, v64
	v_writelane_b32 v91, s8, 29
	v_mad_u32_u24 v39, 0xfc, v4, v38
	v_lshl_add_u32 v72, v34, 2, 0x4000
	v_add_nc_u32_e32 v73, 0x4000, v7
	s_and_b32 s8, vcc_lo, s7
	v_cmp_gt_u32_e32 vcc_lo, 19, v64
	v_writelane_b32 v91, s8, 30
	v_mad_i32_i24 v40, 0xffffff04, v4, v39
	v_cmp_gt_u32_e64 s14, 8, v34
	v_cmp_gt_u32_e64 s15, 56, v34
	s_and_b32 s8, vcc_lo, s7
	v_cmp_eq_u32_e32 vcc_lo, 18, v64
	v_writelane_b32 v91, s8, 31
	v_mad_u32_u24 v41, 0xfc, v4, v40
	v_cmp_gt_u32_e64 s18, 32, v34
	v_cmp_gt_u32_e64 s19, 24, v34
	s_and_b32 s8, vcc_lo, s7
	v_cmp_gt_u32_e32 vcc_lo, 18, v64
	v_writelane_b32 v90, s8, 0
	v_mad_i32_i24 v42, 0xffffff04, v4, v41
	v_cmp_eq_u32_e64 s55, 0, v8
	v_cmp_gt_u32_e64 s56, 64, v8
	s_and_b32 s8, vcc_lo, s7
	v_cmp_eq_u32_e32 vcc_lo, 17, v64
	v_writelane_b32 v90, s8, 1
	v_mad_u32_u24 v43, 0xfc, v4, v42
                                        ; implicit-def: $vgpr82
                                        ; implicit-def: $vgpr83
                                        ; implicit-def: $vgpr84
                                        ; implicit-def: $vgpr85
	v_sub_nc_u32_e32 v65, 0, v22
	v_mul_u64_e32 v[22:23], s[70:71], v[2:3]
	s_and_b32 s8, vcc_lo, s7
	v_cmp_gt_u32_e32 vcc_lo, 17, v64
	v_writelane_b32 v90, s8, 2
	v_subrev_nc_u32_e32 v2, 48, v35
	v_mad_i32_i24 v45, 0xffffff04, v4, v43
	v_lshlrev_b32_e32 v80, 2, v6
	s_and_b32 s8, vcc_lo, s7
	v_cmp_eq_u32_e32 vcc_lo, 16, v64
	v_writelane_b32 v90, s8, 3
	v_mad_u32_u24 v47, 0xfc, v4, v45
	v_lshlrev_b32_e32 v79, 2, v31
	v_or_b32_e32 v70, 0x5000, v80
	s_and_b32 s8, vcc_lo, s7
	v_cmp_gt_u32_e32 vcc_lo, 16, v64
	v_writelane_b32 v90, s8, 4
	v_mad_i32_i24 v51, 0xffffff04, v4, v47
	v_dual_add_nc_u32 v75, v70, v7 :: v_dual_lshlrev_b32 v76, 2, v36
	s_and_b32 s8, vcc_lo, s7
	v_cmp_eq_u32_e32 vcc_lo, 15, v64
	v_writelane_b32 v90, s8, 5
	v_mad_u32_u24 v54, 0xfc, v4, v51
	v_lshl_add_u32 v74, v6, 8, v51
	v_lshlrev_b32_e32 v77, 2, v37
	s_and_b32 s8, vcc_lo, s7
	v_cmp_gt_u32_e32 vcc_lo, 15, v64
	v_writelane_b32 v90, s8, 6
	v_mad_i32_i24 v58, 0xffffff04, v4, v54
	v_dual_mov_b32 v27, v3 :: v_dual_lshlrev_b32 v78, 2, v27
	s_and_b32 s8, vcc_lo, s7
	v_cmp_eq_u32_e32 vcc_lo, 14, v64
	v_writelane_b32 v90, s8, 7
	v_mad_u32_u24 v61, 0xfc, v4, v58
	s_and_b32 s8, vcc_lo, s7
	v_cmp_gt_u32_e32 vcc_lo, 14, v64
	v_writelane_b32 v90, s8, 8
	s_delay_alu instid0(VALU_DEP_3)
	v_add_nc_u32_e32 v80, v61, v80
	s_and_b32 s8, vcc_lo, s7
	v_cmp_eq_u32_e32 vcc_lo, 13, v64
	v_writelane_b32 v90, s8, 9
	s_and_b32 s8, vcc_lo, s7
	v_cmp_gt_u32_e32 vcc_lo, 13, v64
	v_writelane_b32 v90, s8, 10
	s_and_b32 s8, vcc_lo, s7
	v_cmp_eq_u32_e32 vcc_lo, 12, v64
	v_writelane_b32 v90, s8, 11
	s_and_b32 s8, vcc_lo, s7
	v_cmp_gt_u32_e32 vcc_lo, 12, v64
	v_writelane_b32 v90, s8, 12
	;; [unrolled: 6-line block ×12, first 2 shown]
	s_and_b32 s8, vcc_lo, s7
	v_cmp_eq_u32_e32 vcc_lo, 1, v64
	v_writelane_b32 v89, s8, 1
	s_and_b32 s8, vcc_lo, s7
	v_cmp_eq_u32_e32 vcc_lo, 0, v64
	v_writelane_b32 v89, s8, 2
	v_cmp_gt_u32_e64 s8, 32, v4
	v_lshlrev_b32_e32 v64, 2, v64
	s_and_b32 s82, vcc_lo, s7
	v_cmp_le_i32_e32 vcc_lo, s13, v4
	s_and_b32 s8, s3, s8
	s_delay_alu instid0(VALU_DEP_2)
	v_sub_nc_u32_e32 v69, v64, v1
	v_writelane_b32 v89, s8, 3
	v_mul_u64_e32 v[0:1], s[70:71], v[28:29]
	s_and_b32 s9, vcc_lo, s39
	v_or_b32_e32 v29, v32, v4
	s_xor_b32 s8, s9, -1
	v_writelane_b32 v89, s9, 4
	s_and_b32 s85, s3, s8
	v_cmp_le_i32_e64 s8, s13, v6
	s_cmp_gt_i32 s84, 0
	s_cselect_b32 s39, -1, 0
	s_lshl_b64 s[78:79], s[16:17], 2
	s_or_b32 s9, s8, vcc_lo
	v_cmp_le_i32_e64 s8, s13, v26
	v_cmp_gt_u32_e64 s16, 48, v34
	v_cmp_gt_u32_e64 s17, 40, v34
	s_lshl_b64 s[74:75], s[74:75], 2
	s_lshl_b64 s[68:69], s[68:69], 2
	s_or_b32 s10, s8, vcc_lo
	v_cmp_le_i32_e64 s8, s13, v32
	s_or_b32 s11, s8, vcc_lo
	v_cmp_le_i32_e64 s8, s13, v30
	s_or_b32 s12, s8, vcc_lo
	v_cmp_gt_i32_e32 vcc_lo, s13, v4
	v_cmp_gt_u32_e64 s13, 12, v34
	s_and_b32 s0, s3, vcc_lo
	v_cmp_gt_i32_e32 vcc_lo, s83, v20
	v_writelane_b32 v89, s0, 5
	v_cmp_gt_i32_e64 s0, s83, v28
	v_subrev_nc_u32_e32 v28, 32, v35
	s_and_b32 s1, vcc_lo, s0
	v_cmp_gt_i32_e32 vcc_lo, s83, v2
	v_writelane_b32 v89, s1, 6
	v_dual_add_nc_u32 v2, -16, v35 :: v_dual_bitop2_b32 v35, v30, v4 bitop3:0x54
	s_and_b32 s1, vcc_lo, s0
	v_cmp_gt_i32_e32 vcc_lo, s83, v28
	v_writelane_b32 v89, s1, 7
	v_mov_b32_e32 v28, 1.0
	s_and_b32 s1, vcc_lo, s0
	v_cmp_gt_i32_e32 vcc_lo, s83, v2
	v_writelane_b32 v89, s1, 8
	v_or_b32_e32 v2, v26, v4
	s_and_b32 s1, vcc_lo, s0
	s_delay_alu instid0(SALU_CYCLE_1) | instskip(SKIP_2) | instid1(SALU_CYCLE_1)
	v_writelane_b32 v89, s1, 9
	v_cmp_ge_u32_e64 s1, v4, v6
	s_or_b32 s8, s9, s1
	v_writelane_b32 v89, s8, 10
	v_cmp_ge_u32_e64 s8, v4, v26
	v_mad_u32_u24 v26, 0xfc, v4, v81
	s_or_b32 s9, s10, s8
	s_delay_alu instid0(VALU_DEP_1) | instskip(SKIP_4) | instid1(SALU_CYCLE_1)
	v_mad_u32 v81, v26, 7, v7
	v_writelane_b32 v89, s9, 11
	v_cmp_ge_u32_e64 s9, v4, v32
	v_lshlrev_b32_e32 v26, 2, v4
	s_or_b32 s10, s11, s9
	v_writelane_b32 v89, s10, 12
	v_cmp_ge_u32_e64 s10, v4, v30
	s_or_b32 s11, s12, s10
	v_cmp_gt_u32_e64 s12, 2, v34
	v_writelane_b32 v89, s11, 13
	v_cmp_eq_u32_e64 s11, 0, v33
	v_writelane_b32 v89, s40, 14
	v_cmp_gt_u32_e64 s40, 0xe0, v34
	s_delay_alu instid0(VALU_DEP_1) | instskip(SKIP_1) | instid1(VALU_DEP_1)
	v_writelane_b32 v89, s40, 15
	v_cmp_gt_u32_e64 s40, 0xd0, v34
	v_writelane_b32 v89, s40, 16
	v_cmp_gt_u32_e64 s40, 0xc0, v34
	s_delay_alu instid0(VALU_DEP_1) | instskip(SKIP_1) | instid1(VALU_DEP_1)
	v_writelane_b32 v89, s40, 17
	v_cmp_gt_u32_e64 s40, 0xb0, v34
	;; [unrolled: 5-line block ×18, first 2 shown]
	v_writelane_b32 v88, s40, 18
	v_cmp_gt_u32_e64 s40, 64, v35
	s_delay_alu instid0(VALU_DEP_1)
	v_writelane_b32 v88, s40, 19
	s_branch .LBB99_3
.LBB99_2:                               ;   in Loop: Header=BB99_3 Depth=1
	s_wait_xcnt 0x0
	s_or_b32 exec_lo, exec_lo, s40
	v_readlane_b32 s40, v91, 0
	s_add_co_i32 s62, s62, 0x10000
	global_wb scope:SCOPE_DEV
	s_wait_storecnt 0x0
	global_inv scope:SCOPE_DEV
	s_cmp_lt_u32 s62, s40
	s_cbranch_scc0 .LBB99_1225
.LBB99_3:                               ; =>This Loop Header: Depth=1
                                        ;     Child Loop BB99_1094 Depth 2
                                        ;       Child Loop BB99_1096 Depth 3
                                        ;     Child Loop BB99_1131 Depth 2
	v_mov_b32_e32 v2, s62
	v_readlane_b32 s40, v91, 1
	s_clause 0x1
	global_load_b64 v[30:31], v2, s[72:73] scale_offset
	global_load_b64 v[32:33], v2, s[66:67] scale_offset
	global_load_b32 v2, v3, s[64:65]
	s_and_not1_b32 vcc_lo, exec_lo, s40
	s_wait_loadcnt 0x2
	v_add_nc_u64_e32 v[34:35], s[74:75], v[30:31]
	s_delay_alu instid0(VALU_DEP_1)
	v_lshl_add_u64 v[30:31], v[10:11], 2, v[34:35]
	s_cbranch_vccnz .LBB99_13
; %bb.4:                                ;   in Loop: Header=BB99_3 Depth=1
	s_delay_alu instid0(VALU_DEP_1)
	v_lshl_add_u64 v[36:37], v[20:21], 2, v[30:31]
	v_dual_mov_b32 v83, 0 :: v_dual_mov_b32 v82, 0
	s_wait_loadcnt 0x0
	s_barrier_signal -1
	s_barrier_wait -1
	s_wait_xcnt 0x0
	s_mov_b32 s40, exec_lo
	v_readlane_b32 s41, v89, 6
	s_and_b32 s41, s40, s41
	s_delay_alu instid0(SALU_CYCLE_1)
	s_mov_b32 exec_lo, s41
	s_cbranch_execz .LBB99_6
; %bb.5:                                ;   in Loop: Header=BB99_3 Depth=1
	flat_load_b32 v82, v[36:37]
.LBB99_6:                               ;   in Loop: Header=BB99_3 Depth=1
	s_wait_xcnt 0x0
	s_or_b32 exec_lo, exec_lo, s40
	s_wait_loadcnt_dscnt 0x0
	s_barrier_signal -1
	s_barrier_wait -1
	s_mov_b32 s40, exec_lo
	v_readlane_b32 s41, v89, 7
	s_and_b32 s41, s40, s41
	s_delay_alu instid0(SALU_CYCLE_1)
	s_mov_b32 exec_lo, s41
	s_cbranch_execz .LBB99_8
; %bb.7:                                ;   in Loop: Header=BB99_3 Depth=1
	flat_load_b32 v83, v[36:37] offset:64
.LBB99_8:                               ;   in Loop: Header=BB99_3 Depth=1
	s_wait_xcnt 0x0
	s_or_b32 exec_lo, exec_lo, s40
	v_dual_mov_b32 v85, 0 :: v_dual_mov_b32 v84, 0
	s_wait_loadcnt_dscnt 0x0
	s_barrier_signal -1
	s_barrier_wait -1
	s_mov_b32 s40, exec_lo
	v_readlane_b32 s41, v89, 8
	s_and_b32 s41, s40, s41
	s_delay_alu instid0(SALU_CYCLE_1)
	s_mov_b32 exec_lo, s41
	s_cbranch_execz .LBB99_10
; %bb.9:                                ;   in Loop: Header=BB99_3 Depth=1
	flat_load_b32 v84, v[36:37] offset:128
.LBB99_10:                              ;   in Loop: Header=BB99_3 Depth=1
	s_wait_xcnt 0x0
	s_or_b32 exec_lo, exec_lo, s40
	s_wait_loadcnt_dscnt 0x0
	s_barrier_signal -1
	s_barrier_wait -1
	s_mov_b32 s40, exec_lo
	v_readlane_b32 s41, v89, 9
	s_and_b32 s41, s40, s41
	s_delay_alu instid0(SALU_CYCLE_1)
	s_mov_b32 exec_lo, s41
	s_cbranch_execz .LBB99_12
; %bb.11:                               ;   in Loop: Header=BB99_3 Depth=1
	flat_load_b32 v85, v[36:37] offset:192
.LBB99_12:                              ;   in Loop: Header=BB99_3 Depth=1
	s_wait_xcnt 0x0
	s_or_b32 exec_lo, exec_lo, s40
.LBB99_13:                              ;   in Loop: Header=BB99_3 Depth=1
	v_add_nc_u64_e32 v[34:35], s[78:79], v[34:35]
	s_and_not1_b32 vcc_lo, exec_lo, s86
	s_mov_b32 s40, -1
	s_delay_alu instid0(VALU_DEP_1)
	v_add_nc_u64_e32 v[34:35], v[34:35], v[26:27]
	s_cbranch_vccnz .LBB99_24
; %bb.14:                               ;   in Loop: Header=BB99_3 Depth=1
	s_wait_xcnt 0x0
	s_and_saveexec_b32 s40, s1
	s_delay_alu instid0(SALU_CYCLE_1)
	s_xor_b32 s40, exec_lo, s40
	s_cbranch_execnz .LBB99_1152
; %bb.15:                               ;   in Loop: Header=BB99_3 Depth=1
	s_and_not1_saveexec_b32 s40, s40
	s_cbranch_execnz .LBB99_1155
.LBB99_16:                              ;   in Loop: Header=BB99_3 Depth=1
	s_or_b32 exec_lo, exec_lo, s40
	s_and_saveexec_b32 s40, s8
	s_delay_alu instid0(SALU_CYCLE_1)
	s_xor_b32 s40, exec_lo, s40
	s_cbranch_execnz .LBB99_1156
.LBB99_17:                              ;   in Loop: Header=BB99_3 Depth=1
	s_and_not1_saveexec_b32 s40, s40
	s_cbranch_execnz .LBB99_1159
.LBB99_18:                              ;   in Loop: Header=BB99_3 Depth=1
	s_or_b32 exec_lo, exec_lo, s40
	s_and_saveexec_b32 s40, s9
	s_delay_alu instid0(SALU_CYCLE_1)
	s_xor_b32 s40, exec_lo, s40
	s_cbranch_execnz .LBB99_1160
.LBB99_19:                              ;   in Loop: Header=BB99_3 Depth=1
	s_and_not1_saveexec_b32 s40, s40
	s_cbranch_execnz .LBB99_1163
.LBB99_20:                              ;   in Loop: Header=BB99_3 Depth=1
	s_or_b32 exec_lo, exec_lo, s40
	s_and_saveexec_b32 s40, s10
	s_delay_alu instid0(SALU_CYCLE_1)
	s_xor_b32 s40, exec_lo, s40
	s_cbranch_execnz .LBB99_1164
.LBB99_21:                              ;   in Loop: Header=BB99_3 Depth=1
	s_and_not1_saveexec_b32 s40, s40
	s_cbranch_execz .LBB99_23
.LBB99_22:                              ;   in Loop: Header=BB99_3 Depth=1
	v_lshl_add_u64 v[36:37], v[18:19], 2, v[34:35]
	flat_load_b32 v29, v[36:37]
	s_wait_loadcnt_dscnt 0x0
	v_xor_b32_e32 v29, 0x80000000, v29
	ds_store_b32 v79, v29
.LBB99_23:                              ;   in Loop: Header=BB99_3 Depth=1
	s_or_b32 exec_lo, exec_lo, s40
	s_mov_b32 s40, 0
.LBB99_24:                              ;   in Loop: Header=BB99_3 Depth=1
	s_delay_alu instid0(SALU_CYCLE_1)
	s_and_b32 vcc_lo, exec_lo, s40
	s_cbranch_vccz .LBB99_50
; %bb.25:                               ;   in Loop: Header=BB99_3 Depth=1
	s_wait_xcnt 0x0
	s_mov_b32 s40, exec_lo
	v_readlane_b32 s41, v89, 10
	s_and_b32 s41, s40, s41
	s_delay_alu instid0(SALU_CYCLE_1)
	s_xor_b32 s40, s41, s40
	s_mov_b32 exec_lo, s41
	s_cbranch_execz .LBB99_29
; %bb.26:                               ;   in Loop: Header=BB99_3 Depth=1
	s_mov_b32 s41, exec_lo
	v_readlane_b32 s42, v88, 16
	s_and_b32 s42, s41, s42
	s_delay_alu instid0(SALU_CYCLE_1)
	s_mov_b32 exec_lo, s42
; %bb.27:                               ;   in Loop: Header=BB99_3 Depth=1
	ds_store_b32 v80, v3
; %bb.28:                               ;   in Loop: Header=BB99_3 Depth=1
	s_or_b32 exec_lo, exec_lo, s41
.LBB99_29:                              ;   in Loop: Header=BB99_3 Depth=1
	s_and_not1_saveexec_b32 s40, s40
	s_cbranch_execz .LBB99_31
; %bb.30:                               ;   in Loop: Header=BB99_3 Depth=1
	v_lshl_add_u64 v[36:37], v[12:13], 2, v[34:35]
	flat_load_b32 v29, v[36:37]
	s_wait_loadcnt_dscnt 0x0
	v_xor_b32_e32 v29, 0x80000000, v29
	ds_store_b32 v80, v29
.LBB99_31:                              ;   in Loop: Header=BB99_3 Depth=1
	s_or_b32 exec_lo, exec_lo, s40
	s_delay_alu instid0(SALU_CYCLE_1) | instskip(SKIP_2) | instid1(SALU_CYCLE_1)
	s_mov_b32 s40, exec_lo
	v_readlane_b32 s41, v89, 11
	s_and_b32 s41, s40, s41
	s_xor_b32 s40, s41, s40
	s_mov_b32 exec_lo, s41
	s_cbranch_execz .LBB99_35
; %bb.32:                               ;   in Loop: Header=BB99_3 Depth=1
	s_mov_b32 s41, exec_lo
	v_readlane_b32 s42, v88, 17
	s_and_b32 s42, s41, s42
	s_delay_alu instid0(SALU_CYCLE_1)
	s_mov_b32 exec_lo, s42
; %bb.33:                               ;   in Loop: Header=BB99_3 Depth=1
	ds_store_b32 v77, v3
; %bb.34:                               ;   in Loop: Header=BB99_3 Depth=1
	s_or_b32 exec_lo, exec_lo, s41
.LBB99_35:                              ;   in Loop: Header=BB99_3 Depth=1
	s_and_not1_saveexec_b32 s40, s40
	s_cbranch_execz .LBB99_37
; %bb.36:                               ;   in Loop: Header=BB99_3 Depth=1
	v_lshl_add_u64 v[36:37], v[14:15], 2, v[34:35]
	flat_load_b32 v29, v[36:37]
	s_wait_loadcnt_dscnt 0x0
	v_xor_b32_e32 v29, 0x80000000, v29
	ds_store_b32 v77, v29
.LBB99_37:                              ;   in Loop: Header=BB99_3 Depth=1
	s_or_b32 exec_lo, exec_lo, s40
	s_delay_alu instid0(SALU_CYCLE_1) | instskip(SKIP_2) | instid1(SALU_CYCLE_1)
	s_mov_b32 s40, exec_lo
	v_readlane_b32 s41, v89, 12
	s_and_b32 s41, s40, s41
	s_xor_b32 s40, s41, s40
	s_mov_b32 exec_lo, s41
	s_cbranch_execz .LBB99_41
; %bb.38:                               ;   in Loop: Header=BB99_3 Depth=1
	s_mov_b32 s41, exec_lo
	v_readlane_b32 s42, v88, 18
	s_and_b32 s42, s41, s42
	s_delay_alu instid0(SALU_CYCLE_1)
	s_mov_b32 exec_lo, s42
; %bb.39:                               ;   in Loop: Header=BB99_3 Depth=1
	ds_store_b32 v78, v3
; %bb.40:                               ;   in Loop: Header=BB99_3 Depth=1
	s_or_b32 exec_lo, exec_lo, s41
.LBB99_41:                              ;   in Loop: Header=BB99_3 Depth=1
	s_and_not1_saveexec_b32 s40, s40
	s_cbranch_execz .LBB99_43
; %bb.42:                               ;   in Loop: Header=BB99_3 Depth=1
	v_lshl_add_u64 v[36:37], v[16:17], 2, v[34:35]
	flat_load_b32 v29, v[36:37]
	s_wait_loadcnt_dscnt 0x0
	v_xor_b32_e32 v29, 0x80000000, v29
	ds_store_b32 v78, v29
.LBB99_43:                              ;   in Loop: Header=BB99_3 Depth=1
	s_or_b32 exec_lo, exec_lo, s40
	s_delay_alu instid0(SALU_CYCLE_1) | instskip(SKIP_2) | instid1(SALU_CYCLE_1)
	s_mov_b32 s40, exec_lo
	v_readlane_b32 s41, v89, 13
	s_and_b32 s41, s40, s41
	s_xor_b32 s40, s41, s40
	s_mov_b32 exec_lo, s41
	s_cbranch_execz .LBB99_47
; %bb.44:                               ;   in Loop: Header=BB99_3 Depth=1
	s_mov_b32 s41, exec_lo
	v_readlane_b32 s42, v88, 19
	s_and_b32 s42, s41, s42
	s_delay_alu instid0(SALU_CYCLE_1)
	s_mov_b32 exec_lo, s42
; %bb.45:                               ;   in Loop: Header=BB99_3 Depth=1
	ds_store_b32 v79, v3
; %bb.46:                               ;   in Loop: Header=BB99_3 Depth=1
	s_or_b32 exec_lo, exec_lo, s41
                                        ; implicit-def: $vgpr34_vgpr35
.LBB99_47:                              ;   in Loop: Header=BB99_3 Depth=1
	s_and_not1_saveexec_b32 s40, s40
	s_cbranch_execz .LBB99_49
; %bb.48:                               ;   in Loop: Header=BB99_3 Depth=1
	v_lshl_add_u64 v[34:35], v[18:19], 2, v[34:35]
	flat_load_b32 v29, v[34:35]
	s_wait_loadcnt_dscnt 0x0
	v_xor_b32_e32 v29, 0x80000000, v29
	ds_store_b32 v79, v29
.LBB99_49:                              ;   in Loop: Header=BB99_3 Depth=1
	s_or_b32 exec_lo, exec_lo, s40
.LBB99_50:                              ;   in Loop: Header=BB99_3 Depth=1
	s_delay_alu instid0(SALU_CYCLE_1)
	s_and_not1_b32 vcc_lo, exec_lo, s87
	s_wait_loadcnt_dscnt 0x0
	s_barrier_signal -1
	s_barrier_wait -1
	s_cbranch_vccnz .LBB99_1088
; %bb.51:                               ;   in Loop: Header=BB99_3 Depth=1
	s_and_saveexec_b32 s40, s11
	s_cbranch_execz .LBB99_53
; %bb.52:                               ;   in Loop: Header=BB99_3 Depth=1
	ds_load_b32 v29, v3 offset:16376
	ds_store_b32 v3, v28 offset:16380
	s_wait_dscnt 0x1
	ds_store_b64 v3, v[28:29] offset:16120
.LBB99_53:                              ;   in Loop: Header=BB99_3 Depth=1
	s_or_b32 exec_lo, exec_lo, s40
	v_mov_b32_e32 v29, 0
	s_wait_dscnt 0x0
	s_barrier_signal -1
	s_barrier_wait -1
	global_wb scope:SCOPE_DEV
	s_wait_storecnt 0x0
	global_inv scope:SCOPE_DEV
	s_and_saveexec_b32 s40, s2
	s_cbranch_execz .LBB99_57
; %bb.54:                               ;   in Loop: Header=BB99_3 Depth=1
	ds_load_b32 v29, v46 offset:16112
	ds_load_b32 v34, v48 offset:16376
	s_wait_dscnt 0x0
	v_fma_f32 v29, v29, v34, 0
	s_and_saveexec_b32 s41, s12
	s_cbranch_execz .LBB99_56
; %bb.55:                               ;   in Loop: Header=BB99_3 Depth=1
	ds_load_b32 v34, v7 offset:16368
	ds_load_b32 v35, v3 offset:16380
	s_wait_dscnt 0x0
	v_fmac_f32_e32 v29, v34, v35
.LBB99_56:                              ;   in Loop: Header=BB99_3 Depth=1
	s_or_b32 exec_lo, exec_lo, s41
.LBB99_57:                              ;   in Loop: Header=BB99_3 Depth=1
	s_delay_alu instid0(SALU_CYCLE_1)
	s_or_b32 exec_lo, exec_lo, s40
	s_and_saveexec_b32 s40, s88
; %bb.58:                               ;   in Loop: Header=BB99_3 Depth=1
	s_delay_alu instid0(VALU_DEP_1)
	v_xor_b32_e32 v34, 0x80000000, v29
	ds_store_b32 v44, v34
; %bb.59:                               ;   in Loop: Header=BB99_3 Depth=1
	s_or_b32 exec_lo, exec_lo, s40
	s_wait_loadcnt_dscnt 0x0
	s_barrier_signal -1
	s_barrier_wait -1
	s_and_saveexec_b32 s40, s89
	s_cbranch_execz .LBB99_61
; %bb.60:                               ;   in Loop: Header=BB99_3 Depth=1
	ds_load_b32 v34, v3 offset:15856
	ds_load_b32 v35, v44
	s_wait_dscnt 0x0
	v_fma_f32 v29, -v34, v35, v29
.LBB99_61:                              ;   in Loop: Header=BB99_3 Depth=1
	s_or_b32 exec_lo, exec_lo, s40
	s_barrier_signal -1
	s_barrier_wait -1
	s_and_saveexec_b32 s40, s89
; %bb.62:                               ;   in Loop: Header=BB99_3 Depth=1
	v_xor_b32_e32 v34, 0x80000000, v29
	ds_store_b32 v44, v34
; %bb.63:                               ;   in Loop: Header=BB99_3 Depth=1
	s_or_b32 exec_lo, exec_lo, s40
	s_wait_dscnt 0x0
	s_barrier_signal -1
	s_barrier_wait -1
	s_barrier_signal -1
	s_barrier_wait -1
	s_and_saveexec_b32 s40, s2
; %bb.64:                               ;   in Loop: Header=BB99_3 Depth=1
	ds_store_b32 v49, v29 offset:16368
; %bb.65:                               ;   in Loop: Header=BB99_3 Depth=1
	s_or_b32 exec_lo, exec_lo, s40
	s_wait_dscnt 0x0
	s_barrier_signal -1
	s_barrier_wait -1
	s_barrier_signal -1
	s_barrier_wait -1
	s_and_saveexec_b32 s40, s90
	s_cbranch_execz .LBB99_67
; %bb.66:                               ;   in Loop: Header=BB99_3 Depth=1
	ds_load_b32 v29, v9 offset:16112
	s_wait_dscnt 0x0
	ds_store_b32 v7, v29 offset:15608
	ds_load_b32 v29, v9 offset:16116
	s_wait_dscnt 0x0
	ds_store_b32 v7, v29 offset:15864
.LBB99_67:                              ;   in Loop: Header=BB99_3 Depth=1
	s_or_b32 exec_lo, exec_lo, s40
	s_wait_dscnt 0x0
	s_barrier_signal -1
	s_barrier_wait -1
	s_and_saveexec_b32 s40, s11
	s_cbranch_execz .LBB99_69
; %bb.68:                               ;   in Loop: Header=BB99_3 Depth=1
	ds_load_b32 v29, v3 offset:15856
	ds_store_b32 v3, v28 offset:15860
	s_wait_dscnt 0x1
	ds_store_b64 v3, v[28:29] offset:15600
.LBB99_69:                              ;   in Loop: Header=BB99_3 Depth=1
	s_or_b32 exec_lo, exec_lo, s40
	v_mov_b32_e32 v29, 0
	s_wait_dscnt 0x0
	s_barrier_signal -1
	s_barrier_wait -1
	global_wb scope:SCOPE_DEV
	s_wait_storecnt 0x0
	global_inv scope:SCOPE_DEV
	s_and_saveexec_b32 s40, s4
	s_cbranch_execz .LBB99_75
; %bb.70:                               ;   in Loop: Header=BB99_3 Depth=1
	ds_load_b32 v29, v52 offset:15584
	ds_load_b32 v34, v53 offset:16368
	s_wait_dscnt 0x0
	v_fma_f32 v29, v29, v34, 0
	s_and_saveexec_b32 s41, s13
	s_cbranch_execnz .LBB99_1175
; %bb.71:                               ;   in Loop: Header=BB99_3 Depth=1
	s_or_b32 exec_lo, exec_lo, s41
	s_and_saveexec_b32 s41, s14
	s_cbranch_execnz .LBB99_1176
.LBB99_72:                              ;   in Loop: Header=BB99_3 Depth=1
	s_or_b32 exec_lo, exec_lo, s41
	s_and_saveexec_b32 s41, s2
	s_cbranch_execz .LBB99_74
.LBB99_73:                              ;   in Loop: Header=BB99_3 Depth=1
	ds_load_b32 v34, v38 offset:16352
	ds_load_b32 v35, v3 offset:16380
	s_wait_dscnt 0x0
	v_fmac_f32_e32 v29, v34, v35
.LBB99_74:                              ;   in Loop: Header=BB99_3 Depth=1
	s_or_b32 exec_lo, exec_lo, s41
.LBB99_75:                              ;   in Loop: Header=BB99_3 Depth=1
	s_delay_alu instid0(SALU_CYCLE_1)
	s_or_b32 exec_lo, exec_lo, s40
	s_and_saveexec_b32 s40, s91
; %bb.76:                               ;   in Loop: Header=BB99_3 Depth=1
	s_delay_alu instid0(VALU_DEP_1)
	v_xor_b32_e32 v34, 0x80000000, v29
	ds_store_b32 v50, v34
; %bb.77:                               ;   in Loop: Header=BB99_3 Depth=1
	s_or_b32 exec_lo, exec_lo, s40
	s_wait_loadcnt_dscnt 0x0
	s_barrier_signal -1
	s_barrier_wait -1
	s_and_saveexec_b32 s40, s92
	s_cbranch_execz .LBB99_79
; %bb.78:                               ;   in Loop: Header=BB99_3 Depth=1
	ds_load_b32 v34, v52 offset:15328
	ds_load_b32 v35, v50
	s_wait_dscnt 0x0
	v_fma_f32 v29, -v34, v35, v29
.LBB99_79:                              ;   in Loop: Header=BB99_3 Depth=1
	s_or_b32 exec_lo, exec_lo, s40
	s_barrier_signal -1
	s_barrier_wait -1
	s_and_saveexec_b32 s40, s93
; %bb.80:                               ;   in Loop: Header=BB99_3 Depth=1
	v_xor_b32_e32 v34, 0x80000000, v29
	ds_store_b32 v50, v34
; %bb.81:                               ;   in Loop: Header=BB99_3 Depth=1
	s_or_b32 exec_lo, exec_lo, s40
	s_wait_dscnt 0x0
	s_barrier_signal -1
	s_barrier_wait -1
	s_and_saveexec_b32 s40, s94
	s_cbranch_execz .LBB99_83
; %bb.82:                               ;   in Loop: Header=BB99_3 Depth=1
	ds_load_b32 v34, v52 offset:15072
	ds_load_b32 v35, v50
	s_wait_dscnt 0x0
	v_fma_f32 v29, -v34, v35, v29
.LBB99_83:                              ;   in Loop: Header=BB99_3 Depth=1
	s_or_b32 exec_lo, exec_lo, s40
	s_barrier_signal -1
	s_barrier_wait -1
	s_and_saveexec_b32 s40, s95
; %bb.84:                               ;   in Loop: Header=BB99_3 Depth=1
	v_xor_b32_e32 v34, 0x80000000, v29
	ds_store_b32 v50, v34
; %bb.85:                               ;   in Loop: Header=BB99_3 Depth=1
	s_or_b32 exec_lo, exec_lo, s40
	s_wait_dscnt 0x0
	;; [unrolled: 20-line block ×3, first 2 shown]
	s_barrier_signal -1
	s_barrier_wait -1
	s_barrier_signal -1
	s_barrier_wait -1
	s_and_saveexec_b32 s40, s4
; %bb.90:                               ;   in Loop: Header=BB99_3 Depth=1
	ds_store_b32 v55, v29 offset:16352
; %bb.91:                               ;   in Loop: Header=BB99_3 Depth=1
	s_or_b32 exec_lo, exec_lo, s40
	s_wait_dscnt 0x0
	s_barrier_signal -1
	s_barrier_wait -1
	s_barrier_signal -1
	s_barrier_wait -1
	s_and_saveexec_b32 s40, s97
	s_cbranch_execz .LBB99_93
; %bb.92:                               ;   in Loop: Header=BB99_3 Depth=1
	ds_load_b32 v29, v39 offset:15584
	s_wait_dscnt 0x0
	ds_store_b32 v40, v29 offset:14576
	ds_load_b32 v29, v39 offset:15588
	s_wait_dscnt 0x0
	ds_store_b32 v40, v29 offset:14832
	;; [unrolled: 3-line block ×4, first 2 shown]
.LBB99_93:                              ;   in Loop: Header=BB99_3 Depth=1
	s_or_b32 exec_lo, exec_lo, s40
	s_wait_dscnt 0x0
	s_barrier_signal -1
	s_barrier_wait -1
	s_and_saveexec_b32 s40, s11
	s_cbranch_execz .LBB99_95
; %bb.94:                               ;   in Loop: Header=BB99_3 Depth=1
	ds_load_b32 v29, v3 offset:15336
	ds_store_b32 v3, v28 offset:15340
	s_wait_dscnt 0x1
	ds_store_b64 v3, v[28:29] offset:15080
.LBB99_95:                              ;   in Loop: Header=BB99_3 Depth=1
	s_or_b32 exec_lo, exec_lo, s40
	v_mov_b32_e32 v29, 0
	s_wait_dscnt 0x0
	s_barrier_signal -1
	s_barrier_wait -1
	global_wb scope:SCOPE_DEV
	s_wait_storecnt 0x0
	global_inv scope:SCOPE_DEV
	s_and_saveexec_b32 s40, s2
	s_cbranch_execz .LBB99_99
; %bb.96:                               ;   in Loop: Header=BB99_3 Depth=1
	ds_load_b32 v29, v46 offset:15072
	ds_load_b32 v34, v48 offset:15336
	s_wait_dscnt 0x0
	v_fma_f32 v29, v29, v34, 0
	s_and_saveexec_b32 s41, s12
	s_cbranch_execz .LBB99_98
; %bb.97:                               ;   in Loop: Header=BB99_3 Depth=1
	ds_load_b32 v34, v40 offset:15328
	ds_load_b32 v35, v3 offset:15340
	s_wait_dscnt 0x0
	v_fmac_f32_e32 v29, v34, v35
.LBB99_98:                              ;   in Loop: Header=BB99_3 Depth=1
	s_or_b32 exec_lo, exec_lo, s41
.LBB99_99:                              ;   in Loop: Header=BB99_3 Depth=1
	s_delay_alu instid0(SALU_CYCLE_1)
	s_or_b32 exec_lo, exec_lo, s40
	s_and_saveexec_b32 s40, s88
; %bb.100:                              ;   in Loop: Header=BB99_3 Depth=1
	s_delay_alu instid0(VALU_DEP_1)
	v_xor_b32_e32 v34, 0x80000000, v29
	ds_store_b32 v44, v34
; %bb.101:                              ;   in Loop: Header=BB99_3 Depth=1
	s_or_b32 exec_lo, exec_lo, s40
	s_wait_loadcnt_dscnt 0x0
	s_barrier_signal -1
	s_barrier_wait -1
	s_and_saveexec_b32 s40, s89
	s_cbranch_execz .LBB99_103
; %bb.102:                              ;   in Loop: Header=BB99_3 Depth=1
	ds_load_b32 v34, v3 offset:14816
	ds_load_b32 v35, v44
	s_wait_dscnt 0x0
	v_fma_f32 v29, -v34, v35, v29
.LBB99_103:                             ;   in Loop: Header=BB99_3 Depth=1
	s_or_b32 exec_lo, exec_lo, s40
	s_barrier_signal -1
	s_barrier_wait -1
	s_and_saveexec_b32 s40, s89
; %bb.104:                              ;   in Loop: Header=BB99_3 Depth=1
	v_xor_b32_e32 v34, 0x80000000, v29
	ds_store_b32 v44, v34
; %bb.105:                              ;   in Loop: Header=BB99_3 Depth=1
	s_or_b32 exec_lo, exec_lo, s40
	s_wait_dscnt 0x0
	s_barrier_signal -1
	s_barrier_wait -1
	s_barrier_signal -1
	s_barrier_wait -1
	s_and_saveexec_b32 s40, s2
; %bb.106:                              ;   in Loop: Header=BB99_3 Depth=1
	ds_store_b32 v49, v29 offset:15328
; %bb.107:                              ;   in Loop: Header=BB99_3 Depth=1
	s_or_b32 exec_lo, exec_lo, s40
	s_wait_dscnt 0x0
	s_barrier_signal -1
	s_barrier_wait -1
	s_barrier_signal -1
	s_barrier_wait -1
	s_and_saveexec_b32 s40, s90
	s_cbranch_execz .LBB99_109
; %bb.108:                              ;   in Loop: Header=BB99_3 Depth=1
	ds_load_b32 v29, v41 offset:15072
	s_wait_dscnt 0x0
	ds_store_b32 v40, v29 offset:14568
	ds_load_b32 v29, v41 offset:15076
	s_wait_dscnt 0x0
	ds_store_b32 v40, v29 offset:14824
.LBB99_109:                             ;   in Loop: Header=BB99_3 Depth=1
	s_or_b32 exec_lo, exec_lo, s40
	s_wait_dscnt 0x0
	s_barrier_signal -1
	s_barrier_wait -1
	s_and_saveexec_b32 s40, s11
	s_cbranch_execz .LBB99_111
; %bb.110:                              ;   in Loop: Header=BB99_3 Depth=1
	ds_load_b32 v29, v3 offset:14816
	ds_store_b32 v3, v28 offset:14820
	s_wait_dscnt 0x1
	ds_store_b64 v3, v[28:29] offset:14560
.LBB99_111:                             ;   in Loop: Header=BB99_3 Depth=1
	s_or_b32 exec_lo, exec_lo, s40
	v_mov_b32_e32 v29, 0
	s_wait_dscnt 0x0
	s_barrier_signal -1
	s_barrier_wait -1
	global_wb scope:SCOPE_DEV
	s_wait_storecnt 0x0
	global_inv scope:SCOPE_DEV
	s_and_saveexec_b32 s40, s5
	s_cbranch_execz .LBB99_121
; %bb.112:                              ;   in Loop: Header=BB99_3 Depth=1
	ds_load_b32 v29, v56 offset:14528
	ds_load_b32 v34, v59 offset:16352
	s_wait_dscnt 0x0
	v_fma_f32 v29, v29, v34, 0
	s_and_saveexec_b32 s41, s15
	s_cbranch_execnz .LBB99_1177
; %bb.113:                              ;   in Loop: Header=BB99_3 Depth=1
	s_or_b32 exec_lo, exec_lo, s41
	s_and_saveexec_b32 s41, s16
	s_cbranch_execnz .LBB99_1178
.LBB99_114:                             ;   in Loop: Header=BB99_3 Depth=1
	s_or_b32 exec_lo, exec_lo, s41
	s_and_saveexec_b32 s41, s17
	s_cbranch_execnz .LBB99_1179
.LBB99_115:                             ;   in Loop: Header=BB99_3 Depth=1
	s_or_b32 exec_lo, exec_lo, s41
	s_and_saveexec_b32 s41, s18
	s_cbranch_execnz .LBB99_1180
.LBB99_116:                             ;   in Loop: Header=BB99_3 Depth=1
	s_or_b32 exec_lo, exec_lo, s41
	s_and_saveexec_b32 s41, s19
	s_cbranch_execnz .LBB99_1181
.LBB99_117:                             ;   in Loop: Header=BB99_3 Depth=1
	s_or_b32 exec_lo, exec_lo, s41
	s_and_saveexec_b32 s41, s4
	s_cbranch_execnz .LBB99_1182
.LBB99_118:                             ;   in Loop: Header=BB99_3 Depth=1
	s_or_b32 exec_lo, exec_lo, s41
	s_and_saveexec_b32 s41, s14
	s_cbranch_execz .LBB99_120
.LBB99_119:                             ;   in Loop: Header=BB99_3 Depth=1
	ds_load_b32 v34, v42 offset:16320
	ds_load_b32 v35, v3 offset:16380
	s_wait_dscnt 0x0
	v_fmac_f32_e32 v29, v34, v35
.LBB99_120:                             ;   in Loop: Header=BB99_3 Depth=1
	s_or_b32 exec_lo, exec_lo, s41
.LBB99_121:                             ;   in Loop: Header=BB99_3 Depth=1
	s_delay_alu instid0(SALU_CYCLE_1)
	s_or_b32 exec_lo, exec_lo, s40
	s_and_saveexec_b32 s40, s98
; %bb.122:                              ;   in Loop: Header=BB99_3 Depth=1
	s_delay_alu instid0(VALU_DEP_1)
	v_xor_b32_e32 v34, 0x80000000, v29
	ds_store_b32 v57, v34
; %bb.123:                              ;   in Loop: Header=BB99_3 Depth=1
	s_or_b32 exec_lo, exec_lo, s40
	s_wait_loadcnt_dscnt 0x0
	s_barrier_signal -1
	s_barrier_wait -1
	s_and_saveexec_b32 s40, s99
	s_cbranch_execz .LBB99_125
; %bb.124:                              ;   in Loop: Header=BB99_3 Depth=1
	ds_load_b32 v34, v56 offset:14272
	ds_load_b32 v35, v57
	s_wait_dscnt 0x0
	v_fma_f32 v29, -v34, v35, v29
.LBB99_125:                             ;   in Loop: Header=BB99_3 Depth=1
	s_or_b32 exec_lo, exec_lo, s40
	s_barrier_signal -1
	s_barrier_wait -1
	s_and_saveexec_b32 s40, s100
; %bb.126:                              ;   in Loop: Header=BB99_3 Depth=1
	v_xor_b32_e32 v34, 0x80000000, v29
	ds_store_b32 v57, v34
; %bb.127:                              ;   in Loop: Header=BB99_3 Depth=1
	s_or_b32 exec_lo, exec_lo, s40
	s_wait_dscnt 0x0
	s_barrier_signal -1
	s_barrier_wait -1
	s_and_saveexec_b32 s40, s101
	s_cbranch_execz .LBB99_129
; %bb.128:                              ;   in Loop: Header=BB99_3 Depth=1
	ds_load_b32 v34, v56 offset:14016
	ds_load_b32 v35, v57
	s_wait_dscnt 0x0
	v_fma_f32 v29, -v34, v35, v29
.LBB99_129:                             ;   in Loop: Header=BB99_3 Depth=1
	s_or_b32 exec_lo, exec_lo, s40
	s_barrier_signal -1
	s_barrier_wait -1
	s_and_saveexec_b32 s40, s102
; %bb.130:                              ;   in Loop: Header=BB99_3 Depth=1
	v_xor_b32_e32 v34, 0x80000000, v29
	ds_store_b32 v57, v34
; %bb.131:                              ;   in Loop: Header=BB99_3 Depth=1
	s_or_b32 exec_lo, exec_lo, s40
	s_wait_dscnt 0x0
	;; [unrolled: 20-line block ×3, first 2 shown]
	s_barrier_signal -1
	s_barrier_wait -1
	s_and_saveexec_b32 s40, vcc_hi
	s_cbranch_execz .LBB99_137
; %bb.136:                              ;   in Loop: Header=BB99_3 Depth=1
	ds_load_b32 v34, v56 offset:13504
	ds_load_b32 v35, v57
	s_wait_dscnt 0x0
	v_fma_f32 v29, -v34, v35, v29
.LBB99_137:                             ;   in Loop: Header=BB99_3 Depth=1
	s_or_b32 exec_lo, exec_lo, s40
	s_barrier_signal -1
	s_barrier_wait -1
	s_and_saveexec_b32 s40, s31
; %bb.138:                              ;   in Loop: Header=BB99_3 Depth=1
	v_xor_b32_e32 v34, 0x80000000, v29
	ds_store_b32 v57, v34
; %bb.139:                              ;   in Loop: Header=BB99_3 Depth=1
	s_or_b32 exec_lo, exec_lo, s40
	s_wait_dscnt 0x0
	s_barrier_signal -1
	s_barrier_wait -1
	s_and_saveexec_b32 s40, s33
	s_cbranch_execz .LBB99_141
; %bb.140:                              ;   in Loop: Header=BB99_3 Depth=1
	ds_load_b32 v34, v56 offset:13248
	ds_load_b32 v35, v57
	s_wait_dscnt 0x0
	v_fma_f32 v29, -v34, v35, v29
.LBB99_141:                             ;   in Loop: Header=BB99_3 Depth=1
	s_or_b32 exec_lo, exec_lo, s40
	s_barrier_signal -1
	s_barrier_wait -1
	s_and_saveexec_b32 s40, s34
; %bb.142:                              ;   in Loop: Header=BB99_3 Depth=1
	v_xor_b32_e32 v34, 0x80000000, v29
	ds_store_b32 v57, v34
; %bb.143:                              ;   in Loop: Header=BB99_3 Depth=1
	s_or_b32 exec_lo, exec_lo, s40
	s_wait_dscnt 0x0
	s_barrier_signal -1
	s_barrier_wait -1
	s_and_saveexec_b32 s40, s35
	;; [unrolled: 20-line block ×3, first 2 shown]
	s_cbranch_execz .LBB99_149
; %bb.148:                              ;   in Loop: Header=BB99_3 Depth=1
	ds_load_b32 v34, v3 offset:12736
	ds_load_b32 v35, v57
	s_wait_dscnt 0x0
	v_fma_f32 v29, -v34, v35, v29
.LBB99_149:                             ;   in Loop: Header=BB99_3 Depth=1
	s_or_b32 exec_lo, exec_lo, s40
	s_barrier_signal -1
	s_barrier_wait -1
	s_and_saveexec_b32 s40, s37
; %bb.150:                              ;   in Loop: Header=BB99_3 Depth=1
	v_xor_b32_e32 v34, 0x80000000, v29
	ds_store_b32 v57, v34
; %bb.151:                              ;   in Loop: Header=BB99_3 Depth=1
	s_or_b32 exec_lo, exec_lo, s40
	s_wait_dscnt 0x0
	s_barrier_signal -1
	s_barrier_wait -1
	s_barrier_signal -1
	s_barrier_wait -1
	s_and_saveexec_b32 s40, s5
; %bb.152:                              ;   in Loop: Header=BB99_3 Depth=1
	ds_store_b32 v60, v29 offset:16320
; %bb.153:                              ;   in Loop: Header=BB99_3 Depth=1
	s_or_b32 exec_lo, exec_lo, s40
	s_wait_dscnt 0x0
	s_barrier_signal -1
	s_barrier_wait -1
	s_barrier_signal -1
	s_barrier_wait -1
	s_and_saveexec_b32 s40, s38
	s_cbranch_execz .LBB99_155
; %bb.154:                              ;   in Loop: Header=BB99_3 Depth=1
	ds_load_b32 v29, v43 offset:14528
	s_wait_dscnt 0x0
	ds_store_b32 v45, v29 offset:12512
	ds_load_b32 v29, v43 offset:14532
	s_wait_dscnt 0x0
	ds_store_b32 v45, v29 offset:12768
	;; [unrolled: 3-line block ×8, first 2 shown]
.LBB99_155:                             ;   in Loop: Header=BB99_3 Depth=1
	s_or_b32 exec_lo, exec_lo, s40
	s_wait_dscnt 0x0
	s_barrier_signal -1
	s_barrier_wait -1
	s_and_saveexec_b32 s40, s11
	s_cbranch_execz .LBB99_157
; %bb.156:                              ;   in Loop: Header=BB99_3 Depth=1
	ds_load_b32 v29, v3 offset:14296
	ds_store_b32 v3, v28 offset:14300
	s_wait_dscnt 0x1
	ds_store_b64 v3, v[28:29] offset:14040
.LBB99_157:                             ;   in Loop: Header=BB99_3 Depth=1
	s_or_b32 exec_lo, exec_lo, s40
	v_mov_b32_e32 v29, 0
	s_wait_dscnt 0x0
	s_barrier_signal -1
	s_barrier_wait -1
	global_wb scope:SCOPE_DEV
	s_wait_storecnt 0x0
	global_inv scope:SCOPE_DEV
	s_and_saveexec_b32 s40, s2
	s_cbranch_execz .LBB99_161
; %bb.158:                              ;   in Loop: Header=BB99_3 Depth=1
	ds_load_b32 v29, v46 offset:14032
	ds_load_b32 v34, v48 offset:14296
	s_wait_dscnt 0x0
	v_fma_f32 v29, v29, v34, 0
	s_and_saveexec_b32 s41, s12
	s_cbranch_execz .LBB99_160
; %bb.159:                              ;   in Loop: Header=BB99_3 Depth=1
	ds_load_b32 v34, v45 offset:14288
	ds_load_b32 v35, v3 offset:14300
	s_wait_dscnt 0x0
	v_fmac_f32_e32 v29, v34, v35
.LBB99_160:                             ;   in Loop: Header=BB99_3 Depth=1
	s_or_b32 exec_lo, exec_lo, s41
.LBB99_161:                             ;   in Loop: Header=BB99_3 Depth=1
	s_delay_alu instid0(SALU_CYCLE_1)
	s_or_b32 exec_lo, exec_lo, s40
	s_and_saveexec_b32 s40, s88
; %bb.162:                              ;   in Loop: Header=BB99_3 Depth=1
	s_delay_alu instid0(VALU_DEP_1)
	v_xor_b32_e32 v34, 0x80000000, v29
	ds_store_b32 v44, v34
; %bb.163:                              ;   in Loop: Header=BB99_3 Depth=1
	s_or_b32 exec_lo, exec_lo, s40
	s_wait_loadcnt_dscnt 0x0
	s_barrier_signal -1
	s_barrier_wait -1
	s_and_saveexec_b32 s40, s89
	s_cbranch_execz .LBB99_165
; %bb.164:                              ;   in Loop: Header=BB99_3 Depth=1
	ds_load_b32 v34, v3 offset:13776
	ds_load_b32 v35, v44
	s_wait_dscnt 0x0
	v_fma_f32 v29, -v34, v35, v29
.LBB99_165:                             ;   in Loop: Header=BB99_3 Depth=1
	s_or_b32 exec_lo, exec_lo, s40
	s_barrier_signal -1
	s_barrier_wait -1
	s_and_saveexec_b32 s40, s89
; %bb.166:                              ;   in Loop: Header=BB99_3 Depth=1
	v_xor_b32_e32 v34, 0x80000000, v29
	ds_store_b32 v44, v34
; %bb.167:                              ;   in Loop: Header=BB99_3 Depth=1
	s_or_b32 exec_lo, exec_lo, s40
	s_wait_dscnt 0x0
	s_barrier_signal -1
	s_barrier_wait -1
	s_barrier_signal -1
	s_barrier_wait -1
	s_and_saveexec_b32 s40, s2
; %bb.168:                              ;   in Loop: Header=BB99_3 Depth=1
	ds_store_b32 v49, v29 offset:14288
; %bb.169:                              ;   in Loop: Header=BB99_3 Depth=1
	s_or_b32 exec_lo, exec_lo, s40
	s_wait_dscnt 0x0
	s_barrier_signal -1
	s_barrier_wait -1
	s_barrier_signal -1
	s_barrier_wait -1
	s_and_saveexec_b32 s40, s90
	s_cbranch_execz .LBB99_171
; %bb.170:                              ;   in Loop: Header=BB99_3 Depth=1
	ds_load_b32 v29, v47 offset:14032
	s_wait_dscnt 0x0
	ds_store_b32 v45, v29 offset:13528
	ds_load_b32 v29, v47 offset:14036
	s_wait_dscnt 0x0
	ds_store_b32 v45, v29 offset:13784
.LBB99_171:                             ;   in Loop: Header=BB99_3 Depth=1
	s_or_b32 exec_lo, exec_lo, s40
	s_wait_dscnt 0x0
	s_barrier_signal -1
	s_barrier_wait -1
	s_and_saveexec_b32 s40, s11
	s_cbranch_execz .LBB99_173
; %bb.172:                              ;   in Loop: Header=BB99_3 Depth=1
	ds_load_b32 v29, v3 offset:13776
	ds_store_b32 v3, v28 offset:13780
	s_wait_dscnt 0x1
	ds_store_b64 v3, v[28:29] offset:13520
.LBB99_173:                             ;   in Loop: Header=BB99_3 Depth=1
	s_or_b32 exec_lo, exec_lo, s40
	v_mov_b32_e32 v29, 0
	s_wait_dscnt 0x0
	s_barrier_signal -1
	s_barrier_wait -1
	global_wb scope:SCOPE_DEV
	s_wait_storecnt 0x0
	global_inv scope:SCOPE_DEV
	s_and_saveexec_b32 s40, s4
	s_cbranch_execz .LBB99_179
; %bb.174:                              ;   in Loop: Header=BB99_3 Depth=1
	ds_load_b32 v29, v52 offset:13504
	ds_load_b32 v34, v53 offset:14288
	s_wait_dscnt 0x0
	v_fma_f32 v29, v29, v34, 0
	s_and_saveexec_b32 s41, s13
	s_cbranch_execnz .LBB99_1183
; %bb.175:                              ;   in Loop: Header=BB99_3 Depth=1
	s_or_b32 exec_lo, exec_lo, s41
	s_and_saveexec_b32 s41, s14
	s_cbranch_execnz .LBB99_1184
.LBB99_176:                             ;   in Loop: Header=BB99_3 Depth=1
	s_or_b32 exec_lo, exec_lo, s41
	s_and_saveexec_b32 s41, s2
	s_cbranch_execz .LBB99_178
.LBB99_177:                             ;   in Loop: Header=BB99_3 Depth=1
	ds_load_b32 v34, v51 offset:14272
	ds_load_b32 v35, v3 offset:14300
	s_wait_dscnt 0x0
	v_fmac_f32_e32 v29, v34, v35
.LBB99_178:                             ;   in Loop: Header=BB99_3 Depth=1
	s_or_b32 exec_lo, exec_lo, s41
.LBB99_179:                             ;   in Loop: Header=BB99_3 Depth=1
	s_delay_alu instid0(SALU_CYCLE_1)
	s_or_b32 exec_lo, exec_lo, s40
	s_and_saveexec_b32 s40, s91
; %bb.180:                              ;   in Loop: Header=BB99_3 Depth=1
	s_delay_alu instid0(VALU_DEP_1)
	v_xor_b32_e32 v34, 0x80000000, v29
	ds_store_b32 v50, v34
; %bb.181:                              ;   in Loop: Header=BB99_3 Depth=1
	s_or_b32 exec_lo, exec_lo, s40
	s_wait_loadcnt_dscnt 0x0
	s_barrier_signal -1
	s_barrier_wait -1
	s_and_saveexec_b32 s40, s92
	s_cbranch_execz .LBB99_183
; %bb.182:                              ;   in Loop: Header=BB99_3 Depth=1
	ds_load_b32 v34, v52 offset:13248
	ds_load_b32 v35, v50
	s_wait_dscnt 0x0
	v_fma_f32 v29, -v34, v35, v29
.LBB99_183:                             ;   in Loop: Header=BB99_3 Depth=1
	s_or_b32 exec_lo, exec_lo, s40
	s_barrier_signal -1
	s_barrier_wait -1
	s_and_saveexec_b32 s40, s93
; %bb.184:                              ;   in Loop: Header=BB99_3 Depth=1
	v_xor_b32_e32 v34, 0x80000000, v29
	ds_store_b32 v50, v34
; %bb.185:                              ;   in Loop: Header=BB99_3 Depth=1
	s_or_b32 exec_lo, exec_lo, s40
	s_wait_dscnt 0x0
	s_barrier_signal -1
	s_barrier_wait -1
	s_and_saveexec_b32 s40, s94
	s_cbranch_execz .LBB99_187
; %bb.186:                              ;   in Loop: Header=BB99_3 Depth=1
	ds_load_b32 v34, v52 offset:12992
	ds_load_b32 v35, v50
	s_wait_dscnt 0x0
	v_fma_f32 v29, -v34, v35, v29
.LBB99_187:                             ;   in Loop: Header=BB99_3 Depth=1
	s_or_b32 exec_lo, exec_lo, s40
	s_barrier_signal -1
	s_barrier_wait -1
	s_and_saveexec_b32 s40, s95
; %bb.188:                              ;   in Loop: Header=BB99_3 Depth=1
	v_xor_b32_e32 v34, 0x80000000, v29
	ds_store_b32 v50, v34
; %bb.189:                              ;   in Loop: Header=BB99_3 Depth=1
	s_or_b32 exec_lo, exec_lo, s40
	s_wait_dscnt 0x0
	;; [unrolled: 20-line block ×3, first 2 shown]
	s_barrier_signal -1
	s_barrier_wait -1
	s_barrier_signal -1
	s_barrier_wait -1
	s_and_saveexec_b32 s40, s4
; %bb.194:                              ;   in Loop: Header=BB99_3 Depth=1
	ds_store_b32 v55, v29 offset:14272
; %bb.195:                              ;   in Loop: Header=BB99_3 Depth=1
	s_or_b32 exec_lo, exec_lo, s40
	s_wait_dscnt 0x0
	s_barrier_signal -1
	s_barrier_wait -1
	s_barrier_signal -1
	s_barrier_wait -1
	s_and_saveexec_b32 s40, s97
	s_cbranch_execz .LBB99_197
; %bb.196:                              ;   in Loop: Header=BB99_3 Depth=1
	ds_load_b32 v29, v54 offset:13504
	s_wait_dscnt 0x0
	ds_store_b32 v58, v29 offset:12496
	ds_load_b32 v29, v54 offset:13508
	s_wait_dscnt 0x0
	ds_store_b32 v58, v29 offset:12752
	;; [unrolled: 3-line block ×4, first 2 shown]
.LBB99_197:                             ;   in Loop: Header=BB99_3 Depth=1
	s_or_b32 exec_lo, exec_lo, s40
	s_wait_dscnt 0x0
	s_barrier_signal -1
	s_barrier_wait -1
	s_and_saveexec_b32 s40, s11
	s_cbranch_execz .LBB99_199
; %bb.198:                              ;   in Loop: Header=BB99_3 Depth=1
	ds_load_b32 v29, v3 offset:13256
	ds_store_b32 v3, v28 offset:13260
	s_wait_dscnt 0x1
	ds_store_b64 v3, v[28:29] offset:13000
.LBB99_199:                             ;   in Loop: Header=BB99_3 Depth=1
	s_or_b32 exec_lo, exec_lo, s40
	v_mov_b32_e32 v29, 0
	s_wait_dscnt 0x0
	s_barrier_signal -1
	s_barrier_wait -1
	global_wb scope:SCOPE_DEV
	s_wait_storecnt 0x0
	global_inv scope:SCOPE_DEV
	s_and_saveexec_b32 s40, s2
	s_cbranch_execz .LBB99_203
; %bb.200:                              ;   in Loop: Header=BB99_3 Depth=1
	ds_load_b32 v29, v46 offset:12992
	ds_load_b32 v34, v48 offset:13256
	s_wait_dscnt 0x0
	v_fma_f32 v29, v29, v34, 0
	s_and_saveexec_b32 s41, s12
	s_cbranch_execz .LBB99_202
; %bb.201:                              ;   in Loop: Header=BB99_3 Depth=1
	ds_load_b32 v34, v58 offset:13248
	ds_load_b32 v35, v3 offset:13260
	s_wait_dscnt 0x0
	v_fmac_f32_e32 v29, v34, v35
.LBB99_202:                             ;   in Loop: Header=BB99_3 Depth=1
	s_or_b32 exec_lo, exec_lo, s41
.LBB99_203:                             ;   in Loop: Header=BB99_3 Depth=1
	s_delay_alu instid0(SALU_CYCLE_1)
	s_or_b32 exec_lo, exec_lo, s40
	s_and_saveexec_b32 s40, s88
; %bb.204:                              ;   in Loop: Header=BB99_3 Depth=1
	s_delay_alu instid0(VALU_DEP_1)
	v_xor_b32_e32 v34, 0x80000000, v29
	ds_store_b32 v44, v34
; %bb.205:                              ;   in Loop: Header=BB99_3 Depth=1
	s_or_b32 exec_lo, exec_lo, s40
	s_wait_loadcnt_dscnt 0x0
	s_barrier_signal -1
	s_barrier_wait -1
	s_and_saveexec_b32 s40, s89
	s_cbranch_execz .LBB99_207
; %bb.206:                              ;   in Loop: Header=BB99_3 Depth=1
	ds_load_b32 v34, v3 offset:12736
	ds_load_b32 v35, v44
	s_wait_dscnt 0x0
	v_fma_f32 v29, -v34, v35, v29
.LBB99_207:                             ;   in Loop: Header=BB99_3 Depth=1
	s_or_b32 exec_lo, exec_lo, s40
	s_barrier_signal -1
	s_barrier_wait -1
	s_and_saveexec_b32 s40, s89
; %bb.208:                              ;   in Loop: Header=BB99_3 Depth=1
	v_xor_b32_e32 v34, 0x80000000, v29
	ds_store_b32 v44, v34
; %bb.209:                              ;   in Loop: Header=BB99_3 Depth=1
	s_or_b32 exec_lo, exec_lo, s40
	s_wait_dscnt 0x0
	s_barrier_signal -1
	s_barrier_wait -1
	s_barrier_signal -1
	s_barrier_wait -1
	s_and_saveexec_b32 s40, s2
; %bb.210:                              ;   in Loop: Header=BB99_3 Depth=1
	ds_store_b32 v49, v29 offset:13248
; %bb.211:                              ;   in Loop: Header=BB99_3 Depth=1
	s_or_b32 exec_lo, exec_lo, s40
	s_wait_dscnt 0x0
	s_barrier_signal -1
	s_barrier_wait -1
	s_barrier_signal -1
	s_barrier_wait -1
	s_and_saveexec_b32 s40, s90
	s_cbranch_execz .LBB99_213
; %bb.212:                              ;   in Loop: Header=BB99_3 Depth=1
	ds_load_b32 v29, v61 offset:12992
	s_wait_dscnt 0x0
	ds_store_b32 v58, v29 offset:12488
	ds_load_b32 v29, v61 offset:12996
	s_wait_dscnt 0x0
	ds_store_b32 v58, v29 offset:12744
.LBB99_213:                             ;   in Loop: Header=BB99_3 Depth=1
	s_or_b32 exec_lo, exec_lo, s40
	s_wait_dscnt 0x0
	s_barrier_signal -1
	s_barrier_wait -1
	s_and_saveexec_b32 s40, s11
	s_cbranch_execz .LBB99_215
; %bb.214:                              ;   in Loop: Header=BB99_3 Depth=1
	ds_load_b32 v29, v3 offset:12736
	ds_store_b32 v3, v28 offset:12740
	s_wait_dscnt 0x1
	ds_store_b64 v3, v[28:29] offset:12480
.LBB99_215:                             ;   in Loop: Header=BB99_3 Depth=1
	s_or_b32 exec_lo, exec_lo, s40
	v_mov_b32_e32 v29, 0
	s_wait_dscnt 0x0
	s_barrier_signal -1
	s_barrier_wait -1
	global_wb scope:SCOPE_DEV
	s_wait_storecnt 0x0
	global_inv scope:SCOPE_DEV
	s_and_saveexec_b32 s61, s6
	s_cbranch_execz .LBB99_243
; %bb.216:                              ;   in Loop: Header=BB99_3 Depth=1
	ds_load_b32 v29, v62 offset:12416
	ds_load_b32 v34, v65 offset:16320
	s_wait_dscnt 0x0
	v_fma_f32 v29, v29, v34, 0
	s_mov_b32 s40, exec_lo
	v_readlane_b32 s41, v89, 14
	s_and_b32 s41, s40, s41
	s_delay_alu instid0(SALU_CYCLE_1)
	s_mov_b32 exec_lo, s41
	s_cbranch_execz .LBB99_218
; %bb.217:                              ;   in Loop: Header=BB99_3 Depth=1
	ds_load_b32 v34, v62 offset:12672
	ds_load_b32 v35, v65 offset:16324
	s_wait_dscnt 0x0
	v_fmac_f32_e32 v29, v34, v35
.LBB99_218:                             ;   in Loop: Header=BB99_3 Depth=1
	s_or_b32 exec_lo, exec_lo, s40
	s_delay_alu instid0(SALU_CYCLE_1) | instskip(SKIP_2) | instid1(SALU_CYCLE_1)
	s_mov_b32 s40, exec_lo
	v_readlane_b32 s41, v89, 15
	s_and_b32 s41, s40, s41
	s_mov_b32 exec_lo, s41
	s_cbranch_execz .LBB99_220
; %bb.219:                              ;   in Loop: Header=BB99_3 Depth=1
	ds_load_b32 v34, v62 offset:12928
	ds_load_b32 v35, v65 offset:16328
	s_wait_dscnt 0x0
	v_fmac_f32_e32 v29, v34, v35
.LBB99_220:                             ;   in Loop: Header=BB99_3 Depth=1
	s_or_b32 exec_lo, exec_lo, s40
	s_delay_alu instid0(SALU_CYCLE_1) | instskip(SKIP_2) | instid1(SALU_CYCLE_1)
	s_mov_b32 s40, exec_lo
	v_readlane_b32 s41, v89, 16
	s_and_b32 s41, s40, s41
	;; [unrolled: 13-line block ×10, first 2 shown]
	s_mov_b32 exec_lo, s41
	s_cbranch_execnz .LBB99_1185
; %bb.237:                              ;   in Loop: Header=BB99_3 Depth=1
	s_or_b32 exec_lo, exec_lo, s40
	s_and_saveexec_b32 s40, s5
	s_cbranch_execnz .LBB99_1186
.LBB99_238:                             ;   in Loop: Header=BB99_3 Depth=1
	s_or_b32 exec_lo, exec_lo, s40
	s_and_saveexec_b32 s40, s16
	s_cbranch_execnz .LBB99_1187
.LBB99_239:                             ;   in Loop: Header=BB99_3 Depth=1
	s_or_b32 exec_lo, exec_lo, s40
	s_and_saveexec_b32 s40, s18
	s_cbranch_execnz .LBB99_1188
.LBB99_240:                             ;   in Loop: Header=BB99_3 Depth=1
	s_or_b32 exec_lo, exec_lo, s40
	s_and_saveexec_b32 s40, s4
	s_cbranch_execz .LBB99_242
.LBB99_241:                             ;   in Loop: Header=BB99_3 Depth=1
	ds_load_b32 v34, v7 offset:16256
	ds_load_b32 v35, v3 offset:16380
	s_wait_dscnt 0x0
	v_fmac_f32_e32 v29, v34, v35
.LBB99_242:                             ;   in Loop: Header=BB99_3 Depth=1
	s_or_b32 exec_lo, exec_lo, s40
.LBB99_243:                             ;   in Loop: Header=BB99_3 Depth=1
	s_delay_alu instid0(SALU_CYCLE_1) | instskip(NEXT) | instid1(SALU_CYCLE_1)
	s_or_b32 exec_lo, exec_lo, s61
	s_mov_b32 s40, exec_lo
	v_readlane_b32 s41, v91, 2
	s_and_b32 s41, s40, s41
	s_delay_alu instid0(SALU_CYCLE_1)
	s_mov_b32 exec_lo, s41
; %bb.244:                              ;   in Loop: Header=BB99_3 Depth=1
	v_xor_b32_e32 v34, 0x80000000, v29
	ds_store_b32 v63, v34
; %bb.245:                              ;   in Loop: Header=BB99_3 Depth=1
	s_or_b32 exec_lo, exec_lo, s40
	s_wait_loadcnt_dscnt 0x0
	s_barrier_signal -1
	s_barrier_wait -1
	s_mov_b32 s40, exec_lo
	v_readlane_b32 s41, v91, 3
	s_and_b32 s41, s40, s41
	s_delay_alu instid0(SALU_CYCLE_1)
	s_mov_b32 exec_lo, s41
	s_cbranch_execz .LBB99_247
; %bb.246:                              ;   in Loop: Header=BB99_3 Depth=1
	ds_load_b32 v34, v62 offset:12160
	ds_load_b32 v35, v63
	s_wait_dscnt 0x0
	v_fma_f32 v29, -v34, v35, v29
.LBB99_247:                             ;   in Loop: Header=BB99_3 Depth=1
	s_or_b32 exec_lo, exec_lo, s40
	s_barrier_signal -1
	s_barrier_wait -1
	s_mov_b32 s40, exec_lo
	v_readlane_b32 s41, v91, 4
	s_and_b32 s41, s40, s41
	s_delay_alu instid0(SALU_CYCLE_1)
	s_mov_b32 exec_lo, s41
; %bb.248:                              ;   in Loop: Header=BB99_3 Depth=1
	v_xor_b32_e32 v34, 0x80000000, v29
	ds_store_b32 v63, v34
; %bb.249:                              ;   in Loop: Header=BB99_3 Depth=1
	s_or_b32 exec_lo, exec_lo, s40
	s_wait_dscnt 0x0
	s_barrier_signal -1
	s_barrier_wait -1
	s_mov_b32 s40, exec_lo
	v_readlane_b32 s41, v91, 5
	s_and_b32 s41, s40, s41
	s_delay_alu instid0(SALU_CYCLE_1)
	s_mov_b32 exec_lo, s41
	s_cbranch_execz .LBB99_251
; %bb.250:                              ;   in Loop: Header=BB99_3 Depth=1
	ds_load_b32 v34, v62 offset:11904
	ds_load_b32 v35, v63
	s_wait_dscnt 0x0
	v_fma_f32 v29, -v34, v35, v29
.LBB99_251:                             ;   in Loop: Header=BB99_3 Depth=1
	s_or_b32 exec_lo, exec_lo, s40
	s_barrier_signal -1
	s_barrier_wait -1
	s_and_saveexec_b32 s40, s43
; %bb.252:                              ;   in Loop: Header=BB99_3 Depth=1
	v_xor_b32_e32 v34, 0x80000000, v29
	ds_store_b32 v63, v34
; %bb.253:                              ;   in Loop: Header=BB99_3 Depth=1
	s_or_b32 exec_lo, exec_lo, s40
	s_wait_dscnt 0x0
	s_barrier_signal -1
	s_barrier_wait -1
	s_and_saveexec_b32 s40, s44
	s_cbranch_execz .LBB99_255
; %bb.254:                              ;   in Loop: Header=BB99_3 Depth=1
	ds_load_b32 v34, v62 offset:11648
	ds_load_b32 v35, v63
	s_wait_dscnt 0x0
	v_fma_f32 v29, -v34, v35, v29
.LBB99_255:                             ;   in Loop: Header=BB99_3 Depth=1
	s_or_b32 exec_lo, exec_lo, s40
	s_barrier_signal -1
	s_barrier_wait -1
	s_and_saveexec_b32 s40, s45
; %bb.256:                              ;   in Loop: Header=BB99_3 Depth=1
	v_xor_b32_e32 v34, 0x80000000, v29
	ds_store_b32 v63, v34
; %bb.257:                              ;   in Loop: Header=BB99_3 Depth=1
	s_or_b32 exec_lo, exec_lo, s40
	s_wait_dscnt 0x0
	s_barrier_signal -1
	s_barrier_wait -1
	s_and_saveexec_b32 s40, s46
	;; [unrolled: 20-line block ×13, first 2 shown]
	s_cbranch_execz .LBB99_303
; %bb.302:                              ;   in Loop: Header=BB99_3 Depth=1
	ds_load_b32 v34, v3 offset:8576
	ds_load_b32 v35, v63
	s_wait_dscnt 0x0
	v_fma_f32 v29, -v34, v35, v29
.LBB99_303:                             ;   in Loop: Header=BB99_3 Depth=1
	s_or_b32 exec_lo, exec_lo, s40
	s_barrier_signal -1
	s_barrier_wait -1
	s_and_saveexec_b32 s40, s27
; %bb.304:                              ;   in Loop: Header=BB99_3 Depth=1
	v_xor_b32_e32 v34, 0x80000000, v29
	ds_store_b32 v63, v34
; %bb.305:                              ;   in Loop: Header=BB99_3 Depth=1
	s_or_b32 exec_lo, exec_lo, s40
	s_wait_dscnt 0x0
	s_barrier_signal -1
	s_barrier_wait -1
	s_barrier_signal -1
	s_barrier_wait -1
	s_and_saveexec_b32 s40, s6
; %bb.306:                              ;   in Loop: Header=BB99_3 Depth=1
	ds_store_b32 v66, v29 offset:16256
; %bb.307:                              ;   in Loop: Header=BB99_3 Depth=1
	s_or_b32 exec_lo, exec_lo, s40
	s_wait_dscnt 0x0
	s_barrier_signal -1
	s_barrier_wait -1
	s_barrier_signal -1
	s_barrier_wait -1
	s_and_saveexec_b32 s40, s29
	s_cbranch_execz .LBB99_309
; %bb.308:                              ;   in Loop: Header=BB99_3 Depth=1
	ds_load_b32 v29, v9 offset:12416
	s_wait_dscnt 0x0
	ds_store_b32 v38, v29 offset:8384
	ds_load_b32 v29, v9 offset:12420
	s_wait_dscnt 0x0
	ds_store_b32 v38, v29 offset:8640
	;; [unrolled: 3-line block ×16, first 2 shown]
.LBB99_309:                             ;   in Loop: Header=BB99_3 Depth=1
	s_or_b32 exec_lo, exec_lo, s40
	s_wait_dscnt 0x0
	s_barrier_signal -1
	s_barrier_wait -1
	s_and_saveexec_b32 s40, s11
	s_cbranch_execz .LBB99_311
; %bb.310:                              ;   in Loop: Header=BB99_3 Depth=1
	ds_load_b32 v29, v3 offset:12216
	ds_store_b32 v3, v28 offset:12220
	s_wait_dscnt 0x1
	ds_store_b64 v3, v[28:29] offset:11960
.LBB99_311:                             ;   in Loop: Header=BB99_3 Depth=1
	s_or_b32 exec_lo, exec_lo, s40
	v_mov_b32_e32 v29, 0
	s_wait_dscnt 0x0
	s_barrier_signal -1
	s_barrier_wait -1
	global_wb scope:SCOPE_DEV
	s_wait_storecnt 0x0
	global_inv scope:SCOPE_DEV
	s_and_saveexec_b32 s40, s2
	s_cbranch_execz .LBB99_315
; %bb.312:                              ;   in Loop: Header=BB99_3 Depth=1
	ds_load_b32 v29, v46 offset:11952
	ds_load_b32 v34, v48 offset:12216
	s_wait_dscnt 0x0
	v_fma_f32 v29, v29, v34, 0
	s_and_saveexec_b32 s41, s12
	s_cbranch_execz .LBB99_314
; %bb.313:                              ;   in Loop: Header=BB99_3 Depth=1
	ds_load_b32 v34, v7 offset:12208
	ds_load_b32 v35, v3 offset:12220
	s_wait_dscnt 0x0
	v_fmac_f32_e32 v29, v34, v35
.LBB99_314:                             ;   in Loop: Header=BB99_3 Depth=1
	s_or_b32 exec_lo, exec_lo, s41
.LBB99_315:                             ;   in Loop: Header=BB99_3 Depth=1
	s_delay_alu instid0(SALU_CYCLE_1)
	s_or_b32 exec_lo, exec_lo, s40
	s_and_saveexec_b32 s40, s88
; %bb.316:                              ;   in Loop: Header=BB99_3 Depth=1
	s_delay_alu instid0(VALU_DEP_1)
	v_xor_b32_e32 v34, 0x80000000, v29
	ds_store_b32 v44, v34
; %bb.317:                              ;   in Loop: Header=BB99_3 Depth=1
	s_or_b32 exec_lo, exec_lo, s40
	s_wait_loadcnt_dscnt 0x0
	s_barrier_signal -1
	s_barrier_wait -1
	s_and_saveexec_b32 s40, s89
	s_cbranch_execz .LBB99_319
; %bb.318:                              ;   in Loop: Header=BB99_3 Depth=1
	ds_load_b32 v34, v3 offset:11696
	ds_load_b32 v35, v44
	s_wait_dscnt 0x0
	v_fma_f32 v29, -v34, v35, v29
.LBB99_319:                             ;   in Loop: Header=BB99_3 Depth=1
	s_or_b32 exec_lo, exec_lo, s40
	s_barrier_signal -1
	s_barrier_wait -1
	s_and_saveexec_b32 s40, s89
; %bb.320:                              ;   in Loop: Header=BB99_3 Depth=1
	v_xor_b32_e32 v34, 0x80000000, v29
	ds_store_b32 v44, v34
; %bb.321:                              ;   in Loop: Header=BB99_3 Depth=1
	s_or_b32 exec_lo, exec_lo, s40
	s_wait_dscnt 0x0
	s_barrier_signal -1
	s_barrier_wait -1
	s_barrier_signal -1
	s_barrier_wait -1
	s_and_saveexec_b32 s40, s2
; %bb.322:                              ;   in Loop: Header=BB99_3 Depth=1
	ds_store_b32 v49, v29 offset:12208
; %bb.323:                              ;   in Loop: Header=BB99_3 Depth=1
	s_or_b32 exec_lo, exec_lo, s40
	s_wait_dscnt 0x0
	s_barrier_signal -1
	s_barrier_wait -1
	s_barrier_signal -1
	s_barrier_wait -1
	s_and_saveexec_b32 s40, s90
	s_cbranch_execz .LBB99_325
; %bb.324:                              ;   in Loop: Header=BB99_3 Depth=1
	ds_load_b32 v29, v9 offset:11952
	s_wait_dscnt 0x0
	ds_store_b32 v7, v29 offset:11448
	ds_load_b32 v29, v9 offset:11956
	s_wait_dscnt 0x0
	ds_store_b32 v7, v29 offset:11704
.LBB99_325:                             ;   in Loop: Header=BB99_3 Depth=1
	s_or_b32 exec_lo, exec_lo, s40
	s_wait_dscnt 0x0
	s_barrier_signal -1
	s_barrier_wait -1
	s_and_saveexec_b32 s40, s11
	s_cbranch_execz .LBB99_327
; %bb.326:                              ;   in Loop: Header=BB99_3 Depth=1
	ds_load_b32 v29, v3 offset:11696
	ds_store_b32 v3, v28 offset:11700
	s_wait_dscnt 0x1
	ds_store_b64 v3, v[28:29] offset:11440
.LBB99_327:                             ;   in Loop: Header=BB99_3 Depth=1
	s_or_b32 exec_lo, exec_lo, s40
	v_mov_b32_e32 v29, 0
	s_wait_dscnt 0x0
	s_barrier_signal -1
	s_barrier_wait -1
	global_wb scope:SCOPE_DEV
	s_wait_storecnt 0x0
	global_inv scope:SCOPE_DEV
	s_and_saveexec_b32 s40, s4
	s_cbranch_execz .LBB99_333
; %bb.328:                              ;   in Loop: Header=BB99_3 Depth=1
	ds_load_b32 v29, v52 offset:11424
	ds_load_b32 v34, v53 offset:12208
	s_wait_dscnt 0x0
	v_fma_f32 v29, v29, v34, 0
	s_and_saveexec_b32 s41, s13
	s_cbranch_execnz .LBB99_1189
; %bb.329:                              ;   in Loop: Header=BB99_3 Depth=1
	s_or_b32 exec_lo, exec_lo, s41
	s_and_saveexec_b32 s41, s14
	s_cbranch_execnz .LBB99_1190
.LBB99_330:                             ;   in Loop: Header=BB99_3 Depth=1
	s_or_b32 exec_lo, exec_lo, s41
	s_and_saveexec_b32 s41, s2
	s_cbranch_execz .LBB99_332
.LBB99_331:                             ;   in Loop: Header=BB99_3 Depth=1
	ds_load_b32 v34, v38 offset:12192
	ds_load_b32 v35, v3 offset:12220
	s_wait_dscnt 0x0
	v_fmac_f32_e32 v29, v34, v35
.LBB99_332:                             ;   in Loop: Header=BB99_3 Depth=1
	s_or_b32 exec_lo, exec_lo, s41
.LBB99_333:                             ;   in Loop: Header=BB99_3 Depth=1
	s_delay_alu instid0(SALU_CYCLE_1)
	s_or_b32 exec_lo, exec_lo, s40
	s_and_saveexec_b32 s40, s91
; %bb.334:                              ;   in Loop: Header=BB99_3 Depth=1
	s_delay_alu instid0(VALU_DEP_1)
	v_xor_b32_e32 v34, 0x80000000, v29
	ds_store_b32 v50, v34
; %bb.335:                              ;   in Loop: Header=BB99_3 Depth=1
	s_or_b32 exec_lo, exec_lo, s40
	s_wait_loadcnt_dscnt 0x0
	s_barrier_signal -1
	s_barrier_wait -1
	s_and_saveexec_b32 s40, s92
	s_cbranch_execz .LBB99_337
; %bb.336:                              ;   in Loop: Header=BB99_3 Depth=1
	ds_load_b32 v34, v52 offset:11168
	ds_load_b32 v35, v50
	s_wait_dscnt 0x0
	v_fma_f32 v29, -v34, v35, v29
.LBB99_337:                             ;   in Loop: Header=BB99_3 Depth=1
	s_or_b32 exec_lo, exec_lo, s40
	s_barrier_signal -1
	s_barrier_wait -1
	s_and_saveexec_b32 s40, s93
; %bb.338:                              ;   in Loop: Header=BB99_3 Depth=1
	v_xor_b32_e32 v34, 0x80000000, v29
	ds_store_b32 v50, v34
; %bb.339:                              ;   in Loop: Header=BB99_3 Depth=1
	s_or_b32 exec_lo, exec_lo, s40
	s_wait_dscnt 0x0
	s_barrier_signal -1
	s_barrier_wait -1
	s_and_saveexec_b32 s40, s94
	s_cbranch_execz .LBB99_341
; %bb.340:                              ;   in Loop: Header=BB99_3 Depth=1
	ds_load_b32 v34, v52 offset:10912
	ds_load_b32 v35, v50
	s_wait_dscnt 0x0
	v_fma_f32 v29, -v34, v35, v29
.LBB99_341:                             ;   in Loop: Header=BB99_3 Depth=1
	s_or_b32 exec_lo, exec_lo, s40
	s_barrier_signal -1
	s_barrier_wait -1
	s_and_saveexec_b32 s40, s95
; %bb.342:                              ;   in Loop: Header=BB99_3 Depth=1
	v_xor_b32_e32 v34, 0x80000000, v29
	ds_store_b32 v50, v34
; %bb.343:                              ;   in Loop: Header=BB99_3 Depth=1
	s_or_b32 exec_lo, exec_lo, s40
	s_wait_dscnt 0x0
	;; [unrolled: 20-line block ×3, first 2 shown]
	s_barrier_signal -1
	s_barrier_wait -1
	s_barrier_signal -1
	s_barrier_wait -1
	s_and_saveexec_b32 s40, s4
; %bb.348:                              ;   in Loop: Header=BB99_3 Depth=1
	ds_store_b32 v55, v29 offset:12192
; %bb.349:                              ;   in Loop: Header=BB99_3 Depth=1
	s_or_b32 exec_lo, exec_lo, s40
	s_wait_dscnt 0x0
	s_barrier_signal -1
	s_barrier_wait -1
	s_barrier_signal -1
	s_barrier_wait -1
	s_and_saveexec_b32 s40, s97
	s_cbranch_execz .LBB99_351
; %bb.350:                              ;   in Loop: Header=BB99_3 Depth=1
	ds_load_b32 v29, v39 offset:11424
	s_wait_dscnt 0x0
	ds_store_b32 v40, v29 offset:10416
	ds_load_b32 v29, v39 offset:11428
	s_wait_dscnt 0x0
	ds_store_b32 v40, v29 offset:10672
	;; [unrolled: 3-line block ×4, first 2 shown]
.LBB99_351:                             ;   in Loop: Header=BB99_3 Depth=1
	s_or_b32 exec_lo, exec_lo, s40
	s_wait_dscnt 0x0
	s_barrier_signal -1
	s_barrier_wait -1
	s_and_saveexec_b32 s40, s11
	s_cbranch_execz .LBB99_353
; %bb.352:                              ;   in Loop: Header=BB99_3 Depth=1
	ds_load_b32 v29, v3 offset:11176
	ds_store_b32 v3, v28 offset:11180
	s_wait_dscnt 0x1
	ds_store_b64 v3, v[28:29] offset:10920
.LBB99_353:                             ;   in Loop: Header=BB99_3 Depth=1
	s_or_b32 exec_lo, exec_lo, s40
	v_mov_b32_e32 v29, 0
	s_wait_dscnt 0x0
	s_barrier_signal -1
	s_barrier_wait -1
	global_wb scope:SCOPE_DEV
	s_wait_storecnt 0x0
	global_inv scope:SCOPE_DEV
	s_and_saveexec_b32 s40, s2
	s_cbranch_execz .LBB99_357
; %bb.354:                              ;   in Loop: Header=BB99_3 Depth=1
	ds_load_b32 v29, v46 offset:10912
	ds_load_b32 v34, v48 offset:11176
	s_wait_dscnt 0x0
	v_fma_f32 v29, v29, v34, 0
	s_and_saveexec_b32 s41, s12
	s_cbranch_execz .LBB99_356
; %bb.355:                              ;   in Loop: Header=BB99_3 Depth=1
	ds_load_b32 v34, v40 offset:11168
	ds_load_b32 v35, v3 offset:11180
	s_wait_dscnt 0x0
	v_fmac_f32_e32 v29, v34, v35
.LBB99_356:                             ;   in Loop: Header=BB99_3 Depth=1
	s_or_b32 exec_lo, exec_lo, s41
.LBB99_357:                             ;   in Loop: Header=BB99_3 Depth=1
	s_delay_alu instid0(SALU_CYCLE_1)
	s_or_b32 exec_lo, exec_lo, s40
	s_and_saveexec_b32 s40, s88
; %bb.358:                              ;   in Loop: Header=BB99_3 Depth=1
	s_delay_alu instid0(VALU_DEP_1)
	v_xor_b32_e32 v34, 0x80000000, v29
	ds_store_b32 v44, v34
; %bb.359:                              ;   in Loop: Header=BB99_3 Depth=1
	s_or_b32 exec_lo, exec_lo, s40
	s_wait_loadcnt_dscnt 0x0
	s_barrier_signal -1
	s_barrier_wait -1
	s_and_saveexec_b32 s40, s89
	s_cbranch_execz .LBB99_361
; %bb.360:                              ;   in Loop: Header=BB99_3 Depth=1
	ds_load_b32 v34, v3 offset:10656
	ds_load_b32 v35, v44
	s_wait_dscnt 0x0
	v_fma_f32 v29, -v34, v35, v29
.LBB99_361:                             ;   in Loop: Header=BB99_3 Depth=1
	s_or_b32 exec_lo, exec_lo, s40
	s_barrier_signal -1
	s_barrier_wait -1
	s_and_saveexec_b32 s40, s89
; %bb.362:                              ;   in Loop: Header=BB99_3 Depth=1
	v_xor_b32_e32 v34, 0x80000000, v29
	ds_store_b32 v44, v34
; %bb.363:                              ;   in Loop: Header=BB99_3 Depth=1
	s_or_b32 exec_lo, exec_lo, s40
	s_wait_dscnt 0x0
	s_barrier_signal -1
	s_barrier_wait -1
	s_barrier_signal -1
	s_barrier_wait -1
	s_and_saveexec_b32 s40, s2
; %bb.364:                              ;   in Loop: Header=BB99_3 Depth=1
	ds_store_b32 v49, v29 offset:11168
; %bb.365:                              ;   in Loop: Header=BB99_3 Depth=1
	s_or_b32 exec_lo, exec_lo, s40
	s_wait_dscnt 0x0
	s_barrier_signal -1
	s_barrier_wait -1
	s_barrier_signal -1
	s_barrier_wait -1
	s_and_saveexec_b32 s40, s90
	s_cbranch_execz .LBB99_367
; %bb.366:                              ;   in Loop: Header=BB99_3 Depth=1
	ds_load_b32 v29, v41 offset:10912
	s_wait_dscnt 0x0
	ds_store_b32 v40, v29 offset:10408
	ds_load_b32 v29, v41 offset:10916
	s_wait_dscnt 0x0
	ds_store_b32 v40, v29 offset:10664
.LBB99_367:                             ;   in Loop: Header=BB99_3 Depth=1
	s_or_b32 exec_lo, exec_lo, s40
	s_wait_dscnt 0x0
	s_barrier_signal -1
	s_barrier_wait -1
	s_and_saveexec_b32 s40, s11
	s_cbranch_execz .LBB99_369
; %bb.368:                              ;   in Loop: Header=BB99_3 Depth=1
	ds_load_b32 v29, v3 offset:10656
	ds_store_b32 v3, v28 offset:10660
	s_wait_dscnt 0x1
	ds_store_b64 v3, v[28:29] offset:10400
.LBB99_369:                             ;   in Loop: Header=BB99_3 Depth=1
	s_or_b32 exec_lo, exec_lo, s40
	v_mov_b32_e32 v29, 0
	s_wait_dscnt 0x0
	s_barrier_signal -1
	s_barrier_wait -1
	global_wb scope:SCOPE_DEV
	s_wait_storecnt 0x0
	global_inv scope:SCOPE_DEV
	s_and_saveexec_b32 s40, s5
	s_cbranch_execz .LBB99_379
; %bb.370:                              ;   in Loop: Header=BB99_3 Depth=1
	ds_load_b32 v29, v56 offset:10368
	ds_load_b32 v34, v59 offset:12192
	s_wait_dscnt 0x0
	v_fma_f32 v29, v29, v34, 0
	s_and_saveexec_b32 s41, s15
	s_cbranch_execnz .LBB99_1191
; %bb.371:                              ;   in Loop: Header=BB99_3 Depth=1
	s_or_b32 exec_lo, exec_lo, s41
	s_and_saveexec_b32 s41, s16
	s_cbranch_execnz .LBB99_1192
.LBB99_372:                             ;   in Loop: Header=BB99_3 Depth=1
	s_or_b32 exec_lo, exec_lo, s41
	s_and_saveexec_b32 s41, s17
	s_cbranch_execnz .LBB99_1193
.LBB99_373:                             ;   in Loop: Header=BB99_3 Depth=1
	s_or_b32 exec_lo, exec_lo, s41
	s_and_saveexec_b32 s41, s18
	s_cbranch_execnz .LBB99_1194
.LBB99_374:                             ;   in Loop: Header=BB99_3 Depth=1
	s_or_b32 exec_lo, exec_lo, s41
	s_and_saveexec_b32 s41, s19
	s_cbranch_execnz .LBB99_1195
.LBB99_375:                             ;   in Loop: Header=BB99_3 Depth=1
	s_or_b32 exec_lo, exec_lo, s41
	s_and_saveexec_b32 s41, s4
	s_cbranch_execnz .LBB99_1196
.LBB99_376:                             ;   in Loop: Header=BB99_3 Depth=1
	s_or_b32 exec_lo, exec_lo, s41
	s_and_saveexec_b32 s41, s14
	s_cbranch_execz .LBB99_378
.LBB99_377:                             ;   in Loop: Header=BB99_3 Depth=1
	ds_load_b32 v34, v42 offset:12160
	ds_load_b32 v35, v3 offset:12220
	s_wait_dscnt 0x0
	v_fmac_f32_e32 v29, v34, v35
.LBB99_378:                             ;   in Loop: Header=BB99_3 Depth=1
	s_or_b32 exec_lo, exec_lo, s41
.LBB99_379:                             ;   in Loop: Header=BB99_3 Depth=1
	s_delay_alu instid0(SALU_CYCLE_1)
	s_or_b32 exec_lo, exec_lo, s40
	s_and_saveexec_b32 s40, s98
; %bb.380:                              ;   in Loop: Header=BB99_3 Depth=1
	s_delay_alu instid0(VALU_DEP_1)
	v_xor_b32_e32 v34, 0x80000000, v29
	ds_store_b32 v57, v34
; %bb.381:                              ;   in Loop: Header=BB99_3 Depth=1
	s_or_b32 exec_lo, exec_lo, s40
	s_wait_loadcnt_dscnt 0x0
	s_barrier_signal -1
	s_barrier_wait -1
	s_and_saveexec_b32 s40, s99
	s_cbranch_execz .LBB99_383
; %bb.382:                              ;   in Loop: Header=BB99_3 Depth=1
	ds_load_b32 v34, v56 offset:10112
	ds_load_b32 v35, v57
	s_wait_dscnt 0x0
	v_fma_f32 v29, -v34, v35, v29
.LBB99_383:                             ;   in Loop: Header=BB99_3 Depth=1
	s_or_b32 exec_lo, exec_lo, s40
	s_barrier_signal -1
	s_barrier_wait -1
	s_and_saveexec_b32 s40, s100
; %bb.384:                              ;   in Loop: Header=BB99_3 Depth=1
	v_xor_b32_e32 v34, 0x80000000, v29
	ds_store_b32 v57, v34
; %bb.385:                              ;   in Loop: Header=BB99_3 Depth=1
	s_or_b32 exec_lo, exec_lo, s40
	s_wait_dscnt 0x0
	s_barrier_signal -1
	s_barrier_wait -1
	s_and_saveexec_b32 s40, s101
	s_cbranch_execz .LBB99_387
; %bb.386:                              ;   in Loop: Header=BB99_3 Depth=1
	ds_load_b32 v34, v56 offset:9856
	ds_load_b32 v35, v57
	s_wait_dscnt 0x0
	v_fma_f32 v29, -v34, v35, v29
.LBB99_387:                             ;   in Loop: Header=BB99_3 Depth=1
	s_or_b32 exec_lo, exec_lo, s40
	s_barrier_signal -1
	s_barrier_wait -1
	s_and_saveexec_b32 s40, s102
; %bb.388:                              ;   in Loop: Header=BB99_3 Depth=1
	v_xor_b32_e32 v34, 0x80000000, v29
	ds_store_b32 v57, v34
; %bb.389:                              ;   in Loop: Header=BB99_3 Depth=1
	s_or_b32 exec_lo, exec_lo, s40
	s_wait_dscnt 0x0
	;; [unrolled: 20-line block ×3, first 2 shown]
	s_barrier_signal -1
	s_barrier_wait -1
	s_and_saveexec_b32 s40, vcc_hi
	s_cbranch_execz .LBB99_395
; %bb.394:                              ;   in Loop: Header=BB99_3 Depth=1
	ds_load_b32 v34, v56 offset:9344
	ds_load_b32 v35, v57
	s_wait_dscnt 0x0
	v_fma_f32 v29, -v34, v35, v29
.LBB99_395:                             ;   in Loop: Header=BB99_3 Depth=1
	s_or_b32 exec_lo, exec_lo, s40
	s_barrier_signal -1
	s_barrier_wait -1
	s_and_saveexec_b32 s40, s31
; %bb.396:                              ;   in Loop: Header=BB99_3 Depth=1
	v_xor_b32_e32 v34, 0x80000000, v29
	ds_store_b32 v57, v34
; %bb.397:                              ;   in Loop: Header=BB99_3 Depth=1
	s_or_b32 exec_lo, exec_lo, s40
	s_wait_dscnt 0x0
	s_barrier_signal -1
	s_barrier_wait -1
	s_and_saveexec_b32 s40, s33
	s_cbranch_execz .LBB99_399
; %bb.398:                              ;   in Loop: Header=BB99_3 Depth=1
	ds_load_b32 v34, v56 offset:9088
	ds_load_b32 v35, v57
	s_wait_dscnt 0x0
	v_fma_f32 v29, -v34, v35, v29
.LBB99_399:                             ;   in Loop: Header=BB99_3 Depth=1
	s_or_b32 exec_lo, exec_lo, s40
	s_barrier_signal -1
	s_barrier_wait -1
	s_and_saveexec_b32 s40, s34
; %bb.400:                              ;   in Loop: Header=BB99_3 Depth=1
	v_xor_b32_e32 v34, 0x80000000, v29
	ds_store_b32 v57, v34
; %bb.401:                              ;   in Loop: Header=BB99_3 Depth=1
	s_or_b32 exec_lo, exec_lo, s40
	s_wait_dscnt 0x0
	s_barrier_signal -1
	s_barrier_wait -1
	s_and_saveexec_b32 s40, s35
	;; [unrolled: 20-line block ×3, first 2 shown]
	s_cbranch_execz .LBB99_407
; %bb.406:                              ;   in Loop: Header=BB99_3 Depth=1
	ds_load_b32 v34, v3 offset:8576
	ds_load_b32 v35, v57
	s_wait_dscnt 0x0
	v_fma_f32 v29, -v34, v35, v29
.LBB99_407:                             ;   in Loop: Header=BB99_3 Depth=1
	s_or_b32 exec_lo, exec_lo, s40
	s_barrier_signal -1
	s_barrier_wait -1
	s_and_saveexec_b32 s40, s37
; %bb.408:                              ;   in Loop: Header=BB99_3 Depth=1
	v_xor_b32_e32 v34, 0x80000000, v29
	ds_store_b32 v57, v34
; %bb.409:                              ;   in Loop: Header=BB99_3 Depth=1
	s_or_b32 exec_lo, exec_lo, s40
	s_wait_dscnt 0x0
	s_barrier_signal -1
	s_barrier_wait -1
	s_barrier_signal -1
	s_barrier_wait -1
	s_and_saveexec_b32 s40, s5
; %bb.410:                              ;   in Loop: Header=BB99_3 Depth=1
	ds_store_b32 v60, v29 offset:12160
; %bb.411:                              ;   in Loop: Header=BB99_3 Depth=1
	s_or_b32 exec_lo, exec_lo, s40
	s_wait_dscnt 0x0
	s_barrier_signal -1
	s_barrier_wait -1
	s_barrier_signal -1
	s_barrier_wait -1
	s_and_saveexec_b32 s40, s38
	s_cbranch_execz .LBB99_413
; %bb.412:                              ;   in Loop: Header=BB99_3 Depth=1
	ds_load_b32 v29, v43 offset:10368
	s_wait_dscnt 0x0
	ds_store_b32 v45, v29 offset:8352
	ds_load_b32 v29, v43 offset:10372
	s_wait_dscnt 0x0
	ds_store_b32 v45, v29 offset:8608
	;; [unrolled: 3-line block ×8, first 2 shown]
.LBB99_413:                             ;   in Loop: Header=BB99_3 Depth=1
	s_or_b32 exec_lo, exec_lo, s40
	s_wait_dscnt 0x0
	s_barrier_signal -1
	s_barrier_wait -1
	s_and_saveexec_b32 s40, s11
	s_cbranch_execz .LBB99_415
; %bb.414:                              ;   in Loop: Header=BB99_3 Depth=1
	ds_load_b32 v29, v3 offset:10136
	ds_store_b32 v3, v28 offset:10140
	s_wait_dscnt 0x1
	ds_store_b64 v3, v[28:29] offset:9880
.LBB99_415:                             ;   in Loop: Header=BB99_3 Depth=1
	s_or_b32 exec_lo, exec_lo, s40
	v_mov_b32_e32 v29, 0
	s_wait_dscnt 0x0
	s_barrier_signal -1
	s_barrier_wait -1
	global_wb scope:SCOPE_DEV
	s_wait_storecnt 0x0
	global_inv scope:SCOPE_DEV
	s_and_saveexec_b32 s40, s2
	s_cbranch_execz .LBB99_419
; %bb.416:                              ;   in Loop: Header=BB99_3 Depth=1
	ds_load_b32 v29, v46 offset:9872
	ds_load_b32 v34, v48 offset:10136
	s_wait_dscnt 0x0
	v_fma_f32 v29, v29, v34, 0
	s_and_saveexec_b32 s41, s12
	s_cbranch_execz .LBB99_418
; %bb.417:                              ;   in Loop: Header=BB99_3 Depth=1
	ds_load_b32 v34, v45 offset:10128
	ds_load_b32 v35, v3 offset:10140
	s_wait_dscnt 0x0
	v_fmac_f32_e32 v29, v34, v35
.LBB99_418:                             ;   in Loop: Header=BB99_3 Depth=1
	s_or_b32 exec_lo, exec_lo, s41
.LBB99_419:                             ;   in Loop: Header=BB99_3 Depth=1
	s_delay_alu instid0(SALU_CYCLE_1)
	s_or_b32 exec_lo, exec_lo, s40
	s_and_saveexec_b32 s40, s88
; %bb.420:                              ;   in Loop: Header=BB99_3 Depth=1
	s_delay_alu instid0(VALU_DEP_1)
	v_xor_b32_e32 v34, 0x80000000, v29
	ds_store_b32 v44, v34
; %bb.421:                              ;   in Loop: Header=BB99_3 Depth=1
	s_or_b32 exec_lo, exec_lo, s40
	s_wait_loadcnt_dscnt 0x0
	s_barrier_signal -1
	s_barrier_wait -1
	s_and_saveexec_b32 s40, s89
	s_cbranch_execz .LBB99_423
; %bb.422:                              ;   in Loop: Header=BB99_3 Depth=1
	ds_load_b32 v34, v3 offset:9616
	ds_load_b32 v35, v44
	s_wait_dscnt 0x0
	v_fma_f32 v29, -v34, v35, v29
.LBB99_423:                             ;   in Loop: Header=BB99_3 Depth=1
	s_or_b32 exec_lo, exec_lo, s40
	s_barrier_signal -1
	s_barrier_wait -1
	s_and_saveexec_b32 s40, s89
; %bb.424:                              ;   in Loop: Header=BB99_3 Depth=1
	v_xor_b32_e32 v34, 0x80000000, v29
	ds_store_b32 v44, v34
; %bb.425:                              ;   in Loop: Header=BB99_3 Depth=1
	s_or_b32 exec_lo, exec_lo, s40
	s_wait_dscnt 0x0
	s_barrier_signal -1
	s_barrier_wait -1
	s_barrier_signal -1
	s_barrier_wait -1
	s_and_saveexec_b32 s40, s2
; %bb.426:                              ;   in Loop: Header=BB99_3 Depth=1
	ds_store_b32 v49, v29 offset:10128
; %bb.427:                              ;   in Loop: Header=BB99_3 Depth=1
	s_or_b32 exec_lo, exec_lo, s40
	s_wait_dscnt 0x0
	s_barrier_signal -1
	s_barrier_wait -1
	s_barrier_signal -1
	s_barrier_wait -1
	s_and_saveexec_b32 s40, s90
	s_cbranch_execz .LBB99_429
; %bb.428:                              ;   in Loop: Header=BB99_3 Depth=1
	ds_load_b32 v29, v47 offset:9872
	s_wait_dscnt 0x0
	ds_store_b32 v45, v29 offset:9368
	ds_load_b32 v29, v47 offset:9876
	s_wait_dscnt 0x0
	ds_store_b32 v45, v29 offset:9624
.LBB99_429:                             ;   in Loop: Header=BB99_3 Depth=1
	s_or_b32 exec_lo, exec_lo, s40
	s_wait_dscnt 0x0
	s_barrier_signal -1
	s_barrier_wait -1
	s_and_saveexec_b32 s40, s11
	s_cbranch_execz .LBB99_431
; %bb.430:                              ;   in Loop: Header=BB99_3 Depth=1
	ds_load_b32 v29, v3 offset:9616
	ds_store_b32 v3, v28 offset:9620
	s_wait_dscnt 0x1
	ds_store_b64 v3, v[28:29] offset:9360
.LBB99_431:                             ;   in Loop: Header=BB99_3 Depth=1
	s_or_b32 exec_lo, exec_lo, s40
	v_mov_b32_e32 v29, 0
	s_wait_dscnt 0x0
	s_barrier_signal -1
	s_barrier_wait -1
	global_wb scope:SCOPE_DEV
	s_wait_storecnt 0x0
	global_inv scope:SCOPE_DEV
	s_and_saveexec_b32 s40, s4
	s_cbranch_execz .LBB99_437
; %bb.432:                              ;   in Loop: Header=BB99_3 Depth=1
	ds_load_b32 v29, v52 offset:9344
	ds_load_b32 v34, v53 offset:10128
	s_wait_dscnt 0x0
	v_fma_f32 v29, v29, v34, 0
	s_and_saveexec_b32 s41, s13
	s_cbranch_execnz .LBB99_1197
; %bb.433:                              ;   in Loop: Header=BB99_3 Depth=1
	s_or_b32 exec_lo, exec_lo, s41
	s_and_saveexec_b32 s41, s14
	s_cbranch_execnz .LBB99_1198
.LBB99_434:                             ;   in Loop: Header=BB99_3 Depth=1
	s_or_b32 exec_lo, exec_lo, s41
	s_and_saveexec_b32 s41, s2
	s_cbranch_execz .LBB99_436
.LBB99_435:                             ;   in Loop: Header=BB99_3 Depth=1
	ds_load_b32 v34, v51 offset:10112
	ds_load_b32 v35, v3 offset:10140
	s_wait_dscnt 0x0
	v_fmac_f32_e32 v29, v34, v35
.LBB99_436:                             ;   in Loop: Header=BB99_3 Depth=1
	s_or_b32 exec_lo, exec_lo, s41
.LBB99_437:                             ;   in Loop: Header=BB99_3 Depth=1
	s_delay_alu instid0(SALU_CYCLE_1)
	s_or_b32 exec_lo, exec_lo, s40
	s_and_saveexec_b32 s40, s91
; %bb.438:                              ;   in Loop: Header=BB99_3 Depth=1
	s_delay_alu instid0(VALU_DEP_1)
	v_xor_b32_e32 v34, 0x80000000, v29
	ds_store_b32 v50, v34
; %bb.439:                              ;   in Loop: Header=BB99_3 Depth=1
	s_or_b32 exec_lo, exec_lo, s40
	s_wait_loadcnt_dscnt 0x0
	s_barrier_signal -1
	s_barrier_wait -1
	s_and_saveexec_b32 s40, s92
	s_cbranch_execz .LBB99_441
; %bb.440:                              ;   in Loop: Header=BB99_3 Depth=1
	ds_load_b32 v34, v52 offset:9088
	ds_load_b32 v35, v50
	s_wait_dscnt 0x0
	v_fma_f32 v29, -v34, v35, v29
.LBB99_441:                             ;   in Loop: Header=BB99_3 Depth=1
	s_or_b32 exec_lo, exec_lo, s40
	s_barrier_signal -1
	s_barrier_wait -1
	s_and_saveexec_b32 s40, s93
; %bb.442:                              ;   in Loop: Header=BB99_3 Depth=1
	v_xor_b32_e32 v34, 0x80000000, v29
	ds_store_b32 v50, v34
; %bb.443:                              ;   in Loop: Header=BB99_3 Depth=1
	s_or_b32 exec_lo, exec_lo, s40
	s_wait_dscnt 0x0
	s_barrier_signal -1
	s_barrier_wait -1
	s_and_saveexec_b32 s40, s94
	s_cbranch_execz .LBB99_445
; %bb.444:                              ;   in Loop: Header=BB99_3 Depth=1
	ds_load_b32 v34, v52 offset:8832
	ds_load_b32 v35, v50
	s_wait_dscnt 0x0
	v_fma_f32 v29, -v34, v35, v29
.LBB99_445:                             ;   in Loop: Header=BB99_3 Depth=1
	s_or_b32 exec_lo, exec_lo, s40
	s_barrier_signal -1
	s_barrier_wait -1
	s_and_saveexec_b32 s40, s95
; %bb.446:                              ;   in Loop: Header=BB99_3 Depth=1
	v_xor_b32_e32 v34, 0x80000000, v29
	ds_store_b32 v50, v34
; %bb.447:                              ;   in Loop: Header=BB99_3 Depth=1
	s_or_b32 exec_lo, exec_lo, s40
	s_wait_dscnt 0x0
	;; [unrolled: 20-line block ×3, first 2 shown]
	s_barrier_signal -1
	s_barrier_wait -1
	s_barrier_signal -1
	s_barrier_wait -1
	s_and_saveexec_b32 s40, s4
; %bb.452:                              ;   in Loop: Header=BB99_3 Depth=1
	ds_store_b32 v55, v29 offset:10112
; %bb.453:                              ;   in Loop: Header=BB99_3 Depth=1
	s_or_b32 exec_lo, exec_lo, s40
	s_wait_dscnt 0x0
	s_barrier_signal -1
	s_barrier_wait -1
	s_barrier_signal -1
	s_barrier_wait -1
	s_and_saveexec_b32 s40, s97
	s_cbranch_execz .LBB99_455
; %bb.454:                              ;   in Loop: Header=BB99_3 Depth=1
	ds_load_b32 v29, v54 offset:9344
	s_wait_dscnt 0x0
	ds_store_b32 v58, v29 offset:8336
	ds_load_b32 v29, v54 offset:9348
	s_wait_dscnt 0x0
	ds_store_b32 v58, v29 offset:8592
	;; [unrolled: 3-line block ×4, first 2 shown]
.LBB99_455:                             ;   in Loop: Header=BB99_3 Depth=1
	s_or_b32 exec_lo, exec_lo, s40
	s_wait_dscnt 0x0
	s_barrier_signal -1
	s_barrier_wait -1
	s_and_saveexec_b32 s40, s11
	s_cbranch_execz .LBB99_457
; %bb.456:                              ;   in Loop: Header=BB99_3 Depth=1
	ds_load_b32 v29, v3 offset:9096
	ds_store_b32 v3, v28 offset:9100
	s_wait_dscnt 0x1
	ds_store_b64 v3, v[28:29] offset:8840
.LBB99_457:                             ;   in Loop: Header=BB99_3 Depth=1
	s_or_b32 exec_lo, exec_lo, s40
	v_mov_b32_e32 v29, 0
	s_wait_dscnt 0x0
	s_barrier_signal -1
	s_barrier_wait -1
	global_wb scope:SCOPE_DEV
	s_wait_storecnt 0x0
	global_inv scope:SCOPE_DEV
	s_and_saveexec_b32 s40, s2
	s_cbranch_execz .LBB99_461
; %bb.458:                              ;   in Loop: Header=BB99_3 Depth=1
	ds_load_b32 v29, v46 offset:8832
	ds_load_b32 v34, v48 offset:9096
	s_wait_dscnt 0x0
	v_fma_f32 v29, v29, v34, 0
	s_and_saveexec_b32 s41, s12
	s_cbranch_execz .LBB99_460
; %bb.459:                              ;   in Loop: Header=BB99_3 Depth=1
	ds_load_b32 v34, v58 offset:9088
	ds_load_b32 v35, v3 offset:9100
	s_wait_dscnt 0x0
	v_fmac_f32_e32 v29, v34, v35
.LBB99_460:                             ;   in Loop: Header=BB99_3 Depth=1
	s_or_b32 exec_lo, exec_lo, s41
.LBB99_461:                             ;   in Loop: Header=BB99_3 Depth=1
	s_delay_alu instid0(SALU_CYCLE_1)
	s_or_b32 exec_lo, exec_lo, s40
	s_and_saveexec_b32 s40, s88
; %bb.462:                              ;   in Loop: Header=BB99_3 Depth=1
	s_delay_alu instid0(VALU_DEP_1)
	v_xor_b32_e32 v34, 0x80000000, v29
	ds_store_b32 v44, v34
; %bb.463:                              ;   in Loop: Header=BB99_3 Depth=1
	s_or_b32 exec_lo, exec_lo, s40
	s_wait_loadcnt_dscnt 0x0
	s_barrier_signal -1
	s_barrier_wait -1
	s_and_saveexec_b32 s40, s89
	s_cbranch_execz .LBB99_465
; %bb.464:                              ;   in Loop: Header=BB99_3 Depth=1
	ds_load_b32 v34, v3 offset:8576
	ds_load_b32 v35, v44
	s_wait_dscnt 0x0
	v_fma_f32 v29, -v34, v35, v29
.LBB99_465:                             ;   in Loop: Header=BB99_3 Depth=1
	s_or_b32 exec_lo, exec_lo, s40
	s_barrier_signal -1
	s_barrier_wait -1
	s_and_saveexec_b32 s40, s89
; %bb.466:                              ;   in Loop: Header=BB99_3 Depth=1
	v_xor_b32_e32 v34, 0x80000000, v29
	ds_store_b32 v44, v34
; %bb.467:                              ;   in Loop: Header=BB99_3 Depth=1
	s_or_b32 exec_lo, exec_lo, s40
	s_wait_dscnt 0x0
	s_barrier_signal -1
	s_barrier_wait -1
	s_barrier_signal -1
	s_barrier_wait -1
	s_and_saveexec_b32 s40, s2
; %bb.468:                              ;   in Loop: Header=BB99_3 Depth=1
	ds_store_b32 v49, v29 offset:9088
; %bb.469:                              ;   in Loop: Header=BB99_3 Depth=1
	s_or_b32 exec_lo, exec_lo, s40
	s_wait_dscnt 0x0
	s_barrier_signal -1
	s_barrier_wait -1
	s_barrier_signal -1
	s_barrier_wait -1
	s_and_saveexec_b32 s40, s90
	s_cbranch_execz .LBB99_471
; %bb.470:                              ;   in Loop: Header=BB99_3 Depth=1
	ds_load_b32 v29, v61 offset:8832
	s_wait_dscnt 0x0
	ds_store_b32 v58, v29 offset:8328
	ds_load_b32 v29, v61 offset:8836
	s_wait_dscnt 0x0
	ds_store_b32 v58, v29 offset:8584
.LBB99_471:                             ;   in Loop: Header=BB99_3 Depth=1
	s_or_b32 exec_lo, exec_lo, s40
	s_wait_dscnt 0x0
	s_barrier_signal -1
	s_barrier_wait -1
	s_and_saveexec_b32 s40, s11
	s_cbranch_execz .LBB99_473
; %bb.472:                              ;   in Loop: Header=BB99_3 Depth=1
	ds_load_b32 v29, v3 offset:8576
	ds_store_b32 v3, v28 offset:8580
	s_wait_dscnt 0x1
	ds_store_b64 v3, v[28:29] offset:8320
.LBB99_473:                             ;   in Loop: Header=BB99_3 Depth=1
	s_or_b32 exec_lo, exec_lo, s40
	v_mov_b32_e32 v29, 0
	s_wait_dscnt 0x0
	s_barrier_signal -1
	s_barrier_wait -1
	global_wb scope:SCOPE_DEV
	s_wait_storecnt 0x0
	global_inv scope:SCOPE_DEV
	s_and_saveexec_b32 s61, s7
	s_cbranch_execz .LBB99_535
; %bb.474:                              ;   in Loop: Header=BB99_3 Depth=1
	ds_load_b32 v29, v64 offset:8192
	ds_load_b32 v34, v68 offset:16256
	s_wait_dscnt 0x0
	v_fma_f32 v29, v29, v34, 0
	s_mov_b32 s40, exec_lo
	v_readlane_b32 s41, v89, 25
	s_and_b32 s41, s40, s41
	s_delay_alu instid0(SALU_CYCLE_1)
	s_mov_b32 exec_lo, s41
	s_cbranch_execz .LBB99_476
; %bb.475:                              ;   in Loop: Header=BB99_3 Depth=1
	ds_load_b32 v34, v64 offset:8448
	ds_load_b32 v35, v68 offset:16260
	s_wait_dscnt 0x0
	v_fmac_f32_e32 v29, v34, v35
.LBB99_476:                             ;   in Loop: Header=BB99_3 Depth=1
	s_or_b32 exec_lo, exec_lo, s40
	s_delay_alu instid0(SALU_CYCLE_1) | instskip(SKIP_2) | instid1(SALU_CYCLE_1)
	s_mov_b32 s40, exec_lo
	v_readlane_b32 s41, v89, 26
	s_and_b32 s41, s40, s41
	s_mov_b32 exec_lo, s41
	s_cbranch_execz .LBB99_478
; %bb.477:                              ;   in Loop: Header=BB99_3 Depth=1
	ds_load_b32 v34, v64 offset:8704
	ds_load_b32 v35, v68 offset:16264
	s_wait_dscnt 0x0
	v_fmac_f32_e32 v29, v34, v35
.LBB99_478:                             ;   in Loop: Header=BB99_3 Depth=1
	s_or_b32 exec_lo, exec_lo, s40
	s_delay_alu instid0(SALU_CYCLE_1) | instskip(SKIP_2) | instid1(SALU_CYCLE_1)
	s_mov_b32 s40, exec_lo
	v_readlane_b32 s41, v89, 27
	s_and_b32 s41, s40, s41
	;; [unrolled: 13-line block ×22, first 2 shown]
	s_mov_b32 exec_lo, s41
	s_cbranch_execz .LBB99_520
; %bb.519:                              ;   in Loop: Header=BB99_3 Depth=1
	ds_load_b32 v34, v64 offset:14080
	ds_load_b32 v35, v68 offset:16348
	s_wait_dscnt 0x0
	v_fmac_f32_e32 v29, v34, v35
.LBB99_520:                             ;   in Loop: Header=BB99_3 Depth=1
	s_or_b32 exec_lo, exec_lo, s40
	s_and_saveexec_b32 s40, s6
	s_cbranch_execz .LBB99_522
; %bb.521:                              ;   in Loop: Header=BB99_3 Depth=1
	ds_load_b32 v34, v64 offset:14336
	ds_load_b32 v35, v68 offset:16352
	s_wait_dscnt 0x0
	v_fmac_f32_e32 v29, v34, v35
.LBB99_522:                             ;   in Loop: Header=BB99_3 Depth=1
	s_or_b32 exec_lo, exec_lo, s40
	s_delay_alu instid0(SALU_CYCLE_1) | instskip(SKIP_2) | instid1(SALU_CYCLE_1)
	s_mov_b32 s40, exec_lo
	v_readlane_b32 s41, v89, 15
	s_and_b32 s41, s40, s41
	s_mov_b32 exec_lo, s41
	s_cbranch_execz .LBB99_524
; %bb.523:                              ;   in Loop: Header=BB99_3 Depth=1
	ds_load_b32 v34, v64 offset:14592
	ds_load_b32 v35, v68 offset:16356
	s_wait_dscnt 0x0
	v_fmac_f32_e32 v29, v34, v35
.LBB99_524:                             ;   in Loop: Header=BB99_3 Depth=1
	s_or_b32 exec_lo, exec_lo, s40
	s_delay_alu instid0(SALU_CYCLE_1) | instskip(SKIP_2) | instid1(SALU_CYCLE_1)
	s_mov_b32 s40, exec_lo
	v_readlane_b32 s41, v89, 17
	s_and_b32 s41, s40, s41
	s_mov_b32 exec_lo, s41
	;; [unrolled: 13-line block ×5, first 2 shown]
	s_cbranch_execnz .LBB99_1199
; %bb.531:                              ;   in Loop: Header=BB99_3 Depth=1
	s_or_b32 exec_lo, exec_lo, s40
	s_and_saveexec_b32 s40, s5
	s_cbranch_execnz .LBB99_1200
.LBB99_532:                             ;   in Loop: Header=BB99_3 Depth=1
	s_or_b32 exec_lo, exec_lo, s40
	s_and_saveexec_b32 s40, s18
	s_cbranch_execz .LBB99_534
.LBB99_533:                             ;   in Loop: Header=BB99_3 Depth=1
	ds_load_b32 v34, v7 offset:16128
	ds_load_b32 v35, v3 offset:16380
	s_wait_dscnt 0x0
	v_fmac_f32_e32 v29, v34, v35
.LBB99_534:                             ;   in Loop: Header=BB99_3 Depth=1
	s_or_b32 exec_lo, exec_lo, s40
.LBB99_535:                             ;   in Loop: Header=BB99_3 Depth=1
	s_delay_alu instid0(SALU_CYCLE_1) | instskip(NEXT) | instid1(SALU_CYCLE_1)
	s_or_b32 exec_lo, exec_lo, s61
	s_mov_b32 s40, exec_lo
	v_readlane_b32 s41, v91, 6
	s_and_b32 s41, s40, s41
	s_delay_alu instid0(SALU_CYCLE_1)
	s_mov_b32 exec_lo, s41
; %bb.536:                              ;   in Loop: Header=BB99_3 Depth=1
	v_xor_b32_e32 v34, 0x80000000, v29
	ds_store_b32 v67, v34
; %bb.537:                              ;   in Loop: Header=BB99_3 Depth=1
	s_or_b32 exec_lo, exec_lo, s40
	s_wait_loadcnt_dscnt 0x0
	s_barrier_signal -1
	s_barrier_wait -1
	s_mov_b32 s40, exec_lo
	v_readlane_b32 s41, v91, 7
	s_and_b32 s41, s40, s41
	s_delay_alu instid0(SALU_CYCLE_1)
	s_mov_b32 exec_lo, s41
	s_cbranch_execz .LBB99_539
; %bb.538:                              ;   in Loop: Header=BB99_3 Depth=1
	ds_load_b32 v34, v64 offset:7936
	ds_load_b32 v35, v67
	s_wait_dscnt 0x0
	v_fma_f32 v29, -v34, v35, v29
.LBB99_539:                             ;   in Loop: Header=BB99_3 Depth=1
	s_or_b32 exec_lo, exec_lo, s40
	s_barrier_signal -1
	s_barrier_wait -1
	s_mov_b32 s40, exec_lo
	v_readlane_b32 s41, v91, 8
	s_and_b32 s41, s40, s41
	s_delay_alu instid0(SALU_CYCLE_1)
	s_mov_b32 exec_lo, s41
; %bb.540:                              ;   in Loop: Header=BB99_3 Depth=1
	v_xor_b32_e32 v34, 0x80000000, v29
	ds_store_b32 v67, v34
; %bb.541:                              ;   in Loop: Header=BB99_3 Depth=1
	s_or_b32 exec_lo, exec_lo, s40
	s_wait_dscnt 0x0
	s_barrier_signal -1
	s_barrier_wait -1
	s_mov_b32 s40, exec_lo
	v_readlane_b32 s41, v91, 9
	s_and_b32 s41, s40, s41
	s_delay_alu instid0(SALU_CYCLE_1)
	s_mov_b32 exec_lo, s41
	s_cbranch_execz .LBB99_543
; %bb.542:                              ;   in Loop: Header=BB99_3 Depth=1
	ds_load_b32 v34, v64 offset:7680
	ds_load_b32 v35, v67
	s_wait_dscnt 0x0
	v_fma_f32 v29, -v34, v35, v29
.LBB99_543:                             ;   in Loop: Header=BB99_3 Depth=1
	s_or_b32 exec_lo, exec_lo, s40
	s_barrier_signal -1
	s_barrier_wait -1
	s_mov_b32 s40, exec_lo
	v_readlane_b32 s41, v91, 10
	s_and_b32 s41, s40, s41
	s_delay_alu instid0(SALU_CYCLE_1)
	s_mov_b32 exec_lo, s41
; %bb.544:                              ;   in Loop: Header=BB99_3 Depth=1
	v_xor_b32_e32 v34, 0x80000000, v29
	ds_store_b32 v67, v34
; %bb.545:                              ;   in Loop: Header=BB99_3 Depth=1
	s_or_b32 exec_lo, exec_lo, s40
	s_wait_dscnt 0x0
	;; [unrolled: 28-line block ×30, first 2 shown]
	s_barrier_signal -1
	s_barrier_wait -1
	s_and_saveexec_b32 s40, s82
	s_cbranch_execz .LBB99_659
; %bb.658:                              ;   in Loop: Header=BB99_3 Depth=1
	ds_load_b32 v34, v3 offset:256
	ds_load_b32 v35, v67
	s_wait_dscnt 0x0
	v_fma_f32 v29, -v34, v35, v29
.LBB99_659:                             ;   in Loop: Header=BB99_3 Depth=1
	s_or_b32 exec_lo, exec_lo, s40
	s_barrier_signal -1
	s_barrier_wait -1
	s_and_saveexec_b32 s40, s82
; %bb.660:                              ;   in Loop: Header=BB99_3 Depth=1
	v_xor_b32_e32 v34, 0x80000000, v29
	ds_store_b32 v67, v34
; %bb.661:                              ;   in Loop: Header=BB99_3 Depth=1
	s_or_b32 exec_lo, exec_lo, s40
	s_wait_dscnt 0x0
	s_barrier_signal -1
	s_barrier_wait -1
	s_barrier_signal -1
	s_barrier_wait -1
	s_and_saveexec_b32 s40, s7
; %bb.662:                              ;   in Loop: Header=BB99_3 Depth=1
	ds_store_b32 v69, v29 offset:16128
; %bb.663:                              ;   in Loop: Header=BB99_3 Depth=1
	s_or_b32 exec_lo, exec_lo, s40
	s_wait_dscnt 0x0
	s_barrier_signal -1
	s_barrier_wait -1
	s_barrier_signal -1
	s_barrier_wait -1
	s_mov_b32 s40, exec_lo
	v_readlane_b32 s41, v89, 3
	s_and_b32 s41, s40, s41
	s_delay_alu instid0(SALU_CYCLE_1)
	s_mov_b32 exec_lo, s41
	s_cbranch_execz .LBB99_665
; %bb.664:                              ;   in Loop: Header=BB99_3 Depth=1
	ds_load_b32 v29, v9 offset:8192
	s_wait_dscnt 0x0
	ds_store_b32 v38, v29 offset:128
	ds_load_b32 v29, v9 offset:8196
	s_wait_dscnt 0x0
	ds_store_b32 v38, v29 offset:384
	;; [unrolled: 3-line block ×32, first 2 shown]
.LBB99_665:                             ;   in Loop: Header=BB99_3 Depth=1
	s_or_b32 exec_lo, exec_lo, s40
	s_wait_dscnt 0x0
	s_barrier_signal -1
	s_barrier_wait -1
	s_and_saveexec_b32 s40, s11
	s_cbranch_execz .LBB99_667
; %bb.666:                              ;   in Loop: Header=BB99_3 Depth=1
	ds_load_b32 v29, v3 offset:8056
	ds_store_b32 v3, v28 offset:8060
	s_wait_dscnt 0x1
	ds_store_b64 v3, v[28:29] offset:7800
.LBB99_667:                             ;   in Loop: Header=BB99_3 Depth=1
	s_or_b32 exec_lo, exec_lo, s40
	v_mov_b32_e32 v29, 0
	s_wait_dscnt 0x0
	s_barrier_signal -1
	s_barrier_wait -1
	global_wb scope:SCOPE_DEV
	s_wait_storecnt 0x0
	global_inv scope:SCOPE_DEV
	s_and_saveexec_b32 s40, s2
	s_cbranch_execz .LBB99_671
; %bb.668:                              ;   in Loop: Header=BB99_3 Depth=1
	ds_load_b32 v29, v46 offset:7792
	ds_load_b32 v34, v48 offset:8056
	s_wait_dscnt 0x0
	v_fma_f32 v29, v29, v34, 0
	s_and_saveexec_b32 s41, s12
	s_cbranch_execz .LBB99_670
; %bb.669:                              ;   in Loop: Header=BB99_3 Depth=1
	ds_load_b32 v34, v7 offset:8048
	ds_load_b32 v35, v3 offset:8060
	s_wait_dscnt 0x0
	v_fmac_f32_e32 v29, v34, v35
.LBB99_670:                             ;   in Loop: Header=BB99_3 Depth=1
	s_or_b32 exec_lo, exec_lo, s41
.LBB99_671:                             ;   in Loop: Header=BB99_3 Depth=1
	s_delay_alu instid0(SALU_CYCLE_1)
	s_or_b32 exec_lo, exec_lo, s40
	s_and_saveexec_b32 s40, s88
; %bb.672:                              ;   in Loop: Header=BB99_3 Depth=1
	s_delay_alu instid0(VALU_DEP_1)
	v_xor_b32_e32 v34, 0x80000000, v29
	ds_store_b32 v44, v34
; %bb.673:                              ;   in Loop: Header=BB99_3 Depth=1
	s_or_b32 exec_lo, exec_lo, s40
	s_wait_loadcnt_dscnt 0x0
	s_barrier_signal -1
	s_barrier_wait -1
	s_and_saveexec_b32 s40, s89
	s_cbranch_execz .LBB99_675
; %bb.674:                              ;   in Loop: Header=BB99_3 Depth=1
	ds_load_b32 v34, v3 offset:7536
	ds_load_b32 v35, v44
	s_wait_dscnt 0x0
	v_fma_f32 v29, -v34, v35, v29
.LBB99_675:                             ;   in Loop: Header=BB99_3 Depth=1
	s_or_b32 exec_lo, exec_lo, s40
	s_barrier_signal -1
	s_barrier_wait -1
	s_and_saveexec_b32 s40, s89
; %bb.676:                              ;   in Loop: Header=BB99_3 Depth=1
	v_xor_b32_e32 v34, 0x80000000, v29
	ds_store_b32 v44, v34
; %bb.677:                              ;   in Loop: Header=BB99_3 Depth=1
	s_or_b32 exec_lo, exec_lo, s40
	s_wait_dscnt 0x0
	s_barrier_signal -1
	s_barrier_wait -1
	s_barrier_signal -1
	s_barrier_wait -1
	s_and_saveexec_b32 s40, s2
; %bb.678:                              ;   in Loop: Header=BB99_3 Depth=1
	ds_store_b32 v49, v29 offset:8048
; %bb.679:                              ;   in Loop: Header=BB99_3 Depth=1
	s_or_b32 exec_lo, exec_lo, s40
	s_wait_dscnt 0x0
	s_barrier_signal -1
	s_barrier_wait -1
	s_barrier_signal -1
	s_barrier_wait -1
	s_and_saveexec_b32 s40, s90
	s_cbranch_execz .LBB99_681
; %bb.680:                              ;   in Loop: Header=BB99_3 Depth=1
	ds_load_b32 v29, v9 offset:7792
	s_wait_dscnt 0x0
	ds_store_b32 v7, v29 offset:7288
	ds_load_b32 v29, v9 offset:7796
	s_wait_dscnt 0x0
	ds_store_b32 v7, v29 offset:7544
.LBB99_681:                             ;   in Loop: Header=BB99_3 Depth=1
	s_or_b32 exec_lo, exec_lo, s40
	s_wait_dscnt 0x0
	s_barrier_signal -1
	s_barrier_wait -1
	s_and_saveexec_b32 s40, s11
	s_cbranch_execz .LBB99_683
; %bb.682:                              ;   in Loop: Header=BB99_3 Depth=1
	ds_load_b32 v29, v3 offset:7536
	ds_store_b32 v3, v28 offset:7540
	s_wait_dscnt 0x1
	ds_store_b64 v3, v[28:29] offset:7280
.LBB99_683:                             ;   in Loop: Header=BB99_3 Depth=1
	s_or_b32 exec_lo, exec_lo, s40
	v_mov_b32_e32 v29, 0
	s_wait_dscnt 0x0
	s_barrier_signal -1
	s_barrier_wait -1
	global_wb scope:SCOPE_DEV
	s_wait_storecnt 0x0
	global_inv scope:SCOPE_DEV
	s_and_saveexec_b32 s40, s4
	s_cbranch_execz .LBB99_689
; %bb.684:                              ;   in Loop: Header=BB99_3 Depth=1
	ds_load_b32 v29, v52 offset:7264
	ds_load_b32 v34, v53 offset:8048
	s_wait_dscnt 0x0
	v_fma_f32 v29, v29, v34, 0
	s_and_saveexec_b32 s41, s13
	s_cbranch_execnz .LBB99_1201
; %bb.685:                              ;   in Loop: Header=BB99_3 Depth=1
	s_or_b32 exec_lo, exec_lo, s41
	s_and_saveexec_b32 s41, s14
	s_cbranch_execnz .LBB99_1202
.LBB99_686:                             ;   in Loop: Header=BB99_3 Depth=1
	s_or_b32 exec_lo, exec_lo, s41
	s_and_saveexec_b32 s41, s2
	s_cbranch_execz .LBB99_688
.LBB99_687:                             ;   in Loop: Header=BB99_3 Depth=1
	ds_load_b32 v34, v38 offset:8032
	ds_load_b32 v35, v3 offset:8060
	s_wait_dscnt 0x0
	v_fmac_f32_e32 v29, v34, v35
.LBB99_688:                             ;   in Loop: Header=BB99_3 Depth=1
	s_or_b32 exec_lo, exec_lo, s41
.LBB99_689:                             ;   in Loop: Header=BB99_3 Depth=1
	s_delay_alu instid0(SALU_CYCLE_1)
	s_or_b32 exec_lo, exec_lo, s40
	s_and_saveexec_b32 s40, s91
; %bb.690:                              ;   in Loop: Header=BB99_3 Depth=1
	s_delay_alu instid0(VALU_DEP_1)
	v_xor_b32_e32 v34, 0x80000000, v29
	ds_store_b32 v50, v34
; %bb.691:                              ;   in Loop: Header=BB99_3 Depth=1
	s_or_b32 exec_lo, exec_lo, s40
	s_wait_loadcnt_dscnt 0x0
	s_barrier_signal -1
	s_barrier_wait -1
	s_and_saveexec_b32 s40, s92
	s_cbranch_execz .LBB99_693
; %bb.692:                              ;   in Loop: Header=BB99_3 Depth=1
	ds_load_b32 v34, v52 offset:7008
	ds_load_b32 v35, v50
	s_wait_dscnt 0x0
	v_fma_f32 v29, -v34, v35, v29
.LBB99_693:                             ;   in Loop: Header=BB99_3 Depth=1
	s_or_b32 exec_lo, exec_lo, s40
	s_barrier_signal -1
	s_barrier_wait -1
	s_and_saveexec_b32 s40, s93
; %bb.694:                              ;   in Loop: Header=BB99_3 Depth=1
	v_xor_b32_e32 v34, 0x80000000, v29
	ds_store_b32 v50, v34
; %bb.695:                              ;   in Loop: Header=BB99_3 Depth=1
	s_or_b32 exec_lo, exec_lo, s40
	s_wait_dscnt 0x0
	s_barrier_signal -1
	s_barrier_wait -1
	s_and_saveexec_b32 s40, s94
	s_cbranch_execz .LBB99_697
; %bb.696:                              ;   in Loop: Header=BB99_3 Depth=1
	ds_load_b32 v34, v52 offset:6752
	ds_load_b32 v35, v50
	s_wait_dscnt 0x0
	v_fma_f32 v29, -v34, v35, v29
.LBB99_697:                             ;   in Loop: Header=BB99_3 Depth=1
	s_or_b32 exec_lo, exec_lo, s40
	s_barrier_signal -1
	s_barrier_wait -1
	s_and_saveexec_b32 s40, s95
; %bb.698:                              ;   in Loop: Header=BB99_3 Depth=1
	v_xor_b32_e32 v34, 0x80000000, v29
	ds_store_b32 v50, v34
; %bb.699:                              ;   in Loop: Header=BB99_3 Depth=1
	s_or_b32 exec_lo, exec_lo, s40
	s_wait_dscnt 0x0
	;; [unrolled: 20-line block ×3, first 2 shown]
	s_barrier_signal -1
	s_barrier_wait -1
	s_barrier_signal -1
	s_barrier_wait -1
	s_and_saveexec_b32 s40, s4
; %bb.704:                              ;   in Loop: Header=BB99_3 Depth=1
	ds_store_b32 v55, v29 offset:8032
; %bb.705:                              ;   in Loop: Header=BB99_3 Depth=1
	s_or_b32 exec_lo, exec_lo, s40
	s_wait_dscnt 0x0
	s_barrier_signal -1
	s_barrier_wait -1
	s_barrier_signal -1
	s_barrier_wait -1
	s_and_saveexec_b32 s40, s97
	s_cbranch_execz .LBB99_707
; %bb.706:                              ;   in Loop: Header=BB99_3 Depth=1
	ds_load_b32 v29, v39 offset:7264
	s_wait_dscnt 0x0
	ds_store_b32 v40, v29 offset:6256
	ds_load_b32 v29, v39 offset:7268
	s_wait_dscnt 0x0
	ds_store_b32 v40, v29 offset:6512
	ds_load_b32 v29, v39 offset:7272
	s_wait_dscnt 0x0
	ds_store_b32 v40, v29 offset:6768
	ds_load_b32 v29, v39 offset:7276
	s_wait_dscnt 0x0
	ds_store_b32 v40, v29 offset:7024
.LBB99_707:                             ;   in Loop: Header=BB99_3 Depth=1
	s_or_b32 exec_lo, exec_lo, s40
	s_wait_dscnt 0x0
	s_barrier_signal -1
	s_barrier_wait -1
	s_and_saveexec_b32 s40, s11
	s_cbranch_execz .LBB99_709
; %bb.708:                              ;   in Loop: Header=BB99_3 Depth=1
	ds_load_b32 v29, v3 offset:7016
	ds_store_b32 v3, v28 offset:7020
	s_wait_dscnt 0x1
	ds_store_b64 v3, v[28:29] offset:6760
.LBB99_709:                             ;   in Loop: Header=BB99_3 Depth=1
	s_or_b32 exec_lo, exec_lo, s40
	v_mov_b32_e32 v29, 0
	s_wait_dscnt 0x0
	s_barrier_signal -1
	s_barrier_wait -1
	global_wb scope:SCOPE_DEV
	s_wait_storecnt 0x0
	global_inv scope:SCOPE_DEV
	s_and_saveexec_b32 s40, s2
	s_cbranch_execz .LBB99_713
; %bb.710:                              ;   in Loop: Header=BB99_3 Depth=1
	ds_load_b32 v29, v46 offset:6752
	ds_load_b32 v34, v48 offset:7016
	s_wait_dscnt 0x0
	v_fma_f32 v29, v29, v34, 0
	s_and_saveexec_b32 s41, s12
	s_cbranch_execz .LBB99_712
; %bb.711:                              ;   in Loop: Header=BB99_3 Depth=1
	ds_load_b32 v34, v40 offset:7008
	ds_load_b32 v35, v3 offset:7020
	s_wait_dscnt 0x0
	v_fmac_f32_e32 v29, v34, v35
.LBB99_712:                             ;   in Loop: Header=BB99_3 Depth=1
	s_or_b32 exec_lo, exec_lo, s41
.LBB99_713:                             ;   in Loop: Header=BB99_3 Depth=1
	s_delay_alu instid0(SALU_CYCLE_1)
	s_or_b32 exec_lo, exec_lo, s40
	s_and_saveexec_b32 s40, s88
; %bb.714:                              ;   in Loop: Header=BB99_3 Depth=1
	s_delay_alu instid0(VALU_DEP_1)
	v_xor_b32_e32 v34, 0x80000000, v29
	ds_store_b32 v44, v34
; %bb.715:                              ;   in Loop: Header=BB99_3 Depth=1
	s_or_b32 exec_lo, exec_lo, s40
	s_wait_loadcnt_dscnt 0x0
	s_barrier_signal -1
	s_barrier_wait -1
	s_and_saveexec_b32 s40, s89
	s_cbranch_execz .LBB99_717
; %bb.716:                              ;   in Loop: Header=BB99_3 Depth=1
	ds_load_b32 v34, v3 offset:6496
	ds_load_b32 v35, v44
	s_wait_dscnt 0x0
	v_fma_f32 v29, -v34, v35, v29
.LBB99_717:                             ;   in Loop: Header=BB99_3 Depth=1
	s_or_b32 exec_lo, exec_lo, s40
	s_barrier_signal -1
	s_barrier_wait -1
	s_and_saveexec_b32 s40, s89
; %bb.718:                              ;   in Loop: Header=BB99_3 Depth=1
	v_xor_b32_e32 v34, 0x80000000, v29
	ds_store_b32 v44, v34
; %bb.719:                              ;   in Loop: Header=BB99_3 Depth=1
	s_or_b32 exec_lo, exec_lo, s40
	s_wait_dscnt 0x0
	s_barrier_signal -1
	s_barrier_wait -1
	s_barrier_signal -1
	s_barrier_wait -1
	s_and_saveexec_b32 s40, s2
; %bb.720:                              ;   in Loop: Header=BB99_3 Depth=1
	ds_store_b32 v49, v29 offset:7008
; %bb.721:                              ;   in Loop: Header=BB99_3 Depth=1
	s_or_b32 exec_lo, exec_lo, s40
	s_wait_dscnt 0x0
	s_barrier_signal -1
	s_barrier_wait -1
	s_barrier_signal -1
	s_barrier_wait -1
	s_and_saveexec_b32 s40, s90
	s_cbranch_execz .LBB99_723
; %bb.722:                              ;   in Loop: Header=BB99_3 Depth=1
	ds_load_b32 v29, v41 offset:6752
	s_wait_dscnt 0x0
	ds_store_b32 v40, v29 offset:6248
	ds_load_b32 v29, v41 offset:6756
	s_wait_dscnt 0x0
	ds_store_b32 v40, v29 offset:6504
.LBB99_723:                             ;   in Loop: Header=BB99_3 Depth=1
	s_or_b32 exec_lo, exec_lo, s40
	s_wait_dscnt 0x0
	s_barrier_signal -1
	s_barrier_wait -1
	s_and_saveexec_b32 s40, s11
	s_cbranch_execz .LBB99_725
; %bb.724:                              ;   in Loop: Header=BB99_3 Depth=1
	ds_load_b32 v29, v3 offset:6496
	ds_store_b32 v3, v28 offset:6500
	s_wait_dscnt 0x1
	ds_store_b64 v3, v[28:29] offset:6240
.LBB99_725:                             ;   in Loop: Header=BB99_3 Depth=1
	s_or_b32 exec_lo, exec_lo, s40
	v_mov_b32_e32 v29, 0
	s_wait_dscnt 0x0
	s_barrier_signal -1
	s_barrier_wait -1
	global_wb scope:SCOPE_DEV
	s_wait_storecnt 0x0
	global_inv scope:SCOPE_DEV
	s_and_saveexec_b32 s40, s5
	s_cbranch_execz .LBB99_735
; %bb.726:                              ;   in Loop: Header=BB99_3 Depth=1
	ds_load_b32 v29, v56 offset:6208
	ds_load_b32 v34, v59 offset:8032
	s_wait_dscnt 0x0
	v_fma_f32 v29, v29, v34, 0
	s_and_saveexec_b32 s41, s15
	s_cbranch_execnz .LBB99_1203
; %bb.727:                              ;   in Loop: Header=BB99_3 Depth=1
	s_or_b32 exec_lo, exec_lo, s41
	s_and_saveexec_b32 s41, s16
	s_cbranch_execnz .LBB99_1204
.LBB99_728:                             ;   in Loop: Header=BB99_3 Depth=1
	s_or_b32 exec_lo, exec_lo, s41
	s_and_saveexec_b32 s41, s17
	s_cbranch_execnz .LBB99_1205
.LBB99_729:                             ;   in Loop: Header=BB99_3 Depth=1
	s_or_b32 exec_lo, exec_lo, s41
	s_and_saveexec_b32 s41, s18
	s_cbranch_execnz .LBB99_1206
.LBB99_730:                             ;   in Loop: Header=BB99_3 Depth=1
	s_or_b32 exec_lo, exec_lo, s41
	s_and_saveexec_b32 s41, s19
	s_cbranch_execnz .LBB99_1207
.LBB99_731:                             ;   in Loop: Header=BB99_3 Depth=1
	s_or_b32 exec_lo, exec_lo, s41
	s_and_saveexec_b32 s41, s4
	s_cbranch_execnz .LBB99_1208
.LBB99_732:                             ;   in Loop: Header=BB99_3 Depth=1
	s_or_b32 exec_lo, exec_lo, s41
	s_and_saveexec_b32 s41, s14
	s_cbranch_execz .LBB99_734
.LBB99_733:                             ;   in Loop: Header=BB99_3 Depth=1
	ds_load_b32 v34, v42 offset:8000
	ds_load_b32 v35, v3 offset:8060
	s_wait_dscnt 0x0
	v_fmac_f32_e32 v29, v34, v35
.LBB99_734:                             ;   in Loop: Header=BB99_3 Depth=1
	s_or_b32 exec_lo, exec_lo, s41
.LBB99_735:                             ;   in Loop: Header=BB99_3 Depth=1
	s_delay_alu instid0(SALU_CYCLE_1)
	s_or_b32 exec_lo, exec_lo, s40
	s_and_saveexec_b32 s40, s98
; %bb.736:                              ;   in Loop: Header=BB99_3 Depth=1
	s_delay_alu instid0(VALU_DEP_1)
	v_xor_b32_e32 v34, 0x80000000, v29
	ds_store_b32 v57, v34
; %bb.737:                              ;   in Loop: Header=BB99_3 Depth=1
	s_or_b32 exec_lo, exec_lo, s40
	s_wait_loadcnt_dscnt 0x0
	s_barrier_signal -1
	s_barrier_wait -1
	s_and_saveexec_b32 s40, s99
	s_cbranch_execz .LBB99_739
; %bb.738:                              ;   in Loop: Header=BB99_3 Depth=1
	ds_load_b32 v34, v56 offset:5952
	ds_load_b32 v35, v57
	s_wait_dscnt 0x0
	v_fma_f32 v29, -v34, v35, v29
.LBB99_739:                             ;   in Loop: Header=BB99_3 Depth=1
	s_or_b32 exec_lo, exec_lo, s40
	s_barrier_signal -1
	s_barrier_wait -1
	s_and_saveexec_b32 s40, s100
; %bb.740:                              ;   in Loop: Header=BB99_3 Depth=1
	v_xor_b32_e32 v34, 0x80000000, v29
	ds_store_b32 v57, v34
; %bb.741:                              ;   in Loop: Header=BB99_3 Depth=1
	s_or_b32 exec_lo, exec_lo, s40
	s_wait_dscnt 0x0
	s_barrier_signal -1
	s_barrier_wait -1
	s_and_saveexec_b32 s40, s101
	s_cbranch_execz .LBB99_743
; %bb.742:                              ;   in Loop: Header=BB99_3 Depth=1
	ds_load_b32 v34, v56 offset:5696
	ds_load_b32 v35, v57
	s_wait_dscnt 0x0
	v_fma_f32 v29, -v34, v35, v29
.LBB99_743:                             ;   in Loop: Header=BB99_3 Depth=1
	s_or_b32 exec_lo, exec_lo, s40
	s_barrier_signal -1
	s_barrier_wait -1
	s_and_saveexec_b32 s40, s102
; %bb.744:                              ;   in Loop: Header=BB99_3 Depth=1
	v_xor_b32_e32 v34, 0x80000000, v29
	ds_store_b32 v57, v34
; %bb.745:                              ;   in Loop: Header=BB99_3 Depth=1
	s_or_b32 exec_lo, exec_lo, s40
	s_wait_dscnt 0x0
	s_barrier_signal -1
	s_barrier_wait -1
	s_and_saveexec_b32 s40, s103
	s_cbranch_execz .LBB99_747
; %bb.746:                              ;   in Loop: Header=BB99_3 Depth=1
	ds_load_b32 v34, v56 offset:5440
	ds_load_b32 v35, v57
	s_wait_dscnt 0x0
	v_fma_f32 v29, -v34, v35, v29
.LBB99_747:                             ;   in Loop: Header=BB99_3 Depth=1
	s_or_b32 exec_lo, exec_lo, s40
	s_barrier_signal -1
	s_barrier_wait -1
	s_and_saveexec_b32 s40, s104
; %bb.748:                              ;   in Loop: Header=BB99_3 Depth=1
	v_xor_b32_e32 v34, 0x80000000, v29
	ds_store_b32 v57, v34
; %bb.749:                              ;   in Loop: Header=BB99_3 Depth=1
	s_or_b32 exec_lo, exec_lo, s40
	s_wait_dscnt 0x0
	s_barrier_signal -1
	s_barrier_wait -1
	s_and_saveexec_b32 s40, vcc_hi
	s_cbranch_execz .LBB99_751
; %bb.750:                              ;   in Loop: Header=BB99_3 Depth=1
	ds_load_b32 v34, v56 offset:5184
	ds_load_b32 v35, v57
	s_wait_dscnt 0x0
	v_fma_f32 v29, -v34, v35, v29
.LBB99_751:                             ;   in Loop: Header=BB99_3 Depth=1
	s_or_b32 exec_lo, exec_lo, s40
	s_barrier_signal -1
	s_barrier_wait -1
	s_and_saveexec_b32 s40, s31
; %bb.752:                              ;   in Loop: Header=BB99_3 Depth=1
	v_xor_b32_e32 v34, 0x80000000, v29
	ds_store_b32 v57, v34
; %bb.753:                              ;   in Loop: Header=BB99_3 Depth=1
	s_or_b32 exec_lo, exec_lo, s40
	s_wait_dscnt 0x0
	s_barrier_signal -1
	s_barrier_wait -1
	s_and_saveexec_b32 s40, s33
	s_cbranch_execz .LBB99_755
; %bb.754:                              ;   in Loop: Header=BB99_3 Depth=1
	ds_load_b32 v34, v56 offset:4928
	ds_load_b32 v35, v57
	s_wait_dscnt 0x0
	v_fma_f32 v29, -v34, v35, v29
.LBB99_755:                             ;   in Loop: Header=BB99_3 Depth=1
	s_or_b32 exec_lo, exec_lo, s40
	s_barrier_signal -1
	s_barrier_wait -1
	s_and_saveexec_b32 s40, s34
; %bb.756:                              ;   in Loop: Header=BB99_3 Depth=1
	v_xor_b32_e32 v34, 0x80000000, v29
	ds_store_b32 v57, v34
; %bb.757:                              ;   in Loop: Header=BB99_3 Depth=1
	s_or_b32 exec_lo, exec_lo, s40
	s_wait_dscnt 0x0
	s_barrier_signal -1
	s_barrier_wait -1
	s_and_saveexec_b32 s40, s35
	;; [unrolled: 20-line block ×3, first 2 shown]
	s_cbranch_execz .LBB99_763
; %bb.762:                              ;   in Loop: Header=BB99_3 Depth=1
	ds_load_b32 v34, v3 offset:4416
	ds_load_b32 v35, v57
	s_wait_dscnt 0x0
	v_fma_f32 v29, -v34, v35, v29
.LBB99_763:                             ;   in Loop: Header=BB99_3 Depth=1
	s_or_b32 exec_lo, exec_lo, s40
	s_barrier_signal -1
	s_barrier_wait -1
	s_and_saveexec_b32 s40, s37
; %bb.764:                              ;   in Loop: Header=BB99_3 Depth=1
	v_xor_b32_e32 v34, 0x80000000, v29
	ds_store_b32 v57, v34
; %bb.765:                              ;   in Loop: Header=BB99_3 Depth=1
	s_or_b32 exec_lo, exec_lo, s40
	s_wait_dscnt 0x0
	s_barrier_signal -1
	s_barrier_wait -1
	s_barrier_signal -1
	s_barrier_wait -1
	s_and_saveexec_b32 s40, s5
; %bb.766:                              ;   in Loop: Header=BB99_3 Depth=1
	ds_store_b32 v60, v29 offset:8000
; %bb.767:                              ;   in Loop: Header=BB99_3 Depth=1
	s_or_b32 exec_lo, exec_lo, s40
	s_wait_dscnt 0x0
	s_barrier_signal -1
	s_barrier_wait -1
	s_barrier_signal -1
	s_barrier_wait -1
	s_and_saveexec_b32 s40, s38
	s_cbranch_execz .LBB99_769
; %bb.768:                              ;   in Loop: Header=BB99_3 Depth=1
	ds_load_b32 v29, v43 offset:6208
	s_wait_dscnt 0x0
	ds_store_b32 v45, v29 offset:4192
	ds_load_b32 v29, v43 offset:6212
	s_wait_dscnt 0x0
	ds_store_b32 v45, v29 offset:4448
	ds_load_b32 v29, v43 offset:6216
	s_wait_dscnt 0x0
	ds_store_b32 v45, v29 offset:4704
	ds_load_b32 v29, v43 offset:6220
	s_wait_dscnt 0x0
	ds_store_b32 v45, v29 offset:4960
	ds_load_b32 v29, v43 offset:6224
	s_wait_dscnt 0x0
	ds_store_b32 v45, v29 offset:5216
	ds_load_b32 v29, v43 offset:6228
	s_wait_dscnt 0x0
	ds_store_b32 v45, v29 offset:5472
	ds_load_b32 v29, v43 offset:6232
	s_wait_dscnt 0x0
	ds_store_b32 v45, v29 offset:5728
	ds_load_b32 v29, v43 offset:6236
	s_wait_dscnt 0x0
	ds_store_b32 v45, v29 offset:5984
.LBB99_769:                             ;   in Loop: Header=BB99_3 Depth=1
	s_or_b32 exec_lo, exec_lo, s40
	s_wait_dscnt 0x0
	s_barrier_signal -1
	s_barrier_wait -1
	s_and_saveexec_b32 s40, s11
	s_cbranch_execz .LBB99_771
; %bb.770:                              ;   in Loop: Header=BB99_3 Depth=1
	ds_load_b32 v29, v3 offset:5976
	ds_store_b32 v3, v28 offset:5980
	s_wait_dscnt 0x1
	ds_store_b64 v3, v[28:29] offset:5720
.LBB99_771:                             ;   in Loop: Header=BB99_3 Depth=1
	s_or_b32 exec_lo, exec_lo, s40
	v_mov_b32_e32 v29, 0
	s_wait_dscnt 0x0
	s_barrier_signal -1
	s_barrier_wait -1
	global_wb scope:SCOPE_DEV
	s_wait_storecnt 0x0
	global_inv scope:SCOPE_DEV
	s_and_saveexec_b32 s40, s2
	s_cbranch_execz .LBB99_775
; %bb.772:                              ;   in Loop: Header=BB99_3 Depth=1
	ds_load_b32 v29, v46 offset:5712
	ds_load_b32 v34, v48 offset:5976
	s_wait_dscnt 0x0
	v_fma_f32 v29, v29, v34, 0
	s_and_saveexec_b32 s41, s12
	s_cbranch_execz .LBB99_774
; %bb.773:                              ;   in Loop: Header=BB99_3 Depth=1
	ds_load_b32 v34, v45 offset:5968
	ds_load_b32 v35, v3 offset:5980
	s_wait_dscnt 0x0
	v_fmac_f32_e32 v29, v34, v35
.LBB99_774:                             ;   in Loop: Header=BB99_3 Depth=1
	s_or_b32 exec_lo, exec_lo, s41
.LBB99_775:                             ;   in Loop: Header=BB99_3 Depth=1
	s_delay_alu instid0(SALU_CYCLE_1)
	s_or_b32 exec_lo, exec_lo, s40
	s_and_saveexec_b32 s40, s88
; %bb.776:                              ;   in Loop: Header=BB99_3 Depth=1
	s_delay_alu instid0(VALU_DEP_1)
	v_xor_b32_e32 v34, 0x80000000, v29
	ds_store_b32 v44, v34
; %bb.777:                              ;   in Loop: Header=BB99_3 Depth=1
	s_or_b32 exec_lo, exec_lo, s40
	s_wait_loadcnt_dscnt 0x0
	s_barrier_signal -1
	s_barrier_wait -1
	s_and_saveexec_b32 s40, s89
	s_cbranch_execz .LBB99_779
; %bb.778:                              ;   in Loop: Header=BB99_3 Depth=1
	ds_load_b32 v34, v3 offset:5456
	ds_load_b32 v35, v44
	s_wait_dscnt 0x0
	v_fma_f32 v29, -v34, v35, v29
.LBB99_779:                             ;   in Loop: Header=BB99_3 Depth=1
	s_or_b32 exec_lo, exec_lo, s40
	s_barrier_signal -1
	s_barrier_wait -1
	s_and_saveexec_b32 s40, s89
; %bb.780:                              ;   in Loop: Header=BB99_3 Depth=1
	v_xor_b32_e32 v34, 0x80000000, v29
	ds_store_b32 v44, v34
; %bb.781:                              ;   in Loop: Header=BB99_3 Depth=1
	s_or_b32 exec_lo, exec_lo, s40
	s_wait_dscnt 0x0
	s_barrier_signal -1
	s_barrier_wait -1
	s_barrier_signal -1
	s_barrier_wait -1
	s_and_saveexec_b32 s40, s2
; %bb.782:                              ;   in Loop: Header=BB99_3 Depth=1
	ds_store_b32 v49, v29 offset:5968
; %bb.783:                              ;   in Loop: Header=BB99_3 Depth=1
	s_or_b32 exec_lo, exec_lo, s40
	s_wait_dscnt 0x0
	s_barrier_signal -1
	s_barrier_wait -1
	s_barrier_signal -1
	s_barrier_wait -1
	s_and_saveexec_b32 s40, s90
	s_cbranch_execz .LBB99_785
; %bb.784:                              ;   in Loop: Header=BB99_3 Depth=1
	ds_load_b32 v29, v47 offset:5712
	s_wait_dscnt 0x0
	ds_store_b32 v45, v29 offset:5208
	ds_load_b32 v29, v47 offset:5716
	s_wait_dscnt 0x0
	ds_store_b32 v45, v29 offset:5464
.LBB99_785:                             ;   in Loop: Header=BB99_3 Depth=1
	s_or_b32 exec_lo, exec_lo, s40
	s_wait_dscnt 0x0
	s_barrier_signal -1
	s_barrier_wait -1
	s_and_saveexec_b32 s40, s11
	s_cbranch_execz .LBB99_787
; %bb.786:                              ;   in Loop: Header=BB99_3 Depth=1
	ds_load_b32 v29, v3 offset:5456
	ds_store_b32 v3, v28 offset:5460
	s_wait_dscnt 0x1
	ds_store_b64 v3, v[28:29] offset:5200
.LBB99_787:                             ;   in Loop: Header=BB99_3 Depth=1
	s_or_b32 exec_lo, exec_lo, s40
	v_mov_b32_e32 v29, 0
	s_wait_dscnt 0x0
	s_barrier_signal -1
	s_barrier_wait -1
	global_wb scope:SCOPE_DEV
	s_wait_storecnt 0x0
	global_inv scope:SCOPE_DEV
	s_and_saveexec_b32 s40, s4
	s_cbranch_execz .LBB99_793
; %bb.788:                              ;   in Loop: Header=BB99_3 Depth=1
	ds_load_b32 v29, v52 offset:5184
	ds_load_b32 v34, v53 offset:5968
	s_wait_dscnt 0x0
	v_fma_f32 v29, v29, v34, 0
	s_and_saveexec_b32 s41, s13
	s_cbranch_execnz .LBB99_1209
; %bb.789:                              ;   in Loop: Header=BB99_3 Depth=1
	s_or_b32 exec_lo, exec_lo, s41
	s_and_saveexec_b32 s41, s14
	s_cbranch_execnz .LBB99_1210
.LBB99_790:                             ;   in Loop: Header=BB99_3 Depth=1
	s_or_b32 exec_lo, exec_lo, s41
	s_and_saveexec_b32 s41, s2
	s_cbranch_execz .LBB99_792
.LBB99_791:                             ;   in Loop: Header=BB99_3 Depth=1
	ds_load_b32 v34, v51 offset:5952
	ds_load_b32 v35, v3 offset:5980
	s_wait_dscnt 0x0
	v_fmac_f32_e32 v29, v34, v35
.LBB99_792:                             ;   in Loop: Header=BB99_3 Depth=1
	s_or_b32 exec_lo, exec_lo, s41
.LBB99_793:                             ;   in Loop: Header=BB99_3 Depth=1
	s_delay_alu instid0(SALU_CYCLE_1)
	s_or_b32 exec_lo, exec_lo, s40
	s_and_saveexec_b32 s40, s91
; %bb.794:                              ;   in Loop: Header=BB99_3 Depth=1
	s_delay_alu instid0(VALU_DEP_1)
	v_xor_b32_e32 v34, 0x80000000, v29
	ds_store_b32 v50, v34
; %bb.795:                              ;   in Loop: Header=BB99_3 Depth=1
	s_or_b32 exec_lo, exec_lo, s40
	s_wait_loadcnt_dscnt 0x0
	s_barrier_signal -1
	s_barrier_wait -1
	s_and_saveexec_b32 s40, s92
	s_cbranch_execz .LBB99_797
; %bb.796:                              ;   in Loop: Header=BB99_3 Depth=1
	ds_load_b32 v34, v52 offset:4928
	ds_load_b32 v35, v50
	s_wait_dscnt 0x0
	v_fma_f32 v29, -v34, v35, v29
.LBB99_797:                             ;   in Loop: Header=BB99_3 Depth=1
	s_or_b32 exec_lo, exec_lo, s40
	s_barrier_signal -1
	s_barrier_wait -1
	s_and_saveexec_b32 s40, s93
; %bb.798:                              ;   in Loop: Header=BB99_3 Depth=1
	v_xor_b32_e32 v34, 0x80000000, v29
	ds_store_b32 v50, v34
; %bb.799:                              ;   in Loop: Header=BB99_3 Depth=1
	s_or_b32 exec_lo, exec_lo, s40
	s_wait_dscnt 0x0
	s_barrier_signal -1
	s_barrier_wait -1
	s_and_saveexec_b32 s40, s94
	s_cbranch_execz .LBB99_801
; %bb.800:                              ;   in Loop: Header=BB99_3 Depth=1
	ds_load_b32 v34, v52 offset:4672
	ds_load_b32 v35, v50
	s_wait_dscnt 0x0
	v_fma_f32 v29, -v34, v35, v29
.LBB99_801:                             ;   in Loop: Header=BB99_3 Depth=1
	s_or_b32 exec_lo, exec_lo, s40
	s_barrier_signal -1
	s_barrier_wait -1
	s_and_saveexec_b32 s40, s95
; %bb.802:                              ;   in Loop: Header=BB99_3 Depth=1
	v_xor_b32_e32 v34, 0x80000000, v29
	ds_store_b32 v50, v34
; %bb.803:                              ;   in Loop: Header=BB99_3 Depth=1
	s_or_b32 exec_lo, exec_lo, s40
	s_wait_dscnt 0x0
	;; [unrolled: 20-line block ×3, first 2 shown]
	s_barrier_signal -1
	s_barrier_wait -1
	s_barrier_signal -1
	s_barrier_wait -1
	s_and_saveexec_b32 s40, s4
; %bb.808:                              ;   in Loop: Header=BB99_3 Depth=1
	ds_store_b32 v55, v29 offset:5952
; %bb.809:                              ;   in Loop: Header=BB99_3 Depth=1
	s_or_b32 exec_lo, exec_lo, s40
	s_wait_dscnt 0x0
	s_barrier_signal -1
	s_barrier_wait -1
	s_barrier_signal -1
	s_barrier_wait -1
	s_and_saveexec_b32 s40, s97
	s_cbranch_execz .LBB99_811
; %bb.810:                              ;   in Loop: Header=BB99_3 Depth=1
	ds_load_b32 v29, v54 offset:5184
	s_wait_dscnt 0x0
	ds_store_b32 v58, v29 offset:4176
	ds_load_b32 v29, v54 offset:5188
	s_wait_dscnt 0x0
	ds_store_b32 v58, v29 offset:4432
	;; [unrolled: 3-line block ×4, first 2 shown]
.LBB99_811:                             ;   in Loop: Header=BB99_3 Depth=1
	s_or_b32 exec_lo, exec_lo, s40
	s_wait_dscnt 0x0
	s_barrier_signal -1
	s_barrier_wait -1
	s_and_saveexec_b32 s40, s11
	s_cbranch_execz .LBB99_813
; %bb.812:                              ;   in Loop: Header=BB99_3 Depth=1
	ds_load_b32 v29, v3 offset:4936
	ds_store_b32 v3, v28 offset:4940
	s_wait_dscnt 0x1
	ds_store_b64 v3, v[28:29] offset:4680
.LBB99_813:                             ;   in Loop: Header=BB99_3 Depth=1
	s_or_b32 exec_lo, exec_lo, s40
	v_mov_b32_e32 v29, 0
	s_wait_dscnt 0x0
	s_barrier_signal -1
	s_barrier_wait -1
	global_wb scope:SCOPE_DEV
	s_wait_storecnt 0x0
	global_inv scope:SCOPE_DEV
	s_and_saveexec_b32 s40, s2
	s_cbranch_execz .LBB99_817
; %bb.814:                              ;   in Loop: Header=BB99_3 Depth=1
	ds_load_b32 v29, v46 offset:4672
	ds_load_b32 v34, v48 offset:4936
	s_wait_dscnt 0x0
	v_fma_f32 v29, v29, v34, 0
	s_and_saveexec_b32 s41, s12
	s_cbranch_execz .LBB99_816
; %bb.815:                              ;   in Loop: Header=BB99_3 Depth=1
	ds_load_b32 v34, v58 offset:4928
	ds_load_b32 v35, v3 offset:4940
	s_wait_dscnt 0x0
	v_fmac_f32_e32 v29, v34, v35
.LBB99_816:                             ;   in Loop: Header=BB99_3 Depth=1
	s_or_b32 exec_lo, exec_lo, s41
.LBB99_817:                             ;   in Loop: Header=BB99_3 Depth=1
	s_delay_alu instid0(SALU_CYCLE_1)
	s_or_b32 exec_lo, exec_lo, s40
	s_and_saveexec_b32 s40, s88
; %bb.818:                              ;   in Loop: Header=BB99_3 Depth=1
	s_delay_alu instid0(VALU_DEP_1)
	v_xor_b32_e32 v34, 0x80000000, v29
	ds_store_b32 v44, v34
; %bb.819:                              ;   in Loop: Header=BB99_3 Depth=1
	s_or_b32 exec_lo, exec_lo, s40
	s_wait_loadcnt_dscnt 0x0
	s_barrier_signal -1
	s_barrier_wait -1
	s_and_saveexec_b32 s40, s89
	s_cbranch_execz .LBB99_821
; %bb.820:                              ;   in Loop: Header=BB99_3 Depth=1
	ds_load_b32 v34, v3 offset:4416
	ds_load_b32 v35, v44
	s_wait_dscnt 0x0
	v_fma_f32 v29, -v34, v35, v29
.LBB99_821:                             ;   in Loop: Header=BB99_3 Depth=1
	s_or_b32 exec_lo, exec_lo, s40
	s_barrier_signal -1
	s_barrier_wait -1
	s_and_saveexec_b32 s40, s89
; %bb.822:                              ;   in Loop: Header=BB99_3 Depth=1
	v_xor_b32_e32 v34, 0x80000000, v29
	ds_store_b32 v44, v34
; %bb.823:                              ;   in Loop: Header=BB99_3 Depth=1
	s_or_b32 exec_lo, exec_lo, s40
	s_wait_dscnt 0x0
	s_barrier_signal -1
	s_barrier_wait -1
	s_barrier_signal -1
	s_barrier_wait -1
	s_and_saveexec_b32 s40, s2
; %bb.824:                              ;   in Loop: Header=BB99_3 Depth=1
	ds_store_b32 v49, v29 offset:4928
; %bb.825:                              ;   in Loop: Header=BB99_3 Depth=1
	s_or_b32 exec_lo, exec_lo, s40
	s_wait_dscnt 0x0
	s_barrier_signal -1
	s_barrier_wait -1
	s_barrier_signal -1
	s_barrier_wait -1
	s_and_saveexec_b32 s40, s90
	s_cbranch_execz .LBB99_827
; %bb.826:                              ;   in Loop: Header=BB99_3 Depth=1
	ds_load_b32 v29, v61 offset:4672
	s_wait_dscnt 0x0
	ds_store_b32 v58, v29 offset:4168
	ds_load_b32 v29, v61 offset:4676
	s_wait_dscnt 0x0
	ds_store_b32 v58, v29 offset:4424
.LBB99_827:                             ;   in Loop: Header=BB99_3 Depth=1
	s_or_b32 exec_lo, exec_lo, s40
	s_wait_dscnt 0x0
	s_barrier_signal -1
	s_barrier_wait -1
	s_and_saveexec_b32 s40, s11
	s_cbranch_execz .LBB99_829
; %bb.828:                              ;   in Loop: Header=BB99_3 Depth=1
	ds_load_b32 v29, v3 offset:4416
	ds_store_b32 v3, v28 offset:4420
	s_wait_dscnt 0x1
	ds_store_b64 v3, v[28:29] offset:4160
.LBB99_829:                             ;   in Loop: Header=BB99_3 Depth=1
	s_or_b32 exec_lo, exec_lo, s40
	v_mov_b32_e32 v29, 0
	s_wait_dscnt 0x0
	s_barrier_signal -1
	s_barrier_wait -1
	global_wb scope:SCOPE_DEV
	s_wait_storecnt 0x0
	global_inv scope:SCOPE_DEV
	s_and_saveexec_b32 s61, s6
	s_cbranch_execz .LBB99_857
; %bb.830:                              ;   in Loop: Header=BB99_3 Depth=1
	ds_load_b32 v29, v62 offset:4096
	ds_load_b32 v34, v65 offset:8000
	s_wait_dscnt 0x0
	v_fma_f32 v29, v29, v34, 0
	s_mov_b32 s40, exec_lo
	v_readlane_b32 s41, v89, 14
	s_and_b32 s41, s40, s41
	s_delay_alu instid0(SALU_CYCLE_1)
	s_mov_b32 exec_lo, s41
	s_cbranch_execz .LBB99_832
; %bb.831:                              ;   in Loop: Header=BB99_3 Depth=1
	ds_load_b32 v34, v62 offset:4352
	ds_load_b32 v35, v65 offset:8004
	s_wait_dscnt 0x0
	v_fmac_f32_e32 v29, v34, v35
.LBB99_832:                             ;   in Loop: Header=BB99_3 Depth=1
	s_or_b32 exec_lo, exec_lo, s40
	s_delay_alu instid0(SALU_CYCLE_1) | instskip(SKIP_2) | instid1(SALU_CYCLE_1)
	s_mov_b32 s40, exec_lo
	v_readlane_b32 s41, v89, 15
	s_and_b32 s41, s40, s41
	s_mov_b32 exec_lo, s41
	s_cbranch_execz .LBB99_834
; %bb.833:                              ;   in Loop: Header=BB99_3 Depth=1
	ds_load_b32 v34, v62 offset:4608
	ds_load_b32 v35, v65 offset:8008
	s_wait_dscnt 0x0
	v_fmac_f32_e32 v29, v34, v35
.LBB99_834:                             ;   in Loop: Header=BB99_3 Depth=1
	s_or_b32 exec_lo, exec_lo, s40
	s_delay_alu instid0(SALU_CYCLE_1) | instskip(SKIP_2) | instid1(SALU_CYCLE_1)
	s_mov_b32 s40, exec_lo
	v_readlane_b32 s41, v89, 16
	s_and_b32 s41, s40, s41
	;; [unrolled: 13-line block ×10, first 2 shown]
	s_mov_b32 exec_lo, s41
	s_cbranch_execnz .LBB99_1211
; %bb.851:                              ;   in Loop: Header=BB99_3 Depth=1
	s_or_b32 exec_lo, exec_lo, s40
	s_and_saveexec_b32 s40, s5
	s_cbranch_execnz .LBB99_1212
.LBB99_852:                             ;   in Loop: Header=BB99_3 Depth=1
	s_or_b32 exec_lo, exec_lo, s40
	s_and_saveexec_b32 s40, s16
	s_cbranch_execnz .LBB99_1213
.LBB99_853:                             ;   in Loop: Header=BB99_3 Depth=1
	s_or_b32 exec_lo, exec_lo, s40
	s_and_saveexec_b32 s40, s18
	s_cbranch_execnz .LBB99_1214
.LBB99_854:                             ;   in Loop: Header=BB99_3 Depth=1
	s_or_b32 exec_lo, exec_lo, s40
	s_and_saveexec_b32 s40, s4
	s_cbranch_execz .LBB99_856
.LBB99_855:                             ;   in Loop: Header=BB99_3 Depth=1
	ds_load_b32 v34, v7 offset:7936
	ds_load_b32 v35, v3 offset:8060
	s_wait_dscnt 0x0
	v_fmac_f32_e32 v29, v34, v35
.LBB99_856:                             ;   in Loop: Header=BB99_3 Depth=1
	s_or_b32 exec_lo, exec_lo, s40
.LBB99_857:                             ;   in Loop: Header=BB99_3 Depth=1
	s_delay_alu instid0(SALU_CYCLE_1) | instskip(NEXT) | instid1(SALU_CYCLE_1)
	s_or_b32 exec_lo, exec_lo, s61
	s_mov_b32 s40, exec_lo
	v_readlane_b32 s41, v91, 2
	s_and_b32 s41, s40, s41
	s_delay_alu instid0(SALU_CYCLE_1)
	s_mov_b32 exec_lo, s41
; %bb.858:                              ;   in Loop: Header=BB99_3 Depth=1
	v_xor_b32_e32 v34, 0x80000000, v29
	ds_store_b32 v63, v34
; %bb.859:                              ;   in Loop: Header=BB99_3 Depth=1
	s_or_b32 exec_lo, exec_lo, s40
	s_wait_loadcnt_dscnt 0x0
	s_barrier_signal -1
	s_barrier_wait -1
	s_mov_b32 s40, exec_lo
	v_readlane_b32 s41, v91, 3
	s_and_b32 s41, s40, s41
	s_delay_alu instid0(SALU_CYCLE_1)
	s_mov_b32 exec_lo, s41
	s_cbranch_execz .LBB99_861
; %bb.860:                              ;   in Loop: Header=BB99_3 Depth=1
	ds_load_b32 v34, v62 offset:3840
	ds_load_b32 v35, v63
	s_wait_dscnt 0x0
	v_fma_f32 v29, -v34, v35, v29
.LBB99_861:                             ;   in Loop: Header=BB99_3 Depth=1
	s_or_b32 exec_lo, exec_lo, s40
	s_barrier_signal -1
	s_barrier_wait -1
	s_mov_b32 s40, exec_lo
	v_readlane_b32 s41, v91, 4
	s_and_b32 s41, s40, s41
	s_delay_alu instid0(SALU_CYCLE_1)
	s_mov_b32 exec_lo, s41
; %bb.862:                              ;   in Loop: Header=BB99_3 Depth=1
	v_xor_b32_e32 v34, 0x80000000, v29
	ds_store_b32 v63, v34
; %bb.863:                              ;   in Loop: Header=BB99_3 Depth=1
	s_or_b32 exec_lo, exec_lo, s40
	s_wait_dscnt 0x0
	s_barrier_signal -1
	s_barrier_wait -1
	s_mov_b32 s40, exec_lo
	v_readlane_b32 s41, v91, 5
	s_and_b32 s41, s40, s41
	s_delay_alu instid0(SALU_CYCLE_1)
	s_mov_b32 exec_lo, s41
	s_cbranch_execz .LBB99_865
; %bb.864:                              ;   in Loop: Header=BB99_3 Depth=1
	ds_load_b32 v34, v62 offset:3584
	ds_load_b32 v35, v63
	s_wait_dscnt 0x0
	v_fma_f32 v29, -v34, v35, v29
.LBB99_865:                             ;   in Loop: Header=BB99_3 Depth=1
	s_or_b32 exec_lo, exec_lo, s40
	s_barrier_signal -1
	s_barrier_wait -1
	s_and_saveexec_b32 s40, s43
; %bb.866:                              ;   in Loop: Header=BB99_3 Depth=1
	v_xor_b32_e32 v34, 0x80000000, v29
	ds_store_b32 v63, v34
; %bb.867:                              ;   in Loop: Header=BB99_3 Depth=1
	s_or_b32 exec_lo, exec_lo, s40
	s_wait_dscnt 0x0
	s_barrier_signal -1
	s_barrier_wait -1
	s_and_saveexec_b32 s40, s44
	s_cbranch_execz .LBB99_869
; %bb.868:                              ;   in Loop: Header=BB99_3 Depth=1
	ds_load_b32 v34, v62 offset:3328
	ds_load_b32 v35, v63
	s_wait_dscnt 0x0
	v_fma_f32 v29, -v34, v35, v29
.LBB99_869:                             ;   in Loop: Header=BB99_3 Depth=1
	s_or_b32 exec_lo, exec_lo, s40
	s_barrier_signal -1
	s_barrier_wait -1
	s_and_saveexec_b32 s40, s45
; %bb.870:                              ;   in Loop: Header=BB99_3 Depth=1
	v_xor_b32_e32 v34, 0x80000000, v29
	ds_store_b32 v63, v34
; %bb.871:                              ;   in Loop: Header=BB99_3 Depth=1
	s_or_b32 exec_lo, exec_lo, s40
	s_wait_dscnt 0x0
	s_barrier_signal -1
	s_barrier_wait -1
	s_and_saveexec_b32 s40, s46
	s_cbranch_execz .LBB99_873
; %bb.872:                              ;   in Loop: Header=BB99_3 Depth=1
	ds_load_b32 v34, v62 offset:3072
	ds_load_b32 v35, v63
	s_wait_dscnt 0x0
	v_fma_f32 v29, -v34, v35, v29
.LBB99_873:                             ;   in Loop: Header=BB99_3 Depth=1
	s_or_b32 exec_lo, exec_lo, s40
	s_barrier_signal -1
	s_barrier_wait -1
	s_and_saveexec_b32 s40, s47
; %bb.874:                              ;   in Loop: Header=BB99_3 Depth=1
	v_xor_b32_e32 v34, 0x80000000, v29
	ds_store_b32 v63, v34
; %bb.875:                              ;   in Loop: Header=BB99_3 Depth=1
	s_or_b32 exec_lo, exec_lo, s40
	s_wait_dscnt 0x0
	s_barrier_signal -1
	s_barrier_wait -1
	s_and_saveexec_b32 s40, s48
	s_cbranch_execz .LBB99_877
; %bb.876:                              ;   in Loop: Header=BB99_3 Depth=1
	ds_load_b32 v34, v62 offset:2816
	ds_load_b32 v35, v63
	s_wait_dscnt 0x0
	v_fma_f32 v29, -v34, v35, v29
.LBB99_877:                             ;   in Loop: Header=BB99_3 Depth=1
	s_or_b32 exec_lo, exec_lo, s40
	s_barrier_signal -1
	s_barrier_wait -1
	s_and_saveexec_b32 s40, s49
; %bb.878:                              ;   in Loop: Header=BB99_3 Depth=1
	v_xor_b32_e32 v34, 0x80000000, v29
	ds_store_b32 v63, v34
; %bb.879:                              ;   in Loop: Header=BB99_3 Depth=1
	s_or_b32 exec_lo, exec_lo, s40
	s_wait_dscnt 0x0
	s_barrier_signal -1
	s_barrier_wait -1
	s_and_saveexec_b32 s40, s50
	s_cbranch_execz .LBB99_881
; %bb.880:                              ;   in Loop: Header=BB99_3 Depth=1
	ds_load_b32 v34, v62 offset:2560
	ds_load_b32 v35, v63
	s_wait_dscnt 0x0
	v_fma_f32 v29, -v34, v35, v29
.LBB99_881:                             ;   in Loop: Header=BB99_3 Depth=1
	s_or_b32 exec_lo, exec_lo, s40
	s_barrier_signal -1
	s_barrier_wait -1
	s_and_saveexec_b32 s40, s51
; %bb.882:                              ;   in Loop: Header=BB99_3 Depth=1
	v_xor_b32_e32 v34, 0x80000000, v29
	ds_store_b32 v63, v34
; %bb.883:                              ;   in Loop: Header=BB99_3 Depth=1
	s_or_b32 exec_lo, exec_lo, s40
	s_wait_dscnt 0x0
	s_barrier_signal -1
	s_barrier_wait -1
	s_and_saveexec_b32 s40, s52
	s_cbranch_execz .LBB99_885
; %bb.884:                              ;   in Loop: Header=BB99_3 Depth=1
	ds_load_b32 v34, v62 offset:2304
	ds_load_b32 v35, v63
	s_wait_dscnt 0x0
	v_fma_f32 v29, -v34, v35, v29
.LBB99_885:                             ;   in Loop: Header=BB99_3 Depth=1
	s_or_b32 exec_lo, exec_lo, s40
	s_barrier_signal -1
	s_barrier_wait -1
	s_and_saveexec_b32 s40, s53
; %bb.886:                              ;   in Loop: Header=BB99_3 Depth=1
	v_xor_b32_e32 v34, 0x80000000, v29
	ds_store_b32 v63, v34
; %bb.887:                              ;   in Loop: Header=BB99_3 Depth=1
	s_or_b32 exec_lo, exec_lo, s40
	s_wait_dscnt 0x0
	s_barrier_signal -1
	s_barrier_wait -1
	s_and_saveexec_b32 s40, s54
	s_cbranch_execz .LBB99_889
; %bb.888:                              ;   in Loop: Header=BB99_3 Depth=1
	ds_load_b32 v34, v62 offset:2048
	ds_load_b32 v35, v63
	s_wait_dscnt 0x0
	v_fma_f32 v29, -v34, v35, v29
.LBB99_889:                             ;   in Loop: Header=BB99_3 Depth=1
	s_or_b32 exec_lo, exec_lo, s40
	s_barrier_signal -1
	s_barrier_wait -1
	s_and_saveexec_b32 s40, s20
; %bb.890:                              ;   in Loop: Header=BB99_3 Depth=1
	v_xor_b32_e32 v34, 0x80000000, v29
	ds_store_b32 v63, v34
; %bb.891:                              ;   in Loop: Header=BB99_3 Depth=1
	s_or_b32 exec_lo, exec_lo, s40
	s_wait_dscnt 0x0
	s_barrier_signal -1
	s_barrier_wait -1
	s_and_saveexec_b32 s40, s22
	s_cbranch_execz .LBB99_893
; %bb.892:                              ;   in Loop: Header=BB99_3 Depth=1
	ds_load_b32 v34, v62 offset:1792
	ds_load_b32 v35, v63
	s_wait_dscnt 0x0
	v_fma_f32 v29, -v34, v35, v29
.LBB99_893:                             ;   in Loop: Header=BB99_3 Depth=1
	s_or_b32 exec_lo, exec_lo, s40
	s_barrier_signal -1
	s_barrier_wait -1
	s_and_saveexec_b32 s40, s24
; %bb.894:                              ;   in Loop: Header=BB99_3 Depth=1
	v_xor_b32_e32 v34, 0x80000000, v29
	ds_store_b32 v63, v34
; %bb.895:                              ;   in Loop: Header=BB99_3 Depth=1
	s_or_b32 exec_lo, exec_lo, s40
	s_wait_dscnt 0x0
	s_barrier_signal -1
	s_barrier_wait -1
	s_and_saveexec_b32 s40, s26
	s_cbranch_execz .LBB99_897
; %bb.896:                              ;   in Loop: Header=BB99_3 Depth=1
	ds_load_b32 v34, v62 offset:1536
	ds_load_b32 v35, v63
	s_wait_dscnt 0x0
	v_fma_f32 v29, -v34, v35, v29
.LBB99_897:                             ;   in Loop: Header=BB99_3 Depth=1
	s_or_b32 exec_lo, exec_lo, s40
	s_barrier_signal -1
	s_barrier_wait -1
	s_and_saveexec_b32 s40, s28
; %bb.898:                              ;   in Loop: Header=BB99_3 Depth=1
	v_xor_b32_e32 v34, 0x80000000, v29
	ds_store_b32 v63, v34
; %bb.899:                              ;   in Loop: Header=BB99_3 Depth=1
	s_or_b32 exec_lo, exec_lo, s40
	s_wait_dscnt 0x0
	s_barrier_signal -1
	s_barrier_wait -1
	s_and_saveexec_b32 s40, s30
	s_cbranch_execz .LBB99_901
; %bb.900:                              ;   in Loop: Header=BB99_3 Depth=1
	ds_load_b32 v34, v62 offset:1280
	ds_load_b32 v35, v63
	s_wait_dscnt 0x0
	v_fma_f32 v29, -v34, v35, v29
.LBB99_901:                             ;   in Loop: Header=BB99_3 Depth=1
	s_or_b32 exec_lo, exec_lo, s40
	s_barrier_signal -1
	s_barrier_wait -1
	s_and_saveexec_b32 s40, s57
; %bb.902:                              ;   in Loop: Header=BB99_3 Depth=1
	v_xor_b32_e32 v34, 0x80000000, v29
	ds_store_b32 v63, v34
; %bb.903:                              ;   in Loop: Header=BB99_3 Depth=1
	s_or_b32 exec_lo, exec_lo, s40
	s_wait_dscnt 0x0
	s_barrier_signal -1
	s_barrier_wait -1
	s_and_saveexec_b32 s40, s58
	s_cbranch_execz .LBB99_905
; %bb.904:                              ;   in Loop: Header=BB99_3 Depth=1
	ds_load_b32 v34, v62 offset:1024
	ds_load_b32 v35, v63
	s_wait_dscnt 0x0
	v_fma_f32 v29, -v34, v35, v29
.LBB99_905:                             ;   in Loop: Header=BB99_3 Depth=1
	s_or_b32 exec_lo, exec_lo, s40
	s_barrier_signal -1
	s_barrier_wait -1
	s_and_saveexec_b32 s40, s59
; %bb.906:                              ;   in Loop: Header=BB99_3 Depth=1
	v_xor_b32_e32 v34, 0x80000000, v29
	ds_store_b32 v63, v34
; %bb.907:                              ;   in Loop: Header=BB99_3 Depth=1
	s_or_b32 exec_lo, exec_lo, s40
	s_wait_dscnt 0x0
	s_barrier_signal -1
	s_barrier_wait -1
	s_and_saveexec_b32 s40, s60
	s_cbranch_execz .LBB99_909
; %bb.908:                              ;   in Loop: Header=BB99_3 Depth=1
	ds_load_b32 v34, v62 offset:768
	ds_load_b32 v35, v63
	s_wait_dscnt 0x0
	v_fma_f32 v29, -v34, v35, v29
.LBB99_909:                             ;   in Loop: Header=BB99_3 Depth=1
	s_or_b32 exec_lo, exec_lo, s40
	s_barrier_signal -1
	s_barrier_wait -1
	s_and_saveexec_b32 s40, s21
; %bb.910:                              ;   in Loop: Header=BB99_3 Depth=1
	v_xor_b32_e32 v34, 0x80000000, v29
	ds_store_b32 v63, v34
; %bb.911:                              ;   in Loop: Header=BB99_3 Depth=1
	s_or_b32 exec_lo, exec_lo, s40
	s_wait_dscnt 0x0
	s_barrier_signal -1
	s_barrier_wait -1
	s_and_saveexec_b32 s40, s23
	s_cbranch_execz .LBB99_913
; %bb.912:                              ;   in Loop: Header=BB99_3 Depth=1
	ds_load_b32 v34, v62 offset:512
	ds_load_b32 v35, v63
	s_wait_dscnt 0x0
	v_fma_f32 v29, -v34, v35, v29
.LBB99_913:                             ;   in Loop: Header=BB99_3 Depth=1
	s_or_b32 exec_lo, exec_lo, s40
	s_barrier_signal -1
	s_barrier_wait -1
	s_and_saveexec_b32 s40, s25
; %bb.914:                              ;   in Loop: Header=BB99_3 Depth=1
	v_xor_b32_e32 v34, 0x80000000, v29
	ds_store_b32 v63, v34
; %bb.915:                              ;   in Loop: Header=BB99_3 Depth=1
	s_or_b32 exec_lo, exec_lo, s40
	s_wait_dscnt 0x0
	s_barrier_signal -1
	s_barrier_wait -1
	s_and_saveexec_b32 s40, s27
	s_cbranch_execz .LBB99_917
; %bb.916:                              ;   in Loop: Header=BB99_3 Depth=1
	ds_load_b32 v34, v3 offset:256
	ds_load_b32 v35, v63
	s_wait_dscnt 0x0
	v_fma_f32 v29, -v34, v35, v29
.LBB99_917:                             ;   in Loop: Header=BB99_3 Depth=1
	s_or_b32 exec_lo, exec_lo, s40
	s_barrier_signal -1
	s_barrier_wait -1
	s_and_saveexec_b32 s40, s27
; %bb.918:                              ;   in Loop: Header=BB99_3 Depth=1
	v_xor_b32_e32 v34, 0x80000000, v29
	ds_store_b32 v63, v34
; %bb.919:                              ;   in Loop: Header=BB99_3 Depth=1
	s_or_b32 exec_lo, exec_lo, s40
	s_wait_dscnt 0x0
	s_barrier_signal -1
	s_barrier_wait -1
	s_barrier_signal -1
	s_barrier_wait -1
	s_and_saveexec_b32 s40, s6
; %bb.920:                              ;   in Loop: Header=BB99_3 Depth=1
	ds_store_b32 v66, v29 offset:7936
; %bb.921:                              ;   in Loop: Header=BB99_3 Depth=1
	s_or_b32 exec_lo, exec_lo, s40
	s_wait_dscnt 0x0
	s_barrier_signal -1
	s_barrier_wait -1
	s_barrier_signal -1
	s_barrier_wait -1
	s_and_saveexec_b32 s40, s29
	s_cbranch_execz .LBB99_923
; %bb.922:                              ;   in Loop: Header=BB99_3 Depth=1
	ds_load_b32 v29, v9 offset:4096
	s_wait_dscnt 0x0
	ds_store_b32 v38, v29 offset:64
	ds_load_b32 v29, v9 offset:4100
	s_wait_dscnt 0x0
	ds_store_b32 v38, v29 offset:320
	;; [unrolled: 3-line block ×16, first 2 shown]
.LBB99_923:                             ;   in Loop: Header=BB99_3 Depth=1
	s_or_b32 exec_lo, exec_lo, s40
	s_wait_dscnt 0x0
	s_barrier_signal -1
	s_barrier_wait -1
	s_and_saveexec_b32 s40, s11
	s_cbranch_execz .LBB99_925
; %bb.924:                              ;   in Loop: Header=BB99_3 Depth=1
	ds_load_b32 v29, v3 offset:3896
	ds_store_b32 v3, v28 offset:3900
	s_wait_dscnt 0x1
	ds_store_b64 v3, v[28:29] offset:3640
.LBB99_925:                             ;   in Loop: Header=BB99_3 Depth=1
	s_or_b32 exec_lo, exec_lo, s40
	v_mov_b32_e32 v29, 0
	s_wait_dscnt 0x0
	s_barrier_signal -1
	s_barrier_wait -1
	global_wb scope:SCOPE_DEV
	s_wait_storecnt 0x0
	global_inv scope:SCOPE_DEV
	s_and_saveexec_b32 s40, s2
	s_cbranch_execz .LBB99_929
; %bb.926:                              ;   in Loop: Header=BB99_3 Depth=1
	ds_load_b32 v29, v46 offset:3632
	ds_load_b32 v34, v48 offset:3896
	s_wait_dscnt 0x0
	v_fma_f32 v29, v29, v34, 0
	s_and_saveexec_b32 s41, s12
	s_cbranch_execz .LBB99_928
; %bb.927:                              ;   in Loop: Header=BB99_3 Depth=1
	ds_load_b32 v34, v7 offset:3888
	ds_load_b32 v35, v3 offset:3900
	s_wait_dscnt 0x0
	v_fmac_f32_e32 v29, v34, v35
.LBB99_928:                             ;   in Loop: Header=BB99_3 Depth=1
	s_or_b32 exec_lo, exec_lo, s41
.LBB99_929:                             ;   in Loop: Header=BB99_3 Depth=1
	s_delay_alu instid0(SALU_CYCLE_1)
	s_or_b32 exec_lo, exec_lo, s40
	s_and_saveexec_b32 s40, s88
; %bb.930:                              ;   in Loop: Header=BB99_3 Depth=1
	s_delay_alu instid0(VALU_DEP_1)
	v_xor_b32_e32 v34, 0x80000000, v29
	ds_store_b32 v44, v34
; %bb.931:                              ;   in Loop: Header=BB99_3 Depth=1
	s_or_b32 exec_lo, exec_lo, s40
	s_wait_loadcnt_dscnt 0x0
	s_barrier_signal -1
	s_barrier_wait -1
	s_and_saveexec_b32 s40, s89
	s_cbranch_execz .LBB99_933
; %bb.932:                              ;   in Loop: Header=BB99_3 Depth=1
	ds_load_b32 v34, v3 offset:3376
	ds_load_b32 v35, v44
	s_wait_dscnt 0x0
	v_fma_f32 v29, -v34, v35, v29
.LBB99_933:                             ;   in Loop: Header=BB99_3 Depth=1
	s_or_b32 exec_lo, exec_lo, s40
	s_barrier_signal -1
	s_barrier_wait -1
	s_and_saveexec_b32 s40, s89
; %bb.934:                              ;   in Loop: Header=BB99_3 Depth=1
	v_xor_b32_e32 v34, 0x80000000, v29
	ds_store_b32 v44, v34
; %bb.935:                              ;   in Loop: Header=BB99_3 Depth=1
	s_or_b32 exec_lo, exec_lo, s40
	s_wait_dscnt 0x0
	s_barrier_signal -1
	s_barrier_wait -1
	s_barrier_signal -1
	s_barrier_wait -1
	s_and_saveexec_b32 s40, s2
; %bb.936:                              ;   in Loop: Header=BB99_3 Depth=1
	ds_store_b32 v49, v29 offset:3888
; %bb.937:                              ;   in Loop: Header=BB99_3 Depth=1
	s_or_b32 exec_lo, exec_lo, s40
	s_wait_dscnt 0x0
	s_barrier_signal -1
	s_barrier_wait -1
	s_barrier_signal -1
	s_barrier_wait -1
	s_and_saveexec_b32 s40, s90
	s_cbranch_execz .LBB99_939
; %bb.938:                              ;   in Loop: Header=BB99_3 Depth=1
	ds_load_b32 v29, v9 offset:3632
	s_wait_dscnt 0x0
	ds_store_b32 v7, v29 offset:3128
	ds_load_b32 v29, v9 offset:3636
	s_wait_dscnt 0x0
	ds_store_b32 v7, v29 offset:3384
.LBB99_939:                             ;   in Loop: Header=BB99_3 Depth=1
	s_or_b32 exec_lo, exec_lo, s40
	s_wait_dscnt 0x0
	s_barrier_signal -1
	s_barrier_wait -1
	s_and_saveexec_b32 s40, s11
	s_cbranch_execz .LBB99_941
; %bb.940:                              ;   in Loop: Header=BB99_3 Depth=1
	ds_load_b32 v29, v3 offset:3376
	ds_store_b32 v3, v28 offset:3380
	s_wait_dscnt 0x1
	ds_store_b64 v3, v[28:29] offset:3120
.LBB99_941:                             ;   in Loop: Header=BB99_3 Depth=1
	s_or_b32 exec_lo, exec_lo, s40
	v_mov_b32_e32 v29, 0
	s_wait_dscnt 0x0
	s_barrier_signal -1
	s_barrier_wait -1
	global_wb scope:SCOPE_DEV
	s_wait_storecnt 0x0
	global_inv scope:SCOPE_DEV
	s_and_saveexec_b32 s40, s4
	s_cbranch_execz .LBB99_947
; %bb.942:                              ;   in Loop: Header=BB99_3 Depth=1
	ds_load_b32 v29, v52 offset:3104
	ds_load_b32 v34, v53 offset:3888
	s_wait_dscnt 0x0
	v_fma_f32 v29, v29, v34, 0
	s_and_saveexec_b32 s41, s13
	s_cbranch_execnz .LBB99_1215
; %bb.943:                              ;   in Loop: Header=BB99_3 Depth=1
	s_or_b32 exec_lo, exec_lo, s41
	s_and_saveexec_b32 s41, s14
	s_cbranch_execnz .LBB99_1216
.LBB99_944:                             ;   in Loop: Header=BB99_3 Depth=1
	s_or_b32 exec_lo, exec_lo, s41
	s_and_saveexec_b32 s41, s2
	s_cbranch_execz .LBB99_946
.LBB99_945:                             ;   in Loop: Header=BB99_3 Depth=1
	ds_load_b32 v34, v38 offset:3872
	ds_load_b32 v35, v3 offset:3900
	s_wait_dscnt 0x0
	v_fmac_f32_e32 v29, v34, v35
.LBB99_946:                             ;   in Loop: Header=BB99_3 Depth=1
	s_or_b32 exec_lo, exec_lo, s41
.LBB99_947:                             ;   in Loop: Header=BB99_3 Depth=1
	s_delay_alu instid0(SALU_CYCLE_1)
	s_or_b32 exec_lo, exec_lo, s40
	s_and_saveexec_b32 s40, s91
; %bb.948:                              ;   in Loop: Header=BB99_3 Depth=1
	s_delay_alu instid0(VALU_DEP_1)
	v_xor_b32_e32 v34, 0x80000000, v29
	ds_store_b32 v50, v34
; %bb.949:                              ;   in Loop: Header=BB99_3 Depth=1
	s_or_b32 exec_lo, exec_lo, s40
	s_wait_loadcnt_dscnt 0x0
	s_barrier_signal -1
	s_barrier_wait -1
	s_and_saveexec_b32 s40, s92
	s_cbranch_execz .LBB99_951
; %bb.950:                              ;   in Loop: Header=BB99_3 Depth=1
	ds_load_b32 v34, v52 offset:2848
	ds_load_b32 v35, v50
	s_wait_dscnt 0x0
	v_fma_f32 v29, -v34, v35, v29
.LBB99_951:                             ;   in Loop: Header=BB99_3 Depth=1
	s_or_b32 exec_lo, exec_lo, s40
	s_barrier_signal -1
	s_barrier_wait -1
	s_and_saveexec_b32 s40, s93
; %bb.952:                              ;   in Loop: Header=BB99_3 Depth=1
	v_xor_b32_e32 v34, 0x80000000, v29
	ds_store_b32 v50, v34
; %bb.953:                              ;   in Loop: Header=BB99_3 Depth=1
	s_or_b32 exec_lo, exec_lo, s40
	s_wait_dscnt 0x0
	s_barrier_signal -1
	s_barrier_wait -1
	s_and_saveexec_b32 s40, s94
	s_cbranch_execz .LBB99_955
; %bb.954:                              ;   in Loop: Header=BB99_3 Depth=1
	ds_load_b32 v34, v52 offset:2592
	ds_load_b32 v35, v50
	s_wait_dscnt 0x0
	v_fma_f32 v29, -v34, v35, v29
.LBB99_955:                             ;   in Loop: Header=BB99_3 Depth=1
	s_or_b32 exec_lo, exec_lo, s40
	s_barrier_signal -1
	s_barrier_wait -1
	s_and_saveexec_b32 s40, s95
; %bb.956:                              ;   in Loop: Header=BB99_3 Depth=1
	v_xor_b32_e32 v34, 0x80000000, v29
	ds_store_b32 v50, v34
; %bb.957:                              ;   in Loop: Header=BB99_3 Depth=1
	s_or_b32 exec_lo, exec_lo, s40
	s_wait_dscnt 0x0
	;; [unrolled: 20-line block ×3, first 2 shown]
	s_barrier_signal -1
	s_barrier_wait -1
	s_barrier_signal -1
	s_barrier_wait -1
	s_and_saveexec_b32 s40, s4
; %bb.962:                              ;   in Loop: Header=BB99_3 Depth=1
	ds_store_b32 v55, v29 offset:3872
; %bb.963:                              ;   in Loop: Header=BB99_3 Depth=1
	s_or_b32 exec_lo, exec_lo, s40
	s_wait_dscnt 0x0
	s_barrier_signal -1
	s_barrier_wait -1
	s_barrier_signal -1
	s_barrier_wait -1
	s_and_saveexec_b32 s40, s97
	s_cbranch_execz .LBB99_965
; %bb.964:                              ;   in Loop: Header=BB99_3 Depth=1
	ds_load_b32 v29, v39 offset:3104
	s_wait_dscnt 0x0
	ds_store_b32 v40, v29 offset:2096
	ds_load_b32 v29, v39 offset:3108
	s_wait_dscnt 0x0
	ds_store_b32 v40, v29 offset:2352
	;; [unrolled: 3-line block ×4, first 2 shown]
.LBB99_965:                             ;   in Loop: Header=BB99_3 Depth=1
	s_or_b32 exec_lo, exec_lo, s40
	s_wait_dscnt 0x0
	s_barrier_signal -1
	s_barrier_wait -1
	s_and_saveexec_b32 s40, s11
	s_cbranch_execz .LBB99_967
; %bb.966:                              ;   in Loop: Header=BB99_3 Depth=1
	ds_load_b32 v29, v3 offset:2856
	ds_store_b32 v3, v28 offset:2860
	s_wait_dscnt 0x1
	ds_store_b64 v3, v[28:29] offset:2600
.LBB99_967:                             ;   in Loop: Header=BB99_3 Depth=1
	s_or_b32 exec_lo, exec_lo, s40
	v_mov_b32_e32 v29, 0
	s_wait_dscnt 0x0
	s_barrier_signal -1
	s_barrier_wait -1
	global_wb scope:SCOPE_DEV
	s_wait_storecnt 0x0
	global_inv scope:SCOPE_DEV
	s_and_saveexec_b32 s40, s2
	s_cbranch_execz .LBB99_971
; %bb.968:                              ;   in Loop: Header=BB99_3 Depth=1
	ds_load_b32 v29, v46 offset:2592
	ds_load_b32 v34, v48 offset:2856
	s_wait_dscnt 0x0
	v_fma_f32 v29, v29, v34, 0
	s_and_saveexec_b32 s41, s12
	s_cbranch_execz .LBB99_970
; %bb.969:                              ;   in Loop: Header=BB99_3 Depth=1
	ds_load_b32 v34, v40 offset:2848
	ds_load_b32 v35, v3 offset:2860
	s_wait_dscnt 0x0
	v_fmac_f32_e32 v29, v34, v35
.LBB99_970:                             ;   in Loop: Header=BB99_3 Depth=1
	s_or_b32 exec_lo, exec_lo, s41
.LBB99_971:                             ;   in Loop: Header=BB99_3 Depth=1
	s_delay_alu instid0(SALU_CYCLE_1)
	s_or_b32 exec_lo, exec_lo, s40
	s_and_saveexec_b32 s40, s88
; %bb.972:                              ;   in Loop: Header=BB99_3 Depth=1
	s_delay_alu instid0(VALU_DEP_1)
	v_xor_b32_e32 v34, 0x80000000, v29
	ds_store_b32 v44, v34
; %bb.973:                              ;   in Loop: Header=BB99_3 Depth=1
	s_or_b32 exec_lo, exec_lo, s40
	s_wait_loadcnt_dscnt 0x0
	s_barrier_signal -1
	s_barrier_wait -1
	s_and_saveexec_b32 s40, s89
	s_cbranch_execz .LBB99_975
; %bb.974:                              ;   in Loop: Header=BB99_3 Depth=1
	ds_load_b32 v34, v3 offset:2336
	ds_load_b32 v35, v44
	s_wait_dscnt 0x0
	v_fma_f32 v29, -v34, v35, v29
.LBB99_975:                             ;   in Loop: Header=BB99_3 Depth=1
	s_or_b32 exec_lo, exec_lo, s40
	s_barrier_signal -1
	s_barrier_wait -1
	s_and_saveexec_b32 s40, s89
; %bb.976:                              ;   in Loop: Header=BB99_3 Depth=1
	v_xor_b32_e32 v34, 0x80000000, v29
	ds_store_b32 v44, v34
; %bb.977:                              ;   in Loop: Header=BB99_3 Depth=1
	s_or_b32 exec_lo, exec_lo, s40
	s_wait_dscnt 0x0
	s_barrier_signal -1
	s_barrier_wait -1
	s_barrier_signal -1
	s_barrier_wait -1
	s_and_saveexec_b32 s40, s2
; %bb.978:                              ;   in Loop: Header=BB99_3 Depth=1
	ds_store_b32 v49, v29 offset:2848
; %bb.979:                              ;   in Loop: Header=BB99_3 Depth=1
	s_or_b32 exec_lo, exec_lo, s40
	s_wait_dscnt 0x0
	s_barrier_signal -1
	s_barrier_wait -1
	s_barrier_signal -1
	s_barrier_wait -1
	s_and_saveexec_b32 s40, s90
	s_cbranch_execz .LBB99_981
; %bb.980:                              ;   in Loop: Header=BB99_3 Depth=1
	ds_load_b32 v29, v41 offset:2592
	s_wait_dscnt 0x0
	ds_store_b32 v40, v29 offset:2088
	ds_load_b32 v29, v41 offset:2596
	s_wait_dscnt 0x0
	ds_store_b32 v40, v29 offset:2344
.LBB99_981:                             ;   in Loop: Header=BB99_3 Depth=1
	s_or_b32 exec_lo, exec_lo, s40
	s_wait_dscnt 0x0
	s_barrier_signal -1
	s_barrier_wait -1
	s_and_saveexec_b32 s40, s11
	s_cbranch_execz .LBB99_983
; %bb.982:                              ;   in Loop: Header=BB99_3 Depth=1
	ds_load_b32 v29, v3 offset:2336
	ds_store_b32 v3, v28 offset:2340
	s_wait_dscnt 0x1
	ds_store_b64 v3, v[28:29] offset:2080
.LBB99_983:                             ;   in Loop: Header=BB99_3 Depth=1
	s_or_b32 exec_lo, exec_lo, s40
	v_mov_b32_e32 v29, 0
	s_wait_dscnt 0x0
	s_barrier_signal -1
	s_barrier_wait -1
	global_wb scope:SCOPE_DEV
	s_wait_storecnt 0x0
	global_inv scope:SCOPE_DEV
	s_and_saveexec_b32 s40, s5
	s_cbranch_execz .LBB99_993
; %bb.984:                              ;   in Loop: Header=BB99_3 Depth=1
	ds_load_b32 v29, v56 offset:2048
	ds_load_b32 v34, v59 offset:3872
	s_wait_dscnt 0x0
	v_fma_f32 v29, v29, v34, 0
	s_and_saveexec_b32 s41, s15
	s_cbranch_execnz .LBB99_1217
; %bb.985:                              ;   in Loop: Header=BB99_3 Depth=1
	s_or_b32 exec_lo, exec_lo, s41
	s_and_saveexec_b32 s41, s16
	s_cbranch_execnz .LBB99_1218
.LBB99_986:                             ;   in Loop: Header=BB99_3 Depth=1
	s_or_b32 exec_lo, exec_lo, s41
	s_and_saveexec_b32 s41, s17
	s_cbranch_execnz .LBB99_1219
.LBB99_987:                             ;   in Loop: Header=BB99_3 Depth=1
	s_or_b32 exec_lo, exec_lo, s41
	s_and_saveexec_b32 s41, s18
	s_cbranch_execnz .LBB99_1220
.LBB99_988:                             ;   in Loop: Header=BB99_3 Depth=1
	s_or_b32 exec_lo, exec_lo, s41
	s_and_saveexec_b32 s41, s19
	s_cbranch_execnz .LBB99_1221
.LBB99_989:                             ;   in Loop: Header=BB99_3 Depth=1
	s_or_b32 exec_lo, exec_lo, s41
	s_and_saveexec_b32 s41, s4
	s_cbranch_execnz .LBB99_1222
.LBB99_990:                             ;   in Loop: Header=BB99_3 Depth=1
	s_or_b32 exec_lo, exec_lo, s41
	s_and_saveexec_b32 s41, s14
	s_cbranch_execz .LBB99_992
.LBB99_991:                             ;   in Loop: Header=BB99_3 Depth=1
	ds_load_b32 v34, v42 offset:3840
	ds_load_b32 v35, v3 offset:3900
	s_wait_dscnt 0x0
	v_fmac_f32_e32 v29, v34, v35
.LBB99_992:                             ;   in Loop: Header=BB99_3 Depth=1
	s_or_b32 exec_lo, exec_lo, s41
.LBB99_993:                             ;   in Loop: Header=BB99_3 Depth=1
	s_delay_alu instid0(SALU_CYCLE_1)
	s_or_b32 exec_lo, exec_lo, s40
	s_and_saveexec_b32 s40, s98
; %bb.994:                              ;   in Loop: Header=BB99_3 Depth=1
	s_delay_alu instid0(VALU_DEP_1)
	v_xor_b32_e32 v34, 0x80000000, v29
	ds_store_b32 v57, v34
; %bb.995:                              ;   in Loop: Header=BB99_3 Depth=1
	s_or_b32 exec_lo, exec_lo, s40
	s_wait_loadcnt_dscnt 0x0
	s_barrier_signal -1
	s_barrier_wait -1
	s_and_saveexec_b32 s40, s99
	s_cbranch_execz .LBB99_997
; %bb.996:                              ;   in Loop: Header=BB99_3 Depth=1
	ds_load_b32 v34, v56 offset:1792
	ds_load_b32 v35, v57
	s_wait_dscnt 0x0
	v_fma_f32 v29, -v34, v35, v29
.LBB99_997:                             ;   in Loop: Header=BB99_3 Depth=1
	s_or_b32 exec_lo, exec_lo, s40
	s_barrier_signal -1
	s_barrier_wait -1
	s_and_saveexec_b32 s40, s100
; %bb.998:                              ;   in Loop: Header=BB99_3 Depth=1
	v_xor_b32_e32 v34, 0x80000000, v29
	ds_store_b32 v57, v34
; %bb.999:                              ;   in Loop: Header=BB99_3 Depth=1
	s_or_b32 exec_lo, exec_lo, s40
	s_wait_dscnt 0x0
	s_barrier_signal -1
	s_barrier_wait -1
	s_and_saveexec_b32 s40, s101
	s_cbranch_execz .LBB99_1001
; %bb.1000:                             ;   in Loop: Header=BB99_3 Depth=1
	ds_load_b32 v34, v56 offset:1536
	ds_load_b32 v35, v57
	s_wait_dscnt 0x0
	v_fma_f32 v29, -v34, v35, v29
.LBB99_1001:                            ;   in Loop: Header=BB99_3 Depth=1
	s_or_b32 exec_lo, exec_lo, s40
	s_barrier_signal -1
	s_barrier_wait -1
	s_and_saveexec_b32 s40, s102
; %bb.1002:                             ;   in Loop: Header=BB99_3 Depth=1
	v_xor_b32_e32 v34, 0x80000000, v29
	ds_store_b32 v57, v34
; %bb.1003:                             ;   in Loop: Header=BB99_3 Depth=1
	s_or_b32 exec_lo, exec_lo, s40
	s_wait_dscnt 0x0
	s_barrier_signal -1
	s_barrier_wait -1
	s_and_saveexec_b32 s40, s103
	s_cbranch_execz .LBB99_1005
; %bb.1004:                             ;   in Loop: Header=BB99_3 Depth=1
	ds_load_b32 v34, v56 offset:1280
	ds_load_b32 v35, v57
	s_wait_dscnt 0x0
	v_fma_f32 v29, -v34, v35, v29
.LBB99_1005:                            ;   in Loop: Header=BB99_3 Depth=1
	s_or_b32 exec_lo, exec_lo, s40
	s_barrier_signal -1
	s_barrier_wait -1
	s_and_saveexec_b32 s40, s104
; %bb.1006:                             ;   in Loop: Header=BB99_3 Depth=1
	v_xor_b32_e32 v34, 0x80000000, v29
	ds_store_b32 v57, v34
; %bb.1007:                             ;   in Loop: Header=BB99_3 Depth=1
	s_or_b32 exec_lo, exec_lo, s40
	s_wait_dscnt 0x0
	s_barrier_signal -1
	s_barrier_wait -1
	s_and_saveexec_b32 s40, vcc_hi
	s_cbranch_execz .LBB99_1009
; %bb.1008:                             ;   in Loop: Header=BB99_3 Depth=1
	ds_load_b32 v34, v56 offset:1024
	ds_load_b32 v35, v57
	s_wait_dscnt 0x0
	v_fma_f32 v29, -v34, v35, v29
.LBB99_1009:                            ;   in Loop: Header=BB99_3 Depth=1
	s_or_b32 exec_lo, exec_lo, s40
	s_barrier_signal -1
	s_barrier_wait -1
	s_and_saveexec_b32 s40, s31
; %bb.1010:                             ;   in Loop: Header=BB99_3 Depth=1
	v_xor_b32_e32 v34, 0x80000000, v29
	ds_store_b32 v57, v34
; %bb.1011:                             ;   in Loop: Header=BB99_3 Depth=1
	s_or_b32 exec_lo, exec_lo, s40
	s_wait_dscnt 0x0
	s_barrier_signal -1
	s_barrier_wait -1
	s_and_saveexec_b32 s40, s33
	s_cbranch_execz .LBB99_1013
; %bb.1012:                             ;   in Loop: Header=BB99_3 Depth=1
	ds_load_b32 v34, v56 offset:768
	ds_load_b32 v35, v57
	s_wait_dscnt 0x0
	v_fma_f32 v29, -v34, v35, v29
.LBB99_1013:                            ;   in Loop: Header=BB99_3 Depth=1
	s_or_b32 exec_lo, exec_lo, s40
	s_barrier_signal -1
	s_barrier_wait -1
	s_and_saveexec_b32 s40, s34
; %bb.1014:                             ;   in Loop: Header=BB99_3 Depth=1
	v_xor_b32_e32 v34, 0x80000000, v29
	ds_store_b32 v57, v34
; %bb.1015:                             ;   in Loop: Header=BB99_3 Depth=1
	s_or_b32 exec_lo, exec_lo, s40
	s_wait_dscnt 0x0
	s_barrier_signal -1
	s_barrier_wait -1
	s_and_saveexec_b32 s40, s35
	s_cbranch_execz .LBB99_1017
; %bb.1016:                             ;   in Loop: Header=BB99_3 Depth=1
	ds_load_b32 v34, v56 offset:512
	ds_load_b32 v35, v57
	s_wait_dscnt 0x0
	v_fma_f32 v29, -v34, v35, v29
.LBB99_1017:                            ;   in Loop: Header=BB99_3 Depth=1
	s_or_b32 exec_lo, exec_lo, s40
	s_barrier_signal -1
	s_barrier_wait -1
	s_and_saveexec_b32 s40, s36
; %bb.1018:                             ;   in Loop: Header=BB99_3 Depth=1
	v_xor_b32_e32 v34, 0x80000000, v29
	ds_store_b32 v57, v34
; %bb.1019:                             ;   in Loop: Header=BB99_3 Depth=1
	s_or_b32 exec_lo, exec_lo, s40
	s_wait_dscnt 0x0
	s_barrier_signal -1
	s_barrier_wait -1
	s_and_saveexec_b32 s40, s37
	s_cbranch_execz .LBB99_1021
; %bb.1020:                             ;   in Loop: Header=BB99_3 Depth=1
	ds_load_b32 v34, v3 offset:256
	ds_load_b32 v35, v57
	s_wait_dscnt 0x0
	v_fma_f32 v29, -v34, v35, v29
.LBB99_1021:                            ;   in Loop: Header=BB99_3 Depth=1
	s_or_b32 exec_lo, exec_lo, s40
	s_barrier_signal -1
	s_barrier_wait -1
	s_and_saveexec_b32 s40, s37
; %bb.1022:                             ;   in Loop: Header=BB99_3 Depth=1
	v_xor_b32_e32 v34, 0x80000000, v29
	ds_store_b32 v57, v34
; %bb.1023:                             ;   in Loop: Header=BB99_3 Depth=1
	s_or_b32 exec_lo, exec_lo, s40
	s_wait_dscnt 0x0
	s_barrier_signal -1
	s_barrier_wait -1
	s_barrier_signal -1
	s_barrier_wait -1
	s_and_saveexec_b32 s40, s5
; %bb.1024:                             ;   in Loop: Header=BB99_3 Depth=1
	ds_store_b32 v60, v29 offset:3840
; %bb.1025:                             ;   in Loop: Header=BB99_3 Depth=1
	s_or_b32 exec_lo, exec_lo, s40
	s_wait_dscnt 0x0
	s_barrier_signal -1
	s_barrier_wait -1
	s_barrier_signal -1
	s_barrier_wait -1
	s_and_saveexec_b32 s40, s38
	s_cbranch_execz .LBB99_1027
; %bb.1026:                             ;   in Loop: Header=BB99_3 Depth=1
	ds_load_b32 v29, v43 offset:2048
	s_wait_dscnt 0x0
	ds_store_b32 v45, v29 offset:32
	ds_load_b32 v29, v43 offset:2052
	s_wait_dscnt 0x0
	ds_store_b32 v45, v29 offset:288
	;; [unrolled: 3-line block ×8, first 2 shown]
.LBB99_1027:                            ;   in Loop: Header=BB99_3 Depth=1
	s_or_b32 exec_lo, exec_lo, s40
	s_wait_dscnt 0x0
	s_barrier_signal -1
	s_barrier_wait -1
	s_and_saveexec_b32 s40, s11
	s_cbranch_execz .LBB99_1029
; %bb.1028:                             ;   in Loop: Header=BB99_3 Depth=1
	ds_load_b32 v29, v3 offset:1816
	ds_store_b32 v3, v28 offset:1820
	s_wait_dscnt 0x1
	ds_store_b64 v3, v[28:29] offset:1560
.LBB99_1029:                            ;   in Loop: Header=BB99_3 Depth=1
	s_or_b32 exec_lo, exec_lo, s40
	v_mov_b32_e32 v29, 0
	s_wait_dscnt 0x0
	s_barrier_signal -1
	s_barrier_wait -1
	global_wb scope:SCOPE_DEV
	s_wait_storecnt 0x0
	global_inv scope:SCOPE_DEV
	s_and_saveexec_b32 s40, s2
	s_cbranch_execz .LBB99_1033
; %bb.1030:                             ;   in Loop: Header=BB99_3 Depth=1
	ds_load_b32 v29, v46 offset:1552
	ds_load_b32 v34, v48 offset:1816
	s_wait_dscnt 0x0
	v_fma_f32 v29, v29, v34, 0
	s_and_saveexec_b32 s41, s12
	s_cbranch_execz .LBB99_1032
; %bb.1031:                             ;   in Loop: Header=BB99_3 Depth=1
	ds_load_b32 v34, v45 offset:1808
	ds_load_b32 v35, v3 offset:1820
	s_wait_dscnt 0x0
	v_fmac_f32_e32 v29, v34, v35
.LBB99_1032:                            ;   in Loop: Header=BB99_3 Depth=1
	s_or_b32 exec_lo, exec_lo, s41
.LBB99_1033:                            ;   in Loop: Header=BB99_3 Depth=1
	s_delay_alu instid0(SALU_CYCLE_1)
	s_or_b32 exec_lo, exec_lo, s40
	s_and_saveexec_b32 s40, s88
; %bb.1034:                             ;   in Loop: Header=BB99_3 Depth=1
	s_delay_alu instid0(VALU_DEP_1)
	v_xor_b32_e32 v34, 0x80000000, v29
	ds_store_b32 v44, v34
; %bb.1035:                             ;   in Loop: Header=BB99_3 Depth=1
	s_or_b32 exec_lo, exec_lo, s40
	s_wait_loadcnt_dscnt 0x0
	s_barrier_signal -1
	s_barrier_wait -1
	s_and_saveexec_b32 s40, s89
	s_cbranch_execz .LBB99_1037
; %bb.1036:                             ;   in Loop: Header=BB99_3 Depth=1
	ds_load_b32 v34, v3 offset:1296
	ds_load_b32 v35, v44
	s_wait_dscnt 0x0
	v_fma_f32 v29, -v34, v35, v29
.LBB99_1037:                            ;   in Loop: Header=BB99_3 Depth=1
	s_or_b32 exec_lo, exec_lo, s40
	s_barrier_signal -1
	s_barrier_wait -1
	s_and_saveexec_b32 s40, s89
; %bb.1038:                             ;   in Loop: Header=BB99_3 Depth=1
	v_xor_b32_e32 v34, 0x80000000, v29
	ds_store_b32 v44, v34
; %bb.1039:                             ;   in Loop: Header=BB99_3 Depth=1
	s_or_b32 exec_lo, exec_lo, s40
	s_wait_dscnt 0x0
	s_barrier_signal -1
	s_barrier_wait -1
	s_barrier_signal -1
	s_barrier_wait -1
	s_and_saveexec_b32 s40, s2
; %bb.1040:                             ;   in Loop: Header=BB99_3 Depth=1
	ds_store_b32 v49, v29 offset:1808
; %bb.1041:                             ;   in Loop: Header=BB99_3 Depth=1
	s_or_b32 exec_lo, exec_lo, s40
	s_wait_dscnt 0x0
	s_barrier_signal -1
	s_barrier_wait -1
	s_barrier_signal -1
	s_barrier_wait -1
	s_and_saveexec_b32 s40, s90
	s_cbranch_execz .LBB99_1043
; %bb.1042:                             ;   in Loop: Header=BB99_3 Depth=1
	ds_load_b32 v29, v47 offset:1552
	s_wait_dscnt 0x0
	ds_store_b32 v45, v29 offset:1048
	ds_load_b32 v29, v47 offset:1556
	s_wait_dscnt 0x0
	ds_store_b32 v45, v29 offset:1304
.LBB99_1043:                            ;   in Loop: Header=BB99_3 Depth=1
	s_or_b32 exec_lo, exec_lo, s40
	s_wait_dscnt 0x0
	s_barrier_signal -1
	s_barrier_wait -1
	s_and_saveexec_b32 s40, s11
	s_cbranch_execz .LBB99_1045
; %bb.1044:                             ;   in Loop: Header=BB99_3 Depth=1
	ds_load_b32 v29, v3 offset:1296
	ds_store_b32 v3, v28 offset:1300
	s_wait_dscnt 0x1
	ds_store_b64 v3, v[28:29] offset:1040
.LBB99_1045:                            ;   in Loop: Header=BB99_3 Depth=1
	s_or_b32 exec_lo, exec_lo, s40
	v_mov_b32_e32 v29, 0
	s_wait_dscnt 0x0
	s_barrier_signal -1
	s_barrier_wait -1
	global_wb scope:SCOPE_DEV
	s_wait_storecnt 0x0
	global_inv scope:SCOPE_DEV
	s_and_saveexec_b32 s40, s4
	s_cbranch_execz .LBB99_1051
; %bb.1046:                             ;   in Loop: Header=BB99_3 Depth=1
	ds_load_b32 v29, v52 offset:1024
	ds_load_b32 v34, v53 offset:1808
	s_wait_dscnt 0x0
	v_fma_f32 v29, v29, v34, 0
	s_and_saveexec_b32 s41, s13
	s_cbranch_execnz .LBB99_1223
; %bb.1047:                             ;   in Loop: Header=BB99_3 Depth=1
	s_or_b32 exec_lo, exec_lo, s41
	s_and_saveexec_b32 s41, s14
	s_cbranch_execnz .LBB99_1224
.LBB99_1048:                            ;   in Loop: Header=BB99_3 Depth=1
	s_or_b32 exec_lo, exec_lo, s41
	s_and_saveexec_b32 s41, s2
	s_cbranch_execz .LBB99_1050
.LBB99_1049:                            ;   in Loop: Header=BB99_3 Depth=1
	ds_load_b32 v34, v51 offset:1792
	ds_load_b32 v35, v3 offset:1820
	s_wait_dscnt 0x0
	v_fmac_f32_e32 v29, v34, v35
.LBB99_1050:                            ;   in Loop: Header=BB99_3 Depth=1
	s_or_b32 exec_lo, exec_lo, s41
.LBB99_1051:                            ;   in Loop: Header=BB99_3 Depth=1
	s_delay_alu instid0(SALU_CYCLE_1)
	s_or_b32 exec_lo, exec_lo, s40
	s_and_saveexec_b32 s40, s91
; %bb.1052:                             ;   in Loop: Header=BB99_3 Depth=1
	s_delay_alu instid0(VALU_DEP_1)
	v_xor_b32_e32 v34, 0x80000000, v29
	ds_store_b32 v50, v34
; %bb.1053:                             ;   in Loop: Header=BB99_3 Depth=1
	s_or_b32 exec_lo, exec_lo, s40
	s_wait_loadcnt_dscnt 0x0
	s_barrier_signal -1
	s_barrier_wait -1
	s_and_saveexec_b32 s40, s92
	s_cbranch_execz .LBB99_1055
; %bb.1054:                             ;   in Loop: Header=BB99_3 Depth=1
	ds_load_b32 v34, v52 offset:768
	ds_load_b32 v35, v50
	s_wait_dscnt 0x0
	v_fma_f32 v29, -v34, v35, v29
.LBB99_1055:                            ;   in Loop: Header=BB99_3 Depth=1
	s_or_b32 exec_lo, exec_lo, s40
	s_barrier_signal -1
	s_barrier_wait -1
	s_and_saveexec_b32 s40, s93
; %bb.1056:                             ;   in Loop: Header=BB99_3 Depth=1
	v_xor_b32_e32 v34, 0x80000000, v29
	ds_store_b32 v50, v34
; %bb.1057:                             ;   in Loop: Header=BB99_3 Depth=1
	s_or_b32 exec_lo, exec_lo, s40
	s_wait_dscnt 0x0
	s_barrier_signal -1
	s_barrier_wait -1
	s_and_saveexec_b32 s40, s94
	s_cbranch_execz .LBB99_1059
; %bb.1058:                             ;   in Loop: Header=BB99_3 Depth=1
	ds_load_b32 v34, v52 offset:512
	ds_load_b32 v35, v50
	s_wait_dscnt 0x0
	v_fma_f32 v29, -v34, v35, v29
.LBB99_1059:                            ;   in Loop: Header=BB99_3 Depth=1
	s_or_b32 exec_lo, exec_lo, s40
	s_barrier_signal -1
	s_barrier_wait -1
	s_and_saveexec_b32 s40, s95
; %bb.1060:                             ;   in Loop: Header=BB99_3 Depth=1
	v_xor_b32_e32 v34, 0x80000000, v29
	ds_store_b32 v50, v34
; %bb.1061:                             ;   in Loop: Header=BB99_3 Depth=1
	s_or_b32 exec_lo, exec_lo, s40
	s_wait_dscnt 0x0
	;; [unrolled: 20-line block ×3, first 2 shown]
	s_barrier_signal -1
	s_barrier_wait -1
	s_barrier_signal -1
	s_barrier_wait -1
	s_and_saveexec_b32 s40, s4
; %bb.1066:                             ;   in Loop: Header=BB99_3 Depth=1
	ds_store_b32 v55, v29 offset:1792
; %bb.1067:                             ;   in Loop: Header=BB99_3 Depth=1
	s_or_b32 exec_lo, exec_lo, s40
	s_wait_dscnt 0x0
	s_barrier_signal -1
	s_barrier_wait -1
	s_barrier_signal -1
	s_barrier_wait -1
	s_and_saveexec_b32 s40, s97
	s_cbranch_execz .LBB99_1069
; %bb.1068:                             ;   in Loop: Header=BB99_3 Depth=1
	ds_load_b32 v29, v54 offset:1024
	s_wait_dscnt 0x0
	ds_store_b32 v58, v29 offset:16
	ds_load_b32 v29, v54 offset:1028
	s_wait_dscnt 0x0
	ds_store_b32 v58, v29 offset:272
	;; [unrolled: 3-line block ×4, first 2 shown]
.LBB99_1069:                            ;   in Loop: Header=BB99_3 Depth=1
	s_or_b32 exec_lo, exec_lo, s40
	s_wait_dscnt 0x0
	s_barrier_signal -1
	s_barrier_wait -1
	s_and_saveexec_b32 s40, s11
	s_cbranch_execz .LBB99_1071
; %bb.1070:                             ;   in Loop: Header=BB99_3 Depth=1
	ds_load_b32 v29, v3 offset:776
	ds_store_b32 v3, v28 offset:780
	s_wait_dscnt 0x1
	ds_store_b64 v3, v[28:29] offset:520
.LBB99_1071:                            ;   in Loop: Header=BB99_3 Depth=1
	s_or_b32 exec_lo, exec_lo, s40
	v_mov_b32_e32 v29, 0
	s_wait_dscnt 0x0
	s_barrier_signal -1
	s_barrier_wait -1
	global_wb scope:SCOPE_DEV
	s_wait_storecnt 0x0
	global_inv scope:SCOPE_DEV
	s_and_saveexec_b32 s40, s2
	s_cbranch_execz .LBB99_1075
; %bb.1072:                             ;   in Loop: Header=BB99_3 Depth=1
	ds_load_b32 v29, v46 offset:512
	ds_load_b32 v34, v48 offset:776
	s_wait_dscnt 0x0
	v_fma_f32 v29, v29, v34, 0
	s_and_saveexec_b32 s41, s12
	s_cbranch_execz .LBB99_1074
; %bb.1073:                             ;   in Loop: Header=BB99_3 Depth=1
	ds_load_b32 v34, v58 offset:768
	ds_load_b32 v35, v3 offset:780
	s_wait_dscnt 0x0
	v_fmac_f32_e32 v29, v34, v35
.LBB99_1074:                            ;   in Loop: Header=BB99_3 Depth=1
	s_or_b32 exec_lo, exec_lo, s41
.LBB99_1075:                            ;   in Loop: Header=BB99_3 Depth=1
	s_delay_alu instid0(SALU_CYCLE_1)
	s_or_b32 exec_lo, exec_lo, s40
	s_and_saveexec_b32 s40, s88
; %bb.1076:                             ;   in Loop: Header=BB99_3 Depth=1
	s_delay_alu instid0(VALU_DEP_1)
	v_xor_b32_e32 v34, 0x80000000, v29
	ds_store_b32 v44, v34
; %bb.1077:                             ;   in Loop: Header=BB99_3 Depth=1
	s_or_b32 exec_lo, exec_lo, s40
	s_wait_loadcnt_dscnt 0x0
	s_barrier_signal -1
	s_barrier_wait -1
	s_and_saveexec_b32 s40, s89
	s_cbranch_execz .LBB99_1079
; %bb.1078:                             ;   in Loop: Header=BB99_3 Depth=1
	ds_load_b32 v34, v3 offset:256
	ds_load_b32 v35, v44
	s_wait_dscnt 0x0
	v_fma_f32 v29, -v34, v35, v29
.LBB99_1079:                            ;   in Loop: Header=BB99_3 Depth=1
	s_or_b32 exec_lo, exec_lo, s40
	s_barrier_signal -1
	s_barrier_wait -1
	s_and_saveexec_b32 s40, s89
; %bb.1080:                             ;   in Loop: Header=BB99_3 Depth=1
	v_xor_b32_e32 v34, 0x80000000, v29
	ds_store_b32 v44, v34
; %bb.1081:                             ;   in Loop: Header=BB99_3 Depth=1
	s_or_b32 exec_lo, exec_lo, s40
	s_wait_dscnt 0x0
	s_barrier_signal -1
	s_barrier_wait -1
	s_barrier_signal -1
	s_barrier_wait -1
	s_and_saveexec_b32 s40, s2
; %bb.1082:                             ;   in Loop: Header=BB99_3 Depth=1
	ds_store_b32 v49, v29 offset:768
; %bb.1083:                             ;   in Loop: Header=BB99_3 Depth=1
	s_or_b32 exec_lo, exec_lo, s40
	s_wait_dscnt 0x0
	s_barrier_signal -1
	s_barrier_wait -1
	s_barrier_signal -1
	s_barrier_wait -1
	s_and_saveexec_b32 s40, s90
	s_cbranch_execz .LBB99_1085
; %bb.1084:                             ;   in Loop: Header=BB99_3 Depth=1
	ds_load_b32 v29, v61 offset:512
	s_wait_dscnt 0x0
	ds_store_b32 v58, v29 offset:8
	ds_load_b32 v29, v61 offset:516
	s_wait_dscnt 0x0
	ds_store_b32 v58, v29 offset:264
.LBB99_1085:                            ;   in Loop: Header=BB99_3 Depth=1
	s_or_b32 exec_lo, exec_lo, s40
	s_wait_dscnt 0x0
	s_barrier_signal -1
	s_barrier_wait -1
	s_and_saveexec_b32 s40, s11
	s_cbranch_execz .LBB99_1087
; %bb.1086:                             ;   in Loop: Header=BB99_3 Depth=1
	ds_load_b32 v29, v3 offset:256
	ds_store_b32 v3, v28 offset:260
	s_wait_dscnt 0x1
	ds_store_b64 v3, v[28:29]
.LBB99_1087:                            ;   in Loop: Header=BB99_3 Depth=1
	s_or_b32 exec_lo, exec_lo, s40
.LBB99_1088:                            ;   in Loop: Header=BB99_3 Depth=1
	v_add_nc_u64_e32 v[32:33], s[68:69], v[32:33]
	v_mov_b32_e32 v29, 0
	s_wait_dscnt 0x0
	s_barrier_signal -1
	s_barrier_wait -1
	s_and_saveexec_b32 s40, s85
	s_cbranch_execz .LBB99_1090
; %bb.1089:                             ;   in Loop: Header=BB99_3 Depth=1
	v_lshl_add_u64 v[34:35], v[0:1], 2, v[32:33]
	flat_load_b32 v29, v[34:35]
	s_wait_loadcnt_dscnt 0x0
	v_mul_f32_e64 v29, v29, -v2
.LBB99_1090:                            ;   in Loop: Header=BB99_3 Depth=1
	s_or_b32 exec_lo, exec_lo, s40
	s_delay_alu instid0(SALU_CYCLE_1)
	s_and_not1_b32 vcc_lo, exec_lo, s39
	s_cbranch_vccnz .LBB99_1116
; %bb.1091:                             ;   in Loop: Header=BB99_3 Depth=1
	v_mov_b32_e32 v36, -1
	s_lshl_b64 s[40:41], s[62:63], 2
	s_delay_alu instid0(SALU_CYCLE_1)
	s_add_nc_u64 s[80:81], s[76:77], s[40:41]
	s_mov_b32 s40, 0
	s_branch .LBB99_1094
.LBB99_1092:                            ;   in Loop: Header=BB99_1094 Depth=2
	s_wait_xcnt 0x0
	ds_load_b32 v34, v70 offset:192
	s_wait_loadcnt_dscnt 0x0
	v_fmac_f32_e32 v29, v2, v34
.LBB99_1093:                            ;   in Loop: Header=BB99_1094 Depth=2
	s_or_b32 exec_lo, exec_lo, s41
	s_add_co_i32 s40, s40, 1
	s_delay_alu instid0(SALU_CYCLE_1)
	s_cmp_eq_u32 s40, s84
	s_cbranch_scc1 .LBB99_1116
.LBB99_1094:                            ;   Parent Loop BB99_3 Depth=1
                                        ; =>  This Loop Header: Depth=2
                                        ;       Child Loop BB99_1096 Depth 3
	v_cmp_gt_i32_e32 vcc_lo, s40, v36
	s_and_b32 s42, s55, vcc_lo
	s_delay_alu instid0(SALU_CYCLE_1)
	s_and_saveexec_b32 s41, s42
	s_cbranch_execz .LBB99_1097
; %bb.1095:                             ;   in Loop: Header=BB99_1094 Depth=2
	global_load_b32 v36, v3, s[80:81]
	s_wait_loadcnt 0x0
	v_cmp_le_i32_e32 vcc_lo, s40, v36
	s_cbranch_vccnz .LBB99_1097
.LBB99_1096:                            ;   Parent Loop BB99_3 Depth=1
                                        ;     Parent Loop BB99_1094 Depth=2
                                        ; =>    This Inner Loop Header: Depth=3
	global_wb scope:SCOPE_DEV
	s_wait_storecnt 0x0
	global_inv scope:SCOPE_DEV
	global_load_b32 v36, v3, s[80:81]
	s_wait_loadcnt 0x0
	v_cmp_gt_i32_e32 vcc_lo, s40, v36
	s_cbranch_vccnz .LBB99_1096
.LBB99_1097:                            ;   in Loop: Header=BB99_1094 Depth=2
	s_or_b32 exec_lo, exec_lo, s41
	s_lshl_b32 s61, s40, 6
	global_wb scope:SCOPE_DEV
	s_wait_storecnt 0x0
	global_inv scope:SCOPE_DEV
	s_wait_loadcnt 0x0
	s_barrier_signal -1
	s_barrier_wait -1
	s_and_saveexec_b32 s41, s56
	s_cbranch_execz .LBB99_1101
; %bb.1098:                             ;   in Loop: Header=BB99_1094 Depth=2
	v_dual_mov_b32 v34, 0 :: v_dual_bitop2_b32 v2, s61, v8 bitop3:0x54
	s_mov_b32 s42, exec_lo
	s_delay_alu instid0(VALU_DEP_1)
	v_cmpx_gt_i32_e64 s83, v2
	s_cbranch_execz .LBB99_1100
; %bb.1099:                             ;   in Loop: Header=BB99_1094 Depth=2
	v_mul_u64_e32 v[34:35], s[70:71], v[2:3]
	s_delay_alu instid0(VALU_DEP_1)
	v_lshl_add_u64 v[34:35], v[34:35], 2, v[32:33]
	flat_load_b32 v34, v[34:35]
.LBB99_1100:                            ;   in Loop: Header=BB99_1094 Depth=2
	s_wait_xcnt 0x0
	s_or_b32 exec_lo, exec_lo, s42
	s_wait_loadcnt_dscnt 0x0
	ds_store_b32 v71, v34
.LBB99_1101:                            ;   in Loop: Header=BB99_1094 Depth=2
	s_or_b32 exec_lo, exec_lo, s41
	v_add_nc_u32_e32 v2, s61, v6
	v_cmp_ne_u32_e32 vcc_lo, s40, v5
	s_wait_dscnt 0x0
	s_barrier_signal -1
	s_barrier_wait -1
	v_cmp_gt_i32_e64 s61, s83, v2
	v_lshl_add_u64 v[34:35], v[2:3], 2, v[30:31]
	v_cndmask_b32_e64 v37, 0, 1, vcc_lo
	s_and_b32 s42, s61, s0
	s_delay_alu instid0(SALU_CYCLE_1)
	s_and_saveexec_b32 s41, s42
	s_cbranch_execz .LBB99_1105
; %bb.1102:                             ;   in Loop: Header=BB99_1094 Depth=2
	v_mov_b32_e32 v86, v82
	s_and_not1_b32 vcc_lo, exec_lo, vcc_lo
	s_cbranch_vccnz .LBB99_1104
; %bb.1103:                             ;   in Loop: Header=BB99_1094 Depth=2
	flat_load_b32 v86, v[34:35]
.LBB99_1104:                            ;   in Loop: Header=BB99_1094 Depth=2
	ds_load_b32 v87, v70
	s_wait_loadcnt_dscnt 0x0
	v_fmac_f32_e32 v29, v86, v87
.LBB99_1105:                            ;   in Loop: Header=BB99_1094 Depth=2
	s_or_b32 exec_lo, exec_lo, s41
	v_add_nc_u32_e32 v86, 16, v2
	s_delay_alu instid0(VALU_DEP_1) | instskip(SKIP_1) | instid1(SALU_CYCLE_1)
	v_cmp_gt_i32_e32 vcc_lo, s83, v86
	s_and_b32 s42, vcc_lo, s0
	s_and_saveexec_b32 s41, s42
	s_cbranch_execz .LBB99_1109
; %bb.1106:                             ;   in Loop: Header=BB99_1094 Depth=2
	v_cmp_ne_u32_e32 vcc_lo, 1, v37
	v_mov_b32_e32 v86, v83
	s_cbranch_vccnz .LBB99_1108
; %bb.1107:                             ;   in Loop: Header=BB99_1094 Depth=2
	flat_load_b32 v86, v[34:35] offset:64
.LBB99_1108:                            ;   in Loop: Header=BB99_1094 Depth=2
	ds_load_b32 v87, v70 offset:64
	s_wait_loadcnt_dscnt 0x0
	v_fmac_f32_e32 v29, v86, v87
.LBB99_1109:                            ;   in Loop: Header=BB99_1094 Depth=2
	s_or_b32 exec_lo, exec_lo, s41
	v_add_nc_u32_e32 v86, 32, v2
	s_delay_alu instid0(VALU_DEP_1) | instskip(SKIP_1) | instid1(SALU_CYCLE_1)
	v_cmp_gt_i32_e32 vcc_lo, s83, v86
	s_and_b32 s42, vcc_lo, s0
	s_and_saveexec_b32 s41, s42
	s_cbranch_execz .LBB99_1113
; %bb.1110:                             ;   in Loop: Header=BB99_1094 Depth=2
	v_cmp_ne_u32_e32 vcc_lo, 1, v37
	v_mov_b32_e32 v86, v84
	s_cbranch_vccnz .LBB99_1112
; %bb.1111:                             ;   in Loop: Header=BB99_1094 Depth=2
	flat_load_b32 v86, v[34:35] offset:128
.LBB99_1112:                            ;   in Loop: Header=BB99_1094 Depth=2
	ds_load_b32 v87, v70 offset:128
	s_wait_loadcnt_dscnt 0x0
	v_fmac_f32_e32 v29, v86, v87
.LBB99_1113:                            ;   in Loop: Header=BB99_1094 Depth=2
	s_or_b32 exec_lo, exec_lo, s41
	v_add_nc_u32_e32 v2, 48, v2
	s_delay_alu instid0(VALU_DEP_1) | instskip(SKIP_1) | instid1(SALU_CYCLE_1)
	v_cmp_gt_i32_e32 vcc_lo, s83, v2
	s_and_b32 s42, vcc_lo, s0
	s_and_saveexec_b32 s41, s42
	s_cbranch_execz .LBB99_1093
; %bb.1114:                             ;   in Loop: Header=BB99_1094 Depth=2
	v_cmp_ne_u32_e32 vcc_lo, 1, v37
	v_mov_b32_e32 v2, v85
	s_cbranch_vccnz .LBB99_1092
; %bb.1115:                             ;   in Loop: Header=BB99_1094 Depth=2
	flat_load_b32 v2, v[34:35] offset:192
	s_branch .LBB99_1092
.LBB99_1116:                            ;   in Loop: Header=BB99_3 Depth=1
	ds_store_b32 v72, v29
	s_wait_dscnt 0x0
	s_barrier_signal -1
	s_barrier_wait -1
	s_and_saveexec_b32 s40, s3
	s_cbranch_execz .LBB99_1118
; %bb.1117:                             ;   in Loop: Header=BB99_3 Depth=1
	ds_load_2addr_stride64_b32 v[30:31], v73 offset0:1 offset1:2
	ds_load_2addr_stride64_b32 v[34:35], v73 offset0:3 offset1:4
	ds_load_2addr_stride64_b32 v[36:37], v73 offset0:5 offset1:6
	ds_load_2addr_stride64_b32 v[86:87], v73 offset0:7 offset1:8
	v_readlane_b32 s41, v89, 4
	s_wait_dscnt 0x3
	v_add_f32_e32 v2, v29, v30
	s_delay_alu instid0(VALU_DEP_1) | instskip(SKIP_3) | instid1(VALU_DEP_1)
	v_add_f32_e32 v2, v2, v31
	ds_load_2addr_stride64_b32 v[30:31], v73 offset0:9 offset1:10
	s_wait_dscnt 0x3
	v_add_f32_e32 v2, v2, v34
	v_add_f32_e32 v2, v2, v35
	ds_load_2addr_stride64_b32 v[34:35], v73 offset0:11 offset1:12
	s_wait_dscnt 0x3
	v_add_f32_e32 v2, v2, v36
	s_delay_alu instid0(VALU_DEP_1) | instskip(SKIP_4) | instid1(VALU_DEP_1)
	v_add_f32_e32 v2, v2, v37
	ds_load_2addr_stride64_b32 v[36:37], v73 offset0:13 offset1:14
	ds_load_b32 v29, v73 offset:3840
	s_wait_dscnt 0x4
	v_add_f32_e32 v2, v2, v86
	v_add_f32_e32 v2, v2, v87
	s_wait_dscnt 0x3
	s_delay_alu instid0(VALU_DEP_1) | instskip(NEXT) | instid1(VALU_DEP_1)
	v_add_f32_e32 v2, v2, v30
	v_add_f32_e32 v2, v2, v31
	s_wait_dscnt 0x2
	s_delay_alu instid0(VALU_DEP_1) | instskip(NEXT) | instid1(VALU_DEP_1)
	;; [unrolled: 4-line block ×4, first 2 shown]
	v_add_f32_e32 v2, v2, v29
	v_cndmask_b32_e64 v29, -v2, 0, s41
.LBB99_1118:                            ;   in Loop: Header=BB99_3 Depth=1
	s_or_b32 exec_lo, exec_lo, s40
	s_delay_alu instid0(SALU_CYCLE_1)
	s_and_not1_b32 vcc_lo, exec_lo, s87
	s_cbranch_vccnz .LBB99_1128
; %bb.1119:                             ;   in Loop: Header=BB99_3 Depth=1
	s_and_saveexec_b32 s40, s3
; %bb.1120:                             ;   in Loop: Header=BB99_3 Depth=1
	ds_store_b32 v75, v29
; %bb.1121:                             ;   in Loop: Header=BB99_3 Depth=1
	s_or_b32 exec_lo, exec_lo, s40
	v_mov_b32_e32 v2, 0
	s_wait_dscnt 0x0
	s_barrier_signal -1
	s_barrier_wait -1
	s_and_saveexec_b32 s40, s1
	s_cbranch_execnz .LBB99_1167
; %bb.1122:                             ;   in Loop: Header=BB99_3 Depth=1
	s_or_b32 exec_lo, exec_lo, s40
	s_and_saveexec_b32 s40, s8
	s_cbranch_execnz .LBB99_1168
.LBB99_1123:                            ;   in Loop: Header=BB99_3 Depth=1
	s_or_b32 exec_lo, exec_lo, s40
	s_and_saveexec_b32 s40, s9
	s_cbranch_execnz .LBB99_1169
.LBB99_1124:                            ;   in Loop: Header=BB99_3 Depth=1
	s_or_b32 exec_lo, exec_lo, s40
	s_and_saveexec_b32 s40, s10
	s_cbranch_execz .LBB99_1126
.LBB99_1125:                            ;   in Loop: Header=BB99_3 Depth=1
	ds_load_b32 v30, v74 offset:12288
	ds_load_b32 v31, v70 offset:192
	s_wait_dscnt 0x0
	v_fmac_f32_e32 v2, v30, v31
.LBB99_1126:                            ;   in Loop: Header=BB99_3 Depth=1
	s_or_b32 exec_lo, exec_lo, s40
	s_mov_b32 s40, 0
	s_mov_b32 s61, 0
	ds_store_b32 v72, v2
	s_wait_dscnt 0x0
	s_barrier_signal -1
	s_barrier_wait -1
                                        ; implicit-def: $vgpr30
	s_and_saveexec_b32 s80, s3
	s_cbranch_execz .LBB99_1170
; %bb.1127:                             ;   in Loop: Header=BB99_3 Depth=1
	ds_load_2addr_stride64_b32 v[30:31], v73 offset0:1 offset1:2
	ds_load_2addr_stride64_b32 v[34:35], v73 offset0:3 offset1:4
	;; [unrolled: 1-line block ×4, first 2 shown]
	s_mov_b32 s61, exec_lo
	s_wait_dscnt 0x3
	v_add_f32_e32 v2, v2, v30
	s_delay_alu instid0(VALU_DEP_1) | instskip(SKIP_3) | instid1(VALU_DEP_1)
	v_add_f32_e32 v2, v31, v2
	ds_load_2addr_stride64_b32 v[30:31], v73 offset0:9 offset1:10
	s_wait_dscnt 0x3
	v_add_f32_e32 v2, v34, v2
	v_add_f32_e32 v2, v35, v2
	ds_load_2addr_stride64_b32 v[34:35], v73 offset0:11 offset1:12
	s_wait_dscnt 0x3
	v_add_f32_e32 v2, v36, v2
	s_delay_alu instid0(VALU_DEP_1) | instskip(SKIP_1) | instid1(VALU_DEP_1)
	v_add_f32_e32 v2, v37, v2
	s_wait_dscnt 0x2
	v_add_f32_e32 v2, v86, v2
	ds_load_2addr_stride64_b32 v[36:37], v73 offset0:13 offset1:14
	ds_load_b32 v86, v73 offset:3840
	v_add_f32_e32 v2, v87, v2
	s_wait_dscnt 0x3
	s_delay_alu instid0(VALU_DEP_1) | instskip(NEXT) | instid1(VALU_DEP_1)
	v_add_f32_e32 v2, v30, v2
	v_add_f32_e32 v2, v31, v2
	s_wait_dscnt 0x2
	s_delay_alu instid0(VALU_DEP_1) | instskip(NEXT) | instid1(VALU_DEP_1)
	v_add_f32_e32 v2, v34, v2
	;; [unrolled: 4-line block ×3, first 2 shown]
	v_add_f32_e32 v2, v37, v2
	s_wait_dscnt 0x0
	s_delay_alu instid0(VALU_DEP_1) | instskip(SKIP_1) | instid1(SALU_CYCLE_1)
	v_add_f32_e32 v30, v86, v2
	s_or_b32 exec_lo, exec_lo, s80
	s_and_b32 vcc_lo, exec_lo, s40
	s_cbranch_vccnz .LBB99_1129
	s_branch .LBB99_1171
.LBB99_1128:                            ;   in Loop: Header=BB99_3 Depth=1
	s_mov_b32 s61, 0
                                        ; implicit-def: $vgpr30
	s_cbranch_execz .LBB99_1171
.LBB99_1129:                            ;   in Loop: Header=BB99_3 Depth=1
	v_dual_mov_b32 v2, v4 :: v_dual_mov_b32 v30, v81
	s_mov_b32 s40, 0
	s_branch .LBB99_1131
.LBB99_1130:                            ;   in Loop: Header=BB99_1131 Depth=2
	s_or_b32 exec_lo, exec_lo, s41
	v_add_nc_u32_e32 v30, 0x400, v30
	v_add_nc_u32_e32 v2, -4, v2
	s_add_co_i32 s40, s40, 4
	s_delay_alu instid0(SALU_CYCLE_1)
	s_cmp_lg_u32 s40, 64
	s_barrier_signal -1
	s_barrier_wait -1
	s_cbranch_scc0 .LBB99_1147
.LBB99_1131:                            ;   Parent Loop BB99_3 Depth=1
                                        ; =>  This Inner Loop Header: Depth=2
	s_delay_alu instid0(VALU_DEP_1) | instskip(SKIP_1) | instid1(SALU_CYCLE_1)
	v_cmp_eq_u32_e32 vcc_lo, 0, v2
	s_and_b32 s42, s3, vcc_lo
	s_and_saveexec_b32 s41, s42
; %bb.1132:                             ;   in Loop: Header=BB99_1131 Depth=2
	ds_store_b32 v3, v29 offset:20736
; %bb.1133:                             ;   in Loop: Header=BB99_1131 Depth=2
	s_or_b32 exec_lo, exec_lo, s41
	v_cmp_lt_u32_e32 vcc_lo, s40, v4
	s_wait_dscnt 0x0
	s_barrier_signal -1
	s_barrier_wait -1
	s_and_b32 s42, s3, vcc_lo
	s_delay_alu instid0(SALU_CYCLE_1)
	s_and_saveexec_b32 s41, s42
	s_cbranch_execz .LBB99_1135
; %bb.1134:                             ;   in Loop: Header=BB99_1131 Depth=2
	ds_load_b32 v31, v30
	ds_load_b32 v34, v3 offset:20736
	s_wait_dscnt 0x0
	v_fmac_f32_e32 v29, v31, v34
.LBB99_1135:                            ;   in Loop: Header=BB99_1131 Depth=2
	s_or_b32 exec_lo, exec_lo, s41
	s_or_b32 s41, s40, 1
	s_delay_alu instid0(SALU_CYCLE_1) | instskip(SKIP_3) | instid1(SALU_CYCLE_1)
	v_cmp_eq_u32_e32 vcc_lo, s41, v4
	s_barrier_signal -1
	s_barrier_wait -1
	s_and_b32 s80, s3, vcc_lo
	s_and_saveexec_b32 s42, s80
; %bb.1136:                             ;   in Loop: Header=BB99_1131 Depth=2
	ds_store_b32 v3, v29 offset:20736
; %bb.1137:                             ;   in Loop: Header=BB99_1131 Depth=2
	s_or_b32 exec_lo, exec_lo, s42
	v_cmp_lt_u32_e32 vcc_lo, s41, v4
	s_wait_dscnt 0x0
	s_barrier_signal -1
	s_barrier_wait -1
	s_and_b32 s42, s3, vcc_lo
	s_delay_alu instid0(SALU_CYCLE_1)
	s_and_saveexec_b32 s41, s42
	s_cbranch_execz .LBB99_1139
; %bb.1138:                             ;   in Loop: Header=BB99_1131 Depth=2
	ds_load_b32 v31, v30 offset:256
	ds_load_b32 v34, v3 offset:20736
	s_wait_dscnt 0x0
	v_fmac_f32_e32 v29, v31, v34
.LBB99_1139:                            ;   in Loop: Header=BB99_1131 Depth=2
	s_or_b32 exec_lo, exec_lo, s41
	s_or_b32 s41, s40, 2
	s_delay_alu instid0(SALU_CYCLE_1) | instskip(SKIP_3) | instid1(SALU_CYCLE_1)
	v_cmp_eq_u32_e32 vcc_lo, s41, v4
	s_barrier_signal -1
	s_barrier_wait -1
	s_and_b32 s80, s3, vcc_lo
	s_and_saveexec_b32 s42, s80
; %bb.1140:                             ;   in Loop: Header=BB99_1131 Depth=2
	ds_store_b32 v3, v29 offset:20736
; %bb.1141:                             ;   in Loop: Header=BB99_1131 Depth=2
	s_or_b32 exec_lo, exec_lo, s42
	v_cmp_lt_u32_e32 vcc_lo, s41, v4
	s_wait_dscnt 0x0
	s_barrier_signal -1
	s_barrier_wait -1
	s_and_b32 s42, s3, vcc_lo
	s_delay_alu instid0(SALU_CYCLE_1)
	s_and_saveexec_b32 s41, s42
	s_cbranch_execz .LBB99_1143
; %bb.1142:                             ;   in Loop: Header=BB99_1131 Depth=2
	ds_load_b32 v31, v30 offset:512
	ds_load_b32 v34, v3 offset:20736
	s_wait_dscnt 0x0
	v_fmac_f32_e32 v29, v31, v34
.LBB99_1143:                            ;   in Loop: Header=BB99_1131 Depth=2
	s_or_b32 exec_lo, exec_lo, s41
	s_or_b32 s41, s40, 3
	s_delay_alu instid0(SALU_CYCLE_1) | instskip(SKIP_3) | instid1(SALU_CYCLE_1)
	v_cmp_eq_u32_e32 vcc_lo, s41, v4
	s_barrier_signal -1
	s_barrier_wait -1
	s_and_b32 s80, s3, vcc_lo
	s_and_saveexec_b32 s42, s80
; %bb.1144:                             ;   in Loop: Header=BB99_1131 Depth=2
	ds_store_b32 v3, v29 offset:20736
; %bb.1145:                             ;   in Loop: Header=BB99_1131 Depth=2
	s_or_b32 exec_lo, exec_lo, s42
	v_cmp_lt_u32_e32 vcc_lo, s41, v4
	s_wait_dscnt 0x0
	s_barrier_signal -1
	s_barrier_wait -1
	s_and_b32 s42, s3, vcc_lo
	s_delay_alu instid0(SALU_CYCLE_1)
	s_and_saveexec_b32 s41, s42
	s_cbranch_execz .LBB99_1130
; %bb.1146:                             ;   in Loop: Header=BB99_1131 Depth=2
	ds_load_b32 v31, v30 offset:768
	ds_load_b32 v34, v3 offset:20736
	s_wait_dscnt 0x0
	v_fmac_f32_e32 v29, v31, v34
	s_branch .LBB99_1130
.LBB99_1147:                            ;   in Loop: Header=BB99_3 Depth=1
	s_and_b32 vcc_lo, exec_lo, s86
	s_mov_b32 s40, -1
	s_cbranch_vccz .LBB99_1149
; %bb.1148:                             ;   in Loop: Header=BB99_3 Depth=1
	s_and_not1_b32 s41, s61, exec_lo
	s_and_b32 s42, s3, exec_lo
	s_mov_b32 s40, 0
	s_or_b32 s61, s41, s42
.LBB99_1149:                            ;   in Loop: Header=BB99_3 Depth=1
	s_and_not1_b32 vcc_lo, exec_lo, s40
	s_cbranch_vccnz .LBB99_1151
; %bb.1150:                             ;   in Loop: Header=BB99_3 Depth=1
	v_readlane_b32 s41, v89, 5
	s_and_not1_b32 s40, s61, exec_lo
	s_and_b32 s41, s41, exec_lo
	s_delay_alu instid0(SALU_CYCLE_1)
	s_or_b32 s61, s40, s41
.LBB99_1151:                            ;   in Loop: Header=BB99_3 Depth=1
	v_mov_b64_e32 v[30:31], v[24:25]
	s_and_saveexec_b32 s40, s61
	s_cbranch_execnz .LBB99_1172
	s_branch .LBB99_1173
.LBB99_1152:                            ;   in Loop: Header=BB99_3 Depth=1
	s_mov_b32 s41, exec_lo
	v_readlane_b32 s42, v88, 16
	s_and_b32 s42, s41, s42
	s_delay_alu instid0(SALU_CYCLE_1)
	s_mov_b32 exec_lo, s42
; %bb.1153:                             ;   in Loop: Header=BB99_3 Depth=1
	ds_store_b32 v76, v3
; %bb.1154:                             ;   in Loop: Header=BB99_3 Depth=1
	s_or_b32 exec_lo, exec_lo, s41
	s_and_not1_saveexec_b32 s40, s40
	s_cbranch_execz .LBB99_16
.LBB99_1155:                            ;   in Loop: Header=BB99_3 Depth=1
	v_lshl_add_u64 v[36:37], v[12:13], 2, v[34:35]
	flat_load_b32 v29, v[36:37]
	s_wait_loadcnt_dscnt 0x0
	v_xor_b32_e32 v29, 0x80000000, v29
	ds_store_b32 v76, v29
	s_or_b32 exec_lo, exec_lo, s40
	s_and_saveexec_b32 s40, s8
	s_delay_alu instid0(SALU_CYCLE_1)
	s_xor_b32 s40, exec_lo, s40
	s_cbranch_execz .LBB99_17
.LBB99_1156:                            ;   in Loop: Header=BB99_3 Depth=1
	s_mov_b32 s41, exec_lo
	v_readlane_b32 s42, v88, 17
	s_and_b32 s42, s41, s42
	s_delay_alu instid0(SALU_CYCLE_1)
	s_mov_b32 exec_lo, s42
; %bb.1157:                             ;   in Loop: Header=BB99_3 Depth=1
	ds_store_b32 v77, v3
; %bb.1158:                             ;   in Loop: Header=BB99_3 Depth=1
	s_or_b32 exec_lo, exec_lo, s41
	s_and_not1_saveexec_b32 s40, s40
	s_cbranch_execz .LBB99_18
.LBB99_1159:                            ;   in Loop: Header=BB99_3 Depth=1
	v_lshl_add_u64 v[36:37], v[14:15], 2, v[34:35]
	flat_load_b32 v29, v[36:37]
	s_wait_loadcnt_dscnt 0x0
	v_xor_b32_e32 v29, 0x80000000, v29
	ds_store_b32 v77, v29
	s_or_b32 exec_lo, exec_lo, s40
	s_and_saveexec_b32 s40, s9
	s_delay_alu instid0(SALU_CYCLE_1)
	s_xor_b32 s40, exec_lo, s40
	s_cbranch_execz .LBB99_19
.LBB99_1160:                            ;   in Loop: Header=BB99_3 Depth=1
	s_mov_b32 s41, exec_lo
	v_readlane_b32 s42, v88, 18
	s_and_b32 s42, s41, s42
	s_delay_alu instid0(SALU_CYCLE_1)
	s_mov_b32 exec_lo, s42
; %bb.1161:                             ;   in Loop: Header=BB99_3 Depth=1
	ds_store_b32 v78, v3
; %bb.1162:                             ;   in Loop: Header=BB99_3 Depth=1
	s_or_b32 exec_lo, exec_lo, s41
	s_and_not1_saveexec_b32 s40, s40
	s_cbranch_execz .LBB99_20
.LBB99_1163:                            ;   in Loop: Header=BB99_3 Depth=1
	v_lshl_add_u64 v[36:37], v[16:17], 2, v[34:35]
	flat_load_b32 v29, v[36:37]
	s_wait_loadcnt_dscnt 0x0
	v_xor_b32_e32 v29, 0x80000000, v29
	ds_store_b32 v78, v29
	s_or_b32 exec_lo, exec_lo, s40
	s_and_saveexec_b32 s40, s10
	s_delay_alu instid0(SALU_CYCLE_1)
	s_xor_b32 s40, exec_lo, s40
	s_cbranch_execz .LBB99_21
.LBB99_1164:                            ;   in Loop: Header=BB99_3 Depth=1
	s_mov_b32 s41, exec_lo
	v_readlane_b32 s42, v88, 19
	s_and_b32 s42, s41, s42
	s_delay_alu instid0(SALU_CYCLE_1)
	s_mov_b32 exec_lo, s42
; %bb.1165:                             ;   in Loop: Header=BB99_3 Depth=1
	ds_store_b32 v79, v3
; %bb.1166:                             ;   in Loop: Header=BB99_3 Depth=1
	s_or_b32 exec_lo, exec_lo, s41
	s_and_not1_saveexec_b32 s40, s40
	s_cbranch_execnz .LBB99_22
	s_branch .LBB99_23
.LBB99_1167:                            ;   in Loop: Header=BB99_3 Depth=1
	ds_load_b32 v2, v74
	ds_load_b32 v30, v70
	s_wait_dscnt 0x0
	v_fma_f32 v2, v2, v30, 0
	s_or_b32 exec_lo, exec_lo, s40
	s_and_saveexec_b32 s40, s8
	s_cbranch_execz .LBB99_1123
.LBB99_1168:                            ;   in Loop: Header=BB99_3 Depth=1
	ds_load_b32 v30, v74 offset:4096
	ds_load_b32 v31, v70 offset:64
	s_wait_dscnt 0x0
	v_fmac_f32_e32 v2, v30, v31
	s_or_b32 exec_lo, exec_lo, s40
	s_and_saveexec_b32 s40, s9
	s_cbranch_execz .LBB99_1124
.LBB99_1169:                            ;   in Loop: Header=BB99_3 Depth=1
	ds_load_b32 v30, v74 offset:8192
	ds_load_b32 v31, v70 offset:128
	s_wait_dscnt 0x0
	v_fmac_f32_e32 v2, v30, v31
	s_or_b32 exec_lo, exec_lo, s40
	s_and_saveexec_b32 s40, s10
	s_cbranch_execnz .LBB99_1125
	s_branch .LBB99_1126
.LBB99_1170:                            ;   in Loop: Header=BB99_3 Depth=1
	s_or_b32 exec_lo, exec_lo, s80
	s_delay_alu instid0(SALU_CYCLE_1)
	s_and_b32 vcc_lo, exec_lo, s40
	s_cbranch_vccnz .LBB99_1129
.LBB99_1171:                            ;   in Loop: Header=BB99_3 Depth=1
	v_mov_b32_e32 v29, v30
	v_mov_b64_e32 v[30:31], v[22:23]
	s_and_saveexec_b32 s40, s61
	s_cbranch_execz .LBB99_1173
.LBB99_1172:                            ;   in Loop: Header=BB99_3 Depth=1
	s_delay_alu instid0(VALU_DEP_1)
	v_lshl_add_u64 v[30:31], v[30:31], 2, v[32:33]
	flat_store_b32 v[30:31], v29
.LBB99_1173:                            ;   in Loop: Header=BB99_3 Depth=1
	s_wait_xcnt 0x0
	s_or_b32 exec_lo, exec_lo, s40
	global_wb scope:SCOPE_DEV
	s_wait_storecnt_dscnt 0x0
	global_inv scope:SCOPE_DEV
	s_wait_loadcnt 0x0
	s_barrier_signal -1
	s_barrier_wait -1
	s_and_saveexec_b32 s40, s55
	s_cbranch_execz .LBB99_2
; %bb.1174:                             ;   in Loop: Header=BB99_3 Depth=1
	s_lshl_b64 s[80:81], s[62:63], 2
	s_delay_alu instid0(SALU_CYCLE_1)
	s_add_nc_u64 s[80:81], s[76:77], s[80:81]
	global_load_b32 v2, v3, s[80:81]
	s_wait_loadcnt 0x0
	v_add_nc_u32_e32 v2, 1, v2
	global_store_b32 v3, v2, s[80:81]
	s_branch .LBB99_2
.LBB99_1175:                            ;   in Loop: Header=BB99_3 Depth=1
	ds_load_b32 v34, v52 offset:15840
	ds_load_b32 v35, v53 offset:16372
	s_wait_dscnt 0x0
	v_fmac_f32_e32 v29, v34, v35
	s_or_b32 exec_lo, exec_lo, s41
	s_and_saveexec_b32 s41, s14
	s_cbranch_execz .LBB99_72
.LBB99_1176:                            ;   in Loop: Header=BB99_3 Depth=1
	ds_load_b32 v34, v52 offset:16096
	ds_load_b32 v35, v53 offset:16376
	s_wait_dscnt 0x0
	v_fmac_f32_e32 v29, v34, v35
	s_or_b32 exec_lo, exec_lo, s41
	s_and_saveexec_b32 s41, s2
	s_cbranch_execnz .LBB99_73
	s_branch .LBB99_74
.LBB99_1177:                            ;   in Loop: Header=BB99_3 Depth=1
	ds_load_b32 v34, v56 offset:14784
	ds_load_b32 v35, v59 offset:16356
	s_wait_dscnt 0x0
	v_fmac_f32_e32 v29, v34, v35
	s_or_b32 exec_lo, exec_lo, s41
	s_and_saveexec_b32 s41, s16
	s_cbranch_execz .LBB99_114
.LBB99_1178:                            ;   in Loop: Header=BB99_3 Depth=1
	ds_load_b32 v34, v56 offset:15040
	ds_load_b32 v35, v59 offset:16360
	s_wait_dscnt 0x0
	v_fmac_f32_e32 v29, v34, v35
	s_or_b32 exec_lo, exec_lo, s41
	s_and_saveexec_b32 s41, s17
	s_cbranch_execz .LBB99_115
.LBB99_1179:                            ;   in Loop: Header=BB99_3 Depth=1
	ds_load_b32 v34, v56 offset:15296
	ds_load_b32 v35, v59 offset:16364
	s_wait_dscnt 0x0
	v_fmac_f32_e32 v29, v34, v35
	s_or_b32 exec_lo, exec_lo, s41
	s_and_saveexec_b32 s41, s18
	s_cbranch_execz .LBB99_116
.LBB99_1180:                            ;   in Loop: Header=BB99_3 Depth=1
	ds_load_b32 v34, v56 offset:15552
	ds_load_b32 v35, v59 offset:16368
	s_wait_dscnt 0x0
	v_fmac_f32_e32 v29, v34, v35
	s_or_b32 exec_lo, exec_lo, s41
	s_and_saveexec_b32 s41, s19
	s_cbranch_execz .LBB99_117
.LBB99_1181:                            ;   in Loop: Header=BB99_3 Depth=1
	ds_load_b32 v34, v56 offset:15808
	ds_load_b32 v35, v59 offset:16372
	s_wait_dscnt 0x0
	v_fmac_f32_e32 v29, v34, v35
	s_or_b32 exec_lo, exec_lo, s41
	s_and_saveexec_b32 s41, s4
	s_cbranch_execz .LBB99_118
.LBB99_1182:                            ;   in Loop: Header=BB99_3 Depth=1
	ds_load_b32 v34, v56 offset:16064
	ds_load_b32 v35, v59 offset:16376
	s_wait_dscnt 0x0
	v_fmac_f32_e32 v29, v34, v35
	s_or_b32 exec_lo, exec_lo, s41
	s_and_saveexec_b32 s41, s14
	s_cbranch_execnz .LBB99_119
	s_branch .LBB99_120
.LBB99_1183:                            ;   in Loop: Header=BB99_3 Depth=1
	ds_load_b32 v34, v52 offset:13760
	ds_load_b32 v35, v53 offset:14292
	s_wait_dscnt 0x0
	v_fmac_f32_e32 v29, v34, v35
	s_or_b32 exec_lo, exec_lo, s41
	s_and_saveexec_b32 s41, s14
	s_cbranch_execz .LBB99_176
.LBB99_1184:                            ;   in Loop: Header=BB99_3 Depth=1
	ds_load_b32 v34, v52 offset:14016
	ds_load_b32 v35, v53 offset:14296
	s_wait_dscnt 0x0
	v_fmac_f32_e32 v29, v34, v35
	s_or_b32 exec_lo, exec_lo, s41
	s_and_saveexec_b32 s41, s2
	s_cbranch_execnz .LBB99_177
	s_branch .LBB99_178
.LBB99_1185:                            ;   in Loop: Header=BB99_3 Depth=1
	ds_load_b32 v34, v62 offset:15232
	ds_load_b32 v35, v65 offset:16364
	s_wait_dscnt 0x0
	v_fmac_f32_e32 v29, v34, v35
	s_or_b32 exec_lo, exec_lo, s40
	s_and_saveexec_b32 s40, s5
	s_cbranch_execz .LBB99_238
.LBB99_1186:                            ;   in Loop: Header=BB99_3 Depth=1
	ds_load_b32 v34, v62 offset:15488
	ds_load_b32 v35, v65 offset:16368
	s_wait_dscnt 0x0
	v_fmac_f32_e32 v29, v34, v35
	s_or_b32 exec_lo, exec_lo, s40
	s_and_saveexec_b32 s40, s16
	s_cbranch_execz .LBB99_239
.LBB99_1187:                            ;   in Loop: Header=BB99_3 Depth=1
	ds_load_b32 v34, v62 offset:15744
	ds_load_b32 v35, v65 offset:16372
	s_wait_dscnt 0x0
	v_fmac_f32_e32 v29, v34, v35
	s_or_b32 exec_lo, exec_lo, s40
	s_and_saveexec_b32 s40, s18
	s_cbranch_execz .LBB99_240
.LBB99_1188:                            ;   in Loop: Header=BB99_3 Depth=1
	ds_load_b32 v34, v62 offset:16000
	ds_load_b32 v35, v65 offset:16376
	s_wait_dscnt 0x0
	v_fmac_f32_e32 v29, v34, v35
	s_or_b32 exec_lo, exec_lo, s40
	s_and_saveexec_b32 s40, s4
	s_cbranch_execnz .LBB99_241
	s_branch .LBB99_242
.LBB99_1189:                            ;   in Loop: Header=BB99_3 Depth=1
	ds_load_b32 v34, v52 offset:11680
	ds_load_b32 v35, v53 offset:12212
	s_wait_dscnt 0x0
	v_fmac_f32_e32 v29, v34, v35
	s_or_b32 exec_lo, exec_lo, s41
	s_and_saveexec_b32 s41, s14
	s_cbranch_execz .LBB99_330
.LBB99_1190:                            ;   in Loop: Header=BB99_3 Depth=1
	ds_load_b32 v34, v52 offset:11936
	ds_load_b32 v35, v53 offset:12216
	s_wait_dscnt 0x0
	v_fmac_f32_e32 v29, v34, v35
	s_or_b32 exec_lo, exec_lo, s41
	s_and_saveexec_b32 s41, s2
	s_cbranch_execnz .LBB99_331
	s_branch .LBB99_332
.LBB99_1191:                            ;   in Loop: Header=BB99_3 Depth=1
	ds_load_b32 v34, v56 offset:10624
	ds_load_b32 v35, v59 offset:12196
	s_wait_dscnt 0x0
	v_fmac_f32_e32 v29, v34, v35
	s_or_b32 exec_lo, exec_lo, s41
	s_and_saveexec_b32 s41, s16
	s_cbranch_execz .LBB99_372
.LBB99_1192:                            ;   in Loop: Header=BB99_3 Depth=1
	ds_load_b32 v34, v56 offset:10880
	ds_load_b32 v35, v59 offset:12200
	s_wait_dscnt 0x0
	v_fmac_f32_e32 v29, v34, v35
	s_or_b32 exec_lo, exec_lo, s41
	s_and_saveexec_b32 s41, s17
	s_cbranch_execz .LBB99_373
.LBB99_1193:                            ;   in Loop: Header=BB99_3 Depth=1
	ds_load_b32 v34, v56 offset:11136
	ds_load_b32 v35, v59 offset:12204
	s_wait_dscnt 0x0
	v_fmac_f32_e32 v29, v34, v35
	s_or_b32 exec_lo, exec_lo, s41
	s_and_saveexec_b32 s41, s18
	s_cbranch_execz .LBB99_374
.LBB99_1194:                            ;   in Loop: Header=BB99_3 Depth=1
	ds_load_b32 v34, v56 offset:11392
	ds_load_b32 v35, v59 offset:12208
	s_wait_dscnt 0x0
	v_fmac_f32_e32 v29, v34, v35
	s_or_b32 exec_lo, exec_lo, s41
	s_and_saveexec_b32 s41, s19
	s_cbranch_execz .LBB99_375
.LBB99_1195:                            ;   in Loop: Header=BB99_3 Depth=1
	ds_load_b32 v34, v56 offset:11648
	ds_load_b32 v35, v59 offset:12212
	s_wait_dscnt 0x0
	v_fmac_f32_e32 v29, v34, v35
	s_or_b32 exec_lo, exec_lo, s41
	s_and_saveexec_b32 s41, s4
	s_cbranch_execz .LBB99_376
.LBB99_1196:                            ;   in Loop: Header=BB99_3 Depth=1
	ds_load_b32 v34, v56 offset:11904
	ds_load_b32 v35, v59 offset:12216
	s_wait_dscnt 0x0
	v_fmac_f32_e32 v29, v34, v35
	s_or_b32 exec_lo, exec_lo, s41
	s_and_saveexec_b32 s41, s14
	s_cbranch_execnz .LBB99_377
	s_branch .LBB99_378
.LBB99_1197:                            ;   in Loop: Header=BB99_3 Depth=1
	ds_load_b32 v34, v52 offset:9600
	ds_load_b32 v35, v53 offset:10132
	s_wait_dscnt 0x0
	v_fmac_f32_e32 v29, v34, v35
	s_or_b32 exec_lo, exec_lo, s41
	s_and_saveexec_b32 s41, s14
	s_cbranch_execz .LBB99_434
.LBB99_1198:                            ;   in Loop: Header=BB99_3 Depth=1
	ds_load_b32 v34, v52 offset:9856
	ds_load_b32 v35, v53 offset:10136
	s_wait_dscnt 0x0
	v_fmac_f32_e32 v29, v34, v35
	s_or_b32 exec_lo, exec_lo, s41
	s_and_saveexec_b32 s41, s2
	s_cbranch_execnz .LBB99_435
	s_branch .LBB99_436
.LBB99_1199:                            ;   in Loop: Header=BB99_3 Depth=1
	ds_load_b32 v34, v64 offset:15616
	ds_load_b32 v35, v68 offset:16372
	s_wait_dscnt 0x0
	v_fmac_f32_e32 v29, v34, v35
	s_or_b32 exec_lo, exec_lo, s40
	s_and_saveexec_b32 s40, s5
	s_cbranch_execz .LBB99_532
.LBB99_1200:                            ;   in Loop: Header=BB99_3 Depth=1
	ds_load_b32 v34, v64 offset:15872
	ds_load_b32 v35, v68 offset:16376
	s_wait_dscnt 0x0
	v_fmac_f32_e32 v29, v34, v35
	s_or_b32 exec_lo, exec_lo, s40
	s_and_saveexec_b32 s40, s18
	s_cbranch_execnz .LBB99_533
	s_branch .LBB99_534
.LBB99_1201:                            ;   in Loop: Header=BB99_3 Depth=1
	ds_load_b32 v34, v52 offset:7520
	ds_load_b32 v35, v53 offset:8052
	s_wait_dscnt 0x0
	v_fmac_f32_e32 v29, v34, v35
	s_or_b32 exec_lo, exec_lo, s41
	s_and_saveexec_b32 s41, s14
	s_cbranch_execz .LBB99_686
.LBB99_1202:                            ;   in Loop: Header=BB99_3 Depth=1
	ds_load_b32 v34, v52 offset:7776
	ds_load_b32 v35, v53 offset:8056
	s_wait_dscnt 0x0
	v_fmac_f32_e32 v29, v34, v35
	s_or_b32 exec_lo, exec_lo, s41
	s_and_saveexec_b32 s41, s2
	s_cbranch_execnz .LBB99_687
	s_branch .LBB99_688
.LBB99_1203:                            ;   in Loop: Header=BB99_3 Depth=1
	ds_load_b32 v34, v56 offset:6464
	ds_load_b32 v35, v59 offset:8036
	s_wait_dscnt 0x0
	v_fmac_f32_e32 v29, v34, v35
	s_or_b32 exec_lo, exec_lo, s41
	s_and_saveexec_b32 s41, s16
	s_cbranch_execz .LBB99_728
.LBB99_1204:                            ;   in Loop: Header=BB99_3 Depth=1
	ds_load_b32 v34, v56 offset:6720
	ds_load_b32 v35, v59 offset:8040
	s_wait_dscnt 0x0
	v_fmac_f32_e32 v29, v34, v35
	s_or_b32 exec_lo, exec_lo, s41
	s_and_saveexec_b32 s41, s17
	s_cbranch_execz .LBB99_729
.LBB99_1205:                            ;   in Loop: Header=BB99_3 Depth=1
	ds_load_b32 v34, v56 offset:6976
	ds_load_b32 v35, v59 offset:8044
	s_wait_dscnt 0x0
	v_fmac_f32_e32 v29, v34, v35
	s_or_b32 exec_lo, exec_lo, s41
	s_and_saveexec_b32 s41, s18
	s_cbranch_execz .LBB99_730
.LBB99_1206:                            ;   in Loop: Header=BB99_3 Depth=1
	ds_load_b32 v34, v56 offset:7232
	ds_load_b32 v35, v59 offset:8048
	s_wait_dscnt 0x0
	v_fmac_f32_e32 v29, v34, v35
	s_or_b32 exec_lo, exec_lo, s41
	s_and_saveexec_b32 s41, s19
	s_cbranch_execz .LBB99_731
.LBB99_1207:                            ;   in Loop: Header=BB99_3 Depth=1
	ds_load_b32 v34, v56 offset:7488
	ds_load_b32 v35, v59 offset:8052
	s_wait_dscnt 0x0
	v_fmac_f32_e32 v29, v34, v35
	s_or_b32 exec_lo, exec_lo, s41
	s_and_saveexec_b32 s41, s4
	s_cbranch_execz .LBB99_732
.LBB99_1208:                            ;   in Loop: Header=BB99_3 Depth=1
	ds_load_b32 v34, v56 offset:7744
	ds_load_b32 v35, v59 offset:8056
	s_wait_dscnt 0x0
	v_fmac_f32_e32 v29, v34, v35
	s_or_b32 exec_lo, exec_lo, s41
	s_and_saveexec_b32 s41, s14
	s_cbranch_execnz .LBB99_733
	s_branch .LBB99_734
.LBB99_1209:                            ;   in Loop: Header=BB99_3 Depth=1
	ds_load_b32 v34, v52 offset:5440
	ds_load_b32 v35, v53 offset:5972
	s_wait_dscnt 0x0
	v_fmac_f32_e32 v29, v34, v35
	s_or_b32 exec_lo, exec_lo, s41
	s_and_saveexec_b32 s41, s14
	s_cbranch_execz .LBB99_790
.LBB99_1210:                            ;   in Loop: Header=BB99_3 Depth=1
	ds_load_b32 v34, v52 offset:5696
	ds_load_b32 v35, v53 offset:5976
	s_wait_dscnt 0x0
	v_fmac_f32_e32 v29, v34, v35
	s_or_b32 exec_lo, exec_lo, s41
	s_and_saveexec_b32 s41, s2
	s_cbranch_execnz .LBB99_791
	s_branch .LBB99_792
.LBB99_1211:                            ;   in Loop: Header=BB99_3 Depth=1
	ds_load_b32 v34, v62 offset:6912
	ds_load_b32 v35, v65 offset:8044
	s_wait_dscnt 0x0
	v_fmac_f32_e32 v29, v34, v35
	s_or_b32 exec_lo, exec_lo, s40
	s_and_saveexec_b32 s40, s5
	s_cbranch_execz .LBB99_852
.LBB99_1212:                            ;   in Loop: Header=BB99_3 Depth=1
	ds_load_b32 v34, v62 offset:7168
	ds_load_b32 v35, v65 offset:8048
	s_wait_dscnt 0x0
	v_fmac_f32_e32 v29, v34, v35
	s_or_b32 exec_lo, exec_lo, s40
	s_and_saveexec_b32 s40, s16
	s_cbranch_execz .LBB99_853
.LBB99_1213:                            ;   in Loop: Header=BB99_3 Depth=1
	ds_load_b32 v34, v62 offset:7424
	ds_load_b32 v35, v65 offset:8052
	s_wait_dscnt 0x0
	v_fmac_f32_e32 v29, v34, v35
	s_or_b32 exec_lo, exec_lo, s40
	s_and_saveexec_b32 s40, s18
	s_cbranch_execz .LBB99_854
.LBB99_1214:                            ;   in Loop: Header=BB99_3 Depth=1
	ds_load_b32 v34, v62 offset:7680
	ds_load_b32 v35, v65 offset:8056
	s_wait_dscnt 0x0
	v_fmac_f32_e32 v29, v34, v35
	s_or_b32 exec_lo, exec_lo, s40
	s_and_saveexec_b32 s40, s4
	s_cbranch_execnz .LBB99_855
	s_branch .LBB99_856
.LBB99_1215:                            ;   in Loop: Header=BB99_3 Depth=1
	ds_load_b32 v34, v52 offset:3360
	ds_load_b32 v35, v53 offset:3892
	s_wait_dscnt 0x0
	v_fmac_f32_e32 v29, v34, v35
	s_or_b32 exec_lo, exec_lo, s41
	s_and_saveexec_b32 s41, s14
	s_cbranch_execz .LBB99_944
.LBB99_1216:                            ;   in Loop: Header=BB99_3 Depth=1
	ds_load_b32 v34, v52 offset:3616
	ds_load_b32 v35, v53 offset:3896
	s_wait_dscnt 0x0
	v_fmac_f32_e32 v29, v34, v35
	s_or_b32 exec_lo, exec_lo, s41
	s_and_saveexec_b32 s41, s2
	s_cbranch_execnz .LBB99_945
	s_branch .LBB99_946
.LBB99_1217:                            ;   in Loop: Header=BB99_3 Depth=1
	ds_load_b32 v34, v56 offset:2304
	ds_load_b32 v35, v59 offset:3876
	s_wait_dscnt 0x0
	v_fmac_f32_e32 v29, v34, v35
	s_or_b32 exec_lo, exec_lo, s41
	s_and_saveexec_b32 s41, s16
	s_cbranch_execz .LBB99_986
.LBB99_1218:                            ;   in Loop: Header=BB99_3 Depth=1
	ds_load_b32 v34, v56 offset:2560
	ds_load_b32 v35, v59 offset:3880
	s_wait_dscnt 0x0
	v_fmac_f32_e32 v29, v34, v35
	s_or_b32 exec_lo, exec_lo, s41
	s_and_saveexec_b32 s41, s17
	s_cbranch_execz .LBB99_987
.LBB99_1219:                            ;   in Loop: Header=BB99_3 Depth=1
	ds_load_b32 v34, v56 offset:2816
	ds_load_b32 v35, v59 offset:3884
	s_wait_dscnt 0x0
	v_fmac_f32_e32 v29, v34, v35
	s_or_b32 exec_lo, exec_lo, s41
	s_and_saveexec_b32 s41, s18
	s_cbranch_execz .LBB99_988
.LBB99_1220:                            ;   in Loop: Header=BB99_3 Depth=1
	ds_load_b32 v34, v56 offset:3072
	ds_load_b32 v35, v59 offset:3888
	s_wait_dscnt 0x0
	v_fmac_f32_e32 v29, v34, v35
	s_or_b32 exec_lo, exec_lo, s41
	s_and_saveexec_b32 s41, s19
	s_cbranch_execz .LBB99_989
.LBB99_1221:                            ;   in Loop: Header=BB99_3 Depth=1
	ds_load_b32 v34, v56 offset:3328
	ds_load_b32 v35, v59 offset:3892
	s_wait_dscnt 0x0
	v_fmac_f32_e32 v29, v34, v35
	s_or_b32 exec_lo, exec_lo, s41
	s_and_saveexec_b32 s41, s4
	s_cbranch_execz .LBB99_990
.LBB99_1222:                            ;   in Loop: Header=BB99_3 Depth=1
	ds_load_b32 v34, v56 offset:3584
	ds_load_b32 v35, v59 offset:3896
	s_wait_dscnt 0x0
	v_fmac_f32_e32 v29, v34, v35
	s_or_b32 exec_lo, exec_lo, s41
	s_and_saveexec_b32 s41, s14
	s_cbranch_execnz .LBB99_991
	s_branch .LBB99_992
.LBB99_1223:                            ;   in Loop: Header=BB99_3 Depth=1
	ds_load_b32 v34, v52 offset:1280
	ds_load_b32 v35, v53 offset:1812
	s_wait_dscnt 0x0
	v_fmac_f32_e32 v29, v34, v35
	s_or_b32 exec_lo, exec_lo, s41
	s_and_saveexec_b32 s41, s14
	s_cbranch_execz .LBB99_1048
.LBB99_1224:                            ;   in Loop: Header=BB99_3 Depth=1
	ds_load_b32 v34, v52 offset:1536
	ds_load_b32 v35, v53 offset:1816
	s_wait_dscnt 0x0
	v_fmac_f32_e32 v29, v34, v35
	s_or_b32 exec_lo, exec_lo, s41
	s_and_saveexec_b32 s41, s2
	s_cbranch_execnz .LBB99_1049
	s_branch .LBB99_1050
.LBB99_1225:
	s_endpgm
	.section	.rodata,"a",@progbits
	.p2align	6, 0x0
	.amdhsa_kernel _ZL19rocblas_trsv_deviceILi64ELi16ELb0ELb1ELb1ELb1EfPKfPKS1_PKPfEviT7_lllT6_T8_lllPii
		.amdhsa_group_segment_fixed_size 20740
		.amdhsa_private_segment_fixed_size 0
		.amdhsa_kernarg_size 352
		.amdhsa_user_sgpr_count 2
		.amdhsa_user_sgpr_dispatch_ptr 0
		.amdhsa_user_sgpr_queue_ptr 0
		.amdhsa_user_sgpr_kernarg_segment_ptr 1
		.amdhsa_user_sgpr_dispatch_id 0
		.amdhsa_user_sgpr_kernarg_preload_length 0
		.amdhsa_user_sgpr_kernarg_preload_offset 0
		.amdhsa_user_sgpr_private_segment_size 0
		.amdhsa_wavefront_size32 1
		.amdhsa_uses_dynamic_stack 0
		.amdhsa_enable_private_segment 0
		.amdhsa_system_sgpr_workgroup_id_x 1
		.amdhsa_system_sgpr_workgroup_id_y 0
		.amdhsa_system_sgpr_workgroup_id_z 1
		.amdhsa_system_sgpr_workgroup_info 0
		.amdhsa_system_vgpr_workitem_id 1
		.amdhsa_next_free_vgpr 92
		.amdhsa_next_free_sgpr 105
		.amdhsa_named_barrier_count 0
		.amdhsa_reserve_vcc 1
		.amdhsa_float_round_mode_32 0
		.amdhsa_float_round_mode_16_64 0
		.amdhsa_float_denorm_mode_32 3
		.amdhsa_float_denorm_mode_16_64 3
		.amdhsa_fp16_overflow 0
		.amdhsa_memory_ordered 1
		.amdhsa_forward_progress 1
		.amdhsa_inst_pref_size 255
		.amdhsa_round_robin_scheduling 0
		.amdhsa_exception_fp_ieee_invalid_op 0
		.amdhsa_exception_fp_denorm_src 0
		.amdhsa_exception_fp_ieee_div_zero 0
		.amdhsa_exception_fp_ieee_overflow 0
		.amdhsa_exception_fp_ieee_underflow 0
		.amdhsa_exception_fp_ieee_inexact 0
		.amdhsa_exception_int_div_zero 0
	.end_amdhsa_kernel
	.section	.text._ZL19rocblas_trsv_deviceILi64ELi16ELb0ELb1ELb1ELb1EfPKfPKS1_PKPfEviT7_lllT6_T8_lllPii,"axG",@progbits,_ZL19rocblas_trsv_deviceILi64ELi16ELb0ELb1ELb1ELb1EfPKfPKS1_PKPfEviT7_lllT6_T8_lllPii,comdat
.Lfunc_end99:
	.size	_ZL19rocblas_trsv_deviceILi64ELi16ELb0ELb1ELb1ELb1EfPKfPKS1_PKPfEviT7_lllT6_T8_lllPii, .Lfunc_end99-_ZL19rocblas_trsv_deviceILi64ELi16ELb0ELb1ELb1ELb1EfPKfPKS1_PKPfEviT7_lllT6_T8_lllPii
                                        ; -- End function
	.set _ZL19rocblas_trsv_deviceILi64ELi16ELb0ELb1ELb1ELb1EfPKfPKS1_PKPfEviT7_lllT6_T8_lllPii.num_vgpr, 92
	.set _ZL19rocblas_trsv_deviceILi64ELi16ELb0ELb1ELb1ELb1EfPKfPKS1_PKPfEviT7_lllT6_T8_lllPii.num_agpr, 0
	.set _ZL19rocblas_trsv_deviceILi64ELi16ELb0ELb1ELb1ELb1EfPKfPKS1_PKPfEviT7_lllT6_T8_lllPii.numbered_sgpr, 105
	.set _ZL19rocblas_trsv_deviceILi64ELi16ELb0ELb1ELb1ELb1EfPKfPKS1_PKPfEviT7_lllT6_T8_lllPii.num_named_barrier, 0
	.set _ZL19rocblas_trsv_deviceILi64ELi16ELb0ELb1ELb1ELb1EfPKfPKS1_PKPfEviT7_lllT6_T8_lllPii.private_seg_size, 0
	.set _ZL19rocblas_trsv_deviceILi64ELi16ELb0ELb1ELb1ELb1EfPKfPKS1_PKPfEviT7_lllT6_T8_lllPii.uses_vcc, 1
	.set _ZL19rocblas_trsv_deviceILi64ELi16ELb0ELb1ELb1ELb1EfPKfPKS1_PKPfEviT7_lllT6_T8_lllPii.uses_flat_scratch, 0
	.set _ZL19rocblas_trsv_deviceILi64ELi16ELb0ELb1ELb1ELb1EfPKfPKS1_PKPfEviT7_lllT6_T8_lllPii.has_dyn_sized_stack, 0
	.set _ZL19rocblas_trsv_deviceILi64ELi16ELb0ELb1ELb1ELb1EfPKfPKS1_PKPfEviT7_lllT6_T8_lllPii.has_recursion, 0
	.set _ZL19rocblas_trsv_deviceILi64ELi16ELb0ELb1ELb1ELb1EfPKfPKS1_PKPfEviT7_lllT6_T8_lllPii.has_indirect_call, 0
	.section	.AMDGPU.csdata,"",@progbits
; Kernel info:
; codeLenInByte = 36728
; TotalNumSgprs: 107
; NumVgprs: 92
; ScratchSize: 0
; MemoryBound: 0
; FloatMode: 240
; IeeeMode: 1
; LDSByteSize: 20740 bytes/workgroup (compile time only)
; SGPRBlocks: 0
; VGPRBlocks: 5
; NumSGPRsForWavesPerEU: 107
; NumVGPRsForWavesPerEU: 92
; NamedBarCnt: 0
; Occupancy: 10
; WaveLimiterHint : 1
; COMPUTE_PGM_RSRC2:SCRATCH_EN: 0
; COMPUTE_PGM_RSRC2:USER_SGPR: 2
; COMPUTE_PGM_RSRC2:TRAP_HANDLER: 0
; COMPUTE_PGM_RSRC2:TGID_X_EN: 1
; COMPUTE_PGM_RSRC2:TGID_Y_EN: 0
; COMPUTE_PGM_RSRC2:TGID_Z_EN: 1
; COMPUTE_PGM_RSRC2:TIDIG_COMP_CNT: 1
	.section	.text._ZL19rocblas_trsv_deviceILi64ELi16ELb0ELb0ELb0ELb0EfPKfPKS1_PKPfEviT7_lllT6_T8_lllPii,"axG",@progbits,_ZL19rocblas_trsv_deviceILi64ELi16ELb0ELb0ELb0ELb0EfPKfPKS1_PKPfEviT7_lllT6_T8_lllPii,comdat
	.globl	_ZL19rocblas_trsv_deviceILi64ELi16ELb0ELb0ELb0ELb0EfPKfPKS1_PKPfEviT7_lllT6_T8_lllPii ; -- Begin function _ZL19rocblas_trsv_deviceILi64ELi16ELb0ELb0ELb0ELb0EfPKfPKS1_PKPfEviT7_lllT6_T8_lllPii
	.p2align	8
	.type	_ZL19rocblas_trsv_deviceILi64ELi16ELb0ELb0ELb0ELb0EfPKfPKS1_PKPfEviT7_lllT6_T8_lllPii,@function
_ZL19rocblas_trsv_deviceILi64ELi16ELb0ELb0ELb0ELb0EfPKfPKS1_PKPfEviT7_lllT6_T8_lllPii: ; @_ZL19rocblas_trsv_deviceILi64ELi16ELb0ELb0ELb0ELb0EfPKfPKS1_PKPfEviT7_lllT6_T8_lllPii
; %bb.0:
	s_load_b32 s6, s[0:1], 0x58
	s_bfe_u32 s2, ttmp6, 0x40014
	s_lshr_b32 s3, ttmp7, 16
	s_add_co_i32 s2, s2, 1
	s_bfe_u32 s5, ttmp6, 0x40008
	s_mul_i32 s4, s3, s2
	s_getreg_b32 s2, hwreg(HW_REG_IB_STS2, 6, 4)
	s_add_co_i32 s5, s5, s4
	s_cmp_eq_u32 s2, 0
	s_mov_b32 s71, 0
	s_cselect_b32 s70, s3, s5
                                        ; implicit-def: $vgpr74 : SGPR spill to VGPR lane
	s_wait_kmcnt 0x0
	s_cmp_ge_u32 s70, s6
	v_writelane_b32 v74, s6, 0
	s_cbranch_scc1 .LBB100_1195
; %bb.1:
	s_clause 0x3
	s_load_b32 s3, s[0:1], 0x6c
	s_load_b32 s99, s[0:1], 0x60
	;; [unrolled: 1-line block ×3, first 2 shown]
	s_load_b64 s[86:87], s[0:1], 0x18
	s_bfe_u32 s5, ttmp6, 0x4000c
	s_and_b32 s4, ttmp6, 15
	s_add_co_i32 s5, s5, 1
	v_dual_mov_b32 v5, 0 :: v_dual_lshrrev_b32 v1, 10, v0
	s_mul_i32 s5, ttmp9, s5
	v_and_b32_e32 v2, 0x3ff, v0
	s_add_co_i32 s4, s4, s5
	s_cmp_eq_u32 s2, 0
	v_dual_mov_b32 v3, v5 :: v_dual_bitop2_b32 v10, 1, v0 bitop3:0x40
	s_cselect_b32 s98, ttmp9, s4
	v_bfe_u32 v28, v0, 10, 10
	v_lshlrev_b32_e32 v31, 2, v2
	s_delay_alu instid0(VALU_DEP_3)
	v_cmp_eq_u32_e32 vcc_lo, 1, v10
	v_bitop3_b32 v21, v0, v1, 0x3ff bitop3:0xa8
	s_wait_kmcnt 0x0
	s_and_b32 s4, s3, 0xffff
	s_add_co_i32 s99, s99, -1
	s_add_co_i32 s2, s84, -1
	s_ashr_i32 s85, s84, 31
	s_ashr_i32 s3, s2, 31
	s_lshr_b32 s5, s85, 26
	s_lshr_b32 s3, s3, 26
	s_add_co_i32 s5, s84, s5
	s_add_co_i32 s2, s2, s3
	s_and_not1_b32 s5, s5, 63
	s_sub_co_i32 s65, s99, s98
	s_ashr_i32 s2, s2, 6
	s_sub_co_i32 s15, s84, s5
	s_cmp_eq_u32 s2, s65
	v_lshl_add_u32 v20, v28, 6, v2
	s_cselect_b32 s2, -1, 0
	s_cmp_lg_u32 s15, 0
	v_lshlrev_b32_e32 v30, 2, v10
	s_cselect_b32 s3, -1, 0
	v_mad_u32_u24 v4, v28, s4, v2
	s_and_b32 s16, s3, s2
	v_lshlrev_b32_e32 v1, 6, v20
	s_xor_b32 s100, s16, -1
	s_cmp_lg_u32 s98, 0
                                        ; implicit-def: $vgpr73 : SGPR spill to VGPR lane
                                        ; implicit-def: $vgpr72 : SGPR spill to VGPR lane
	s_load_b64 s[88:89], s[0:1], 0x50
	s_cselect_b32 s2, -1, 0
	s_lshl_b32 s12, s65, 6
	v_writelane_b32 v74, s2, 1
	s_add_nc_u64 s[2:3], s[86:87], 1
	v_dual_lshrrev_b32 v11, 1, v20 :: v_dual_add_nc_u32 v6, s12, v2
	v_mad_nc_u64_u32 v[18:19], s2, s12, v[2:3]
	s_ashr_i32 s13, s12, 31
	s_mul_i32 s3, s3, s12
	s_mul_i32 s2, s2, s13
	v_dual_lshlrev_b32 v15, 8, v11 :: v_dual_add_nc_u32 v14, s12, v28
	s_cmp_gt_i32 s98, 4
	v_lshl_add_u32 v3, v11, 2, 0x4000
	s_cselect_b32 s4, -1, 0
	v_and_b32_e32 v11, 0x1fffc, v20
	v_dual_add_nc_u32 v12, 64, v14 :: v_dual_sub_nc_u32 v29, 0, v15
	v_add3_u32 v19, s2, s3, v19
	v_cmp_gt_u32_e64 s2, 4, v20
	v_cmp_eq_u32_e64 s3, 0, v10
	v_and_b32_e32 v10, 3, v0
	s_and_b32 s102, s4, s100
	v_dual_ashrrev_i32 v13, 31, v12 :: v_dual_ashrrev_i32 v7, 31, v6
	s_and_b32 s103, vcc_lo, s2
	s_and_b32 s104, s3, s2
	v_cmp_gt_u32_e64 s3, 16, v20
	v_cmp_eq_u32_e32 vcc_lo, 3, v10
	v_cmp_ne_u32_e64 s4, 3, v10
	v_add_nc_u32_e32 v33, 0x4000, v11
	v_lshlrev_b32_e32 v35, 2, v10
	v_cmp_eq_u32_e64 s5, 1, v10
	s_and_b32 vcc_hi, vcc_lo, s3
	v_cmp_eq_u32_e32 vcc_lo, 2, v10
	s_and_b32 s36, s4, s3
	v_cmp_gt_u32_e64 s4, 2, v10
	v_cmp_eq_u32_e64 s6, 0, v10
	v_lshrrev_b32_e32 v10, 3, v20
	v_and_b32_e32 v11, 7, v0
	v_mul_u64_e32 v[8:9], s[86:87], v[12:13]
	s_and_b32 s37, vcc_lo, s3
	s_and_b32 s38, s4, s3
	v_lshlrev_b32_e32 v13, 8, v10
	v_cmp_gt_u32_e64 s4, 64, v20
	v_cmp_eq_u32_e32 vcc_lo, 7, v11
	s_and_b32 s39, s5, s3
	v_cmp_ne_u32_e64 s5, 7, v11
	v_and_b32_e32 v1, 0xffffff00, v1
	s_and_b32 s40, s6, s3
	s_and_b32 s41, vcc_lo, s4
	v_cmp_gt_u32_e32 vcc_lo, 6, v11
	s_and_b32 s42, s5, s4
	v_cmp_gt_u32_e64 s5, 5, v11
	v_cmp_eq_u32_e64 s6, 6, v11
	v_dual_sub_nc_u32 v32, v30, v15 :: v_dual_sub_nc_u32 v34, 0, v1
	s_and_b32 s44, vcc_lo, s4
	v_cmp_eq_u32_e32 vcc_lo, 4, v11
	s_and_b32 s46, s5, s4
	v_cmp_eq_u32_e64 s5, 3, v11
	v_dual_sub_nc_u32 v36, v35, v1 :: v_dual_lshlrev_b32 v39, 2, v11
	s_and_b32 s47, vcc_lo, s4
	v_cmp_eq_u32_e32 vcc_lo, 2, v11
	v_lshl_add_u32 v37, v10, 2, 0x4000
	v_dual_sub_nc_u32 v38, 0, v13 :: v_dual_lshrrev_b32 v1, 4, v20
	v_cmp_eq_u32_e64 s7, 5, v11
	s_and_b32 s43, s6, s4
	v_cmp_gt_u32_e64 s6, 4, v11
	s_and_b32 s49, s5, s4
	v_cmp_gt_u32_e64 s5, 2, v11
	s_and_b32 s51, vcc_lo, s4
	v_cmp_eq_u32_e32 vcc_lo, 0, v11
	v_and_b32_e32 v10, 15, v0
	s_and_b32 s45, s7, s4
	v_cmp_gt_u32_e64 s7, 3, v11
	s_and_b32 s48, s6, s4
	v_cmp_eq_u32_e64 s6, 1, v11
	s_and_b32 s52, s5, s4
	s_and_b32 s54, vcc_lo, s4
	v_lshlrev_b32_e32 v11, 8, v1
	v_cmp_gt_u32_e64 s5, 0x100, v20
	v_cmp_eq_u32_e32 vcc_lo, 15, v10
	s_and_b32 s50, s7, s4
	s_and_b32 s53, s6, s4
	v_cmp_ne_u32_e64 s6, 15, v10
	v_cmp_gt_u32_e64 s8, 13, v10
	s_and_b32 s7, vcc_lo, s5
	v_cmp_eq_u32_e32 vcc_lo, 14, v10
	v_writelane_b32 v74, s7, 2
	s_and_b32 s6, s6, s5
	v_cmp_gt_u32_e64 s7, 14, v10
	v_lshl_add_u32 v41, v1, 2, 0x4000
	s_and_b32 s9, vcc_lo, s5
	v_writelane_b32 v74, s6, 3
	v_cmp_eq_u32_e64 s6, 13, v10
	s_and_b32 s7, s7, s5
	v_cmp_eq_u32_e32 vcc_lo, 12, v10
	v_dual_lshlrev_b32 v43, 2, v10 :: v_dual_lshrrev_b32 v1, 5, v20
	v_writelane_b32 v74, s9, 4
	s_and_b32 s6, s6, s5
	s_and_b32 s67, vcc_lo, s5
	v_cmp_gt_u32_e32 vcc_lo, 11, v10
	v_and_b32_e32 v0, 31, v0
	v_writelane_b32 v74, s7, 5
	v_cmp_eq_u32_e64 s7, 11, v10
	v_dual_sub_nc_u32 v40, v39, v13 :: v_dual_sub_nc_u32 v42, 0, v11
	s_and_b32 s14, vcc_lo, s5
	v_writelane_b32 v74, s6, 6
	s_and_b32 s6, s8, s5
	v_cmp_eq_u32_e32 vcc_lo, 9, v10
	v_cmp_eq_u32_e64 s8, 10, v10
	s_and_b32 s11, s7, s5
	v_writelane_b32 v74, s6, 7
	v_cmp_gt_u32_e64 s6, 12, v10
	s_and_b32 s28, vcc_lo, s5
	v_cmp_eq_u32_e32 vcc_lo, 7, v10
	v_cmp_gt_u32_e64 s7, 9, v10
	s_and_b32 s24, s8, s5
	s_and_b32 s68, s6, s5
	v_cmp_gt_u32_e64 s6, 10, v10
	s_and_b32 s61, vcc_lo, s5
	v_cmp_gt_u32_e32 vcc_lo, 6, v10
	v_cmp_gt_u32_e64 s8, 8, v10
	s_and_b32 s30, s7, s5
	s_and_b32 s26, s6, s5
	v_cmp_eq_u32_e64 s6, 8, v10
	s_and_b32 s64, vcc_lo, s5
	v_cmp_eq_u32_e32 vcc_lo, 4, v10
	v_cmp_eq_u32_e64 s7, 6, v10
	s_and_b32 s35, s8, s5
	s_and_b32 s33, s6, s5
	v_cmp_gt_u32_e64 s6, 7, v10
	s_and_b32 s29, vcc_lo, s5
	v_cmp_eq_u32_e32 vcc_lo, 2, v10
	v_cmp_eq_u32_e64 s8, 5, v10
	s_and_b32 s63, s7, s5
	s_and_b32 s62, s6, s5
	v_cmp_gt_u32_e64 s6, 5, v10
	v_cmp_gt_u32_e64 s7, 4, v10
	s_and_b32 s101, vcc_lo, s5
	v_cmp_eq_u32_e32 vcc_lo, 0, v10
	s_and_b32 s25, s8, s5
	s_and_b32 s27, s6, s5
	v_cmp_eq_u32_e64 s6, 3, v10
	v_cmp_gt_u32_e64 s8, 3, v10
	s_and_b32 s31, s7, s5
	v_cmp_eq_u32_e64 s7, 1, v10
	s_and_b32 s57, vcc_lo, s5
	s_and_b32 s34, s6, s5
	v_cmp_gt_u32_e64 s6, 2, v10
	v_lshlrev_b32_e32 v13, 8, v1
	v_cmp_eq_u32_e32 vcc_lo, 31, v0
	s_and_b32 s69, s8, s5
	s_and_b32 s56, s7, s5
	;; [unrolled: 1-line block ×3, first 2 shown]
	v_cmp_gt_u32_e64 s6, 0x400, v20
	v_cmp_ne_u32_e64 s7, 31, v0
	v_cmp_eq_u32_e64 s9, 29, v0
	v_cmp_gt_u32_e64 s10, 29, v0
	v_dual_sub_nc_u32 v44, v43, v11 :: v_dual_sub_nc_u32 v46, 0, v13
	s_and_b32 s8, vcc_lo, s6
	v_cmp_eq_u32_e32 vcc_lo, 30, v0
	v_writelane_b32 v74, s8, 8
	s_and_b32 s7, s7, s6
	v_cmp_gt_u32_e64 s8, 30, v0
	v_add_nc_u64_e32 v[10:11], s[12:13], v[4:5]
	s_load_b128 s[80:83], s[0:1], 0x8
	v_writelane_b32 v74, s7, 9
	s_and_b32 s7, vcc_lo, s6
	v_cmp_eq_u32_e32 vcc_lo, 28, v0
	s_load_b256 s[72:79], s[0:1], 0x28
	s_wait_xcnt 0x0
	v_cmp_gt_i32_e64 s0, s15, v2
	v_writelane_b32 v74, s7, 10
	s_and_b32 s7, s8, s6
	s_and_b32 s17, vcc_lo, s6
	v_cmp_eq_u32_e64 s8, 27, v0
	v_cmp_gt_u32_e32 vcc_lo, 26, v0
	v_writelane_b32 v74, s7, 11
	s_and_b32 s7, s9, s6
	v_cmp_gt_u32_e64 s9, 27, v0
	v_lshl_add_u32 v50, v28, 2, 0x5000
	v_lshlrev_b32_e32 v47, 2, v0
	v_writelane_b32 v74, s7, 12
	s_and_b32 s7, s10, s6
	v_cmp_eq_u32_e64 s10, 26, v0
	v_cmp_gt_i32_e64 s1, s84, v12
	v_add_nc_u32_e32 v54, v50, v31
	v_writelane_b32 v74, s7, 13
	v_cmp_gt_u32_e64 s7, 28, v0
	v_dual_sub_nc_u32 v48, v47, v13 :: v_dual_add_nc_u32 v22, 16, v28
	v_add_nc_u32_e32 v13, 0x50, v14
	v_writelane_b32 v74, s17, 14
	s_and_b32 s7, s7, s6
	s_and_b32 s17, vcc_lo, s6
	v_cmp_eq_u32_e32 vcc_lo, 23, v0
	v_add_nc_u32_e32 v16, 0x60, v14
	v_writelane_b32 v74, s7, 15
	s_and_b32 s7, s8, s6
	v_cmp_gt_u32_e64 s8, 25, v0
	s_and_b32 s12, vcc_lo, s6
	v_cmp_gt_u32_e32 vcc_lo, 21, v0
	v_writelane_b32 v74, s7, 16
	s_and_b32 s7, s9, s6
	v_cmp_eq_u32_e64 s9, 24, v0
	v_add_nc_u32_e32 v25, 0x70, v14
	v_dual_add_nc_u32 v23, 32, v28 :: v_dual_add_nc_u32 v24, 48, v28
	v_writelane_b32 v74, s7, 17
	s_and_b32 s7, s10, s6
	v_cmp_gt_u32_e64 s10, 24, v0
                                        ; implicit-def: $vgpr71 : SGPR spill to VGPR lane
	v_lshl_add_u32 v45, v1, 2, 0x4000
	s_wait_kmcnt 0x0
	v_mul_u64_e32 v[10:11], s[78:79], v[10:11]
	v_writelane_b32 v74, s7, 18
	v_cmp_eq_u32_e64 s7, 25, v0
	v_mad_nc_u64_u32 v[14:15], s86, v22, v[18:19]
                                        ; implicit-def: $vgpr70 : SGPR spill to VGPR lane
	v_or_b32_e32 v26, v23, v2
	v_or_b32_e32 v27, v24, v2
	v_writelane_b32 v74, s17, 19
	s_and_b32 s7, s7, s6
	v_lshl_add_u32 v49, v4, 2, 0x5000
	v_lshl_add_u32 v51, v20, 2, 0x4000
	v_add_nc_u32_e32 v52, 0x4000, v31
	v_writelane_b32 v74, s7, 20
	s_and_b32 s7, s8, s6
	v_cmp_eq_u32_e64 s8, 22, v0
	v_mad_u32 v15, s87, v22, v15
	v_lshl_add_u32 v53, v28, 8, v31
	v_writelane_b32 v74, s7, 21
	s_and_b32 s7, s9, s6
	v_cmp_gt_u32_e64 s9, 22, v0
	s_and_b32 s8, s8, s6
	v_lshl_add_u32 v55, v2, 8, v31
	v_writelane_b32 v74, s7, 22
	s_and_b32 s7, s10, s6
	v_cmp_eq_u32_e64 s10, 21, v0
	s_and_b32 s9, s9, s6
	v_lshl_add_u32 v56, v22, 8, v31
	v_writelane_b32 v74, s7, 23
	v_cmp_gt_u32_e64 s7, 23, v0
	v_lshl_add_u32 v57, v23, 8, v31
	v_lshl_add_u32 v58, v24, 8, v31
	v_add_nc_u32_e32 v59, 0x3c00, v31
	v_writelane_b32 v74, s12, 24
	s_and_b32 s7, s7, s6
	v_subrev_nc_u32_e32 v60, 63, v2
	v_cmp_gt_u32_e64 s17, 12, v20
	v_cmp_gt_u32_e64 s18, 8, v20
	v_writelane_b32 v74, s7, 25
	v_cmp_eq_u32_e64 s7, 20, v0
	v_cmp_gt_u32_e64 s19, 56, v20
	v_cmp_gt_u32_e64 s20, 48, v20
	;; [unrolled: 1-line block ×3, first 2 shown]
	v_writelane_b32 v74, s8, 26
	v_cmp_gt_u32_e64 s8, 20, v0
	s_and_b32 s7, s7, s6
	v_cmp_gt_u32_e64 s22, 32, v20
	v_cmp_gt_u32_e64 s23, 24, v20
	v_writelane_b32 v74, s9, 27
	s_and_b32 s9, s10, s6
	v_cmp_le_i32_e64 s10, s15, v24
	v_cmp_eq_u32_e64 s59, 0, v4
	v_cmp_gt_u32_e64 s60, 64, v4
	v_writelane_b32 v74, s9, 28
	s_and_b32 s9, vcc_lo, s6
	v_cmp_eq_u32_e32 vcc_lo, 19, v0
	s_mul_u64 s[94:95], s[86:87], 0xc0
                                        ; implicit-def: $vgpr61
                                        ; implicit-def: $vgpr62
                                        ; implicit-def: $vgpr63
                                        ; implicit-def: $vgpr64
	v_writelane_b32 v74, s9, 29
	v_cmp_le_i32_e64 s9, s15, v23
	v_writelane_b32 v74, s7, 30
	s_and_b32 s7, s8, s6
	s_delay_alu instid0(SALU_CYCLE_1)
	v_writelane_b32 v74, s7, 31
	s_and_b32 s7, vcc_lo, s6
	v_cmp_gt_u32_e32 vcc_lo, 19, v0
	v_writelane_b32 v73, s7, 0
	s_and_b32 s7, vcc_lo, s6
	v_cmp_eq_u32_e32 vcc_lo, 18, v0
	v_writelane_b32 v73, s7, 1
	s_and_b32 s7, vcc_lo, s6
	v_cmp_gt_u32_e32 vcc_lo, 18, v0
	v_writelane_b32 v73, s7, 2
	s_and_b32 s7, vcc_lo, s6
	v_cmp_eq_u32_e32 vcc_lo, 17, v0
	;; [unrolled: 6-line block ×18, first 2 shown]
	v_writelane_b32 v72, s7, 3
	s_and_b32 s7, vcc_lo, s6
	v_cmp_eq_u32_e32 vcc_lo, 0, v0
	v_writelane_b32 v72, s7, 4
	v_cmp_eq_u32_e64 s7, 0, v28
	v_mul_u64_e32 v[0:1], s[78:79], v[6:7]
	s_and_b32 s13, vcc_lo, s6
	v_cmp_le_i32_e32 vcc_lo, s15, v2
	s_and_b32 s8, vcc_lo, s16
	v_cmp_gt_u32_e64 s16, 2, v20
	v_writelane_b32 v72, s8, 5
	s_xor_b32 s8, s8, -1
	s_delay_alu instid0(SALU_CYCLE_1)
	s_and_b32 s12, s7, s8
	s_cmp_gt_i32 s98, 0
	v_cmp_le_u32_e64 s8, v28, v2
	s_cselect_b32 s58, -1, 0
	s_and_b32 s0, s7, s0
	s_add_co_i32 s65, s65, 1
	v_writelane_b32 v72, s0, 6
	v_cmp_gt_i32_e64 s0, s84, v6
	s_lshl_b64 s[90:91], s[86:87], 6
	s_lshl_b64 s[92:93], s[86:87], 7
	;; [unrolled: 1-line block ×4, first 2 shown]
	s_and_b32 s1, s0, s1
	s_delay_alu instid0(SALU_CYCLE_1) | instskip(SKIP_3) | instid1(SALU_CYCLE_1)
	v_writelane_b32 v72, s1, 7
	v_cmp_gt_i32_e64 s1, s84, v13
	v_mad_nc_u64_u32 v[12:13], s86, v28, v[18:19]
	s_and_b32 s1, s0, s1
	v_writelane_b32 v72, s1, 8
	v_cmp_gt_i32_e64 s1, s84, v16
	v_mad_nc_u64_u32 v[16:17], s86, v23, v[18:19]
	v_mad_nc_u64_u32 v[18:19], s86, v24, v[18:19]
	v_mad_u32 v13, s87, v28, v13
	s_and_b32 s1, s0, s1
	s_delay_alu instid0(SALU_CYCLE_1)
	v_writelane_b32 v72, s1, 9
	v_cmp_gt_i32_e64 s1, s84, v25
	v_or_b32_e32 v25, v22, v2
	v_mad_u32 v17, s87, v23, v17
	s_and_b32 s1, s0, s1
	v_mad_u32 v19, s87, v24, v19
	v_writelane_b32 v72, s1, 10
	v_cmp_le_i32_e64 s1, s15, v28
	v_writelane_b32 v72, s8, 11
	s_or_b32 s1, s1, vcc_lo
	s_delay_alu instid0(SALU_CYCLE_1)
	s_or_b32 s1, s1, s8
	v_cmp_le_i32_e64 s8, s15, v22
	v_writelane_b32 v72, s1, 12
	v_cmp_eq_u32_e64 s15, 0, v21
	s_or_b32 s1, s8, vcc_lo
	v_cmp_le_u32_e64 s8, v22, v2
	s_delay_alu instid0(VALU_DEP_1)
	v_writelane_b32 v72, s8, 13
	s_or_b32 s1, s1, s8
	v_cmp_le_u32_e64 s8, v23, v2
	v_writelane_b32 v72, s1, 14
	s_or_b32 s1, s9, vcc_lo
	v_cmp_ne_u32_e64 s9, v2, v23
	s_or_b32 s1, s1, s8
	v_writelane_b32 v72, s8, 15
	v_cmp_le_u32_e64 s8, v24, v2
	v_writelane_b32 v72, s1, 16
	s_or_b32 s1, s10, vcc_lo
	v_cmp_ne_u32_e64 s10, v2, v24
	s_or_b32 s1, s1, s8
	v_writelane_b32 v72, s8, 17
	v_cmp_ne_u32_e64 s8, v2, v22
	v_writelane_b32 v72, s1, 18
	v_cmp_ne_u32_e64 s1, v2, v28
	s_delay_alu instid0(VALU_DEP_1) | instskip(SKIP_1) | instid1(SALU_CYCLE_1)
	v_writelane_b32 v72, s1, 19
	s_or_b32 s1, vcc_lo, s1
	v_writelane_b32 v72, s1, 20
	s_or_b32 s1, vcc_lo, s8
	v_writelane_b32 v72, s8, 21
	v_writelane_b32 v72, s1, 22
	s_or_b32 s1, vcc_lo, s9
	v_writelane_b32 v72, s9, 23
	;; [unrolled: 3-line block ×3, first 2 shown]
	v_writelane_b32 v72, s1, 26
	v_cmp_gt_u32_e64 s1, 0xf0, v20
	s_delay_alu instid0(VALU_DEP_1) | instskip(SKIP_1) | instid1(VALU_DEP_1)
	v_writelane_b32 v72, s1, 27
	v_cmp_gt_u32_e64 s1, 0xe0, v20
	v_writelane_b32 v72, s1, 28
	v_cmp_gt_u32_e64 s1, 0xd0, v20
	s_delay_alu instid0(VALU_DEP_1) | instskip(SKIP_1) | instid1(VALU_DEP_1)
	v_writelane_b32 v72, s1, 29
	v_cmp_gt_u32_e64 s1, 0xc0, v20
	;; [unrolled: 5-line block ×17, first 2 shown]
	v_writelane_b32 v71, s1, 28
	v_cmp_le_u32_e64 s1, v2, v28
	s_delay_alu instid0(VALU_DEP_1) | instskip(SKIP_1) | instid1(VALU_DEP_1)
	v_writelane_b32 v71, s1, 29
	v_cmp_le_u32_e64 s1, v2, v22
	v_writelane_b32 v71, s1, 30
	v_cmp_le_u32_e64 s1, v2, v23
	s_delay_alu instid0(VALU_DEP_1) | instskip(SKIP_1) | instid1(VALU_DEP_1)
	v_writelane_b32 v71, s1, 31
	v_cmp_le_u32_e64 s1, v2, v24
	v_writelane_b32 v70, s1, 0
	v_cmp_gt_u32_e64 s1, 64, v21
	s_delay_alu instid0(VALU_DEP_1) | instskip(SKIP_1) | instid1(VALU_DEP_1)
	v_writelane_b32 v70, s1, 1
	v_cmp_gt_u32_e64 s1, 64, v25
	v_writelane_b32 v70, s1, 2
	v_cmp_gt_u32_e64 s1, 64, v26
	s_delay_alu instid0(VALU_DEP_1) | instskip(SKIP_1) | instid1(VALU_DEP_1)
	v_writelane_b32 v70, s1, 3
	v_cmp_gt_u32_e64 s1, 64, v27
	v_writelane_b32 v70, s1, 4
	s_branch .LBB100_3
.LBB100_2:                              ;   in Loop: Header=BB100_3 Depth=1
	s_wait_xcnt 0x0
	s_or_b32 exec_lo, exec_lo, s1
	v_readlane_b32 s1, v74, 0
	s_add_co_i32 s70, s70, 0x10000
	global_wb scope:SCOPE_DEV
	s_wait_storecnt 0x0
	global_inv scope:SCOPE_DEV
	s_cmp_lt_u32 s70, s1
	s_cbranch_scc0 .LBB100_1195
.LBB100_3:                              ; =>This Loop Header: Depth=1
                                        ;     Child Loop BB100_1067 Depth 2
                                        ;       Child Loop BB100_1069 Depth 3
                                        ;     Child Loop BB100_1107 Depth 2
	v_mov_b32_e32 v22, s70
	v_readlane_b32 s1, v74, 1
	s_clause 0x1
	global_load_b64 v[20:21], v22, s[80:81] scale_offset
	global_load_b64 v[22:23], v22, s[74:75] scale_offset
	global_load_b32 v26, v5, s[72:73]
	s_and_not1_b32 vcc_lo, exec_lo, s1
	s_wait_loadcnt 0x2
	v_add_nc_u64_e32 v[20:21], s[82:83], v[20:21]
	s_cbranch_vccnz .LBB100_13
; %bb.4:                                ;   in Loop: Header=BB100_3 Depth=1
	s_delay_alu instid0(VALU_DEP_1) | instskip(SKIP_3) | instid1(VALU_DEP_2)
	v_lshl_add_u64 v[24:25], v[8:9], 2, v[20:21]
	v_dual_mov_b32 v62, 0 :: v_dual_mov_b32 v61, 0
	s_wait_loadcnt 0x0
	s_barrier_signal -1
	v_lshl_add_u64 v[24:25], v[6:7], 2, v[24:25]
	s_barrier_wait -1
	s_wait_xcnt 0x0
	s_mov_b32 s1, exec_lo
	v_readlane_b32 s8, v72, 7
	s_and_b32 s8, s1, s8
	s_delay_alu instid0(SALU_CYCLE_1)
	s_mov_b32 exec_lo, s8
	s_cbranch_execz .LBB100_6
; %bb.5:                                ;   in Loop: Header=BB100_3 Depth=1
	flat_load_b32 v61, v[24:25]
.LBB100_6:                              ;   in Loop: Header=BB100_3 Depth=1
	s_wait_xcnt 0x0
	s_or_b32 exec_lo, exec_lo, s1
	s_wait_loadcnt_dscnt 0x0
	s_barrier_signal -1
	s_barrier_wait -1
	s_mov_b32 s1, exec_lo
	v_readlane_b32 s8, v72, 8
	s_and_b32 s8, s1, s8
	s_delay_alu instid0(SALU_CYCLE_1)
	s_mov_b32 exec_lo, s8
	s_cbranch_execz .LBB100_8
; %bb.7:                                ;   in Loop: Header=BB100_3 Depth=1
	v_add_nc_u64_e32 v[62:63], s[90:91], v[24:25]
	flat_load_b32 v62, v[62:63]
.LBB100_8:                              ;   in Loop: Header=BB100_3 Depth=1
	s_wait_xcnt 0x0
	s_or_b32 exec_lo, exec_lo, s1
	v_dual_mov_b32 v64, 0 :: v_dual_mov_b32 v63, 0
	s_wait_loadcnt_dscnt 0x0
	s_barrier_signal -1
	s_barrier_wait -1
	s_mov_b32 s1, exec_lo
	v_readlane_b32 s8, v72, 9
	s_and_b32 s8, s1, s8
	s_delay_alu instid0(SALU_CYCLE_1)
	s_mov_b32 exec_lo, s8
	s_cbranch_execz .LBB100_10
; %bb.9:                                ;   in Loop: Header=BB100_3 Depth=1
	v_add_nc_u64_e32 v[66:67], s[92:93], v[24:25]
	flat_load_b32 v63, v[66:67]
.LBB100_10:                             ;   in Loop: Header=BB100_3 Depth=1
	s_wait_xcnt 0x0
	s_or_b32 exec_lo, exec_lo, s1
	s_wait_loadcnt_dscnt 0x0
	s_barrier_signal -1
	s_barrier_wait -1
	s_mov_b32 s1, exec_lo
	v_readlane_b32 s8, v72, 10
	s_and_b32 s8, s1, s8
	s_delay_alu instid0(SALU_CYCLE_1)
	s_mov_b32 exec_lo, s8
	s_cbranch_execz .LBB100_12
; %bb.11:                               ;   in Loop: Header=BB100_3 Depth=1
	v_add_nc_u64_e32 v[24:25], s[94:95], v[24:25]
	flat_load_b32 v64, v[24:25]
.LBB100_12:                             ;   in Loop: Header=BB100_3 Depth=1
	s_wait_xcnt 0x0
	s_or_b32 exec_lo, exec_lo, s1
.LBB100_13:                             ;   in Loop: Header=BB100_3 Depth=1
	s_delay_alu instid0(SALU_CYCLE_1)
	s_and_not1_b32 vcc_lo, exec_lo, s100
	s_mov_b32 s1, -1
	s_cbranch_vccnz .LBB100_49
; %bb.14:                               ;   in Loop: Header=BB100_3 Depth=1
	s_mov_b32 s1, 0
                                        ; implicit-def: $vgpr24
	s_wait_xcnt 0x0
	s_mov_b32 s8, exec_lo
	v_readlane_b32 s9, v72, 11
	s_and_b32 s9, s8, s9
	s_delay_alu instid0(SALU_CYCLE_1)
	s_xor_b32 s10, s9, s8
	s_mov_b32 exec_lo, s9
	s_cbranch_execnz .LBB100_1129
; %bb.15:                               ;   in Loop: Header=BB100_3 Depth=1
	s_and_not1_saveexec_b32 s8, s10
	s_cbranch_execnz .LBB100_1134
.LBB100_16:                             ;   in Loop: Header=BB100_3 Depth=1
	s_or_b32 exec_lo, exec_lo, s8
	s_and_saveexec_b32 s8, s1
.LBB100_17:                             ;   in Loop: Header=BB100_3 Depth=1
	ds_store_b32 v53, v24
.LBB100_18:                             ;   in Loop: Header=BB100_3 Depth=1
	s_or_b32 exec_lo, exec_lo, s8
	s_delay_alu instid0(SALU_CYCLE_1) | instskip(SKIP_2) | instid1(SALU_CYCLE_1)
	s_mov_b32 s1, exec_lo
	v_readlane_b32 s8, v72, 13
	s_and_b32 s8, s1, s8
	s_xor_b32 s10, s8, s1
	s_mov_b32 exec_lo, s8
	s_cbranch_execz .LBB100_26
; %bb.19:                               ;   in Loop: Header=BB100_3 Depth=1
	s_mov_b32 s1, exec_lo
	v_readlane_b32 s8, v72, 21
	s_and_b32 s8, s1, s8
	s_delay_alu instid0(SALU_CYCLE_1)
	s_xor_b32 s1, s8, s1
	s_mov_b32 exec_lo, s8
	s_cbranch_execz .LBB100_23
; %bb.20:                               ;   in Loop: Header=BB100_3 Depth=1
	s_mov_b32 s8, exec_lo
	v_readlane_b32 s9, v70, 2
	s_and_b32 s9, s8, s9
	s_delay_alu instid0(SALU_CYCLE_1)
	s_mov_b32 exec_lo, s9
; %bb.21:                               ;   in Loop: Header=BB100_3 Depth=1
	ds_store_b32 v56, v5
; %bb.22:                               ;   in Loop: Header=BB100_3 Depth=1
	s_or_b32 exec_lo, exec_lo, s8
.LBB100_23:                             ;   in Loop: Header=BB100_3 Depth=1
	s_and_not1_saveexec_b32 s1, s1
	s_cbranch_execz .LBB100_25
; %bb.24:                               ;   in Loop: Header=BB100_3 Depth=1
	v_lshl_add_u64 v[24:25], v[14:15], 2, v[20:21]
	flat_load_b32 v24, v[24:25]
	s_wait_loadcnt_dscnt 0x0
	v_div_scale_f32 v25, null, v24, v24, 1.0
	s_delay_alu instid0(VALU_DEP_1) | instskip(SKIP_1) | instid1(TRANS32_DEP_1)
	v_rcp_f32_e32 v27, v25
	v_nop
	v_fma_f32 v65, -v25, v27, 1.0
	s_delay_alu instid0(VALU_DEP_1) | instskip(SKIP_1) | instid1(VALU_DEP_1)
	v_fmac_f32_e32 v27, v65, v27
	v_div_scale_f32 v65, vcc_lo, 1.0, v24, 1.0
	v_mul_f32_e32 v66, v65, v27
	s_delay_alu instid0(VALU_DEP_1) | instskip(NEXT) | instid1(VALU_DEP_1)
	v_fma_f32 v67, -v25, v66, v65
	v_fmac_f32_e32 v66, v67, v27
	s_delay_alu instid0(VALU_DEP_1) | instskip(NEXT) | instid1(VALU_DEP_1)
	v_fma_f32 v25, -v25, v66, v65
	v_div_fmas_f32 v25, v25, v27, v66
	s_delay_alu instid0(VALU_DEP_1)
	v_div_fixup_f32 v24, v25, v24, 1.0
	ds_store_b32 v56, v24
.LBB100_25:                             ;   in Loop: Header=BB100_3 Depth=1
	s_or_b32 exec_lo, exec_lo, s1
.LBB100_26:                             ;   in Loop: Header=BB100_3 Depth=1
	s_and_not1_saveexec_b32 s1, s10
	s_cbranch_execz .LBB100_28
; %bb.27:                               ;   in Loop: Header=BB100_3 Depth=1
	v_lshl_add_u64 v[24:25], v[14:15], 2, v[20:21]
	flat_load_b32 v24, v[24:25]
	s_wait_loadcnt_dscnt 0x0
	v_xor_b32_e32 v24, 0x80000000, v24
	ds_store_b32 v56, v24
.LBB100_28:                             ;   in Loop: Header=BB100_3 Depth=1
	s_or_b32 exec_lo, exec_lo, s1
	s_delay_alu instid0(SALU_CYCLE_1) | instskip(SKIP_2) | instid1(SALU_CYCLE_1)
	s_mov_b32 s1, exec_lo
	v_readlane_b32 s8, v72, 15
	s_and_b32 s8, s1, s8
	s_xor_b32 s10, s8, s1
	s_mov_b32 exec_lo, s8
	s_cbranch_execz .LBB100_36
; %bb.29:                               ;   in Loop: Header=BB100_3 Depth=1
	s_mov_b32 s1, exec_lo
	v_readlane_b32 s8, v72, 23
	s_and_b32 s8, s1, s8
	s_delay_alu instid0(SALU_CYCLE_1)
	s_xor_b32 s1, s8, s1
	s_mov_b32 exec_lo, s8
	s_cbranch_execz .LBB100_33
; %bb.30:                               ;   in Loop: Header=BB100_3 Depth=1
	s_mov_b32 s8, exec_lo
	v_readlane_b32 s9, v70, 3
	s_and_b32 s9, s8, s9
	s_delay_alu instid0(SALU_CYCLE_1)
	s_mov_b32 exec_lo, s9
; %bb.31:                               ;   in Loop: Header=BB100_3 Depth=1
	ds_store_b32 v57, v5
; %bb.32:                               ;   in Loop: Header=BB100_3 Depth=1
	s_or_b32 exec_lo, exec_lo, s8
.LBB100_33:                             ;   in Loop: Header=BB100_3 Depth=1
	s_and_not1_saveexec_b32 s1, s1
	s_cbranch_execz .LBB100_35
; %bb.34:                               ;   in Loop: Header=BB100_3 Depth=1
	v_lshl_add_u64 v[24:25], v[16:17], 2, v[20:21]
	flat_load_b32 v24, v[24:25]
	s_wait_loadcnt_dscnt 0x0
	v_div_scale_f32 v25, null, v24, v24, 1.0
	s_delay_alu instid0(VALU_DEP_1) | instskip(SKIP_1) | instid1(TRANS32_DEP_1)
	v_rcp_f32_e32 v27, v25
	v_nop
	v_fma_f32 v65, -v25, v27, 1.0
	s_delay_alu instid0(VALU_DEP_1) | instskip(SKIP_1) | instid1(VALU_DEP_1)
	v_fmac_f32_e32 v27, v65, v27
	v_div_scale_f32 v65, vcc_lo, 1.0, v24, 1.0
	v_mul_f32_e32 v66, v65, v27
	s_delay_alu instid0(VALU_DEP_1) | instskip(NEXT) | instid1(VALU_DEP_1)
	v_fma_f32 v67, -v25, v66, v65
	v_fmac_f32_e32 v66, v67, v27
	s_delay_alu instid0(VALU_DEP_1) | instskip(NEXT) | instid1(VALU_DEP_1)
	v_fma_f32 v25, -v25, v66, v65
	v_div_fmas_f32 v25, v25, v27, v66
	s_delay_alu instid0(VALU_DEP_1)
	v_div_fixup_f32 v24, v25, v24, 1.0
	ds_store_b32 v57, v24
.LBB100_35:                             ;   in Loop: Header=BB100_3 Depth=1
	s_or_b32 exec_lo, exec_lo, s1
.LBB100_36:                             ;   in Loop: Header=BB100_3 Depth=1
	s_and_not1_saveexec_b32 s1, s10
	s_cbranch_execz .LBB100_38
; %bb.37:                               ;   in Loop: Header=BB100_3 Depth=1
	v_lshl_add_u64 v[24:25], v[16:17], 2, v[20:21]
	flat_load_b32 v24, v[24:25]
	s_wait_loadcnt_dscnt 0x0
	v_xor_b32_e32 v24, 0x80000000, v24
	ds_store_b32 v57, v24
.LBB100_38:                             ;   in Loop: Header=BB100_3 Depth=1
	;; [unrolled: 63-line block ×3, first 2 shown]
	s_or_b32 exec_lo, exec_lo, s1
	s_mov_b32 s1, 0
.LBB100_49:                             ;   in Loop: Header=BB100_3 Depth=1
	s_delay_alu instid0(SALU_CYCLE_1)
	s_and_b32 vcc_lo, exec_lo, s1
	s_cbranch_vccz .LBB100_85
; %bb.50:                               ;   in Loop: Header=BB100_3 Depth=1
	s_mov_b32 s1, 0
                                        ; implicit-def: $vgpr24
	s_wait_xcnt 0x0
	s_mov_b32 s8, exec_lo
	v_readlane_b32 s9, v72, 12
	s_and_b32 s9, s8, s9
	s_delay_alu instid0(SALU_CYCLE_1)
	s_xor_b32 s10, s9, s8
	s_mov_b32 exec_lo, s9
	s_cbranch_execnz .LBB100_1135
; %bb.51:                               ;   in Loop: Header=BB100_3 Depth=1
	s_and_not1_saveexec_b32 s8, s10
	s_cbranch_execnz .LBB100_1140
.LBB100_52:                             ;   in Loop: Header=BB100_3 Depth=1
	s_or_b32 exec_lo, exec_lo, s8
	s_and_saveexec_b32 s8, s1
.LBB100_53:                             ;   in Loop: Header=BB100_3 Depth=1
	ds_store_b32 v53, v24
.LBB100_54:                             ;   in Loop: Header=BB100_3 Depth=1
	s_or_b32 exec_lo, exec_lo, s8
	s_delay_alu instid0(SALU_CYCLE_1) | instskip(SKIP_2) | instid1(SALU_CYCLE_1)
	s_mov_b32 s1, exec_lo
	v_readlane_b32 s8, v72, 14
	s_and_b32 s8, s1, s8
	s_xor_b32 s10, s8, s1
	s_mov_b32 exec_lo, s8
	s_cbranch_execz .LBB100_62
; %bb.55:                               ;   in Loop: Header=BB100_3 Depth=1
	s_mov_b32 s1, exec_lo
	v_readlane_b32 s8, v72, 22
	s_and_b32 s8, s1, s8
	s_delay_alu instid0(SALU_CYCLE_1)
	s_xor_b32 s1, s8, s1
	s_mov_b32 exec_lo, s8
	s_cbranch_execz .LBB100_59
; %bb.56:                               ;   in Loop: Header=BB100_3 Depth=1
	s_mov_b32 s8, exec_lo
	v_readlane_b32 s9, v70, 2
	s_and_b32 s9, s8, s9
	s_delay_alu instid0(SALU_CYCLE_1)
	s_mov_b32 exec_lo, s9
; %bb.57:                               ;   in Loop: Header=BB100_3 Depth=1
	ds_store_b32 v56, v5
; %bb.58:                               ;   in Loop: Header=BB100_3 Depth=1
	s_or_b32 exec_lo, exec_lo, s8
.LBB100_59:                             ;   in Loop: Header=BB100_3 Depth=1
	s_and_not1_saveexec_b32 s1, s1
	s_cbranch_execz .LBB100_61
; %bb.60:                               ;   in Loop: Header=BB100_3 Depth=1
	v_lshl_add_u64 v[24:25], v[14:15], 2, v[20:21]
	flat_load_b32 v24, v[24:25]
	s_wait_loadcnt_dscnt 0x0
	v_div_scale_f32 v25, null, v24, v24, 1.0
	s_delay_alu instid0(VALU_DEP_1) | instskip(SKIP_1) | instid1(TRANS32_DEP_1)
	v_rcp_f32_e32 v27, v25
	v_nop
	v_fma_f32 v65, -v25, v27, 1.0
	s_delay_alu instid0(VALU_DEP_1) | instskip(SKIP_1) | instid1(VALU_DEP_1)
	v_fmac_f32_e32 v27, v65, v27
	v_div_scale_f32 v65, vcc_lo, 1.0, v24, 1.0
	v_mul_f32_e32 v66, v65, v27
	s_delay_alu instid0(VALU_DEP_1) | instskip(NEXT) | instid1(VALU_DEP_1)
	v_fma_f32 v67, -v25, v66, v65
	v_fmac_f32_e32 v66, v67, v27
	s_delay_alu instid0(VALU_DEP_1) | instskip(NEXT) | instid1(VALU_DEP_1)
	v_fma_f32 v25, -v25, v66, v65
	v_div_fmas_f32 v25, v25, v27, v66
	s_delay_alu instid0(VALU_DEP_1)
	v_div_fixup_f32 v24, v25, v24, 1.0
	ds_store_b32 v56, v24
.LBB100_61:                             ;   in Loop: Header=BB100_3 Depth=1
	s_or_b32 exec_lo, exec_lo, s1
.LBB100_62:                             ;   in Loop: Header=BB100_3 Depth=1
	s_and_not1_saveexec_b32 s1, s10
	s_cbranch_execz .LBB100_64
; %bb.63:                               ;   in Loop: Header=BB100_3 Depth=1
	v_lshl_add_u64 v[24:25], v[14:15], 2, v[20:21]
	flat_load_b32 v24, v[24:25]
	s_wait_loadcnt_dscnt 0x0
	v_xor_b32_e32 v24, 0x80000000, v24
	ds_store_b32 v56, v24
.LBB100_64:                             ;   in Loop: Header=BB100_3 Depth=1
	s_or_b32 exec_lo, exec_lo, s1
	s_delay_alu instid0(SALU_CYCLE_1) | instskip(SKIP_2) | instid1(SALU_CYCLE_1)
	s_mov_b32 s1, exec_lo
	v_readlane_b32 s8, v72, 16
	s_and_b32 s8, s1, s8
	s_xor_b32 s10, s8, s1
	s_mov_b32 exec_lo, s8
	s_cbranch_execz .LBB100_72
; %bb.65:                               ;   in Loop: Header=BB100_3 Depth=1
	s_mov_b32 s1, exec_lo
	v_readlane_b32 s8, v72, 24
	s_and_b32 s8, s1, s8
	s_delay_alu instid0(SALU_CYCLE_1)
	s_xor_b32 s1, s8, s1
	s_mov_b32 exec_lo, s8
	s_cbranch_execz .LBB100_69
; %bb.66:                               ;   in Loop: Header=BB100_3 Depth=1
	s_mov_b32 s8, exec_lo
	v_readlane_b32 s9, v70, 3
	s_and_b32 s9, s8, s9
	s_delay_alu instid0(SALU_CYCLE_1)
	s_mov_b32 exec_lo, s9
; %bb.67:                               ;   in Loop: Header=BB100_3 Depth=1
	ds_store_b32 v57, v5
; %bb.68:                               ;   in Loop: Header=BB100_3 Depth=1
	s_or_b32 exec_lo, exec_lo, s8
.LBB100_69:                             ;   in Loop: Header=BB100_3 Depth=1
	s_and_not1_saveexec_b32 s1, s1
	s_cbranch_execz .LBB100_71
; %bb.70:                               ;   in Loop: Header=BB100_3 Depth=1
	v_lshl_add_u64 v[24:25], v[16:17], 2, v[20:21]
	flat_load_b32 v24, v[24:25]
	s_wait_loadcnt_dscnt 0x0
	v_div_scale_f32 v25, null, v24, v24, 1.0
	s_delay_alu instid0(VALU_DEP_1) | instskip(SKIP_1) | instid1(TRANS32_DEP_1)
	v_rcp_f32_e32 v27, v25
	v_nop
	v_fma_f32 v65, -v25, v27, 1.0
	s_delay_alu instid0(VALU_DEP_1) | instskip(SKIP_1) | instid1(VALU_DEP_1)
	v_fmac_f32_e32 v27, v65, v27
	v_div_scale_f32 v65, vcc_lo, 1.0, v24, 1.0
	v_mul_f32_e32 v66, v65, v27
	s_delay_alu instid0(VALU_DEP_1) | instskip(NEXT) | instid1(VALU_DEP_1)
	v_fma_f32 v67, -v25, v66, v65
	v_fmac_f32_e32 v66, v67, v27
	s_delay_alu instid0(VALU_DEP_1) | instskip(NEXT) | instid1(VALU_DEP_1)
	v_fma_f32 v25, -v25, v66, v65
	v_div_fmas_f32 v25, v25, v27, v66
	s_delay_alu instid0(VALU_DEP_1)
	v_div_fixup_f32 v24, v25, v24, 1.0
	ds_store_b32 v57, v24
.LBB100_71:                             ;   in Loop: Header=BB100_3 Depth=1
	s_or_b32 exec_lo, exec_lo, s1
.LBB100_72:                             ;   in Loop: Header=BB100_3 Depth=1
	s_and_not1_saveexec_b32 s1, s10
	s_cbranch_execz .LBB100_74
; %bb.73:                               ;   in Loop: Header=BB100_3 Depth=1
	v_lshl_add_u64 v[24:25], v[16:17], 2, v[20:21]
	flat_load_b32 v24, v[24:25]
	s_wait_loadcnt_dscnt 0x0
	v_xor_b32_e32 v24, 0x80000000, v24
	ds_store_b32 v57, v24
.LBB100_74:                             ;   in Loop: Header=BB100_3 Depth=1
	;; [unrolled: 63-line block ×3, first 2 shown]
	s_or_b32 exec_lo, exec_lo, s1
.LBB100_85:                             ;   in Loop: Header=BB100_3 Depth=1
	s_delay_alu instid0(SALU_CYCLE_1)
	s_and_not1_b32 vcc_lo, exec_lo, s102
	s_wait_loadcnt_dscnt 0x0
	s_barrier_signal -1
	s_barrier_wait -1
	s_cbranch_vccnz .LBB100_1061
; %bb.86:                               ;   in Loop: Header=BB100_3 Depth=1
	s_and_saveexec_b32 s1, s15
	s_cbranch_execz .LBB100_88
; %bb.87:                               ;   in Loop: Header=BB100_3 Depth=1
	ds_load_b64 v[24:25], v5 offset:16376
	ds_load_b32 v27, v5 offset:16120
	s_wait_dscnt 0x0
	v_mul_f32_e32 v25, v27, v25
	s_delay_alu instid0(VALU_DEP_1)
	v_mul_f32_e32 v24, v24, v25
	ds_store_b32 v5, v24 offset:16376
.LBB100_88:                             ;   in Loop: Header=BB100_3 Depth=1
	s_or_b32 exec_lo, exec_lo, s1
	v_mov_b32_e32 v24, 0
	s_wait_dscnt 0x0
	s_barrier_signal -1
	s_barrier_wait -1
	global_wb scope:SCOPE_DEV
	s_wait_storecnt 0x0
	global_inv scope:SCOPE_DEV
	s_and_saveexec_b32 s1, s2
	s_cbranch_execz .LBB100_92
; %bb.89:                               ;   in Loop: Header=BB100_3 Depth=1
	ds_load_b32 v24, v30 offset:16112
	ds_load_b32 v25, v29 offset:16376
	s_wait_dscnt 0x0
	v_fma_f32 v24, v24, v25, 0
	s_and_saveexec_b32 s8, s16
	s_cbranch_execz .LBB100_91
; %bb.90:                               ;   in Loop: Header=BB100_3 Depth=1
	ds_load_b32 v25, v31 offset:16368
	ds_load_b32 v27, v5 offset:16380
	s_wait_dscnt 0x0
	v_fmac_f32_e32 v24, v25, v27
.LBB100_91:                             ;   in Loop: Header=BB100_3 Depth=1
	s_or_b32 exec_lo, exec_lo, s8
.LBB100_92:                             ;   in Loop: Header=BB100_3 Depth=1
	s_delay_alu instid0(SALU_CYCLE_1)
	s_or_b32 exec_lo, exec_lo, s1
	s_and_saveexec_b32 s1, s103
	s_cbranch_execz .LBB100_94
; %bb.93:                               ;   in Loop: Header=BB100_3 Depth=1
	ds_load_b32 v25, v5 offset:15860
	s_wait_dscnt 0x0
	v_mul_f32_e32 v24, v24, v25
	s_delay_alu instid0(VALU_DEP_1)
	v_xor_b32_e32 v25, 0x80000000, v24
	ds_store_b32 v3, v25
.LBB100_94:                             ;   in Loop: Header=BB100_3 Depth=1
	s_or_b32 exec_lo, exec_lo, s1
	s_wait_loadcnt_dscnt 0x0
	s_barrier_signal -1
	s_barrier_wait -1
	s_and_saveexec_b32 s1, s104
	s_cbranch_execz .LBB100_96
; %bb.95:                               ;   in Loop: Header=BB100_3 Depth=1
	ds_load_b32 v25, v5 offset:15856
	ds_load_b32 v27, v3
	s_wait_dscnt 0x0
	v_fma_f32 v24, -v25, v27, v24
.LBB100_96:                             ;   in Loop: Header=BB100_3 Depth=1
	s_or_b32 exec_lo, exec_lo, s1
	s_barrier_signal -1
	s_barrier_wait -1
	s_and_saveexec_b32 s1, s104
	s_cbranch_execz .LBB100_98
; %bb.97:                               ;   in Loop: Header=BB100_3 Depth=1
	ds_load_b32 v25, v5 offset:15600
	s_wait_dscnt 0x0
	v_mul_f32_e32 v24, v24, v25
	s_delay_alu instid0(VALU_DEP_1)
	v_xor_b32_e32 v25, 0x80000000, v24
	ds_store_b32 v3, v25
.LBB100_98:                             ;   in Loop: Header=BB100_3 Depth=1
	s_or_b32 exec_lo, exec_lo, s1
	s_wait_dscnt 0x0
	s_barrier_signal -1
	s_barrier_wait -1
	s_barrier_signal -1
	s_barrier_wait -1
	s_and_saveexec_b32 s1, s2
; %bb.99:                               ;   in Loop: Header=BB100_3 Depth=1
	ds_store_b32 v32, v24 offset:16368
; %bb.100:                              ;   in Loop: Header=BB100_3 Depth=1
	s_or_b32 exec_lo, exec_lo, s1
	s_wait_dscnt 0x0
	s_barrier_signal -1
	s_barrier_wait -1
	s_barrier_signal -1
	s_barrier_wait -1
	s_and_saveexec_b32 s1, s15
	s_cbranch_execz .LBB100_102
; %bb.101:                              ;   in Loop: Header=BB100_3 Depth=1
	ds_load_b64 v[24:25], v5 offset:15856
	ds_load_b32 v27, v5 offset:15600
	s_wait_dscnt 0x0
	v_mul_f32_e32 v25, v27, v25
	s_delay_alu instid0(VALU_DEP_1)
	v_mul_f32_e32 v24, v24, v25
	ds_store_b32 v5, v24 offset:15856
.LBB100_102:                            ;   in Loop: Header=BB100_3 Depth=1
	s_or_b32 exec_lo, exec_lo, s1
	v_mov_b32_e32 v24, 0
	s_wait_dscnt 0x0
	s_barrier_signal -1
	s_barrier_wait -1
	global_wb scope:SCOPE_DEV
	s_wait_storecnt 0x0
	global_inv scope:SCOPE_DEV
	s_and_saveexec_b32 s10, s3
	s_cbranch_execz .LBB100_108
; %bb.103:                              ;   in Loop: Header=BB100_3 Depth=1
	ds_load_b32 v24, v35 offset:15584
	ds_load_b32 v25, v34 offset:16368
	s_wait_dscnt 0x0
	v_fma_f32 v24, v24, v25, 0
	s_and_saveexec_b32 s1, s17
	s_cbranch_execnz .LBB100_1145
; %bb.104:                              ;   in Loop: Header=BB100_3 Depth=1
	s_or_b32 exec_lo, exec_lo, s1
	s_and_saveexec_b32 s1, s18
	s_cbranch_execnz .LBB100_1146
.LBB100_105:                            ;   in Loop: Header=BB100_3 Depth=1
	s_or_b32 exec_lo, exec_lo, s1
	s_and_saveexec_b32 s1, s2
	s_cbranch_execz .LBB100_107
.LBB100_106:                            ;   in Loop: Header=BB100_3 Depth=1
	ds_load_b32 v25, v31 offset:16352
	ds_load_b32 v27, v5 offset:16380
	s_wait_dscnt 0x0
	v_fmac_f32_e32 v24, v25, v27
.LBB100_107:                            ;   in Loop: Header=BB100_3 Depth=1
	s_or_b32 exec_lo, exec_lo, s1
.LBB100_108:                            ;   in Loop: Header=BB100_3 Depth=1
	s_delay_alu instid0(SALU_CYCLE_1)
	s_or_b32 exec_lo, exec_lo, s10
	s_and_saveexec_b32 s1, vcc_hi
	s_cbranch_execz .LBB100_110
; %bb.109:                              ;   in Loop: Header=BB100_3 Depth=1
	ds_load_b32 v25, v5 offset:15340
	s_wait_dscnt 0x0
	v_mul_f32_e32 v24, v24, v25
	s_delay_alu instid0(VALU_DEP_1)
	v_xor_b32_e32 v25, 0x80000000, v24
	ds_store_b32 v33, v25
.LBB100_110:                            ;   in Loop: Header=BB100_3 Depth=1
	s_or_b32 exec_lo, exec_lo, s1
	s_wait_loadcnt_dscnt 0x0
	s_barrier_signal -1
	s_barrier_wait -1
	s_and_saveexec_b32 s1, s36
	s_cbranch_execz .LBB100_112
; %bb.111:                              ;   in Loop: Header=BB100_3 Depth=1
	ds_load_b32 v25, v35 offset:15328
	ds_load_b32 v27, v33
	s_wait_dscnt 0x0
	v_fma_f32 v24, -v25, v27, v24
.LBB100_112:                            ;   in Loop: Header=BB100_3 Depth=1
	s_or_b32 exec_lo, exec_lo, s1
	s_barrier_signal -1
	s_barrier_wait -1
	s_and_saveexec_b32 s1, s37
	s_cbranch_execz .LBB100_114
; %bb.113:                              ;   in Loop: Header=BB100_3 Depth=1
	ds_load_b32 v25, v5 offset:15080
	s_wait_dscnt 0x0
	v_mul_f32_e32 v24, v24, v25
	s_delay_alu instid0(VALU_DEP_1)
	v_xor_b32_e32 v25, 0x80000000, v24
	ds_store_b32 v33, v25
.LBB100_114:                            ;   in Loop: Header=BB100_3 Depth=1
	s_or_b32 exec_lo, exec_lo, s1
	s_wait_dscnt 0x0
	s_barrier_signal -1
	s_barrier_wait -1
	s_and_saveexec_b32 s1, s38
	s_cbranch_execz .LBB100_116
; %bb.115:                              ;   in Loop: Header=BB100_3 Depth=1
	ds_load_b32 v25, v35 offset:15072
	ds_load_b32 v27, v33
	s_wait_dscnt 0x0
	v_fma_f32 v24, -v25, v27, v24
.LBB100_116:                            ;   in Loop: Header=BB100_3 Depth=1
	s_or_b32 exec_lo, exec_lo, s1
	s_barrier_signal -1
	s_barrier_wait -1
	s_and_saveexec_b32 s1, s39
	s_cbranch_execz .LBB100_118
; %bb.117:                              ;   in Loop: Header=BB100_3 Depth=1
	ds_load_b32 v25, v5 offset:14820
	s_wait_dscnt 0x0
	v_mul_f32_e32 v24, v24, v25
	s_delay_alu instid0(VALU_DEP_1)
	v_xor_b32_e32 v25, 0x80000000, v24
	ds_store_b32 v33, v25
.LBB100_118:                            ;   in Loop: Header=BB100_3 Depth=1
	s_or_b32 exec_lo, exec_lo, s1
	s_wait_dscnt 0x0
	;; [unrolled: 25-line block ×3, first 2 shown]
	s_barrier_signal -1
	s_barrier_wait -1
	s_barrier_signal -1
	s_barrier_wait -1
	s_and_saveexec_b32 s1, s3
; %bb.123:                              ;   in Loop: Header=BB100_3 Depth=1
	ds_store_b32 v36, v24 offset:16352
; %bb.124:                              ;   in Loop: Header=BB100_3 Depth=1
	s_or_b32 exec_lo, exec_lo, s1
	s_wait_dscnt 0x0
	s_barrier_signal -1
	s_barrier_wait -1
	s_barrier_signal -1
	s_barrier_wait -1
	s_and_saveexec_b32 s1, s15
	s_cbranch_execz .LBB100_126
; %bb.125:                              ;   in Loop: Header=BB100_3 Depth=1
	ds_load_b64 v[24:25], v5 offset:15336
	ds_load_b32 v27, v5 offset:15080
	s_wait_dscnt 0x0
	v_mul_f32_e32 v25, v27, v25
	s_delay_alu instid0(VALU_DEP_1)
	v_mul_f32_e32 v24, v24, v25
	ds_store_b32 v5, v24 offset:15336
.LBB100_126:                            ;   in Loop: Header=BB100_3 Depth=1
	s_or_b32 exec_lo, exec_lo, s1
	v_mov_b32_e32 v24, 0
	s_wait_dscnt 0x0
	s_barrier_signal -1
	s_barrier_wait -1
	global_wb scope:SCOPE_DEV
	s_wait_storecnt 0x0
	global_inv scope:SCOPE_DEV
	s_and_saveexec_b32 s1, s2
	s_cbranch_execz .LBB100_130
; %bb.127:                              ;   in Loop: Header=BB100_3 Depth=1
	ds_load_b32 v24, v30 offset:15072
	ds_load_b32 v25, v29 offset:15336
	s_wait_dscnt 0x0
	v_fma_f32 v24, v24, v25, 0
	s_and_saveexec_b32 s8, s16
	s_cbranch_execz .LBB100_129
; %bb.128:                              ;   in Loop: Header=BB100_3 Depth=1
	ds_load_b32 v25, v31 offset:15328
	ds_load_b32 v27, v5 offset:15340
	s_wait_dscnt 0x0
	v_fmac_f32_e32 v24, v25, v27
.LBB100_129:                            ;   in Loop: Header=BB100_3 Depth=1
	s_or_b32 exec_lo, exec_lo, s8
.LBB100_130:                            ;   in Loop: Header=BB100_3 Depth=1
	s_delay_alu instid0(SALU_CYCLE_1)
	s_or_b32 exec_lo, exec_lo, s1
	s_and_saveexec_b32 s1, s103
	s_cbranch_execz .LBB100_132
; %bb.131:                              ;   in Loop: Header=BB100_3 Depth=1
	ds_load_b32 v25, v5 offset:14820
	s_wait_dscnt 0x0
	v_mul_f32_e32 v24, v24, v25
	s_delay_alu instid0(VALU_DEP_1)
	v_xor_b32_e32 v25, 0x80000000, v24
	ds_store_b32 v3, v25
.LBB100_132:                            ;   in Loop: Header=BB100_3 Depth=1
	s_or_b32 exec_lo, exec_lo, s1
	s_wait_loadcnt_dscnt 0x0
	s_barrier_signal -1
	s_barrier_wait -1
	s_and_saveexec_b32 s1, s104
	s_cbranch_execz .LBB100_134
; %bb.133:                              ;   in Loop: Header=BB100_3 Depth=1
	ds_load_b32 v25, v5 offset:14816
	ds_load_b32 v27, v3
	s_wait_dscnt 0x0
	v_fma_f32 v24, -v25, v27, v24
.LBB100_134:                            ;   in Loop: Header=BB100_3 Depth=1
	s_or_b32 exec_lo, exec_lo, s1
	s_barrier_signal -1
	s_barrier_wait -1
	s_and_saveexec_b32 s1, s104
	s_cbranch_execz .LBB100_136
; %bb.135:                              ;   in Loop: Header=BB100_3 Depth=1
	ds_load_b32 v25, v5 offset:14560
	s_wait_dscnt 0x0
	v_mul_f32_e32 v24, v24, v25
	s_delay_alu instid0(VALU_DEP_1)
	v_xor_b32_e32 v25, 0x80000000, v24
	ds_store_b32 v3, v25
.LBB100_136:                            ;   in Loop: Header=BB100_3 Depth=1
	s_or_b32 exec_lo, exec_lo, s1
	s_wait_dscnt 0x0
	s_barrier_signal -1
	s_barrier_wait -1
	s_barrier_signal -1
	s_barrier_wait -1
	s_and_saveexec_b32 s1, s2
; %bb.137:                              ;   in Loop: Header=BB100_3 Depth=1
	ds_store_b32 v32, v24 offset:15328
; %bb.138:                              ;   in Loop: Header=BB100_3 Depth=1
	s_or_b32 exec_lo, exec_lo, s1
	s_wait_dscnt 0x0
	s_barrier_signal -1
	s_barrier_wait -1
	s_barrier_signal -1
	s_barrier_wait -1
	s_and_saveexec_b32 s1, s15
	s_cbranch_execz .LBB100_140
; %bb.139:                              ;   in Loop: Header=BB100_3 Depth=1
	ds_load_b64 v[24:25], v5 offset:14816
	ds_load_b32 v27, v5 offset:14560
	s_wait_dscnt 0x0
	v_mul_f32_e32 v25, v27, v25
	s_delay_alu instid0(VALU_DEP_1)
	v_mul_f32_e32 v24, v24, v25
	ds_store_b32 v5, v24 offset:14816
.LBB100_140:                            ;   in Loop: Header=BB100_3 Depth=1
	s_or_b32 exec_lo, exec_lo, s1
	v_mov_b32_e32 v24, 0
	s_wait_dscnt 0x0
	s_barrier_signal -1
	s_barrier_wait -1
	global_wb scope:SCOPE_DEV
	s_wait_storecnt 0x0
	global_inv scope:SCOPE_DEV
	s_and_saveexec_b32 s10, s4
	s_cbranch_execz .LBB100_150
; %bb.141:                              ;   in Loop: Header=BB100_3 Depth=1
	ds_load_b32 v24, v39 offset:14528
	ds_load_b32 v25, v38 offset:16352
	s_wait_dscnt 0x0
	v_fma_f32 v24, v24, v25, 0
	s_and_saveexec_b32 s1, s19
	s_cbranch_execnz .LBB100_1147
; %bb.142:                              ;   in Loop: Header=BB100_3 Depth=1
	s_or_b32 exec_lo, exec_lo, s1
	s_and_saveexec_b32 s1, s20
	s_cbranch_execnz .LBB100_1148
.LBB100_143:                            ;   in Loop: Header=BB100_3 Depth=1
	s_or_b32 exec_lo, exec_lo, s1
	s_and_saveexec_b32 s1, s21
	s_cbranch_execnz .LBB100_1149
.LBB100_144:                            ;   in Loop: Header=BB100_3 Depth=1
	s_or_b32 exec_lo, exec_lo, s1
	s_and_saveexec_b32 s1, s22
	s_cbranch_execnz .LBB100_1150
.LBB100_145:                            ;   in Loop: Header=BB100_3 Depth=1
	s_or_b32 exec_lo, exec_lo, s1
	s_and_saveexec_b32 s1, s23
	s_cbranch_execnz .LBB100_1151
.LBB100_146:                            ;   in Loop: Header=BB100_3 Depth=1
	s_or_b32 exec_lo, exec_lo, s1
	s_and_saveexec_b32 s1, s3
	s_cbranch_execnz .LBB100_1152
.LBB100_147:                            ;   in Loop: Header=BB100_3 Depth=1
	s_or_b32 exec_lo, exec_lo, s1
	s_and_saveexec_b32 s1, s18
	s_cbranch_execz .LBB100_149
.LBB100_148:                            ;   in Loop: Header=BB100_3 Depth=1
	ds_load_b32 v25, v31 offset:16320
	ds_load_b32 v27, v5 offset:16380
	s_wait_dscnt 0x0
	v_fmac_f32_e32 v24, v25, v27
.LBB100_149:                            ;   in Loop: Header=BB100_3 Depth=1
	s_or_b32 exec_lo, exec_lo, s1
.LBB100_150:                            ;   in Loop: Header=BB100_3 Depth=1
	s_delay_alu instid0(SALU_CYCLE_1)
	s_or_b32 exec_lo, exec_lo, s10
	s_and_saveexec_b32 s1, s41
	s_cbranch_execz .LBB100_152
; %bb.151:                              ;   in Loop: Header=BB100_3 Depth=1
	ds_load_b32 v25, v5 offset:14300
	s_wait_dscnt 0x0
	v_mul_f32_e32 v24, v24, v25
	s_delay_alu instid0(VALU_DEP_1)
	v_xor_b32_e32 v25, 0x80000000, v24
	ds_store_b32 v37, v25
.LBB100_152:                            ;   in Loop: Header=BB100_3 Depth=1
	s_or_b32 exec_lo, exec_lo, s1
	s_wait_loadcnt_dscnt 0x0
	s_barrier_signal -1
	s_barrier_wait -1
	s_and_saveexec_b32 s1, s42
	s_cbranch_execz .LBB100_154
; %bb.153:                              ;   in Loop: Header=BB100_3 Depth=1
	ds_load_b32 v25, v39 offset:14272
	ds_load_b32 v27, v37
	s_wait_dscnt 0x0
	v_fma_f32 v24, -v25, v27, v24
.LBB100_154:                            ;   in Loop: Header=BB100_3 Depth=1
	s_or_b32 exec_lo, exec_lo, s1
	s_barrier_signal -1
	s_barrier_wait -1
	s_and_saveexec_b32 s1, s43
	s_cbranch_execz .LBB100_156
; %bb.155:                              ;   in Loop: Header=BB100_3 Depth=1
	ds_load_b32 v25, v5 offset:14040
	s_wait_dscnt 0x0
	v_mul_f32_e32 v24, v24, v25
	s_delay_alu instid0(VALU_DEP_1)
	v_xor_b32_e32 v25, 0x80000000, v24
	ds_store_b32 v37, v25
.LBB100_156:                            ;   in Loop: Header=BB100_3 Depth=1
	s_or_b32 exec_lo, exec_lo, s1
	s_wait_dscnt 0x0
	s_barrier_signal -1
	s_barrier_wait -1
	s_and_saveexec_b32 s1, s44
	s_cbranch_execz .LBB100_158
; %bb.157:                              ;   in Loop: Header=BB100_3 Depth=1
	ds_load_b32 v25, v39 offset:14016
	ds_load_b32 v27, v37
	s_wait_dscnt 0x0
	v_fma_f32 v24, -v25, v27, v24
.LBB100_158:                            ;   in Loop: Header=BB100_3 Depth=1
	s_or_b32 exec_lo, exec_lo, s1
	s_barrier_signal -1
	s_barrier_wait -1
	s_and_saveexec_b32 s1, s45
	s_cbranch_execz .LBB100_160
; %bb.159:                              ;   in Loop: Header=BB100_3 Depth=1
	ds_load_b32 v25, v5 offset:13780
	s_wait_dscnt 0x0
	v_mul_f32_e32 v24, v24, v25
	s_delay_alu instid0(VALU_DEP_1)
	v_xor_b32_e32 v25, 0x80000000, v24
	ds_store_b32 v37, v25
.LBB100_160:                            ;   in Loop: Header=BB100_3 Depth=1
	s_or_b32 exec_lo, exec_lo, s1
	s_wait_dscnt 0x0
	;; [unrolled: 25-line block ×7, first 2 shown]
	s_barrier_signal -1
	s_barrier_wait -1
	s_barrier_signal -1
	s_barrier_wait -1
	s_and_saveexec_b32 s1, s4
; %bb.181:                              ;   in Loop: Header=BB100_3 Depth=1
	ds_store_b32 v40, v24 offset:16320
; %bb.182:                              ;   in Loop: Header=BB100_3 Depth=1
	s_or_b32 exec_lo, exec_lo, s1
	s_wait_dscnt 0x0
	s_barrier_signal -1
	s_barrier_wait -1
	s_barrier_signal -1
	s_barrier_wait -1
	s_and_saveexec_b32 s1, s15
	s_cbranch_execz .LBB100_184
; %bb.183:                              ;   in Loop: Header=BB100_3 Depth=1
	ds_load_b64 v[24:25], v5 offset:14296
	ds_load_b32 v27, v5 offset:14040
	s_wait_dscnt 0x0
	v_mul_f32_e32 v25, v27, v25
	s_delay_alu instid0(VALU_DEP_1)
	v_mul_f32_e32 v24, v24, v25
	ds_store_b32 v5, v24 offset:14296
.LBB100_184:                            ;   in Loop: Header=BB100_3 Depth=1
	s_or_b32 exec_lo, exec_lo, s1
	v_mov_b32_e32 v24, 0
	s_wait_dscnt 0x0
	s_barrier_signal -1
	s_barrier_wait -1
	global_wb scope:SCOPE_DEV
	s_wait_storecnt 0x0
	global_inv scope:SCOPE_DEV
	s_and_saveexec_b32 s1, s2
	s_cbranch_execz .LBB100_188
; %bb.185:                              ;   in Loop: Header=BB100_3 Depth=1
	ds_load_b32 v24, v30 offset:14032
	ds_load_b32 v25, v29 offset:14296
	s_wait_dscnt 0x0
	v_fma_f32 v24, v24, v25, 0
	s_and_saveexec_b32 s8, s16
	s_cbranch_execz .LBB100_187
; %bb.186:                              ;   in Loop: Header=BB100_3 Depth=1
	ds_load_b32 v25, v31 offset:14288
	ds_load_b32 v27, v5 offset:14300
	s_wait_dscnt 0x0
	v_fmac_f32_e32 v24, v25, v27
.LBB100_187:                            ;   in Loop: Header=BB100_3 Depth=1
	s_or_b32 exec_lo, exec_lo, s8
.LBB100_188:                            ;   in Loop: Header=BB100_3 Depth=1
	s_delay_alu instid0(SALU_CYCLE_1)
	s_or_b32 exec_lo, exec_lo, s1
	s_and_saveexec_b32 s1, s103
	s_cbranch_execz .LBB100_190
; %bb.189:                              ;   in Loop: Header=BB100_3 Depth=1
	ds_load_b32 v25, v5 offset:13780
	s_wait_dscnt 0x0
	v_mul_f32_e32 v24, v24, v25
	s_delay_alu instid0(VALU_DEP_1)
	v_xor_b32_e32 v25, 0x80000000, v24
	ds_store_b32 v3, v25
.LBB100_190:                            ;   in Loop: Header=BB100_3 Depth=1
	s_or_b32 exec_lo, exec_lo, s1
	s_wait_loadcnt_dscnt 0x0
	s_barrier_signal -1
	s_barrier_wait -1
	s_and_saveexec_b32 s1, s104
	s_cbranch_execz .LBB100_192
; %bb.191:                              ;   in Loop: Header=BB100_3 Depth=1
	ds_load_b32 v25, v5 offset:13776
	ds_load_b32 v27, v3
	s_wait_dscnt 0x0
	v_fma_f32 v24, -v25, v27, v24
.LBB100_192:                            ;   in Loop: Header=BB100_3 Depth=1
	s_or_b32 exec_lo, exec_lo, s1
	s_barrier_signal -1
	s_barrier_wait -1
	s_and_saveexec_b32 s1, s104
	s_cbranch_execz .LBB100_194
; %bb.193:                              ;   in Loop: Header=BB100_3 Depth=1
	ds_load_b32 v25, v5 offset:13520
	s_wait_dscnt 0x0
	v_mul_f32_e32 v24, v24, v25
	s_delay_alu instid0(VALU_DEP_1)
	v_xor_b32_e32 v25, 0x80000000, v24
	ds_store_b32 v3, v25
.LBB100_194:                            ;   in Loop: Header=BB100_3 Depth=1
	s_or_b32 exec_lo, exec_lo, s1
	s_wait_dscnt 0x0
	s_barrier_signal -1
	s_barrier_wait -1
	s_barrier_signal -1
	s_barrier_wait -1
	s_and_saveexec_b32 s1, s2
; %bb.195:                              ;   in Loop: Header=BB100_3 Depth=1
	ds_store_b32 v32, v24 offset:14288
; %bb.196:                              ;   in Loop: Header=BB100_3 Depth=1
	s_or_b32 exec_lo, exec_lo, s1
	s_wait_dscnt 0x0
	s_barrier_signal -1
	s_barrier_wait -1
	s_barrier_signal -1
	s_barrier_wait -1
	s_and_saveexec_b32 s1, s15
	s_cbranch_execz .LBB100_198
; %bb.197:                              ;   in Loop: Header=BB100_3 Depth=1
	ds_load_b64 v[24:25], v5 offset:13776
	ds_load_b32 v27, v5 offset:13520
	s_wait_dscnt 0x0
	v_mul_f32_e32 v25, v27, v25
	s_delay_alu instid0(VALU_DEP_1)
	v_mul_f32_e32 v24, v24, v25
	ds_store_b32 v5, v24 offset:13776
.LBB100_198:                            ;   in Loop: Header=BB100_3 Depth=1
	s_or_b32 exec_lo, exec_lo, s1
	v_mov_b32_e32 v24, 0
	s_wait_dscnt 0x0
	s_barrier_signal -1
	s_barrier_wait -1
	global_wb scope:SCOPE_DEV
	s_wait_storecnt 0x0
	global_inv scope:SCOPE_DEV
	s_and_saveexec_b32 s10, s3
	s_cbranch_execz .LBB100_204
; %bb.199:                              ;   in Loop: Header=BB100_3 Depth=1
	ds_load_b32 v24, v35 offset:13504
	ds_load_b32 v25, v34 offset:14288
	s_wait_dscnt 0x0
	v_fma_f32 v24, v24, v25, 0
	s_and_saveexec_b32 s1, s17
	s_cbranch_execnz .LBB100_1153
; %bb.200:                              ;   in Loop: Header=BB100_3 Depth=1
	s_or_b32 exec_lo, exec_lo, s1
	s_and_saveexec_b32 s1, s18
	s_cbranch_execnz .LBB100_1154
.LBB100_201:                            ;   in Loop: Header=BB100_3 Depth=1
	s_or_b32 exec_lo, exec_lo, s1
	s_and_saveexec_b32 s1, s2
	s_cbranch_execz .LBB100_203
.LBB100_202:                            ;   in Loop: Header=BB100_3 Depth=1
	ds_load_b32 v25, v31 offset:14272
	ds_load_b32 v27, v5 offset:14300
	s_wait_dscnt 0x0
	v_fmac_f32_e32 v24, v25, v27
.LBB100_203:                            ;   in Loop: Header=BB100_3 Depth=1
	s_or_b32 exec_lo, exec_lo, s1
.LBB100_204:                            ;   in Loop: Header=BB100_3 Depth=1
	s_delay_alu instid0(SALU_CYCLE_1)
	s_or_b32 exec_lo, exec_lo, s10
	s_and_saveexec_b32 s1, vcc_hi
	s_cbranch_execz .LBB100_206
; %bb.205:                              ;   in Loop: Header=BB100_3 Depth=1
	ds_load_b32 v25, v5 offset:13260
	s_wait_dscnt 0x0
	v_mul_f32_e32 v24, v24, v25
	s_delay_alu instid0(VALU_DEP_1)
	v_xor_b32_e32 v25, 0x80000000, v24
	ds_store_b32 v33, v25
.LBB100_206:                            ;   in Loop: Header=BB100_3 Depth=1
	s_or_b32 exec_lo, exec_lo, s1
	s_wait_loadcnt_dscnt 0x0
	s_barrier_signal -1
	s_barrier_wait -1
	s_and_saveexec_b32 s1, s36
	s_cbranch_execz .LBB100_208
; %bb.207:                              ;   in Loop: Header=BB100_3 Depth=1
	ds_load_b32 v25, v35 offset:13248
	ds_load_b32 v27, v33
	s_wait_dscnt 0x0
	v_fma_f32 v24, -v25, v27, v24
.LBB100_208:                            ;   in Loop: Header=BB100_3 Depth=1
	s_or_b32 exec_lo, exec_lo, s1
	s_barrier_signal -1
	s_barrier_wait -1
	s_and_saveexec_b32 s1, s37
	s_cbranch_execz .LBB100_210
; %bb.209:                              ;   in Loop: Header=BB100_3 Depth=1
	ds_load_b32 v25, v5 offset:13000
	s_wait_dscnt 0x0
	v_mul_f32_e32 v24, v24, v25
	s_delay_alu instid0(VALU_DEP_1)
	v_xor_b32_e32 v25, 0x80000000, v24
	ds_store_b32 v33, v25
.LBB100_210:                            ;   in Loop: Header=BB100_3 Depth=1
	s_or_b32 exec_lo, exec_lo, s1
	s_wait_dscnt 0x0
	s_barrier_signal -1
	s_barrier_wait -1
	s_and_saveexec_b32 s1, s38
	s_cbranch_execz .LBB100_212
; %bb.211:                              ;   in Loop: Header=BB100_3 Depth=1
	ds_load_b32 v25, v35 offset:12992
	ds_load_b32 v27, v33
	s_wait_dscnt 0x0
	v_fma_f32 v24, -v25, v27, v24
.LBB100_212:                            ;   in Loop: Header=BB100_3 Depth=1
	s_or_b32 exec_lo, exec_lo, s1
	s_barrier_signal -1
	s_barrier_wait -1
	s_and_saveexec_b32 s1, s39
	s_cbranch_execz .LBB100_214
; %bb.213:                              ;   in Loop: Header=BB100_3 Depth=1
	ds_load_b32 v25, v5 offset:12740
	s_wait_dscnt 0x0
	v_mul_f32_e32 v24, v24, v25
	s_delay_alu instid0(VALU_DEP_1)
	v_xor_b32_e32 v25, 0x80000000, v24
	ds_store_b32 v33, v25
.LBB100_214:                            ;   in Loop: Header=BB100_3 Depth=1
	s_or_b32 exec_lo, exec_lo, s1
	s_wait_dscnt 0x0
	s_barrier_signal -1
	s_barrier_wait -1
	s_and_saveexec_b32 s1, s40
	s_cbranch_execz .LBB100_216
; %bb.215:                              ;   in Loop: Header=BB100_3 Depth=1
	ds_load_b32 v25, v5 offset:12736
	ds_load_b32 v27, v33
	s_wait_dscnt 0x0
	v_fma_f32 v24, -v25, v27, v24
.LBB100_216:                            ;   in Loop: Header=BB100_3 Depth=1
	s_or_b32 exec_lo, exec_lo, s1
	s_barrier_signal -1
	s_barrier_wait -1
	s_and_saveexec_b32 s1, s40
	s_cbranch_execz .LBB100_218
; %bb.217:                              ;   in Loop: Header=BB100_3 Depth=1
	ds_load_b32 v25, v5 offset:12480
	s_wait_dscnt 0x0
	v_mul_f32_e32 v24, v24, v25
	s_delay_alu instid0(VALU_DEP_1)
	v_xor_b32_e32 v25, 0x80000000, v24
	ds_store_b32 v33, v25
.LBB100_218:                            ;   in Loop: Header=BB100_3 Depth=1
	s_or_b32 exec_lo, exec_lo, s1
	s_wait_dscnt 0x0
	s_barrier_signal -1
	s_barrier_wait -1
	s_barrier_signal -1
	s_barrier_wait -1
	s_and_saveexec_b32 s1, s3
; %bb.219:                              ;   in Loop: Header=BB100_3 Depth=1
	ds_store_b32 v36, v24 offset:14272
; %bb.220:                              ;   in Loop: Header=BB100_3 Depth=1
	s_or_b32 exec_lo, exec_lo, s1
	s_wait_dscnt 0x0
	s_barrier_signal -1
	s_barrier_wait -1
	s_barrier_signal -1
	s_barrier_wait -1
	s_and_saveexec_b32 s1, s15
	s_cbranch_execz .LBB100_222
; %bb.221:                              ;   in Loop: Header=BB100_3 Depth=1
	ds_load_b64 v[24:25], v5 offset:13256
	ds_load_b32 v27, v5 offset:13000
	s_wait_dscnt 0x0
	v_mul_f32_e32 v25, v27, v25
	s_delay_alu instid0(VALU_DEP_1)
	v_mul_f32_e32 v24, v24, v25
	ds_store_b32 v5, v24 offset:13256
.LBB100_222:                            ;   in Loop: Header=BB100_3 Depth=1
	s_or_b32 exec_lo, exec_lo, s1
	v_mov_b32_e32 v24, 0
	s_wait_dscnt 0x0
	s_barrier_signal -1
	s_barrier_wait -1
	global_wb scope:SCOPE_DEV
	s_wait_storecnt 0x0
	global_inv scope:SCOPE_DEV
	s_and_saveexec_b32 s1, s2
	s_cbranch_execz .LBB100_226
; %bb.223:                              ;   in Loop: Header=BB100_3 Depth=1
	ds_load_b32 v24, v30 offset:12992
	ds_load_b32 v25, v29 offset:13256
	s_wait_dscnt 0x0
	v_fma_f32 v24, v24, v25, 0
	s_and_saveexec_b32 s8, s16
	s_cbranch_execz .LBB100_225
; %bb.224:                              ;   in Loop: Header=BB100_3 Depth=1
	ds_load_b32 v25, v31 offset:13248
	ds_load_b32 v27, v5 offset:13260
	s_wait_dscnt 0x0
	v_fmac_f32_e32 v24, v25, v27
.LBB100_225:                            ;   in Loop: Header=BB100_3 Depth=1
	s_or_b32 exec_lo, exec_lo, s8
.LBB100_226:                            ;   in Loop: Header=BB100_3 Depth=1
	s_delay_alu instid0(SALU_CYCLE_1)
	s_or_b32 exec_lo, exec_lo, s1
	s_and_saveexec_b32 s1, s103
	s_cbranch_execz .LBB100_228
; %bb.227:                              ;   in Loop: Header=BB100_3 Depth=1
	ds_load_b32 v25, v5 offset:12740
	s_wait_dscnt 0x0
	v_mul_f32_e32 v24, v24, v25
	s_delay_alu instid0(VALU_DEP_1)
	v_xor_b32_e32 v25, 0x80000000, v24
	ds_store_b32 v3, v25
.LBB100_228:                            ;   in Loop: Header=BB100_3 Depth=1
	s_or_b32 exec_lo, exec_lo, s1
	s_wait_loadcnt_dscnt 0x0
	s_barrier_signal -1
	s_barrier_wait -1
	s_and_saveexec_b32 s1, s104
	s_cbranch_execz .LBB100_230
; %bb.229:                              ;   in Loop: Header=BB100_3 Depth=1
	ds_load_b32 v25, v5 offset:12736
	ds_load_b32 v27, v3
	s_wait_dscnt 0x0
	v_fma_f32 v24, -v25, v27, v24
.LBB100_230:                            ;   in Loop: Header=BB100_3 Depth=1
	s_or_b32 exec_lo, exec_lo, s1
	s_barrier_signal -1
	s_barrier_wait -1
	s_and_saveexec_b32 s1, s104
	s_cbranch_execz .LBB100_232
; %bb.231:                              ;   in Loop: Header=BB100_3 Depth=1
	ds_load_b32 v25, v5 offset:12480
	s_wait_dscnt 0x0
	v_mul_f32_e32 v24, v24, v25
	s_delay_alu instid0(VALU_DEP_1)
	v_xor_b32_e32 v25, 0x80000000, v24
	ds_store_b32 v3, v25
.LBB100_232:                            ;   in Loop: Header=BB100_3 Depth=1
	s_or_b32 exec_lo, exec_lo, s1
	s_wait_dscnt 0x0
	s_barrier_signal -1
	s_barrier_wait -1
	s_barrier_signal -1
	s_barrier_wait -1
	s_and_saveexec_b32 s1, s2
; %bb.233:                              ;   in Loop: Header=BB100_3 Depth=1
	ds_store_b32 v32, v24 offset:13248
; %bb.234:                              ;   in Loop: Header=BB100_3 Depth=1
	s_or_b32 exec_lo, exec_lo, s1
	s_wait_dscnt 0x0
	s_barrier_signal -1
	s_barrier_wait -1
	s_barrier_signal -1
	s_barrier_wait -1
	s_and_saveexec_b32 s1, s15
	s_cbranch_execz .LBB100_236
; %bb.235:                              ;   in Loop: Header=BB100_3 Depth=1
	ds_load_b64 v[24:25], v5 offset:12736
	ds_load_b32 v27, v5 offset:12480
	s_wait_dscnt 0x0
	v_mul_f32_e32 v25, v27, v25
	s_delay_alu instid0(VALU_DEP_1)
	v_mul_f32_e32 v24, v24, v25
	ds_store_b32 v5, v24 offset:12736
.LBB100_236:                            ;   in Loop: Header=BB100_3 Depth=1
	s_or_b32 exec_lo, exec_lo, s1
	v_mov_b32_e32 v24, 0
	s_wait_dscnt 0x0
	s_barrier_signal -1
	s_barrier_wait -1
	global_wb scope:SCOPE_DEV
	s_wait_storecnt 0x0
	global_inv scope:SCOPE_DEV
	s_and_saveexec_b32 s10, s5
	s_cbranch_execz .LBB100_264
; %bb.237:                              ;   in Loop: Header=BB100_3 Depth=1
	ds_load_b32 v24, v43 offset:12416
	ds_load_b32 v25, v42 offset:16320
	s_wait_dscnt 0x0
	v_fma_f32 v24, v24, v25, 0
	s_mov_b32 s1, exec_lo
	v_readlane_b32 s8, v72, 27
	s_and_b32 s8, s1, s8
	s_delay_alu instid0(SALU_CYCLE_1)
	s_mov_b32 exec_lo, s8
	s_cbranch_execz .LBB100_239
; %bb.238:                              ;   in Loop: Header=BB100_3 Depth=1
	ds_load_b32 v25, v43 offset:12672
	ds_load_b32 v27, v42 offset:16324
	s_wait_dscnt 0x0
	v_fmac_f32_e32 v24, v25, v27
.LBB100_239:                            ;   in Loop: Header=BB100_3 Depth=1
	s_or_b32 exec_lo, exec_lo, s1
	s_delay_alu instid0(SALU_CYCLE_1) | instskip(SKIP_2) | instid1(SALU_CYCLE_1)
	s_mov_b32 s1, exec_lo
	v_readlane_b32 s8, v72, 28
	s_and_b32 s8, s1, s8
	s_mov_b32 exec_lo, s8
	s_cbranch_execz .LBB100_241
; %bb.240:                              ;   in Loop: Header=BB100_3 Depth=1
	ds_load_b32 v25, v43 offset:12928
	ds_load_b32 v27, v42 offset:16328
	s_wait_dscnt 0x0
	v_fmac_f32_e32 v24, v25, v27
.LBB100_241:                            ;   in Loop: Header=BB100_3 Depth=1
	s_or_b32 exec_lo, exec_lo, s1
	s_delay_alu instid0(SALU_CYCLE_1) | instskip(SKIP_2) | instid1(SALU_CYCLE_1)
	s_mov_b32 s1, exec_lo
	v_readlane_b32 s8, v72, 29
	s_and_b32 s8, s1, s8
	s_mov_b32 exec_lo, s8
	s_cbranch_execz .LBB100_243
; %bb.242:                              ;   in Loop: Header=BB100_3 Depth=1
	ds_load_b32 v25, v43 offset:13184
	ds_load_b32 v27, v42 offset:16332
	s_wait_dscnt 0x0
	v_fmac_f32_e32 v24, v25, v27
.LBB100_243:                            ;   in Loop: Header=BB100_3 Depth=1
	s_or_b32 exec_lo, exec_lo, s1
	s_delay_alu instid0(SALU_CYCLE_1) | instskip(SKIP_2) | instid1(SALU_CYCLE_1)
	s_mov_b32 s1, exec_lo
	v_readlane_b32 s8, v72, 30
	s_and_b32 s8, s1, s8
	s_mov_b32 exec_lo, s8
	s_cbranch_execz .LBB100_245
; %bb.244:                              ;   in Loop: Header=BB100_3 Depth=1
	ds_load_b32 v25, v43 offset:13440
	ds_load_b32 v27, v42 offset:16336
	s_wait_dscnt 0x0
	v_fmac_f32_e32 v24, v25, v27
.LBB100_245:                            ;   in Loop: Header=BB100_3 Depth=1
	s_or_b32 exec_lo, exec_lo, s1
	s_delay_alu instid0(SALU_CYCLE_1) | instskip(SKIP_2) | instid1(SALU_CYCLE_1)
	s_mov_b32 s1, exec_lo
	v_readlane_b32 s8, v72, 31
	s_and_b32 s8, s1, s8
	s_mov_b32 exec_lo, s8
	s_cbranch_execz .LBB100_247
; %bb.246:                              ;   in Loop: Header=BB100_3 Depth=1
	ds_load_b32 v25, v43 offset:13696
	ds_load_b32 v27, v42 offset:16340
	s_wait_dscnt 0x0
	v_fmac_f32_e32 v24, v25, v27
.LBB100_247:                            ;   in Loop: Header=BB100_3 Depth=1
	s_or_b32 exec_lo, exec_lo, s1
	s_delay_alu instid0(SALU_CYCLE_1) | instskip(SKIP_2) | instid1(SALU_CYCLE_1)
	s_mov_b32 s1, exec_lo
	v_readlane_b32 s8, v71, 0
	s_and_b32 s8, s1, s8
	s_mov_b32 exec_lo, s8
	s_cbranch_execz .LBB100_249
; %bb.248:                              ;   in Loop: Header=BB100_3 Depth=1
	ds_load_b32 v25, v43 offset:13952
	ds_load_b32 v27, v42 offset:16344
	s_wait_dscnt 0x0
	v_fmac_f32_e32 v24, v25, v27
.LBB100_249:                            ;   in Loop: Header=BB100_3 Depth=1
	s_or_b32 exec_lo, exec_lo, s1
	s_delay_alu instid0(SALU_CYCLE_1) | instskip(SKIP_2) | instid1(SALU_CYCLE_1)
	s_mov_b32 s1, exec_lo
	v_readlane_b32 s8, v71, 1
	s_and_b32 s8, s1, s8
	s_mov_b32 exec_lo, s8
	s_cbranch_execz .LBB100_251
; %bb.250:                              ;   in Loop: Header=BB100_3 Depth=1
	ds_load_b32 v25, v43 offset:14208
	ds_load_b32 v27, v42 offset:16348
	s_wait_dscnt 0x0
	v_fmac_f32_e32 v24, v25, v27
.LBB100_251:                            ;   in Loop: Header=BB100_3 Depth=1
	s_or_b32 exec_lo, exec_lo, s1
	s_delay_alu instid0(SALU_CYCLE_1) | instskip(SKIP_2) | instid1(SALU_CYCLE_1)
	s_mov_b32 s1, exec_lo
	v_readlane_b32 s8, v71, 2
	s_and_b32 s8, s1, s8
	s_mov_b32 exec_lo, s8
	s_cbranch_execz .LBB100_253
; %bb.252:                              ;   in Loop: Header=BB100_3 Depth=1
	ds_load_b32 v25, v43 offset:14464
	ds_load_b32 v27, v42 offset:16352
	s_wait_dscnt 0x0
	v_fmac_f32_e32 v24, v25, v27
.LBB100_253:                            ;   in Loop: Header=BB100_3 Depth=1
	s_or_b32 exec_lo, exec_lo, s1
	s_delay_alu instid0(SALU_CYCLE_1) | instskip(SKIP_2) | instid1(SALU_CYCLE_1)
	s_mov_b32 s1, exec_lo
	v_readlane_b32 s8, v71, 3
	s_and_b32 s8, s1, s8
	s_mov_b32 exec_lo, s8
	s_cbranch_execz .LBB100_255
; %bb.254:                              ;   in Loop: Header=BB100_3 Depth=1
	ds_load_b32 v25, v43 offset:14720
	ds_load_b32 v27, v42 offset:16356
	s_wait_dscnt 0x0
	v_fmac_f32_e32 v24, v25, v27
.LBB100_255:                            ;   in Loop: Header=BB100_3 Depth=1
	s_or_b32 exec_lo, exec_lo, s1
	s_delay_alu instid0(SALU_CYCLE_1) | instskip(SKIP_2) | instid1(SALU_CYCLE_1)
	s_mov_b32 s1, exec_lo
	v_readlane_b32 s8, v71, 4
	s_and_b32 s8, s1, s8
	s_mov_b32 exec_lo, s8
	s_cbranch_execz .LBB100_257
; %bb.256:                              ;   in Loop: Header=BB100_3 Depth=1
	ds_load_b32 v25, v43 offset:14976
	ds_load_b32 v27, v42 offset:16360
	s_wait_dscnt 0x0
	v_fmac_f32_e32 v24, v25, v27
.LBB100_257:                            ;   in Loop: Header=BB100_3 Depth=1
	s_or_b32 exec_lo, exec_lo, s1
	s_delay_alu instid0(SALU_CYCLE_1) | instskip(SKIP_2) | instid1(SALU_CYCLE_1)
	s_mov_b32 s1, exec_lo
	v_readlane_b32 s8, v71, 5
	s_and_b32 s8, s1, s8
	s_mov_b32 exec_lo, s8
	s_cbranch_execnz .LBB100_1155
; %bb.258:                              ;   in Loop: Header=BB100_3 Depth=1
	s_or_b32 exec_lo, exec_lo, s1
	s_and_saveexec_b32 s1, s4
	s_cbranch_execnz .LBB100_1156
.LBB100_259:                            ;   in Loop: Header=BB100_3 Depth=1
	s_or_b32 exec_lo, exec_lo, s1
	s_and_saveexec_b32 s1, s20
	s_cbranch_execnz .LBB100_1157
.LBB100_260:                            ;   in Loop: Header=BB100_3 Depth=1
	s_or_b32 exec_lo, exec_lo, s1
	s_and_saveexec_b32 s1, s22
	s_cbranch_execnz .LBB100_1158
.LBB100_261:                            ;   in Loop: Header=BB100_3 Depth=1
	s_or_b32 exec_lo, exec_lo, s1
	s_and_saveexec_b32 s1, s3
	s_cbranch_execz .LBB100_263
.LBB100_262:                            ;   in Loop: Header=BB100_3 Depth=1
	ds_load_b32 v25, v31 offset:16256
	ds_load_b32 v27, v5 offset:16380
	s_wait_dscnt 0x0
	v_fmac_f32_e32 v24, v25, v27
.LBB100_263:                            ;   in Loop: Header=BB100_3 Depth=1
	s_or_b32 exec_lo, exec_lo, s1
.LBB100_264:                            ;   in Loop: Header=BB100_3 Depth=1
	s_delay_alu instid0(SALU_CYCLE_1) | instskip(NEXT) | instid1(SALU_CYCLE_1)
	s_or_b32 exec_lo, exec_lo, s10
	s_mov_b32 s1, exec_lo
	v_readlane_b32 s8, v74, 2
	s_and_b32 s8, s1, s8
	s_delay_alu instid0(SALU_CYCLE_1)
	s_mov_b32 exec_lo, s8
	s_cbranch_execz .LBB100_266
; %bb.265:                              ;   in Loop: Header=BB100_3 Depth=1
	ds_load_b32 v25, v5 offset:12220
	s_wait_dscnt 0x0
	v_mul_f32_e32 v24, v24, v25
	s_delay_alu instid0(VALU_DEP_1)
	v_xor_b32_e32 v25, 0x80000000, v24
	ds_store_b32 v41, v25
.LBB100_266:                            ;   in Loop: Header=BB100_3 Depth=1
	s_or_b32 exec_lo, exec_lo, s1
	s_wait_loadcnt_dscnt 0x0
	s_barrier_signal -1
	s_barrier_wait -1
	s_mov_b32 s1, exec_lo
	v_readlane_b32 s8, v74, 3
	s_and_b32 s8, s1, s8
	s_delay_alu instid0(SALU_CYCLE_1)
	s_mov_b32 exec_lo, s8
	s_cbranch_execz .LBB100_268
; %bb.267:                              ;   in Loop: Header=BB100_3 Depth=1
	ds_load_b32 v25, v43 offset:12160
	ds_load_b32 v27, v41
	s_wait_dscnt 0x0
	v_fma_f32 v24, -v25, v27, v24
.LBB100_268:                            ;   in Loop: Header=BB100_3 Depth=1
	s_or_b32 exec_lo, exec_lo, s1
	s_barrier_signal -1
	s_barrier_wait -1
	s_mov_b32 s1, exec_lo
	v_readlane_b32 s8, v74, 4
	s_and_b32 s8, s1, s8
	s_delay_alu instid0(SALU_CYCLE_1)
	s_mov_b32 exec_lo, s8
	s_cbranch_execz .LBB100_270
; %bb.269:                              ;   in Loop: Header=BB100_3 Depth=1
	ds_load_b32 v25, v5 offset:11960
	s_wait_dscnt 0x0
	v_mul_f32_e32 v24, v24, v25
	s_delay_alu instid0(VALU_DEP_1)
	v_xor_b32_e32 v25, 0x80000000, v24
	ds_store_b32 v41, v25
.LBB100_270:                            ;   in Loop: Header=BB100_3 Depth=1
	s_or_b32 exec_lo, exec_lo, s1
	s_wait_dscnt 0x0
	s_barrier_signal -1
	s_barrier_wait -1
	s_mov_b32 s1, exec_lo
	v_readlane_b32 s8, v74, 5
	s_and_b32 s8, s1, s8
	s_delay_alu instid0(SALU_CYCLE_1)
	s_mov_b32 exec_lo, s8
	s_cbranch_execz .LBB100_272
; %bb.271:                              ;   in Loop: Header=BB100_3 Depth=1
	ds_load_b32 v25, v43 offset:11904
	ds_load_b32 v27, v41
	s_wait_dscnt 0x0
	v_fma_f32 v24, -v25, v27, v24
.LBB100_272:                            ;   in Loop: Header=BB100_3 Depth=1
	s_or_b32 exec_lo, exec_lo, s1
	s_barrier_signal -1
	s_barrier_wait -1
	s_mov_b32 s1, exec_lo
	v_readlane_b32 s8, v74, 6
	s_and_b32 s8, s1, s8
	s_delay_alu instid0(SALU_CYCLE_1)
	s_mov_b32 exec_lo, s8
	s_cbranch_execz .LBB100_274
; %bb.273:                              ;   in Loop: Header=BB100_3 Depth=1
	ds_load_b32 v25, v5 offset:11700
	s_wait_dscnt 0x0
	v_mul_f32_e32 v24, v24, v25
	s_delay_alu instid0(VALU_DEP_1)
	v_xor_b32_e32 v25, 0x80000000, v24
	ds_store_b32 v41, v25
.LBB100_274:                            ;   in Loop: Header=BB100_3 Depth=1
	s_or_b32 exec_lo, exec_lo, s1
	s_wait_dscnt 0x0
	s_barrier_signal -1
	s_barrier_wait -1
	s_mov_b32 s1, exec_lo
	v_readlane_b32 s8, v74, 7
	s_and_b32 s8, s1, s8
	s_delay_alu instid0(SALU_CYCLE_1)
	s_mov_b32 exec_lo, s8
	s_cbranch_execz .LBB100_276
; %bb.275:                              ;   in Loop: Header=BB100_3 Depth=1
	ds_load_b32 v25, v43 offset:11648
	ds_load_b32 v27, v41
	s_wait_dscnt 0x0
	v_fma_f32 v24, -v25, v27, v24
.LBB100_276:                            ;   in Loop: Header=BB100_3 Depth=1
	s_or_b32 exec_lo, exec_lo, s1
	s_barrier_signal -1
	s_barrier_wait -1
	s_and_saveexec_b32 s1, s67
	s_cbranch_execz .LBB100_278
; %bb.277:                              ;   in Loop: Header=BB100_3 Depth=1
	ds_load_b32 v25, v5 offset:11440
	s_wait_dscnt 0x0
	v_mul_f32_e32 v24, v24, v25
	s_delay_alu instid0(VALU_DEP_1)
	v_xor_b32_e32 v25, 0x80000000, v24
	ds_store_b32 v41, v25
.LBB100_278:                            ;   in Loop: Header=BB100_3 Depth=1
	s_or_b32 exec_lo, exec_lo, s1
	s_wait_dscnt 0x0
	s_barrier_signal -1
	s_barrier_wait -1
	s_and_saveexec_b32 s1, s68
	s_cbranch_execz .LBB100_280
; %bb.279:                              ;   in Loop: Header=BB100_3 Depth=1
	ds_load_b32 v25, v43 offset:11392
	ds_load_b32 v27, v41
	s_wait_dscnt 0x0
	v_fma_f32 v24, -v25, v27, v24
.LBB100_280:                            ;   in Loop: Header=BB100_3 Depth=1
	s_or_b32 exec_lo, exec_lo, s1
	s_barrier_signal -1
	s_barrier_wait -1
	s_and_saveexec_b32 s1, s11
	s_cbranch_execz .LBB100_282
; %bb.281:                              ;   in Loop: Header=BB100_3 Depth=1
	ds_load_b32 v25, v5 offset:11180
	s_wait_dscnt 0x0
	v_mul_f32_e32 v24, v24, v25
	s_delay_alu instid0(VALU_DEP_1)
	v_xor_b32_e32 v25, 0x80000000, v24
	ds_store_b32 v41, v25
.LBB100_282:                            ;   in Loop: Header=BB100_3 Depth=1
	s_or_b32 exec_lo, exec_lo, s1
	s_wait_dscnt 0x0
	s_barrier_signal -1
	s_barrier_wait -1
	s_and_saveexec_b32 s1, s14
	;; [unrolled: 25-line block ×12, first 2 shown]
	s_cbranch_execz .LBB100_324
; %bb.323:                              ;   in Loop: Header=BB100_3 Depth=1
	ds_load_b32 v25, v5 offset:8576
	ds_load_b32 v27, v41
	s_wait_dscnt 0x0
	v_fma_f32 v24, -v25, v27, v24
.LBB100_324:                            ;   in Loop: Header=BB100_3 Depth=1
	s_or_b32 exec_lo, exec_lo, s1
	s_barrier_signal -1
	s_barrier_wait -1
	s_and_saveexec_b32 s1, s57
	s_cbranch_execz .LBB100_326
; %bb.325:                              ;   in Loop: Header=BB100_3 Depth=1
	ds_load_b32 v25, v5 offset:8320
	s_wait_dscnt 0x0
	v_mul_f32_e32 v24, v24, v25
	s_delay_alu instid0(VALU_DEP_1)
	v_xor_b32_e32 v25, 0x80000000, v24
	ds_store_b32 v41, v25
.LBB100_326:                            ;   in Loop: Header=BB100_3 Depth=1
	s_or_b32 exec_lo, exec_lo, s1
	s_wait_dscnt 0x0
	s_barrier_signal -1
	s_barrier_wait -1
	s_barrier_signal -1
	s_barrier_wait -1
	s_and_saveexec_b32 s1, s5
; %bb.327:                              ;   in Loop: Header=BB100_3 Depth=1
	ds_store_b32 v44, v24 offset:16256
; %bb.328:                              ;   in Loop: Header=BB100_3 Depth=1
	s_or_b32 exec_lo, exec_lo, s1
	s_wait_dscnt 0x0
	s_barrier_signal -1
	s_barrier_wait -1
	s_barrier_signal -1
	s_barrier_wait -1
	s_and_saveexec_b32 s1, s15
	s_cbranch_execz .LBB100_330
; %bb.329:                              ;   in Loop: Header=BB100_3 Depth=1
	ds_load_b64 v[24:25], v5 offset:12216
	ds_load_b32 v27, v5 offset:11960
	s_wait_dscnt 0x0
	v_mul_f32_e32 v25, v27, v25
	s_delay_alu instid0(VALU_DEP_1)
	v_mul_f32_e32 v24, v24, v25
	ds_store_b32 v5, v24 offset:12216
.LBB100_330:                            ;   in Loop: Header=BB100_3 Depth=1
	s_or_b32 exec_lo, exec_lo, s1
	v_mov_b32_e32 v24, 0
	s_wait_dscnt 0x0
	s_barrier_signal -1
	s_barrier_wait -1
	global_wb scope:SCOPE_DEV
	s_wait_storecnt 0x0
	global_inv scope:SCOPE_DEV
	s_and_saveexec_b32 s1, s2
	s_cbranch_execz .LBB100_334
; %bb.331:                              ;   in Loop: Header=BB100_3 Depth=1
	ds_load_b32 v24, v30 offset:11952
	ds_load_b32 v25, v29 offset:12216
	s_wait_dscnt 0x0
	v_fma_f32 v24, v24, v25, 0
	s_and_saveexec_b32 s8, s16
	s_cbranch_execz .LBB100_333
; %bb.332:                              ;   in Loop: Header=BB100_3 Depth=1
	ds_load_b32 v25, v31 offset:12208
	ds_load_b32 v27, v5 offset:12220
	s_wait_dscnt 0x0
	v_fmac_f32_e32 v24, v25, v27
.LBB100_333:                            ;   in Loop: Header=BB100_3 Depth=1
	s_or_b32 exec_lo, exec_lo, s8
.LBB100_334:                            ;   in Loop: Header=BB100_3 Depth=1
	s_delay_alu instid0(SALU_CYCLE_1)
	s_or_b32 exec_lo, exec_lo, s1
	s_and_saveexec_b32 s1, s103
	s_cbranch_execz .LBB100_336
; %bb.335:                              ;   in Loop: Header=BB100_3 Depth=1
	ds_load_b32 v25, v5 offset:11700
	s_wait_dscnt 0x0
	v_mul_f32_e32 v24, v24, v25
	s_delay_alu instid0(VALU_DEP_1)
	v_xor_b32_e32 v25, 0x80000000, v24
	ds_store_b32 v3, v25
.LBB100_336:                            ;   in Loop: Header=BB100_3 Depth=1
	s_or_b32 exec_lo, exec_lo, s1
	s_wait_loadcnt_dscnt 0x0
	s_barrier_signal -1
	s_barrier_wait -1
	s_and_saveexec_b32 s1, s104
	s_cbranch_execz .LBB100_338
; %bb.337:                              ;   in Loop: Header=BB100_3 Depth=1
	ds_load_b32 v25, v5 offset:11696
	ds_load_b32 v27, v3
	s_wait_dscnt 0x0
	v_fma_f32 v24, -v25, v27, v24
.LBB100_338:                            ;   in Loop: Header=BB100_3 Depth=1
	s_or_b32 exec_lo, exec_lo, s1
	s_barrier_signal -1
	s_barrier_wait -1
	s_and_saveexec_b32 s1, s104
	s_cbranch_execz .LBB100_340
; %bb.339:                              ;   in Loop: Header=BB100_3 Depth=1
	ds_load_b32 v25, v5 offset:11440
	s_wait_dscnt 0x0
	v_mul_f32_e32 v24, v24, v25
	s_delay_alu instid0(VALU_DEP_1)
	v_xor_b32_e32 v25, 0x80000000, v24
	ds_store_b32 v3, v25
.LBB100_340:                            ;   in Loop: Header=BB100_3 Depth=1
	s_or_b32 exec_lo, exec_lo, s1
	s_wait_dscnt 0x0
	s_barrier_signal -1
	s_barrier_wait -1
	s_barrier_signal -1
	s_barrier_wait -1
	s_and_saveexec_b32 s1, s2
; %bb.341:                              ;   in Loop: Header=BB100_3 Depth=1
	ds_store_b32 v32, v24 offset:12208
; %bb.342:                              ;   in Loop: Header=BB100_3 Depth=1
	s_or_b32 exec_lo, exec_lo, s1
	s_wait_dscnt 0x0
	s_barrier_signal -1
	s_barrier_wait -1
	s_barrier_signal -1
	s_barrier_wait -1
	s_and_saveexec_b32 s1, s15
	s_cbranch_execz .LBB100_344
; %bb.343:                              ;   in Loop: Header=BB100_3 Depth=1
	ds_load_b64 v[24:25], v5 offset:11696
	ds_load_b32 v27, v5 offset:11440
	s_wait_dscnt 0x0
	v_mul_f32_e32 v25, v27, v25
	s_delay_alu instid0(VALU_DEP_1)
	v_mul_f32_e32 v24, v24, v25
	ds_store_b32 v5, v24 offset:11696
.LBB100_344:                            ;   in Loop: Header=BB100_3 Depth=1
	s_or_b32 exec_lo, exec_lo, s1
	v_mov_b32_e32 v24, 0
	s_wait_dscnt 0x0
	s_barrier_signal -1
	s_barrier_wait -1
	global_wb scope:SCOPE_DEV
	s_wait_storecnt 0x0
	global_inv scope:SCOPE_DEV
	s_and_saveexec_b32 s10, s3
	s_cbranch_execz .LBB100_350
; %bb.345:                              ;   in Loop: Header=BB100_3 Depth=1
	ds_load_b32 v24, v35 offset:11424
	ds_load_b32 v25, v34 offset:12208
	s_wait_dscnt 0x0
	v_fma_f32 v24, v24, v25, 0
	s_and_saveexec_b32 s1, s17
	s_cbranch_execnz .LBB100_1159
; %bb.346:                              ;   in Loop: Header=BB100_3 Depth=1
	s_or_b32 exec_lo, exec_lo, s1
	s_and_saveexec_b32 s1, s18
	s_cbranch_execnz .LBB100_1160
.LBB100_347:                            ;   in Loop: Header=BB100_3 Depth=1
	s_or_b32 exec_lo, exec_lo, s1
	s_and_saveexec_b32 s1, s2
	s_cbranch_execz .LBB100_349
.LBB100_348:                            ;   in Loop: Header=BB100_3 Depth=1
	ds_load_b32 v25, v31 offset:12192
	ds_load_b32 v27, v5 offset:12220
	s_wait_dscnt 0x0
	v_fmac_f32_e32 v24, v25, v27
.LBB100_349:                            ;   in Loop: Header=BB100_3 Depth=1
	s_or_b32 exec_lo, exec_lo, s1
.LBB100_350:                            ;   in Loop: Header=BB100_3 Depth=1
	s_delay_alu instid0(SALU_CYCLE_1)
	s_or_b32 exec_lo, exec_lo, s10
	s_and_saveexec_b32 s1, vcc_hi
	s_cbranch_execz .LBB100_352
; %bb.351:                              ;   in Loop: Header=BB100_3 Depth=1
	ds_load_b32 v25, v5 offset:11180
	s_wait_dscnt 0x0
	v_mul_f32_e32 v24, v24, v25
	s_delay_alu instid0(VALU_DEP_1)
	v_xor_b32_e32 v25, 0x80000000, v24
	ds_store_b32 v33, v25
.LBB100_352:                            ;   in Loop: Header=BB100_3 Depth=1
	s_or_b32 exec_lo, exec_lo, s1
	s_wait_loadcnt_dscnt 0x0
	s_barrier_signal -1
	s_barrier_wait -1
	s_and_saveexec_b32 s1, s36
	s_cbranch_execz .LBB100_354
; %bb.353:                              ;   in Loop: Header=BB100_3 Depth=1
	ds_load_b32 v25, v35 offset:11168
	ds_load_b32 v27, v33
	s_wait_dscnt 0x0
	v_fma_f32 v24, -v25, v27, v24
.LBB100_354:                            ;   in Loop: Header=BB100_3 Depth=1
	s_or_b32 exec_lo, exec_lo, s1
	s_barrier_signal -1
	s_barrier_wait -1
	s_and_saveexec_b32 s1, s37
	s_cbranch_execz .LBB100_356
; %bb.355:                              ;   in Loop: Header=BB100_3 Depth=1
	ds_load_b32 v25, v5 offset:10920
	s_wait_dscnt 0x0
	v_mul_f32_e32 v24, v24, v25
	s_delay_alu instid0(VALU_DEP_1)
	v_xor_b32_e32 v25, 0x80000000, v24
	ds_store_b32 v33, v25
.LBB100_356:                            ;   in Loop: Header=BB100_3 Depth=1
	s_or_b32 exec_lo, exec_lo, s1
	s_wait_dscnt 0x0
	s_barrier_signal -1
	s_barrier_wait -1
	s_and_saveexec_b32 s1, s38
	s_cbranch_execz .LBB100_358
; %bb.357:                              ;   in Loop: Header=BB100_3 Depth=1
	ds_load_b32 v25, v35 offset:10912
	ds_load_b32 v27, v33
	s_wait_dscnt 0x0
	v_fma_f32 v24, -v25, v27, v24
.LBB100_358:                            ;   in Loop: Header=BB100_3 Depth=1
	s_or_b32 exec_lo, exec_lo, s1
	s_barrier_signal -1
	s_barrier_wait -1
	s_and_saveexec_b32 s1, s39
	s_cbranch_execz .LBB100_360
; %bb.359:                              ;   in Loop: Header=BB100_3 Depth=1
	ds_load_b32 v25, v5 offset:10660
	s_wait_dscnt 0x0
	v_mul_f32_e32 v24, v24, v25
	s_delay_alu instid0(VALU_DEP_1)
	v_xor_b32_e32 v25, 0x80000000, v24
	ds_store_b32 v33, v25
.LBB100_360:                            ;   in Loop: Header=BB100_3 Depth=1
	s_or_b32 exec_lo, exec_lo, s1
	s_wait_dscnt 0x0
	;; [unrolled: 25-line block ×3, first 2 shown]
	s_barrier_signal -1
	s_barrier_wait -1
	s_barrier_signal -1
	s_barrier_wait -1
	s_and_saveexec_b32 s1, s3
; %bb.365:                              ;   in Loop: Header=BB100_3 Depth=1
	ds_store_b32 v36, v24 offset:12192
; %bb.366:                              ;   in Loop: Header=BB100_3 Depth=1
	s_or_b32 exec_lo, exec_lo, s1
	s_wait_dscnt 0x0
	s_barrier_signal -1
	s_barrier_wait -1
	s_barrier_signal -1
	s_barrier_wait -1
	s_and_saveexec_b32 s1, s15
	s_cbranch_execz .LBB100_368
; %bb.367:                              ;   in Loop: Header=BB100_3 Depth=1
	ds_load_b64 v[24:25], v5 offset:11176
	ds_load_b32 v27, v5 offset:10920
	s_wait_dscnt 0x0
	v_mul_f32_e32 v25, v27, v25
	s_delay_alu instid0(VALU_DEP_1)
	v_mul_f32_e32 v24, v24, v25
	ds_store_b32 v5, v24 offset:11176
.LBB100_368:                            ;   in Loop: Header=BB100_3 Depth=1
	s_or_b32 exec_lo, exec_lo, s1
	v_mov_b32_e32 v24, 0
	s_wait_dscnt 0x0
	s_barrier_signal -1
	s_barrier_wait -1
	global_wb scope:SCOPE_DEV
	s_wait_storecnt 0x0
	global_inv scope:SCOPE_DEV
	s_and_saveexec_b32 s1, s2
	s_cbranch_execz .LBB100_372
; %bb.369:                              ;   in Loop: Header=BB100_3 Depth=1
	ds_load_b32 v24, v30 offset:10912
	ds_load_b32 v25, v29 offset:11176
	s_wait_dscnt 0x0
	v_fma_f32 v24, v24, v25, 0
	s_and_saveexec_b32 s8, s16
	s_cbranch_execz .LBB100_371
; %bb.370:                              ;   in Loop: Header=BB100_3 Depth=1
	ds_load_b32 v25, v31 offset:11168
	ds_load_b32 v27, v5 offset:11180
	s_wait_dscnt 0x0
	v_fmac_f32_e32 v24, v25, v27
.LBB100_371:                            ;   in Loop: Header=BB100_3 Depth=1
	s_or_b32 exec_lo, exec_lo, s8
.LBB100_372:                            ;   in Loop: Header=BB100_3 Depth=1
	s_delay_alu instid0(SALU_CYCLE_1)
	s_or_b32 exec_lo, exec_lo, s1
	s_and_saveexec_b32 s1, s103
	s_cbranch_execz .LBB100_374
; %bb.373:                              ;   in Loop: Header=BB100_3 Depth=1
	ds_load_b32 v25, v5 offset:10660
	s_wait_dscnt 0x0
	v_mul_f32_e32 v24, v24, v25
	s_delay_alu instid0(VALU_DEP_1)
	v_xor_b32_e32 v25, 0x80000000, v24
	ds_store_b32 v3, v25
.LBB100_374:                            ;   in Loop: Header=BB100_3 Depth=1
	s_or_b32 exec_lo, exec_lo, s1
	s_wait_loadcnt_dscnt 0x0
	s_barrier_signal -1
	s_barrier_wait -1
	s_and_saveexec_b32 s1, s104
	s_cbranch_execz .LBB100_376
; %bb.375:                              ;   in Loop: Header=BB100_3 Depth=1
	ds_load_b32 v25, v5 offset:10656
	ds_load_b32 v27, v3
	s_wait_dscnt 0x0
	v_fma_f32 v24, -v25, v27, v24
.LBB100_376:                            ;   in Loop: Header=BB100_3 Depth=1
	s_or_b32 exec_lo, exec_lo, s1
	s_barrier_signal -1
	s_barrier_wait -1
	s_and_saveexec_b32 s1, s104
	s_cbranch_execz .LBB100_378
; %bb.377:                              ;   in Loop: Header=BB100_3 Depth=1
	ds_load_b32 v25, v5 offset:10400
	s_wait_dscnt 0x0
	v_mul_f32_e32 v24, v24, v25
	s_delay_alu instid0(VALU_DEP_1)
	v_xor_b32_e32 v25, 0x80000000, v24
	ds_store_b32 v3, v25
.LBB100_378:                            ;   in Loop: Header=BB100_3 Depth=1
	s_or_b32 exec_lo, exec_lo, s1
	s_wait_dscnt 0x0
	s_barrier_signal -1
	s_barrier_wait -1
	s_barrier_signal -1
	s_barrier_wait -1
	s_and_saveexec_b32 s1, s2
; %bb.379:                              ;   in Loop: Header=BB100_3 Depth=1
	ds_store_b32 v32, v24 offset:11168
; %bb.380:                              ;   in Loop: Header=BB100_3 Depth=1
	s_or_b32 exec_lo, exec_lo, s1
	s_wait_dscnt 0x0
	s_barrier_signal -1
	s_barrier_wait -1
	s_barrier_signal -1
	s_barrier_wait -1
	s_and_saveexec_b32 s1, s15
	s_cbranch_execz .LBB100_382
; %bb.381:                              ;   in Loop: Header=BB100_3 Depth=1
	ds_load_b64 v[24:25], v5 offset:10656
	ds_load_b32 v27, v5 offset:10400
	s_wait_dscnt 0x0
	v_mul_f32_e32 v25, v27, v25
	s_delay_alu instid0(VALU_DEP_1)
	v_mul_f32_e32 v24, v24, v25
	ds_store_b32 v5, v24 offset:10656
.LBB100_382:                            ;   in Loop: Header=BB100_3 Depth=1
	s_or_b32 exec_lo, exec_lo, s1
	v_mov_b32_e32 v24, 0
	s_wait_dscnt 0x0
	s_barrier_signal -1
	s_barrier_wait -1
	global_wb scope:SCOPE_DEV
	s_wait_storecnt 0x0
	global_inv scope:SCOPE_DEV
	s_and_saveexec_b32 s10, s4
	s_cbranch_execz .LBB100_392
; %bb.383:                              ;   in Loop: Header=BB100_3 Depth=1
	ds_load_b32 v24, v39 offset:10368
	ds_load_b32 v25, v38 offset:12192
	s_wait_dscnt 0x0
	v_fma_f32 v24, v24, v25, 0
	s_and_saveexec_b32 s1, s19
	s_cbranch_execnz .LBB100_1161
; %bb.384:                              ;   in Loop: Header=BB100_3 Depth=1
	s_or_b32 exec_lo, exec_lo, s1
	s_and_saveexec_b32 s1, s20
	s_cbranch_execnz .LBB100_1162
.LBB100_385:                            ;   in Loop: Header=BB100_3 Depth=1
	s_or_b32 exec_lo, exec_lo, s1
	s_and_saveexec_b32 s1, s21
	s_cbranch_execnz .LBB100_1163
.LBB100_386:                            ;   in Loop: Header=BB100_3 Depth=1
	s_or_b32 exec_lo, exec_lo, s1
	s_and_saveexec_b32 s1, s22
	s_cbranch_execnz .LBB100_1164
.LBB100_387:                            ;   in Loop: Header=BB100_3 Depth=1
	s_or_b32 exec_lo, exec_lo, s1
	s_and_saveexec_b32 s1, s23
	s_cbranch_execnz .LBB100_1165
.LBB100_388:                            ;   in Loop: Header=BB100_3 Depth=1
	s_or_b32 exec_lo, exec_lo, s1
	s_and_saveexec_b32 s1, s3
	s_cbranch_execnz .LBB100_1166
.LBB100_389:                            ;   in Loop: Header=BB100_3 Depth=1
	s_or_b32 exec_lo, exec_lo, s1
	s_and_saveexec_b32 s1, s18
	s_cbranch_execz .LBB100_391
.LBB100_390:                            ;   in Loop: Header=BB100_3 Depth=1
	ds_load_b32 v25, v31 offset:12160
	ds_load_b32 v27, v5 offset:12220
	s_wait_dscnt 0x0
	v_fmac_f32_e32 v24, v25, v27
.LBB100_391:                            ;   in Loop: Header=BB100_3 Depth=1
	s_or_b32 exec_lo, exec_lo, s1
.LBB100_392:                            ;   in Loop: Header=BB100_3 Depth=1
	s_delay_alu instid0(SALU_CYCLE_1)
	s_or_b32 exec_lo, exec_lo, s10
	s_and_saveexec_b32 s1, s41
	s_cbranch_execz .LBB100_394
; %bb.393:                              ;   in Loop: Header=BB100_3 Depth=1
	ds_load_b32 v25, v5 offset:10140
	s_wait_dscnt 0x0
	v_mul_f32_e32 v24, v24, v25
	s_delay_alu instid0(VALU_DEP_1)
	v_xor_b32_e32 v25, 0x80000000, v24
	ds_store_b32 v37, v25
.LBB100_394:                            ;   in Loop: Header=BB100_3 Depth=1
	s_or_b32 exec_lo, exec_lo, s1
	s_wait_loadcnt_dscnt 0x0
	s_barrier_signal -1
	s_barrier_wait -1
	s_and_saveexec_b32 s1, s42
	s_cbranch_execz .LBB100_396
; %bb.395:                              ;   in Loop: Header=BB100_3 Depth=1
	ds_load_b32 v25, v39 offset:10112
	ds_load_b32 v27, v37
	s_wait_dscnt 0x0
	v_fma_f32 v24, -v25, v27, v24
.LBB100_396:                            ;   in Loop: Header=BB100_3 Depth=1
	s_or_b32 exec_lo, exec_lo, s1
	s_barrier_signal -1
	s_barrier_wait -1
	s_and_saveexec_b32 s1, s43
	s_cbranch_execz .LBB100_398
; %bb.397:                              ;   in Loop: Header=BB100_3 Depth=1
	ds_load_b32 v25, v5 offset:9880
	s_wait_dscnt 0x0
	v_mul_f32_e32 v24, v24, v25
	s_delay_alu instid0(VALU_DEP_1)
	v_xor_b32_e32 v25, 0x80000000, v24
	ds_store_b32 v37, v25
.LBB100_398:                            ;   in Loop: Header=BB100_3 Depth=1
	s_or_b32 exec_lo, exec_lo, s1
	s_wait_dscnt 0x0
	s_barrier_signal -1
	s_barrier_wait -1
	s_and_saveexec_b32 s1, s44
	s_cbranch_execz .LBB100_400
; %bb.399:                              ;   in Loop: Header=BB100_3 Depth=1
	ds_load_b32 v25, v39 offset:9856
	ds_load_b32 v27, v37
	s_wait_dscnt 0x0
	v_fma_f32 v24, -v25, v27, v24
.LBB100_400:                            ;   in Loop: Header=BB100_3 Depth=1
	s_or_b32 exec_lo, exec_lo, s1
	s_barrier_signal -1
	s_barrier_wait -1
	s_and_saveexec_b32 s1, s45
	s_cbranch_execz .LBB100_402
; %bb.401:                              ;   in Loop: Header=BB100_3 Depth=1
	ds_load_b32 v25, v5 offset:9620
	s_wait_dscnt 0x0
	v_mul_f32_e32 v24, v24, v25
	s_delay_alu instid0(VALU_DEP_1)
	v_xor_b32_e32 v25, 0x80000000, v24
	ds_store_b32 v37, v25
.LBB100_402:                            ;   in Loop: Header=BB100_3 Depth=1
	s_or_b32 exec_lo, exec_lo, s1
	s_wait_dscnt 0x0
	;; [unrolled: 25-line block ×7, first 2 shown]
	s_barrier_signal -1
	s_barrier_wait -1
	s_barrier_signal -1
	s_barrier_wait -1
	s_and_saveexec_b32 s1, s4
; %bb.423:                              ;   in Loop: Header=BB100_3 Depth=1
	ds_store_b32 v40, v24 offset:12160
; %bb.424:                              ;   in Loop: Header=BB100_3 Depth=1
	s_or_b32 exec_lo, exec_lo, s1
	s_wait_dscnt 0x0
	s_barrier_signal -1
	s_barrier_wait -1
	s_barrier_signal -1
	s_barrier_wait -1
	s_and_saveexec_b32 s1, s15
	s_cbranch_execz .LBB100_426
; %bb.425:                              ;   in Loop: Header=BB100_3 Depth=1
	ds_load_b64 v[24:25], v5 offset:10136
	ds_load_b32 v27, v5 offset:9880
	s_wait_dscnt 0x0
	v_mul_f32_e32 v25, v27, v25
	s_delay_alu instid0(VALU_DEP_1)
	v_mul_f32_e32 v24, v24, v25
	ds_store_b32 v5, v24 offset:10136
.LBB100_426:                            ;   in Loop: Header=BB100_3 Depth=1
	s_or_b32 exec_lo, exec_lo, s1
	v_mov_b32_e32 v24, 0
	s_wait_dscnt 0x0
	s_barrier_signal -1
	s_barrier_wait -1
	global_wb scope:SCOPE_DEV
	s_wait_storecnt 0x0
	global_inv scope:SCOPE_DEV
	s_and_saveexec_b32 s1, s2
	s_cbranch_execz .LBB100_430
; %bb.427:                              ;   in Loop: Header=BB100_3 Depth=1
	ds_load_b32 v24, v30 offset:9872
	ds_load_b32 v25, v29 offset:10136
	s_wait_dscnt 0x0
	v_fma_f32 v24, v24, v25, 0
	s_and_saveexec_b32 s8, s16
	s_cbranch_execz .LBB100_429
; %bb.428:                              ;   in Loop: Header=BB100_3 Depth=1
	ds_load_b32 v25, v31 offset:10128
	ds_load_b32 v27, v5 offset:10140
	s_wait_dscnt 0x0
	v_fmac_f32_e32 v24, v25, v27
.LBB100_429:                            ;   in Loop: Header=BB100_3 Depth=1
	s_or_b32 exec_lo, exec_lo, s8
.LBB100_430:                            ;   in Loop: Header=BB100_3 Depth=1
	s_delay_alu instid0(SALU_CYCLE_1)
	s_or_b32 exec_lo, exec_lo, s1
	s_and_saveexec_b32 s1, s103
	s_cbranch_execz .LBB100_432
; %bb.431:                              ;   in Loop: Header=BB100_3 Depth=1
	ds_load_b32 v25, v5 offset:9620
	s_wait_dscnt 0x0
	v_mul_f32_e32 v24, v24, v25
	s_delay_alu instid0(VALU_DEP_1)
	v_xor_b32_e32 v25, 0x80000000, v24
	ds_store_b32 v3, v25
.LBB100_432:                            ;   in Loop: Header=BB100_3 Depth=1
	s_or_b32 exec_lo, exec_lo, s1
	s_wait_loadcnt_dscnt 0x0
	s_barrier_signal -1
	s_barrier_wait -1
	s_and_saveexec_b32 s1, s104
	s_cbranch_execz .LBB100_434
; %bb.433:                              ;   in Loop: Header=BB100_3 Depth=1
	ds_load_b32 v25, v5 offset:9616
	ds_load_b32 v27, v3
	s_wait_dscnt 0x0
	v_fma_f32 v24, -v25, v27, v24
.LBB100_434:                            ;   in Loop: Header=BB100_3 Depth=1
	s_or_b32 exec_lo, exec_lo, s1
	s_barrier_signal -1
	s_barrier_wait -1
	s_and_saveexec_b32 s1, s104
	s_cbranch_execz .LBB100_436
; %bb.435:                              ;   in Loop: Header=BB100_3 Depth=1
	ds_load_b32 v25, v5 offset:9360
	s_wait_dscnt 0x0
	v_mul_f32_e32 v24, v24, v25
	s_delay_alu instid0(VALU_DEP_1)
	v_xor_b32_e32 v25, 0x80000000, v24
	ds_store_b32 v3, v25
.LBB100_436:                            ;   in Loop: Header=BB100_3 Depth=1
	s_or_b32 exec_lo, exec_lo, s1
	s_wait_dscnt 0x0
	s_barrier_signal -1
	s_barrier_wait -1
	s_barrier_signal -1
	s_barrier_wait -1
	s_and_saveexec_b32 s1, s2
; %bb.437:                              ;   in Loop: Header=BB100_3 Depth=1
	ds_store_b32 v32, v24 offset:10128
; %bb.438:                              ;   in Loop: Header=BB100_3 Depth=1
	s_or_b32 exec_lo, exec_lo, s1
	s_wait_dscnt 0x0
	s_barrier_signal -1
	s_barrier_wait -1
	s_barrier_signal -1
	s_barrier_wait -1
	s_and_saveexec_b32 s1, s15
	s_cbranch_execz .LBB100_440
; %bb.439:                              ;   in Loop: Header=BB100_3 Depth=1
	ds_load_b64 v[24:25], v5 offset:9616
	ds_load_b32 v27, v5 offset:9360
	s_wait_dscnt 0x0
	v_mul_f32_e32 v25, v27, v25
	s_delay_alu instid0(VALU_DEP_1)
	v_mul_f32_e32 v24, v24, v25
	ds_store_b32 v5, v24 offset:9616
.LBB100_440:                            ;   in Loop: Header=BB100_3 Depth=1
	s_or_b32 exec_lo, exec_lo, s1
	v_mov_b32_e32 v24, 0
	s_wait_dscnt 0x0
	s_barrier_signal -1
	s_barrier_wait -1
	global_wb scope:SCOPE_DEV
	s_wait_storecnt 0x0
	global_inv scope:SCOPE_DEV
	s_and_saveexec_b32 s10, s3
	s_cbranch_execz .LBB100_446
; %bb.441:                              ;   in Loop: Header=BB100_3 Depth=1
	ds_load_b32 v24, v35 offset:9344
	ds_load_b32 v25, v34 offset:10128
	s_wait_dscnt 0x0
	v_fma_f32 v24, v24, v25, 0
	s_and_saveexec_b32 s1, s17
	s_cbranch_execnz .LBB100_1167
; %bb.442:                              ;   in Loop: Header=BB100_3 Depth=1
	s_or_b32 exec_lo, exec_lo, s1
	s_and_saveexec_b32 s1, s18
	s_cbranch_execnz .LBB100_1168
.LBB100_443:                            ;   in Loop: Header=BB100_3 Depth=1
	s_or_b32 exec_lo, exec_lo, s1
	s_and_saveexec_b32 s1, s2
	s_cbranch_execz .LBB100_445
.LBB100_444:                            ;   in Loop: Header=BB100_3 Depth=1
	ds_load_b32 v25, v31 offset:10112
	ds_load_b32 v27, v5 offset:10140
	s_wait_dscnt 0x0
	v_fmac_f32_e32 v24, v25, v27
.LBB100_445:                            ;   in Loop: Header=BB100_3 Depth=1
	s_or_b32 exec_lo, exec_lo, s1
.LBB100_446:                            ;   in Loop: Header=BB100_3 Depth=1
	s_delay_alu instid0(SALU_CYCLE_1)
	s_or_b32 exec_lo, exec_lo, s10
	s_and_saveexec_b32 s1, vcc_hi
	s_cbranch_execz .LBB100_448
; %bb.447:                              ;   in Loop: Header=BB100_3 Depth=1
	ds_load_b32 v25, v5 offset:9100
	s_wait_dscnt 0x0
	v_mul_f32_e32 v24, v24, v25
	s_delay_alu instid0(VALU_DEP_1)
	v_xor_b32_e32 v25, 0x80000000, v24
	ds_store_b32 v33, v25
.LBB100_448:                            ;   in Loop: Header=BB100_3 Depth=1
	s_or_b32 exec_lo, exec_lo, s1
	s_wait_loadcnt_dscnt 0x0
	s_barrier_signal -1
	s_barrier_wait -1
	s_and_saveexec_b32 s1, s36
	s_cbranch_execz .LBB100_450
; %bb.449:                              ;   in Loop: Header=BB100_3 Depth=1
	ds_load_b32 v25, v35 offset:9088
	ds_load_b32 v27, v33
	s_wait_dscnt 0x0
	v_fma_f32 v24, -v25, v27, v24
.LBB100_450:                            ;   in Loop: Header=BB100_3 Depth=1
	s_or_b32 exec_lo, exec_lo, s1
	s_barrier_signal -1
	s_barrier_wait -1
	s_and_saveexec_b32 s1, s37
	s_cbranch_execz .LBB100_452
; %bb.451:                              ;   in Loop: Header=BB100_3 Depth=1
	ds_load_b32 v25, v5 offset:8840
	s_wait_dscnt 0x0
	v_mul_f32_e32 v24, v24, v25
	s_delay_alu instid0(VALU_DEP_1)
	v_xor_b32_e32 v25, 0x80000000, v24
	ds_store_b32 v33, v25
.LBB100_452:                            ;   in Loop: Header=BB100_3 Depth=1
	s_or_b32 exec_lo, exec_lo, s1
	s_wait_dscnt 0x0
	s_barrier_signal -1
	s_barrier_wait -1
	s_and_saveexec_b32 s1, s38
	s_cbranch_execz .LBB100_454
; %bb.453:                              ;   in Loop: Header=BB100_3 Depth=1
	ds_load_b32 v25, v35 offset:8832
	ds_load_b32 v27, v33
	s_wait_dscnt 0x0
	v_fma_f32 v24, -v25, v27, v24
.LBB100_454:                            ;   in Loop: Header=BB100_3 Depth=1
	s_or_b32 exec_lo, exec_lo, s1
	s_barrier_signal -1
	s_barrier_wait -1
	s_and_saveexec_b32 s1, s39
	s_cbranch_execz .LBB100_456
; %bb.455:                              ;   in Loop: Header=BB100_3 Depth=1
	ds_load_b32 v25, v5 offset:8580
	s_wait_dscnt 0x0
	v_mul_f32_e32 v24, v24, v25
	s_delay_alu instid0(VALU_DEP_1)
	v_xor_b32_e32 v25, 0x80000000, v24
	ds_store_b32 v33, v25
.LBB100_456:                            ;   in Loop: Header=BB100_3 Depth=1
	s_or_b32 exec_lo, exec_lo, s1
	s_wait_dscnt 0x0
	;; [unrolled: 25-line block ×3, first 2 shown]
	s_barrier_signal -1
	s_barrier_wait -1
	s_barrier_signal -1
	s_barrier_wait -1
	s_and_saveexec_b32 s1, s3
; %bb.461:                              ;   in Loop: Header=BB100_3 Depth=1
	ds_store_b32 v36, v24 offset:10112
; %bb.462:                              ;   in Loop: Header=BB100_3 Depth=1
	s_or_b32 exec_lo, exec_lo, s1
	s_wait_dscnt 0x0
	s_barrier_signal -1
	s_barrier_wait -1
	s_barrier_signal -1
	s_barrier_wait -1
	s_and_saveexec_b32 s1, s15
	s_cbranch_execz .LBB100_464
; %bb.463:                              ;   in Loop: Header=BB100_3 Depth=1
	ds_load_b64 v[24:25], v5 offset:9096
	ds_load_b32 v27, v5 offset:8840
	s_wait_dscnt 0x0
	v_mul_f32_e32 v25, v27, v25
	s_delay_alu instid0(VALU_DEP_1)
	v_mul_f32_e32 v24, v24, v25
	ds_store_b32 v5, v24 offset:9096
.LBB100_464:                            ;   in Loop: Header=BB100_3 Depth=1
	s_or_b32 exec_lo, exec_lo, s1
	v_mov_b32_e32 v24, 0
	s_wait_dscnt 0x0
	s_barrier_signal -1
	s_barrier_wait -1
	global_wb scope:SCOPE_DEV
	s_wait_storecnt 0x0
	global_inv scope:SCOPE_DEV
	s_and_saveexec_b32 s1, s2
	s_cbranch_execz .LBB100_468
; %bb.465:                              ;   in Loop: Header=BB100_3 Depth=1
	ds_load_b32 v24, v30 offset:8832
	ds_load_b32 v25, v29 offset:9096
	s_wait_dscnt 0x0
	v_fma_f32 v24, v24, v25, 0
	s_and_saveexec_b32 s8, s16
	s_cbranch_execz .LBB100_467
; %bb.466:                              ;   in Loop: Header=BB100_3 Depth=1
	ds_load_b32 v25, v31 offset:9088
	ds_load_b32 v27, v5 offset:9100
	s_wait_dscnt 0x0
	v_fmac_f32_e32 v24, v25, v27
.LBB100_467:                            ;   in Loop: Header=BB100_3 Depth=1
	s_or_b32 exec_lo, exec_lo, s8
.LBB100_468:                            ;   in Loop: Header=BB100_3 Depth=1
	s_delay_alu instid0(SALU_CYCLE_1)
	s_or_b32 exec_lo, exec_lo, s1
	s_and_saveexec_b32 s1, s103
	s_cbranch_execz .LBB100_470
; %bb.469:                              ;   in Loop: Header=BB100_3 Depth=1
	ds_load_b32 v25, v5 offset:8580
	s_wait_dscnt 0x0
	v_mul_f32_e32 v24, v24, v25
	s_delay_alu instid0(VALU_DEP_1)
	v_xor_b32_e32 v25, 0x80000000, v24
	ds_store_b32 v3, v25
.LBB100_470:                            ;   in Loop: Header=BB100_3 Depth=1
	s_or_b32 exec_lo, exec_lo, s1
	s_wait_loadcnt_dscnt 0x0
	s_barrier_signal -1
	s_barrier_wait -1
	s_and_saveexec_b32 s1, s104
	s_cbranch_execz .LBB100_472
; %bb.471:                              ;   in Loop: Header=BB100_3 Depth=1
	ds_load_b32 v25, v5 offset:8576
	ds_load_b32 v27, v3
	s_wait_dscnt 0x0
	v_fma_f32 v24, -v25, v27, v24
.LBB100_472:                            ;   in Loop: Header=BB100_3 Depth=1
	s_or_b32 exec_lo, exec_lo, s1
	s_barrier_signal -1
	s_barrier_wait -1
	s_and_saveexec_b32 s1, s104
	s_cbranch_execz .LBB100_474
; %bb.473:                              ;   in Loop: Header=BB100_3 Depth=1
	ds_load_b32 v25, v5 offset:8320
	s_wait_dscnt 0x0
	v_mul_f32_e32 v24, v24, v25
	s_delay_alu instid0(VALU_DEP_1)
	v_xor_b32_e32 v25, 0x80000000, v24
	ds_store_b32 v3, v25
.LBB100_474:                            ;   in Loop: Header=BB100_3 Depth=1
	s_or_b32 exec_lo, exec_lo, s1
	s_wait_dscnt 0x0
	s_barrier_signal -1
	s_barrier_wait -1
	s_barrier_signal -1
	s_barrier_wait -1
	s_and_saveexec_b32 s1, s2
; %bb.475:                              ;   in Loop: Header=BB100_3 Depth=1
	ds_store_b32 v32, v24 offset:9088
; %bb.476:                              ;   in Loop: Header=BB100_3 Depth=1
	s_or_b32 exec_lo, exec_lo, s1
	s_wait_dscnt 0x0
	s_barrier_signal -1
	s_barrier_wait -1
	s_barrier_signal -1
	s_barrier_wait -1
	s_and_saveexec_b32 s1, s15
	s_cbranch_execz .LBB100_478
; %bb.477:                              ;   in Loop: Header=BB100_3 Depth=1
	ds_load_b64 v[24:25], v5 offset:8576
	ds_load_b32 v27, v5 offset:8320
	s_wait_dscnt 0x0
	v_mul_f32_e32 v25, v27, v25
	s_delay_alu instid0(VALU_DEP_1)
	v_mul_f32_e32 v24, v24, v25
	ds_store_b32 v5, v24 offset:8576
.LBB100_478:                            ;   in Loop: Header=BB100_3 Depth=1
	s_or_b32 exec_lo, exec_lo, s1
	v_mov_b32_e32 v24, 0
	s_wait_dscnt 0x0
	s_barrier_signal -1
	s_barrier_wait -1
	global_wb scope:SCOPE_DEV
	s_wait_storecnt 0x0
	global_inv scope:SCOPE_DEV
	s_and_saveexec_b32 s96, s6
	s_cbranch_execz .LBB100_540
; %bb.479:                              ;   in Loop: Header=BB100_3 Depth=1
	ds_load_b32 v24, v47 offset:8192
	ds_load_b32 v25, v46 offset:16256
	s_wait_dscnt 0x0
	v_fma_f32 v24, v24, v25, 0
	s_mov_b32 s1, exec_lo
	v_readlane_b32 s8, v71, 6
	s_and_b32 s8, s1, s8
	s_delay_alu instid0(SALU_CYCLE_1)
	s_mov_b32 exec_lo, s8
	s_cbranch_execz .LBB100_481
; %bb.480:                              ;   in Loop: Header=BB100_3 Depth=1
	ds_load_b32 v25, v47 offset:8448
	ds_load_b32 v27, v46 offset:16260
	s_wait_dscnt 0x0
	v_fmac_f32_e32 v24, v25, v27
.LBB100_481:                            ;   in Loop: Header=BB100_3 Depth=1
	s_or_b32 exec_lo, exec_lo, s1
	s_delay_alu instid0(SALU_CYCLE_1) | instskip(SKIP_2) | instid1(SALU_CYCLE_1)
	s_mov_b32 s1, exec_lo
	v_readlane_b32 s8, v71, 7
	s_and_b32 s8, s1, s8
	s_mov_b32 exec_lo, s8
	s_cbranch_execz .LBB100_483
; %bb.482:                              ;   in Loop: Header=BB100_3 Depth=1
	ds_load_b32 v25, v47 offset:8704
	ds_load_b32 v27, v46 offset:16264
	s_wait_dscnt 0x0
	v_fmac_f32_e32 v24, v25, v27
.LBB100_483:                            ;   in Loop: Header=BB100_3 Depth=1
	s_or_b32 exec_lo, exec_lo, s1
	s_delay_alu instid0(SALU_CYCLE_1) | instskip(SKIP_2) | instid1(SALU_CYCLE_1)
	s_mov_b32 s1, exec_lo
	v_readlane_b32 s8, v71, 8
	s_and_b32 s8, s1, s8
	;; [unrolled: 13-line block ×22, first 2 shown]
	s_mov_b32 exec_lo, s8
	s_cbranch_execz .LBB100_525
; %bb.524:                              ;   in Loop: Header=BB100_3 Depth=1
	ds_load_b32 v25, v47 offset:14080
	ds_load_b32 v27, v46 offset:16348
	s_wait_dscnt 0x0
	v_fmac_f32_e32 v24, v25, v27
.LBB100_525:                            ;   in Loop: Header=BB100_3 Depth=1
	s_or_b32 exec_lo, exec_lo, s1
	s_and_saveexec_b32 s1, s5
	s_cbranch_execz .LBB100_527
; %bb.526:                              ;   in Loop: Header=BB100_3 Depth=1
	ds_load_b32 v25, v47 offset:14336
	ds_load_b32 v27, v46 offset:16352
	s_wait_dscnt 0x0
	v_fmac_f32_e32 v24, v25, v27
.LBB100_527:                            ;   in Loop: Header=BB100_3 Depth=1
	s_or_b32 exec_lo, exec_lo, s1
	s_delay_alu instid0(SALU_CYCLE_1) | instskip(SKIP_2) | instid1(SALU_CYCLE_1)
	s_mov_b32 s1, exec_lo
	v_readlane_b32 s8, v72, 28
	s_and_b32 s8, s1, s8
	s_mov_b32 exec_lo, s8
	s_cbranch_execz .LBB100_529
; %bb.528:                              ;   in Loop: Header=BB100_3 Depth=1
	ds_load_b32 v25, v47 offset:14592
	ds_load_b32 v27, v46 offset:16356
	s_wait_dscnt 0x0
	v_fmac_f32_e32 v24, v25, v27
.LBB100_529:                            ;   in Loop: Header=BB100_3 Depth=1
	s_or_b32 exec_lo, exec_lo, s1
	s_delay_alu instid0(SALU_CYCLE_1) | instskip(SKIP_2) | instid1(SALU_CYCLE_1)
	s_mov_b32 s1, exec_lo
	v_readlane_b32 s8, v72, 30
	s_and_b32 s8, s1, s8
	s_mov_b32 exec_lo, s8
	;; [unrolled: 13-line block ×5, first 2 shown]
	s_cbranch_execnz .LBB100_1169
; %bb.536:                              ;   in Loop: Header=BB100_3 Depth=1
	s_or_b32 exec_lo, exec_lo, s1
	s_and_saveexec_b32 s1, s4
	s_cbranch_execnz .LBB100_1170
.LBB100_537:                            ;   in Loop: Header=BB100_3 Depth=1
	s_or_b32 exec_lo, exec_lo, s1
	s_and_saveexec_b32 s1, s22
	s_cbranch_execz .LBB100_539
.LBB100_538:                            ;   in Loop: Header=BB100_3 Depth=1
	ds_load_b32 v25, v31 offset:16128
	ds_load_b32 v27, v5 offset:16380
	s_wait_dscnt 0x0
	v_fmac_f32_e32 v24, v25, v27
.LBB100_539:                            ;   in Loop: Header=BB100_3 Depth=1
	s_or_b32 exec_lo, exec_lo, s1
.LBB100_540:                            ;   in Loop: Header=BB100_3 Depth=1
	s_delay_alu instid0(SALU_CYCLE_1) | instskip(NEXT) | instid1(SALU_CYCLE_1)
	s_or_b32 exec_lo, exec_lo, s96
	s_mov_b32 s1, exec_lo
	v_readlane_b32 s8, v74, 8
	s_and_b32 s8, s1, s8
	s_delay_alu instid0(SALU_CYCLE_1)
	s_mov_b32 exec_lo, s8
	s_cbranch_execz .LBB100_542
; %bb.541:                              ;   in Loop: Header=BB100_3 Depth=1
	ds_load_b32 v25, v5 offset:8060
	s_wait_dscnt 0x0
	v_mul_f32_e32 v24, v24, v25
	s_delay_alu instid0(VALU_DEP_1)
	v_xor_b32_e32 v25, 0x80000000, v24
	ds_store_b32 v45, v25
.LBB100_542:                            ;   in Loop: Header=BB100_3 Depth=1
	s_or_b32 exec_lo, exec_lo, s1
	s_wait_loadcnt_dscnt 0x0
	s_barrier_signal -1
	s_barrier_wait -1
	s_mov_b32 s1, exec_lo
	v_readlane_b32 s8, v74, 9
	s_and_b32 s8, s1, s8
	s_delay_alu instid0(SALU_CYCLE_1)
	s_mov_b32 exec_lo, s8
	s_cbranch_execz .LBB100_544
; %bb.543:                              ;   in Loop: Header=BB100_3 Depth=1
	ds_load_b32 v25, v47 offset:7936
	ds_load_b32 v27, v45
	s_wait_dscnt 0x0
	v_fma_f32 v24, -v25, v27, v24
.LBB100_544:                            ;   in Loop: Header=BB100_3 Depth=1
	s_or_b32 exec_lo, exec_lo, s1
	s_barrier_signal -1
	s_barrier_wait -1
	s_mov_b32 s1, exec_lo
	v_readlane_b32 s8, v74, 10
	s_and_b32 s8, s1, s8
	s_delay_alu instid0(SALU_CYCLE_1)
	s_mov_b32 exec_lo, s8
	s_cbranch_execz .LBB100_546
; %bb.545:                              ;   in Loop: Header=BB100_3 Depth=1
	ds_load_b32 v25, v5 offset:7800
	s_wait_dscnt 0x0
	v_mul_f32_e32 v24, v24, v25
	s_delay_alu instid0(VALU_DEP_1)
	v_xor_b32_e32 v25, 0x80000000, v24
	ds_store_b32 v45, v25
.LBB100_546:                            ;   in Loop: Header=BB100_3 Depth=1
	s_or_b32 exec_lo, exec_lo, s1
	s_wait_dscnt 0x0
	s_barrier_signal -1
	s_barrier_wait -1
	s_mov_b32 s1, exec_lo
	v_readlane_b32 s8, v74, 11
	s_and_b32 s8, s1, s8
	s_delay_alu instid0(SALU_CYCLE_1)
	s_mov_b32 exec_lo, s8
	s_cbranch_execz .LBB100_548
; %bb.547:                              ;   in Loop: Header=BB100_3 Depth=1
	ds_load_b32 v25, v47 offset:7680
	ds_load_b32 v27, v45
	s_wait_dscnt 0x0
	v_fma_f32 v24, -v25, v27, v24
.LBB100_548:                            ;   in Loop: Header=BB100_3 Depth=1
	s_or_b32 exec_lo, exec_lo, s1
	s_barrier_signal -1
	s_barrier_wait -1
	s_mov_b32 s1, exec_lo
	v_readlane_b32 s8, v74, 12
	s_and_b32 s8, s1, s8
	s_delay_alu instid0(SALU_CYCLE_1)
	s_mov_b32 exec_lo, s8
	s_cbranch_execz .LBB100_550
; %bb.549:                              ;   in Loop: Header=BB100_3 Depth=1
	ds_load_b32 v25, v5 offset:7540
	s_wait_dscnt 0x0
	v_mul_f32_e32 v24, v24, v25
	s_delay_alu instid0(VALU_DEP_1)
	v_xor_b32_e32 v25, 0x80000000, v24
	ds_store_b32 v45, v25
.LBB100_550:                            ;   in Loop: Header=BB100_3 Depth=1
	s_or_b32 exec_lo, exec_lo, s1
	s_wait_dscnt 0x0
	;; [unrolled: 33-line block ×30, first 2 shown]
	s_barrier_signal -1
	s_barrier_wait -1
	s_and_saveexec_b32 s1, s13
	s_cbranch_execz .LBB100_664
; %bb.663:                              ;   in Loop: Header=BB100_3 Depth=1
	ds_load_b32 v25, v5 offset:256
	ds_load_b32 v27, v45
	s_wait_dscnt 0x0
	v_fma_f32 v24, -v25, v27, v24
.LBB100_664:                            ;   in Loop: Header=BB100_3 Depth=1
	s_or_b32 exec_lo, exec_lo, s1
	s_barrier_signal -1
	s_barrier_wait -1
	s_and_saveexec_b32 s1, s13
	s_cbranch_execz .LBB100_666
; %bb.665:                              ;   in Loop: Header=BB100_3 Depth=1
	ds_load_b32 v25, v5
	s_wait_dscnt 0x0
	v_mul_f32_e32 v24, v24, v25
	s_delay_alu instid0(VALU_DEP_1)
	v_xor_b32_e32 v25, 0x80000000, v24
	ds_store_b32 v45, v25
.LBB100_666:                            ;   in Loop: Header=BB100_3 Depth=1
	s_or_b32 exec_lo, exec_lo, s1
	s_wait_dscnt 0x0
	s_barrier_signal -1
	s_barrier_wait -1
	s_barrier_signal -1
	s_barrier_wait -1
	s_and_saveexec_b32 s1, s6
; %bb.667:                              ;   in Loop: Header=BB100_3 Depth=1
	ds_store_b32 v48, v24 offset:16128
; %bb.668:                              ;   in Loop: Header=BB100_3 Depth=1
	s_or_b32 exec_lo, exec_lo, s1
	s_wait_dscnt 0x0
	s_barrier_signal -1
	s_barrier_wait -1
	s_barrier_signal -1
	s_barrier_wait -1
	s_and_saveexec_b32 s1, s15
	s_cbranch_execz .LBB100_670
; %bb.669:                              ;   in Loop: Header=BB100_3 Depth=1
	ds_load_b64 v[24:25], v5 offset:8056
	ds_load_b32 v27, v5 offset:7800
	s_wait_dscnt 0x0
	v_mul_f32_e32 v25, v27, v25
	s_delay_alu instid0(VALU_DEP_1)
	v_mul_f32_e32 v24, v24, v25
	ds_store_b32 v5, v24 offset:8056
.LBB100_670:                            ;   in Loop: Header=BB100_3 Depth=1
	s_or_b32 exec_lo, exec_lo, s1
	v_mov_b32_e32 v24, 0
	s_wait_dscnt 0x0
	s_barrier_signal -1
	s_barrier_wait -1
	global_wb scope:SCOPE_DEV
	s_wait_storecnt 0x0
	global_inv scope:SCOPE_DEV
	s_and_saveexec_b32 s1, s2
	s_cbranch_execz .LBB100_674
; %bb.671:                              ;   in Loop: Header=BB100_3 Depth=1
	ds_load_b32 v24, v30 offset:7792
	ds_load_b32 v25, v29 offset:8056
	s_wait_dscnt 0x0
	v_fma_f32 v24, v24, v25, 0
	s_and_saveexec_b32 s8, s16
	s_cbranch_execz .LBB100_673
; %bb.672:                              ;   in Loop: Header=BB100_3 Depth=1
	ds_load_b32 v25, v31 offset:8048
	ds_load_b32 v27, v5 offset:8060
	s_wait_dscnt 0x0
	v_fmac_f32_e32 v24, v25, v27
.LBB100_673:                            ;   in Loop: Header=BB100_3 Depth=1
	s_or_b32 exec_lo, exec_lo, s8
.LBB100_674:                            ;   in Loop: Header=BB100_3 Depth=1
	s_delay_alu instid0(SALU_CYCLE_1)
	s_or_b32 exec_lo, exec_lo, s1
	s_and_saveexec_b32 s1, s103
	s_cbranch_execz .LBB100_676
; %bb.675:                              ;   in Loop: Header=BB100_3 Depth=1
	ds_load_b32 v25, v5 offset:7540
	s_wait_dscnt 0x0
	v_mul_f32_e32 v24, v24, v25
	s_delay_alu instid0(VALU_DEP_1)
	v_xor_b32_e32 v25, 0x80000000, v24
	ds_store_b32 v3, v25
.LBB100_676:                            ;   in Loop: Header=BB100_3 Depth=1
	s_or_b32 exec_lo, exec_lo, s1
	s_wait_loadcnt_dscnt 0x0
	s_barrier_signal -1
	s_barrier_wait -1
	s_and_saveexec_b32 s1, s104
	s_cbranch_execz .LBB100_678
; %bb.677:                              ;   in Loop: Header=BB100_3 Depth=1
	ds_load_b32 v25, v5 offset:7536
	ds_load_b32 v27, v3
	s_wait_dscnt 0x0
	v_fma_f32 v24, -v25, v27, v24
.LBB100_678:                            ;   in Loop: Header=BB100_3 Depth=1
	s_or_b32 exec_lo, exec_lo, s1
	s_barrier_signal -1
	s_barrier_wait -1
	s_and_saveexec_b32 s1, s104
	s_cbranch_execz .LBB100_680
; %bb.679:                              ;   in Loop: Header=BB100_3 Depth=1
	ds_load_b32 v25, v5 offset:7280
	s_wait_dscnt 0x0
	v_mul_f32_e32 v24, v24, v25
	s_delay_alu instid0(VALU_DEP_1)
	v_xor_b32_e32 v25, 0x80000000, v24
	ds_store_b32 v3, v25
.LBB100_680:                            ;   in Loop: Header=BB100_3 Depth=1
	s_or_b32 exec_lo, exec_lo, s1
	s_wait_dscnt 0x0
	s_barrier_signal -1
	s_barrier_wait -1
	s_barrier_signal -1
	s_barrier_wait -1
	s_and_saveexec_b32 s1, s2
; %bb.681:                              ;   in Loop: Header=BB100_3 Depth=1
	ds_store_b32 v32, v24 offset:8048
; %bb.682:                              ;   in Loop: Header=BB100_3 Depth=1
	s_or_b32 exec_lo, exec_lo, s1
	s_wait_dscnt 0x0
	s_barrier_signal -1
	s_barrier_wait -1
	s_barrier_signal -1
	s_barrier_wait -1
	s_and_saveexec_b32 s1, s15
	s_cbranch_execz .LBB100_684
; %bb.683:                              ;   in Loop: Header=BB100_3 Depth=1
	ds_load_b64 v[24:25], v5 offset:7536
	ds_load_b32 v27, v5 offset:7280
	s_wait_dscnt 0x0
	v_mul_f32_e32 v25, v27, v25
	s_delay_alu instid0(VALU_DEP_1)
	v_mul_f32_e32 v24, v24, v25
	ds_store_b32 v5, v24 offset:7536
.LBB100_684:                            ;   in Loop: Header=BB100_3 Depth=1
	s_or_b32 exec_lo, exec_lo, s1
	v_mov_b32_e32 v24, 0
	s_wait_dscnt 0x0
	s_barrier_signal -1
	s_barrier_wait -1
	global_wb scope:SCOPE_DEV
	s_wait_storecnt 0x0
	global_inv scope:SCOPE_DEV
	s_and_saveexec_b32 s10, s3
	s_cbranch_execz .LBB100_690
; %bb.685:                              ;   in Loop: Header=BB100_3 Depth=1
	ds_load_b32 v24, v35 offset:7264
	ds_load_b32 v25, v34 offset:8048
	s_wait_dscnt 0x0
	v_fma_f32 v24, v24, v25, 0
	s_and_saveexec_b32 s1, s17
	s_cbranch_execnz .LBB100_1171
; %bb.686:                              ;   in Loop: Header=BB100_3 Depth=1
	s_or_b32 exec_lo, exec_lo, s1
	s_and_saveexec_b32 s1, s18
	s_cbranch_execnz .LBB100_1172
.LBB100_687:                            ;   in Loop: Header=BB100_3 Depth=1
	s_or_b32 exec_lo, exec_lo, s1
	s_and_saveexec_b32 s1, s2
	s_cbranch_execz .LBB100_689
.LBB100_688:                            ;   in Loop: Header=BB100_3 Depth=1
	ds_load_b32 v25, v31 offset:8032
	ds_load_b32 v27, v5 offset:8060
	s_wait_dscnt 0x0
	v_fmac_f32_e32 v24, v25, v27
.LBB100_689:                            ;   in Loop: Header=BB100_3 Depth=1
	s_or_b32 exec_lo, exec_lo, s1
.LBB100_690:                            ;   in Loop: Header=BB100_3 Depth=1
	s_delay_alu instid0(SALU_CYCLE_1)
	s_or_b32 exec_lo, exec_lo, s10
	s_and_saveexec_b32 s1, vcc_hi
	s_cbranch_execz .LBB100_692
; %bb.691:                              ;   in Loop: Header=BB100_3 Depth=1
	ds_load_b32 v25, v5 offset:7020
	s_wait_dscnt 0x0
	v_mul_f32_e32 v24, v24, v25
	s_delay_alu instid0(VALU_DEP_1)
	v_xor_b32_e32 v25, 0x80000000, v24
	ds_store_b32 v33, v25
.LBB100_692:                            ;   in Loop: Header=BB100_3 Depth=1
	s_or_b32 exec_lo, exec_lo, s1
	s_wait_loadcnt_dscnt 0x0
	s_barrier_signal -1
	s_barrier_wait -1
	s_and_saveexec_b32 s1, s36
	s_cbranch_execz .LBB100_694
; %bb.693:                              ;   in Loop: Header=BB100_3 Depth=1
	ds_load_b32 v25, v35 offset:7008
	ds_load_b32 v27, v33
	s_wait_dscnt 0x0
	v_fma_f32 v24, -v25, v27, v24
.LBB100_694:                            ;   in Loop: Header=BB100_3 Depth=1
	s_or_b32 exec_lo, exec_lo, s1
	s_barrier_signal -1
	s_barrier_wait -1
	s_and_saveexec_b32 s1, s37
	s_cbranch_execz .LBB100_696
; %bb.695:                              ;   in Loop: Header=BB100_3 Depth=1
	ds_load_b32 v25, v5 offset:6760
	s_wait_dscnt 0x0
	v_mul_f32_e32 v24, v24, v25
	s_delay_alu instid0(VALU_DEP_1)
	v_xor_b32_e32 v25, 0x80000000, v24
	ds_store_b32 v33, v25
.LBB100_696:                            ;   in Loop: Header=BB100_3 Depth=1
	s_or_b32 exec_lo, exec_lo, s1
	s_wait_dscnt 0x0
	s_barrier_signal -1
	s_barrier_wait -1
	s_and_saveexec_b32 s1, s38
	s_cbranch_execz .LBB100_698
; %bb.697:                              ;   in Loop: Header=BB100_3 Depth=1
	ds_load_b32 v25, v35 offset:6752
	ds_load_b32 v27, v33
	s_wait_dscnt 0x0
	v_fma_f32 v24, -v25, v27, v24
.LBB100_698:                            ;   in Loop: Header=BB100_3 Depth=1
	s_or_b32 exec_lo, exec_lo, s1
	s_barrier_signal -1
	s_barrier_wait -1
	s_and_saveexec_b32 s1, s39
	s_cbranch_execz .LBB100_700
; %bb.699:                              ;   in Loop: Header=BB100_3 Depth=1
	ds_load_b32 v25, v5 offset:6500
	s_wait_dscnt 0x0
	v_mul_f32_e32 v24, v24, v25
	s_delay_alu instid0(VALU_DEP_1)
	v_xor_b32_e32 v25, 0x80000000, v24
	ds_store_b32 v33, v25
.LBB100_700:                            ;   in Loop: Header=BB100_3 Depth=1
	s_or_b32 exec_lo, exec_lo, s1
	s_wait_dscnt 0x0
	;; [unrolled: 25-line block ×3, first 2 shown]
	s_barrier_signal -1
	s_barrier_wait -1
	s_barrier_signal -1
	s_barrier_wait -1
	s_and_saveexec_b32 s1, s3
; %bb.705:                              ;   in Loop: Header=BB100_3 Depth=1
	ds_store_b32 v36, v24 offset:8032
; %bb.706:                              ;   in Loop: Header=BB100_3 Depth=1
	s_or_b32 exec_lo, exec_lo, s1
	s_wait_dscnt 0x0
	s_barrier_signal -1
	s_barrier_wait -1
	s_barrier_signal -1
	s_barrier_wait -1
	s_and_saveexec_b32 s1, s15
	s_cbranch_execz .LBB100_708
; %bb.707:                              ;   in Loop: Header=BB100_3 Depth=1
	ds_load_b64 v[24:25], v5 offset:7016
	ds_load_b32 v27, v5 offset:6760
	s_wait_dscnt 0x0
	v_mul_f32_e32 v25, v27, v25
	s_delay_alu instid0(VALU_DEP_1)
	v_mul_f32_e32 v24, v24, v25
	ds_store_b32 v5, v24 offset:7016
.LBB100_708:                            ;   in Loop: Header=BB100_3 Depth=1
	s_or_b32 exec_lo, exec_lo, s1
	v_mov_b32_e32 v24, 0
	s_wait_dscnt 0x0
	s_barrier_signal -1
	s_barrier_wait -1
	global_wb scope:SCOPE_DEV
	s_wait_storecnt 0x0
	global_inv scope:SCOPE_DEV
	s_and_saveexec_b32 s1, s2
	s_cbranch_execz .LBB100_712
; %bb.709:                              ;   in Loop: Header=BB100_3 Depth=1
	ds_load_b32 v24, v30 offset:6752
	ds_load_b32 v25, v29 offset:7016
	s_wait_dscnt 0x0
	v_fma_f32 v24, v24, v25, 0
	s_and_saveexec_b32 s8, s16
	s_cbranch_execz .LBB100_711
; %bb.710:                              ;   in Loop: Header=BB100_3 Depth=1
	ds_load_b32 v25, v31 offset:7008
	ds_load_b32 v27, v5 offset:7020
	s_wait_dscnt 0x0
	v_fmac_f32_e32 v24, v25, v27
.LBB100_711:                            ;   in Loop: Header=BB100_3 Depth=1
	s_or_b32 exec_lo, exec_lo, s8
.LBB100_712:                            ;   in Loop: Header=BB100_3 Depth=1
	s_delay_alu instid0(SALU_CYCLE_1)
	s_or_b32 exec_lo, exec_lo, s1
	s_and_saveexec_b32 s1, s103
	s_cbranch_execz .LBB100_714
; %bb.713:                              ;   in Loop: Header=BB100_3 Depth=1
	ds_load_b32 v25, v5 offset:6500
	s_wait_dscnt 0x0
	v_mul_f32_e32 v24, v24, v25
	s_delay_alu instid0(VALU_DEP_1)
	v_xor_b32_e32 v25, 0x80000000, v24
	ds_store_b32 v3, v25
.LBB100_714:                            ;   in Loop: Header=BB100_3 Depth=1
	s_or_b32 exec_lo, exec_lo, s1
	s_wait_loadcnt_dscnt 0x0
	s_barrier_signal -1
	s_barrier_wait -1
	s_and_saveexec_b32 s1, s104
	s_cbranch_execz .LBB100_716
; %bb.715:                              ;   in Loop: Header=BB100_3 Depth=1
	ds_load_b32 v25, v5 offset:6496
	ds_load_b32 v27, v3
	s_wait_dscnt 0x0
	v_fma_f32 v24, -v25, v27, v24
.LBB100_716:                            ;   in Loop: Header=BB100_3 Depth=1
	s_or_b32 exec_lo, exec_lo, s1
	s_barrier_signal -1
	s_barrier_wait -1
	s_and_saveexec_b32 s1, s104
	s_cbranch_execz .LBB100_718
; %bb.717:                              ;   in Loop: Header=BB100_3 Depth=1
	ds_load_b32 v25, v5 offset:6240
	s_wait_dscnt 0x0
	v_mul_f32_e32 v24, v24, v25
	s_delay_alu instid0(VALU_DEP_1)
	v_xor_b32_e32 v25, 0x80000000, v24
	ds_store_b32 v3, v25
.LBB100_718:                            ;   in Loop: Header=BB100_3 Depth=1
	s_or_b32 exec_lo, exec_lo, s1
	s_wait_dscnt 0x0
	s_barrier_signal -1
	s_barrier_wait -1
	s_barrier_signal -1
	s_barrier_wait -1
	s_and_saveexec_b32 s1, s2
; %bb.719:                              ;   in Loop: Header=BB100_3 Depth=1
	ds_store_b32 v32, v24 offset:7008
; %bb.720:                              ;   in Loop: Header=BB100_3 Depth=1
	s_or_b32 exec_lo, exec_lo, s1
	s_wait_dscnt 0x0
	s_barrier_signal -1
	s_barrier_wait -1
	s_barrier_signal -1
	s_barrier_wait -1
	s_and_saveexec_b32 s1, s15
	s_cbranch_execz .LBB100_722
; %bb.721:                              ;   in Loop: Header=BB100_3 Depth=1
	ds_load_b64 v[24:25], v5 offset:6496
	ds_load_b32 v27, v5 offset:6240
	s_wait_dscnt 0x0
	v_mul_f32_e32 v25, v27, v25
	s_delay_alu instid0(VALU_DEP_1)
	v_mul_f32_e32 v24, v24, v25
	ds_store_b32 v5, v24 offset:6496
.LBB100_722:                            ;   in Loop: Header=BB100_3 Depth=1
	s_or_b32 exec_lo, exec_lo, s1
	v_mov_b32_e32 v24, 0
	s_wait_dscnt 0x0
	s_barrier_signal -1
	s_barrier_wait -1
	global_wb scope:SCOPE_DEV
	s_wait_storecnt 0x0
	global_inv scope:SCOPE_DEV
	s_and_saveexec_b32 s10, s4
	s_cbranch_execz .LBB100_732
; %bb.723:                              ;   in Loop: Header=BB100_3 Depth=1
	ds_load_b32 v24, v39 offset:6208
	ds_load_b32 v25, v38 offset:8032
	s_wait_dscnt 0x0
	v_fma_f32 v24, v24, v25, 0
	s_and_saveexec_b32 s1, s19
	s_cbranch_execnz .LBB100_1173
; %bb.724:                              ;   in Loop: Header=BB100_3 Depth=1
	s_or_b32 exec_lo, exec_lo, s1
	s_and_saveexec_b32 s1, s20
	s_cbranch_execnz .LBB100_1174
.LBB100_725:                            ;   in Loop: Header=BB100_3 Depth=1
	s_or_b32 exec_lo, exec_lo, s1
	s_and_saveexec_b32 s1, s21
	s_cbranch_execnz .LBB100_1175
.LBB100_726:                            ;   in Loop: Header=BB100_3 Depth=1
	s_or_b32 exec_lo, exec_lo, s1
	s_and_saveexec_b32 s1, s22
	s_cbranch_execnz .LBB100_1176
.LBB100_727:                            ;   in Loop: Header=BB100_3 Depth=1
	s_or_b32 exec_lo, exec_lo, s1
	s_and_saveexec_b32 s1, s23
	s_cbranch_execnz .LBB100_1177
.LBB100_728:                            ;   in Loop: Header=BB100_3 Depth=1
	s_or_b32 exec_lo, exec_lo, s1
	s_and_saveexec_b32 s1, s3
	s_cbranch_execnz .LBB100_1178
.LBB100_729:                            ;   in Loop: Header=BB100_3 Depth=1
	s_or_b32 exec_lo, exec_lo, s1
	s_and_saveexec_b32 s1, s18
	s_cbranch_execz .LBB100_731
.LBB100_730:                            ;   in Loop: Header=BB100_3 Depth=1
	ds_load_b32 v25, v31 offset:8000
	ds_load_b32 v27, v5 offset:8060
	s_wait_dscnt 0x0
	v_fmac_f32_e32 v24, v25, v27
.LBB100_731:                            ;   in Loop: Header=BB100_3 Depth=1
	s_or_b32 exec_lo, exec_lo, s1
.LBB100_732:                            ;   in Loop: Header=BB100_3 Depth=1
	s_delay_alu instid0(SALU_CYCLE_1)
	s_or_b32 exec_lo, exec_lo, s10
	s_and_saveexec_b32 s1, s41
	s_cbranch_execz .LBB100_734
; %bb.733:                              ;   in Loop: Header=BB100_3 Depth=1
	ds_load_b32 v25, v5 offset:5980
	s_wait_dscnt 0x0
	v_mul_f32_e32 v24, v24, v25
	s_delay_alu instid0(VALU_DEP_1)
	v_xor_b32_e32 v25, 0x80000000, v24
	ds_store_b32 v37, v25
.LBB100_734:                            ;   in Loop: Header=BB100_3 Depth=1
	s_or_b32 exec_lo, exec_lo, s1
	s_wait_loadcnt_dscnt 0x0
	s_barrier_signal -1
	s_barrier_wait -1
	s_and_saveexec_b32 s1, s42
	s_cbranch_execz .LBB100_736
; %bb.735:                              ;   in Loop: Header=BB100_3 Depth=1
	ds_load_b32 v25, v39 offset:5952
	ds_load_b32 v27, v37
	s_wait_dscnt 0x0
	v_fma_f32 v24, -v25, v27, v24
.LBB100_736:                            ;   in Loop: Header=BB100_3 Depth=1
	s_or_b32 exec_lo, exec_lo, s1
	s_barrier_signal -1
	s_barrier_wait -1
	s_and_saveexec_b32 s1, s43
	s_cbranch_execz .LBB100_738
; %bb.737:                              ;   in Loop: Header=BB100_3 Depth=1
	ds_load_b32 v25, v5 offset:5720
	s_wait_dscnt 0x0
	v_mul_f32_e32 v24, v24, v25
	s_delay_alu instid0(VALU_DEP_1)
	v_xor_b32_e32 v25, 0x80000000, v24
	ds_store_b32 v37, v25
.LBB100_738:                            ;   in Loop: Header=BB100_3 Depth=1
	s_or_b32 exec_lo, exec_lo, s1
	s_wait_dscnt 0x0
	s_barrier_signal -1
	s_barrier_wait -1
	s_and_saveexec_b32 s1, s44
	s_cbranch_execz .LBB100_740
; %bb.739:                              ;   in Loop: Header=BB100_3 Depth=1
	ds_load_b32 v25, v39 offset:5696
	ds_load_b32 v27, v37
	s_wait_dscnt 0x0
	v_fma_f32 v24, -v25, v27, v24
.LBB100_740:                            ;   in Loop: Header=BB100_3 Depth=1
	s_or_b32 exec_lo, exec_lo, s1
	s_barrier_signal -1
	s_barrier_wait -1
	s_and_saveexec_b32 s1, s45
	s_cbranch_execz .LBB100_742
; %bb.741:                              ;   in Loop: Header=BB100_3 Depth=1
	ds_load_b32 v25, v5 offset:5460
	s_wait_dscnt 0x0
	v_mul_f32_e32 v24, v24, v25
	s_delay_alu instid0(VALU_DEP_1)
	v_xor_b32_e32 v25, 0x80000000, v24
	ds_store_b32 v37, v25
.LBB100_742:                            ;   in Loop: Header=BB100_3 Depth=1
	s_or_b32 exec_lo, exec_lo, s1
	s_wait_dscnt 0x0
	;; [unrolled: 25-line block ×7, first 2 shown]
	s_barrier_signal -1
	s_barrier_wait -1
	s_barrier_signal -1
	s_barrier_wait -1
	s_and_saveexec_b32 s1, s4
; %bb.763:                              ;   in Loop: Header=BB100_3 Depth=1
	ds_store_b32 v40, v24 offset:8000
; %bb.764:                              ;   in Loop: Header=BB100_3 Depth=1
	s_or_b32 exec_lo, exec_lo, s1
	s_wait_dscnt 0x0
	s_barrier_signal -1
	s_barrier_wait -1
	s_barrier_signal -1
	s_barrier_wait -1
	s_and_saveexec_b32 s1, s15
	s_cbranch_execz .LBB100_766
; %bb.765:                              ;   in Loop: Header=BB100_3 Depth=1
	ds_load_b64 v[24:25], v5 offset:5976
	ds_load_b32 v27, v5 offset:5720
	s_wait_dscnt 0x0
	v_mul_f32_e32 v25, v27, v25
	s_delay_alu instid0(VALU_DEP_1)
	v_mul_f32_e32 v24, v24, v25
	ds_store_b32 v5, v24 offset:5976
.LBB100_766:                            ;   in Loop: Header=BB100_3 Depth=1
	s_or_b32 exec_lo, exec_lo, s1
	v_mov_b32_e32 v24, 0
	s_wait_dscnt 0x0
	s_barrier_signal -1
	s_barrier_wait -1
	global_wb scope:SCOPE_DEV
	s_wait_storecnt 0x0
	global_inv scope:SCOPE_DEV
	s_and_saveexec_b32 s1, s2
	s_cbranch_execz .LBB100_770
; %bb.767:                              ;   in Loop: Header=BB100_3 Depth=1
	ds_load_b32 v24, v30 offset:5712
	ds_load_b32 v25, v29 offset:5976
	s_wait_dscnt 0x0
	v_fma_f32 v24, v24, v25, 0
	s_and_saveexec_b32 s8, s16
	s_cbranch_execz .LBB100_769
; %bb.768:                              ;   in Loop: Header=BB100_3 Depth=1
	ds_load_b32 v25, v31 offset:5968
	ds_load_b32 v27, v5 offset:5980
	s_wait_dscnt 0x0
	v_fmac_f32_e32 v24, v25, v27
.LBB100_769:                            ;   in Loop: Header=BB100_3 Depth=1
	s_or_b32 exec_lo, exec_lo, s8
.LBB100_770:                            ;   in Loop: Header=BB100_3 Depth=1
	s_delay_alu instid0(SALU_CYCLE_1)
	s_or_b32 exec_lo, exec_lo, s1
	s_and_saveexec_b32 s1, s103
	s_cbranch_execz .LBB100_772
; %bb.771:                              ;   in Loop: Header=BB100_3 Depth=1
	ds_load_b32 v25, v5 offset:5460
	s_wait_dscnt 0x0
	v_mul_f32_e32 v24, v24, v25
	s_delay_alu instid0(VALU_DEP_1)
	v_xor_b32_e32 v25, 0x80000000, v24
	ds_store_b32 v3, v25
.LBB100_772:                            ;   in Loop: Header=BB100_3 Depth=1
	s_or_b32 exec_lo, exec_lo, s1
	s_wait_loadcnt_dscnt 0x0
	s_barrier_signal -1
	s_barrier_wait -1
	s_and_saveexec_b32 s1, s104
	s_cbranch_execz .LBB100_774
; %bb.773:                              ;   in Loop: Header=BB100_3 Depth=1
	ds_load_b32 v25, v5 offset:5456
	ds_load_b32 v27, v3
	s_wait_dscnt 0x0
	v_fma_f32 v24, -v25, v27, v24
.LBB100_774:                            ;   in Loop: Header=BB100_3 Depth=1
	s_or_b32 exec_lo, exec_lo, s1
	s_barrier_signal -1
	s_barrier_wait -1
	s_and_saveexec_b32 s1, s104
	s_cbranch_execz .LBB100_776
; %bb.775:                              ;   in Loop: Header=BB100_3 Depth=1
	ds_load_b32 v25, v5 offset:5200
	s_wait_dscnt 0x0
	v_mul_f32_e32 v24, v24, v25
	s_delay_alu instid0(VALU_DEP_1)
	v_xor_b32_e32 v25, 0x80000000, v24
	ds_store_b32 v3, v25
.LBB100_776:                            ;   in Loop: Header=BB100_3 Depth=1
	s_or_b32 exec_lo, exec_lo, s1
	s_wait_dscnt 0x0
	s_barrier_signal -1
	s_barrier_wait -1
	s_barrier_signal -1
	s_barrier_wait -1
	s_and_saveexec_b32 s1, s2
; %bb.777:                              ;   in Loop: Header=BB100_3 Depth=1
	ds_store_b32 v32, v24 offset:5968
; %bb.778:                              ;   in Loop: Header=BB100_3 Depth=1
	s_or_b32 exec_lo, exec_lo, s1
	s_wait_dscnt 0x0
	s_barrier_signal -1
	s_barrier_wait -1
	s_barrier_signal -1
	s_barrier_wait -1
	s_and_saveexec_b32 s1, s15
	s_cbranch_execz .LBB100_780
; %bb.779:                              ;   in Loop: Header=BB100_3 Depth=1
	ds_load_b64 v[24:25], v5 offset:5456
	ds_load_b32 v27, v5 offset:5200
	s_wait_dscnt 0x0
	v_mul_f32_e32 v25, v27, v25
	s_delay_alu instid0(VALU_DEP_1)
	v_mul_f32_e32 v24, v24, v25
	ds_store_b32 v5, v24 offset:5456
.LBB100_780:                            ;   in Loop: Header=BB100_3 Depth=1
	s_or_b32 exec_lo, exec_lo, s1
	v_mov_b32_e32 v24, 0
	s_wait_dscnt 0x0
	s_barrier_signal -1
	s_barrier_wait -1
	global_wb scope:SCOPE_DEV
	s_wait_storecnt 0x0
	global_inv scope:SCOPE_DEV
	s_and_saveexec_b32 s10, s3
	s_cbranch_execz .LBB100_786
; %bb.781:                              ;   in Loop: Header=BB100_3 Depth=1
	ds_load_b32 v24, v35 offset:5184
	ds_load_b32 v25, v34 offset:5968
	s_wait_dscnt 0x0
	v_fma_f32 v24, v24, v25, 0
	s_and_saveexec_b32 s1, s17
	s_cbranch_execnz .LBB100_1179
; %bb.782:                              ;   in Loop: Header=BB100_3 Depth=1
	s_or_b32 exec_lo, exec_lo, s1
	s_and_saveexec_b32 s1, s18
	s_cbranch_execnz .LBB100_1180
.LBB100_783:                            ;   in Loop: Header=BB100_3 Depth=1
	s_or_b32 exec_lo, exec_lo, s1
	s_and_saveexec_b32 s1, s2
	s_cbranch_execz .LBB100_785
.LBB100_784:                            ;   in Loop: Header=BB100_3 Depth=1
	ds_load_b32 v25, v31 offset:5952
	ds_load_b32 v27, v5 offset:5980
	s_wait_dscnt 0x0
	v_fmac_f32_e32 v24, v25, v27
.LBB100_785:                            ;   in Loop: Header=BB100_3 Depth=1
	s_or_b32 exec_lo, exec_lo, s1
.LBB100_786:                            ;   in Loop: Header=BB100_3 Depth=1
	s_delay_alu instid0(SALU_CYCLE_1)
	s_or_b32 exec_lo, exec_lo, s10
	s_and_saveexec_b32 s1, vcc_hi
	s_cbranch_execz .LBB100_788
; %bb.787:                              ;   in Loop: Header=BB100_3 Depth=1
	ds_load_b32 v25, v5 offset:4940
	s_wait_dscnt 0x0
	v_mul_f32_e32 v24, v24, v25
	s_delay_alu instid0(VALU_DEP_1)
	v_xor_b32_e32 v25, 0x80000000, v24
	ds_store_b32 v33, v25
.LBB100_788:                            ;   in Loop: Header=BB100_3 Depth=1
	s_or_b32 exec_lo, exec_lo, s1
	s_wait_loadcnt_dscnt 0x0
	s_barrier_signal -1
	s_barrier_wait -1
	s_and_saveexec_b32 s1, s36
	s_cbranch_execz .LBB100_790
; %bb.789:                              ;   in Loop: Header=BB100_3 Depth=1
	ds_load_b32 v25, v35 offset:4928
	ds_load_b32 v27, v33
	s_wait_dscnt 0x0
	v_fma_f32 v24, -v25, v27, v24
.LBB100_790:                            ;   in Loop: Header=BB100_3 Depth=1
	s_or_b32 exec_lo, exec_lo, s1
	s_barrier_signal -1
	s_barrier_wait -1
	s_and_saveexec_b32 s1, s37
	s_cbranch_execz .LBB100_792
; %bb.791:                              ;   in Loop: Header=BB100_3 Depth=1
	ds_load_b32 v25, v5 offset:4680
	s_wait_dscnt 0x0
	v_mul_f32_e32 v24, v24, v25
	s_delay_alu instid0(VALU_DEP_1)
	v_xor_b32_e32 v25, 0x80000000, v24
	ds_store_b32 v33, v25
.LBB100_792:                            ;   in Loop: Header=BB100_3 Depth=1
	s_or_b32 exec_lo, exec_lo, s1
	s_wait_dscnt 0x0
	s_barrier_signal -1
	s_barrier_wait -1
	s_and_saveexec_b32 s1, s38
	s_cbranch_execz .LBB100_794
; %bb.793:                              ;   in Loop: Header=BB100_3 Depth=1
	ds_load_b32 v25, v35 offset:4672
	ds_load_b32 v27, v33
	s_wait_dscnt 0x0
	v_fma_f32 v24, -v25, v27, v24
.LBB100_794:                            ;   in Loop: Header=BB100_3 Depth=1
	s_or_b32 exec_lo, exec_lo, s1
	s_barrier_signal -1
	s_barrier_wait -1
	s_and_saveexec_b32 s1, s39
	s_cbranch_execz .LBB100_796
; %bb.795:                              ;   in Loop: Header=BB100_3 Depth=1
	ds_load_b32 v25, v5 offset:4420
	s_wait_dscnt 0x0
	v_mul_f32_e32 v24, v24, v25
	s_delay_alu instid0(VALU_DEP_1)
	v_xor_b32_e32 v25, 0x80000000, v24
	ds_store_b32 v33, v25
.LBB100_796:                            ;   in Loop: Header=BB100_3 Depth=1
	s_or_b32 exec_lo, exec_lo, s1
	s_wait_dscnt 0x0
	;; [unrolled: 25-line block ×3, first 2 shown]
	s_barrier_signal -1
	s_barrier_wait -1
	s_barrier_signal -1
	s_barrier_wait -1
	s_and_saveexec_b32 s1, s3
; %bb.801:                              ;   in Loop: Header=BB100_3 Depth=1
	ds_store_b32 v36, v24 offset:5952
; %bb.802:                              ;   in Loop: Header=BB100_3 Depth=1
	s_or_b32 exec_lo, exec_lo, s1
	s_wait_dscnt 0x0
	s_barrier_signal -1
	s_barrier_wait -1
	s_barrier_signal -1
	s_barrier_wait -1
	s_and_saveexec_b32 s1, s15
	s_cbranch_execz .LBB100_804
; %bb.803:                              ;   in Loop: Header=BB100_3 Depth=1
	ds_load_b64 v[24:25], v5 offset:4936
	ds_load_b32 v27, v5 offset:4680
	s_wait_dscnt 0x0
	v_mul_f32_e32 v25, v27, v25
	s_delay_alu instid0(VALU_DEP_1)
	v_mul_f32_e32 v24, v24, v25
	ds_store_b32 v5, v24 offset:4936
.LBB100_804:                            ;   in Loop: Header=BB100_3 Depth=1
	s_or_b32 exec_lo, exec_lo, s1
	v_mov_b32_e32 v24, 0
	s_wait_dscnt 0x0
	s_barrier_signal -1
	s_barrier_wait -1
	global_wb scope:SCOPE_DEV
	s_wait_storecnt 0x0
	global_inv scope:SCOPE_DEV
	s_and_saveexec_b32 s1, s2
	s_cbranch_execz .LBB100_808
; %bb.805:                              ;   in Loop: Header=BB100_3 Depth=1
	ds_load_b32 v24, v30 offset:4672
	ds_load_b32 v25, v29 offset:4936
	s_wait_dscnt 0x0
	v_fma_f32 v24, v24, v25, 0
	s_and_saveexec_b32 s8, s16
	s_cbranch_execz .LBB100_807
; %bb.806:                              ;   in Loop: Header=BB100_3 Depth=1
	ds_load_b32 v25, v31 offset:4928
	ds_load_b32 v27, v5 offset:4940
	s_wait_dscnt 0x0
	v_fmac_f32_e32 v24, v25, v27
.LBB100_807:                            ;   in Loop: Header=BB100_3 Depth=1
	s_or_b32 exec_lo, exec_lo, s8
.LBB100_808:                            ;   in Loop: Header=BB100_3 Depth=1
	s_delay_alu instid0(SALU_CYCLE_1)
	s_or_b32 exec_lo, exec_lo, s1
	s_and_saveexec_b32 s1, s103
	s_cbranch_execz .LBB100_810
; %bb.809:                              ;   in Loop: Header=BB100_3 Depth=1
	ds_load_b32 v25, v5 offset:4420
	s_wait_dscnt 0x0
	v_mul_f32_e32 v24, v24, v25
	s_delay_alu instid0(VALU_DEP_1)
	v_xor_b32_e32 v25, 0x80000000, v24
	ds_store_b32 v3, v25
.LBB100_810:                            ;   in Loop: Header=BB100_3 Depth=1
	s_or_b32 exec_lo, exec_lo, s1
	s_wait_loadcnt_dscnt 0x0
	s_barrier_signal -1
	s_barrier_wait -1
	s_and_saveexec_b32 s1, s104
	s_cbranch_execz .LBB100_812
; %bb.811:                              ;   in Loop: Header=BB100_3 Depth=1
	ds_load_b32 v25, v5 offset:4416
	ds_load_b32 v27, v3
	s_wait_dscnt 0x0
	v_fma_f32 v24, -v25, v27, v24
.LBB100_812:                            ;   in Loop: Header=BB100_3 Depth=1
	s_or_b32 exec_lo, exec_lo, s1
	s_barrier_signal -1
	s_barrier_wait -1
	s_and_saveexec_b32 s1, s104
	s_cbranch_execz .LBB100_814
; %bb.813:                              ;   in Loop: Header=BB100_3 Depth=1
	ds_load_b32 v25, v5 offset:4160
	s_wait_dscnt 0x0
	v_mul_f32_e32 v24, v24, v25
	s_delay_alu instid0(VALU_DEP_1)
	v_xor_b32_e32 v25, 0x80000000, v24
	ds_store_b32 v3, v25
.LBB100_814:                            ;   in Loop: Header=BB100_3 Depth=1
	s_or_b32 exec_lo, exec_lo, s1
	s_wait_dscnt 0x0
	s_barrier_signal -1
	s_barrier_wait -1
	s_barrier_signal -1
	s_barrier_wait -1
	s_and_saveexec_b32 s1, s2
; %bb.815:                              ;   in Loop: Header=BB100_3 Depth=1
	ds_store_b32 v32, v24 offset:4928
; %bb.816:                              ;   in Loop: Header=BB100_3 Depth=1
	s_or_b32 exec_lo, exec_lo, s1
	s_wait_dscnt 0x0
	s_barrier_signal -1
	s_barrier_wait -1
	s_barrier_signal -1
	s_barrier_wait -1
	s_and_saveexec_b32 s1, s15
	s_cbranch_execz .LBB100_818
; %bb.817:                              ;   in Loop: Header=BB100_3 Depth=1
	ds_load_b64 v[24:25], v5 offset:4416
	ds_load_b32 v27, v5 offset:4160
	s_wait_dscnt 0x0
	v_mul_f32_e32 v25, v27, v25
	s_delay_alu instid0(VALU_DEP_1)
	v_mul_f32_e32 v24, v24, v25
	ds_store_b32 v5, v24 offset:4416
.LBB100_818:                            ;   in Loop: Header=BB100_3 Depth=1
	s_or_b32 exec_lo, exec_lo, s1
	v_mov_b32_e32 v24, 0
	s_wait_dscnt 0x0
	s_barrier_signal -1
	s_barrier_wait -1
	global_wb scope:SCOPE_DEV
	s_wait_storecnt 0x0
	global_inv scope:SCOPE_DEV
	s_and_saveexec_b32 s10, s5
	s_cbranch_execz .LBB100_846
; %bb.819:                              ;   in Loop: Header=BB100_3 Depth=1
	ds_load_b32 v24, v43 offset:4096
	ds_load_b32 v25, v42 offset:8000
	s_wait_dscnt 0x0
	v_fma_f32 v24, v24, v25, 0
	s_mov_b32 s1, exec_lo
	v_readlane_b32 s8, v72, 27
	s_and_b32 s8, s1, s8
	s_delay_alu instid0(SALU_CYCLE_1)
	s_mov_b32 exec_lo, s8
	s_cbranch_execz .LBB100_821
; %bb.820:                              ;   in Loop: Header=BB100_3 Depth=1
	ds_load_b32 v25, v43 offset:4352
	ds_load_b32 v27, v42 offset:8004
	s_wait_dscnt 0x0
	v_fmac_f32_e32 v24, v25, v27
.LBB100_821:                            ;   in Loop: Header=BB100_3 Depth=1
	s_or_b32 exec_lo, exec_lo, s1
	s_delay_alu instid0(SALU_CYCLE_1) | instskip(SKIP_2) | instid1(SALU_CYCLE_1)
	s_mov_b32 s1, exec_lo
	v_readlane_b32 s8, v72, 28
	s_and_b32 s8, s1, s8
	s_mov_b32 exec_lo, s8
	s_cbranch_execz .LBB100_823
; %bb.822:                              ;   in Loop: Header=BB100_3 Depth=1
	ds_load_b32 v25, v43 offset:4608
	ds_load_b32 v27, v42 offset:8008
	s_wait_dscnt 0x0
	v_fmac_f32_e32 v24, v25, v27
.LBB100_823:                            ;   in Loop: Header=BB100_3 Depth=1
	s_or_b32 exec_lo, exec_lo, s1
	s_delay_alu instid0(SALU_CYCLE_1) | instskip(SKIP_2) | instid1(SALU_CYCLE_1)
	s_mov_b32 s1, exec_lo
	v_readlane_b32 s8, v72, 29
	s_and_b32 s8, s1, s8
	s_mov_b32 exec_lo, s8
	s_cbranch_execz .LBB100_825
; %bb.824:                              ;   in Loop: Header=BB100_3 Depth=1
	ds_load_b32 v25, v43 offset:4864
	ds_load_b32 v27, v42 offset:8012
	s_wait_dscnt 0x0
	v_fmac_f32_e32 v24, v25, v27
.LBB100_825:                            ;   in Loop: Header=BB100_3 Depth=1
	s_or_b32 exec_lo, exec_lo, s1
	s_delay_alu instid0(SALU_CYCLE_1) | instskip(SKIP_2) | instid1(SALU_CYCLE_1)
	s_mov_b32 s1, exec_lo
	v_readlane_b32 s8, v72, 30
	s_and_b32 s8, s1, s8
	s_mov_b32 exec_lo, s8
	s_cbranch_execz .LBB100_827
; %bb.826:                              ;   in Loop: Header=BB100_3 Depth=1
	ds_load_b32 v25, v43 offset:5120
	ds_load_b32 v27, v42 offset:8016
	s_wait_dscnt 0x0
	v_fmac_f32_e32 v24, v25, v27
.LBB100_827:                            ;   in Loop: Header=BB100_3 Depth=1
	s_or_b32 exec_lo, exec_lo, s1
	s_delay_alu instid0(SALU_CYCLE_1) | instskip(SKIP_2) | instid1(SALU_CYCLE_1)
	s_mov_b32 s1, exec_lo
	v_readlane_b32 s8, v72, 31
	s_and_b32 s8, s1, s8
	s_mov_b32 exec_lo, s8
	s_cbranch_execz .LBB100_829
; %bb.828:                              ;   in Loop: Header=BB100_3 Depth=1
	ds_load_b32 v25, v43 offset:5376
	ds_load_b32 v27, v42 offset:8020
	s_wait_dscnt 0x0
	v_fmac_f32_e32 v24, v25, v27
.LBB100_829:                            ;   in Loop: Header=BB100_3 Depth=1
	s_or_b32 exec_lo, exec_lo, s1
	s_delay_alu instid0(SALU_CYCLE_1) | instskip(SKIP_2) | instid1(SALU_CYCLE_1)
	s_mov_b32 s1, exec_lo
	v_readlane_b32 s8, v71, 0
	s_and_b32 s8, s1, s8
	s_mov_b32 exec_lo, s8
	s_cbranch_execz .LBB100_831
; %bb.830:                              ;   in Loop: Header=BB100_3 Depth=1
	ds_load_b32 v25, v43 offset:5632
	ds_load_b32 v27, v42 offset:8024
	s_wait_dscnt 0x0
	v_fmac_f32_e32 v24, v25, v27
.LBB100_831:                            ;   in Loop: Header=BB100_3 Depth=1
	s_or_b32 exec_lo, exec_lo, s1
	s_delay_alu instid0(SALU_CYCLE_1) | instskip(SKIP_2) | instid1(SALU_CYCLE_1)
	s_mov_b32 s1, exec_lo
	v_readlane_b32 s8, v71, 1
	s_and_b32 s8, s1, s8
	s_mov_b32 exec_lo, s8
	s_cbranch_execz .LBB100_833
; %bb.832:                              ;   in Loop: Header=BB100_3 Depth=1
	ds_load_b32 v25, v43 offset:5888
	ds_load_b32 v27, v42 offset:8028
	s_wait_dscnt 0x0
	v_fmac_f32_e32 v24, v25, v27
.LBB100_833:                            ;   in Loop: Header=BB100_3 Depth=1
	s_or_b32 exec_lo, exec_lo, s1
	s_delay_alu instid0(SALU_CYCLE_1) | instskip(SKIP_2) | instid1(SALU_CYCLE_1)
	s_mov_b32 s1, exec_lo
	v_readlane_b32 s8, v71, 2
	s_and_b32 s8, s1, s8
	s_mov_b32 exec_lo, s8
	s_cbranch_execz .LBB100_835
; %bb.834:                              ;   in Loop: Header=BB100_3 Depth=1
	ds_load_b32 v25, v43 offset:6144
	ds_load_b32 v27, v42 offset:8032
	s_wait_dscnt 0x0
	v_fmac_f32_e32 v24, v25, v27
.LBB100_835:                            ;   in Loop: Header=BB100_3 Depth=1
	s_or_b32 exec_lo, exec_lo, s1
	s_delay_alu instid0(SALU_CYCLE_1) | instskip(SKIP_2) | instid1(SALU_CYCLE_1)
	s_mov_b32 s1, exec_lo
	v_readlane_b32 s8, v71, 3
	s_and_b32 s8, s1, s8
	s_mov_b32 exec_lo, s8
	s_cbranch_execz .LBB100_837
; %bb.836:                              ;   in Loop: Header=BB100_3 Depth=1
	ds_load_b32 v25, v43 offset:6400
	ds_load_b32 v27, v42 offset:8036
	s_wait_dscnt 0x0
	v_fmac_f32_e32 v24, v25, v27
.LBB100_837:                            ;   in Loop: Header=BB100_3 Depth=1
	s_or_b32 exec_lo, exec_lo, s1
	s_delay_alu instid0(SALU_CYCLE_1) | instskip(SKIP_2) | instid1(SALU_CYCLE_1)
	s_mov_b32 s1, exec_lo
	v_readlane_b32 s8, v71, 4
	s_and_b32 s8, s1, s8
	s_mov_b32 exec_lo, s8
	s_cbranch_execz .LBB100_839
; %bb.838:                              ;   in Loop: Header=BB100_3 Depth=1
	ds_load_b32 v25, v43 offset:6656
	ds_load_b32 v27, v42 offset:8040
	s_wait_dscnt 0x0
	v_fmac_f32_e32 v24, v25, v27
.LBB100_839:                            ;   in Loop: Header=BB100_3 Depth=1
	s_or_b32 exec_lo, exec_lo, s1
	s_delay_alu instid0(SALU_CYCLE_1) | instskip(SKIP_2) | instid1(SALU_CYCLE_1)
	s_mov_b32 s1, exec_lo
	v_readlane_b32 s8, v71, 5
	s_and_b32 s8, s1, s8
	s_mov_b32 exec_lo, s8
	s_cbranch_execnz .LBB100_1181
; %bb.840:                              ;   in Loop: Header=BB100_3 Depth=1
	s_or_b32 exec_lo, exec_lo, s1
	s_and_saveexec_b32 s1, s4
	s_cbranch_execnz .LBB100_1182
.LBB100_841:                            ;   in Loop: Header=BB100_3 Depth=1
	s_or_b32 exec_lo, exec_lo, s1
	s_and_saveexec_b32 s1, s20
	s_cbranch_execnz .LBB100_1183
.LBB100_842:                            ;   in Loop: Header=BB100_3 Depth=1
	s_or_b32 exec_lo, exec_lo, s1
	s_and_saveexec_b32 s1, s22
	s_cbranch_execnz .LBB100_1184
.LBB100_843:                            ;   in Loop: Header=BB100_3 Depth=1
	s_or_b32 exec_lo, exec_lo, s1
	s_and_saveexec_b32 s1, s3
	s_cbranch_execz .LBB100_845
.LBB100_844:                            ;   in Loop: Header=BB100_3 Depth=1
	ds_load_b32 v25, v31 offset:7936
	ds_load_b32 v27, v5 offset:8060
	s_wait_dscnt 0x0
	v_fmac_f32_e32 v24, v25, v27
.LBB100_845:                            ;   in Loop: Header=BB100_3 Depth=1
	s_or_b32 exec_lo, exec_lo, s1
.LBB100_846:                            ;   in Loop: Header=BB100_3 Depth=1
	s_delay_alu instid0(SALU_CYCLE_1) | instskip(NEXT) | instid1(SALU_CYCLE_1)
	s_or_b32 exec_lo, exec_lo, s10
	s_mov_b32 s1, exec_lo
	v_readlane_b32 s8, v74, 2
	s_and_b32 s8, s1, s8
	s_delay_alu instid0(SALU_CYCLE_1)
	s_mov_b32 exec_lo, s8
	s_cbranch_execz .LBB100_848
; %bb.847:                              ;   in Loop: Header=BB100_3 Depth=1
	ds_load_b32 v25, v5 offset:3900
	s_wait_dscnt 0x0
	v_mul_f32_e32 v24, v24, v25
	s_delay_alu instid0(VALU_DEP_1)
	v_xor_b32_e32 v25, 0x80000000, v24
	ds_store_b32 v41, v25
.LBB100_848:                            ;   in Loop: Header=BB100_3 Depth=1
	s_or_b32 exec_lo, exec_lo, s1
	s_wait_loadcnt_dscnt 0x0
	s_barrier_signal -1
	s_barrier_wait -1
	s_mov_b32 s1, exec_lo
	v_readlane_b32 s8, v74, 3
	s_and_b32 s8, s1, s8
	s_delay_alu instid0(SALU_CYCLE_1)
	s_mov_b32 exec_lo, s8
	s_cbranch_execz .LBB100_850
; %bb.849:                              ;   in Loop: Header=BB100_3 Depth=1
	ds_load_b32 v25, v43 offset:3840
	ds_load_b32 v27, v41
	s_wait_dscnt 0x0
	v_fma_f32 v24, -v25, v27, v24
.LBB100_850:                            ;   in Loop: Header=BB100_3 Depth=1
	s_or_b32 exec_lo, exec_lo, s1
	s_barrier_signal -1
	s_barrier_wait -1
	s_mov_b32 s1, exec_lo
	v_readlane_b32 s8, v74, 4
	s_and_b32 s8, s1, s8
	s_delay_alu instid0(SALU_CYCLE_1)
	s_mov_b32 exec_lo, s8
	s_cbranch_execz .LBB100_852
; %bb.851:                              ;   in Loop: Header=BB100_3 Depth=1
	ds_load_b32 v25, v5 offset:3640
	s_wait_dscnt 0x0
	v_mul_f32_e32 v24, v24, v25
	s_delay_alu instid0(VALU_DEP_1)
	v_xor_b32_e32 v25, 0x80000000, v24
	ds_store_b32 v41, v25
.LBB100_852:                            ;   in Loop: Header=BB100_3 Depth=1
	s_or_b32 exec_lo, exec_lo, s1
	s_wait_dscnt 0x0
	s_barrier_signal -1
	s_barrier_wait -1
	s_mov_b32 s1, exec_lo
	v_readlane_b32 s8, v74, 5
	s_and_b32 s8, s1, s8
	s_delay_alu instid0(SALU_CYCLE_1)
	s_mov_b32 exec_lo, s8
	s_cbranch_execz .LBB100_854
; %bb.853:                              ;   in Loop: Header=BB100_3 Depth=1
	ds_load_b32 v25, v43 offset:3584
	ds_load_b32 v27, v41
	s_wait_dscnt 0x0
	v_fma_f32 v24, -v25, v27, v24
.LBB100_854:                            ;   in Loop: Header=BB100_3 Depth=1
	s_or_b32 exec_lo, exec_lo, s1
	s_barrier_signal -1
	s_barrier_wait -1
	s_mov_b32 s1, exec_lo
	v_readlane_b32 s8, v74, 6
	s_and_b32 s8, s1, s8
	s_delay_alu instid0(SALU_CYCLE_1)
	s_mov_b32 exec_lo, s8
	s_cbranch_execz .LBB100_856
; %bb.855:                              ;   in Loop: Header=BB100_3 Depth=1
	ds_load_b32 v25, v5 offset:3380
	s_wait_dscnt 0x0
	v_mul_f32_e32 v24, v24, v25
	s_delay_alu instid0(VALU_DEP_1)
	v_xor_b32_e32 v25, 0x80000000, v24
	ds_store_b32 v41, v25
.LBB100_856:                            ;   in Loop: Header=BB100_3 Depth=1
	s_or_b32 exec_lo, exec_lo, s1
	s_wait_dscnt 0x0
	s_barrier_signal -1
	s_barrier_wait -1
	s_mov_b32 s1, exec_lo
	v_readlane_b32 s8, v74, 7
	s_and_b32 s8, s1, s8
	s_delay_alu instid0(SALU_CYCLE_1)
	s_mov_b32 exec_lo, s8
	s_cbranch_execz .LBB100_858
; %bb.857:                              ;   in Loop: Header=BB100_3 Depth=1
	ds_load_b32 v25, v43 offset:3328
	ds_load_b32 v27, v41
	s_wait_dscnt 0x0
	v_fma_f32 v24, -v25, v27, v24
.LBB100_858:                            ;   in Loop: Header=BB100_3 Depth=1
	s_or_b32 exec_lo, exec_lo, s1
	s_barrier_signal -1
	s_barrier_wait -1
	s_and_saveexec_b32 s1, s67
	s_cbranch_execz .LBB100_860
; %bb.859:                              ;   in Loop: Header=BB100_3 Depth=1
	ds_load_b32 v25, v5 offset:3120
	s_wait_dscnt 0x0
	v_mul_f32_e32 v24, v24, v25
	s_delay_alu instid0(VALU_DEP_1)
	v_xor_b32_e32 v25, 0x80000000, v24
	ds_store_b32 v41, v25
.LBB100_860:                            ;   in Loop: Header=BB100_3 Depth=1
	s_or_b32 exec_lo, exec_lo, s1
	s_wait_dscnt 0x0
	s_barrier_signal -1
	s_barrier_wait -1
	s_and_saveexec_b32 s1, s68
	s_cbranch_execz .LBB100_862
; %bb.861:                              ;   in Loop: Header=BB100_3 Depth=1
	ds_load_b32 v25, v43 offset:3072
	ds_load_b32 v27, v41
	s_wait_dscnt 0x0
	v_fma_f32 v24, -v25, v27, v24
.LBB100_862:                            ;   in Loop: Header=BB100_3 Depth=1
	s_or_b32 exec_lo, exec_lo, s1
	s_barrier_signal -1
	s_barrier_wait -1
	s_and_saveexec_b32 s1, s11
	s_cbranch_execz .LBB100_864
; %bb.863:                              ;   in Loop: Header=BB100_3 Depth=1
	ds_load_b32 v25, v5 offset:2860
	s_wait_dscnt 0x0
	v_mul_f32_e32 v24, v24, v25
	s_delay_alu instid0(VALU_DEP_1)
	v_xor_b32_e32 v25, 0x80000000, v24
	ds_store_b32 v41, v25
.LBB100_864:                            ;   in Loop: Header=BB100_3 Depth=1
	s_or_b32 exec_lo, exec_lo, s1
	s_wait_dscnt 0x0
	s_barrier_signal -1
	s_barrier_wait -1
	s_and_saveexec_b32 s1, s14
	;; [unrolled: 25-line block ×12, first 2 shown]
	s_cbranch_execz .LBB100_906
; %bb.905:                              ;   in Loop: Header=BB100_3 Depth=1
	ds_load_b32 v25, v5 offset:256
	ds_load_b32 v27, v41
	s_wait_dscnt 0x0
	v_fma_f32 v24, -v25, v27, v24
.LBB100_906:                            ;   in Loop: Header=BB100_3 Depth=1
	s_or_b32 exec_lo, exec_lo, s1
	s_barrier_signal -1
	s_barrier_wait -1
	s_and_saveexec_b32 s1, s57
	s_cbranch_execz .LBB100_908
; %bb.907:                              ;   in Loop: Header=BB100_3 Depth=1
	ds_load_b32 v25, v5
	s_wait_dscnt 0x0
	v_mul_f32_e32 v24, v24, v25
	s_delay_alu instid0(VALU_DEP_1)
	v_xor_b32_e32 v25, 0x80000000, v24
	ds_store_b32 v41, v25
.LBB100_908:                            ;   in Loop: Header=BB100_3 Depth=1
	s_or_b32 exec_lo, exec_lo, s1
	s_wait_dscnt 0x0
	s_barrier_signal -1
	s_barrier_wait -1
	s_barrier_signal -1
	s_barrier_wait -1
	s_and_saveexec_b32 s1, s5
; %bb.909:                              ;   in Loop: Header=BB100_3 Depth=1
	ds_store_b32 v44, v24 offset:7936
; %bb.910:                              ;   in Loop: Header=BB100_3 Depth=1
	s_or_b32 exec_lo, exec_lo, s1
	s_wait_dscnt 0x0
	s_barrier_signal -1
	s_barrier_wait -1
	s_barrier_signal -1
	s_barrier_wait -1
	s_and_saveexec_b32 s1, s15
	s_cbranch_execz .LBB100_912
; %bb.911:                              ;   in Loop: Header=BB100_3 Depth=1
	ds_load_b64 v[24:25], v5 offset:3896
	ds_load_b32 v27, v5 offset:3640
	s_wait_dscnt 0x0
	v_mul_f32_e32 v25, v27, v25
	s_delay_alu instid0(VALU_DEP_1)
	v_mul_f32_e32 v24, v24, v25
	ds_store_b32 v5, v24 offset:3896
.LBB100_912:                            ;   in Loop: Header=BB100_3 Depth=1
	s_or_b32 exec_lo, exec_lo, s1
	v_mov_b32_e32 v24, 0
	s_wait_dscnt 0x0
	s_barrier_signal -1
	s_barrier_wait -1
	global_wb scope:SCOPE_DEV
	s_wait_storecnt 0x0
	global_inv scope:SCOPE_DEV
	s_and_saveexec_b32 s1, s2
	s_cbranch_execz .LBB100_916
; %bb.913:                              ;   in Loop: Header=BB100_3 Depth=1
	ds_load_b32 v24, v30 offset:3632
	ds_load_b32 v25, v29 offset:3896
	s_wait_dscnt 0x0
	v_fma_f32 v24, v24, v25, 0
	s_and_saveexec_b32 s8, s16
	s_cbranch_execz .LBB100_915
; %bb.914:                              ;   in Loop: Header=BB100_3 Depth=1
	ds_load_b32 v25, v31 offset:3888
	ds_load_b32 v27, v5 offset:3900
	s_wait_dscnt 0x0
	v_fmac_f32_e32 v24, v25, v27
.LBB100_915:                            ;   in Loop: Header=BB100_3 Depth=1
	s_or_b32 exec_lo, exec_lo, s8
.LBB100_916:                            ;   in Loop: Header=BB100_3 Depth=1
	s_delay_alu instid0(SALU_CYCLE_1)
	s_or_b32 exec_lo, exec_lo, s1
	s_and_saveexec_b32 s1, s103
	s_cbranch_execz .LBB100_918
; %bb.917:                              ;   in Loop: Header=BB100_3 Depth=1
	ds_load_b32 v25, v5 offset:3380
	s_wait_dscnt 0x0
	v_mul_f32_e32 v24, v24, v25
	s_delay_alu instid0(VALU_DEP_1)
	v_xor_b32_e32 v25, 0x80000000, v24
	ds_store_b32 v3, v25
.LBB100_918:                            ;   in Loop: Header=BB100_3 Depth=1
	s_or_b32 exec_lo, exec_lo, s1
	s_wait_loadcnt_dscnt 0x0
	s_barrier_signal -1
	s_barrier_wait -1
	s_and_saveexec_b32 s1, s104
	s_cbranch_execz .LBB100_920
; %bb.919:                              ;   in Loop: Header=BB100_3 Depth=1
	ds_load_b32 v25, v5 offset:3376
	ds_load_b32 v27, v3
	s_wait_dscnt 0x0
	v_fma_f32 v24, -v25, v27, v24
.LBB100_920:                            ;   in Loop: Header=BB100_3 Depth=1
	s_or_b32 exec_lo, exec_lo, s1
	s_barrier_signal -1
	s_barrier_wait -1
	s_and_saveexec_b32 s1, s104
	s_cbranch_execz .LBB100_922
; %bb.921:                              ;   in Loop: Header=BB100_3 Depth=1
	ds_load_b32 v25, v5 offset:3120
	s_wait_dscnt 0x0
	v_mul_f32_e32 v24, v24, v25
	s_delay_alu instid0(VALU_DEP_1)
	v_xor_b32_e32 v25, 0x80000000, v24
	ds_store_b32 v3, v25
.LBB100_922:                            ;   in Loop: Header=BB100_3 Depth=1
	s_or_b32 exec_lo, exec_lo, s1
	s_wait_dscnt 0x0
	s_barrier_signal -1
	s_barrier_wait -1
	s_barrier_signal -1
	s_barrier_wait -1
	s_and_saveexec_b32 s1, s2
; %bb.923:                              ;   in Loop: Header=BB100_3 Depth=1
	ds_store_b32 v32, v24 offset:3888
; %bb.924:                              ;   in Loop: Header=BB100_3 Depth=1
	s_or_b32 exec_lo, exec_lo, s1
	s_wait_dscnt 0x0
	s_barrier_signal -1
	s_barrier_wait -1
	s_barrier_signal -1
	s_barrier_wait -1
	s_and_saveexec_b32 s1, s15
	s_cbranch_execz .LBB100_926
; %bb.925:                              ;   in Loop: Header=BB100_3 Depth=1
	ds_load_b64 v[24:25], v5 offset:3376
	ds_load_b32 v27, v5 offset:3120
	s_wait_dscnt 0x0
	v_mul_f32_e32 v25, v27, v25
	s_delay_alu instid0(VALU_DEP_1)
	v_mul_f32_e32 v24, v24, v25
	ds_store_b32 v5, v24 offset:3376
.LBB100_926:                            ;   in Loop: Header=BB100_3 Depth=1
	s_or_b32 exec_lo, exec_lo, s1
	v_mov_b32_e32 v24, 0
	s_wait_dscnt 0x0
	s_barrier_signal -1
	s_barrier_wait -1
	global_wb scope:SCOPE_DEV
	s_wait_storecnt 0x0
	global_inv scope:SCOPE_DEV
	s_and_saveexec_b32 s10, s3
	s_cbranch_execz .LBB100_932
; %bb.927:                              ;   in Loop: Header=BB100_3 Depth=1
	ds_load_b32 v24, v35 offset:3104
	ds_load_b32 v25, v34 offset:3888
	s_wait_dscnt 0x0
	v_fma_f32 v24, v24, v25, 0
	s_and_saveexec_b32 s1, s17
	s_cbranch_execnz .LBB100_1185
; %bb.928:                              ;   in Loop: Header=BB100_3 Depth=1
	s_or_b32 exec_lo, exec_lo, s1
	s_and_saveexec_b32 s1, s18
	s_cbranch_execnz .LBB100_1186
.LBB100_929:                            ;   in Loop: Header=BB100_3 Depth=1
	s_or_b32 exec_lo, exec_lo, s1
	s_and_saveexec_b32 s1, s2
	s_cbranch_execz .LBB100_931
.LBB100_930:                            ;   in Loop: Header=BB100_3 Depth=1
	ds_load_b32 v25, v31 offset:3872
	ds_load_b32 v27, v5 offset:3900
	s_wait_dscnt 0x0
	v_fmac_f32_e32 v24, v25, v27
.LBB100_931:                            ;   in Loop: Header=BB100_3 Depth=1
	s_or_b32 exec_lo, exec_lo, s1
.LBB100_932:                            ;   in Loop: Header=BB100_3 Depth=1
	s_delay_alu instid0(SALU_CYCLE_1)
	s_or_b32 exec_lo, exec_lo, s10
	s_and_saveexec_b32 s1, vcc_hi
	s_cbranch_execz .LBB100_934
; %bb.933:                              ;   in Loop: Header=BB100_3 Depth=1
	ds_load_b32 v25, v5 offset:2860
	s_wait_dscnt 0x0
	v_mul_f32_e32 v24, v24, v25
	s_delay_alu instid0(VALU_DEP_1)
	v_xor_b32_e32 v25, 0x80000000, v24
	ds_store_b32 v33, v25
.LBB100_934:                            ;   in Loop: Header=BB100_3 Depth=1
	s_or_b32 exec_lo, exec_lo, s1
	s_wait_loadcnt_dscnt 0x0
	s_barrier_signal -1
	s_barrier_wait -1
	s_and_saveexec_b32 s1, s36
	s_cbranch_execz .LBB100_936
; %bb.935:                              ;   in Loop: Header=BB100_3 Depth=1
	ds_load_b32 v25, v35 offset:2848
	ds_load_b32 v27, v33
	s_wait_dscnt 0x0
	v_fma_f32 v24, -v25, v27, v24
.LBB100_936:                            ;   in Loop: Header=BB100_3 Depth=1
	s_or_b32 exec_lo, exec_lo, s1
	s_barrier_signal -1
	s_barrier_wait -1
	s_and_saveexec_b32 s1, s37
	s_cbranch_execz .LBB100_938
; %bb.937:                              ;   in Loop: Header=BB100_3 Depth=1
	ds_load_b32 v25, v5 offset:2600
	s_wait_dscnt 0x0
	v_mul_f32_e32 v24, v24, v25
	s_delay_alu instid0(VALU_DEP_1)
	v_xor_b32_e32 v25, 0x80000000, v24
	ds_store_b32 v33, v25
.LBB100_938:                            ;   in Loop: Header=BB100_3 Depth=1
	s_or_b32 exec_lo, exec_lo, s1
	s_wait_dscnt 0x0
	s_barrier_signal -1
	s_barrier_wait -1
	s_and_saveexec_b32 s1, s38
	s_cbranch_execz .LBB100_940
; %bb.939:                              ;   in Loop: Header=BB100_3 Depth=1
	ds_load_b32 v25, v35 offset:2592
	ds_load_b32 v27, v33
	s_wait_dscnt 0x0
	v_fma_f32 v24, -v25, v27, v24
.LBB100_940:                            ;   in Loop: Header=BB100_3 Depth=1
	s_or_b32 exec_lo, exec_lo, s1
	s_barrier_signal -1
	s_barrier_wait -1
	s_and_saveexec_b32 s1, s39
	s_cbranch_execz .LBB100_942
; %bb.941:                              ;   in Loop: Header=BB100_3 Depth=1
	ds_load_b32 v25, v5 offset:2340
	s_wait_dscnt 0x0
	v_mul_f32_e32 v24, v24, v25
	s_delay_alu instid0(VALU_DEP_1)
	v_xor_b32_e32 v25, 0x80000000, v24
	ds_store_b32 v33, v25
.LBB100_942:                            ;   in Loop: Header=BB100_3 Depth=1
	s_or_b32 exec_lo, exec_lo, s1
	s_wait_dscnt 0x0
	;; [unrolled: 25-line block ×3, first 2 shown]
	s_barrier_signal -1
	s_barrier_wait -1
	s_barrier_signal -1
	s_barrier_wait -1
	s_and_saveexec_b32 s1, s3
; %bb.947:                              ;   in Loop: Header=BB100_3 Depth=1
	ds_store_b32 v36, v24 offset:3872
; %bb.948:                              ;   in Loop: Header=BB100_3 Depth=1
	s_or_b32 exec_lo, exec_lo, s1
	s_wait_dscnt 0x0
	s_barrier_signal -1
	s_barrier_wait -1
	s_barrier_signal -1
	s_barrier_wait -1
	s_and_saveexec_b32 s1, s15
	s_cbranch_execz .LBB100_950
; %bb.949:                              ;   in Loop: Header=BB100_3 Depth=1
	ds_load_b64 v[24:25], v5 offset:2856
	ds_load_b32 v27, v5 offset:2600
	s_wait_dscnt 0x0
	v_mul_f32_e32 v25, v27, v25
	s_delay_alu instid0(VALU_DEP_1)
	v_mul_f32_e32 v24, v24, v25
	ds_store_b32 v5, v24 offset:2856
.LBB100_950:                            ;   in Loop: Header=BB100_3 Depth=1
	s_or_b32 exec_lo, exec_lo, s1
	v_mov_b32_e32 v24, 0
	s_wait_dscnt 0x0
	s_barrier_signal -1
	s_barrier_wait -1
	global_wb scope:SCOPE_DEV
	s_wait_storecnt 0x0
	global_inv scope:SCOPE_DEV
	s_and_saveexec_b32 s1, s2
	s_cbranch_execz .LBB100_954
; %bb.951:                              ;   in Loop: Header=BB100_3 Depth=1
	ds_load_b32 v24, v30 offset:2592
	ds_load_b32 v25, v29 offset:2856
	s_wait_dscnt 0x0
	v_fma_f32 v24, v24, v25, 0
	s_and_saveexec_b32 s8, s16
	s_cbranch_execz .LBB100_953
; %bb.952:                              ;   in Loop: Header=BB100_3 Depth=1
	ds_load_b32 v25, v31 offset:2848
	ds_load_b32 v27, v5 offset:2860
	s_wait_dscnt 0x0
	v_fmac_f32_e32 v24, v25, v27
.LBB100_953:                            ;   in Loop: Header=BB100_3 Depth=1
	s_or_b32 exec_lo, exec_lo, s8
.LBB100_954:                            ;   in Loop: Header=BB100_3 Depth=1
	s_delay_alu instid0(SALU_CYCLE_1)
	s_or_b32 exec_lo, exec_lo, s1
	s_and_saveexec_b32 s1, s103
	s_cbranch_execz .LBB100_956
; %bb.955:                              ;   in Loop: Header=BB100_3 Depth=1
	ds_load_b32 v25, v5 offset:2340
	s_wait_dscnt 0x0
	v_mul_f32_e32 v24, v24, v25
	s_delay_alu instid0(VALU_DEP_1)
	v_xor_b32_e32 v25, 0x80000000, v24
	ds_store_b32 v3, v25
.LBB100_956:                            ;   in Loop: Header=BB100_3 Depth=1
	s_or_b32 exec_lo, exec_lo, s1
	s_wait_loadcnt_dscnt 0x0
	s_barrier_signal -1
	s_barrier_wait -1
	s_and_saveexec_b32 s1, s104
	s_cbranch_execz .LBB100_958
; %bb.957:                              ;   in Loop: Header=BB100_3 Depth=1
	ds_load_b32 v25, v5 offset:2336
	ds_load_b32 v27, v3
	s_wait_dscnt 0x0
	v_fma_f32 v24, -v25, v27, v24
.LBB100_958:                            ;   in Loop: Header=BB100_3 Depth=1
	s_or_b32 exec_lo, exec_lo, s1
	s_barrier_signal -1
	s_barrier_wait -1
	s_and_saveexec_b32 s1, s104
	s_cbranch_execz .LBB100_960
; %bb.959:                              ;   in Loop: Header=BB100_3 Depth=1
	ds_load_b32 v25, v5 offset:2080
	s_wait_dscnt 0x0
	v_mul_f32_e32 v24, v24, v25
	s_delay_alu instid0(VALU_DEP_1)
	v_xor_b32_e32 v25, 0x80000000, v24
	ds_store_b32 v3, v25
.LBB100_960:                            ;   in Loop: Header=BB100_3 Depth=1
	s_or_b32 exec_lo, exec_lo, s1
	s_wait_dscnt 0x0
	s_barrier_signal -1
	s_barrier_wait -1
	s_barrier_signal -1
	s_barrier_wait -1
	s_and_saveexec_b32 s1, s2
; %bb.961:                              ;   in Loop: Header=BB100_3 Depth=1
	ds_store_b32 v32, v24 offset:2848
; %bb.962:                              ;   in Loop: Header=BB100_3 Depth=1
	s_or_b32 exec_lo, exec_lo, s1
	s_wait_dscnt 0x0
	s_barrier_signal -1
	s_barrier_wait -1
	s_barrier_signal -1
	s_barrier_wait -1
	s_and_saveexec_b32 s1, s15
	s_cbranch_execz .LBB100_964
; %bb.963:                              ;   in Loop: Header=BB100_3 Depth=1
	ds_load_b64 v[24:25], v5 offset:2336
	ds_load_b32 v27, v5 offset:2080
	s_wait_dscnt 0x0
	v_mul_f32_e32 v25, v27, v25
	s_delay_alu instid0(VALU_DEP_1)
	v_mul_f32_e32 v24, v24, v25
	ds_store_b32 v5, v24 offset:2336
.LBB100_964:                            ;   in Loop: Header=BB100_3 Depth=1
	s_or_b32 exec_lo, exec_lo, s1
	v_mov_b32_e32 v24, 0
	s_wait_dscnt 0x0
	s_barrier_signal -1
	s_barrier_wait -1
	global_wb scope:SCOPE_DEV
	s_wait_storecnt 0x0
	global_inv scope:SCOPE_DEV
	s_and_saveexec_b32 s10, s4
	s_cbranch_execz .LBB100_974
; %bb.965:                              ;   in Loop: Header=BB100_3 Depth=1
	ds_load_b32 v24, v39 offset:2048
	ds_load_b32 v25, v38 offset:3872
	s_wait_dscnt 0x0
	v_fma_f32 v24, v24, v25, 0
	s_and_saveexec_b32 s1, s19
	s_cbranch_execnz .LBB100_1187
; %bb.966:                              ;   in Loop: Header=BB100_3 Depth=1
	s_or_b32 exec_lo, exec_lo, s1
	s_and_saveexec_b32 s1, s20
	s_cbranch_execnz .LBB100_1188
.LBB100_967:                            ;   in Loop: Header=BB100_3 Depth=1
	s_or_b32 exec_lo, exec_lo, s1
	s_and_saveexec_b32 s1, s21
	s_cbranch_execnz .LBB100_1189
.LBB100_968:                            ;   in Loop: Header=BB100_3 Depth=1
	s_or_b32 exec_lo, exec_lo, s1
	s_and_saveexec_b32 s1, s22
	s_cbranch_execnz .LBB100_1190
.LBB100_969:                            ;   in Loop: Header=BB100_3 Depth=1
	s_or_b32 exec_lo, exec_lo, s1
	s_and_saveexec_b32 s1, s23
	s_cbranch_execnz .LBB100_1191
.LBB100_970:                            ;   in Loop: Header=BB100_3 Depth=1
	s_or_b32 exec_lo, exec_lo, s1
	s_and_saveexec_b32 s1, s3
	s_cbranch_execnz .LBB100_1192
.LBB100_971:                            ;   in Loop: Header=BB100_3 Depth=1
	s_or_b32 exec_lo, exec_lo, s1
	s_and_saveexec_b32 s1, s18
	s_cbranch_execz .LBB100_973
.LBB100_972:                            ;   in Loop: Header=BB100_3 Depth=1
	ds_load_b32 v25, v31 offset:3840
	ds_load_b32 v27, v5 offset:3900
	s_wait_dscnt 0x0
	v_fmac_f32_e32 v24, v25, v27
.LBB100_973:                            ;   in Loop: Header=BB100_3 Depth=1
	s_or_b32 exec_lo, exec_lo, s1
.LBB100_974:                            ;   in Loop: Header=BB100_3 Depth=1
	s_delay_alu instid0(SALU_CYCLE_1)
	s_or_b32 exec_lo, exec_lo, s10
	s_and_saveexec_b32 s1, s41
	s_cbranch_execz .LBB100_976
; %bb.975:                              ;   in Loop: Header=BB100_3 Depth=1
	ds_load_b32 v25, v5 offset:1820
	s_wait_dscnt 0x0
	v_mul_f32_e32 v24, v24, v25
	s_delay_alu instid0(VALU_DEP_1)
	v_xor_b32_e32 v25, 0x80000000, v24
	ds_store_b32 v37, v25
.LBB100_976:                            ;   in Loop: Header=BB100_3 Depth=1
	s_or_b32 exec_lo, exec_lo, s1
	s_wait_loadcnt_dscnt 0x0
	s_barrier_signal -1
	s_barrier_wait -1
	s_and_saveexec_b32 s1, s42
	s_cbranch_execz .LBB100_978
; %bb.977:                              ;   in Loop: Header=BB100_3 Depth=1
	ds_load_b32 v25, v39 offset:1792
	ds_load_b32 v27, v37
	s_wait_dscnt 0x0
	v_fma_f32 v24, -v25, v27, v24
.LBB100_978:                            ;   in Loop: Header=BB100_3 Depth=1
	s_or_b32 exec_lo, exec_lo, s1
	s_barrier_signal -1
	s_barrier_wait -1
	s_and_saveexec_b32 s1, s43
	s_cbranch_execz .LBB100_980
; %bb.979:                              ;   in Loop: Header=BB100_3 Depth=1
	ds_load_b32 v25, v5 offset:1560
	s_wait_dscnt 0x0
	v_mul_f32_e32 v24, v24, v25
	s_delay_alu instid0(VALU_DEP_1)
	v_xor_b32_e32 v25, 0x80000000, v24
	ds_store_b32 v37, v25
.LBB100_980:                            ;   in Loop: Header=BB100_3 Depth=1
	s_or_b32 exec_lo, exec_lo, s1
	s_wait_dscnt 0x0
	s_barrier_signal -1
	s_barrier_wait -1
	s_and_saveexec_b32 s1, s44
	s_cbranch_execz .LBB100_982
; %bb.981:                              ;   in Loop: Header=BB100_3 Depth=1
	ds_load_b32 v25, v39 offset:1536
	ds_load_b32 v27, v37
	s_wait_dscnt 0x0
	v_fma_f32 v24, -v25, v27, v24
.LBB100_982:                            ;   in Loop: Header=BB100_3 Depth=1
	s_or_b32 exec_lo, exec_lo, s1
	s_barrier_signal -1
	s_barrier_wait -1
	s_and_saveexec_b32 s1, s45
	s_cbranch_execz .LBB100_984
; %bb.983:                              ;   in Loop: Header=BB100_3 Depth=1
	ds_load_b32 v25, v5 offset:1300
	s_wait_dscnt 0x0
	v_mul_f32_e32 v24, v24, v25
	s_delay_alu instid0(VALU_DEP_1)
	v_xor_b32_e32 v25, 0x80000000, v24
	ds_store_b32 v37, v25
.LBB100_984:                            ;   in Loop: Header=BB100_3 Depth=1
	s_or_b32 exec_lo, exec_lo, s1
	s_wait_dscnt 0x0
	;; [unrolled: 25-line block ×5, first 2 shown]
	s_barrier_signal -1
	s_barrier_wait -1
	s_and_saveexec_b32 s1, s52
	s_cbranch_execz .LBB100_998
; %bb.997:                              ;   in Loop: Header=BB100_3 Depth=1
	ds_load_b32 v25, v39 offset:512
	ds_load_b32 v27, v37
	s_wait_dscnt 0x0
	v_fma_f32 v24, -v25, v27, v24
.LBB100_998:                            ;   in Loop: Header=BB100_3 Depth=1
	s_or_b32 exec_lo, exec_lo, s1
	s_barrier_signal -1
	s_barrier_wait -1
	s_and_saveexec_b32 s1, s53
	s_cbranch_execz .LBB100_1000
; %bb.999:                              ;   in Loop: Header=BB100_3 Depth=1
	ds_load_b32 v25, v5 offset:260
	s_wait_dscnt 0x0
	v_mul_f32_e32 v24, v24, v25
	s_delay_alu instid0(VALU_DEP_1)
	v_xor_b32_e32 v25, 0x80000000, v24
	ds_store_b32 v37, v25
.LBB100_1000:                           ;   in Loop: Header=BB100_3 Depth=1
	s_or_b32 exec_lo, exec_lo, s1
	s_wait_dscnt 0x0
	s_barrier_signal -1
	s_barrier_wait -1
	s_and_saveexec_b32 s1, s54
	s_cbranch_execz .LBB100_1002
; %bb.1001:                             ;   in Loop: Header=BB100_3 Depth=1
	ds_load_b32 v25, v5 offset:256
	ds_load_b32 v27, v37
	s_wait_dscnt 0x0
	v_fma_f32 v24, -v25, v27, v24
.LBB100_1002:                           ;   in Loop: Header=BB100_3 Depth=1
	s_or_b32 exec_lo, exec_lo, s1
	s_barrier_signal -1
	s_barrier_wait -1
	s_and_saveexec_b32 s1, s54
	s_cbranch_execz .LBB100_1004
; %bb.1003:                             ;   in Loop: Header=BB100_3 Depth=1
	ds_load_b32 v25, v5
	s_wait_dscnt 0x0
	v_mul_f32_e32 v24, v24, v25
	s_delay_alu instid0(VALU_DEP_1)
	v_xor_b32_e32 v25, 0x80000000, v24
	ds_store_b32 v37, v25
.LBB100_1004:                           ;   in Loop: Header=BB100_3 Depth=1
	s_or_b32 exec_lo, exec_lo, s1
	s_wait_dscnt 0x0
	s_barrier_signal -1
	s_barrier_wait -1
	s_barrier_signal -1
	s_barrier_wait -1
	s_and_saveexec_b32 s1, s4
; %bb.1005:                             ;   in Loop: Header=BB100_3 Depth=1
	ds_store_b32 v40, v24 offset:3840
; %bb.1006:                             ;   in Loop: Header=BB100_3 Depth=1
	s_or_b32 exec_lo, exec_lo, s1
	s_wait_dscnt 0x0
	s_barrier_signal -1
	s_barrier_wait -1
	s_barrier_signal -1
	s_barrier_wait -1
	s_and_saveexec_b32 s1, s15
	s_cbranch_execz .LBB100_1008
; %bb.1007:                             ;   in Loop: Header=BB100_3 Depth=1
	ds_load_b64 v[24:25], v5 offset:1816
	ds_load_b32 v27, v5 offset:1560
	s_wait_dscnt 0x0
	v_mul_f32_e32 v25, v27, v25
	s_delay_alu instid0(VALU_DEP_1)
	v_mul_f32_e32 v24, v24, v25
	ds_store_b32 v5, v24 offset:1816
.LBB100_1008:                           ;   in Loop: Header=BB100_3 Depth=1
	s_or_b32 exec_lo, exec_lo, s1
	v_mov_b32_e32 v24, 0
	s_wait_dscnt 0x0
	s_barrier_signal -1
	s_barrier_wait -1
	global_wb scope:SCOPE_DEV
	s_wait_storecnt 0x0
	global_inv scope:SCOPE_DEV
	s_and_saveexec_b32 s1, s2
	s_cbranch_execz .LBB100_1012
; %bb.1009:                             ;   in Loop: Header=BB100_3 Depth=1
	ds_load_b32 v24, v30 offset:1552
	ds_load_b32 v25, v29 offset:1816
	s_wait_dscnt 0x0
	v_fma_f32 v24, v24, v25, 0
	s_and_saveexec_b32 s8, s16
	s_cbranch_execz .LBB100_1011
; %bb.1010:                             ;   in Loop: Header=BB100_3 Depth=1
	ds_load_b32 v25, v31 offset:1808
	ds_load_b32 v27, v5 offset:1820
	s_wait_dscnt 0x0
	v_fmac_f32_e32 v24, v25, v27
.LBB100_1011:                           ;   in Loop: Header=BB100_3 Depth=1
	s_or_b32 exec_lo, exec_lo, s8
.LBB100_1012:                           ;   in Loop: Header=BB100_3 Depth=1
	s_delay_alu instid0(SALU_CYCLE_1)
	s_or_b32 exec_lo, exec_lo, s1
	s_and_saveexec_b32 s1, s103
	s_cbranch_execz .LBB100_1014
; %bb.1013:                             ;   in Loop: Header=BB100_3 Depth=1
	ds_load_b32 v25, v5 offset:1300
	s_wait_dscnt 0x0
	v_mul_f32_e32 v24, v24, v25
	s_delay_alu instid0(VALU_DEP_1)
	v_xor_b32_e32 v25, 0x80000000, v24
	ds_store_b32 v3, v25
.LBB100_1014:                           ;   in Loop: Header=BB100_3 Depth=1
	s_or_b32 exec_lo, exec_lo, s1
	s_wait_loadcnt_dscnt 0x0
	s_barrier_signal -1
	s_barrier_wait -1
	s_and_saveexec_b32 s1, s104
	s_cbranch_execz .LBB100_1016
; %bb.1015:                             ;   in Loop: Header=BB100_3 Depth=1
	ds_load_b32 v25, v5 offset:1296
	ds_load_b32 v27, v3
	s_wait_dscnt 0x0
	v_fma_f32 v24, -v25, v27, v24
.LBB100_1016:                           ;   in Loop: Header=BB100_3 Depth=1
	s_or_b32 exec_lo, exec_lo, s1
	s_barrier_signal -1
	s_barrier_wait -1
	s_and_saveexec_b32 s1, s104
	s_cbranch_execz .LBB100_1018
; %bb.1017:                             ;   in Loop: Header=BB100_3 Depth=1
	ds_load_b32 v25, v5 offset:1040
	s_wait_dscnt 0x0
	v_mul_f32_e32 v24, v24, v25
	s_delay_alu instid0(VALU_DEP_1)
	v_xor_b32_e32 v25, 0x80000000, v24
	ds_store_b32 v3, v25
.LBB100_1018:                           ;   in Loop: Header=BB100_3 Depth=1
	s_or_b32 exec_lo, exec_lo, s1
	s_wait_dscnt 0x0
	s_barrier_signal -1
	s_barrier_wait -1
	s_barrier_signal -1
	s_barrier_wait -1
	s_and_saveexec_b32 s1, s2
; %bb.1019:                             ;   in Loop: Header=BB100_3 Depth=1
	ds_store_b32 v32, v24 offset:1808
; %bb.1020:                             ;   in Loop: Header=BB100_3 Depth=1
	s_or_b32 exec_lo, exec_lo, s1
	s_wait_dscnt 0x0
	s_barrier_signal -1
	s_barrier_wait -1
	s_barrier_signal -1
	s_barrier_wait -1
	s_and_saveexec_b32 s1, s15
	s_cbranch_execz .LBB100_1022
; %bb.1021:                             ;   in Loop: Header=BB100_3 Depth=1
	ds_load_b64 v[24:25], v5 offset:1296
	ds_load_b32 v27, v5 offset:1040
	s_wait_dscnt 0x0
	v_mul_f32_e32 v25, v27, v25
	s_delay_alu instid0(VALU_DEP_1)
	v_mul_f32_e32 v24, v24, v25
	ds_store_b32 v5, v24 offset:1296
.LBB100_1022:                           ;   in Loop: Header=BB100_3 Depth=1
	s_or_b32 exec_lo, exec_lo, s1
	v_mov_b32_e32 v24, 0
	s_wait_dscnt 0x0
	s_barrier_signal -1
	s_barrier_wait -1
	global_wb scope:SCOPE_DEV
	s_wait_storecnt 0x0
	global_inv scope:SCOPE_DEV
	s_and_saveexec_b32 s10, s3
	s_cbranch_execz .LBB100_1028
; %bb.1023:                             ;   in Loop: Header=BB100_3 Depth=1
	ds_load_b32 v24, v35 offset:1024
	ds_load_b32 v25, v34 offset:1808
	s_wait_dscnt 0x0
	v_fma_f32 v24, v24, v25, 0
	s_and_saveexec_b32 s1, s17
	s_cbranch_execnz .LBB100_1193
; %bb.1024:                             ;   in Loop: Header=BB100_3 Depth=1
	s_or_b32 exec_lo, exec_lo, s1
	s_and_saveexec_b32 s1, s18
	s_cbranch_execnz .LBB100_1194
.LBB100_1025:                           ;   in Loop: Header=BB100_3 Depth=1
	s_or_b32 exec_lo, exec_lo, s1
	s_and_saveexec_b32 s1, s2
	s_cbranch_execz .LBB100_1027
.LBB100_1026:                           ;   in Loop: Header=BB100_3 Depth=1
	ds_load_b32 v25, v31 offset:1792
	ds_load_b32 v27, v5 offset:1820
	s_wait_dscnt 0x0
	v_fmac_f32_e32 v24, v25, v27
.LBB100_1027:                           ;   in Loop: Header=BB100_3 Depth=1
	s_or_b32 exec_lo, exec_lo, s1
.LBB100_1028:                           ;   in Loop: Header=BB100_3 Depth=1
	s_delay_alu instid0(SALU_CYCLE_1)
	s_or_b32 exec_lo, exec_lo, s10
	s_and_saveexec_b32 s1, vcc_hi
	s_cbranch_execz .LBB100_1030
; %bb.1029:                             ;   in Loop: Header=BB100_3 Depth=1
	ds_load_b32 v25, v5 offset:780
	s_wait_dscnt 0x0
	v_mul_f32_e32 v24, v24, v25
	s_delay_alu instid0(VALU_DEP_1)
	v_xor_b32_e32 v25, 0x80000000, v24
	ds_store_b32 v33, v25
.LBB100_1030:                           ;   in Loop: Header=BB100_3 Depth=1
	s_or_b32 exec_lo, exec_lo, s1
	s_wait_loadcnt_dscnt 0x0
	s_barrier_signal -1
	s_barrier_wait -1
	s_and_saveexec_b32 s1, s36
	s_cbranch_execz .LBB100_1032
; %bb.1031:                             ;   in Loop: Header=BB100_3 Depth=1
	ds_load_b32 v25, v35 offset:768
	ds_load_b32 v27, v33
	s_wait_dscnt 0x0
	v_fma_f32 v24, -v25, v27, v24
.LBB100_1032:                           ;   in Loop: Header=BB100_3 Depth=1
	s_or_b32 exec_lo, exec_lo, s1
	s_barrier_signal -1
	s_barrier_wait -1
	s_and_saveexec_b32 s1, s37
	s_cbranch_execz .LBB100_1034
; %bb.1033:                             ;   in Loop: Header=BB100_3 Depth=1
	ds_load_b32 v25, v5 offset:520
	s_wait_dscnt 0x0
	v_mul_f32_e32 v24, v24, v25
	s_delay_alu instid0(VALU_DEP_1)
	v_xor_b32_e32 v25, 0x80000000, v24
	ds_store_b32 v33, v25
.LBB100_1034:                           ;   in Loop: Header=BB100_3 Depth=1
	s_or_b32 exec_lo, exec_lo, s1
	s_wait_dscnt 0x0
	s_barrier_signal -1
	s_barrier_wait -1
	s_and_saveexec_b32 s1, s38
	s_cbranch_execz .LBB100_1036
; %bb.1035:                             ;   in Loop: Header=BB100_3 Depth=1
	ds_load_b32 v25, v35 offset:512
	ds_load_b32 v27, v33
	s_wait_dscnt 0x0
	v_fma_f32 v24, -v25, v27, v24
.LBB100_1036:                           ;   in Loop: Header=BB100_3 Depth=1
	s_or_b32 exec_lo, exec_lo, s1
	s_barrier_signal -1
	s_barrier_wait -1
	s_and_saveexec_b32 s1, s39
	s_cbranch_execz .LBB100_1038
; %bb.1037:                             ;   in Loop: Header=BB100_3 Depth=1
	ds_load_b32 v25, v5 offset:260
	s_wait_dscnt 0x0
	v_mul_f32_e32 v24, v24, v25
	s_delay_alu instid0(VALU_DEP_1)
	v_xor_b32_e32 v25, 0x80000000, v24
	ds_store_b32 v33, v25
.LBB100_1038:                           ;   in Loop: Header=BB100_3 Depth=1
	s_or_b32 exec_lo, exec_lo, s1
	s_wait_dscnt 0x0
	s_barrier_signal -1
	s_barrier_wait -1
	s_and_saveexec_b32 s1, s40
	s_cbranch_execz .LBB100_1040
; %bb.1039:                             ;   in Loop: Header=BB100_3 Depth=1
	ds_load_b32 v25, v5 offset:256
	ds_load_b32 v27, v33
	s_wait_dscnt 0x0
	v_fma_f32 v24, -v25, v27, v24
.LBB100_1040:                           ;   in Loop: Header=BB100_3 Depth=1
	s_or_b32 exec_lo, exec_lo, s1
	s_barrier_signal -1
	s_barrier_wait -1
	s_and_saveexec_b32 s1, s40
	s_cbranch_execz .LBB100_1042
; %bb.1041:                             ;   in Loop: Header=BB100_3 Depth=1
	ds_load_b32 v25, v5
	s_wait_dscnt 0x0
	v_mul_f32_e32 v24, v24, v25
	s_delay_alu instid0(VALU_DEP_1)
	v_xor_b32_e32 v25, 0x80000000, v24
	ds_store_b32 v33, v25
.LBB100_1042:                           ;   in Loop: Header=BB100_3 Depth=1
	s_or_b32 exec_lo, exec_lo, s1
	s_wait_dscnt 0x0
	s_barrier_signal -1
	s_barrier_wait -1
	s_barrier_signal -1
	s_barrier_wait -1
	s_and_saveexec_b32 s1, s3
; %bb.1043:                             ;   in Loop: Header=BB100_3 Depth=1
	ds_store_b32 v36, v24 offset:1792
; %bb.1044:                             ;   in Loop: Header=BB100_3 Depth=1
	s_or_b32 exec_lo, exec_lo, s1
	s_wait_dscnt 0x0
	s_barrier_signal -1
	s_barrier_wait -1
	s_barrier_signal -1
	s_barrier_wait -1
	s_and_saveexec_b32 s1, s15
	s_cbranch_execz .LBB100_1046
; %bb.1045:                             ;   in Loop: Header=BB100_3 Depth=1
	ds_load_b64 v[24:25], v5 offset:776
	ds_load_b32 v27, v5 offset:520
	s_wait_dscnt 0x0
	v_mul_f32_e32 v25, v27, v25
	s_delay_alu instid0(VALU_DEP_1)
	v_mul_f32_e32 v24, v24, v25
	ds_store_b32 v5, v24 offset:776
.LBB100_1046:                           ;   in Loop: Header=BB100_3 Depth=1
	s_or_b32 exec_lo, exec_lo, s1
	v_mov_b32_e32 v24, 0
	s_wait_dscnt 0x0
	s_barrier_signal -1
	s_barrier_wait -1
	global_wb scope:SCOPE_DEV
	s_wait_storecnt 0x0
	global_inv scope:SCOPE_DEV
	s_and_saveexec_b32 s1, s2
	s_cbranch_execz .LBB100_1050
; %bb.1047:                             ;   in Loop: Header=BB100_3 Depth=1
	ds_load_b32 v24, v30 offset:512
	ds_load_b32 v25, v29 offset:776
	s_wait_dscnt 0x0
	v_fma_f32 v24, v24, v25, 0
	s_and_saveexec_b32 s8, s16
	s_cbranch_execz .LBB100_1049
; %bb.1048:                             ;   in Loop: Header=BB100_3 Depth=1
	ds_load_b32 v25, v31 offset:768
	ds_load_b32 v27, v5 offset:780
	s_wait_dscnt 0x0
	v_fmac_f32_e32 v24, v25, v27
.LBB100_1049:                           ;   in Loop: Header=BB100_3 Depth=1
	s_or_b32 exec_lo, exec_lo, s8
.LBB100_1050:                           ;   in Loop: Header=BB100_3 Depth=1
	s_delay_alu instid0(SALU_CYCLE_1)
	s_or_b32 exec_lo, exec_lo, s1
	s_and_saveexec_b32 s1, s103
	s_cbranch_execz .LBB100_1052
; %bb.1051:                             ;   in Loop: Header=BB100_3 Depth=1
	ds_load_b32 v25, v5 offset:260
	s_wait_dscnt 0x0
	v_mul_f32_e32 v24, v24, v25
	s_delay_alu instid0(VALU_DEP_1)
	v_xor_b32_e32 v25, 0x80000000, v24
	ds_store_b32 v3, v25
.LBB100_1052:                           ;   in Loop: Header=BB100_3 Depth=1
	s_or_b32 exec_lo, exec_lo, s1
	s_wait_loadcnt_dscnt 0x0
	s_barrier_signal -1
	s_barrier_wait -1
	s_and_saveexec_b32 s1, s104
	s_cbranch_execz .LBB100_1054
; %bb.1053:                             ;   in Loop: Header=BB100_3 Depth=1
	ds_load_b32 v25, v5 offset:256
	ds_load_b32 v27, v3
	s_wait_dscnt 0x0
	v_fma_f32 v24, -v25, v27, v24
.LBB100_1054:                           ;   in Loop: Header=BB100_3 Depth=1
	s_or_b32 exec_lo, exec_lo, s1
	s_barrier_signal -1
	s_barrier_wait -1
	s_and_saveexec_b32 s1, s104
	s_cbranch_execz .LBB100_1056
; %bb.1055:                             ;   in Loop: Header=BB100_3 Depth=1
	ds_load_b32 v25, v5
	s_wait_dscnt 0x0
	v_mul_f32_e32 v24, v24, v25
	s_delay_alu instid0(VALU_DEP_1)
	v_xor_b32_e32 v25, 0x80000000, v24
	ds_store_b32 v3, v25
.LBB100_1056:                           ;   in Loop: Header=BB100_3 Depth=1
	s_or_b32 exec_lo, exec_lo, s1
	s_wait_dscnt 0x0
	s_barrier_signal -1
	s_barrier_wait -1
	s_barrier_signal -1
	s_barrier_wait -1
	s_and_saveexec_b32 s1, s2
; %bb.1057:                             ;   in Loop: Header=BB100_3 Depth=1
	ds_store_b32 v32, v24 offset:768
; %bb.1058:                             ;   in Loop: Header=BB100_3 Depth=1
	s_or_b32 exec_lo, exec_lo, s1
	s_wait_dscnt 0x0
	s_barrier_signal -1
	s_barrier_wait -1
	s_barrier_signal -1
	s_barrier_wait -1
	s_and_saveexec_b32 s1, s15
	s_cbranch_execz .LBB100_1060
; %bb.1059:                             ;   in Loop: Header=BB100_3 Depth=1
	ds_load_b64 v[24:25], v5 offset:256
	ds_load_b32 v27, v5
	s_wait_dscnt 0x0
	v_mul_f32_e32 v25, v27, v25
	s_delay_alu instid0(VALU_DEP_1)
	v_mul_f32_e32 v24, v24, v25
	ds_store_b32 v5, v24 offset:256
.LBB100_1060:                           ;   in Loop: Header=BB100_3 Depth=1
	s_or_b32 exec_lo, exec_lo, s1
.LBB100_1061:                           ;   in Loop: Header=BB100_3 Depth=1
	v_add_nc_u64_e32 v[22:23], s[76:77], v[22:23]
	v_mov_b32_e32 v65, 0
	s_wait_dscnt 0x0
	s_barrier_signal -1
	s_barrier_wait -1
	s_and_saveexec_b32 s1, s12
	s_cbranch_execz .LBB100_1063
; %bb.1062:                             ;   in Loop: Header=BB100_3 Depth=1
	v_lshl_add_u64 v[24:25], v[0:1], 2, v[22:23]
	flat_load_b32 v24, v[24:25]
	s_wait_loadcnt_dscnt 0x0
	v_mul_f32_e64 v65, v24, -v26
.LBB100_1063:                           ;   in Loop: Header=BB100_3 Depth=1
	s_or_b32 exec_lo, exec_lo, s1
	s_delay_alu instid0(SALU_CYCLE_1)
	s_and_not1_b32 vcc_lo, exec_lo, s58
	s_cbranch_vccnz .LBB100_1089
; %bb.1064:                             ;   in Loop: Header=BB100_3 Depth=1
	v_lshl_add_u64 v[20:21], v[6:7], 2, v[20:21]
	v_mov_b32_e32 v66, -1
	s_lshl_b64 s[8:9], s[70:71], 2
	s_mov_b32 s10, 0
	s_add_nc_u64 s[96:97], s[88:89], s[8:9]
	s_branch .LBB100_1067
.LBB100_1065:                           ;   in Loop: Header=BB100_1067 Depth=2
	s_wait_xcnt 0x0
	ds_load_b32 v24, v50 offset:192
	s_wait_loadcnt_dscnt 0x0
	v_fmac_f32_e32 v65, v26, v24
.LBB100_1066:                           ;   in Loop: Header=BB100_1067 Depth=2
	s_or_b32 exec_lo, exec_lo, s1
	s_add_co_i32 s10, s10, 1
	s_delay_alu instid0(SALU_CYCLE_1)
	s_cmp_eq_u32 s10, s98
	s_cbranch_scc1 .LBB100_1089
.LBB100_1067:                           ;   Parent Loop BB100_3 Depth=1
                                        ; =>  This Loop Header: Depth=2
                                        ;       Child Loop BB100_1069 Depth 3
	v_cmp_gt_i32_e32 vcc_lo, s10, v66
	s_and_b32 s8, s59, vcc_lo
	s_delay_alu instid0(SALU_CYCLE_1)
	s_and_saveexec_b32 s1, s8
	s_cbranch_execz .LBB100_1070
; %bb.1068:                             ;   in Loop: Header=BB100_1067 Depth=2
	global_load_b32 v66, v5, s[96:97]
	s_wait_loadcnt 0x0
	v_cmp_le_i32_e32 vcc_lo, s10, v66
	s_cbranch_vccnz .LBB100_1070
.LBB100_1069:                           ;   Parent Loop BB100_3 Depth=1
                                        ;     Parent Loop BB100_1067 Depth=2
                                        ; =>    This Inner Loop Header: Depth=3
	global_wb scope:SCOPE_DEV
	s_wait_storecnt 0x0
	global_inv scope:SCOPE_DEV
	global_load_b32 v66, v5, s[96:97]
	s_wait_loadcnt 0x0
	v_cmp_gt_i32_e32 vcc_lo, s10, v66
	s_cbranch_vccnz .LBB100_1069
.LBB100_1070:                           ;   in Loop: Header=BB100_1067 Depth=2
	s_or_b32 exec_lo, exec_lo, s1
	s_sub_co_i32 s1, s99, s10
	global_wb scope:SCOPE_DEV
	s_wait_storecnt 0x0
	global_inv scope:SCOPE_DEV
	s_lshl_b32 s8, s1, 6
	s_wait_loadcnt 0x0
	s_barrier_signal -1
	s_barrier_wait -1
	s_and_saveexec_b32 s9, s60
	s_cbranch_execz .LBB100_1074
; %bb.1071:                             ;   in Loop: Header=BB100_1067 Depth=2
	s_ashr_i32 s66, s8, 31
	s_delay_alu instid0(SALU_CYCLE_1) | instskip(SKIP_2) | instid1(VALU_DEP_1)
	v_dual_mov_b32 v26, 0 :: v_dual_mov_b32 v25, s66
	v_or_b32_e32 v24, s8, v4
	s_mov_b32 s66, exec_lo
	v_cmpx_gt_i64_e64 s[84:85], v[24:25]
	s_cbranch_execz .LBB100_1073
; %bb.1072:                             ;   in Loop: Header=BB100_1067 Depth=2
	v_mul_u64_e32 v[24:25], s[78:79], v[24:25]
	s_delay_alu instid0(VALU_DEP_1)
	v_lshl_add_u64 v[24:25], v[24:25], 2, v[22:23]
	flat_load_b32 v26, v[24:25]
.LBB100_1073:                           ;   in Loop: Header=BB100_1067 Depth=2
	s_wait_xcnt 0x0
	s_or_b32 exec_lo, exec_lo, s66
	s_wait_loadcnt_dscnt 0x0
	ds_store_b32 v49, v26
.LBB100_1074:                           ;   in Loop: Header=BB100_1067 Depth=2
	s_or_b32 exec_lo, exec_lo, s9
	v_add_nc_u32_e32 v26, s8, v28
	s_cmp_lg_u32 s1, s65
	s_wait_dscnt 0x0
	s_cselect_b32 s8, -1, 0
	s_barrier_signal -1
	v_ashrrev_i32_e32 v27, 31, v26
	v_cmp_gt_i32_e32 vcc_lo, s84, v26
	s_barrier_wait -1
	s_delay_alu instid0(VALU_DEP_2) | instskip(SKIP_2) | instid1(VALU_DEP_2)
	v_mul_u64_e32 v[24:25], s[86:87], v[26:27]
	v_cndmask_b32_e64 v27, 0, 1, s8
	s_and_b32 s9, s0, vcc_lo
	v_lshl_add_u64 v[24:25], v[24:25], 2, v[20:21]
	s_and_saveexec_b32 s1, s9
	s_cbranch_execz .LBB100_1078
; %bb.1075:                             ;   in Loop: Header=BB100_1067 Depth=2
	v_mov_b32_e32 v67, v61
	s_and_not1_b32 vcc_lo, exec_lo, s8
	s_cbranch_vccnz .LBB100_1077
; %bb.1076:                             ;   in Loop: Header=BB100_1067 Depth=2
	flat_load_b32 v67, v[24:25]
.LBB100_1077:                           ;   in Loop: Header=BB100_1067 Depth=2
	ds_load_b32 v68, v50
	s_wait_loadcnt_dscnt 0x0
	v_fmac_f32_e32 v65, v67, v68
.LBB100_1078:                           ;   in Loop: Header=BB100_1067 Depth=2
	s_or_b32 exec_lo, exec_lo, s1
	v_add_nc_u32_e32 v67, 16, v26
	s_delay_alu instid0(VALU_DEP_1) | instskip(SKIP_1) | instid1(SALU_CYCLE_1)
	v_cmp_gt_i32_e32 vcc_lo, s84, v67
	s_and_b32 s8, s0, vcc_lo
	s_and_saveexec_b32 s1, s8
	s_cbranch_execz .LBB100_1082
; %bb.1079:                             ;   in Loop: Header=BB100_1067 Depth=2
	v_cmp_ne_u32_e32 vcc_lo, 1, v27
	v_mov_b32_e32 v67, v62
	s_cbranch_vccnz .LBB100_1081
; %bb.1080:                             ;   in Loop: Header=BB100_1067 Depth=2
	v_add_nc_u64_e32 v[68:69], s[90:91], v[24:25]
	flat_load_b32 v67, v[68:69]
.LBB100_1081:                           ;   in Loop: Header=BB100_1067 Depth=2
	s_wait_xcnt 0x0
	ds_load_b32 v68, v50 offset:64
	s_wait_loadcnt_dscnt 0x0
	v_fmac_f32_e32 v65, v67, v68
.LBB100_1082:                           ;   in Loop: Header=BB100_1067 Depth=2
	s_or_b32 exec_lo, exec_lo, s1
	v_add_nc_u32_e32 v67, 32, v26
	s_delay_alu instid0(VALU_DEP_1) | instskip(SKIP_1) | instid1(SALU_CYCLE_1)
	v_cmp_gt_i32_e32 vcc_lo, s84, v67
	s_and_b32 s8, s0, vcc_lo
	s_and_saveexec_b32 s1, s8
	s_cbranch_execz .LBB100_1086
; %bb.1083:                             ;   in Loop: Header=BB100_1067 Depth=2
	v_cmp_ne_u32_e32 vcc_lo, 1, v27
	v_mov_b32_e32 v67, v63
	s_cbranch_vccnz .LBB100_1085
; %bb.1084:                             ;   in Loop: Header=BB100_1067 Depth=2
	v_add_nc_u64_e32 v[68:69], s[92:93], v[24:25]
	flat_load_b32 v67, v[68:69]
.LBB100_1085:                           ;   in Loop: Header=BB100_1067 Depth=2
	s_wait_xcnt 0x0
	ds_load_b32 v68, v50 offset:128
	s_wait_loadcnt_dscnt 0x0
	v_fmac_f32_e32 v65, v67, v68
.LBB100_1086:                           ;   in Loop: Header=BB100_1067 Depth=2
	s_or_b32 exec_lo, exec_lo, s1
	v_add_nc_u32_e32 v26, 48, v26
	s_delay_alu instid0(VALU_DEP_1) | instskip(SKIP_1) | instid1(SALU_CYCLE_1)
	v_cmp_gt_i32_e32 vcc_lo, s84, v26
	s_and_b32 s8, s0, vcc_lo
	s_and_saveexec_b32 s1, s8
	s_cbranch_execz .LBB100_1066
; %bb.1087:                             ;   in Loop: Header=BB100_1067 Depth=2
	v_cmp_ne_u32_e32 vcc_lo, 1, v27
	v_mov_b32_e32 v26, v64
	s_cbranch_vccnz .LBB100_1065
; %bb.1088:                             ;   in Loop: Header=BB100_1067 Depth=2
	v_add_nc_u64_e32 v[24:25], s[94:95], v[24:25]
	flat_load_b32 v26, v[24:25]
	s_branch .LBB100_1065
.LBB100_1089:                           ;   in Loop: Header=BB100_3 Depth=1
	ds_store_b32 v51, v65
	s_wait_dscnt 0x0
	s_barrier_signal -1
	s_barrier_wait -1
	s_and_saveexec_b32 s10, s7
	s_cbranch_execz .LBB100_1091
; %bb.1090:                             ;   in Loop: Header=BB100_3 Depth=1
	ds_load_2addr_stride64_b32 v[20:21], v52 offset0:1 offset1:2
	ds_load_2addr_stride64_b32 v[24:25], v52 offset0:3 offset1:4
	;; [unrolled: 1-line block ×4, first 2 shown]
	v_readlane_b32 s1, v72, 5
	s_wait_dscnt 0x3
	v_add_f32_e32 v20, v65, v20
	s_delay_alu instid0(VALU_DEP_1) | instskip(SKIP_1) | instid1(VALU_DEP_1)
	v_add_f32_e32 v20, v20, v21
	s_wait_dscnt 0x2
	v_add_f32_e32 v20, v20, v24
	s_delay_alu instid0(VALU_DEP_1) | instskip(SKIP_1) | instid1(VALU_DEP_1)
	v_add_f32_e32 v20, v20, v25
	s_wait_dscnt 0x1
	v_add_f32_e32 v24, v20, v26
	ds_load_2addr_stride64_b32 v[20:21], v52 offset0:9 offset1:10
	v_add_f32_e32 v24, v24, v27
	s_wait_dscnt 0x1
	s_delay_alu instid0(VALU_DEP_1)
	v_add_f32_e32 v26, v24, v66
	ds_load_2addr_stride64_b32 v[24:25], v52 offset0:11 offset1:12
	v_add_f32_e32 v65, v26, v67
	ds_load_2addr_stride64_b32 v[26:27], v52 offset0:13 offset1:14
	ds_load_b32 v66, v52 offset:3840
	s_wait_dscnt 0x3
	v_add_f32_e32 v20, v65, v20
	s_delay_alu instid0(VALU_DEP_1) | instskip(SKIP_1) | instid1(VALU_DEP_1)
	v_add_f32_e32 v20, v20, v21
	s_wait_dscnt 0x2
	v_add_f32_e32 v20, v20, v24
	s_delay_alu instid0(VALU_DEP_1) | instskip(SKIP_1) | instid1(VALU_DEP_1)
	v_add_f32_e32 v20, v20, v25
	;; [unrolled: 4-line block ×3, first 2 shown]
	s_wait_dscnt 0x0
	v_add_f32_e32 v20, v20, v66
	s_delay_alu instid0(VALU_DEP_1)
	v_cndmask_b32_e64 v65, -v20, 0, s1
.LBB100_1091:                           ;   in Loop: Header=BB100_3 Depth=1
	s_or_b32 exec_lo, exec_lo, s10
	s_delay_alu instid0(SALU_CYCLE_1)
	s_and_not1_b32 vcc_lo, exec_lo, s102
	s_cbranch_vccnz .LBB100_1104
; %bb.1092:                             ;   in Loop: Header=BB100_3 Depth=1
	s_and_saveexec_b32 s1, s7
; %bb.1093:                             ;   in Loop: Header=BB100_3 Depth=1
	ds_store_b32 v54, v65
; %bb.1094:                             ;   in Loop: Header=BB100_3 Depth=1
	s_or_b32 exec_lo, exec_lo, s1
	v_mov_b32_e32 v20, 0
	s_wait_dscnt 0x0
	s_barrier_signal -1
	s_barrier_wait -1
	s_mov_b32 s1, exec_lo
	v_readlane_b32 s8, v71, 29
	s_and_b32 s8, s1, s8
	s_delay_alu instid0(SALU_CYCLE_1)
	s_mov_b32 exec_lo, s8
	s_cbranch_execz .LBB100_1096
; %bb.1095:                             ;   in Loop: Header=BB100_3 Depth=1
	ds_load_b32 v20, v53
	ds_load_b32 v21, v50
	s_wait_dscnt 0x0
	v_fma_f32 v20, v20, v21, 0
.LBB100_1096:                           ;   in Loop: Header=BB100_3 Depth=1
	s_or_b32 exec_lo, exec_lo, s1
	s_delay_alu instid0(SALU_CYCLE_1) | instskip(SKIP_2) | instid1(SALU_CYCLE_1)
	s_mov_b32 s1, exec_lo
	v_readlane_b32 s8, v71, 30
	s_and_b32 s8, s1, s8
	s_mov_b32 exec_lo, s8
	s_cbranch_execz .LBB100_1098
; %bb.1097:                             ;   in Loop: Header=BB100_3 Depth=1
	ds_load_b32 v21, v53 offset:4096
	ds_load_b32 v24, v50 offset:64
	s_wait_dscnt 0x0
	v_fmac_f32_e32 v20, v21, v24
.LBB100_1098:                           ;   in Loop: Header=BB100_3 Depth=1
	s_or_b32 exec_lo, exec_lo, s1
	s_delay_alu instid0(SALU_CYCLE_1) | instskip(SKIP_2) | instid1(SALU_CYCLE_1)
	s_mov_b32 s1, exec_lo
	v_readlane_b32 s8, v71, 31
	s_and_b32 s8, s1, s8
	s_mov_b32 exec_lo, s8
	s_cbranch_execz .LBB100_1100
; %bb.1099:                             ;   in Loop: Header=BB100_3 Depth=1
	ds_load_b32 v21, v53 offset:8192
	ds_load_b32 v24, v50 offset:128
	s_wait_dscnt 0x0
	v_fmac_f32_e32 v20, v21, v24
.LBB100_1100:                           ;   in Loop: Header=BB100_3 Depth=1
	;; [unrolled: 13-line block ×3, first 2 shown]
	s_or_b32 exec_lo, exec_lo, s1
	s_mov_b32 s10, 0
	s_mov_b32 s96, 0
	ds_store_b32 v51, v20
	s_wait_dscnt 0x0
	s_barrier_signal -1
	s_barrier_wait -1
                                        ; implicit-def: $vgpr21
	s_and_saveexec_b32 s97, s7
	s_cbranch_execz .LBB100_1141
; %bb.1103:                             ;   in Loop: Header=BB100_3 Depth=1
	ds_load_2addr_stride64_b32 v[24:25], v52 offset0:1 offset1:2
	ds_load_2addr_stride64_b32 v[26:27], v52 offset0:3 offset1:4
	;; [unrolled: 1-line block ×4, first 2 shown]
	s_mov_b32 s96, exec_lo
	s_wait_dscnt 0x3
	v_add_f32_e32 v20, v20, v24
	s_delay_alu instid0(VALU_DEP_1) | instskip(SKIP_1) | instid1(VALU_DEP_1)
	v_add_f32_e32 v20, v25, v20
	s_wait_dscnt 0x2
	v_add_f32_e32 v20, v26, v20
	s_delay_alu instid0(VALU_DEP_1) | instskip(SKIP_1) | instid1(VALU_DEP_1)
	v_add_f32_e32 v20, v27, v20
	s_wait_dscnt 0x1
	v_add_f32_e32 v24, v66, v20
	ds_load_2addr_stride64_b32 v[20:21], v52 offset0:9 offset1:10
	v_add_f32_e32 v24, v67, v24
	s_wait_dscnt 0x1
	s_delay_alu instid0(VALU_DEP_1)
	v_add_f32_e32 v26, v68, v24
	ds_load_2addr_stride64_b32 v[24:25], v52 offset0:11 offset1:12
	v_add_f32_e32 v66, v69, v26
	ds_load_2addr_stride64_b32 v[26:27], v52 offset0:13 offset1:14
	ds_load_b32 v67, v52 offset:3840
	s_wait_dscnt 0x3
	v_add_f32_e32 v20, v20, v66
	s_delay_alu instid0(VALU_DEP_1) | instskip(SKIP_1) | instid1(VALU_DEP_1)
	v_add_f32_e32 v20, v21, v20
	s_wait_dscnt 0x2
	v_add_f32_e32 v20, v24, v20
	s_delay_alu instid0(VALU_DEP_1) | instskip(SKIP_1) | instid1(VALU_DEP_1)
	v_add_f32_e32 v20, v25, v20
	;; [unrolled: 4-line block ×3, first 2 shown]
	s_wait_dscnt 0x0
	v_add_f32_e32 v21, v67, v20
	s_or_b32 exec_lo, exec_lo, s97
	s_delay_alu instid0(SALU_CYCLE_1)
	s_and_b32 vcc_lo, exec_lo, s10
	s_cbranch_vccnz .LBB100_1105
	s_branch .LBB100_1142
.LBB100_1104:                           ;   in Loop: Header=BB100_3 Depth=1
	s_mov_b32 s96, 0
                                        ; implicit-def: $vgpr21
	s_cbranch_execz .LBB100_1142
.LBB100_1105:                           ;   in Loop: Header=BB100_3 Depth=1
	v_dual_mov_b32 v20, v60 :: v_dual_mov_b32 v21, v59
	s_mov_b32 s10, 63
	s_branch .LBB100_1107
.LBB100_1106:                           ;   in Loop: Header=BB100_1107 Depth=2
	s_or_b32 exec_lo, exec_lo, s1
	v_add_nc_u32_e32 v21, 0xfffffc00, v21
	v_add_nc_u32_e32 v20, 4, v20
	s_add_co_i32 s10, s10, -4
	s_cmp_lg_u32 s97, 0
	s_barrier_signal -1
	s_barrier_wait -1
	s_cbranch_scc0 .LBB100_1123
.LBB100_1107:                           ;   Parent Loop BB100_3 Depth=1
                                        ; =>  This Inner Loop Header: Depth=2
	s_delay_alu instid0(VALU_DEP_1) | instskip(SKIP_1) | instid1(SALU_CYCLE_1)
	v_cmp_eq_u32_e32 vcc_lo, 0, v20
	s_and_b32 s8, s7, vcc_lo
	s_and_saveexec_b32 s1, s8
	s_cbranch_execz .LBB100_1109
; %bb.1108:                             ;   in Loop: Header=BB100_1107 Depth=2
	ds_load_b32 v24, v55
	s_wait_dscnt 0x0
	v_mul_f32_e32 v65, v65, v24
	ds_store_b32 v5, v65 offset:20736
.LBB100_1109:                           ;   in Loop: Header=BB100_1107 Depth=2
	s_or_b32 exec_lo, exec_lo, s1
	v_cmp_gt_u32_e32 vcc_lo, s10, v2
	s_wait_dscnt 0x0
	s_barrier_signal -1
	s_barrier_wait -1
	s_and_b32 s8, s7, vcc_lo
	s_delay_alu instid0(SALU_CYCLE_1)
	s_and_saveexec_b32 s1, s8
	s_cbranch_execz .LBB100_1111
; %bb.1110:                             ;   in Loop: Header=BB100_1107 Depth=2
	ds_load_b32 v24, v21 offset:768
	ds_load_b32 v25, v5 offset:20736
	s_wait_dscnt 0x0
	v_fmac_f32_e32 v65, v24, v25
.LBB100_1111:                           ;   in Loop: Header=BB100_1107 Depth=2
	s_or_b32 exec_lo, exec_lo, s1
	s_add_co_i32 s1, s10, -1
	s_delay_alu instid0(SALU_CYCLE_1) | instskip(SKIP_3) | instid1(SALU_CYCLE_1)
	v_cmp_eq_u32_e32 vcc_lo, s1, v2
	s_barrier_signal -1
	s_barrier_wait -1
	s_and_b32 s9, s7, vcc_lo
	s_and_saveexec_b32 s8, s9
	s_cbranch_execz .LBB100_1113
; %bb.1112:                             ;   in Loop: Header=BB100_1107 Depth=2
	ds_load_b32 v24, v55
	s_wait_dscnt 0x0
	v_mul_f32_e32 v65, v65, v24
	ds_store_b32 v5, v65 offset:20736
.LBB100_1113:                           ;   in Loop: Header=BB100_1107 Depth=2
	s_or_b32 exec_lo, exec_lo, s8
	v_cmp_gt_u32_e32 vcc_lo, s1, v2
	s_wait_dscnt 0x0
	s_barrier_signal -1
	s_barrier_wait -1
	s_and_b32 s8, s7, vcc_lo
	s_delay_alu instid0(SALU_CYCLE_1)
	s_and_saveexec_b32 s1, s8
	s_cbranch_execz .LBB100_1115
; %bb.1114:                             ;   in Loop: Header=BB100_1107 Depth=2
	ds_load_b32 v24, v21 offset:512
	ds_load_b32 v25, v5 offset:20736
	s_wait_dscnt 0x0
	v_fmac_f32_e32 v65, v24, v25
.LBB100_1115:                           ;   in Loop: Header=BB100_1107 Depth=2
	s_or_b32 exec_lo, exec_lo, s1
	s_add_co_i32 s1, s10, -2
	s_delay_alu instid0(SALU_CYCLE_1) | instskip(SKIP_3) | instid1(SALU_CYCLE_1)
	v_cmp_eq_u32_e32 vcc_lo, s1, v2
	s_barrier_signal -1
	s_barrier_wait -1
	;; [unrolled: 30-line block ×3, first 2 shown]
	s_and_b32 s8, s7, vcc_lo
	s_and_saveexec_b32 s1, s8
	s_cbranch_execz .LBB100_1121
; %bb.1120:                             ;   in Loop: Header=BB100_1107 Depth=2
	ds_load_b32 v24, v55
	s_wait_dscnt 0x0
	v_mul_f32_e32 v65, v65, v24
	ds_store_b32 v5, v65 offset:20736
.LBB100_1121:                           ;   in Loop: Header=BB100_1107 Depth=2
	s_or_b32 exec_lo, exec_lo, s1
	v_cmp_gt_u32_e32 vcc_lo, s97, v2
	s_wait_dscnt 0x0
	s_barrier_signal -1
	s_barrier_wait -1
	s_and_b32 s8, s7, vcc_lo
	s_delay_alu instid0(SALU_CYCLE_1)
	s_and_saveexec_b32 s1, s8
	s_cbranch_execz .LBB100_1106
; %bb.1122:                             ;   in Loop: Header=BB100_1107 Depth=2
	ds_load_b32 v24, v21
	ds_load_b32 v25, v5 offset:20736
	s_wait_dscnt 0x0
	v_fmac_f32_e32 v65, v24, v25
	s_branch .LBB100_1106
.LBB100_1123:                           ;   in Loop: Header=BB100_3 Depth=1
	s_and_b32 vcc_lo, exec_lo, s100
	s_mov_b32 s1, -1
	s_cbranch_vccnz .LBB100_1143
; %bb.1124:                             ;   in Loop: Header=BB100_3 Depth=1
	s_and_not1_b32 vcc_lo, exec_lo, s1
	s_cbranch_vccz .LBB100_1144
.LBB100_1125:                           ;   in Loop: Header=BB100_3 Depth=1
	s_and_saveexec_b32 s1, s96
	s_cbranch_execz .LBB100_1127
.LBB100_1126:                           ;   in Loop: Header=BB100_3 Depth=1
	v_lshl_add_u64 v[20:21], v[10:11], 2, v[22:23]
	flat_store_b32 v[20:21], v65
.LBB100_1127:                           ;   in Loop: Header=BB100_3 Depth=1
	s_wait_xcnt 0x0
	s_or_b32 exec_lo, exec_lo, s1
	global_wb scope:SCOPE_DEV
	s_wait_storecnt_dscnt 0x0
	global_inv scope:SCOPE_DEV
	s_wait_loadcnt 0x0
	s_barrier_signal -1
	s_barrier_wait -1
	s_and_saveexec_b32 s1, s59
	s_cbranch_execz .LBB100_2
; %bb.1128:                             ;   in Loop: Header=BB100_3 Depth=1
	s_lshl_b64 s[8:9], s[70:71], 2
	s_delay_alu instid0(SALU_CYCLE_1)
	s_add_nc_u64 s[8:9], s[88:89], s[8:9]
	global_load_b32 v20, v5, s[8:9]
	s_wait_loadcnt 0x0
	v_add_nc_u32_e32 v20, 1, v20
	global_store_b32 v5, v20, s[8:9]
	s_branch .LBB100_2
.LBB100_1129:                           ;   in Loop: Header=BB100_3 Depth=1
	s_mov_b32 s8, exec_lo
	v_readlane_b32 s9, v72, 19
	s_and_b32 s9, s8, s9
	s_delay_alu instid0(SALU_CYCLE_1)
	s_xor_b32 s8, s9, s8
	s_mov_b32 exec_lo, s9
	s_cbranch_execz .LBB100_1131
; %bb.1130:                             ;   in Loop: Header=BB100_3 Depth=1
	v_readlane_b32 s1, v70, 1
	s_and_b32 s1, s1, exec_lo
.LBB100_1131:                           ;   in Loop: Header=BB100_3 Depth=1
	s_or_saveexec_b32 s8, s8
	v_mov_b32_e32 v24, 0
	s_xor_b32 exec_lo, exec_lo, s8
	s_cbranch_execz .LBB100_1133
; %bb.1132:                             ;   in Loop: Header=BB100_3 Depth=1
	v_lshl_add_u64 v[24:25], v[12:13], 2, v[20:21]
	s_or_b32 s1, s1, exec_lo
	flat_load_b32 v24, v[24:25]
	s_wait_loadcnt_dscnt 0x0
	v_div_scale_f32 v25, null, v24, v24, 1.0
	s_delay_alu instid0(VALU_DEP_1) | instskip(SKIP_1) | instid1(TRANS32_DEP_1)
	v_rcp_f32_e32 v27, v25
	v_nop
	v_fma_f32 v65, -v25, v27, 1.0
	s_delay_alu instid0(VALU_DEP_1) | instskip(SKIP_1) | instid1(VALU_DEP_1)
	v_fmac_f32_e32 v27, v65, v27
	v_div_scale_f32 v65, vcc_lo, 1.0, v24, 1.0
	v_mul_f32_e32 v66, v65, v27
	s_delay_alu instid0(VALU_DEP_1) | instskip(NEXT) | instid1(VALU_DEP_1)
	v_fma_f32 v67, -v25, v66, v65
	v_fmac_f32_e32 v66, v67, v27
	s_delay_alu instid0(VALU_DEP_1) | instskip(NEXT) | instid1(VALU_DEP_1)
	v_fma_f32 v25, -v25, v66, v65
	v_div_fmas_f32 v25, v25, v27, v66
	s_delay_alu instid0(VALU_DEP_1)
	v_div_fixup_f32 v24, v25, v24, 1.0
.LBB100_1133:                           ;   in Loop: Header=BB100_3 Depth=1
	s_or_b32 exec_lo, exec_lo, s8
	s_delay_alu instid0(SALU_CYCLE_1)
	s_and_b32 s1, s1, exec_lo
	s_and_not1_saveexec_b32 s8, s10
	s_cbranch_execz .LBB100_16
.LBB100_1134:                           ;   in Loop: Header=BB100_3 Depth=1
	v_lshl_add_u64 v[24:25], v[12:13], 2, v[20:21]
	s_or_b32 s1, s1, exec_lo
	flat_load_b32 v24, v[24:25]
	s_wait_loadcnt_dscnt 0x0
	v_xor_b32_e32 v24, 0x80000000, v24
	s_or_b32 exec_lo, exec_lo, s8
	s_and_saveexec_b32 s8, s1
	s_cbranch_execnz .LBB100_17
	s_branch .LBB100_18
.LBB100_1135:                           ;   in Loop: Header=BB100_3 Depth=1
	s_mov_b32 s8, exec_lo
	v_readlane_b32 s9, v72, 20
	s_and_b32 s9, s8, s9
	s_delay_alu instid0(SALU_CYCLE_1)
	s_xor_b32 s8, s9, s8
	s_mov_b32 exec_lo, s9
	s_cbranch_execz .LBB100_1137
; %bb.1136:                             ;   in Loop: Header=BB100_3 Depth=1
	v_readlane_b32 s1, v70, 1
	s_and_b32 s1, s1, exec_lo
.LBB100_1137:                           ;   in Loop: Header=BB100_3 Depth=1
	s_or_saveexec_b32 s8, s8
	v_mov_b32_e32 v24, 0
	s_xor_b32 exec_lo, exec_lo, s8
	s_cbranch_execz .LBB100_1139
; %bb.1138:                             ;   in Loop: Header=BB100_3 Depth=1
	v_lshl_add_u64 v[24:25], v[12:13], 2, v[20:21]
	s_or_b32 s1, s1, exec_lo
	flat_load_b32 v24, v[24:25]
	s_wait_loadcnt_dscnt 0x0
	v_div_scale_f32 v25, null, v24, v24, 1.0
	s_delay_alu instid0(VALU_DEP_1) | instskip(SKIP_1) | instid1(TRANS32_DEP_1)
	v_rcp_f32_e32 v27, v25
	v_nop
	v_fma_f32 v65, -v25, v27, 1.0
	s_delay_alu instid0(VALU_DEP_1) | instskip(SKIP_1) | instid1(VALU_DEP_1)
	v_fmac_f32_e32 v27, v65, v27
	v_div_scale_f32 v65, vcc_lo, 1.0, v24, 1.0
	v_mul_f32_e32 v66, v65, v27
	s_delay_alu instid0(VALU_DEP_1) | instskip(NEXT) | instid1(VALU_DEP_1)
	v_fma_f32 v67, -v25, v66, v65
	v_fmac_f32_e32 v66, v67, v27
	s_delay_alu instid0(VALU_DEP_1) | instskip(NEXT) | instid1(VALU_DEP_1)
	v_fma_f32 v25, -v25, v66, v65
	v_div_fmas_f32 v25, v25, v27, v66
	s_delay_alu instid0(VALU_DEP_1)
	v_div_fixup_f32 v24, v25, v24, 1.0
.LBB100_1139:                           ;   in Loop: Header=BB100_3 Depth=1
	s_or_b32 exec_lo, exec_lo, s8
	s_delay_alu instid0(SALU_CYCLE_1)
	s_and_b32 s1, s1, exec_lo
	s_and_not1_saveexec_b32 s8, s10
	s_cbranch_execz .LBB100_52
.LBB100_1140:                           ;   in Loop: Header=BB100_3 Depth=1
	v_lshl_add_u64 v[24:25], v[12:13], 2, v[20:21]
	s_or_b32 s1, s1, exec_lo
	flat_load_b32 v24, v[24:25]
	s_wait_loadcnt_dscnt 0x0
	v_xor_b32_e32 v24, 0x80000000, v24
	s_or_b32 exec_lo, exec_lo, s8
	s_and_saveexec_b32 s8, s1
	s_cbranch_execnz .LBB100_53
	s_branch .LBB100_54
.LBB100_1141:                           ;   in Loop: Header=BB100_3 Depth=1
	s_or_b32 exec_lo, exec_lo, s97
	s_delay_alu instid0(SALU_CYCLE_1)
	s_and_b32 vcc_lo, exec_lo, s10
	s_cbranch_vccnz .LBB100_1105
.LBB100_1142:                           ;   in Loop: Header=BB100_3 Depth=1
	v_mov_b32_e32 v65, v21
	s_and_saveexec_b32 s1, s96
	s_cbranch_execnz .LBB100_1126
	s_branch .LBB100_1127
.LBB100_1143:                           ;   in Loop: Header=BB100_3 Depth=1
	s_and_not1_b32 s8, s96, exec_lo
	s_and_b32 s9, s7, exec_lo
	s_delay_alu instid0(SALU_CYCLE_1)
	s_or_b32 s96, s8, s9
	s_cbranch_execnz .LBB100_1125
.LBB100_1144:                           ;   in Loop: Header=BB100_3 Depth=1
	v_readlane_b32 s8, v72, 6
	s_and_not1_b32 s1, s96, exec_lo
	s_and_b32 s8, s8, exec_lo
	s_delay_alu instid0(SALU_CYCLE_1) | instskip(NEXT) | instid1(SALU_CYCLE_1)
	s_or_b32 s96, s1, s8
	s_and_saveexec_b32 s1, s96
	s_cbranch_execnz .LBB100_1126
	s_branch .LBB100_1127
.LBB100_1145:                           ;   in Loop: Header=BB100_3 Depth=1
	ds_load_b32 v25, v35 offset:15840
	ds_load_b32 v27, v34 offset:16372
	s_wait_dscnt 0x0
	v_fmac_f32_e32 v24, v25, v27
	s_or_b32 exec_lo, exec_lo, s1
	s_and_saveexec_b32 s1, s18
	s_cbranch_execz .LBB100_105
.LBB100_1146:                           ;   in Loop: Header=BB100_3 Depth=1
	ds_load_b32 v25, v35 offset:16096
	ds_load_b32 v27, v34 offset:16376
	s_wait_dscnt 0x0
	v_fmac_f32_e32 v24, v25, v27
	s_or_b32 exec_lo, exec_lo, s1
	s_and_saveexec_b32 s1, s2
	s_cbranch_execnz .LBB100_106
	s_branch .LBB100_107
.LBB100_1147:                           ;   in Loop: Header=BB100_3 Depth=1
	ds_load_b32 v25, v39 offset:14784
	ds_load_b32 v27, v38 offset:16356
	s_wait_dscnt 0x0
	v_fmac_f32_e32 v24, v25, v27
	s_or_b32 exec_lo, exec_lo, s1
	s_and_saveexec_b32 s1, s20
	s_cbranch_execz .LBB100_143
.LBB100_1148:                           ;   in Loop: Header=BB100_3 Depth=1
	ds_load_b32 v25, v39 offset:15040
	ds_load_b32 v27, v38 offset:16360
	s_wait_dscnt 0x0
	v_fmac_f32_e32 v24, v25, v27
	s_or_b32 exec_lo, exec_lo, s1
	s_and_saveexec_b32 s1, s21
	s_cbranch_execz .LBB100_144
.LBB100_1149:                           ;   in Loop: Header=BB100_3 Depth=1
	ds_load_b32 v25, v39 offset:15296
	ds_load_b32 v27, v38 offset:16364
	s_wait_dscnt 0x0
	v_fmac_f32_e32 v24, v25, v27
	s_or_b32 exec_lo, exec_lo, s1
	s_and_saveexec_b32 s1, s22
	s_cbranch_execz .LBB100_145
.LBB100_1150:                           ;   in Loop: Header=BB100_3 Depth=1
	ds_load_b32 v25, v39 offset:15552
	ds_load_b32 v27, v38 offset:16368
	s_wait_dscnt 0x0
	v_fmac_f32_e32 v24, v25, v27
	s_or_b32 exec_lo, exec_lo, s1
	s_and_saveexec_b32 s1, s23
	s_cbranch_execz .LBB100_146
.LBB100_1151:                           ;   in Loop: Header=BB100_3 Depth=1
	ds_load_b32 v25, v39 offset:15808
	ds_load_b32 v27, v38 offset:16372
	s_wait_dscnt 0x0
	v_fmac_f32_e32 v24, v25, v27
	s_or_b32 exec_lo, exec_lo, s1
	s_and_saveexec_b32 s1, s3
	s_cbranch_execz .LBB100_147
.LBB100_1152:                           ;   in Loop: Header=BB100_3 Depth=1
	ds_load_b32 v25, v39 offset:16064
	ds_load_b32 v27, v38 offset:16376
	s_wait_dscnt 0x0
	v_fmac_f32_e32 v24, v25, v27
	s_or_b32 exec_lo, exec_lo, s1
	s_and_saveexec_b32 s1, s18
	s_cbranch_execnz .LBB100_148
	s_branch .LBB100_149
.LBB100_1153:                           ;   in Loop: Header=BB100_3 Depth=1
	ds_load_b32 v25, v35 offset:13760
	ds_load_b32 v27, v34 offset:14292
	s_wait_dscnt 0x0
	v_fmac_f32_e32 v24, v25, v27
	s_or_b32 exec_lo, exec_lo, s1
	s_and_saveexec_b32 s1, s18
	s_cbranch_execz .LBB100_201
.LBB100_1154:                           ;   in Loop: Header=BB100_3 Depth=1
	ds_load_b32 v25, v35 offset:14016
	ds_load_b32 v27, v34 offset:14296
	s_wait_dscnt 0x0
	v_fmac_f32_e32 v24, v25, v27
	s_or_b32 exec_lo, exec_lo, s1
	s_and_saveexec_b32 s1, s2
	s_cbranch_execnz .LBB100_202
	s_branch .LBB100_203
.LBB100_1155:                           ;   in Loop: Header=BB100_3 Depth=1
	ds_load_b32 v25, v43 offset:15232
	ds_load_b32 v27, v42 offset:16364
	s_wait_dscnt 0x0
	v_fmac_f32_e32 v24, v25, v27
	s_or_b32 exec_lo, exec_lo, s1
	s_and_saveexec_b32 s1, s4
	s_cbranch_execz .LBB100_259
.LBB100_1156:                           ;   in Loop: Header=BB100_3 Depth=1
	ds_load_b32 v25, v43 offset:15488
	ds_load_b32 v27, v42 offset:16368
	s_wait_dscnt 0x0
	v_fmac_f32_e32 v24, v25, v27
	s_or_b32 exec_lo, exec_lo, s1
	s_and_saveexec_b32 s1, s20
	s_cbranch_execz .LBB100_260
.LBB100_1157:                           ;   in Loop: Header=BB100_3 Depth=1
	ds_load_b32 v25, v43 offset:15744
	ds_load_b32 v27, v42 offset:16372
	s_wait_dscnt 0x0
	v_fmac_f32_e32 v24, v25, v27
	s_or_b32 exec_lo, exec_lo, s1
	s_and_saveexec_b32 s1, s22
	s_cbranch_execz .LBB100_261
.LBB100_1158:                           ;   in Loop: Header=BB100_3 Depth=1
	ds_load_b32 v25, v43 offset:16000
	ds_load_b32 v27, v42 offset:16376
	s_wait_dscnt 0x0
	v_fmac_f32_e32 v24, v25, v27
	s_or_b32 exec_lo, exec_lo, s1
	s_and_saveexec_b32 s1, s3
	s_cbranch_execnz .LBB100_262
	s_branch .LBB100_263
.LBB100_1159:                           ;   in Loop: Header=BB100_3 Depth=1
	ds_load_b32 v25, v35 offset:11680
	ds_load_b32 v27, v34 offset:12212
	s_wait_dscnt 0x0
	v_fmac_f32_e32 v24, v25, v27
	s_or_b32 exec_lo, exec_lo, s1
	s_and_saveexec_b32 s1, s18
	s_cbranch_execz .LBB100_347
.LBB100_1160:                           ;   in Loop: Header=BB100_3 Depth=1
	ds_load_b32 v25, v35 offset:11936
	ds_load_b32 v27, v34 offset:12216
	s_wait_dscnt 0x0
	v_fmac_f32_e32 v24, v25, v27
	s_or_b32 exec_lo, exec_lo, s1
	s_and_saveexec_b32 s1, s2
	s_cbranch_execnz .LBB100_348
	s_branch .LBB100_349
.LBB100_1161:                           ;   in Loop: Header=BB100_3 Depth=1
	ds_load_b32 v25, v39 offset:10624
	ds_load_b32 v27, v38 offset:12196
	s_wait_dscnt 0x0
	v_fmac_f32_e32 v24, v25, v27
	s_or_b32 exec_lo, exec_lo, s1
	s_and_saveexec_b32 s1, s20
	s_cbranch_execz .LBB100_385
.LBB100_1162:                           ;   in Loop: Header=BB100_3 Depth=1
	ds_load_b32 v25, v39 offset:10880
	ds_load_b32 v27, v38 offset:12200
	s_wait_dscnt 0x0
	v_fmac_f32_e32 v24, v25, v27
	s_or_b32 exec_lo, exec_lo, s1
	s_and_saveexec_b32 s1, s21
	s_cbranch_execz .LBB100_386
.LBB100_1163:                           ;   in Loop: Header=BB100_3 Depth=1
	ds_load_b32 v25, v39 offset:11136
	ds_load_b32 v27, v38 offset:12204
	s_wait_dscnt 0x0
	v_fmac_f32_e32 v24, v25, v27
	s_or_b32 exec_lo, exec_lo, s1
	s_and_saveexec_b32 s1, s22
	s_cbranch_execz .LBB100_387
.LBB100_1164:                           ;   in Loop: Header=BB100_3 Depth=1
	ds_load_b32 v25, v39 offset:11392
	ds_load_b32 v27, v38 offset:12208
	s_wait_dscnt 0x0
	v_fmac_f32_e32 v24, v25, v27
	s_or_b32 exec_lo, exec_lo, s1
	s_and_saveexec_b32 s1, s23
	s_cbranch_execz .LBB100_388
.LBB100_1165:                           ;   in Loop: Header=BB100_3 Depth=1
	ds_load_b32 v25, v39 offset:11648
	ds_load_b32 v27, v38 offset:12212
	s_wait_dscnt 0x0
	v_fmac_f32_e32 v24, v25, v27
	s_or_b32 exec_lo, exec_lo, s1
	s_and_saveexec_b32 s1, s3
	s_cbranch_execz .LBB100_389
.LBB100_1166:                           ;   in Loop: Header=BB100_3 Depth=1
	ds_load_b32 v25, v39 offset:11904
	ds_load_b32 v27, v38 offset:12216
	s_wait_dscnt 0x0
	v_fmac_f32_e32 v24, v25, v27
	s_or_b32 exec_lo, exec_lo, s1
	s_and_saveexec_b32 s1, s18
	s_cbranch_execnz .LBB100_390
	s_branch .LBB100_391
.LBB100_1167:                           ;   in Loop: Header=BB100_3 Depth=1
	ds_load_b32 v25, v35 offset:9600
	ds_load_b32 v27, v34 offset:10132
	s_wait_dscnt 0x0
	v_fmac_f32_e32 v24, v25, v27
	s_or_b32 exec_lo, exec_lo, s1
	s_and_saveexec_b32 s1, s18
	s_cbranch_execz .LBB100_443
.LBB100_1168:                           ;   in Loop: Header=BB100_3 Depth=1
	ds_load_b32 v25, v35 offset:9856
	ds_load_b32 v27, v34 offset:10136
	s_wait_dscnt 0x0
	v_fmac_f32_e32 v24, v25, v27
	s_or_b32 exec_lo, exec_lo, s1
	s_and_saveexec_b32 s1, s2
	s_cbranch_execnz .LBB100_444
	s_branch .LBB100_445
.LBB100_1169:                           ;   in Loop: Header=BB100_3 Depth=1
	ds_load_b32 v25, v47 offset:15616
	ds_load_b32 v27, v46 offset:16372
	s_wait_dscnt 0x0
	v_fmac_f32_e32 v24, v25, v27
	s_or_b32 exec_lo, exec_lo, s1
	s_and_saveexec_b32 s1, s4
	s_cbranch_execz .LBB100_537
.LBB100_1170:                           ;   in Loop: Header=BB100_3 Depth=1
	ds_load_b32 v25, v47 offset:15872
	ds_load_b32 v27, v46 offset:16376
	s_wait_dscnt 0x0
	v_fmac_f32_e32 v24, v25, v27
	s_or_b32 exec_lo, exec_lo, s1
	s_and_saveexec_b32 s1, s22
	s_cbranch_execnz .LBB100_538
	s_branch .LBB100_539
.LBB100_1171:                           ;   in Loop: Header=BB100_3 Depth=1
	ds_load_b32 v25, v35 offset:7520
	ds_load_b32 v27, v34 offset:8052
	s_wait_dscnt 0x0
	v_fmac_f32_e32 v24, v25, v27
	s_or_b32 exec_lo, exec_lo, s1
	s_and_saveexec_b32 s1, s18
	s_cbranch_execz .LBB100_687
.LBB100_1172:                           ;   in Loop: Header=BB100_3 Depth=1
	ds_load_b32 v25, v35 offset:7776
	ds_load_b32 v27, v34 offset:8056
	s_wait_dscnt 0x0
	v_fmac_f32_e32 v24, v25, v27
	s_or_b32 exec_lo, exec_lo, s1
	s_and_saveexec_b32 s1, s2
	s_cbranch_execnz .LBB100_688
	s_branch .LBB100_689
.LBB100_1173:                           ;   in Loop: Header=BB100_3 Depth=1
	ds_load_b32 v25, v39 offset:6464
	ds_load_b32 v27, v38 offset:8036
	s_wait_dscnt 0x0
	v_fmac_f32_e32 v24, v25, v27
	s_or_b32 exec_lo, exec_lo, s1
	s_and_saveexec_b32 s1, s20
	s_cbranch_execz .LBB100_725
.LBB100_1174:                           ;   in Loop: Header=BB100_3 Depth=1
	ds_load_b32 v25, v39 offset:6720
	ds_load_b32 v27, v38 offset:8040
	s_wait_dscnt 0x0
	v_fmac_f32_e32 v24, v25, v27
	s_or_b32 exec_lo, exec_lo, s1
	s_and_saveexec_b32 s1, s21
	s_cbranch_execz .LBB100_726
.LBB100_1175:                           ;   in Loop: Header=BB100_3 Depth=1
	ds_load_b32 v25, v39 offset:6976
	ds_load_b32 v27, v38 offset:8044
	s_wait_dscnt 0x0
	v_fmac_f32_e32 v24, v25, v27
	s_or_b32 exec_lo, exec_lo, s1
	s_and_saveexec_b32 s1, s22
	s_cbranch_execz .LBB100_727
.LBB100_1176:                           ;   in Loop: Header=BB100_3 Depth=1
	ds_load_b32 v25, v39 offset:7232
	ds_load_b32 v27, v38 offset:8048
	s_wait_dscnt 0x0
	v_fmac_f32_e32 v24, v25, v27
	s_or_b32 exec_lo, exec_lo, s1
	s_and_saveexec_b32 s1, s23
	s_cbranch_execz .LBB100_728
.LBB100_1177:                           ;   in Loop: Header=BB100_3 Depth=1
	ds_load_b32 v25, v39 offset:7488
	ds_load_b32 v27, v38 offset:8052
	s_wait_dscnt 0x0
	v_fmac_f32_e32 v24, v25, v27
	s_or_b32 exec_lo, exec_lo, s1
	s_and_saveexec_b32 s1, s3
	s_cbranch_execz .LBB100_729
.LBB100_1178:                           ;   in Loop: Header=BB100_3 Depth=1
	ds_load_b32 v25, v39 offset:7744
	ds_load_b32 v27, v38 offset:8056
	s_wait_dscnt 0x0
	v_fmac_f32_e32 v24, v25, v27
	s_or_b32 exec_lo, exec_lo, s1
	s_and_saveexec_b32 s1, s18
	s_cbranch_execnz .LBB100_730
	s_branch .LBB100_731
.LBB100_1179:                           ;   in Loop: Header=BB100_3 Depth=1
	ds_load_b32 v25, v35 offset:5440
	ds_load_b32 v27, v34 offset:5972
	s_wait_dscnt 0x0
	v_fmac_f32_e32 v24, v25, v27
	s_or_b32 exec_lo, exec_lo, s1
	s_and_saveexec_b32 s1, s18
	s_cbranch_execz .LBB100_783
.LBB100_1180:                           ;   in Loop: Header=BB100_3 Depth=1
	ds_load_b32 v25, v35 offset:5696
	ds_load_b32 v27, v34 offset:5976
	s_wait_dscnt 0x0
	v_fmac_f32_e32 v24, v25, v27
	s_or_b32 exec_lo, exec_lo, s1
	s_and_saveexec_b32 s1, s2
	s_cbranch_execnz .LBB100_784
	s_branch .LBB100_785
.LBB100_1181:                           ;   in Loop: Header=BB100_3 Depth=1
	ds_load_b32 v25, v43 offset:6912
	ds_load_b32 v27, v42 offset:8044
	s_wait_dscnt 0x0
	v_fmac_f32_e32 v24, v25, v27
	s_or_b32 exec_lo, exec_lo, s1
	s_and_saveexec_b32 s1, s4
	s_cbranch_execz .LBB100_841
.LBB100_1182:                           ;   in Loop: Header=BB100_3 Depth=1
	ds_load_b32 v25, v43 offset:7168
	ds_load_b32 v27, v42 offset:8048
	s_wait_dscnt 0x0
	v_fmac_f32_e32 v24, v25, v27
	s_or_b32 exec_lo, exec_lo, s1
	s_and_saveexec_b32 s1, s20
	s_cbranch_execz .LBB100_842
.LBB100_1183:                           ;   in Loop: Header=BB100_3 Depth=1
	ds_load_b32 v25, v43 offset:7424
	ds_load_b32 v27, v42 offset:8052
	s_wait_dscnt 0x0
	v_fmac_f32_e32 v24, v25, v27
	s_or_b32 exec_lo, exec_lo, s1
	s_and_saveexec_b32 s1, s22
	s_cbranch_execz .LBB100_843
.LBB100_1184:                           ;   in Loop: Header=BB100_3 Depth=1
	ds_load_b32 v25, v43 offset:7680
	ds_load_b32 v27, v42 offset:8056
	s_wait_dscnt 0x0
	v_fmac_f32_e32 v24, v25, v27
	s_or_b32 exec_lo, exec_lo, s1
	s_and_saveexec_b32 s1, s3
	s_cbranch_execnz .LBB100_844
	s_branch .LBB100_845
.LBB100_1185:                           ;   in Loop: Header=BB100_3 Depth=1
	ds_load_b32 v25, v35 offset:3360
	ds_load_b32 v27, v34 offset:3892
	s_wait_dscnt 0x0
	v_fmac_f32_e32 v24, v25, v27
	s_or_b32 exec_lo, exec_lo, s1
	s_and_saveexec_b32 s1, s18
	s_cbranch_execz .LBB100_929
.LBB100_1186:                           ;   in Loop: Header=BB100_3 Depth=1
	ds_load_b32 v25, v35 offset:3616
	ds_load_b32 v27, v34 offset:3896
	s_wait_dscnt 0x0
	v_fmac_f32_e32 v24, v25, v27
	s_or_b32 exec_lo, exec_lo, s1
	s_and_saveexec_b32 s1, s2
	s_cbranch_execnz .LBB100_930
	s_branch .LBB100_931
.LBB100_1187:                           ;   in Loop: Header=BB100_3 Depth=1
	ds_load_b32 v25, v39 offset:2304
	ds_load_b32 v27, v38 offset:3876
	s_wait_dscnt 0x0
	v_fmac_f32_e32 v24, v25, v27
	s_or_b32 exec_lo, exec_lo, s1
	s_and_saveexec_b32 s1, s20
	s_cbranch_execz .LBB100_967
.LBB100_1188:                           ;   in Loop: Header=BB100_3 Depth=1
	ds_load_b32 v25, v39 offset:2560
	ds_load_b32 v27, v38 offset:3880
	s_wait_dscnt 0x0
	v_fmac_f32_e32 v24, v25, v27
	s_or_b32 exec_lo, exec_lo, s1
	s_and_saveexec_b32 s1, s21
	s_cbranch_execz .LBB100_968
.LBB100_1189:                           ;   in Loop: Header=BB100_3 Depth=1
	ds_load_b32 v25, v39 offset:2816
	ds_load_b32 v27, v38 offset:3884
	s_wait_dscnt 0x0
	v_fmac_f32_e32 v24, v25, v27
	s_or_b32 exec_lo, exec_lo, s1
	s_and_saveexec_b32 s1, s22
	s_cbranch_execz .LBB100_969
.LBB100_1190:                           ;   in Loop: Header=BB100_3 Depth=1
	ds_load_b32 v25, v39 offset:3072
	ds_load_b32 v27, v38 offset:3888
	s_wait_dscnt 0x0
	v_fmac_f32_e32 v24, v25, v27
	s_or_b32 exec_lo, exec_lo, s1
	s_and_saveexec_b32 s1, s23
	s_cbranch_execz .LBB100_970
.LBB100_1191:                           ;   in Loop: Header=BB100_3 Depth=1
	ds_load_b32 v25, v39 offset:3328
	ds_load_b32 v27, v38 offset:3892
	s_wait_dscnt 0x0
	v_fmac_f32_e32 v24, v25, v27
	s_or_b32 exec_lo, exec_lo, s1
	s_and_saveexec_b32 s1, s3
	s_cbranch_execz .LBB100_971
.LBB100_1192:                           ;   in Loop: Header=BB100_3 Depth=1
	ds_load_b32 v25, v39 offset:3584
	ds_load_b32 v27, v38 offset:3896
	s_wait_dscnt 0x0
	v_fmac_f32_e32 v24, v25, v27
	s_or_b32 exec_lo, exec_lo, s1
	s_and_saveexec_b32 s1, s18
	s_cbranch_execnz .LBB100_972
	s_branch .LBB100_973
.LBB100_1193:                           ;   in Loop: Header=BB100_3 Depth=1
	ds_load_b32 v25, v35 offset:1280
	ds_load_b32 v27, v34 offset:1812
	s_wait_dscnt 0x0
	v_fmac_f32_e32 v24, v25, v27
	s_or_b32 exec_lo, exec_lo, s1
	s_and_saveexec_b32 s1, s18
	s_cbranch_execz .LBB100_1025
.LBB100_1194:                           ;   in Loop: Header=BB100_3 Depth=1
	ds_load_b32 v25, v35 offset:1536
	ds_load_b32 v27, v34 offset:1816
	s_wait_dscnt 0x0
	v_fmac_f32_e32 v24, v25, v27
	s_or_b32 exec_lo, exec_lo, s1
	s_and_saveexec_b32 s1, s2
	s_cbranch_execnz .LBB100_1026
	s_branch .LBB100_1027
.LBB100_1195:
	s_endpgm
	.section	.rodata,"a",@progbits
	.p2align	6, 0x0
	.amdhsa_kernel _ZL19rocblas_trsv_deviceILi64ELi16ELb0ELb0ELb0ELb0EfPKfPKS1_PKPfEviT7_lllT6_T8_lllPii
		.amdhsa_group_segment_fixed_size 20740
		.amdhsa_private_segment_fixed_size 0
		.amdhsa_kernarg_size 352
		.amdhsa_user_sgpr_count 2
		.amdhsa_user_sgpr_dispatch_ptr 0
		.amdhsa_user_sgpr_queue_ptr 0
		.amdhsa_user_sgpr_kernarg_segment_ptr 1
		.amdhsa_user_sgpr_dispatch_id 0
		.amdhsa_user_sgpr_kernarg_preload_length 0
		.amdhsa_user_sgpr_kernarg_preload_offset 0
		.amdhsa_user_sgpr_private_segment_size 0
		.amdhsa_wavefront_size32 1
		.amdhsa_uses_dynamic_stack 0
		.amdhsa_enable_private_segment 0
		.amdhsa_system_sgpr_workgroup_id_x 1
		.amdhsa_system_sgpr_workgroup_id_y 0
		.amdhsa_system_sgpr_workgroup_id_z 1
		.amdhsa_system_sgpr_workgroup_info 0
		.amdhsa_system_vgpr_workitem_id 1
		.amdhsa_next_free_vgpr 75
		.amdhsa_next_free_sgpr 105
		.amdhsa_named_barrier_count 0
		.amdhsa_reserve_vcc 1
		.amdhsa_float_round_mode_32 0
		.amdhsa_float_round_mode_16_64 0
		.amdhsa_float_denorm_mode_32 3
		.amdhsa_float_denorm_mode_16_64 3
		.amdhsa_fp16_overflow 0
		.amdhsa_memory_ordered 1
		.amdhsa_forward_progress 1
		.amdhsa_inst_pref_size 255
		.amdhsa_round_robin_scheduling 0
		.amdhsa_exception_fp_ieee_invalid_op 0
		.amdhsa_exception_fp_denorm_src 0
		.amdhsa_exception_fp_ieee_div_zero 0
		.amdhsa_exception_fp_ieee_overflow 0
		.amdhsa_exception_fp_ieee_underflow 0
		.amdhsa_exception_fp_ieee_inexact 0
		.amdhsa_exception_int_div_zero 0
	.end_amdhsa_kernel
	.section	.text._ZL19rocblas_trsv_deviceILi64ELi16ELb0ELb0ELb0ELb0EfPKfPKS1_PKPfEviT7_lllT6_T8_lllPii,"axG",@progbits,_ZL19rocblas_trsv_deviceILi64ELi16ELb0ELb0ELb0ELb0EfPKfPKS1_PKPfEviT7_lllT6_T8_lllPii,comdat
.Lfunc_end100:
	.size	_ZL19rocblas_trsv_deviceILi64ELi16ELb0ELb0ELb0ELb0EfPKfPKS1_PKPfEviT7_lllT6_T8_lllPii, .Lfunc_end100-_ZL19rocblas_trsv_deviceILi64ELi16ELb0ELb0ELb0ELb0EfPKfPKS1_PKPfEviT7_lllT6_T8_lllPii
                                        ; -- End function
	.set _ZL19rocblas_trsv_deviceILi64ELi16ELb0ELb0ELb0ELb0EfPKfPKS1_PKPfEviT7_lllT6_T8_lllPii.num_vgpr, 75
	.set _ZL19rocblas_trsv_deviceILi64ELi16ELb0ELb0ELb0ELb0EfPKfPKS1_PKPfEviT7_lllT6_T8_lllPii.num_agpr, 0
	.set _ZL19rocblas_trsv_deviceILi64ELi16ELb0ELb0ELb0ELb0EfPKfPKS1_PKPfEviT7_lllT6_T8_lllPii.numbered_sgpr, 105
	.set _ZL19rocblas_trsv_deviceILi64ELi16ELb0ELb0ELb0ELb0EfPKfPKS1_PKPfEviT7_lllT6_T8_lllPii.num_named_barrier, 0
	.set _ZL19rocblas_trsv_deviceILi64ELi16ELb0ELb0ELb0ELb0EfPKfPKS1_PKPfEviT7_lllT6_T8_lllPii.private_seg_size, 0
	.set _ZL19rocblas_trsv_deviceILi64ELi16ELb0ELb0ELb0ELb0EfPKfPKS1_PKPfEviT7_lllT6_T8_lllPii.uses_vcc, 1
	.set _ZL19rocblas_trsv_deviceILi64ELi16ELb0ELb0ELb0ELb0EfPKfPKS1_PKPfEviT7_lllT6_T8_lllPii.uses_flat_scratch, 0
	.set _ZL19rocblas_trsv_deviceILi64ELi16ELb0ELb0ELb0ELb0EfPKfPKS1_PKPfEviT7_lllT6_T8_lllPii.has_dyn_sized_stack, 0
	.set _ZL19rocblas_trsv_deviceILi64ELi16ELb0ELb0ELb0ELb0EfPKfPKS1_PKPfEviT7_lllT6_T8_lllPii.has_recursion, 0
	.set _ZL19rocblas_trsv_deviceILi64ELi16ELb0ELb0ELb0ELb0EfPKfPKS1_PKPfEviT7_lllT6_T8_lllPii.has_indirect_call, 0
	.section	.AMDGPU.csdata,"",@progbits
; Kernel info:
; codeLenInByte = 38456
; TotalNumSgprs: 107
; NumVgprs: 75
; ScratchSize: 0
; MemoryBound: 0
; FloatMode: 240
; IeeeMode: 1
; LDSByteSize: 20740 bytes/workgroup (compile time only)
; SGPRBlocks: 0
; VGPRBlocks: 4
; NumSGPRsForWavesPerEU: 107
; NumVGPRsForWavesPerEU: 75
; NamedBarCnt: 0
; Occupancy: 12
; WaveLimiterHint : 1
; COMPUTE_PGM_RSRC2:SCRATCH_EN: 0
; COMPUTE_PGM_RSRC2:USER_SGPR: 2
; COMPUTE_PGM_RSRC2:TRAP_HANDLER: 0
; COMPUTE_PGM_RSRC2:TGID_X_EN: 1
; COMPUTE_PGM_RSRC2:TGID_Y_EN: 0
; COMPUTE_PGM_RSRC2:TGID_Z_EN: 1
; COMPUTE_PGM_RSRC2:TIDIG_COMP_CNT: 1
	.section	.text._ZL19rocblas_trsv_deviceILi64ELi16ELb0ELb1ELb0ELb0EfPKfPKS1_PKPfEviT7_lllT6_T8_lllPii,"axG",@progbits,_ZL19rocblas_trsv_deviceILi64ELi16ELb0ELb1ELb0ELb0EfPKfPKS1_PKPfEviT7_lllT6_T8_lllPii,comdat
	.globl	_ZL19rocblas_trsv_deviceILi64ELi16ELb0ELb1ELb0ELb0EfPKfPKS1_PKPfEviT7_lllT6_T8_lllPii ; -- Begin function _ZL19rocblas_trsv_deviceILi64ELi16ELb0ELb1ELb0ELb0EfPKfPKS1_PKPfEviT7_lllT6_T8_lllPii
	.p2align	8
	.type	_ZL19rocblas_trsv_deviceILi64ELi16ELb0ELb1ELb0ELb0EfPKfPKS1_PKPfEviT7_lllT6_T8_lllPii,@function
_ZL19rocblas_trsv_deviceILi64ELi16ELb0ELb1ELb0ELb0EfPKfPKS1_PKPfEviT7_lllT6_T8_lllPii: ; @_ZL19rocblas_trsv_deviceILi64ELi16ELb0ELb1ELb0ELb0EfPKfPKS1_PKPfEviT7_lllT6_T8_lllPii
; %bb.0:
	s_load_b32 s6, s[0:1], 0x58
	s_bfe_u32 s2, ttmp6, 0x40014
	s_lshr_b32 s3, ttmp7, 16
	s_add_co_i32 s2, s2, 1
	s_bfe_u32 s5, ttmp6, 0x40008
	s_mul_i32 s4, s3, s2
	s_getreg_b32 s2, hwreg(HW_REG_IB_STS2, 6, 4)
	s_add_co_i32 s5, s5, s4
	s_cmp_eq_u32 s2, 0
	s_mov_b32 s67, 0
	s_cselect_b32 s66, s3, s5
                                        ; implicit-def: $vgpr89 : SGPR spill to VGPR lane
	s_wait_kmcnt 0x0
	s_cmp_ge_u32 s66, s6
	v_writelane_b32 v89, s6, 0
	s_cbranch_scc1 .LBB101_1257
; %bb.1:
	s_clause 0x2
	s_load_b32 s3, s[0:1], 0x6c
	s_load_b32 s85, s[0:1], 0x0
	s_load_b64 s[14:15], s[0:1], 0x18
	s_bfe_u32 s5, ttmp6, 0x4000c
	s_and_b32 s4, ttmp6, 15
	s_add_co_i32 s5, s5, 1
	v_and_b32_e32 v4, 0x3ff, v0
	s_mul_i32 s5, ttmp9, s5
	v_mov_b32_e32 v3, 0
	s_add_co_i32 s4, s4, s5
	s_cmp_eq_u32 s2, 0
	v_bfe_u32 v32, v0, 10, 10
	s_cselect_b32 s86, ttmp9, s4
	v_dual_mov_b32 v7, v3 :: v_dual_lshlrev_b32 v20, 6, v4
	v_mov_b32_e32 v5, v3
	s_delay_alu instid0(VALU_DEP_3)
	v_lshl_add_u32 v26, v32, 6, v4
	v_and_b32_e32 v13, 1, v0
	v_cmp_gt_u32_e64 s6, 2, v4
	v_dual_add_nc_u32 v78, 32, v32 :: v_dual_add_nc_u32 v79, 48, v32
	s_wait_kmcnt 0x0
	s_and_b32 s2, s3, 0xffff
	s_add_co_i32 s3, s85, -1
	s_ashr_i32 s4, s85, 31
	s_ashr_i32 s5, s3, 31
	s_lshr_b32 s4, s4, 26
	s_lshr_b32 s5, s5, 26
	s_add_co_i32 s4, s85, s4
	s_add_co_i32 s3, s3, s5
	s_and_not1_b32 s4, s4, 63
	s_ashr_i32 s3, s3, 6
	s_sub_co_i32 s18, s85, s4
	s_cmp_eq_u32 s3, s86
	v_sub_co_u32 v33, s5, s86, 1
	s_cselect_b32 s3, -1, 0
	s_cmp_lg_u32 s18, 0
	v_mad_u32_u24 v6, v32, s2, v4
	s_cselect_b32 s4, -1, 0
	s_lshl_b32 s16, s86, 6
	s_xor_b32 s2, s5, -1
	v_dual_add_nc_u32 v28, s16, v32 :: v_dual_add_nc_u32 v27, 16, v32
	s_and_b32 s19, s4, s3
	v_writelane_b32 v89, s2, 1
	s_add_nc_u64 s[2:3], s[14:15], 1
	s_delay_alu instid0(VALU_DEP_2)
	v_dual_add_nc_u32 v1, v32, v20 :: v_dual_add_nc_u32 v2, v27, v20
	v_dual_add_nc_u32 v24, s16, v4 :: v_dual_lshrrev_b32 v12, 1, v26
	s_xor_b32 s88, s19, -1
	s_cmp_lt_i32 s86, 5
	v_mad_nc_u64_u32 v[18:19], s2, s16, v[4:5]
	v_subrev_nc_u32_e32 v8, 64, v28
	v_lshl_add_u32 v5, v27, 6, v4
	s_cselect_b32 vcc_lo, -1, 0
	v_dual_cndmask_b32 v30, v26, v1 :: v_dual_ashrrev_i32 v25, 31, v24
	s_or_b32 vcc_lo, vcc_lo, s19
	s_delay_alu instid0(VALU_DEP_2) | instid1(SALU_CYCLE_1)
	v_dual_ashrrev_i32 v9, 31, v8 :: v_dual_cndmask_b32 v31, v5, v2, vcc_lo
	v_lshrrev_b32_e32 v1, 10, v0
	v_dual_lshlrev_b32 v2, 8, v12 :: v_dual_lshlrev_b32 v35, 2, v13
	s_ashr_i32 s17, s16, 31
	s_mul_i32 s3, s3, s16
	s_mul_i32 s2, s2, s17
	v_lshl_add_u32 v5, v12, 2, 0x4000
	v_add3_u32 v19, s2, s3, v19
	v_cmp_gt_u32_e64 s2, 4, v26
	v_cmp_eq_u32_e64 s4, 1, v13
	v_cmp_eq_u32_e64 s5, 0, v13
	v_lshlrev_b32_e32 v12, 6, v26
	v_dual_sub_nc_u32 v37, v35, v2 :: v_dual_bitop2_b32 v13, 3, v0 bitop3:0x40
	v_dual_sub_nc_u32 v34, 0, v2 :: v_dual_lshlrev_b32 v36, 2, v4
	v_cmp_eq_u32_e64 s3, 0, v32
	s_and_b32 s90, s4, s2
	s_and_b32 s91, s5, s2
	v_and_b32_e32 v2, -4, v26
	v_and_b32_e32 v12, 0xffffff00, v12
	v_cmp_gt_u32_e64 s4, 16, v26
	v_cmp_eq_u32_e64 s5, 3, v13
	s_and_b32 s92, s3, s6
	v_dual_lshlrev_b32 v41, 2, v13 :: v_dual_sub_nc_u32 v40, 0, v12
	v_cmp_ne_u32_e64 s6, 3, v13
	s_and_b32 s93, s5, s4
	v_cmp_gt_u32_e64 s5, 2, v13
	v_sub_nc_u32_e32 v43, v41, v12
	v_add_nc_u64_e32 v[22:23], s[16:17], v[6:7]
	s_and_b32 s94, s6, s4
	v_cmp_eq_u32_e64 s6, 0, v13
	s_and_b32 s96, s5, s4
	v_cmp_gt_u32_e64 s5, 4, v4
	v_add_nc_u32_e32 v7, v78, v20
	v_lshl_add_u32 v53, v78, 6, v4
	v_add_nc_u32_e32 v39, 0x4000, v2
	v_dual_lshrrev_b32 v2, 3, v26 :: v_dual_bitop2_b32 v12, 7, v0 bitop3:0x40
	v_cmp_eq_u32_e64 s7, 2, v13
	v_cmp_eq_u32_e64 s8, 1, v13
	s_and_b32 s98, s6, s4
	v_lshlrev_b32_e32 v13, 8, v2
	s_and_b32 s99, s3, s5
	v_cmp_gt_u32_e64 s5, 64, v26
	v_cmp_eq_u32_e64 s6, 7, v12
	s_and_b32 s95, s7, s4
	v_cmp_ne_u32_e64 s7, 7, v12
	s_and_b32 s97, s8, s4
	v_cmp_eq_u32_e64 s8, 6, v12
	s_and_b32 s100, s6, s5
	v_cmp_gt_u32_e64 s6, 6, v12
	s_and_b32 s101, s7, s5
	v_cmp_eq_u32_e64 s7, 5, v12
	s_and_b32 s102, s8, s5
	v_cmp_gt_u32_e64 s8, 5, v12
	;; [unrolled: 4-line block ×3, first 2 shown]
	v_lshl_add_u32 v44, v2, 2, 0x4000
	v_dual_sub_nc_u32 v45, 0, v13 :: v_dual_lshlrev_b32 v46, 2, v12
	s_and_b32 s36, s6, s5
	v_cmp_gt_u32_e64 s6, 3, v12
	s_and_b32 vcc_hi, s8, s5
	v_cmp_eq_u32_e64 s8, 3, v12
	s_and_b32 s37, s7, s5
	v_cmp_eq_u32_e64 s7, 2, v12
	s_and_b32 s39, s6, s5
	v_cmp_eq_u32_e64 s6, 1, v12
	v_dual_lshrrev_b32 v2, 4, v26 :: v_dual_sub_nc_u32 v47, v46, v13
	s_and_b32 s38, s8, s5
	v_cmp_gt_u32_e64 s8, 2, v12
	s_and_b32 s40, s7, s5
	v_cmp_eq_u32_e64 s7, 0, v12
	s_and_b32 s42, s6, s5
	v_cmp_gt_u32_e64 s6, 8, v4
	v_dual_lshlrev_b32 v12, 8, v2 :: v_dual_bitop2_b32 v13, 15, v0 bitop3:0x40
	s_and_b32 s43, s7, s5
	s_and_b32 s41, s8, s5
	;; [unrolled: 1-line block ×3, first 2 shown]
	v_cmp_gt_u32_e64 s6, 0x100, v26
	v_cmp_eq_u32_e64 s7, 15, v13
	v_cmp_ne_u32_e64 s8, 15, v13
	v_cmp_eq_u32_e64 s9, 14, v13
	v_cmp_gt_u32_e64 s10, 14, v13
	v_dual_sub_nc_u32 v49, 0, v12 :: v_dual_lshlrev_b32 v50, 2, v13
	s_and_b32 s7, s7, s6
	s_and_b32 s47, s9, s6
	v_writelane_b32 v89, s7, 2
	s_and_b32 s7, s8, s6
	v_cmp_gt_u32_e64 s8, 13, v13
	v_cmp_eq_u32_e64 s9, 12, v13
	s_and_b32 s48, s10, s6
	v_writelane_b32 v89, s7, 3
	v_cmp_eq_u32_e64 s7, 13, v13
	s_and_b32 s50, s8, s6
	v_cmp_gt_u32_e64 s8, 11, v13
	v_cmp_eq_u32_e64 s10, 11, v13
	s_and_b32 s51, s9, s6
	s_and_b32 s49, s7, s6
	v_cmp_gt_u32_e64 s7, 12, v13
	s_and_b32 s54, s8, s6
	v_cmp_eq_u32_e64 s8, 9, v13
	v_cmp_gt_u32_e64 s9, 10, v13
	s_and_b32 s53, s10, s6
	s_and_b32 s52, s7, s6
	v_cmp_eq_u32_e64 s7, 10, v13
	s_and_b32 s57, s8, s6
	v_cmp_gt_u32_e64 s8, 8, v13
	v_cmp_gt_u32_e64 s10, 9, v13
	s_and_b32 s56, s9, s6
	s_and_b32 s55, s7, s6
	v_cmp_eq_u32_e64 s7, 8, v13
	s_and_b32 s62, s8, s6
	v_cmp_gt_u32_e64 s8, 6, v13
	v_cmp_eq_u32_e64 s9, 7, v13
	v_lshl_add_u32 v48, v2, 2, 0x4000
	s_and_b32 s61, s7, s6
	v_cmp_gt_u32_e64 s7, 7, v13
	s_and_b32 s24, s8, s6
	v_cmp_eq_u32_e64 s8, 4, v13
	s_and_b32 s58, s10, s6
	v_cmp_eq_u32_e64 s10, 6, v13
	s_and_b32 s64, s7, s6
	v_cmp_eq_u32_e64 s7, 5, v13
	s_and_b32 s30, s8, s6
	v_cmp_gt_u32_e64 s8, 3, v13
	s_and_b32 s63, s9, s6
	v_cmp_gt_u32_e64 s9, 5, v13
	s_and_b32 s26, s7, s6
	v_cmp_eq_u32_e64 s7, 3, v13
	s_and_b32 s25, s8, s6
	v_cmp_eq_u32_e64 s8, 0, v13
	v_dual_lshrrev_b32 v2, 5, v26 :: v_dual_sub_nc_u32 v51, v50, v12
	s_and_b32 s35, s7, s6
	v_cmp_gt_u32_e64 s7, 2, v13
	s_delay_alu instid0(VALU_DEP_2)
	v_dual_lshlrev_b32 v65, 8, v2 :: v_dual_bitop2_b32 v21, 31, v0 bitop3:0x40
	s_and_b32 s13, s10, s6
	v_cmp_gt_u32_e64 s10, 4, v13
	s_and_b32 s29, s7, s6
	v_cmp_gt_u32_e64 s7, 16, v4
	s_and_b32 s28, s9, s6
	v_cmp_eq_u32_e64 s9, 2, v13
	s_and_b32 s34, s8, s6
	v_cmp_eq_u32_e64 s8, 31, v21
	s_and_b32 s84, s3, s7
	v_cmp_gt_u32_e64 s7, 0x400, v26
	s_and_b32 s33, s10, s6
	v_cmp_eq_u32_e64 s10, 1, v13
	s_and_b32 s27, s9, s6
	v_cmp_ne_u32_e64 s9, 31, v21
	s_and_b32 s8, s8, s7
	v_cmp_gt_u32_e64 s11, 30, v21
	v_writelane_b32 v89, s8, 4
	s_and_b32 s31, s10, s6
	v_cmp_eq_u32_e64 s10, 30, v21
	s_and_b32 s8, s9, s7
	v_cmp_eq_u32_e64 s12, 29, v21
	v_writelane_b32 v89, s8, 5
	v_cmp_eq_u32_e64 s9, 28, v21
	s_and_b32 s8, s10, s7
	v_cmp_gt_u32_e64 s10, 28, v21
	v_lshl_add_u32 v52, v2, 2, 0x4000
	v_writelane_b32 v89, s8, 6
	s_and_b32 s8, s11, s7
	v_cmp_eq_u32_e64 s11, 27, v21
	v_dual_add_nc_u32 v2, s16, v6 :: v_dual_add_nc_u32 v20, v79, v20
	v_writelane_b32 v89, s8, 7
	s_and_b32 s8, s12, s7
	v_cmp_gt_u32_e64 s12, 27, v21
	v_lshl_add_u32 v54, v79, 6, v4
	s_xor_b32 s89, vcc_lo, -1
	v_writelane_b32 v89, s8, 8
	v_cmp_gt_u32_e64 s8, 29, v21
	v_dual_cndmask_b32 v74, v53, v7 :: v_dual_sub_nc_u32 v63, 0, v65
	v_dual_cndmask_b32 v75, v54, v20 :: v_dual_lshlrev_b32 v64, 2, v21
	s_and_b32 s8, s8, s7
	v_cmp_gt_u32_e32 vcc_lo, 21, v21
	v_writelane_b32 v89, s8, 9
	s_and_b32 s8, s9, s7
	v_cmp_gt_u32_e64 s9, 26, v21
                                        ; implicit-def: $vgpr88 : SGPR spill to VGPR lane
                                        ; implicit-def: $vgpr87 : SGPR spill to VGPR lane
	s_load_b256 s[68:75], s[0:1], 0x28
	v_mul_u64_e32 v[10:11], s[14:15], v[24:25]
	v_writelane_b32 v89, s8, 10
	s_and_b32 s8, s10, s7
	v_cmp_eq_u32_e64 s10, 25, v21
	v_mad_nc_u64_u32 v[12:13], s14, v32, v[18:19]
	v_mad_nc_u64_u32 v[14:15], s14, v27, v[18:19]
	v_writelane_b32 v89, s8, 11
	s_and_b32 s8, s11, s7
	v_cmp_gt_u32_e64 s11, 25, v21
	v_mad_nc_u64_u32 v[16:17], s14, v78, v[18:19]
	v_mad_nc_u64_u32 v[18:19], s14, v79, v[18:19]
	v_writelane_b32 v89, s8, 12
	s_and_b32 s8, s12, s7
	v_cmp_eq_u32_e64 s12, 24, v21
	s_clause 0x1
	s_load_b64 s[80:81], s[0:1], 0x50
	s_load_b128 s[76:79], s[0:1], 0x8
	v_writelane_b32 v89, s8, 13
	v_cmp_eq_u32_e64 s8, 26, v21
	s_wait_xcnt 0x0
	v_cmp_gt_i32_e64 s0, s18, v4
	v_cmp_gt_i32_e64 s1, s85, v8
	v_bitop3_b32 v82, v0, v1, 0x3ff bitop3:0xa8
	s_wait_kmcnt 0x0
	v_mul_u64_e32 v[0:1], s[74:75], v[24:25]
	s_and_b32 s8, s8, s7
	v_mad_u32 v13, s15, v32, v13
	v_writelane_b32 v89, s8, 14
	s_and_b32 s8, s9, s7
	v_cmp_eq_u32_e64 s9, 23, v21
	v_mad_u32 v15, s15, v27, v15
	v_mad_u32 v17, s15, v78, v17
	v_writelane_b32 v89, s8, 15
	s_and_b32 s8, s10, s7
	v_cmp_gt_u32_e64 s10, 23, v21
	v_mad_u32 v19, s15, v79, v19
	v_cmp_ne_u32_e64 s16, v4, v27
	v_writelane_b32 v89, s8, 16
	s_and_b32 s8, s11, s7
	v_cmp_eq_u32_e64 s11, 22, v21
	v_cmp_ne_u32_e64 s17, v4, v78
	v_cmp_gt_u32_e64 s45, 0xf0, v26
	v_writelane_b32 v89, s8, 17
	s_and_b32 s8, s12, s7
	v_cmp_gt_u32_e64 s12, 22, v21
                                        ; implicit-def: $vgpr86 : SGPR spill to VGPR lane
	v_mad_u32_u24 v38, 0xfc, v4, v36
	v_mul_i32_i24_e32 v77, 0xffffff04, v4
	v_writelane_b32 v89, s8, 18
	v_cmp_gt_u32_e64 s8, 24, v21
	v_mul_u64_e32 v[22:23], s[74:75], v[22:23]
	v_mad_i32_i24 v42, 0xffffff04, v4, v38
	v_mul_u32_u24_e32 v29, 0xfc, v4
	v_dual_sub_nc_u32 v65, v64, v65 :: v_dual_lshlrev_b32 v76, 2, v32
	s_and_b32 s8, s8, s7
	s_delay_alu instid0(VALU_DEP_3)
	v_mad_u32_u24 v7, 0xfc, v4, v42
	v_writelane_b32 v89, s8, 19
	s_and_b32 s8, s9, s7
	v_cmp_eq_u32_e64 s9, 20, v21
	v_or_b32_e32 v66, 0x5000, v76
	v_mad_i32_i24 v53, 0xffffff04, v4, v7
	v_writelane_b32 v89, s8, 20
	s_and_b32 s8, s10, s7
	s_and_b32 s10, s11, s7
	;; [unrolled: 1-line block ×3, first 2 shown]
	v_mad_u32_u24 v54, 0xfc, v4, v53
	v_writelane_b32 v89, s8, 21
	v_cmp_eq_u32_e64 s8, 21, v21
	v_lshl_add_u32 v67, v6, 2, 0x5000
	v_lshl_add_u32 v68, v26, 2, 0x4000
	v_mad_i32_i24 v55, 0xffffff04, v4, v54
	v_writelane_b32 v89, s10, 22
	s_and_b32 s8, s8, s7
	v_cmp_gt_u32_e64 s10, 20, v21
	v_add_nc_u32_e32 v69, 0x4000, v36
	v_mad_u32_u24 v56, 0xfc, v4, v55
	v_writelane_b32 v89, s11, 23
	v_dual_add_nc_u32 v71, v66, v36 :: v_dual_lshlrev_b32 v72, 2, v30
	v_cmp_gt_u32_e64 s20, 48, v26
	s_delay_alu instid0(VALU_DEP_4)
	v_mad_i32_i24 v57, 0xffffff04, v4, v56
	v_writelane_b32 v89, s8, 24
	s_and_b32 s8, vcc_lo, s7
	v_cmp_eq_u32_e32 vcc_lo, 19, v21
	v_cmp_gt_u32_e64 s21, 40, v26
	v_mad_u32_u24 v58, 0xfc, v4, v57
	v_writelane_b32 v89, s8, 25
	s_and_b32 s8, s9, s7
	v_cmp_gt_u32_e64 s22, 32, v26
	v_cmp_gt_u32_e64 s23, 24, v26
	v_mad_i32_i24 v59, 0xffffff04, v4, v58
	v_writelane_b32 v89, s8, 26
	s_and_b32 s8, s10, s7
	v_cmp_le_i32_e64 s10, s18, v79
	v_cmp_eq_u32_e64 s59, 0, v6
	v_mad_u32_u24 v60, 0xfc, v4, v59
	v_writelane_b32 v89, s8, 27
	s_and_b32 s8, vcc_lo, s7
	v_cmp_gt_u32_e32 vcc_lo, 19, v21
	v_lshl_add_u32 v70, v32, 8, v59
	v_mad_i32_i24 v61, 0xffffff04, v4, v60
	v_writelane_b32 v89, s8, 28
	v_cmp_gt_u32_e64 s60, 64, v6
	s_and_b32 s8, vcc_lo, s7
	v_cmp_eq_u32_e32 vcc_lo, 18, v21
	v_mad_u32_u24 v62, 0xfc, v4, v61
	v_writelane_b32 v89, s8, 29
                                        ; implicit-def: $vgpr80
                                        ; implicit-def: $vgpr81
	v_lshlrev_b32_e32 v73, 2, v31
	v_lshlrev_b32_e32 v75, 2, v75
	s_and_b32 s8, vcc_lo, s7
	v_cmp_gt_u32_e32 vcc_lo, 18, v21
	v_writelane_b32 v89, s8, 30
	v_dual_add_nc_u32 v76, v62, v76 :: v_dual_lshlrev_b32 v74, 2, v74
	s_and_b32 s8, vcc_lo, s7
	v_cmp_eq_u32_e32 vcc_lo, 17, v21
	v_writelane_b32 v89, s8, 31
	s_and_b32 s8, vcc_lo, s7
	v_cmp_gt_u32_e32 vcc_lo, 17, v21
	v_writelane_b32 v88, s8, 0
	s_and_b32 s8, vcc_lo, s7
	v_cmp_eq_u32_e32 vcc_lo, 16, v21
	v_writelane_b32 v88, s8, 1
	s_and_b32 s8, vcc_lo, s7
	v_cmp_gt_u32_e32 vcc_lo, 16, v21
	v_writelane_b32 v88, s8, 2
	;; [unrolled: 6-line block ×16, first 2 shown]
	s_and_b32 s8, vcc_lo, s7
	v_cmp_eq_u32_e32 vcc_lo, 1, v21
	v_writelane_b32 v88, s8, 31
	s_and_b32 s8, vcc_lo, s7
	v_cmp_eq_u32_e32 vcc_lo, 0, v21
	v_writelane_b32 v87, s8, 0
	v_cmp_gt_u32_e64 s8, 32, v4
	v_mul_u64_e32 v[20:21], s[74:75], v[2:3]
	v_subrev_nc_u32_e32 v2, 48, v28
	s_and_b32 s14, vcc_lo, s7
	v_cmp_le_i32_e32 vcc_lo, s18, v4
	s_and_b32 s8, s3, s8
	s_delay_alu instid0(SALU_CYCLE_1)
	v_writelane_b32 v87, s8, 1
	s_and_b32 s9, vcc_lo, s19
	v_cmp_gt_u32_e64 s19, 56, v26
	s_xor_b32 s8, s9, -1
	v_writelane_b32 v87, s9, 2
	s_and_b32 s12, s3, s8
	s_cmp_gt_i32 s86, 0
	s_cselect_b32 s11, -1, 0
	s_and_b32 s0, s3, s0
	s_lshl_b64 s[78:79], s[78:79], 2
	v_writelane_b32 v87, s0, 3
	v_cmp_gt_i32_e64 s0, s85, v24
	v_subrev_nc_u32_e32 v24, 32, v28
	s_lshl_b64 s[72:73], s[72:73], 2
	s_and_b32 s1, s1, s0
	s_delay_alu instid0(SALU_CYCLE_1) | instskip(SKIP_4) | instid1(SALU_CYCLE_1)
	v_writelane_b32 v87, s1, 4
	v_cmp_gt_i32_e64 s1, s85, v2
	v_add_nc_u32_e32 v2, -16, v28
	v_mul_lo_u32 v28, v77, 6
	s_and_b32 s1, s1, s0
	v_writelane_b32 v87, s1, 5
	v_cmp_gt_i32_e64 s1, s85, v24
	v_or_b32_e32 v24, v78, v4
	s_and_b32 s1, s1, s0
	v_mad_u32 v28, v29, 7, v28
	v_writelane_b32 v87, s1, 6
	v_cmp_gt_i32_e64 s1, s85, v2
	v_or_b32_e32 v2, v27, v4
	v_mul_u32_u24_e32 v29, 0xf8, v4
	v_or_b32_e32 v25, v79, v4
	s_and_b32 s1, s1, s0
	s_delay_alu instid0(SALU_CYCLE_1)
	v_writelane_b32 v87, s1, 7
	v_cmp_le_i32_e64 s1, s18, v32
	v_sub_nc_u32_e32 v77, v28, v29
	s_or_b32 s8, s1, vcc_lo
	v_cmp_ge_u32_e64 s1, v4, v32
	s_or_b32 s8, s8, s1
	s_delay_alu instid0(SALU_CYCLE_1) | instskip(SKIP_4) | instid1(SALU_CYCLE_1)
	v_writelane_b32 v87, s8, 8
	v_cmp_le_i32_e64 s8, s18, v27
	s_or_b32 s9, s8, vcc_lo
	v_cmp_ge_u32_e64 s8, v4, v27
	s_or_b32 s9, s9, s8
	v_writelane_b32 v87, s9, 9
	v_cmp_le_i32_e64 s9, s18, v78
	v_cmp_ne_u32_e64 s18, v4, v79
	s_or_b32 s15, s9, vcc_lo
	v_cmp_ge_u32_e64 s9, v4, v78
                                        ; implicit-def: $vgpr78
	s_or_b32 s15, s15, s9
	s_delay_alu instid0(SALU_CYCLE_1) | instskip(SKIP_3) | instid1(SALU_CYCLE_1)
	v_writelane_b32 v87, s15, 10
	s_or_b32 s15, s10, vcc_lo
	v_cmp_ge_u32_e64 s10, v4, v79
                                        ; implicit-def: $vgpr79
	s_or_b32 s15, s15, s10
	v_writelane_b32 v87, s15, 11
	v_cmp_ne_u32_e64 s15, v4, v32
	s_delay_alu instid0(VALU_DEP_1) | instskip(SKIP_1) | instid1(SALU_CYCLE_1)
	v_writelane_b32 v87, s15, 12
	s_or_b32 s15, vcc_lo, s15
	v_writelane_b32 v87, s15, 13
	s_or_b32 s15, vcc_lo, s16
	v_writelane_b32 v87, s16, 14
	v_cmp_gt_u32_e64 s16, 2, v26
	v_writelane_b32 v87, s15, 15
	s_or_b32 s15, vcc_lo, s17
	v_writelane_b32 v87, s17, 16
	v_cmp_gt_u32_e64 s17, 12, v26
	;; [unrolled: 4-line block ×3, first 2 shown]
	v_writelane_b32 v87, s15, 19
	v_cmp_eq_u32_e64 s15, 0, v82
	v_writelane_b32 v87, s45, 20
	v_cmp_gt_u32_e64 s45, 0xe0, v26
	s_delay_alu instid0(VALU_DEP_1) | instskip(SKIP_1) | instid1(VALU_DEP_1)
	v_writelane_b32 v87, s45, 21
	v_cmp_gt_u32_e64 s45, 0xd0, v26
	v_writelane_b32 v87, s45, 22
	v_cmp_gt_u32_e64 s45, 0xc0, v26
	s_delay_alu instid0(VALU_DEP_1) | instskip(SKIP_1) | instid1(VALU_DEP_1)
	v_writelane_b32 v87, s45, 23
	v_cmp_gt_u32_e64 s45, 0xb0, v26
	;; [unrolled: 5-line block ×18, first 2 shown]
	v_writelane_b32 v86, s45, 24
	v_cmp_gt_u32_e64 s45, 64, v25
	s_delay_alu instid0(VALU_DEP_1)
	v_writelane_b32 v86, s45, 25
	s_branch .LBB101_3
.LBB101_2:                              ;   in Loop: Header=BB101_3 Depth=1
	s_wait_xcnt 0x0
	s_or_b32 exec_lo, exec_lo, s45
	v_readlane_b32 s45, v89, 0
	s_add_co_i32 s66, s66, 0x10000
	global_wb scope:SCOPE_DEV
	s_wait_storecnt 0x0
	global_inv scope:SCOPE_DEV
	s_cmp_lt_u32 s66, s45
	s_cbranch_scc0 .LBB101_1257
.LBB101_3:                              ; =>This Loop Header: Depth=1
                                        ;     Child Loop BB101_1110 Depth 2
                                        ;       Child Loop BB101_1112 Depth 3
                                        ;     Child Loop BB101_1147 Depth 2
	v_mov_b32_e32 v2, s66
	v_readlane_b32 s45, v89, 1
	s_clause 0x1
	global_load_b64 v[24:25], v2, s[76:77] scale_offset
	global_load_b64 v[26:27], v2, s[70:71] scale_offset
	global_load_b32 v2, v3, s[68:69]
	s_and_not1_b32 vcc_lo, exec_lo, s45
	s_wait_loadcnt 0x2
	v_add_nc_u64_e32 v[28:29], s[78:79], v[24:25]
	s_delay_alu instid0(VALU_DEP_1)
	v_lshl_add_u64 v[24:25], v[10:11], 2, v[28:29]
	s_cbranch_vccz .LBB101_6
; %bb.4:                                ;   in Loop: Header=BB101_3 Depth=1
	s_and_not1_b32 vcc_lo, exec_lo, s88
	s_mov_b32 s45, -1
	s_cbranch_vccz .LBB101_15
.LBB101_5:                              ;   in Loop: Header=BB101_3 Depth=1
	s_and_b32 vcc_lo, exec_lo, s45
	s_cbranch_vccnz .LBB101_25
	s_branch .LBB101_66
.LBB101_6:                              ;   in Loop: Header=BB101_3 Depth=1
	s_delay_alu instid0(VALU_DEP_1)
	v_lshl_add_u64 v[30:31], v[8:9], 2, v[24:25]
	v_dual_mov_b32 v79, 0 :: v_dual_mov_b32 v78, 0
	s_wait_loadcnt 0x0
	s_barrier_signal -1
	s_barrier_wait -1
	s_wait_xcnt 0x0
	s_mov_b32 s45, exec_lo
	v_readlane_b32 s46, v87, 4
	s_and_b32 s46, s45, s46
	s_delay_alu instid0(SALU_CYCLE_1)
	s_mov_b32 exec_lo, s46
	s_cbranch_execz .LBB101_8
; %bb.7:                                ;   in Loop: Header=BB101_3 Depth=1
	flat_load_b32 v78, v[30:31]
.LBB101_8:                              ;   in Loop: Header=BB101_3 Depth=1
	s_wait_xcnt 0x0
	s_or_b32 exec_lo, exec_lo, s45
	s_wait_loadcnt_dscnt 0x0
	s_barrier_signal -1
	s_barrier_wait -1
	s_mov_b32 s45, exec_lo
	v_readlane_b32 s46, v87, 5
	s_and_b32 s46, s45, s46
	s_delay_alu instid0(SALU_CYCLE_1)
	s_mov_b32 exec_lo, s46
	s_cbranch_execz .LBB101_10
; %bb.9:                                ;   in Loop: Header=BB101_3 Depth=1
	flat_load_b32 v79, v[30:31] offset:64
.LBB101_10:                             ;   in Loop: Header=BB101_3 Depth=1
	s_wait_xcnt 0x0
	s_or_b32 exec_lo, exec_lo, s45
	v_dual_mov_b32 v81, 0 :: v_dual_mov_b32 v80, 0
	s_wait_loadcnt_dscnt 0x0
	s_barrier_signal -1
	s_barrier_wait -1
	s_mov_b32 s45, exec_lo
	v_readlane_b32 s46, v87, 6
	s_and_b32 s46, s45, s46
	s_delay_alu instid0(SALU_CYCLE_1)
	s_mov_b32 exec_lo, s46
	s_cbranch_execz .LBB101_12
; %bb.11:                               ;   in Loop: Header=BB101_3 Depth=1
	flat_load_b32 v80, v[30:31] offset:128
.LBB101_12:                             ;   in Loop: Header=BB101_3 Depth=1
	s_wait_xcnt 0x0
	s_or_b32 exec_lo, exec_lo, s45
	s_wait_loadcnt_dscnt 0x0
	s_barrier_signal -1
	s_barrier_wait -1
	s_mov_b32 s45, exec_lo
	v_readlane_b32 s46, v87, 7
	s_and_b32 s46, s45, s46
	s_delay_alu instid0(SALU_CYCLE_1)
	s_mov_b32 exec_lo, s46
	s_cbranch_execz .LBB101_14
; %bb.13:                               ;   in Loop: Header=BB101_3 Depth=1
	flat_load_b32 v81, v[30:31] offset:192
.LBB101_14:                             ;   in Loop: Header=BB101_3 Depth=1
	s_wait_xcnt 0x0
	s_or_b32 exec_lo, exec_lo, s45
	s_delay_alu instid0(SALU_CYCLE_1)
	s_and_not1_b32 vcc_lo, exec_lo, s88
	s_mov_b32 s45, -1
	s_cbranch_vccnz .LBB101_5
.LBB101_15:                             ;   in Loop: Header=BB101_3 Depth=1
	s_wait_xcnt 0x0
	s_and_saveexec_b32 s45, s1
	s_delay_alu instid0(SALU_CYCLE_1)
	s_xor_b32 s65, exec_lo, s45
	s_cbranch_execnz .LBB101_1168
; %bb.16:                               ;   in Loop: Header=BB101_3 Depth=1
	s_and_not1_saveexec_b32 s45, s65
	s_cbranch_execnz .LBB101_1175
.LBB101_17:                             ;   in Loop: Header=BB101_3 Depth=1
	s_or_b32 exec_lo, exec_lo, s45
	s_and_saveexec_b32 s45, s8
	s_delay_alu instid0(SALU_CYCLE_1)
	s_xor_b32 s65, exec_lo, s45
	s_cbranch_execnz .LBB101_1176
.LBB101_18:                             ;   in Loop: Header=BB101_3 Depth=1
	s_and_not1_saveexec_b32 s45, s65
	s_cbranch_execnz .LBB101_1183
.LBB101_19:                             ;   in Loop: Header=BB101_3 Depth=1
	s_or_b32 exec_lo, exec_lo, s45
	s_and_saveexec_b32 s45, s9
	s_delay_alu instid0(SALU_CYCLE_1)
	s_xor_b32 s65, exec_lo, s45
	s_cbranch_execnz .LBB101_1184
.LBB101_20:                             ;   in Loop: Header=BB101_3 Depth=1
	s_and_not1_saveexec_b32 s45, s65
	s_cbranch_execnz .LBB101_1191
.LBB101_21:                             ;   in Loop: Header=BB101_3 Depth=1
	s_or_b32 exec_lo, exec_lo, s45
	s_and_saveexec_b32 s45, s10
	s_delay_alu instid0(SALU_CYCLE_1)
	s_xor_b32 s65, exec_lo, s45
	s_cbranch_execnz .LBB101_1192
.LBB101_22:                             ;   in Loop: Header=BB101_3 Depth=1
	s_and_not1_saveexec_b32 s45, s65
	s_cbranch_execz .LBB101_24
.LBB101_23:                             ;   in Loop: Header=BB101_3 Depth=1
	v_lshl_add_u64 v[30:31], v[18:19], 2, v[28:29]
	flat_load_b32 v30, v[30:31]
	s_wait_loadcnt_dscnt 0x0
	v_xor_b32_e32 v30, 0x80000000, v30
	ds_store_b32 v75, v30
.LBB101_24:                             ;   in Loop: Header=BB101_3 Depth=1
	s_or_b32 exec_lo, exec_lo, s45
	s_branch .LBB101_66
.LBB101_25:                             ;   in Loop: Header=BB101_3 Depth=1
	s_wait_xcnt 0x0
	s_mov_b32 s45, exec_lo
	v_readlane_b32 s46, v87, 8
	s_and_b32 s46, s45, s46
	s_delay_alu instid0(SALU_CYCLE_1)
	s_xor_b32 s65, s46, s45
	s_mov_b32 exec_lo, s46
	s_cbranch_execz .LBB101_33
; %bb.26:                               ;   in Loop: Header=BB101_3 Depth=1
	s_mov_b32 s45, exec_lo
	v_readlane_b32 s46, v87, 13
	s_and_b32 s46, s45, s46
	s_delay_alu instid0(SALU_CYCLE_1)
	s_xor_b32 s45, s46, s45
	s_mov_b32 exec_lo, s46
	s_cbranch_execz .LBB101_30
; %bb.27:                               ;   in Loop: Header=BB101_3 Depth=1
	s_mov_b32 s46, exec_lo
	v_readlane_b32 s82, v86, 22
	s_and_b32 s82, s46, s82
	s_delay_alu instid0(SALU_CYCLE_1)
	s_mov_b32 exec_lo, s82
; %bb.28:                               ;   in Loop: Header=BB101_3 Depth=1
	ds_store_b32 v76, v3
; %bb.29:                               ;   in Loop: Header=BB101_3 Depth=1
	s_or_b32 exec_lo, exec_lo, s46
.LBB101_30:                             ;   in Loop: Header=BB101_3 Depth=1
	s_and_not1_saveexec_b32 s45, s45
	s_cbranch_execz .LBB101_32
; %bb.31:                               ;   in Loop: Header=BB101_3 Depth=1
	v_lshl_add_u64 v[30:31], v[12:13], 2, v[28:29]
	flat_load_b32 v30, v[30:31]
	s_wait_loadcnt_dscnt 0x0
	v_div_scale_f32 v31, null, v30, v30, 1.0
	s_delay_alu instid0(VALU_DEP_1) | instskip(SKIP_1) | instid1(TRANS32_DEP_1)
	v_rcp_f32_e32 v82, v31
	v_nop
	v_fma_f32 v83, -v31, v82, 1.0
	s_delay_alu instid0(VALU_DEP_1) | instskip(SKIP_1) | instid1(VALU_DEP_1)
	v_fmac_f32_e32 v82, v83, v82
	v_div_scale_f32 v83, vcc_lo, 1.0, v30, 1.0
	v_mul_f32_e32 v84, v83, v82
	s_delay_alu instid0(VALU_DEP_1) | instskip(NEXT) | instid1(VALU_DEP_1)
	v_fma_f32 v85, -v31, v84, v83
	v_fmac_f32_e32 v84, v85, v82
	s_delay_alu instid0(VALU_DEP_1) | instskip(NEXT) | instid1(VALU_DEP_1)
	v_fma_f32 v31, -v31, v84, v83
	v_div_fmas_f32 v31, v31, v82, v84
	s_delay_alu instid0(VALU_DEP_1)
	v_div_fixup_f32 v30, v31, v30, 1.0
	ds_store_b32 v76, v30
.LBB101_32:                             ;   in Loop: Header=BB101_3 Depth=1
	s_or_b32 exec_lo, exec_lo, s45
.LBB101_33:                             ;   in Loop: Header=BB101_3 Depth=1
	s_and_not1_saveexec_b32 s45, s65
	s_cbranch_execz .LBB101_35
; %bb.34:                               ;   in Loop: Header=BB101_3 Depth=1
	v_lshl_add_u64 v[30:31], v[12:13], 2, v[28:29]
	flat_load_b32 v30, v[30:31]
	s_wait_loadcnt_dscnt 0x0
	v_xor_b32_e32 v30, 0x80000000, v30
	ds_store_b32 v76, v30
.LBB101_35:                             ;   in Loop: Header=BB101_3 Depth=1
	s_or_b32 exec_lo, exec_lo, s45
	s_delay_alu instid0(SALU_CYCLE_1) | instskip(SKIP_2) | instid1(SALU_CYCLE_1)
	s_mov_b32 s45, exec_lo
	v_readlane_b32 s46, v87, 9
	s_and_b32 s46, s45, s46
	s_xor_b32 s65, s46, s45
	s_mov_b32 exec_lo, s46
	s_cbranch_execz .LBB101_43
; %bb.36:                               ;   in Loop: Header=BB101_3 Depth=1
	s_mov_b32 s45, exec_lo
	v_readlane_b32 s46, v87, 15
	s_and_b32 s46, s45, s46
	s_delay_alu instid0(SALU_CYCLE_1)
	s_xor_b32 s45, s46, s45
	s_mov_b32 exec_lo, s46
	s_cbranch_execz .LBB101_40
; %bb.37:                               ;   in Loop: Header=BB101_3 Depth=1
	s_mov_b32 s46, exec_lo
	v_readlane_b32 s82, v86, 23
	s_and_b32 s82, s46, s82
	s_delay_alu instid0(SALU_CYCLE_1)
	s_mov_b32 exec_lo, s82
; %bb.38:                               ;   in Loop: Header=BB101_3 Depth=1
	ds_store_b32 v73, v3
; %bb.39:                               ;   in Loop: Header=BB101_3 Depth=1
	s_or_b32 exec_lo, exec_lo, s46
.LBB101_40:                             ;   in Loop: Header=BB101_3 Depth=1
	s_and_not1_saveexec_b32 s45, s45
	s_cbranch_execz .LBB101_42
; %bb.41:                               ;   in Loop: Header=BB101_3 Depth=1
	v_lshl_add_u64 v[30:31], v[14:15], 2, v[28:29]
	flat_load_b32 v30, v[30:31]
	s_wait_loadcnt_dscnt 0x0
	v_div_scale_f32 v31, null, v30, v30, 1.0
	s_delay_alu instid0(VALU_DEP_1) | instskip(SKIP_1) | instid1(TRANS32_DEP_1)
	v_rcp_f32_e32 v82, v31
	v_nop
	v_fma_f32 v83, -v31, v82, 1.0
	s_delay_alu instid0(VALU_DEP_1) | instskip(SKIP_1) | instid1(VALU_DEP_1)
	v_fmac_f32_e32 v82, v83, v82
	v_div_scale_f32 v83, vcc_lo, 1.0, v30, 1.0
	v_mul_f32_e32 v84, v83, v82
	s_delay_alu instid0(VALU_DEP_1) | instskip(NEXT) | instid1(VALU_DEP_1)
	v_fma_f32 v85, -v31, v84, v83
	v_fmac_f32_e32 v84, v85, v82
	s_delay_alu instid0(VALU_DEP_1) | instskip(NEXT) | instid1(VALU_DEP_1)
	v_fma_f32 v31, -v31, v84, v83
	v_div_fmas_f32 v31, v31, v82, v84
	s_delay_alu instid0(VALU_DEP_1)
	v_div_fixup_f32 v30, v31, v30, 1.0
	ds_store_b32 v73, v30
.LBB101_42:                             ;   in Loop: Header=BB101_3 Depth=1
	s_or_b32 exec_lo, exec_lo, s45
.LBB101_43:                             ;   in Loop: Header=BB101_3 Depth=1
	s_and_not1_saveexec_b32 s45, s65
	s_cbranch_execz .LBB101_45
; %bb.44:                               ;   in Loop: Header=BB101_3 Depth=1
	v_lshl_add_u64 v[30:31], v[14:15], 2, v[28:29]
	flat_load_b32 v30, v[30:31]
	s_wait_loadcnt_dscnt 0x0
	v_xor_b32_e32 v30, 0x80000000, v30
	ds_store_b32 v73, v30
.LBB101_45:                             ;   in Loop: Header=BB101_3 Depth=1
	s_or_b32 exec_lo, exec_lo, s45
	s_delay_alu instid0(SALU_CYCLE_1) | instskip(SKIP_2) | instid1(SALU_CYCLE_1)
	s_mov_b32 s45, exec_lo
	v_readlane_b32 s46, v87, 10
	s_and_b32 s46, s45, s46
	;; [unrolled: 63-line block ×3, first 2 shown]
	s_xor_b32 s65, s46, s45
	s_mov_b32 exec_lo, s46
	s_cbranch_execz .LBB101_63
; %bb.56:                               ;   in Loop: Header=BB101_3 Depth=1
	s_mov_b32 s45, exec_lo
	v_readlane_b32 s46, v87, 19
	s_and_b32 s46, s45, s46
	s_delay_alu instid0(SALU_CYCLE_1)
	s_xor_b32 s45, s46, s45
	s_mov_b32 exec_lo, s46
	s_cbranch_execz .LBB101_60
; %bb.57:                               ;   in Loop: Header=BB101_3 Depth=1
	s_mov_b32 s46, exec_lo
	v_readlane_b32 s82, v86, 25
	s_and_b32 s82, s46, s82
	s_delay_alu instid0(SALU_CYCLE_1)
	s_mov_b32 exec_lo, s82
; %bb.58:                               ;   in Loop: Header=BB101_3 Depth=1
	ds_store_b32 v75, v3
; %bb.59:                               ;   in Loop: Header=BB101_3 Depth=1
	s_or_b32 exec_lo, exec_lo, s46
                                        ; implicit-def: $vgpr28_vgpr29
.LBB101_60:                             ;   in Loop: Header=BB101_3 Depth=1
	s_and_not1_saveexec_b32 s45, s45
	s_cbranch_execz .LBB101_62
; %bb.61:                               ;   in Loop: Header=BB101_3 Depth=1
	v_lshl_add_u64 v[28:29], v[18:19], 2, v[28:29]
	flat_load_b32 v28, v[28:29]
	s_wait_loadcnt_dscnt 0x0
	v_div_scale_f32 v29, null, v28, v28, 1.0
	s_delay_alu instid0(VALU_DEP_1) | instskip(SKIP_1) | instid1(TRANS32_DEP_1)
	v_rcp_f32_e32 v30, v29
	v_nop
	v_fma_f32 v31, -v29, v30, 1.0
	s_delay_alu instid0(VALU_DEP_1) | instskip(SKIP_1) | instid1(VALU_DEP_1)
	v_fmac_f32_e32 v30, v31, v30
	v_div_scale_f32 v31, vcc_lo, 1.0, v28, 1.0
	v_mul_f32_e32 v82, v31, v30
	s_delay_alu instid0(VALU_DEP_1) | instskip(NEXT) | instid1(VALU_DEP_1)
	v_fma_f32 v83, -v29, v82, v31
	v_fmac_f32_e32 v82, v83, v30
	s_delay_alu instid0(VALU_DEP_1) | instskip(NEXT) | instid1(VALU_DEP_1)
	v_fma_f32 v29, -v29, v82, v31
	v_div_fmas_f32 v29, v29, v30, v82
	s_delay_alu instid0(VALU_DEP_1)
	v_div_fixup_f32 v28, v29, v28, 1.0
	ds_store_b32 v75, v28
.LBB101_62:                             ;   in Loop: Header=BB101_3 Depth=1
	s_or_b32 exec_lo, exec_lo, s45
                                        ; implicit-def: $vgpr28_vgpr29
.LBB101_63:                             ;   in Loop: Header=BB101_3 Depth=1
	s_and_not1_saveexec_b32 s45, s65
	s_cbranch_execz .LBB101_65
; %bb.64:                               ;   in Loop: Header=BB101_3 Depth=1
	v_lshl_add_u64 v[28:29], v[18:19], 2, v[28:29]
	flat_load_b32 v28, v[28:29]
	s_wait_loadcnt_dscnt 0x0
	v_xor_b32_e32 v28, 0x80000000, v28
	ds_store_b32 v75, v28
.LBB101_65:                             ;   in Loop: Header=BB101_3 Depth=1
	s_or_b32 exec_lo, exec_lo, s45
.LBB101_66:                             ;   in Loop: Header=BB101_3 Depth=1
	s_delay_alu instid0(SALU_CYCLE_1)
	s_and_not1_b32 vcc_lo, exec_lo, s89
	s_wait_loadcnt_dscnt 0x0
	s_barrier_signal -1
	s_barrier_wait -1
	s_cbranch_vccnz .LBB101_1104
; %bb.67:                               ;   in Loop: Header=BB101_3 Depth=1
	s_and_saveexec_b32 s45, s15
	s_cbranch_execz .LBB101_69
; %bb.68:                               ;   in Loop: Header=BB101_3 Depth=1
	ds_load_b64 v[28:29], v3 offset:16376
	ds_load_b32 v30, v3 offset:16120
	s_wait_dscnt 0x0
	v_mul_f32_e32 v29, v30, v29
	s_delay_alu instid0(VALU_DEP_1)
	v_mul_f32_e32 v28, v28, v29
	v_add_nc_u32_e64 v29, 0x3c00, 0
	ds_store_2addr_b32 v29, v28, v28 offset0:191 offset1:254
.LBB101_69:                             ;   in Loop: Header=BB101_3 Depth=1
	s_or_b32 exec_lo, exec_lo, s45
	v_mov_b32_e32 v28, 0
	s_wait_dscnt 0x0
	s_barrier_signal -1
	s_barrier_wait -1
	global_wb scope:SCOPE_DEV
	s_wait_storecnt 0x0
	global_inv scope:SCOPE_DEV
	s_and_saveexec_b32 s45, s2
	s_cbranch_execz .LBB101_73
; %bb.70:                               ;   in Loop: Header=BB101_3 Depth=1
	ds_load_b32 v28, v35 offset:16112
	ds_load_b32 v29, v34 offset:16376
	s_wait_dscnt 0x0
	v_fma_f32 v28, v28, v29, 0
	s_and_saveexec_b32 s46, s16
	s_cbranch_execz .LBB101_72
; %bb.71:                               ;   in Loop: Header=BB101_3 Depth=1
	ds_load_b32 v29, v36 offset:16368
	ds_load_b32 v30, v3 offset:16380
	s_wait_dscnt 0x0
	v_fmac_f32_e32 v28, v29, v30
.LBB101_72:                             ;   in Loop: Header=BB101_3 Depth=1
	s_or_b32 exec_lo, exec_lo, s46
.LBB101_73:                             ;   in Loop: Header=BB101_3 Depth=1
	s_delay_alu instid0(SALU_CYCLE_1)
	s_or_b32 exec_lo, exec_lo, s45
	s_and_saveexec_b32 s45, s90
	s_cbranch_execz .LBB101_75
; %bb.74:                               ;   in Loop: Header=BB101_3 Depth=1
	ds_load_b32 v29, v3 offset:15860
	s_wait_dscnt 0x0
	v_mul_f32_e32 v28, v28, v29
	s_delay_alu instid0(VALU_DEP_1)
	v_xor_b32_e32 v29, 0x80000000, v28
	ds_store_b32 v5, v29
.LBB101_75:                             ;   in Loop: Header=BB101_3 Depth=1
	s_or_b32 exec_lo, exec_lo, s45
	s_wait_loadcnt_dscnt 0x0
	s_barrier_signal -1
	s_barrier_wait -1
	s_and_saveexec_b32 s45, s91
	s_cbranch_execz .LBB101_77
; %bb.76:                               ;   in Loop: Header=BB101_3 Depth=1
	ds_load_b32 v29, v3 offset:15856
	ds_load_b32 v30, v5
	s_wait_dscnt 0x0
	v_fma_f32 v28, -v29, v30, v28
.LBB101_77:                             ;   in Loop: Header=BB101_3 Depth=1
	s_or_b32 exec_lo, exec_lo, s45
	s_barrier_signal -1
	s_barrier_wait -1
	s_and_saveexec_b32 s45, s91
	s_cbranch_execz .LBB101_79
; %bb.78:                               ;   in Loop: Header=BB101_3 Depth=1
	ds_load_b32 v29, v3 offset:15600
	s_wait_dscnt 0x0
	v_mul_f32_e32 v28, v28, v29
	s_delay_alu instid0(VALU_DEP_1)
	v_xor_b32_e32 v29, 0x80000000, v28
	ds_store_b32 v5, v29
.LBB101_79:                             ;   in Loop: Header=BB101_3 Depth=1
	s_or_b32 exec_lo, exec_lo, s45
	s_wait_dscnt 0x0
	s_barrier_signal -1
	s_barrier_wait -1
	s_barrier_signal -1
	s_barrier_wait -1
	s_and_saveexec_b32 s45, s2
; %bb.80:                               ;   in Loop: Header=BB101_3 Depth=1
	ds_store_b32 v37, v28 offset:16368
; %bb.81:                               ;   in Loop: Header=BB101_3 Depth=1
	s_or_b32 exec_lo, exec_lo, s45
	s_wait_dscnt 0x0
	s_barrier_signal -1
	s_barrier_wait -1
	s_barrier_signal -1
	s_barrier_wait -1
	s_and_saveexec_b32 s45, s92
	s_cbranch_execz .LBB101_83
; %bb.82:                               ;   in Loop: Header=BB101_3 Depth=1
	ds_load_b32 v28, v38 offset:16112
	s_wait_dscnt 0x0
	ds_store_b32 v36, v28 offset:15608
	ds_load_b32 v28, v38 offset:16116
	s_wait_dscnt 0x0
	ds_store_b32 v36, v28 offset:15864
.LBB101_83:                             ;   in Loop: Header=BB101_3 Depth=1
	s_or_b32 exec_lo, exec_lo, s45
	s_wait_dscnt 0x0
	s_barrier_signal -1
	s_barrier_wait -1
	s_and_saveexec_b32 s45, s15
	s_cbranch_execz .LBB101_85
; %bb.84:                               ;   in Loop: Header=BB101_3 Depth=1
	ds_load_b64 v[28:29], v3 offset:15856
	ds_load_b32 v30, v3 offset:15600
	s_wait_dscnt 0x0
	v_mul_f32_e32 v29, v30, v29
	s_delay_alu instid0(VALU_DEP_1)
	v_mul_f32_e32 v28, v28, v29
	v_add_nc_u32_e64 v29, 0x3c00, 0
	ds_store_2addr_b32 v29, v28, v28 offset0:61 offset1:124
.LBB101_85:                             ;   in Loop: Header=BB101_3 Depth=1
	s_or_b32 exec_lo, exec_lo, s45
	v_mov_b32_e32 v28, 0
	s_wait_dscnt 0x0
	s_barrier_signal -1
	s_barrier_wait -1
	global_wb scope:SCOPE_DEV
	s_wait_storecnt 0x0
	global_inv scope:SCOPE_DEV
	s_and_saveexec_b32 s65, s4
	s_cbranch_execz .LBB101_91
; %bb.86:                               ;   in Loop: Header=BB101_3 Depth=1
	ds_load_b32 v28, v41 offset:15584
	ds_load_b32 v29, v40 offset:16368
	s_wait_dscnt 0x0
	v_fma_f32 v28, v28, v29, 0
	s_and_saveexec_b32 s45, s17
	s_cbranch_execnz .LBB101_1207
; %bb.87:                               ;   in Loop: Header=BB101_3 Depth=1
	s_or_b32 exec_lo, exec_lo, s45
	s_and_saveexec_b32 s45, s18
	s_cbranch_execnz .LBB101_1208
.LBB101_88:                             ;   in Loop: Header=BB101_3 Depth=1
	s_or_b32 exec_lo, exec_lo, s45
	s_and_saveexec_b32 s45, s2
	s_cbranch_execz .LBB101_90
.LBB101_89:                             ;   in Loop: Header=BB101_3 Depth=1
	ds_load_b32 v29, v42 offset:16352
	ds_load_b32 v30, v3 offset:16380
	s_wait_dscnt 0x0
	v_fmac_f32_e32 v28, v29, v30
.LBB101_90:                             ;   in Loop: Header=BB101_3 Depth=1
	s_or_b32 exec_lo, exec_lo, s45
.LBB101_91:                             ;   in Loop: Header=BB101_3 Depth=1
	s_delay_alu instid0(SALU_CYCLE_1)
	s_or_b32 exec_lo, exec_lo, s65
	s_and_saveexec_b32 s45, s93
	s_cbranch_execz .LBB101_93
; %bb.92:                               ;   in Loop: Header=BB101_3 Depth=1
	ds_load_b32 v29, v3 offset:15340
	s_wait_dscnt 0x0
	v_mul_f32_e32 v28, v28, v29
	s_delay_alu instid0(VALU_DEP_1)
	v_xor_b32_e32 v29, 0x80000000, v28
	ds_store_b32 v39, v29
.LBB101_93:                             ;   in Loop: Header=BB101_3 Depth=1
	s_or_b32 exec_lo, exec_lo, s45
	s_wait_loadcnt_dscnt 0x0
	s_barrier_signal -1
	s_barrier_wait -1
	s_and_saveexec_b32 s45, s94
	s_cbranch_execz .LBB101_95
; %bb.94:                               ;   in Loop: Header=BB101_3 Depth=1
	ds_load_b32 v29, v41 offset:15328
	ds_load_b32 v30, v39
	s_wait_dscnt 0x0
	v_fma_f32 v28, -v29, v30, v28
.LBB101_95:                             ;   in Loop: Header=BB101_3 Depth=1
	s_or_b32 exec_lo, exec_lo, s45
	s_barrier_signal -1
	s_barrier_wait -1
	s_and_saveexec_b32 s45, s95
	s_cbranch_execz .LBB101_97
; %bb.96:                               ;   in Loop: Header=BB101_3 Depth=1
	ds_load_b32 v29, v3 offset:15080
	s_wait_dscnt 0x0
	v_mul_f32_e32 v28, v28, v29
	s_delay_alu instid0(VALU_DEP_1)
	v_xor_b32_e32 v29, 0x80000000, v28
	ds_store_b32 v39, v29
.LBB101_97:                             ;   in Loop: Header=BB101_3 Depth=1
	s_or_b32 exec_lo, exec_lo, s45
	s_wait_dscnt 0x0
	s_barrier_signal -1
	s_barrier_wait -1
	s_and_saveexec_b32 s45, s96
	s_cbranch_execz .LBB101_99
; %bb.98:                               ;   in Loop: Header=BB101_3 Depth=1
	ds_load_b32 v29, v41 offset:15072
	ds_load_b32 v30, v39
	s_wait_dscnt 0x0
	v_fma_f32 v28, -v29, v30, v28
.LBB101_99:                             ;   in Loop: Header=BB101_3 Depth=1
	s_or_b32 exec_lo, exec_lo, s45
	s_barrier_signal -1
	s_barrier_wait -1
	s_and_saveexec_b32 s45, s97
	s_cbranch_execz .LBB101_101
; %bb.100:                              ;   in Loop: Header=BB101_3 Depth=1
	ds_load_b32 v29, v3 offset:14820
	s_wait_dscnt 0x0
	v_mul_f32_e32 v28, v28, v29
	s_delay_alu instid0(VALU_DEP_1)
	v_xor_b32_e32 v29, 0x80000000, v28
	ds_store_b32 v39, v29
.LBB101_101:                            ;   in Loop: Header=BB101_3 Depth=1
	s_or_b32 exec_lo, exec_lo, s45
	s_wait_dscnt 0x0
	s_barrier_signal -1
	s_barrier_wait -1
	s_and_saveexec_b32 s45, s98
	s_cbranch_execz .LBB101_103
; %bb.102:                              ;   in Loop: Header=BB101_3 Depth=1
	ds_load_b32 v29, v3 offset:14816
	ds_load_b32 v30, v39
	s_wait_dscnt 0x0
	v_fma_f32 v28, -v29, v30, v28
.LBB101_103:                            ;   in Loop: Header=BB101_3 Depth=1
	s_or_b32 exec_lo, exec_lo, s45
	s_barrier_signal -1
	s_barrier_wait -1
	s_and_saveexec_b32 s45, s98
	s_cbranch_execz .LBB101_105
; %bb.104:                              ;   in Loop: Header=BB101_3 Depth=1
	ds_load_b32 v29, v3 offset:14560
	s_wait_dscnt 0x0
	v_mul_f32_e32 v28, v28, v29
	s_delay_alu instid0(VALU_DEP_1)
	v_xor_b32_e32 v29, 0x80000000, v28
	ds_store_b32 v39, v29
.LBB101_105:                            ;   in Loop: Header=BB101_3 Depth=1
	s_or_b32 exec_lo, exec_lo, s45
	s_wait_dscnt 0x0
	s_barrier_signal -1
	s_barrier_wait -1
	s_barrier_signal -1
	s_barrier_wait -1
	s_and_saveexec_b32 s45, s4
; %bb.106:                              ;   in Loop: Header=BB101_3 Depth=1
	ds_store_b32 v43, v28 offset:16352
; %bb.107:                              ;   in Loop: Header=BB101_3 Depth=1
	s_or_b32 exec_lo, exec_lo, s45
	s_wait_dscnt 0x0
	s_barrier_signal -1
	s_barrier_wait -1
	s_barrier_signal -1
	s_barrier_wait -1
	s_and_saveexec_b32 s45, s99
	s_cbranch_execz .LBB101_109
; %bb.108:                              ;   in Loop: Header=BB101_3 Depth=1
	ds_load_b32 v28, v7 offset:15584
	s_wait_dscnt 0x0
	ds_store_b32 v53, v28 offset:14576
	ds_load_b32 v28, v7 offset:15588
	s_wait_dscnt 0x0
	ds_store_b32 v53, v28 offset:14832
	;; [unrolled: 3-line block ×4, first 2 shown]
.LBB101_109:                            ;   in Loop: Header=BB101_3 Depth=1
	s_or_b32 exec_lo, exec_lo, s45
	s_wait_dscnt 0x0
	s_barrier_signal -1
	s_barrier_wait -1
	s_and_saveexec_b32 s45, s15
	s_cbranch_execz .LBB101_111
; %bb.110:                              ;   in Loop: Header=BB101_3 Depth=1
	ds_load_b64 v[28:29], v3 offset:15336
	ds_load_b32 v30, v3 offset:15080
	s_wait_dscnt 0x0
	v_mul_f32_e32 v29, v30, v29
	s_delay_alu instid0(VALU_DEP_1)
	v_mul_f32_e32 v28, v28, v29
	v_add_nc_u32_e64 v29, 0x3800, 0
	ds_store_2addr_b32 v29, v28, v28 offset0:187 offset1:250
.LBB101_111:                            ;   in Loop: Header=BB101_3 Depth=1
	s_or_b32 exec_lo, exec_lo, s45
	v_mov_b32_e32 v28, 0
	s_wait_dscnt 0x0
	s_barrier_signal -1
	s_barrier_wait -1
	global_wb scope:SCOPE_DEV
	s_wait_storecnt 0x0
	global_inv scope:SCOPE_DEV
	s_and_saveexec_b32 s45, s2
	s_cbranch_execz .LBB101_115
; %bb.112:                              ;   in Loop: Header=BB101_3 Depth=1
	ds_load_b32 v28, v35 offset:15072
	ds_load_b32 v29, v34 offset:15336
	s_wait_dscnt 0x0
	v_fma_f32 v28, v28, v29, 0
	s_and_saveexec_b32 s46, s16
	s_cbranch_execz .LBB101_114
; %bb.113:                              ;   in Loop: Header=BB101_3 Depth=1
	ds_load_b32 v29, v53 offset:15328
	ds_load_b32 v30, v3 offset:15340
	s_wait_dscnt 0x0
	v_fmac_f32_e32 v28, v29, v30
.LBB101_114:                            ;   in Loop: Header=BB101_3 Depth=1
	s_or_b32 exec_lo, exec_lo, s46
.LBB101_115:                            ;   in Loop: Header=BB101_3 Depth=1
	s_delay_alu instid0(SALU_CYCLE_1)
	s_or_b32 exec_lo, exec_lo, s45
	s_and_saveexec_b32 s45, s90
	s_cbranch_execz .LBB101_117
; %bb.116:                              ;   in Loop: Header=BB101_3 Depth=1
	ds_load_b32 v29, v3 offset:14820
	s_wait_dscnt 0x0
	v_mul_f32_e32 v28, v28, v29
	s_delay_alu instid0(VALU_DEP_1)
	v_xor_b32_e32 v29, 0x80000000, v28
	ds_store_b32 v5, v29
.LBB101_117:                            ;   in Loop: Header=BB101_3 Depth=1
	s_or_b32 exec_lo, exec_lo, s45
	s_wait_loadcnt_dscnt 0x0
	s_barrier_signal -1
	s_barrier_wait -1
	s_and_saveexec_b32 s45, s91
	s_cbranch_execz .LBB101_119
; %bb.118:                              ;   in Loop: Header=BB101_3 Depth=1
	ds_load_b32 v29, v3 offset:14816
	ds_load_b32 v30, v5
	s_wait_dscnt 0x0
	v_fma_f32 v28, -v29, v30, v28
.LBB101_119:                            ;   in Loop: Header=BB101_3 Depth=1
	s_or_b32 exec_lo, exec_lo, s45
	s_barrier_signal -1
	s_barrier_wait -1
	s_and_saveexec_b32 s45, s91
	s_cbranch_execz .LBB101_121
; %bb.120:                              ;   in Loop: Header=BB101_3 Depth=1
	ds_load_b32 v29, v3 offset:14560
	s_wait_dscnt 0x0
	v_mul_f32_e32 v28, v28, v29
	s_delay_alu instid0(VALU_DEP_1)
	v_xor_b32_e32 v29, 0x80000000, v28
	ds_store_b32 v5, v29
.LBB101_121:                            ;   in Loop: Header=BB101_3 Depth=1
	s_or_b32 exec_lo, exec_lo, s45
	s_wait_dscnt 0x0
	s_barrier_signal -1
	s_barrier_wait -1
	s_barrier_signal -1
	s_barrier_wait -1
	s_and_saveexec_b32 s45, s2
; %bb.122:                              ;   in Loop: Header=BB101_3 Depth=1
	ds_store_b32 v37, v28 offset:15328
; %bb.123:                              ;   in Loop: Header=BB101_3 Depth=1
	s_or_b32 exec_lo, exec_lo, s45
	s_wait_dscnt 0x0
	s_barrier_signal -1
	s_barrier_wait -1
	s_barrier_signal -1
	s_barrier_wait -1
	s_and_saveexec_b32 s45, s92
	s_cbranch_execz .LBB101_125
; %bb.124:                              ;   in Loop: Header=BB101_3 Depth=1
	ds_load_b32 v28, v54 offset:15072
	s_wait_dscnt 0x0
	ds_store_b32 v53, v28 offset:14568
	ds_load_b32 v28, v54 offset:15076
	s_wait_dscnt 0x0
	ds_store_b32 v53, v28 offset:14824
.LBB101_125:                            ;   in Loop: Header=BB101_3 Depth=1
	s_or_b32 exec_lo, exec_lo, s45
	s_wait_dscnt 0x0
	s_barrier_signal -1
	s_barrier_wait -1
	s_and_saveexec_b32 s45, s15
	s_cbranch_execz .LBB101_127
; %bb.126:                              ;   in Loop: Header=BB101_3 Depth=1
	ds_load_b64 v[28:29], v3 offset:14816
	ds_load_b32 v30, v3 offset:14560
	s_wait_dscnt 0x0
	v_mul_f32_e32 v29, v30, v29
	s_delay_alu instid0(VALU_DEP_1)
	v_mul_f32_e32 v28, v28, v29
	v_add_nc_u32_e64 v29, 0x3800, 0
	ds_store_2addr_b32 v29, v28, v28 offset0:57 offset1:120
.LBB101_127:                            ;   in Loop: Header=BB101_3 Depth=1
	s_or_b32 exec_lo, exec_lo, s45
	v_mov_b32_e32 v28, 0
	s_wait_dscnt 0x0
	s_barrier_signal -1
	s_barrier_wait -1
	global_wb scope:SCOPE_DEV
	s_wait_storecnt 0x0
	global_inv scope:SCOPE_DEV
	s_and_saveexec_b32 s65, s5
	s_cbranch_execz .LBB101_137
; %bb.128:                              ;   in Loop: Header=BB101_3 Depth=1
	ds_load_b32 v28, v46 offset:14528
	ds_load_b32 v29, v45 offset:16352
	s_wait_dscnt 0x0
	v_fma_f32 v28, v28, v29, 0
	s_and_saveexec_b32 s45, s19
	s_cbranch_execnz .LBB101_1209
; %bb.129:                              ;   in Loop: Header=BB101_3 Depth=1
	s_or_b32 exec_lo, exec_lo, s45
	s_and_saveexec_b32 s45, s20
	s_cbranch_execnz .LBB101_1210
.LBB101_130:                            ;   in Loop: Header=BB101_3 Depth=1
	s_or_b32 exec_lo, exec_lo, s45
	s_and_saveexec_b32 s45, s21
	s_cbranch_execnz .LBB101_1211
.LBB101_131:                            ;   in Loop: Header=BB101_3 Depth=1
	s_or_b32 exec_lo, exec_lo, s45
	s_and_saveexec_b32 s45, s22
	s_cbranch_execnz .LBB101_1212
.LBB101_132:                            ;   in Loop: Header=BB101_3 Depth=1
	s_or_b32 exec_lo, exec_lo, s45
	s_and_saveexec_b32 s45, s23
	s_cbranch_execnz .LBB101_1213
.LBB101_133:                            ;   in Loop: Header=BB101_3 Depth=1
	s_or_b32 exec_lo, exec_lo, s45
	s_and_saveexec_b32 s45, s4
	s_cbranch_execnz .LBB101_1214
.LBB101_134:                            ;   in Loop: Header=BB101_3 Depth=1
	s_or_b32 exec_lo, exec_lo, s45
	s_and_saveexec_b32 s45, s18
	s_cbranch_execz .LBB101_136
.LBB101_135:                            ;   in Loop: Header=BB101_3 Depth=1
	ds_load_b32 v29, v55 offset:16320
	ds_load_b32 v30, v3 offset:16380
	s_wait_dscnt 0x0
	v_fmac_f32_e32 v28, v29, v30
.LBB101_136:                            ;   in Loop: Header=BB101_3 Depth=1
	s_or_b32 exec_lo, exec_lo, s45
.LBB101_137:                            ;   in Loop: Header=BB101_3 Depth=1
	s_delay_alu instid0(SALU_CYCLE_1)
	s_or_b32 exec_lo, exec_lo, s65
	s_and_saveexec_b32 s45, s100
	s_cbranch_execz .LBB101_139
; %bb.138:                              ;   in Loop: Header=BB101_3 Depth=1
	ds_load_b32 v29, v3 offset:14300
	s_wait_dscnt 0x0
	v_mul_f32_e32 v28, v28, v29
	s_delay_alu instid0(VALU_DEP_1)
	v_xor_b32_e32 v29, 0x80000000, v28
	ds_store_b32 v44, v29
.LBB101_139:                            ;   in Loop: Header=BB101_3 Depth=1
	s_or_b32 exec_lo, exec_lo, s45
	s_wait_loadcnt_dscnt 0x0
	s_barrier_signal -1
	s_barrier_wait -1
	s_and_saveexec_b32 s45, s101
	s_cbranch_execz .LBB101_141
; %bb.140:                              ;   in Loop: Header=BB101_3 Depth=1
	ds_load_b32 v29, v46 offset:14272
	ds_load_b32 v30, v44
	s_wait_dscnt 0x0
	v_fma_f32 v28, -v29, v30, v28
.LBB101_141:                            ;   in Loop: Header=BB101_3 Depth=1
	s_or_b32 exec_lo, exec_lo, s45
	s_barrier_signal -1
	s_barrier_wait -1
	s_and_saveexec_b32 s45, s102
	s_cbranch_execz .LBB101_143
; %bb.142:                              ;   in Loop: Header=BB101_3 Depth=1
	ds_load_b32 v29, v3 offset:14040
	s_wait_dscnt 0x0
	v_mul_f32_e32 v28, v28, v29
	s_delay_alu instid0(VALU_DEP_1)
	v_xor_b32_e32 v29, 0x80000000, v28
	ds_store_b32 v44, v29
.LBB101_143:                            ;   in Loop: Header=BB101_3 Depth=1
	s_or_b32 exec_lo, exec_lo, s45
	s_wait_dscnt 0x0
	s_barrier_signal -1
	s_barrier_wait -1
	s_and_saveexec_b32 s45, s103
	s_cbranch_execz .LBB101_145
; %bb.144:                              ;   in Loop: Header=BB101_3 Depth=1
	ds_load_b32 v29, v46 offset:14016
	ds_load_b32 v30, v44
	s_wait_dscnt 0x0
	v_fma_f32 v28, -v29, v30, v28
.LBB101_145:                            ;   in Loop: Header=BB101_3 Depth=1
	s_or_b32 exec_lo, exec_lo, s45
	s_barrier_signal -1
	s_barrier_wait -1
	s_and_saveexec_b32 s45, s104
	s_cbranch_execz .LBB101_147
; %bb.146:                              ;   in Loop: Header=BB101_3 Depth=1
	ds_load_b32 v29, v3 offset:13780
	s_wait_dscnt 0x0
	v_mul_f32_e32 v28, v28, v29
	s_delay_alu instid0(VALU_DEP_1)
	v_xor_b32_e32 v29, 0x80000000, v28
	ds_store_b32 v44, v29
.LBB101_147:                            ;   in Loop: Header=BB101_3 Depth=1
	s_or_b32 exec_lo, exec_lo, s45
	s_wait_dscnt 0x0
	s_barrier_signal -1
	s_barrier_wait -1
	s_and_saveexec_b32 s45, vcc_hi
	s_cbranch_execz .LBB101_149
; %bb.148:                              ;   in Loop: Header=BB101_3 Depth=1
	ds_load_b32 v29, v46 offset:13760
	ds_load_b32 v30, v44
	s_wait_dscnt 0x0
	v_fma_f32 v28, -v29, v30, v28
.LBB101_149:                            ;   in Loop: Header=BB101_3 Depth=1
	s_or_b32 exec_lo, exec_lo, s45
	s_barrier_signal -1
	s_barrier_wait -1
	s_and_saveexec_b32 s45, s36
	s_cbranch_execz .LBB101_151
; %bb.150:                              ;   in Loop: Header=BB101_3 Depth=1
	ds_load_b32 v29, v3 offset:13520
	s_wait_dscnt 0x0
	v_mul_f32_e32 v28, v28, v29
	s_delay_alu instid0(VALU_DEP_1)
	v_xor_b32_e32 v29, 0x80000000, v28
	ds_store_b32 v44, v29
.LBB101_151:                            ;   in Loop: Header=BB101_3 Depth=1
	s_or_b32 exec_lo, exec_lo, s45
	s_wait_dscnt 0x0
	s_barrier_signal -1
	s_barrier_wait -1
	s_and_saveexec_b32 s45, s37
	s_cbranch_execz .LBB101_153
; %bb.152:                              ;   in Loop: Header=BB101_3 Depth=1
	ds_load_b32 v29, v46 offset:13504
	ds_load_b32 v30, v44
	s_wait_dscnt 0x0
	v_fma_f32 v28, -v29, v30, v28
.LBB101_153:                            ;   in Loop: Header=BB101_3 Depth=1
	s_or_b32 exec_lo, exec_lo, s45
	s_barrier_signal -1
	s_barrier_wait -1
	s_and_saveexec_b32 s45, s38
	s_cbranch_execz .LBB101_155
; %bb.154:                              ;   in Loop: Header=BB101_3 Depth=1
	ds_load_b32 v29, v3 offset:13260
	s_wait_dscnt 0x0
	v_mul_f32_e32 v28, v28, v29
	s_delay_alu instid0(VALU_DEP_1)
	v_xor_b32_e32 v29, 0x80000000, v28
	ds_store_b32 v44, v29
.LBB101_155:                            ;   in Loop: Header=BB101_3 Depth=1
	s_or_b32 exec_lo, exec_lo, s45
	s_wait_dscnt 0x0
	s_barrier_signal -1
	s_barrier_wait -1
	s_and_saveexec_b32 s45, s39
	;; [unrolled: 25-line block ×4, first 2 shown]
	s_cbranch_execz .LBB101_165
; %bb.164:                              ;   in Loop: Header=BB101_3 Depth=1
	ds_load_b32 v29, v3 offset:12736
	ds_load_b32 v30, v44
	s_wait_dscnt 0x0
	v_fma_f32 v28, -v29, v30, v28
.LBB101_165:                            ;   in Loop: Header=BB101_3 Depth=1
	s_or_b32 exec_lo, exec_lo, s45
	s_barrier_signal -1
	s_barrier_wait -1
	s_and_saveexec_b32 s45, s43
	s_cbranch_execz .LBB101_167
; %bb.166:                              ;   in Loop: Header=BB101_3 Depth=1
	ds_load_b32 v29, v3 offset:12480
	s_wait_dscnt 0x0
	v_mul_f32_e32 v28, v28, v29
	s_delay_alu instid0(VALU_DEP_1)
	v_xor_b32_e32 v29, 0x80000000, v28
	ds_store_b32 v44, v29
.LBB101_167:                            ;   in Loop: Header=BB101_3 Depth=1
	s_or_b32 exec_lo, exec_lo, s45
	s_wait_dscnt 0x0
	s_barrier_signal -1
	s_barrier_wait -1
	s_barrier_signal -1
	s_barrier_wait -1
	s_and_saveexec_b32 s45, s5
; %bb.168:                              ;   in Loop: Header=BB101_3 Depth=1
	ds_store_b32 v47, v28 offset:16320
; %bb.169:                              ;   in Loop: Header=BB101_3 Depth=1
	s_or_b32 exec_lo, exec_lo, s45
	s_wait_dscnt 0x0
	s_barrier_signal -1
	s_barrier_wait -1
	s_barrier_signal -1
	s_barrier_wait -1
	s_and_saveexec_b32 s45, s44
	s_cbranch_execz .LBB101_171
; %bb.170:                              ;   in Loop: Header=BB101_3 Depth=1
	ds_load_b32 v28, v56 offset:14528
	s_wait_dscnt 0x0
	ds_store_b32 v57, v28 offset:12512
	ds_load_b32 v28, v56 offset:14532
	s_wait_dscnt 0x0
	ds_store_b32 v57, v28 offset:12768
	ds_load_b32 v28, v56 offset:14536
	s_wait_dscnt 0x0
	ds_store_b32 v57, v28 offset:13024
	ds_load_b32 v28, v56 offset:14540
	s_wait_dscnt 0x0
	ds_store_b32 v57, v28 offset:13280
	ds_load_b32 v28, v56 offset:14544
	s_wait_dscnt 0x0
	ds_store_b32 v57, v28 offset:13536
	ds_load_b32 v28, v56 offset:14548
	s_wait_dscnt 0x0
	ds_store_b32 v57, v28 offset:13792
	ds_load_b32 v28, v56 offset:14552
	s_wait_dscnt 0x0
	ds_store_b32 v57, v28 offset:14048
	ds_load_b32 v28, v56 offset:14556
	s_wait_dscnt 0x0
	ds_store_b32 v57, v28 offset:14304
.LBB101_171:                            ;   in Loop: Header=BB101_3 Depth=1
	s_or_b32 exec_lo, exec_lo, s45
	s_wait_dscnt 0x0
	s_barrier_signal -1
	s_barrier_wait -1
	s_and_saveexec_b32 s45, s15
	s_cbranch_execz .LBB101_173
; %bb.172:                              ;   in Loop: Header=BB101_3 Depth=1
	ds_load_b64 v[28:29], v3 offset:14296
	ds_load_b32 v30, v3 offset:14040
	s_wait_dscnt 0x0
	v_mul_f32_e32 v29, v30, v29
	s_delay_alu instid0(VALU_DEP_1)
	v_mul_f32_e32 v28, v28, v29
	v_add_nc_u32_e64 v29, 0x3400, 0
	ds_store_2addr_b32 v29, v28, v28 offset0:183 offset1:246
.LBB101_173:                            ;   in Loop: Header=BB101_3 Depth=1
	s_or_b32 exec_lo, exec_lo, s45
	v_mov_b32_e32 v28, 0
	s_wait_dscnt 0x0
	s_barrier_signal -1
	s_barrier_wait -1
	global_wb scope:SCOPE_DEV
	s_wait_storecnt 0x0
	global_inv scope:SCOPE_DEV
	s_and_saveexec_b32 s45, s2
	s_cbranch_execz .LBB101_177
; %bb.174:                              ;   in Loop: Header=BB101_3 Depth=1
	ds_load_b32 v28, v35 offset:14032
	ds_load_b32 v29, v34 offset:14296
	s_wait_dscnt 0x0
	v_fma_f32 v28, v28, v29, 0
	s_and_saveexec_b32 s46, s16
	s_cbranch_execz .LBB101_176
; %bb.175:                              ;   in Loop: Header=BB101_3 Depth=1
	ds_load_b32 v29, v57 offset:14288
	ds_load_b32 v30, v3 offset:14300
	s_wait_dscnt 0x0
	v_fmac_f32_e32 v28, v29, v30
.LBB101_176:                            ;   in Loop: Header=BB101_3 Depth=1
	s_or_b32 exec_lo, exec_lo, s46
.LBB101_177:                            ;   in Loop: Header=BB101_3 Depth=1
	s_delay_alu instid0(SALU_CYCLE_1)
	s_or_b32 exec_lo, exec_lo, s45
	s_and_saveexec_b32 s45, s90
	s_cbranch_execz .LBB101_179
; %bb.178:                              ;   in Loop: Header=BB101_3 Depth=1
	ds_load_b32 v29, v3 offset:13780
	s_wait_dscnt 0x0
	v_mul_f32_e32 v28, v28, v29
	s_delay_alu instid0(VALU_DEP_1)
	v_xor_b32_e32 v29, 0x80000000, v28
	ds_store_b32 v5, v29
.LBB101_179:                            ;   in Loop: Header=BB101_3 Depth=1
	s_or_b32 exec_lo, exec_lo, s45
	s_wait_loadcnt_dscnt 0x0
	s_barrier_signal -1
	s_barrier_wait -1
	s_and_saveexec_b32 s45, s91
	s_cbranch_execz .LBB101_181
; %bb.180:                              ;   in Loop: Header=BB101_3 Depth=1
	ds_load_b32 v29, v3 offset:13776
	ds_load_b32 v30, v5
	s_wait_dscnt 0x0
	v_fma_f32 v28, -v29, v30, v28
.LBB101_181:                            ;   in Loop: Header=BB101_3 Depth=1
	s_or_b32 exec_lo, exec_lo, s45
	s_barrier_signal -1
	s_barrier_wait -1
	s_and_saveexec_b32 s45, s91
	s_cbranch_execz .LBB101_183
; %bb.182:                              ;   in Loop: Header=BB101_3 Depth=1
	ds_load_b32 v29, v3 offset:13520
	s_wait_dscnt 0x0
	v_mul_f32_e32 v28, v28, v29
	s_delay_alu instid0(VALU_DEP_1)
	v_xor_b32_e32 v29, 0x80000000, v28
	ds_store_b32 v5, v29
.LBB101_183:                            ;   in Loop: Header=BB101_3 Depth=1
	s_or_b32 exec_lo, exec_lo, s45
	s_wait_dscnt 0x0
	s_barrier_signal -1
	s_barrier_wait -1
	s_barrier_signal -1
	s_barrier_wait -1
	s_and_saveexec_b32 s45, s2
; %bb.184:                              ;   in Loop: Header=BB101_3 Depth=1
	ds_store_b32 v37, v28 offset:14288
; %bb.185:                              ;   in Loop: Header=BB101_3 Depth=1
	s_or_b32 exec_lo, exec_lo, s45
	s_wait_dscnt 0x0
	s_barrier_signal -1
	s_barrier_wait -1
	s_barrier_signal -1
	s_barrier_wait -1
	s_and_saveexec_b32 s45, s92
	s_cbranch_execz .LBB101_187
; %bb.186:                              ;   in Loop: Header=BB101_3 Depth=1
	ds_load_b32 v28, v58 offset:14032
	s_wait_dscnt 0x0
	ds_store_b32 v57, v28 offset:13528
	ds_load_b32 v28, v58 offset:14036
	s_wait_dscnt 0x0
	ds_store_b32 v57, v28 offset:13784
.LBB101_187:                            ;   in Loop: Header=BB101_3 Depth=1
	s_or_b32 exec_lo, exec_lo, s45
	s_wait_dscnt 0x0
	s_barrier_signal -1
	s_barrier_wait -1
	s_and_saveexec_b32 s45, s15
	s_cbranch_execz .LBB101_189
; %bb.188:                              ;   in Loop: Header=BB101_3 Depth=1
	ds_load_b64 v[28:29], v3 offset:13776
	ds_load_b32 v30, v3 offset:13520
	s_wait_dscnt 0x0
	v_mul_f32_e32 v29, v30, v29
	s_delay_alu instid0(VALU_DEP_1)
	v_mul_f32_e32 v28, v28, v29
	v_add_nc_u32_e64 v29, 0x3400, 0
	ds_store_2addr_b32 v29, v28, v28 offset0:53 offset1:116
.LBB101_189:                            ;   in Loop: Header=BB101_3 Depth=1
	s_or_b32 exec_lo, exec_lo, s45
	v_mov_b32_e32 v28, 0
	s_wait_dscnt 0x0
	s_barrier_signal -1
	s_barrier_wait -1
	global_wb scope:SCOPE_DEV
	s_wait_storecnt 0x0
	global_inv scope:SCOPE_DEV
	s_and_saveexec_b32 s65, s4
	s_cbranch_execz .LBB101_195
; %bb.190:                              ;   in Loop: Header=BB101_3 Depth=1
	ds_load_b32 v28, v41 offset:13504
	ds_load_b32 v29, v40 offset:14288
	s_wait_dscnt 0x0
	v_fma_f32 v28, v28, v29, 0
	s_and_saveexec_b32 s45, s17
	s_cbranch_execnz .LBB101_1215
; %bb.191:                              ;   in Loop: Header=BB101_3 Depth=1
	s_or_b32 exec_lo, exec_lo, s45
	s_and_saveexec_b32 s45, s18
	s_cbranch_execnz .LBB101_1216
.LBB101_192:                            ;   in Loop: Header=BB101_3 Depth=1
	s_or_b32 exec_lo, exec_lo, s45
	s_and_saveexec_b32 s45, s2
	s_cbranch_execz .LBB101_194
.LBB101_193:                            ;   in Loop: Header=BB101_3 Depth=1
	ds_load_b32 v29, v59 offset:14272
	ds_load_b32 v30, v3 offset:14300
	s_wait_dscnt 0x0
	v_fmac_f32_e32 v28, v29, v30
.LBB101_194:                            ;   in Loop: Header=BB101_3 Depth=1
	s_or_b32 exec_lo, exec_lo, s45
.LBB101_195:                            ;   in Loop: Header=BB101_3 Depth=1
	s_delay_alu instid0(SALU_CYCLE_1)
	s_or_b32 exec_lo, exec_lo, s65
	s_and_saveexec_b32 s45, s93
	s_cbranch_execz .LBB101_197
; %bb.196:                              ;   in Loop: Header=BB101_3 Depth=1
	ds_load_b32 v29, v3 offset:13260
	s_wait_dscnt 0x0
	v_mul_f32_e32 v28, v28, v29
	s_delay_alu instid0(VALU_DEP_1)
	v_xor_b32_e32 v29, 0x80000000, v28
	ds_store_b32 v39, v29
.LBB101_197:                            ;   in Loop: Header=BB101_3 Depth=1
	s_or_b32 exec_lo, exec_lo, s45
	s_wait_loadcnt_dscnt 0x0
	s_barrier_signal -1
	s_barrier_wait -1
	s_and_saveexec_b32 s45, s94
	s_cbranch_execz .LBB101_199
; %bb.198:                              ;   in Loop: Header=BB101_3 Depth=1
	ds_load_b32 v29, v41 offset:13248
	ds_load_b32 v30, v39
	s_wait_dscnt 0x0
	v_fma_f32 v28, -v29, v30, v28
.LBB101_199:                            ;   in Loop: Header=BB101_3 Depth=1
	s_or_b32 exec_lo, exec_lo, s45
	s_barrier_signal -1
	s_barrier_wait -1
	s_and_saveexec_b32 s45, s95
	s_cbranch_execz .LBB101_201
; %bb.200:                              ;   in Loop: Header=BB101_3 Depth=1
	ds_load_b32 v29, v3 offset:13000
	s_wait_dscnt 0x0
	v_mul_f32_e32 v28, v28, v29
	s_delay_alu instid0(VALU_DEP_1)
	v_xor_b32_e32 v29, 0x80000000, v28
	ds_store_b32 v39, v29
.LBB101_201:                            ;   in Loop: Header=BB101_3 Depth=1
	s_or_b32 exec_lo, exec_lo, s45
	s_wait_dscnt 0x0
	s_barrier_signal -1
	s_barrier_wait -1
	s_and_saveexec_b32 s45, s96
	s_cbranch_execz .LBB101_203
; %bb.202:                              ;   in Loop: Header=BB101_3 Depth=1
	ds_load_b32 v29, v41 offset:12992
	ds_load_b32 v30, v39
	s_wait_dscnt 0x0
	v_fma_f32 v28, -v29, v30, v28
.LBB101_203:                            ;   in Loop: Header=BB101_3 Depth=1
	s_or_b32 exec_lo, exec_lo, s45
	s_barrier_signal -1
	s_barrier_wait -1
	s_and_saveexec_b32 s45, s97
	s_cbranch_execz .LBB101_205
; %bb.204:                              ;   in Loop: Header=BB101_3 Depth=1
	ds_load_b32 v29, v3 offset:12740
	s_wait_dscnt 0x0
	v_mul_f32_e32 v28, v28, v29
	s_delay_alu instid0(VALU_DEP_1)
	v_xor_b32_e32 v29, 0x80000000, v28
	ds_store_b32 v39, v29
.LBB101_205:                            ;   in Loop: Header=BB101_3 Depth=1
	s_or_b32 exec_lo, exec_lo, s45
	s_wait_dscnt 0x0
	;; [unrolled: 25-line block ×3, first 2 shown]
	s_barrier_signal -1
	s_barrier_wait -1
	s_barrier_signal -1
	s_barrier_wait -1
	s_and_saveexec_b32 s45, s4
; %bb.210:                              ;   in Loop: Header=BB101_3 Depth=1
	ds_store_b32 v43, v28 offset:14272
; %bb.211:                              ;   in Loop: Header=BB101_3 Depth=1
	s_or_b32 exec_lo, exec_lo, s45
	s_wait_dscnt 0x0
	s_barrier_signal -1
	s_barrier_wait -1
	s_barrier_signal -1
	s_barrier_wait -1
	s_and_saveexec_b32 s45, s99
	s_cbranch_execz .LBB101_213
; %bb.212:                              ;   in Loop: Header=BB101_3 Depth=1
	ds_load_b32 v28, v60 offset:13504
	s_wait_dscnt 0x0
	ds_store_b32 v61, v28 offset:12496
	ds_load_b32 v28, v60 offset:13508
	s_wait_dscnt 0x0
	ds_store_b32 v61, v28 offset:12752
	;; [unrolled: 3-line block ×4, first 2 shown]
.LBB101_213:                            ;   in Loop: Header=BB101_3 Depth=1
	s_or_b32 exec_lo, exec_lo, s45
	s_wait_dscnt 0x0
	s_barrier_signal -1
	s_barrier_wait -1
	s_and_saveexec_b32 s45, s15
	s_cbranch_execz .LBB101_215
; %bb.214:                              ;   in Loop: Header=BB101_3 Depth=1
	ds_load_b64 v[28:29], v3 offset:13256
	ds_load_b32 v30, v3 offset:13000
	s_wait_dscnt 0x0
	v_mul_f32_e32 v29, v30, v29
	s_delay_alu instid0(VALU_DEP_1)
	v_mul_f32_e32 v28, v28, v29
	v_add_nc_u32_e64 v29, 0x3000, 0
	ds_store_2addr_b32 v29, v28, v28 offset0:179 offset1:242
.LBB101_215:                            ;   in Loop: Header=BB101_3 Depth=1
	s_or_b32 exec_lo, exec_lo, s45
	v_mov_b32_e32 v28, 0
	s_wait_dscnt 0x0
	s_barrier_signal -1
	s_barrier_wait -1
	global_wb scope:SCOPE_DEV
	s_wait_storecnt 0x0
	global_inv scope:SCOPE_DEV
	s_and_saveexec_b32 s45, s2
	s_cbranch_execz .LBB101_219
; %bb.216:                              ;   in Loop: Header=BB101_3 Depth=1
	ds_load_b32 v28, v35 offset:12992
	ds_load_b32 v29, v34 offset:13256
	s_wait_dscnt 0x0
	v_fma_f32 v28, v28, v29, 0
	s_and_saveexec_b32 s46, s16
	s_cbranch_execz .LBB101_218
; %bb.217:                              ;   in Loop: Header=BB101_3 Depth=1
	ds_load_b32 v29, v61 offset:13248
	ds_load_b32 v30, v3 offset:13260
	s_wait_dscnt 0x0
	v_fmac_f32_e32 v28, v29, v30
.LBB101_218:                            ;   in Loop: Header=BB101_3 Depth=1
	s_or_b32 exec_lo, exec_lo, s46
.LBB101_219:                            ;   in Loop: Header=BB101_3 Depth=1
	s_delay_alu instid0(SALU_CYCLE_1)
	s_or_b32 exec_lo, exec_lo, s45
	s_and_saveexec_b32 s45, s90
	s_cbranch_execz .LBB101_221
; %bb.220:                              ;   in Loop: Header=BB101_3 Depth=1
	ds_load_b32 v29, v3 offset:12740
	s_wait_dscnt 0x0
	v_mul_f32_e32 v28, v28, v29
	s_delay_alu instid0(VALU_DEP_1)
	v_xor_b32_e32 v29, 0x80000000, v28
	ds_store_b32 v5, v29
.LBB101_221:                            ;   in Loop: Header=BB101_3 Depth=1
	s_or_b32 exec_lo, exec_lo, s45
	s_wait_loadcnt_dscnt 0x0
	s_barrier_signal -1
	s_barrier_wait -1
	s_and_saveexec_b32 s45, s91
	s_cbranch_execz .LBB101_223
; %bb.222:                              ;   in Loop: Header=BB101_3 Depth=1
	ds_load_b32 v29, v3 offset:12736
	ds_load_b32 v30, v5
	s_wait_dscnt 0x0
	v_fma_f32 v28, -v29, v30, v28
.LBB101_223:                            ;   in Loop: Header=BB101_3 Depth=1
	s_or_b32 exec_lo, exec_lo, s45
	s_barrier_signal -1
	s_barrier_wait -1
	s_and_saveexec_b32 s45, s91
	s_cbranch_execz .LBB101_225
; %bb.224:                              ;   in Loop: Header=BB101_3 Depth=1
	ds_load_b32 v29, v3 offset:12480
	s_wait_dscnt 0x0
	v_mul_f32_e32 v28, v28, v29
	s_delay_alu instid0(VALU_DEP_1)
	v_xor_b32_e32 v29, 0x80000000, v28
	ds_store_b32 v5, v29
.LBB101_225:                            ;   in Loop: Header=BB101_3 Depth=1
	s_or_b32 exec_lo, exec_lo, s45
	s_wait_dscnt 0x0
	s_barrier_signal -1
	s_barrier_wait -1
	s_barrier_signal -1
	s_barrier_wait -1
	s_and_saveexec_b32 s45, s2
; %bb.226:                              ;   in Loop: Header=BB101_3 Depth=1
	ds_store_b32 v37, v28 offset:13248
; %bb.227:                              ;   in Loop: Header=BB101_3 Depth=1
	s_or_b32 exec_lo, exec_lo, s45
	s_wait_dscnt 0x0
	s_barrier_signal -1
	s_barrier_wait -1
	s_barrier_signal -1
	s_barrier_wait -1
	s_and_saveexec_b32 s45, s92
	s_cbranch_execz .LBB101_229
; %bb.228:                              ;   in Loop: Header=BB101_3 Depth=1
	ds_load_b32 v28, v62 offset:12992
	s_wait_dscnt 0x0
	ds_store_b32 v61, v28 offset:12488
	ds_load_b32 v28, v62 offset:12996
	s_wait_dscnt 0x0
	ds_store_b32 v61, v28 offset:12744
.LBB101_229:                            ;   in Loop: Header=BB101_3 Depth=1
	s_or_b32 exec_lo, exec_lo, s45
	s_wait_dscnt 0x0
	s_barrier_signal -1
	s_barrier_wait -1
	s_and_saveexec_b32 s45, s15
	s_cbranch_execz .LBB101_231
; %bb.230:                              ;   in Loop: Header=BB101_3 Depth=1
	ds_load_b64 v[28:29], v3 offset:12736
	ds_load_b32 v30, v3 offset:12480
	s_wait_dscnt 0x0
	v_mul_f32_e32 v29, v30, v29
	s_delay_alu instid0(VALU_DEP_1)
	v_mul_f32_e32 v28, v28, v29
	v_add_nc_u32_e64 v29, 0x3000, 0
	ds_store_2addr_b32 v29, v28, v28 offset0:49 offset1:112
.LBB101_231:                            ;   in Loop: Header=BB101_3 Depth=1
	s_or_b32 exec_lo, exec_lo, s45
	v_mov_b32_e32 v28, 0
	s_wait_dscnt 0x0
	s_barrier_signal -1
	s_barrier_wait -1
	global_wb scope:SCOPE_DEV
	s_wait_storecnt 0x0
	global_inv scope:SCOPE_DEV
	s_and_saveexec_b32 s65, s6
	s_cbranch_execz .LBB101_259
; %bb.232:                              ;   in Loop: Header=BB101_3 Depth=1
	ds_load_b32 v28, v50 offset:12416
	ds_load_b32 v29, v49 offset:16320
	s_wait_dscnt 0x0
	v_fma_f32 v28, v28, v29, 0
	s_mov_b32 s45, exec_lo
	v_readlane_b32 s46, v87, 20
	s_and_b32 s46, s45, s46
	s_delay_alu instid0(SALU_CYCLE_1)
	s_mov_b32 exec_lo, s46
	s_cbranch_execz .LBB101_234
; %bb.233:                              ;   in Loop: Header=BB101_3 Depth=1
	ds_load_b32 v29, v50 offset:12672
	ds_load_b32 v30, v49 offset:16324
	s_wait_dscnt 0x0
	v_fmac_f32_e32 v28, v29, v30
.LBB101_234:                            ;   in Loop: Header=BB101_3 Depth=1
	s_or_b32 exec_lo, exec_lo, s45
	s_delay_alu instid0(SALU_CYCLE_1) | instskip(SKIP_2) | instid1(SALU_CYCLE_1)
	s_mov_b32 s45, exec_lo
	v_readlane_b32 s46, v87, 21
	s_and_b32 s46, s45, s46
	s_mov_b32 exec_lo, s46
	s_cbranch_execz .LBB101_236
; %bb.235:                              ;   in Loop: Header=BB101_3 Depth=1
	ds_load_b32 v29, v50 offset:12928
	ds_load_b32 v30, v49 offset:16328
	s_wait_dscnt 0x0
	v_fmac_f32_e32 v28, v29, v30
.LBB101_236:                            ;   in Loop: Header=BB101_3 Depth=1
	s_or_b32 exec_lo, exec_lo, s45
	s_delay_alu instid0(SALU_CYCLE_1) | instskip(SKIP_2) | instid1(SALU_CYCLE_1)
	s_mov_b32 s45, exec_lo
	v_readlane_b32 s46, v87, 22
	s_and_b32 s46, s45, s46
	;; [unrolled: 13-line block ×10, first 2 shown]
	s_mov_b32 exec_lo, s46
	s_cbranch_execnz .LBB101_1217
; %bb.253:                              ;   in Loop: Header=BB101_3 Depth=1
	s_or_b32 exec_lo, exec_lo, s45
	s_and_saveexec_b32 s45, s5
	s_cbranch_execnz .LBB101_1218
.LBB101_254:                            ;   in Loop: Header=BB101_3 Depth=1
	s_or_b32 exec_lo, exec_lo, s45
	s_and_saveexec_b32 s45, s20
	s_cbranch_execnz .LBB101_1219
.LBB101_255:                            ;   in Loop: Header=BB101_3 Depth=1
	s_or_b32 exec_lo, exec_lo, s45
	s_and_saveexec_b32 s45, s22
	s_cbranch_execnz .LBB101_1220
.LBB101_256:                            ;   in Loop: Header=BB101_3 Depth=1
	s_or_b32 exec_lo, exec_lo, s45
	s_and_saveexec_b32 s45, s4
	s_cbranch_execz .LBB101_258
.LBB101_257:                            ;   in Loop: Header=BB101_3 Depth=1
	ds_load_b32 v29, v36 offset:16256
	ds_load_b32 v30, v3 offset:16380
	s_wait_dscnt 0x0
	v_fmac_f32_e32 v28, v29, v30
.LBB101_258:                            ;   in Loop: Header=BB101_3 Depth=1
	s_or_b32 exec_lo, exec_lo, s45
.LBB101_259:                            ;   in Loop: Header=BB101_3 Depth=1
	s_delay_alu instid0(SALU_CYCLE_1) | instskip(NEXT) | instid1(SALU_CYCLE_1)
	s_or_b32 exec_lo, exec_lo, s65
	s_mov_b32 s45, exec_lo
	v_readlane_b32 s46, v89, 2
	s_and_b32 s46, s45, s46
	s_delay_alu instid0(SALU_CYCLE_1)
	s_mov_b32 exec_lo, s46
	s_cbranch_execz .LBB101_261
; %bb.260:                              ;   in Loop: Header=BB101_3 Depth=1
	ds_load_b32 v29, v3 offset:12220
	s_wait_dscnt 0x0
	v_mul_f32_e32 v28, v28, v29
	s_delay_alu instid0(VALU_DEP_1)
	v_xor_b32_e32 v29, 0x80000000, v28
	ds_store_b32 v48, v29
.LBB101_261:                            ;   in Loop: Header=BB101_3 Depth=1
	s_or_b32 exec_lo, exec_lo, s45
	s_wait_loadcnt_dscnt 0x0
	s_barrier_signal -1
	s_barrier_wait -1
	s_mov_b32 s45, exec_lo
	v_readlane_b32 s46, v89, 3
	s_and_b32 s46, s45, s46
	s_delay_alu instid0(SALU_CYCLE_1)
	s_mov_b32 exec_lo, s46
	s_cbranch_execz .LBB101_263
; %bb.262:                              ;   in Loop: Header=BB101_3 Depth=1
	ds_load_b32 v29, v50 offset:12160
	ds_load_b32 v30, v48
	s_wait_dscnt 0x0
	v_fma_f32 v28, -v29, v30, v28
.LBB101_263:                            ;   in Loop: Header=BB101_3 Depth=1
	s_or_b32 exec_lo, exec_lo, s45
	s_barrier_signal -1
	s_barrier_wait -1
	s_and_saveexec_b32 s45, s47
	s_cbranch_execz .LBB101_265
; %bb.264:                              ;   in Loop: Header=BB101_3 Depth=1
	ds_load_b32 v29, v3 offset:11960
	s_wait_dscnt 0x0
	v_mul_f32_e32 v28, v28, v29
	s_delay_alu instid0(VALU_DEP_1)
	v_xor_b32_e32 v29, 0x80000000, v28
	ds_store_b32 v48, v29
.LBB101_265:                            ;   in Loop: Header=BB101_3 Depth=1
	s_or_b32 exec_lo, exec_lo, s45
	s_wait_dscnt 0x0
	s_barrier_signal -1
	s_barrier_wait -1
	s_and_saveexec_b32 s45, s48
	s_cbranch_execz .LBB101_267
; %bb.266:                              ;   in Loop: Header=BB101_3 Depth=1
	ds_load_b32 v29, v50 offset:11904
	ds_load_b32 v30, v48
	s_wait_dscnt 0x0
	v_fma_f32 v28, -v29, v30, v28
.LBB101_267:                            ;   in Loop: Header=BB101_3 Depth=1
	s_or_b32 exec_lo, exec_lo, s45
	s_barrier_signal -1
	s_barrier_wait -1
	s_and_saveexec_b32 s45, s49
	s_cbranch_execz .LBB101_269
; %bb.268:                              ;   in Loop: Header=BB101_3 Depth=1
	ds_load_b32 v29, v3 offset:11700
	s_wait_dscnt 0x0
	v_mul_f32_e32 v28, v28, v29
	s_delay_alu instid0(VALU_DEP_1)
	v_xor_b32_e32 v29, 0x80000000, v28
	ds_store_b32 v48, v29
.LBB101_269:                            ;   in Loop: Header=BB101_3 Depth=1
	s_or_b32 exec_lo, exec_lo, s45
	s_wait_dscnt 0x0
	s_barrier_signal -1
	s_barrier_wait -1
	s_and_saveexec_b32 s45, s50
	;; [unrolled: 25-line block ×14, first 2 shown]
	s_cbranch_execz .LBB101_319
; %bb.318:                              ;   in Loop: Header=BB101_3 Depth=1
	ds_load_b32 v29, v3 offset:8576
	ds_load_b32 v30, v48
	s_wait_dscnt 0x0
	v_fma_f32 v28, -v29, v30, v28
.LBB101_319:                            ;   in Loop: Header=BB101_3 Depth=1
	s_or_b32 exec_lo, exec_lo, s45
	s_barrier_signal -1
	s_barrier_wait -1
	s_and_saveexec_b32 s45, s34
	s_cbranch_execz .LBB101_321
; %bb.320:                              ;   in Loop: Header=BB101_3 Depth=1
	ds_load_b32 v29, v3 offset:8320
	s_wait_dscnt 0x0
	v_mul_f32_e32 v28, v28, v29
	s_delay_alu instid0(VALU_DEP_1)
	v_xor_b32_e32 v29, 0x80000000, v28
	ds_store_b32 v48, v29
.LBB101_321:                            ;   in Loop: Header=BB101_3 Depth=1
	s_or_b32 exec_lo, exec_lo, s45
	s_wait_dscnt 0x0
	s_barrier_signal -1
	s_barrier_wait -1
	s_barrier_signal -1
	s_barrier_wait -1
	s_and_saveexec_b32 s45, s6
; %bb.322:                              ;   in Loop: Header=BB101_3 Depth=1
	ds_store_b32 v51, v28 offset:16256
; %bb.323:                              ;   in Loop: Header=BB101_3 Depth=1
	s_or_b32 exec_lo, exec_lo, s45
	s_wait_dscnt 0x0
	s_barrier_signal -1
	s_barrier_wait -1
	s_barrier_signal -1
	s_barrier_wait -1
	s_and_saveexec_b32 s65, s84
	s_cbranch_execz .LBB101_325
; %bb.324:                              ;   in Loop: Header=BB101_3 Depth=1
	ds_load_b32 v28, v38 offset:12416
	s_wait_dscnt 0x0
	ds_store_b32 v42, v28 offset:8384
	ds_load_b32 v28, v38 offset:12420
	s_wait_dscnt 0x0
	ds_store_b32 v42, v28 offset:8640
	;; [unrolled: 3-line block ×16, first 2 shown]
.LBB101_325:                            ;   in Loop: Header=BB101_3 Depth=1
	s_or_b32 exec_lo, exec_lo, s65
	s_wait_dscnt 0x0
	s_barrier_signal -1
	s_barrier_wait -1
	s_and_saveexec_b32 s45, s15
	s_cbranch_execz .LBB101_327
; %bb.326:                              ;   in Loop: Header=BB101_3 Depth=1
	ds_load_b64 v[28:29], v3 offset:12216
	ds_load_b32 v30, v3 offset:11960
	s_wait_dscnt 0x0
	v_mul_f32_e32 v29, v30, v29
	s_delay_alu instid0(VALU_DEP_1)
	v_mul_f32_e32 v28, v28, v29
	v_add_nc_u32_e64 v29, 0x2c00, 0
	ds_store_2addr_b32 v29, v28, v28 offset0:175 offset1:238
.LBB101_327:                            ;   in Loop: Header=BB101_3 Depth=1
	s_or_b32 exec_lo, exec_lo, s45
	v_mov_b32_e32 v28, 0
	s_wait_dscnt 0x0
	s_barrier_signal -1
	s_barrier_wait -1
	global_wb scope:SCOPE_DEV
	s_wait_storecnt 0x0
	global_inv scope:SCOPE_DEV
	s_and_saveexec_b32 s45, s2
	s_cbranch_execz .LBB101_331
; %bb.328:                              ;   in Loop: Header=BB101_3 Depth=1
	ds_load_b32 v28, v35 offset:11952
	ds_load_b32 v29, v34 offset:12216
	s_wait_dscnt 0x0
	v_fma_f32 v28, v28, v29, 0
	s_and_saveexec_b32 s46, s16
	s_cbranch_execz .LBB101_330
; %bb.329:                              ;   in Loop: Header=BB101_3 Depth=1
	ds_load_b32 v29, v36 offset:12208
	ds_load_b32 v30, v3 offset:12220
	s_wait_dscnt 0x0
	v_fmac_f32_e32 v28, v29, v30
.LBB101_330:                            ;   in Loop: Header=BB101_3 Depth=1
	s_or_b32 exec_lo, exec_lo, s46
.LBB101_331:                            ;   in Loop: Header=BB101_3 Depth=1
	s_delay_alu instid0(SALU_CYCLE_1)
	s_or_b32 exec_lo, exec_lo, s45
	s_and_saveexec_b32 s45, s90
	s_cbranch_execz .LBB101_333
; %bb.332:                              ;   in Loop: Header=BB101_3 Depth=1
	ds_load_b32 v29, v3 offset:11700
	s_wait_dscnt 0x0
	v_mul_f32_e32 v28, v28, v29
	s_delay_alu instid0(VALU_DEP_1)
	v_xor_b32_e32 v29, 0x80000000, v28
	ds_store_b32 v5, v29
.LBB101_333:                            ;   in Loop: Header=BB101_3 Depth=1
	s_or_b32 exec_lo, exec_lo, s45
	s_wait_loadcnt_dscnt 0x0
	s_barrier_signal -1
	s_barrier_wait -1
	s_and_saveexec_b32 s45, s91
	s_cbranch_execz .LBB101_335
; %bb.334:                              ;   in Loop: Header=BB101_3 Depth=1
	ds_load_b32 v29, v3 offset:11696
	ds_load_b32 v30, v5
	s_wait_dscnt 0x0
	v_fma_f32 v28, -v29, v30, v28
.LBB101_335:                            ;   in Loop: Header=BB101_3 Depth=1
	s_or_b32 exec_lo, exec_lo, s45
	s_barrier_signal -1
	s_barrier_wait -1
	s_and_saveexec_b32 s45, s91
	s_cbranch_execz .LBB101_337
; %bb.336:                              ;   in Loop: Header=BB101_3 Depth=1
	ds_load_b32 v29, v3 offset:11440
	s_wait_dscnt 0x0
	v_mul_f32_e32 v28, v28, v29
	s_delay_alu instid0(VALU_DEP_1)
	v_xor_b32_e32 v29, 0x80000000, v28
	ds_store_b32 v5, v29
.LBB101_337:                            ;   in Loop: Header=BB101_3 Depth=1
	s_or_b32 exec_lo, exec_lo, s45
	s_wait_dscnt 0x0
	s_barrier_signal -1
	s_barrier_wait -1
	s_barrier_signal -1
	s_barrier_wait -1
	s_and_saveexec_b32 s45, s2
; %bb.338:                              ;   in Loop: Header=BB101_3 Depth=1
	ds_store_b32 v37, v28 offset:12208
; %bb.339:                              ;   in Loop: Header=BB101_3 Depth=1
	s_or_b32 exec_lo, exec_lo, s45
	s_wait_dscnt 0x0
	s_barrier_signal -1
	s_barrier_wait -1
	s_barrier_signal -1
	s_barrier_wait -1
	s_and_saveexec_b32 s45, s92
	s_cbranch_execz .LBB101_341
; %bb.340:                              ;   in Loop: Header=BB101_3 Depth=1
	ds_load_b32 v28, v38 offset:11952
	s_wait_dscnt 0x0
	ds_store_b32 v36, v28 offset:11448
	ds_load_b32 v28, v38 offset:11956
	s_wait_dscnt 0x0
	ds_store_b32 v36, v28 offset:11704
.LBB101_341:                            ;   in Loop: Header=BB101_3 Depth=1
	s_or_b32 exec_lo, exec_lo, s45
	s_wait_dscnt 0x0
	s_barrier_signal -1
	s_barrier_wait -1
	s_and_saveexec_b32 s45, s15
	s_cbranch_execz .LBB101_343
; %bb.342:                              ;   in Loop: Header=BB101_3 Depth=1
	ds_load_b64 v[28:29], v3 offset:11696
	ds_load_b32 v30, v3 offset:11440
	s_wait_dscnt 0x0
	v_mul_f32_e32 v29, v30, v29
	s_delay_alu instid0(VALU_DEP_1)
	v_mul_f32_e32 v28, v28, v29
	v_add_nc_u32_e64 v29, 0x2c00, 0
	ds_store_2addr_b32 v29, v28, v28 offset0:45 offset1:108
.LBB101_343:                            ;   in Loop: Header=BB101_3 Depth=1
	s_or_b32 exec_lo, exec_lo, s45
	v_mov_b32_e32 v28, 0
	s_wait_dscnt 0x0
	s_barrier_signal -1
	s_barrier_wait -1
	global_wb scope:SCOPE_DEV
	s_wait_storecnt 0x0
	global_inv scope:SCOPE_DEV
	s_and_saveexec_b32 s65, s4
	s_cbranch_execz .LBB101_349
; %bb.344:                              ;   in Loop: Header=BB101_3 Depth=1
	ds_load_b32 v28, v41 offset:11424
	ds_load_b32 v29, v40 offset:12208
	s_wait_dscnt 0x0
	v_fma_f32 v28, v28, v29, 0
	s_and_saveexec_b32 s45, s17
	s_cbranch_execnz .LBB101_1221
; %bb.345:                              ;   in Loop: Header=BB101_3 Depth=1
	s_or_b32 exec_lo, exec_lo, s45
	s_and_saveexec_b32 s45, s18
	s_cbranch_execnz .LBB101_1222
.LBB101_346:                            ;   in Loop: Header=BB101_3 Depth=1
	s_or_b32 exec_lo, exec_lo, s45
	s_and_saveexec_b32 s45, s2
	s_cbranch_execz .LBB101_348
.LBB101_347:                            ;   in Loop: Header=BB101_3 Depth=1
	ds_load_b32 v29, v42 offset:12192
	ds_load_b32 v30, v3 offset:12220
	s_wait_dscnt 0x0
	v_fmac_f32_e32 v28, v29, v30
.LBB101_348:                            ;   in Loop: Header=BB101_3 Depth=1
	s_or_b32 exec_lo, exec_lo, s45
.LBB101_349:                            ;   in Loop: Header=BB101_3 Depth=1
	s_delay_alu instid0(SALU_CYCLE_1)
	s_or_b32 exec_lo, exec_lo, s65
	s_and_saveexec_b32 s45, s93
	s_cbranch_execz .LBB101_351
; %bb.350:                              ;   in Loop: Header=BB101_3 Depth=1
	ds_load_b32 v29, v3 offset:11180
	s_wait_dscnt 0x0
	v_mul_f32_e32 v28, v28, v29
	s_delay_alu instid0(VALU_DEP_1)
	v_xor_b32_e32 v29, 0x80000000, v28
	ds_store_b32 v39, v29
.LBB101_351:                            ;   in Loop: Header=BB101_3 Depth=1
	s_or_b32 exec_lo, exec_lo, s45
	s_wait_loadcnt_dscnt 0x0
	s_barrier_signal -1
	s_barrier_wait -1
	s_and_saveexec_b32 s45, s94
	s_cbranch_execz .LBB101_353
; %bb.352:                              ;   in Loop: Header=BB101_3 Depth=1
	ds_load_b32 v29, v41 offset:11168
	ds_load_b32 v30, v39
	s_wait_dscnt 0x0
	v_fma_f32 v28, -v29, v30, v28
.LBB101_353:                            ;   in Loop: Header=BB101_3 Depth=1
	s_or_b32 exec_lo, exec_lo, s45
	s_barrier_signal -1
	s_barrier_wait -1
	s_and_saveexec_b32 s45, s95
	s_cbranch_execz .LBB101_355
; %bb.354:                              ;   in Loop: Header=BB101_3 Depth=1
	ds_load_b32 v29, v3 offset:10920
	s_wait_dscnt 0x0
	v_mul_f32_e32 v28, v28, v29
	s_delay_alu instid0(VALU_DEP_1)
	v_xor_b32_e32 v29, 0x80000000, v28
	ds_store_b32 v39, v29
.LBB101_355:                            ;   in Loop: Header=BB101_3 Depth=1
	s_or_b32 exec_lo, exec_lo, s45
	s_wait_dscnt 0x0
	s_barrier_signal -1
	s_barrier_wait -1
	s_and_saveexec_b32 s45, s96
	s_cbranch_execz .LBB101_357
; %bb.356:                              ;   in Loop: Header=BB101_3 Depth=1
	ds_load_b32 v29, v41 offset:10912
	ds_load_b32 v30, v39
	s_wait_dscnt 0x0
	v_fma_f32 v28, -v29, v30, v28
.LBB101_357:                            ;   in Loop: Header=BB101_3 Depth=1
	s_or_b32 exec_lo, exec_lo, s45
	s_barrier_signal -1
	s_barrier_wait -1
	s_and_saveexec_b32 s45, s97
	s_cbranch_execz .LBB101_359
; %bb.358:                              ;   in Loop: Header=BB101_3 Depth=1
	ds_load_b32 v29, v3 offset:10660
	s_wait_dscnt 0x0
	v_mul_f32_e32 v28, v28, v29
	s_delay_alu instid0(VALU_DEP_1)
	v_xor_b32_e32 v29, 0x80000000, v28
	ds_store_b32 v39, v29
.LBB101_359:                            ;   in Loop: Header=BB101_3 Depth=1
	s_or_b32 exec_lo, exec_lo, s45
	s_wait_dscnt 0x0
	;; [unrolled: 25-line block ×3, first 2 shown]
	s_barrier_signal -1
	s_barrier_wait -1
	s_barrier_signal -1
	s_barrier_wait -1
	s_and_saveexec_b32 s45, s4
; %bb.364:                              ;   in Loop: Header=BB101_3 Depth=1
	ds_store_b32 v43, v28 offset:12192
; %bb.365:                              ;   in Loop: Header=BB101_3 Depth=1
	s_or_b32 exec_lo, exec_lo, s45
	s_wait_dscnt 0x0
	s_barrier_signal -1
	s_barrier_wait -1
	s_barrier_signal -1
	s_barrier_wait -1
	s_and_saveexec_b32 s45, s99
	s_cbranch_execz .LBB101_367
; %bb.366:                              ;   in Loop: Header=BB101_3 Depth=1
	ds_load_b32 v28, v7 offset:11424
	s_wait_dscnt 0x0
	ds_store_b32 v53, v28 offset:10416
	ds_load_b32 v28, v7 offset:11428
	s_wait_dscnt 0x0
	ds_store_b32 v53, v28 offset:10672
	;; [unrolled: 3-line block ×4, first 2 shown]
.LBB101_367:                            ;   in Loop: Header=BB101_3 Depth=1
	s_or_b32 exec_lo, exec_lo, s45
	s_wait_dscnt 0x0
	s_barrier_signal -1
	s_barrier_wait -1
	s_and_saveexec_b32 s45, s15
	s_cbranch_execz .LBB101_369
; %bb.368:                              ;   in Loop: Header=BB101_3 Depth=1
	ds_load_b64 v[28:29], v3 offset:11176
	ds_load_b32 v30, v3 offset:10920
	s_wait_dscnt 0x0
	v_mul_f32_e32 v29, v30, v29
	s_delay_alu instid0(VALU_DEP_1)
	v_mul_f32_e32 v28, v28, v29
	v_add_nc_u32_e64 v29, 0x2800, 0
	ds_store_2addr_b32 v29, v28, v28 offset0:171 offset1:234
.LBB101_369:                            ;   in Loop: Header=BB101_3 Depth=1
	s_or_b32 exec_lo, exec_lo, s45
	v_mov_b32_e32 v28, 0
	s_wait_dscnt 0x0
	s_barrier_signal -1
	s_barrier_wait -1
	global_wb scope:SCOPE_DEV
	s_wait_storecnt 0x0
	global_inv scope:SCOPE_DEV
	s_and_saveexec_b32 s45, s2
	s_cbranch_execz .LBB101_373
; %bb.370:                              ;   in Loop: Header=BB101_3 Depth=1
	ds_load_b32 v28, v35 offset:10912
	ds_load_b32 v29, v34 offset:11176
	s_wait_dscnt 0x0
	v_fma_f32 v28, v28, v29, 0
	s_and_saveexec_b32 s46, s16
	s_cbranch_execz .LBB101_372
; %bb.371:                              ;   in Loop: Header=BB101_3 Depth=1
	ds_load_b32 v29, v53 offset:11168
	ds_load_b32 v30, v3 offset:11180
	s_wait_dscnt 0x0
	v_fmac_f32_e32 v28, v29, v30
.LBB101_372:                            ;   in Loop: Header=BB101_3 Depth=1
	s_or_b32 exec_lo, exec_lo, s46
.LBB101_373:                            ;   in Loop: Header=BB101_3 Depth=1
	s_delay_alu instid0(SALU_CYCLE_1)
	s_or_b32 exec_lo, exec_lo, s45
	s_and_saveexec_b32 s45, s90
	s_cbranch_execz .LBB101_375
; %bb.374:                              ;   in Loop: Header=BB101_3 Depth=1
	ds_load_b32 v29, v3 offset:10660
	s_wait_dscnt 0x0
	v_mul_f32_e32 v28, v28, v29
	s_delay_alu instid0(VALU_DEP_1)
	v_xor_b32_e32 v29, 0x80000000, v28
	ds_store_b32 v5, v29
.LBB101_375:                            ;   in Loop: Header=BB101_3 Depth=1
	s_or_b32 exec_lo, exec_lo, s45
	s_wait_loadcnt_dscnt 0x0
	s_barrier_signal -1
	s_barrier_wait -1
	s_and_saveexec_b32 s45, s91
	s_cbranch_execz .LBB101_377
; %bb.376:                              ;   in Loop: Header=BB101_3 Depth=1
	ds_load_b32 v29, v3 offset:10656
	ds_load_b32 v30, v5
	s_wait_dscnt 0x0
	v_fma_f32 v28, -v29, v30, v28
.LBB101_377:                            ;   in Loop: Header=BB101_3 Depth=1
	s_or_b32 exec_lo, exec_lo, s45
	s_barrier_signal -1
	s_barrier_wait -1
	s_and_saveexec_b32 s45, s91
	s_cbranch_execz .LBB101_379
; %bb.378:                              ;   in Loop: Header=BB101_3 Depth=1
	ds_load_b32 v29, v3 offset:10400
	s_wait_dscnt 0x0
	v_mul_f32_e32 v28, v28, v29
	s_delay_alu instid0(VALU_DEP_1)
	v_xor_b32_e32 v29, 0x80000000, v28
	ds_store_b32 v5, v29
.LBB101_379:                            ;   in Loop: Header=BB101_3 Depth=1
	s_or_b32 exec_lo, exec_lo, s45
	s_wait_dscnt 0x0
	s_barrier_signal -1
	s_barrier_wait -1
	s_barrier_signal -1
	s_barrier_wait -1
	s_and_saveexec_b32 s45, s2
; %bb.380:                              ;   in Loop: Header=BB101_3 Depth=1
	ds_store_b32 v37, v28 offset:11168
; %bb.381:                              ;   in Loop: Header=BB101_3 Depth=1
	s_or_b32 exec_lo, exec_lo, s45
	s_wait_dscnt 0x0
	s_barrier_signal -1
	s_barrier_wait -1
	s_barrier_signal -1
	s_barrier_wait -1
	s_and_saveexec_b32 s45, s92
	s_cbranch_execz .LBB101_383
; %bb.382:                              ;   in Loop: Header=BB101_3 Depth=1
	ds_load_b32 v28, v54 offset:10912
	s_wait_dscnt 0x0
	ds_store_b32 v53, v28 offset:10408
	ds_load_b32 v28, v54 offset:10916
	s_wait_dscnt 0x0
	ds_store_b32 v53, v28 offset:10664
.LBB101_383:                            ;   in Loop: Header=BB101_3 Depth=1
	s_or_b32 exec_lo, exec_lo, s45
	s_wait_dscnt 0x0
	s_barrier_signal -1
	s_barrier_wait -1
	s_and_saveexec_b32 s45, s15
	s_cbranch_execz .LBB101_385
; %bb.384:                              ;   in Loop: Header=BB101_3 Depth=1
	ds_load_b64 v[28:29], v3 offset:10656
	ds_load_b32 v30, v3 offset:10400
	s_wait_dscnt 0x0
	v_mul_f32_e32 v29, v30, v29
	s_delay_alu instid0(VALU_DEP_1)
	v_mul_f32_e32 v28, v28, v29
	v_add_nc_u32_e64 v29, 0x2800, 0
	ds_store_2addr_b32 v29, v28, v28 offset0:41 offset1:104
.LBB101_385:                            ;   in Loop: Header=BB101_3 Depth=1
	s_or_b32 exec_lo, exec_lo, s45
	v_mov_b32_e32 v28, 0
	s_wait_dscnt 0x0
	s_barrier_signal -1
	s_barrier_wait -1
	global_wb scope:SCOPE_DEV
	s_wait_storecnt 0x0
	global_inv scope:SCOPE_DEV
	s_and_saveexec_b32 s65, s5
	s_cbranch_execz .LBB101_395
; %bb.386:                              ;   in Loop: Header=BB101_3 Depth=1
	ds_load_b32 v28, v46 offset:10368
	ds_load_b32 v29, v45 offset:12192
	s_wait_dscnt 0x0
	v_fma_f32 v28, v28, v29, 0
	s_and_saveexec_b32 s45, s19
	s_cbranch_execnz .LBB101_1223
; %bb.387:                              ;   in Loop: Header=BB101_3 Depth=1
	s_or_b32 exec_lo, exec_lo, s45
	s_and_saveexec_b32 s45, s20
	s_cbranch_execnz .LBB101_1224
.LBB101_388:                            ;   in Loop: Header=BB101_3 Depth=1
	s_or_b32 exec_lo, exec_lo, s45
	s_and_saveexec_b32 s45, s21
	s_cbranch_execnz .LBB101_1225
.LBB101_389:                            ;   in Loop: Header=BB101_3 Depth=1
	s_or_b32 exec_lo, exec_lo, s45
	s_and_saveexec_b32 s45, s22
	s_cbranch_execnz .LBB101_1226
.LBB101_390:                            ;   in Loop: Header=BB101_3 Depth=1
	s_or_b32 exec_lo, exec_lo, s45
	s_and_saveexec_b32 s45, s23
	s_cbranch_execnz .LBB101_1227
.LBB101_391:                            ;   in Loop: Header=BB101_3 Depth=1
	s_or_b32 exec_lo, exec_lo, s45
	s_and_saveexec_b32 s45, s4
	s_cbranch_execnz .LBB101_1228
.LBB101_392:                            ;   in Loop: Header=BB101_3 Depth=1
	s_or_b32 exec_lo, exec_lo, s45
	s_and_saveexec_b32 s45, s18
	s_cbranch_execz .LBB101_394
.LBB101_393:                            ;   in Loop: Header=BB101_3 Depth=1
	ds_load_b32 v29, v55 offset:12160
	ds_load_b32 v30, v3 offset:12220
	s_wait_dscnt 0x0
	v_fmac_f32_e32 v28, v29, v30
.LBB101_394:                            ;   in Loop: Header=BB101_3 Depth=1
	s_or_b32 exec_lo, exec_lo, s45
.LBB101_395:                            ;   in Loop: Header=BB101_3 Depth=1
	s_delay_alu instid0(SALU_CYCLE_1)
	s_or_b32 exec_lo, exec_lo, s65
	s_and_saveexec_b32 s45, s100
	s_cbranch_execz .LBB101_397
; %bb.396:                              ;   in Loop: Header=BB101_3 Depth=1
	ds_load_b32 v29, v3 offset:10140
	s_wait_dscnt 0x0
	v_mul_f32_e32 v28, v28, v29
	s_delay_alu instid0(VALU_DEP_1)
	v_xor_b32_e32 v29, 0x80000000, v28
	ds_store_b32 v44, v29
.LBB101_397:                            ;   in Loop: Header=BB101_3 Depth=1
	s_or_b32 exec_lo, exec_lo, s45
	s_wait_loadcnt_dscnt 0x0
	s_barrier_signal -1
	s_barrier_wait -1
	s_and_saveexec_b32 s45, s101
	s_cbranch_execz .LBB101_399
; %bb.398:                              ;   in Loop: Header=BB101_3 Depth=1
	ds_load_b32 v29, v46 offset:10112
	ds_load_b32 v30, v44
	s_wait_dscnt 0x0
	v_fma_f32 v28, -v29, v30, v28
.LBB101_399:                            ;   in Loop: Header=BB101_3 Depth=1
	s_or_b32 exec_lo, exec_lo, s45
	s_barrier_signal -1
	s_barrier_wait -1
	s_and_saveexec_b32 s45, s102
	s_cbranch_execz .LBB101_401
; %bb.400:                              ;   in Loop: Header=BB101_3 Depth=1
	ds_load_b32 v29, v3 offset:9880
	s_wait_dscnt 0x0
	v_mul_f32_e32 v28, v28, v29
	s_delay_alu instid0(VALU_DEP_1)
	v_xor_b32_e32 v29, 0x80000000, v28
	ds_store_b32 v44, v29
.LBB101_401:                            ;   in Loop: Header=BB101_3 Depth=1
	s_or_b32 exec_lo, exec_lo, s45
	s_wait_dscnt 0x0
	s_barrier_signal -1
	s_barrier_wait -1
	s_and_saveexec_b32 s45, s103
	s_cbranch_execz .LBB101_403
; %bb.402:                              ;   in Loop: Header=BB101_3 Depth=1
	ds_load_b32 v29, v46 offset:9856
	ds_load_b32 v30, v44
	s_wait_dscnt 0x0
	v_fma_f32 v28, -v29, v30, v28
.LBB101_403:                            ;   in Loop: Header=BB101_3 Depth=1
	s_or_b32 exec_lo, exec_lo, s45
	s_barrier_signal -1
	s_barrier_wait -1
	s_and_saveexec_b32 s45, s104
	s_cbranch_execz .LBB101_405
; %bb.404:                              ;   in Loop: Header=BB101_3 Depth=1
	ds_load_b32 v29, v3 offset:9620
	s_wait_dscnt 0x0
	v_mul_f32_e32 v28, v28, v29
	s_delay_alu instid0(VALU_DEP_1)
	v_xor_b32_e32 v29, 0x80000000, v28
	ds_store_b32 v44, v29
.LBB101_405:                            ;   in Loop: Header=BB101_3 Depth=1
	s_or_b32 exec_lo, exec_lo, s45
	s_wait_dscnt 0x0
	s_barrier_signal -1
	s_barrier_wait -1
	s_and_saveexec_b32 s45, vcc_hi
	s_cbranch_execz .LBB101_407
; %bb.406:                              ;   in Loop: Header=BB101_3 Depth=1
	ds_load_b32 v29, v46 offset:9600
	ds_load_b32 v30, v44
	s_wait_dscnt 0x0
	v_fma_f32 v28, -v29, v30, v28
.LBB101_407:                            ;   in Loop: Header=BB101_3 Depth=1
	s_or_b32 exec_lo, exec_lo, s45
	s_barrier_signal -1
	s_barrier_wait -1
	s_and_saveexec_b32 s45, s36
	s_cbranch_execz .LBB101_409
; %bb.408:                              ;   in Loop: Header=BB101_3 Depth=1
	ds_load_b32 v29, v3 offset:9360
	s_wait_dscnt 0x0
	v_mul_f32_e32 v28, v28, v29
	s_delay_alu instid0(VALU_DEP_1)
	v_xor_b32_e32 v29, 0x80000000, v28
	ds_store_b32 v44, v29
.LBB101_409:                            ;   in Loop: Header=BB101_3 Depth=1
	s_or_b32 exec_lo, exec_lo, s45
	s_wait_dscnt 0x0
	s_barrier_signal -1
	s_barrier_wait -1
	s_and_saveexec_b32 s45, s37
	s_cbranch_execz .LBB101_411
; %bb.410:                              ;   in Loop: Header=BB101_3 Depth=1
	ds_load_b32 v29, v46 offset:9344
	ds_load_b32 v30, v44
	s_wait_dscnt 0x0
	v_fma_f32 v28, -v29, v30, v28
.LBB101_411:                            ;   in Loop: Header=BB101_3 Depth=1
	s_or_b32 exec_lo, exec_lo, s45
	s_barrier_signal -1
	s_barrier_wait -1
	s_and_saveexec_b32 s45, s38
	s_cbranch_execz .LBB101_413
; %bb.412:                              ;   in Loop: Header=BB101_3 Depth=1
	ds_load_b32 v29, v3 offset:9100
	s_wait_dscnt 0x0
	v_mul_f32_e32 v28, v28, v29
	s_delay_alu instid0(VALU_DEP_1)
	v_xor_b32_e32 v29, 0x80000000, v28
	ds_store_b32 v44, v29
.LBB101_413:                            ;   in Loop: Header=BB101_3 Depth=1
	s_or_b32 exec_lo, exec_lo, s45
	s_wait_dscnt 0x0
	s_barrier_signal -1
	s_barrier_wait -1
	s_and_saveexec_b32 s45, s39
	;; [unrolled: 25-line block ×4, first 2 shown]
	s_cbranch_execz .LBB101_423
; %bb.422:                              ;   in Loop: Header=BB101_3 Depth=1
	ds_load_b32 v29, v3 offset:8576
	ds_load_b32 v30, v44
	s_wait_dscnt 0x0
	v_fma_f32 v28, -v29, v30, v28
.LBB101_423:                            ;   in Loop: Header=BB101_3 Depth=1
	s_or_b32 exec_lo, exec_lo, s45
	s_barrier_signal -1
	s_barrier_wait -1
	s_and_saveexec_b32 s45, s43
	s_cbranch_execz .LBB101_425
; %bb.424:                              ;   in Loop: Header=BB101_3 Depth=1
	ds_load_b32 v29, v3 offset:8320
	s_wait_dscnt 0x0
	v_mul_f32_e32 v28, v28, v29
	s_delay_alu instid0(VALU_DEP_1)
	v_xor_b32_e32 v29, 0x80000000, v28
	ds_store_b32 v44, v29
.LBB101_425:                            ;   in Loop: Header=BB101_3 Depth=1
	s_or_b32 exec_lo, exec_lo, s45
	s_wait_dscnt 0x0
	s_barrier_signal -1
	s_barrier_wait -1
	s_barrier_signal -1
	s_barrier_wait -1
	s_and_saveexec_b32 s45, s5
; %bb.426:                              ;   in Loop: Header=BB101_3 Depth=1
	ds_store_b32 v47, v28 offset:12160
; %bb.427:                              ;   in Loop: Header=BB101_3 Depth=1
	s_or_b32 exec_lo, exec_lo, s45
	s_wait_dscnt 0x0
	s_barrier_signal -1
	s_barrier_wait -1
	s_barrier_signal -1
	s_barrier_wait -1
	s_and_saveexec_b32 s45, s44
	s_cbranch_execz .LBB101_429
; %bb.428:                              ;   in Loop: Header=BB101_3 Depth=1
	ds_load_b32 v28, v56 offset:10368
	s_wait_dscnt 0x0
	ds_store_b32 v57, v28 offset:8352
	ds_load_b32 v28, v56 offset:10372
	s_wait_dscnt 0x0
	ds_store_b32 v57, v28 offset:8608
	;; [unrolled: 3-line block ×8, first 2 shown]
.LBB101_429:                            ;   in Loop: Header=BB101_3 Depth=1
	s_or_b32 exec_lo, exec_lo, s45
	s_wait_dscnt 0x0
	s_barrier_signal -1
	s_barrier_wait -1
	s_and_saveexec_b32 s45, s15
	s_cbranch_execz .LBB101_431
; %bb.430:                              ;   in Loop: Header=BB101_3 Depth=1
	ds_load_b64 v[28:29], v3 offset:10136
	ds_load_b32 v30, v3 offset:9880
	s_wait_dscnt 0x0
	v_mul_f32_e32 v29, v30, v29
	s_delay_alu instid0(VALU_DEP_1)
	v_mul_f32_e32 v28, v28, v29
	v_add_nc_u32_e64 v29, 0x2400, 0
	ds_store_2addr_b32 v29, v28, v28 offset0:167 offset1:230
.LBB101_431:                            ;   in Loop: Header=BB101_3 Depth=1
	s_or_b32 exec_lo, exec_lo, s45
	v_mov_b32_e32 v28, 0
	s_wait_dscnt 0x0
	s_barrier_signal -1
	s_barrier_wait -1
	global_wb scope:SCOPE_DEV
	s_wait_storecnt 0x0
	global_inv scope:SCOPE_DEV
	s_and_saveexec_b32 s45, s2
	s_cbranch_execz .LBB101_435
; %bb.432:                              ;   in Loop: Header=BB101_3 Depth=1
	ds_load_b32 v28, v35 offset:9872
	ds_load_b32 v29, v34 offset:10136
	s_wait_dscnt 0x0
	v_fma_f32 v28, v28, v29, 0
	s_and_saveexec_b32 s46, s16
	s_cbranch_execz .LBB101_434
; %bb.433:                              ;   in Loop: Header=BB101_3 Depth=1
	ds_load_b32 v29, v57 offset:10128
	ds_load_b32 v30, v3 offset:10140
	s_wait_dscnt 0x0
	v_fmac_f32_e32 v28, v29, v30
.LBB101_434:                            ;   in Loop: Header=BB101_3 Depth=1
	s_or_b32 exec_lo, exec_lo, s46
.LBB101_435:                            ;   in Loop: Header=BB101_3 Depth=1
	s_delay_alu instid0(SALU_CYCLE_1)
	s_or_b32 exec_lo, exec_lo, s45
	s_and_saveexec_b32 s45, s90
	s_cbranch_execz .LBB101_437
; %bb.436:                              ;   in Loop: Header=BB101_3 Depth=1
	ds_load_b32 v29, v3 offset:9620
	s_wait_dscnt 0x0
	v_mul_f32_e32 v28, v28, v29
	s_delay_alu instid0(VALU_DEP_1)
	v_xor_b32_e32 v29, 0x80000000, v28
	ds_store_b32 v5, v29
.LBB101_437:                            ;   in Loop: Header=BB101_3 Depth=1
	s_or_b32 exec_lo, exec_lo, s45
	s_wait_loadcnt_dscnt 0x0
	s_barrier_signal -1
	s_barrier_wait -1
	s_and_saveexec_b32 s45, s91
	s_cbranch_execz .LBB101_439
; %bb.438:                              ;   in Loop: Header=BB101_3 Depth=1
	ds_load_b32 v29, v3 offset:9616
	ds_load_b32 v30, v5
	s_wait_dscnt 0x0
	v_fma_f32 v28, -v29, v30, v28
.LBB101_439:                            ;   in Loop: Header=BB101_3 Depth=1
	s_or_b32 exec_lo, exec_lo, s45
	s_barrier_signal -1
	s_barrier_wait -1
	s_and_saveexec_b32 s45, s91
	s_cbranch_execz .LBB101_441
; %bb.440:                              ;   in Loop: Header=BB101_3 Depth=1
	ds_load_b32 v29, v3 offset:9360
	s_wait_dscnt 0x0
	v_mul_f32_e32 v28, v28, v29
	s_delay_alu instid0(VALU_DEP_1)
	v_xor_b32_e32 v29, 0x80000000, v28
	ds_store_b32 v5, v29
.LBB101_441:                            ;   in Loop: Header=BB101_3 Depth=1
	s_or_b32 exec_lo, exec_lo, s45
	s_wait_dscnt 0x0
	s_barrier_signal -1
	s_barrier_wait -1
	s_barrier_signal -1
	s_barrier_wait -1
	s_and_saveexec_b32 s45, s2
; %bb.442:                              ;   in Loop: Header=BB101_3 Depth=1
	ds_store_b32 v37, v28 offset:10128
; %bb.443:                              ;   in Loop: Header=BB101_3 Depth=1
	s_or_b32 exec_lo, exec_lo, s45
	s_wait_dscnt 0x0
	s_barrier_signal -1
	s_barrier_wait -1
	s_barrier_signal -1
	s_barrier_wait -1
	s_and_saveexec_b32 s45, s92
	s_cbranch_execz .LBB101_445
; %bb.444:                              ;   in Loop: Header=BB101_3 Depth=1
	ds_load_b32 v28, v58 offset:9872
	s_wait_dscnt 0x0
	ds_store_b32 v57, v28 offset:9368
	ds_load_b32 v28, v58 offset:9876
	s_wait_dscnt 0x0
	ds_store_b32 v57, v28 offset:9624
.LBB101_445:                            ;   in Loop: Header=BB101_3 Depth=1
	s_or_b32 exec_lo, exec_lo, s45
	s_wait_dscnt 0x0
	s_barrier_signal -1
	s_barrier_wait -1
	s_and_saveexec_b32 s45, s15
	s_cbranch_execz .LBB101_447
; %bb.446:                              ;   in Loop: Header=BB101_3 Depth=1
	ds_load_b64 v[28:29], v3 offset:9616
	ds_load_b32 v30, v3 offset:9360
	s_wait_dscnt 0x0
	v_mul_f32_e32 v29, v30, v29
	s_delay_alu instid0(VALU_DEP_1)
	v_mul_f32_e32 v28, v28, v29
	v_add_nc_u32_e64 v29, 0x2400, 0
	ds_store_2addr_b32 v29, v28, v28 offset0:37 offset1:100
.LBB101_447:                            ;   in Loop: Header=BB101_3 Depth=1
	s_or_b32 exec_lo, exec_lo, s45
	v_mov_b32_e32 v28, 0
	s_wait_dscnt 0x0
	s_barrier_signal -1
	s_barrier_wait -1
	global_wb scope:SCOPE_DEV
	s_wait_storecnt 0x0
	global_inv scope:SCOPE_DEV
	s_and_saveexec_b32 s65, s4
	s_cbranch_execz .LBB101_453
; %bb.448:                              ;   in Loop: Header=BB101_3 Depth=1
	ds_load_b32 v28, v41 offset:9344
	ds_load_b32 v29, v40 offset:10128
	s_wait_dscnt 0x0
	v_fma_f32 v28, v28, v29, 0
	s_and_saveexec_b32 s45, s17
	s_cbranch_execnz .LBB101_1229
; %bb.449:                              ;   in Loop: Header=BB101_3 Depth=1
	s_or_b32 exec_lo, exec_lo, s45
	s_and_saveexec_b32 s45, s18
	s_cbranch_execnz .LBB101_1230
.LBB101_450:                            ;   in Loop: Header=BB101_3 Depth=1
	s_or_b32 exec_lo, exec_lo, s45
	s_and_saveexec_b32 s45, s2
	s_cbranch_execz .LBB101_452
.LBB101_451:                            ;   in Loop: Header=BB101_3 Depth=1
	ds_load_b32 v29, v59 offset:10112
	ds_load_b32 v30, v3 offset:10140
	s_wait_dscnt 0x0
	v_fmac_f32_e32 v28, v29, v30
.LBB101_452:                            ;   in Loop: Header=BB101_3 Depth=1
	s_or_b32 exec_lo, exec_lo, s45
.LBB101_453:                            ;   in Loop: Header=BB101_3 Depth=1
	s_delay_alu instid0(SALU_CYCLE_1)
	s_or_b32 exec_lo, exec_lo, s65
	s_and_saveexec_b32 s45, s93
	s_cbranch_execz .LBB101_455
; %bb.454:                              ;   in Loop: Header=BB101_3 Depth=1
	ds_load_b32 v29, v3 offset:9100
	s_wait_dscnt 0x0
	v_mul_f32_e32 v28, v28, v29
	s_delay_alu instid0(VALU_DEP_1)
	v_xor_b32_e32 v29, 0x80000000, v28
	ds_store_b32 v39, v29
.LBB101_455:                            ;   in Loop: Header=BB101_3 Depth=1
	s_or_b32 exec_lo, exec_lo, s45
	s_wait_loadcnt_dscnt 0x0
	s_barrier_signal -1
	s_barrier_wait -1
	s_and_saveexec_b32 s45, s94
	s_cbranch_execz .LBB101_457
; %bb.456:                              ;   in Loop: Header=BB101_3 Depth=1
	ds_load_b32 v29, v41 offset:9088
	ds_load_b32 v30, v39
	s_wait_dscnt 0x0
	v_fma_f32 v28, -v29, v30, v28
.LBB101_457:                            ;   in Loop: Header=BB101_3 Depth=1
	s_or_b32 exec_lo, exec_lo, s45
	s_barrier_signal -1
	s_barrier_wait -1
	s_and_saveexec_b32 s45, s95
	s_cbranch_execz .LBB101_459
; %bb.458:                              ;   in Loop: Header=BB101_3 Depth=1
	ds_load_b32 v29, v3 offset:8840
	s_wait_dscnt 0x0
	v_mul_f32_e32 v28, v28, v29
	s_delay_alu instid0(VALU_DEP_1)
	v_xor_b32_e32 v29, 0x80000000, v28
	ds_store_b32 v39, v29
.LBB101_459:                            ;   in Loop: Header=BB101_3 Depth=1
	s_or_b32 exec_lo, exec_lo, s45
	s_wait_dscnt 0x0
	s_barrier_signal -1
	s_barrier_wait -1
	s_and_saveexec_b32 s45, s96
	s_cbranch_execz .LBB101_461
; %bb.460:                              ;   in Loop: Header=BB101_3 Depth=1
	ds_load_b32 v29, v41 offset:8832
	ds_load_b32 v30, v39
	s_wait_dscnt 0x0
	v_fma_f32 v28, -v29, v30, v28
.LBB101_461:                            ;   in Loop: Header=BB101_3 Depth=1
	s_or_b32 exec_lo, exec_lo, s45
	s_barrier_signal -1
	s_barrier_wait -1
	s_and_saveexec_b32 s45, s97
	s_cbranch_execz .LBB101_463
; %bb.462:                              ;   in Loop: Header=BB101_3 Depth=1
	ds_load_b32 v29, v3 offset:8580
	s_wait_dscnt 0x0
	v_mul_f32_e32 v28, v28, v29
	s_delay_alu instid0(VALU_DEP_1)
	v_xor_b32_e32 v29, 0x80000000, v28
	ds_store_b32 v39, v29
.LBB101_463:                            ;   in Loop: Header=BB101_3 Depth=1
	s_or_b32 exec_lo, exec_lo, s45
	s_wait_dscnt 0x0
	;; [unrolled: 25-line block ×3, first 2 shown]
	s_barrier_signal -1
	s_barrier_wait -1
	s_barrier_signal -1
	s_barrier_wait -1
	s_and_saveexec_b32 s45, s4
; %bb.468:                              ;   in Loop: Header=BB101_3 Depth=1
	ds_store_b32 v43, v28 offset:10112
; %bb.469:                              ;   in Loop: Header=BB101_3 Depth=1
	s_or_b32 exec_lo, exec_lo, s45
	s_wait_dscnt 0x0
	s_barrier_signal -1
	s_barrier_wait -1
	s_barrier_signal -1
	s_barrier_wait -1
	s_and_saveexec_b32 s45, s99
	s_cbranch_execz .LBB101_471
; %bb.470:                              ;   in Loop: Header=BB101_3 Depth=1
	ds_load_b32 v28, v60 offset:9344
	s_wait_dscnt 0x0
	ds_store_b32 v61, v28 offset:8336
	ds_load_b32 v28, v60 offset:9348
	s_wait_dscnt 0x0
	ds_store_b32 v61, v28 offset:8592
	ds_load_b32 v28, v60 offset:9352
	s_wait_dscnt 0x0
	ds_store_b32 v61, v28 offset:8848
	ds_load_b32 v28, v60 offset:9356
	s_wait_dscnt 0x0
	ds_store_b32 v61, v28 offset:9104
.LBB101_471:                            ;   in Loop: Header=BB101_3 Depth=1
	s_or_b32 exec_lo, exec_lo, s45
	s_wait_dscnt 0x0
	s_barrier_signal -1
	s_barrier_wait -1
	s_and_saveexec_b32 s45, s15
	s_cbranch_execz .LBB101_473
; %bb.472:                              ;   in Loop: Header=BB101_3 Depth=1
	ds_load_b64 v[28:29], v3 offset:9096
	ds_load_b32 v30, v3 offset:8840
	s_wait_dscnt 0x0
	v_mul_f32_e32 v29, v30, v29
	s_delay_alu instid0(VALU_DEP_1)
	v_mul_f32_e32 v28, v28, v29
	v_add_nc_u32_e64 v29, 0x2000, 0
	ds_store_2addr_b32 v29, v28, v28 offset0:163 offset1:226
.LBB101_473:                            ;   in Loop: Header=BB101_3 Depth=1
	s_or_b32 exec_lo, exec_lo, s45
	v_mov_b32_e32 v28, 0
	s_wait_dscnt 0x0
	s_barrier_signal -1
	s_barrier_wait -1
	global_wb scope:SCOPE_DEV
	s_wait_storecnt 0x0
	global_inv scope:SCOPE_DEV
	s_and_saveexec_b32 s45, s2
	s_cbranch_execz .LBB101_477
; %bb.474:                              ;   in Loop: Header=BB101_3 Depth=1
	ds_load_b32 v28, v35 offset:8832
	ds_load_b32 v29, v34 offset:9096
	s_wait_dscnt 0x0
	v_fma_f32 v28, v28, v29, 0
	s_and_saveexec_b32 s46, s16
	s_cbranch_execz .LBB101_476
; %bb.475:                              ;   in Loop: Header=BB101_3 Depth=1
	ds_load_b32 v29, v61 offset:9088
	ds_load_b32 v30, v3 offset:9100
	s_wait_dscnt 0x0
	v_fmac_f32_e32 v28, v29, v30
.LBB101_476:                            ;   in Loop: Header=BB101_3 Depth=1
	s_or_b32 exec_lo, exec_lo, s46
.LBB101_477:                            ;   in Loop: Header=BB101_3 Depth=1
	s_delay_alu instid0(SALU_CYCLE_1)
	s_or_b32 exec_lo, exec_lo, s45
	s_and_saveexec_b32 s45, s90
	s_cbranch_execz .LBB101_479
; %bb.478:                              ;   in Loop: Header=BB101_3 Depth=1
	ds_load_b32 v29, v3 offset:8580
	s_wait_dscnt 0x0
	v_mul_f32_e32 v28, v28, v29
	s_delay_alu instid0(VALU_DEP_1)
	v_xor_b32_e32 v29, 0x80000000, v28
	ds_store_b32 v5, v29
.LBB101_479:                            ;   in Loop: Header=BB101_3 Depth=1
	s_or_b32 exec_lo, exec_lo, s45
	s_wait_loadcnt_dscnt 0x0
	s_barrier_signal -1
	s_barrier_wait -1
	s_and_saveexec_b32 s45, s91
	s_cbranch_execz .LBB101_481
; %bb.480:                              ;   in Loop: Header=BB101_3 Depth=1
	ds_load_b32 v29, v3 offset:8576
	ds_load_b32 v30, v5
	s_wait_dscnt 0x0
	v_fma_f32 v28, -v29, v30, v28
.LBB101_481:                            ;   in Loop: Header=BB101_3 Depth=1
	s_or_b32 exec_lo, exec_lo, s45
	s_barrier_signal -1
	s_barrier_wait -1
	s_and_saveexec_b32 s45, s91
	s_cbranch_execz .LBB101_483
; %bb.482:                              ;   in Loop: Header=BB101_3 Depth=1
	ds_load_b32 v29, v3 offset:8320
	s_wait_dscnt 0x0
	v_mul_f32_e32 v28, v28, v29
	s_delay_alu instid0(VALU_DEP_1)
	v_xor_b32_e32 v29, 0x80000000, v28
	ds_store_b32 v5, v29
.LBB101_483:                            ;   in Loop: Header=BB101_3 Depth=1
	s_or_b32 exec_lo, exec_lo, s45
	s_wait_dscnt 0x0
	s_barrier_signal -1
	s_barrier_wait -1
	s_barrier_signal -1
	s_barrier_wait -1
	s_and_saveexec_b32 s45, s2
; %bb.484:                              ;   in Loop: Header=BB101_3 Depth=1
	ds_store_b32 v37, v28 offset:9088
; %bb.485:                              ;   in Loop: Header=BB101_3 Depth=1
	s_or_b32 exec_lo, exec_lo, s45
	s_wait_dscnt 0x0
	s_barrier_signal -1
	s_barrier_wait -1
	s_barrier_signal -1
	s_barrier_wait -1
	s_and_saveexec_b32 s45, s92
	s_cbranch_execz .LBB101_487
; %bb.486:                              ;   in Loop: Header=BB101_3 Depth=1
	ds_load_b32 v28, v62 offset:8832
	s_wait_dscnt 0x0
	ds_store_b32 v61, v28 offset:8328
	ds_load_b32 v28, v62 offset:8836
	s_wait_dscnt 0x0
	ds_store_b32 v61, v28 offset:8584
.LBB101_487:                            ;   in Loop: Header=BB101_3 Depth=1
	s_or_b32 exec_lo, exec_lo, s45
	s_wait_dscnt 0x0
	s_barrier_signal -1
	s_barrier_wait -1
	s_and_saveexec_b32 s45, s15
	s_cbranch_execz .LBB101_489
; %bb.488:                              ;   in Loop: Header=BB101_3 Depth=1
	ds_load_b64 v[28:29], v3 offset:8576
	ds_load_b32 v30, v3 offset:8320
	s_wait_dscnt 0x0
	v_mul_f32_e32 v29, v30, v29
	s_delay_alu instid0(VALU_DEP_1)
	v_mul_f32_e32 v28, v28, v29
	v_add_nc_u32_e64 v29, 0x2000, 0
	ds_store_2addr_b32 v29, v28, v28 offset0:33 offset1:96
.LBB101_489:                            ;   in Loop: Header=BB101_3 Depth=1
	s_or_b32 exec_lo, exec_lo, s45
	v_mov_b32_e32 v28, 0
	s_wait_dscnt 0x0
	s_barrier_signal -1
	s_barrier_wait -1
	global_wb scope:SCOPE_DEV
	s_wait_storecnt 0x0
	global_inv scope:SCOPE_DEV
	s_and_saveexec_b32 s65, s7
	s_cbranch_execz .LBB101_551
; %bb.490:                              ;   in Loop: Header=BB101_3 Depth=1
	ds_load_b32 v28, v64 offset:8192
	ds_load_b32 v29, v63 offset:16256
	s_wait_dscnt 0x0
	v_fma_f32 v28, v28, v29, 0
	s_mov_b32 s45, exec_lo
	v_readlane_b32 s46, v87, 31
	s_and_b32 s46, s45, s46
	s_delay_alu instid0(SALU_CYCLE_1)
	s_mov_b32 exec_lo, s46
	s_cbranch_execz .LBB101_492
; %bb.491:                              ;   in Loop: Header=BB101_3 Depth=1
	ds_load_b32 v29, v64 offset:8448
	ds_load_b32 v30, v63 offset:16260
	s_wait_dscnt 0x0
	v_fmac_f32_e32 v28, v29, v30
.LBB101_492:                            ;   in Loop: Header=BB101_3 Depth=1
	s_or_b32 exec_lo, exec_lo, s45
	s_delay_alu instid0(SALU_CYCLE_1) | instskip(SKIP_2) | instid1(SALU_CYCLE_1)
	s_mov_b32 s45, exec_lo
	v_readlane_b32 s46, v86, 0
	s_and_b32 s46, s45, s46
	s_mov_b32 exec_lo, s46
	s_cbranch_execz .LBB101_494
; %bb.493:                              ;   in Loop: Header=BB101_3 Depth=1
	ds_load_b32 v29, v64 offset:8704
	ds_load_b32 v30, v63 offset:16264
	s_wait_dscnt 0x0
	v_fmac_f32_e32 v28, v29, v30
.LBB101_494:                            ;   in Loop: Header=BB101_3 Depth=1
	s_or_b32 exec_lo, exec_lo, s45
	s_delay_alu instid0(SALU_CYCLE_1) | instskip(SKIP_2) | instid1(SALU_CYCLE_1)
	s_mov_b32 s45, exec_lo
	v_readlane_b32 s46, v86, 1
	s_and_b32 s46, s45, s46
	;; [unrolled: 13-line block ×22, first 2 shown]
	s_mov_b32 exec_lo, s46
	s_cbranch_execz .LBB101_536
; %bb.535:                              ;   in Loop: Header=BB101_3 Depth=1
	ds_load_b32 v29, v64 offset:14080
	ds_load_b32 v30, v63 offset:16348
	s_wait_dscnt 0x0
	v_fmac_f32_e32 v28, v29, v30
.LBB101_536:                            ;   in Loop: Header=BB101_3 Depth=1
	s_or_b32 exec_lo, exec_lo, s45
	s_and_saveexec_b32 s45, s6
	s_cbranch_execz .LBB101_538
; %bb.537:                              ;   in Loop: Header=BB101_3 Depth=1
	ds_load_b32 v29, v64 offset:14336
	ds_load_b32 v30, v63 offset:16352
	s_wait_dscnt 0x0
	v_fmac_f32_e32 v28, v29, v30
.LBB101_538:                            ;   in Loop: Header=BB101_3 Depth=1
	s_or_b32 exec_lo, exec_lo, s45
	s_delay_alu instid0(SALU_CYCLE_1) | instskip(SKIP_2) | instid1(SALU_CYCLE_1)
	s_mov_b32 s45, exec_lo
	v_readlane_b32 s46, v87, 21
	s_and_b32 s46, s45, s46
	s_mov_b32 exec_lo, s46
	s_cbranch_execz .LBB101_540
; %bb.539:                              ;   in Loop: Header=BB101_3 Depth=1
	ds_load_b32 v29, v64 offset:14592
	ds_load_b32 v30, v63 offset:16356
	s_wait_dscnt 0x0
	v_fmac_f32_e32 v28, v29, v30
.LBB101_540:                            ;   in Loop: Header=BB101_3 Depth=1
	s_or_b32 exec_lo, exec_lo, s45
	s_delay_alu instid0(SALU_CYCLE_1) | instskip(SKIP_2) | instid1(SALU_CYCLE_1)
	s_mov_b32 s45, exec_lo
	v_readlane_b32 s46, v87, 23
	s_and_b32 s46, s45, s46
	s_mov_b32 exec_lo, s46
	;; [unrolled: 13-line block ×5, first 2 shown]
	s_cbranch_execnz .LBB101_1231
; %bb.547:                              ;   in Loop: Header=BB101_3 Depth=1
	s_or_b32 exec_lo, exec_lo, s45
	s_and_saveexec_b32 s45, s5
	s_cbranch_execnz .LBB101_1232
.LBB101_548:                            ;   in Loop: Header=BB101_3 Depth=1
	s_or_b32 exec_lo, exec_lo, s45
	s_and_saveexec_b32 s45, s22
	s_cbranch_execz .LBB101_550
.LBB101_549:                            ;   in Loop: Header=BB101_3 Depth=1
	ds_load_b32 v29, v36 offset:16128
	ds_load_b32 v30, v3 offset:16380
	s_wait_dscnt 0x0
	v_fmac_f32_e32 v28, v29, v30
.LBB101_550:                            ;   in Loop: Header=BB101_3 Depth=1
	s_or_b32 exec_lo, exec_lo, s45
.LBB101_551:                            ;   in Loop: Header=BB101_3 Depth=1
	s_delay_alu instid0(SALU_CYCLE_1) | instskip(NEXT) | instid1(SALU_CYCLE_1)
	s_or_b32 exec_lo, exec_lo, s65
	s_mov_b32 s45, exec_lo
	v_readlane_b32 s46, v89, 4
	s_and_b32 s46, s45, s46
	s_delay_alu instid0(SALU_CYCLE_1)
	s_mov_b32 exec_lo, s46
	s_cbranch_execz .LBB101_553
; %bb.552:                              ;   in Loop: Header=BB101_3 Depth=1
	ds_load_b32 v29, v3 offset:8060
	s_wait_dscnt 0x0
	v_mul_f32_e32 v28, v28, v29
	s_delay_alu instid0(VALU_DEP_1)
	v_xor_b32_e32 v29, 0x80000000, v28
	ds_store_b32 v52, v29
.LBB101_553:                            ;   in Loop: Header=BB101_3 Depth=1
	s_or_b32 exec_lo, exec_lo, s45
	s_wait_loadcnt_dscnt 0x0
	s_barrier_signal -1
	s_barrier_wait -1
	s_mov_b32 s45, exec_lo
	v_readlane_b32 s46, v89, 5
	s_and_b32 s46, s45, s46
	s_delay_alu instid0(SALU_CYCLE_1)
	s_mov_b32 exec_lo, s46
	s_cbranch_execz .LBB101_555
; %bb.554:                              ;   in Loop: Header=BB101_3 Depth=1
	ds_load_b32 v29, v64 offset:7936
	ds_load_b32 v30, v52
	s_wait_dscnt 0x0
	v_fma_f32 v28, -v29, v30, v28
.LBB101_555:                            ;   in Loop: Header=BB101_3 Depth=1
	s_or_b32 exec_lo, exec_lo, s45
	s_barrier_signal -1
	s_barrier_wait -1
	s_mov_b32 s45, exec_lo
	v_readlane_b32 s46, v89, 6
	s_and_b32 s46, s45, s46
	s_delay_alu instid0(SALU_CYCLE_1)
	s_mov_b32 exec_lo, s46
	s_cbranch_execz .LBB101_557
; %bb.556:                              ;   in Loop: Header=BB101_3 Depth=1
	ds_load_b32 v29, v3 offset:7800
	s_wait_dscnt 0x0
	v_mul_f32_e32 v28, v28, v29
	s_delay_alu instid0(VALU_DEP_1)
	v_xor_b32_e32 v29, 0x80000000, v28
	ds_store_b32 v52, v29
.LBB101_557:                            ;   in Loop: Header=BB101_3 Depth=1
	s_or_b32 exec_lo, exec_lo, s45
	s_wait_dscnt 0x0
	s_barrier_signal -1
	s_barrier_wait -1
	s_mov_b32 s45, exec_lo
	v_readlane_b32 s46, v89, 7
	s_and_b32 s46, s45, s46
	s_delay_alu instid0(SALU_CYCLE_1)
	s_mov_b32 exec_lo, s46
	s_cbranch_execz .LBB101_559
; %bb.558:                              ;   in Loop: Header=BB101_3 Depth=1
	ds_load_b32 v29, v64 offset:7680
	ds_load_b32 v30, v52
	s_wait_dscnt 0x0
	v_fma_f32 v28, -v29, v30, v28
.LBB101_559:                            ;   in Loop: Header=BB101_3 Depth=1
	s_or_b32 exec_lo, exec_lo, s45
	s_barrier_signal -1
	s_barrier_wait -1
	s_mov_b32 s45, exec_lo
	v_readlane_b32 s46, v89, 8
	s_and_b32 s46, s45, s46
	s_delay_alu instid0(SALU_CYCLE_1)
	s_mov_b32 exec_lo, s46
	s_cbranch_execz .LBB101_561
; %bb.560:                              ;   in Loop: Header=BB101_3 Depth=1
	ds_load_b32 v29, v3 offset:7540
	s_wait_dscnt 0x0
	v_mul_f32_e32 v28, v28, v29
	s_delay_alu instid0(VALU_DEP_1)
	v_xor_b32_e32 v29, 0x80000000, v28
	ds_store_b32 v52, v29
.LBB101_561:                            ;   in Loop: Header=BB101_3 Depth=1
	s_or_b32 exec_lo, exec_lo, s45
	s_wait_dscnt 0x0
	;; [unrolled: 33-line block ×30, first 2 shown]
	s_barrier_signal -1
	s_barrier_wait -1
	s_and_saveexec_b32 s45, s14
	s_cbranch_execz .LBB101_675
; %bb.674:                              ;   in Loop: Header=BB101_3 Depth=1
	ds_load_b32 v29, v3 offset:256
	ds_load_b32 v30, v52
	s_wait_dscnt 0x0
	v_fma_f32 v28, -v29, v30, v28
.LBB101_675:                            ;   in Loop: Header=BB101_3 Depth=1
	s_or_b32 exec_lo, exec_lo, s45
	s_barrier_signal -1
	s_barrier_wait -1
	s_and_saveexec_b32 s45, s14
	s_cbranch_execz .LBB101_677
; %bb.676:                              ;   in Loop: Header=BB101_3 Depth=1
	ds_load_b32 v29, v3
	s_wait_dscnt 0x0
	v_mul_f32_e32 v28, v28, v29
	s_delay_alu instid0(VALU_DEP_1)
	v_xor_b32_e32 v29, 0x80000000, v28
	ds_store_b32 v52, v29
.LBB101_677:                            ;   in Loop: Header=BB101_3 Depth=1
	s_or_b32 exec_lo, exec_lo, s45
	s_wait_dscnt 0x0
	s_barrier_signal -1
	s_barrier_wait -1
	s_barrier_signal -1
	s_barrier_wait -1
	s_and_saveexec_b32 s45, s7
; %bb.678:                              ;   in Loop: Header=BB101_3 Depth=1
	ds_store_b32 v65, v28 offset:16128
; %bb.679:                              ;   in Loop: Header=BB101_3 Depth=1
	s_or_b32 exec_lo, exec_lo, s45
	s_wait_dscnt 0x0
	s_barrier_signal -1
	s_barrier_wait -1
	s_barrier_signal -1
	s_barrier_wait -1
	s_mov_b32 s65, exec_lo
	v_readlane_b32 s45, v87, 1
	s_and_b32 s45, s65, s45
	s_delay_alu instid0(SALU_CYCLE_1)
	s_mov_b32 exec_lo, s45
	s_cbranch_execz .LBB101_681
; %bb.680:                              ;   in Loop: Header=BB101_3 Depth=1
	ds_load_b32 v28, v38 offset:8192
	s_wait_dscnt 0x0
	ds_store_b32 v42, v28 offset:128
	ds_load_b32 v28, v38 offset:8196
	s_wait_dscnt 0x0
	ds_store_b32 v42, v28 offset:384
	;; [unrolled: 3-line block ×32, first 2 shown]
.LBB101_681:                            ;   in Loop: Header=BB101_3 Depth=1
	s_or_b32 exec_lo, exec_lo, s65
	s_wait_dscnt 0x0
	s_barrier_signal -1
	s_barrier_wait -1
	s_and_saveexec_b32 s45, s15
	s_cbranch_execz .LBB101_683
; %bb.682:                              ;   in Loop: Header=BB101_3 Depth=1
	ds_load_b64 v[28:29], v3 offset:8056
	ds_load_b32 v30, v3 offset:7800
	s_wait_dscnt 0x0
	v_mul_f32_e32 v29, v30, v29
	s_delay_alu instid0(VALU_DEP_1)
	v_mul_f32_e32 v28, v28, v29
	v_add_nc_u32_e64 v29, 0x1c00, 0
	ds_store_2addr_b32 v29, v28, v28 offset0:159 offset1:222
.LBB101_683:                            ;   in Loop: Header=BB101_3 Depth=1
	s_or_b32 exec_lo, exec_lo, s45
	v_mov_b32_e32 v28, 0
	s_wait_dscnt 0x0
	s_barrier_signal -1
	s_barrier_wait -1
	global_wb scope:SCOPE_DEV
	s_wait_storecnt 0x0
	global_inv scope:SCOPE_DEV
	s_and_saveexec_b32 s45, s2
	s_cbranch_execz .LBB101_687
; %bb.684:                              ;   in Loop: Header=BB101_3 Depth=1
	ds_load_b32 v28, v35 offset:7792
	ds_load_b32 v29, v34 offset:8056
	s_wait_dscnt 0x0
	v_fma_f32 v28, v28, v29, 0
	s_and_saveexec_b32 s46, s16
	s_cbranch_execz .LBB101_686
; %bb.685:                              ;   in Loop: Header=BB101_3 Depth=1
	ds_load_b32 v29, v36 offset:8048
	ds_load_b32 v30, v3 offset:8060
	s_wait_dscnt 0x0
	v_fmac_f32_e32 v28, v29, v30
.LBB101_686:                            ;   in Loop: Header=BB101_3 Depth=1
	s_or_b32 exec_lo, exec_lo, s46
.LBB101_687:                            ;   in Loop: Header=BB101_3 Depth=1
	s_delay_alu instid0(SALU_CYCLE_1)
	s_or_b32 exec_lo, exec_lo, s45
	s_and_saveexec_b32 s45, s90
	s_cbranch_execz .LBB101_689
; %bb.688:                              ;   in Loop: Header=BB101_3 Depth=1
	ds_load_b32 v29, v3 offset:7540
	s_wait_dscnt 0x0
	v_mul_f32_e32 v28, v28, v29
	s_delay_alu instid0(VALU_DEP_1)
	v_xor_b32_e32 v29, 0x80000000, v28
	ds_store_b32 v5, v29
.LBB101_689:                            ;   in Loop: Header=BB101_3 Depth=1
	s_or_b32 exec_lo, exec_lo, s45
	s_wait_loadcnt_dscnt 0x0
	s_barrier_signal -1
	s_barrier_wait -1
	s_and_saveexec_b32 s45, s91
	s_cbranch_execz .LBB101_691
; %bb.690:                              ;   in Loop: Header=BB101_3 Depth=1
	ds_load_b32 v29, v3 offset:7536
	ds_load_b32 v30, v5
	s_wait_dscnt 0x0
	v_fma_f32 v28, -v29, v30, v28
.LBB101_691:                            ;   in Loop: Header=BB101_3 Depth=1
	s_or_b32 exec_lo, exec_lo, s45
	s_barrier_signal -1
	s_barrier_wait -1
	s_and_saveexec_b32 s45, s91
	s_cbranch_execz .LBB101_693
; %bb.692:                              ;   in Loop: Header=BB101_3 Depth=1
	ds_load_b32 v29, v3 offset:7280
	s_wait_dscnt 0x0
	v_mul_f32_e32 v28, v28, v29
	s_delay_alu instid0(VALU_DEP_1)
	v_xor_b32_e32 v29, 0x80000000, v28
	ds_store_b32 v5, v29
.LBB101_693:                            ;   in Loop: Header=BB101_3 Depth=1
	s_or_b32 exec_lo, exec_lo, s45
	s_wait_dscnt 0x0
	s_barrier_signal -1
	s_barrier_wait -1
	s_barrier_signal -1
	s_barrier_wait -1
	s_and_saveexec_b32 s45, s2
; %bb.694:                              ;   in Loop: Header=BB101_3 Depth=1
	ds_store_b32 v37, v28 offset:8048
; %bb.695:                              ;   in Loop: Header=BB101_3 Depth=1
	s_or_b32 exec_lo, exec_lo, s45
	s_wait_dscnt 0x0
	s_barrier_signal -1
	s_barrier_wait -1
	s_barrier_signal -1
	s_barrier_wait -1
	s_and_saveexec_b32 s45, s92
	s_cbranch_execz .LBB101_697
; %bb.696:                              ;   in Loop: Header=BB101_3 Depth=1
	ds_load_b32 v28, v38 offset:7792
	s_wait_dscnt 0x0
	ds_store_b32 v36, v28 offset:7288
	ds_load_b32 v28, v38 offset:7796
	s_wait_dscnt 0x0
	ds_store_b32 v36, v28 offset:7544
.LBB101_697:                            ;   in Loop: Header=BB101_3 Depth=1
	s_or_b32 exec_lo, exec_lo, s45
	s_wait_dscnt 0x0
	s_barrier_signal -1
	s_barrier_wait -1
	s_and_saveexec_b32 s45, s15
	s_cbranch_execz .LBB101_699
; %bb.698:                              ;   in Loop: Header=BB101_3 Depth=1
	ds_load_b64 v[28:29], v3 offset:7536
	ds_load_b32 v30, v3 offset:7280
	s_wait_dscnt 0x0
	v_mul_f32_e32 v29, v30, v29
	s_delay_alu instid0(VALU_DEP_1)
	v_mul_f32_e32 v28, v28, v29
	v_add_nc_u32_e64 v29, 0x1c00, 0
	ds_store_2addr_b32 v29, v28, v28 offset0:29 offset1:92
.LBB101_699:                            ;   in Loop: Header=BB101_3 Depth=1
	s_or_b32 exec_lo, exec_lo, s45
	v_mov_b32_e32 v28, 0
	s_wait_dscnt 0x0
	s_barrier_signal -1
	s_barrier_wait -1
	global_wb scope:SCOPE_DEV
	s_wait_storecnt 0x0
	global_inv scope:SCOPE_DEV
	s_and_saveexec_b32 s65, s4
	s_cbranch_execz .LBB101_705
; %bb.700:                              ;   in Loop: Header=BB101_3 Depth=1
	ds_load_b32 v28, v41 offset:7264
	ds_load_b32 v29, v40 offset:8048
	s_wait_dscnt 0x0
	v_fma_f32 v28, v28, v29, 0
	s_and_saveexec_b32 s45, s17
	s_cbranch_execnz .LBB101_1233
; %bb.701:                              ;   in Loop: Header=BB101_3 Depth=1
	s_or_b32 exec_lo, exec_lo, s45
	s_and_saveexec_b32 s45, s18
	s_cbranch_execnz .LBB101_1234
.LBB101_702:                            ;   in Loop: Header=BB101_3 Depth=1
	s_or_b32 exec_lo, exec_lo, s45
	s_and_saveexec_b32 s45, s2
	s_cbranch_execz .LBB101_704
.LBB101_703:                            ;   in Loop: Header=BB101_3 Depth=1
	ds_load_b32 v29, v42 offset:8032
	ds_load_b32 v30, v3 offset:8060
	s_wait_dscnt 0x0
	v_fmac_f32_e32 v28, v29, v30
.LBB101_704:                            ;   in Loop: Header=BB101_3 Depth=1
	s_or_b32 exec_lo, exec_lo, s45
.LBB101_705:                            ;   in Loop: Header=BB101_3 Depth=1
	s_delay_alu instid0(SALU_CYCLE_1)
	s_or_b32 exec_lo, exec_lo, s65
	s_and_saveexec_b32 s45, s93
	s_cbranch_execz .LBB101_707
; %bb.706:                              ;   in Loop: Header=BB101_3 Depth=1
	ds_load_b32 v29, v3 offset:7020
	s_wait_dscnt 0x0
	v_mul_f32_e32 v28, v28, v29
	s_delay_alu instid0(VALU_DEP_1)
	v_xor_b32_e32 v29, 0x80000000, v28
	ds_store_b32 v39, v29
.LBB101_707:                            ;   in Loop: Header=BB101_3 Depth=1
	s_or_b32 exec_lo, exec_lo, s45
	s_wait_loadcnt_dscnt 0x0
	s_barrier_signal -1
	s_barrier_wait -1
	s_and_saveexec_b32 s45, s94
	s_cbranch_execz .LBB101_709
; %bb.708:                              ;   in Loop: Header=BB101_3 Depth=1
	ds_load_b32 v29, v41 offset:7008
	ds_load_b32 v30, v39
	s_wait_dscnt 0x0
	v_fma_f32 v28, -v29, v30, v28
.LBB101_709:                            ;   in Loop: Header=BB101_3 Depth=1
	s_or_b32 exec_lo, exec_lo, s45
	s_barrier_signal -1
	s_barrier_wait -1
	s_and_saveexec_b32 s45, s95
	s_cbranch_execz .LBB101_711
; %bb.710:                              ;   in Loop: Header=BB101_3 Depth=1
	ds_load_b32 v29, v3 offset:6760
	s_wait_dscnt 0x0
	v_mul_f32_e32 v28, v28, v29
	s_delay_alu instid0(VALU_DEP_1)
	v_xor_b32_e32 v29, 0x80000000, v28
	ds_store_b32 v39, v29
.LBB101_711:                            ;   in Loop: Header=BB101_3 Depth=1
	s_or_b32 exec_lo, exec_lo, s45
	s_wait_dscnt 0x0
	s_barrier_signal -1
	s_barrier_wait -1
	s_and_saveexec_b32 s45, s96
	s_cbranch_execz .LBB101_713
; %bb.712:                              ;   in Loop: Header=BB101_3 Depth=1
	ds_load_b32 v29, v41 offset:6752
	ds_load_b32 v30, v39
	s_wait_dscnt 0x0
	v_fma_f32 v28, -v29, v30, v28
.LBB101_713:                            ;   in Loop: Header=BB101_3 Depth=1
	s_or_b32 exec_lo, exec_lo, s45
	s_barrier_signal -1
	s_barrier_wait -1
	s_and_saveexec_b32 s45, s97
	s_cbranch_execz .LBB101_715
; %bb.714:                              ;   in Loop: Header=BB101_3 Depth=1
	ds_load_b32 v29, v3 offset:6500
	s_wait_dscnt 0x0
	v_mul_f32_e32 v28, v28, v29
	s_delay_alu instid0(VALU_DEP_1)
	v_xor_b32_e32 v29, 0x80000000, v28
	ds_store_b32 v39, v29
.LBB101_715:                            ;   in Loop: Header=BB101_3 Depth=1
	s_or_b32 exec_lo, exec_lo, s45
	s_wait_dscnt 0x0
	;; [unrolled: 25-line block ×3, first 2 shown]
	s_barrier_signal -1
	s_barrier_wait -1
	s_barrier_signal -1
	s_barrier_wait -1
	s_and_saveexec_b32 s45, s4
; %bb.720:                              ;   in Loop: Header=BB101_3 Depth=1
	ds_store_b32 v43, v28 offset:8032
; %bb.721:                              ;   in Loop: Header=BB101_3 Depth=1
	s_or_b32 exec_lo, exec_lo, s45
	s_wait_dscnt 0x0
	s_barrier_signal -1
	s_barrier_wait -1
	s_barrier_signal -1
	s_barrier_wait -1
	s_and_saveexec_b32 s45, s99
	s_cbranch_execz .LBB101_723
; %bb.722:                              ;   in Loop: Header=BB101_3 Depth=1
	ds_load_b32 v28, v7 offset:7264
	s_wait_dscnt 0x0
	ds_store_b32 v53, v28 offset:6256
	ds_load_b32 v28, v7 offset:7268
	s_wait_dscnt 0x0
	ds_store_b32 v53, v28 offset:6512
	;; [unrolled: 3-line block ×4, first 2 shown]
.LBB101_723:                            ;   in Loop: Header=BB101_3 Depth=1
	s_or_b32 exec_lo, exec_lo, s45
	s_wait_dscnt 0x0
	s_barrier_signal -1
	s_barrier_wait -1
	s_and_saveexec_b32 s45, s15
	s_cbranch_execz .LBB101_725
; %bb.724:                              ;   in Loop: Header=BB101_3 Depth=1
	ds_load_b64 v[28:29], v3 offset:7016
	ds_load_b32 v30, v3 offset:6760
	s_wait_dscnt 0x0
	v_mul_f32_e32 v29, v30, v29
	s_delay_alu instid0(VALU_DEP_1)
	v_mul_f32_e32 v28, v28, v29
	v_add_nc_u32_e64 v29, 0x1800, 0
	ds_store_2addr_b32 v29, v28, v28 offset0:155 offset1:218
.LBB101_725:                            ;   in Loop: Header=BB101_3 Depth=1
	s_or_b32 exec_lo, exec_lo, s45
	v_mov_b32_e32 v28, 0
	s_wait_dscnt 0x0
	s_barrier_signal -1
	s_barrier_wait -1
	global_wb scope:SCOPE_DEV
	s_wait_storecnt 0x0
	global_inv scope:SCOPE_DEV
	s_and_saveexec_b32 s45, s2
	s_cbranch_execz .LBB101_729
; %bb.726:                              ;   in Loop: Header=BB101_3 Depth=1
	ds_load_b32 v28, v35 offset:6752
	ds_load_b32 v29, v34 offset:7016
	s_wait_dscnt 0x0
	v_fma_f32 v28, v28, v29, 0
	s_and_saveexec_b32 s46, s16
	s_cbranch_execz .LBB101_728
; %bb.727:                              ;   in Loop: Header=BB101_3 Depth=1
	ds_load_b32 v29, v53 offset:7008
	ds_load_b32 v30, v3 offset:7020
	s_wait_dscnt 0x0
	v_fmac_f32_e32 v28, v29, v30
.LBB101_728:                            ;   in Loop: Header=BB101_3 Depth=1
	s_or_b32 exec_lo, exec_lo, s46
.LBB101_729:                            ;   in Loop: Header=BB101_3 Depth=1
	s_delay_alu instid0(SALU_CYCLE_1)
	s_or_b32 exec_lo, exec_lo, s45
	s_and_saveexec_b32 s45, s90
	s_cbranch_execz .LBB101_731
; %bb.730:                              ;   in Loop: Header=BB101_3 Depth=1
	ds_load_b32 v29, v3 offset:6500
	s_wait_dscnt 0x0
	v_mul_f32_e32 v28, v28, v29
	s_delay_alu instid0(VALU_DEP_1)
	v_xor_b32_e32 v29, 0x80000000, v28
	ds_store_b32 v5, v29
.LBB101_731:                            ;   in Loop: Header=BB101_3 Depth=1
	s_or_b32 exec_lo, exec_lo, s45
	s_wait_loadcnt_dscnt 0x0
	s_barrier_signal -1
	s_barrier_wait -1
	s_and_saveexec_b32 s45, s91
	s_cbranch_execz .LBB101_733
; %bb.732:                              ;   in Loop: Header=BB101_3 Depth=1
	ds_load_b32 v29, v3 offset:6496
	ds_load_b32 v30, v5
	s_wait_dscnt 0x0
	v_fma_f32 v28, -v29, v30, v28
.LBB101_733:                            ;   in Loop: Header=BB101_3 Depth=1
	s_or_b32 exec_lo, exec_lo, s45
	s_barrier_signal -1
	s_barrier_wait -1
	s_and_saveexec_b32 s45, s91
	s_cbranch_execz .LBB101_735
; %bb.734:                              ;   in Loop: Header=BB101_3 Depth=1
	ds_load_b32 v29, v3 offset:6240
	s_wait_dscnt 0x0
	v_mul_f32_e32 v28, v28, v29
	s_delay_alu instid0(VALU_DEP_1)
	v_xor_b32_e32 v29, 0x80000000, v28
	ds_store_b32 v5, v29
.LBB101_735:                            ;   in Loop: Header=BB101_3 Depth=1
	s_or_b32 exec_lo, exec_lo, s45
	s_wait_dscnt 0x0
	s_barrier_signal -1
	s_barrier_wait -1
	s_barrier_signal -1
	s_barrier_wait -1
	s_and_saveexec_b32 s45, s2
; %bb.736:                              ;   in Loop: Header=BB101_3 Depth=1
	ds_store_b32 v37, v28 offset:7008
; %bb.737:                              ;   in Loop: Header=BB101_3 Depth=1
	s_or_b32 exec_lo, exec_lo, s45
	s_wait_dscnt 0x0
	s_barrier_signal -1
	s_barrier_wait -1
	s_barrier_signal -1
	s_barrier_wait -1
	s_and_saveexec_b32 s45, s92
	s_cbranch_execz .LBB101_739
; %bb.738:                              ;   in Loop: Header=BB101_3 Depth=1
	ds_load_b32 v28, v54 offset:6752
	s_wait_dscnt 0x0
	ds_store_b32 v53, v28 offset:6248
	ds_load_b32 v28, v54 offset:6756
	s_wait_dscnt 0x0
	ds_store_b32 v53, v28 offset:6504
.LBB101_739:                            ;   in Loop: Header=BB101_3 Depth=1
	s_or_b32 exec_lo, exec_lo, s45
	s_wait_dscnt 0x0
	s_barrier_signal -1
	s_barrier_wait -1
	s_and_saveexec_b32 s45, s15
	s_cbranch_execz .LBB101_741
; %bb.740:                              ;   in Loop: Header=BB101_3 Depth=1
	ds_load_b64 v[28:29], v3 offset:6496
	ds_load_b32 v30, v3 offset:6240
	s_wait_dscnt 0x0
	v_mul_f32_e32 v29, v30, v29
	s_delay_alu instid0(VALU_DEP_1)
	v_mul_f32_e32 v28, v28, v29
	v_add_nc_u32_e64 v29, 0x1800, 0
	ds_store_2addr_b32 v29, v28, v28 offset0:25 offset1:88
.LBB101_741:                            ;   in Loop: Header=BB101_3 Depth=1
	s_or_b32 exec_lo, exec_lo, s45
	v_mov_b32_e32 v28, 0
	s_wait_dscnt 0x0
	s_barrier_signal -1
	s_barrier_wait -1
	global_wb scope:SCOPE_DEV
	s_wait_storecnt 0x0
	global_inv scope:SCOPE_DEV
	s_and_saveexec_b32 s65, s5
	s_cbranch_execz .LBB101_751
; %bb.742:                              ;   in Loop: Header=BB101_3 Depth=1
	ds_load_b32 v28, v46 offset:6208
	ds_load_b32 v29, v45 offset:8032
	s_wait_dscnt 0x0
	v_fma_f32 v28, v28, v29, 0
	s_and_saveexec_b32 s45, s19
	s_cbranch_execnz .LBB101_1235
; %bb.743:                              ;   in Loop: Header=BB101_3 Depth=1
	s_or_b32 exec_lo, exec_lo, s45
	s_and_saveexec_b32 s45, s20
	s_cbranch_execnz .LBB101_1236
.LBB101_744:                            ;   in Loop: Header=BB101_3 Depth=1
	s_or_b32 exec_lo, exec_lo, s45
	s_and_saveexec_b32 s45, s21
	s_cbranch_execnz .LBB101_1237
.LBB101_745:                            ;   in Loop: Header=BB101_3 Depth=1
	s_or_b32 exec_lo, exec_lo, s45
	s_and_saveexec_b32 s45, s22
	s_cbranch_execnz .LBB101_1238
.LBB101_746:                            ;   in Loop: Header=BB101_3 Depth=1
	s_or_b32 exec_lo, exec_lo, s45
	s_and_saveexec_b32 s45, s23
	s_cbranch_execnz .LBB101_1239
.LBB101_747:                            ;   in Loop: Header=BB101_3 Depth=1
	s_or_b32 exec_lo, exec_lo, s45
	s_and_saveexec_b32 s45, s4
	s_cbranch_execnz .LBB101_1240
.LBB101_748:                            ;   in Loop: Header=BB101_3 Depth=1
	s_or_b32 exec_lo, exec_lo, s45
	s_and_saveexec_b32 s45, s18
	s_cbranch_execz .LBB101_750
.LBB101_749:                            ;   in Loop: Header=BB101_3 Depth=1
	ds_load_b32 v29, v55 offset:8000
	ds_load_b32 v30, v3 offset:8060
	s_wait_dscnt 0x0
	v_fmac_f32_e32 v28, v29, v30
.LBB101_750:                            ;   in Loop: Header=BB101_3 Depth=1
	s_or_b32 exec_lo, exec_lo, s45
.LBB101_751:                            ;   in Loop: Header=BB101_3 Depth=1
	s_delay_alu instid0(SALU_CYCLE_1)
	s_or_b32 exec_lo, exec_lo, s65
	s_and_saveexec_b32 s45, s100
	s_cbranch_execz .LBB101_753
; %bb.752:                              ;   in Loop: Header=BB101_3 Depth=1
	ds_load_b32 v29, v3 offset:5980
	s_wait_dscnt 0x0
	v_mul_f32_e32 v28, v28, v29
	s_delay_alu instid0(VALU_DEP_1)
	v_xor_b32_e32 v29, 0x80000000, v28
	ds_store_b32 v44, v29
.LBB101_753:                            ;   in Loop: Header=BB101_3 Depth=1
	s_or_b32 exec_lo, exec_lo, s45
	s_wait_loadcnt_dscnt 0x0
	s_barrier_signal -1
	s_barrier_wait -1
	s_and_saveexec_b32 s45, s101
	s_cbranch_execz .LBB101_755
; %bb.754:                              ;   in Loop: Header=BB101_3 Depth=1
	ds_load_b32 v29, v46 offset:5952
	ds_load_b32 v30, v44
	s_wait_dscnt 0x0
	v_fma_f32 v28, -v29, v30, v28
.LBB101_755:                            ;   in Loop: Header=BB101_3 Depth=1
	s_or_b32 exec_lo, exec_lo, s45
	s_barrier_signal -1
	s_barrier_wait -1
	s_and_saveexec_b32 s45, s102
	s_cbranch_execz .LBB101_757
; %bb.756:                              ;   in Loop: Header=BB101_3 Depth=1
	ds_load_b32 v29, v3 offset:5720
	s_wait_dscnt 0x0
	v_mul_f32_e32 v28, v28, v29
	s_delay_alu instid0(VALU_DEP_1)
	v_xor_b32_e32 v29, 0x80000000, v28
	ds_store_b32 v44, v29
.LBB101_757:                            ;   in Loop: Header=BB101_3 Depth=1
	s_or_b32 exec_lo, exec_lo, s45
	s_wait_dscnt 0x0
	s_barrier_signal -1
	s_barrier_wait -1
	s_and_saveexec_b32 s45, s103
	s_cbranch_execz .LBB101_759
; %bb.758:                              ;   in Loop: Header=BB101_3 Depth=1
	ds_load_b32 v29, v46 offset:5696
	ds_load_b32 v30, v44
	s_wait_dscnt 0x0
	v_fma_f32 v28, -v29, v30, v28
.LBB101_759:                            ;   in Loop: Header=BB101_3 Depth=1
	s_or_b32 exec_lo, exec_lo, s45
	s_barrier_signal -1
	s_barrier_wait -1
	s_and_saveexec_b32 s45, s104
	s_cbranch_execz .LBB101_761
; %bb.760:                              ;   in Loop: Header=BB101_3 Depth=1
	ds_load_b32 v29, v3 offset:5460
	s_wait_dscnt 0x0
	v_mul_f32_e32 v28, v28, v29
	s_delay_alu instid0(VALU_DEP_1)
	v_xor_b32_e32 v29, 0x80000000, v28
	ds_store_b32 v44, v29
.LBB101_761:                            ;   in Loop: Header=BB101_3 Depth=1
	s_or_b32 exec_lo, exec_lo, s45
	s_wait_dscnt 0x0
	s_barrier_signal -1
	s_barrier_wait -1
	s_and_saveexec_b32 s45, vcc_hi
	s_cbranch_execz .LBB101_763
; %bb.762:                              ;   in Loop: Header=BB101_3 Depth=1
	ds_load_b32 v29, v46 offset:5440
	ds_load_b32 v30, v44
	s_wait_dscnt 0x0
	v_fma_f32 v28, -v29, v30, v28
.LBB101_763:                            ;   in Loop: Header=BB101_3 Depth=1
	s_or_b32 exec_lo, exec_lo, s45
	s_barrier_signal -1
	s_barrier_wait -1
	s_and_saveexec_b32 s45, s36
	s_cbranch_execz .LBB101_765
; %bb.764:                              ;   in Loop: Header=BB101_3 Depth=1
	ds_load_b32 v29, v3 offset:5200
	s_wait_dscnt 0x0
	v_mul_f32_e32 v28, v28, v29
	s_delay_alu instid0(VALU_DEP_1)
	v_xor_b32_e32 v29, 0x80000000, v28
	ds_store_b32 v44, v29
.LBB101_765:                            ;   in Loop: Header=BB101_3 Depth=1
	s_or_b32 exec_lo, exec_lo, s45
	s_wait_dscnt 0x0
	s_barrier_signal -1
	s_barrier_wait -1
	s_and_saveexec_b32 s45, s37
	s_cbranch_execz .LBB101_767
; %bb.766:                              ;   in Loop: Header=BB101_3 Depth=1
	ds_load_b32 v29, v46 offset:5184
	ds_load_b32 v30, v44
	s_wait_dscnt 0x0
	v_fma_f32 v28, -v29, v30, v28
.LBB101_767:                            ;   in Loop: Header=BB101_3 Depth=1
	s_or_b32 exec_lo, exec_lo, s45
	s_barrier_signal -1
	s_barrier_wait -1
	s_and_saveexec_b32 s45, s38
	s_cbranch_execz .LBB101_769
; %bb.768:                              ;   in Loop: Header=BB101_3 Depth=1
	ds_load_b32 v29, v3 offset:4940
	s_wait_dscnt 0x0
	v_mul_f32_e32 v28, v28, v29
	s_delay_alu instid0(VALU_DEP_1)
	v_xor_b32_e32 v29, 0x80000000, v28
	ds_store_b32 v44, v29
.LBB101_769:                            ;   in Loop: Header=BB101_3 Depth=1
	s_or_b32 exec_lo, exec_lo, s45
	s_wait_dscnt 0x0
	s_barrier_signal -1
	s_barrier_wait -1
	s_and_saveexec_b32 s45, s39
	;; [unrolled: 25-line block ×4, first 2 shown]
	s_cbranch_execz .LBB101_779
; %bb.778:                              ;   in Loop: Header=BB101_3 Depth=1
	ds_load_b32 v29, v3 offset:4416
	ds_load_b32 v30, v44
	s_wait_dscnt 0x0
	v_fma_f32 v28, -v29, v30, v28
.LBB101_779:                            ;   in Loop: Header=BB101_3 Depth=1
	s_or_b32 exec_lo, exec_lo, s45
	s_barrier_signal -1
	s_barrier_wait -1
	s_and_saveexec_b32 s45, s43
	s_cbranch_execz .LBB101_781
; %bb.780:                              ;   in Loop: Header=BB101_3 Depth=1
	ds_load_b32 v29, v3 offset:4160
	s_wait_dscnt 0x0
	v_mul_f32_e32 v28, v28, v29
	s_delay_alu instid0(VALU_DEP_1)
	v_xor_b32_e32 v29, 0x80000000, v28
	ds_store_b32 v44, v29
.LBB101_781:                            ;   in Loop: Header=BB101_3 Depth=1
	s_or_b32 exec_lo, exec_lo, s45
	s_wait_dscnt 0x0
	s_barrier_signal -1
	s_barrier_wait -1
	s_barrier_signal -1
	s_barrier_wait -1
	s_and_saveexec_b32 s45, s5
; %bb.782:                              ;   in Loop: Header=BB101_3 Depth=1
	ds_store_b32 v47, v28 offset:8000
; %bb.783:                              ;   in Loop: Header=BB101_3 Depth=1
	s_or_b32 exec_lo, exec_lo, s45
	s_wait_dscnt 0x0
	s_barrier_signal -1
	s_barrier_wait -1
	s_barrier_signal -1
	s_barrier_wait -1
	s_and_saveexec_b32 s45, s44
	s_cbranch_execz .LBB101_785
; %bb.784:                              ;   in Loop: Header=BB101_3 Depth=1
	ds_load_b32 v28, v56 offset:6208
	s_wait_dscnt 0x0
	ds_store_b32 v57, v28 offset:4192
	ds_load_b32 v28, v56 offset:6212
	s_wait_dscnt 0x0
	ds_store_b32 v57, v28 offset:4448
	;; [unrolled: 3-line block ×8, first 2 shown]
.LBB101_785:                            ;   in Loop: Header=BB101_3 Depth=1
	s_or_b32 exec_lo, exec_lo, s45
	s_wait_dscnt 0x0
	s_barrier_signal -1
	s_barrier_wait -1
	s_and_saveexec_b32 s45, s15
	s_cbranch_execz .LBB101_787
; %bb.786:                              ;   in Loop: Header=BB101_3 Depth=1
	ds_load_b64 v[28:29], v3 offset:5976
	ds_load_b32 v30, v3 offset:5720
	s_wait_dscnt 0x0
	v_mul_f32_e32 v29, v30, v29
	s_delay_alu instid0(VALU_DEP_1)
	v_mul_f32_e32 v28, v28, v29
	v_add_nc_u32_e64 v29, 0x1400, 0
	ds_store_2addr_b32 v29, v28, v28 offset0:151 offset1:214
.LBB101_787:                            ;   in Loop: Header=BB101_3 Depth=1
	s_or_b32 exec_lo, exec_lo, s45
	v_mov_b32_e32 v28, 0
	s_wait_dscnt 0x0
	s_barrier_signal -1
	s_barrier_wait -1
	global_wb scope:SCOPE_DEV
	s_wait_storecnt 0x0
	global_inv scope:SCOPE_DEV
	s_and_saveexec_b32 s45, s2
	s_cbranch_execz .LBB101_791
; %bb.788:                              ;   in Loop: Header=BB101_3 Depth=1
	ds_load_b32 v28, v35 offset:5712
	ds_load_b32 v29, v34 offset:5976
	s_wait_dscnt 0x0
	v_fma_f32 v28, v28, v29, 0
	s_and_saveexec_b32 s46, s16
	s_cbranch_execz .LBB101_790
; %bb.789:                              ;   in Loop: Header=BB101_3 Depth=1
	ds_load_b32 v29, v57 offset:5968
	ds_load_b32 v30, v3 offset:5980
	s_wait_dscnt 0x0
	v_fmac_f32_e32 v28, v29, v30
.LBB101_790:                            ;   in Loop: Header=BB101_3 Depth=1
	s_or_b32 exec_lo, exec_lo, s46
.LBB101_791:                            ;   in Loop: Header=BB101_3 Depth=1
	s_delay_alu instid0(SALU_CYCLE_1)
	s_or_b32 exec_lo, exec_lo, s45
	s_and_saveexec_b32 s45, s90
	s_cbranch_execz .LBB101_793
; %bb.792:                              ;   in Loop: Header=BB101_3 Depth=1
	ds_load_b32 v29, v3 offset:5460
	s_wait_dscnt 0x0
	v_mul_f32_e32 v28, v28, v29
	s_delay_alu instid0(VALU_DEP_1)
	v_xor_b32_e32 v29, 0x80000000, v28
	ds_store_b32 v5, v29
.LBB101_793:                            ;   in Loop: Header=BB101_3 Depth=1
	s_or_b32 exec_lo, exec_lo, s45
	s_wait_loadcnt_dscnt 0x0
	s_barrier_signal -1
	s_barrier_wait -1
	s_and_saveexec_b32 s45, s91
	s_cbranch_execz .LBB101_795
; %bb.794:                              ;   in Loop: Header=BB101_3 Depth=1
	ds_load_b32 v29, v3 offset:5456
	ds_load_b32 v30, v5
	s_wait_dscnt 0x0
	v_fma_f32 v28, -v29, v30, v28
.LBB101_795:                            ;   in Loop: Header=BB101_3 Depth=1
	s_or_b32 exec_lo, exec_lo, s45
	s_barrier_signal -1
	s_barrier_wait -1
	s_and_saveexec_b32 s45, s91
	s_cbranch_execz .LBB101_797
; %bb.796:                              ;   in Loop: Header=BB101_3 Depth=1
	ds_load_b32 v29, v3 offset:5200
	s_wait_dscnt 0x0
	v_mul_f32_e32 v28, v28, v29
	s_delay_alu instid0(VALU_DEP_1)
	v_xor_b32_e32 v29, 0x80000000, v28
	ds_store_b32 v5, v29
.LBB101_797:                            ;   in Loop: Header=BB101_3 Depth=1
	s_or_b32 exec_lo, exec_lo, s45
	s_wait_dscnt 0x0
	s_barrier_signal -1
	s_barrier_wait -1
	s_barrier_signal -1
	s_barrier_wait -1
	s_and_saveexec_b32 s45, s2
; %bb.798:                              ;   in Loop: Header=BB101_3 Depth=1
	ds_store_b32 v37, v28 offset:5968
; %bb.799:                              ;   in Loop: Header=BB101_3 Depth=1
	s_or_b32 exec_lo, exec_lo, s45
	s_wait_dscnt 0x0
	s_barrier_signal -1
	s_barrier_wait -1
	s_barrier_signal -1
	s_barrier_wait -1
	s_and_saveexec_b32 s45, s92
	s_cbranch_execz .LBB101_801
; %bb.800:                              ;   in Loop: Header=BB101_3 Depth=1
	ds_load_b32 v28, v58 offset:5712
	s_wait_dscnt 0x0
	ds_store_b32 v57, v28 offset:5208
	ds_load_b32 v28, v58 offset:5716
	s_wait_dscnt 0x0
	ds_store_b32 v57, v28 offset:5464
.LBB101_801:                            ;   in Loop: Header=BB101_3 Depth=1
	s_or_b32 exec_lo, exec_lo, s45
	s_wait_dscnt 0x0
	s_barrier_signal -1
	s_barrier_wait -1
	s_and_saveexec_b32 s45, s15
	s_cbranch_execz .LBB101_803
; %bb.802:                              ;   in Loop: Header=BB101_3 Depth=1
	ds_load_b64 v[28:29], v3 offset:5456
	ds_load_b32 v30, v3 offset:5200
	s_wait_dscnt 0x0
	v_mul_f32_e32 v29, v30, v29
	s_delay_alu instid0(VALU_DEP_1)
	v_mul_f32_e32 v28, v28, v29
	v_add_nc_u32_e64 v29, 0x1400, 0
	ds_store_2addr_b32 v29, v28, v28 offset0:21 offset1:84
.LBB101_803:                            ;   in Loop: Header=BB101_3 Depth=1
	s_or_b32 exec_lo, exec_lo, s45
	v_mov_b32_e32 v28, 0
	s_wait_dscnt 0x0
	s_barrier_signal -1
	s_barrier_wait -1
	global_wb scope:SCOPE_DEV
	s_wait_storecnt 0x0
	global_inv scope:SCOPE_DEV
	s_and_saveexec_b32 s65, s4
	s_cbranch_execz .LBB101_809
; %bb.804:                              ;   in Loop: Header=BB101_3 Depth=1
	ds_load_b32 v28, v41 offset:5184
	ds_load_b32 v29, v40 offset:5968
	s_wait_dscnt 0x0
	v_fma_f32 v28, v28, v29, 0
	s_and_saveexec_b32 s45, s17
	s_cbranch_execnz .LBB101_1241
; %bb.805:                              ;   in Loop: Header=BB101_3 Depth=1
	s_or_b32 exec_lo, exec_lo, s45
	s_and_saveexec_b32 s45, s18
	s_cbranch_execnz .LBB101_1242
.LBB101_806:                            ;   in Loop: Header=BB101_3 Depth=1
	s_or_b32 exec_lo, exec_lo, s45
	s_and_saveexec_b32 s45, s2
	s_cbranch_execz .LBB101_808
.LBB101_807:                            ;   in Loop: Header=BB101_3 Depth=1
	ds_load_b32 v29, v59 offset:5952
	ds_load_b32 v30, v3 offset:5980
	s_wait_dscnt 0x0
	v_fmac_f32_e32 v28, v29, v30
.LBB101_808:                            ;   in Loop: Header=BB101_3 Depth=1
	s_or_b32 exec_lo, exec_lo, s45
.LBB101_809:                            ;   in Loop: Header=BB101_3 Depth=1
	s_delay_alu instid0(SALU_CYCLE_1)
	s_or_b32 exec_lo, exec_lo, s65
	s_and_saveexec_b32 s45, s93
	s_cbranch_execz .LBB101_811
; %bb.810:                              ;   in Loop: Header=BB101_3 Depth=1
	ds_load_b32 v29, v3 offset:4940
	s_wait_dscnt 0x0
	v_mul_f32_e32 v28, v28, v29
	s_delay_alu instid0(VALU_DEP_1)
	v_xor_b32_e32 v29, 0x80000000, v28
	ds_store_b32 v39, v29
.LBB101_811:                            ;   in Loop: Header=BB101_3 Depth=1
	s_or_b32 exec_lo, exec_lo, s45
	s_wait_loadcnt_dscnt 0x0
	s_barrier_signal -1
	s_barrier_wait -1
	s_and_saveexec_b32 s45, s94
	s_cbranch_execz .LBB101_813
; %bb.812:                              ;   in Loop: Header=BB101_3 Depth=1
	ds_load_b32 v29, v41 offset:4928
	ds_load_b32 v30, v39
	s_wait_dscnt 0x0
	v_fma_f32 v28, -v29, v30, v28
.LBB101_813:                            ;   in Loop: Header=BB101_3 Depth=1
	s_or_b32 exec_lo, exec_lo, s45
	s_barrier_signal -1
	s_barrier_wait -1
	s_and_saveexec_b32 s45, s95
	s_cbranch_execz .LBB101_815
; %bb.814:                              ;   in Loop: Header=BB101_3 Depth=1
	ds_load_b32 v29, v3 offset:4680
	s_wait_dscnt 0x0
	v_mul_f32_e32 v28, v28, v29
	s_delay_alu instid0(VALU_DEP_1)
	v_xor_b32_e32 v29, 0x80000000, v28
	ds_store_b32 v39, v29
.LBB101_815:                            ;   in Loop: Header=BB101_3 Depth=1
	s_or_b32 exec_lo, exec_lo, s45
	s_wait_dscnt 0x0
	s_barrier_signal -1
	s_barrier_wait -1
	s_and_saveexec_b32 s45, s96
	s_cbranch_execz .LBB101_817
; %bb.816:                              ;   in Loop: Header=BB101_3 Depth=1
	ds_load_b32 v29, v41 offset:4672
	ds_load_b32 v30, v39
	s_wait_dscnt 0x0
	v_fma_f32 v28, -v29, v30, v28
.LBB101_817:                            ;   in Loop: Header=BB101_3 Depth=1
	s_or_b32 exec_lo, exec_lo, s45
	s_barrier_signal -1
	s_barrier_wait -1
	s_and_saveexec_b32 s45, s97
	s_cbranch_execz .LBB101_819
; %bb.818:                              ;   in Loop: Header=BB101_3 Depth=1
	ds_load_b32 v29, v3 offset:4420
	s_wait_dscnt 0x0
	v_mul_f32_e32 v28, v28, v29
	s_delay_alu instid0(VALU_DEP_1)
	v_xor_b32_e32 v29, 0x80000000, v28
	ds_store_b32 v39, v29
.LBB101_819:                            ;   in Loop: Header=BB101_3 Depth=1
	s_or_b32 exec_lo, exec_lo, s45
	s_wait_dscnt 0x0
	;; [unrolled: 25-line block ×3, first 2 shown]
	s_barrier_signal -1
	s_barrier_wait -1
	s_barrier_signal -1
	s_barrier_wait -1
	s_and_saveexec_b32 s45, s4
; %bb.824:                              ;   in Loop: Header=BB101_3 Depth=1
	ds_store_b32 v43, v28 offset:5952
; %bb.825:                              ;   in Loop: Header=BB101_3 Depth=1
	s_or_b32 exec_lo, exec_lo, s45
	s_wait_dscnt 0x0
	s_barrier_signal -1
	s_barrier_wait -1
	s_barrier_signal -1
	s_barrier_wait -1
	s_and_saveexec_b32 s45, s99
	s_cbranch_execz .LBB101_827
; %bb.826:                              ;   in Loop: Header=BB101_3 Depth=1
	ds_load_b32 v28, v60 offset:5184
	s_wait_dscnt 0x0
	ds_store_b32 v61, v28 offset:4176
	ds_load_b32 v28, v60 offset:5188
	s_wait_dscnt 0x0
	ds_store_b32 v61, v28 offset:4432
	;; [unrolled: 3-line block ×4, first 2 shown]
.LBB101_827:                            ;   in Loop: Header=BB101_3 Depth=1
	s_or_b32 exec_lo, exec_lo, s45
	s_wait_dscnt 0x0
	s_barrier_signal -1
	s_barrier_wait -1
	s_and_saveexec_b32 s45, s15
	s_cbranch_execz .LBB101_829
; %bb.828:                              ;   in Loop: Header=BB101_3 Depth=1
	ds_load_b64 v[28:29], v3 offset:4936
	ds_load_b32 v30, v3 offset:4680
	s_wait_dscnt 0x0
	v_mul_f32_e32 v29, v30, v29
	s_delay_alu instid0(VALU_DEP_1)
	v_mul_f32_e32 v28, v28, v29
	v_add_nc_u32_e64 v29, 0x1000, 0
	ds_store_2addr_b32 v29, v28, v28 offset0:147 offset1:210
.LBB101_829:                            ;   in Loop: Header=BB101_3 Depth=1
	s_or_b32 exec_lo, exec_lo, s45
	v_mov_b32_e32 v28, 0
	s_wait_dscnt 0x0
	s_barrier_signal -1
	s_barrier_wait -1
	global_wb scope:SCOPE_DEV
	s_wait_storecnt 0x0
	global_inv scope:SCOPE_DEV
	s_and_saveexec_b32 s45, s2
	s_cbranch_execz .LBB101_833
; %bb.830:                              ;   in Loop: Header=BB101_3 Depth=1
	ds_load_b32 v28, v35 offset:4672
	ds_load_b32 v29, v34 offset:4936
	s_wait_dscnt 0x0
	v_fma_f32 v28, v28, v29, 0
	s_and_saveexec_b32 s46, s16
	s_cbranch_execz .LBB101_832
; %bb.831:                              ;   in Loop: Header=BB101_3 Depth=1
	ds_load_b32 v29, v61 offset:4928
	ds_load_b32 v30, v3 offset:4940
	s_wait_dscnt 0x0
	v_fmac_f32_e32 v28, v29, v30
.LBB101_832:                            ;   in Loop: Header=BB101_3 Depth=1
	s_or_b32 exec_lo, exec_lo, s46
.LBB101_833:                            ;   in Loop: Header=BB101_3 Depth=1
	s_delay_alu instid0(SALU_CYCLE_1)
	s_or_b32 exec_lo, exec_lo, s45
	s_and_saveexec_b32 s45, s90
	s_cbranch_execz .LBB101_835
; %bb.834:                              ;   in Loop: Header=BB101_3 Depth=1
	ds_load_b32 v29, v3 offset:4420
	s_wait_dscnt 0x0
	v_mul_f32_e32 v28, v28, v29
	s_delay_alu instid0(VALU_DEP_1)
	v_xor_b32_e32 v29, 0x80000000, v28
	ds_store_b32 v5, v29
.LBB101_835:                            ;   in Loop: Header=BB101_3 Depth=1
	s_or_b32 exec_lo, exec_lo, s45
	s_wait_loadcnt_dscnt 0x0
	s_barrier_signal -1
	s_barrier_wait -1
	s_and_saveexec_b32 s45, s91
	s_cbranch_execz .LBB101_837
; %bb.836:                              ;   in Loop: Header=BB101_3 Depth=1
	ds_load_b32 v29, v3 offset:4416
	ds_load_b32 v30, v5
	s_wait_dscnt 0x0
	v_fma_f32 v28, -v29, v30, v28
.LBB101_837:                            ;   in Loop: Header=BB101_3 Depth=1
	s_or_b32 exec_lo, exec_lo, s45
	s_barrier_signal -1
	s_barrier_wait -1
	s_and_saveexec_b32 s45, s91
	s_cbranch_execz .LBB101_839
; %bb.838:                              ;   in Loop: Header=BB101_3 Depth=1
	ds_load_b32 v29, v3 offset:4160
	s_wait_dscnt 0x0
	v_mul_f32_e32 v28, v28, v29
	s_delay_alu instid0(VALU_DEP_1)
	v_xor_b32_e32 v29, 0x80000000, v28
	ds_store_b32 v5, v29
.LBB101_839:                            ;   in Loop: Header=BB101_3 Depth=1
	s_or_b32 exec_lo, exec_lo, s45
	s_wait_dscnt 0x0
	s_barrier_signal -1
	s_barrier_wait -1
	s_barrier_signal -1
	s_barrier_wait -1
	s_and_saveexec_b32 s45, s2
; %bb.840:                              ;   in Loop: Header=BB101_3 Depth=1
	ds_store_b32 v37, v28 offset:4928
; %bb.841:                              ;   in Loop: Header=BB101_3 Depth=1
	s_or_b32 exec_lo, exec_lo, s45
	s_wait_dscnt 0x0
	s_barrier_signal -1
	s_barrier_wait -1
	s_barrier_signal -1
	s_barrier_wait -1
	s_and_saveexec_b32 s45, s92
	s_cbranch_execz .LBB101_843
; %bb.842:                              ;   in Loop: Header=BB101_3 Depth=1
	ds_load_b32 v28, v62 offset:4672
	s_wait_dscnt 0x0
	ds_store_b32 v61, v28 offset:4168
	ds_load_b32 v28, v62 offset:4676
	s_wait_dscnt 0x0
	ds_store_b32 v61, v28 offset:4424
.LBB101_843:                            ;   in Loop: Header=BB101_3 Depth=1
	s_or_b32 exec_lo, exec_lo, s45
	s_wait_dscnt 0x0
	s_barrier_signal -1
	s_barrier_wait -1
	s_and_saveexec_b32 s45, s15
	s_cbranch_execz .LBB101_845
; %bb.844:                              ;   in Loop: Header=BB101_3 Depth=1
	ds_load_b64 v[28:29], v3 offset:4416
	ds_load_b32 v30, v3 offset:4160
	s_wait_dscnt 0x0
	v_mul_f32_e32 v29, v30, v29
	s_delay_alu instid0(VALU_DEP_1)
	v_mul_f32_e32 v28, v28, v29
	v_add_nc_u32_e64 v29, 0x1000, 0
	ds_store_2addr_b32 v29, v28, v28 offset0:17 offset1:80
.LBB101_845:                            ;   in Loop: Header=BB101_3 Depth=1
	s_or_b32 exec_lo, exec_lo, s45
	v_mov_b32_e32 v28, 0
	s_wait_dscnt 0x0
	s_barrier_signal -1
	s_barrier_wait -1
	global_wb scope:SCOPE_DEV
	s_wait_storecnt 0x0
	global_inv scope:SCOPE_DEV
	s_and_saveexec_b32 s65, s6
	s_cbranch_execz .LBB101_873
; %bb.846:                              ;   in Loop: Header=BB101_3 Depth=1
	ds_load_b32 v28, v50 offset:4096
	ds_load_b32 v29, v49 offset:8000
	s_wait_dscnt 0x0
	v_fma_f32 v28, v28, v29, 0
	s_mov_b32 s45, exec_lo
	v_readlane_b32 s46, v87, 20
	s_and_b32 s46, s45, s46
	s_delay_alu instid0(SALU_CYCLE_1)
	s_mov_b32 exec_lo, s46
	s_cbranch_execz .LBB101_848
; %bb.847:                              ;   in Loop: Header=BB101_3 Depth=1
	ds_load_b32 v29, v50 offset:4352
	ds_load_b32 v30, v49 offset:8004
	s_wait_dscnt 0x0
	v_fmac_f32_e32 v28, v29, v30
.LBB101_848:                            ;   in Loop: Header=BB101_3 Depth=1
	s_or_b32 exec_lo, exec_lo, s45
	s_delay_alu instid0(SALU_CYCLE_1) | instskip(SKIP_2) | instid1(SALU_CYCLE_1)
	s_mov_b32 s45, exec_lo
	v_readlane_b32 s46, v87, 21
	s_and_b32 s46, s45, s46
	s_mov_b32 exec_lo, s46
	s_cbranch_execz .LBB101_850
; %bb.849:                              ;   in Loop: Header=BB101_3 Depth=1
	ds_load_b32 v29, v50 offset:4608
	ds_load_b32 v30, v49 offset:8008
	s_wait_dscnt 0x0
	v_fmac_f32_e32 v28, v29, v30
.LBB101_850:                            ;   in Loop: Header=BB101_3 Depth=1
	s_or_b32 exec_lo, exec_lo, s45
	s_delay_alu instid0(SALU_CYCLE_1) | instskip(SKIP_2) | instid1(SALU_CYCLE_1)
	s_mov_b32 s45, exec_lo
	v_readlane_b32 s46, v87, 22
	s_and_b32 s46, s45, s46
	;; [unrolled: 13-line block ×10, first 2 shown]
	s_mov_b32 exec_lo, s46
	s_cbranch_execnz .LBB101_1243
; %bb.867:                              ;   in Loop: Header=BB101_3 Depth=1
	s_or_b32 exec_lo, exec_lo, s45
	s_and_saveexec_b32 s45, s5
	s_cbranch_execnz .LBB101_1244
.LBB101_868:                            ;   in Loop: Header=BB101_3 Depth=1
	s_or_b32 exec_lo, exec_lo, s45
	s_and_saveexec_b32 s45, s20
	s_cbranch_execnz .LBB101_1245
.LBB101_869:                            ;   in Loop: Header=BB101_3 Depth=1
	s_or_b32 exec_lo, exec_lo, s45
	s_and_saveexec_b32 s45, s22
	s_cbranch_execnz .LBB101_1246
.LBB101_870:                            ;   in Loop: Header=BB101_3 Depth=1
	s_or_b32 exec_lo, exec_lo, s45
	s_and_saveexec_b32 s45, s4
	s_cbranch_execz .LBB101_872
.LBB101_871:                            ;   in Loop: Header=BB101_3 Depth=1
	ds_load_b32 v29, v36 offset:7936
	ds_load_b32 v30, v3 offset:8060
	s_wait_dscnt 0x0
	v_fmac_f32_e32 v28, v29, v30
.LBB101_872:                            ;   in Loop: Header=BB101_3 Depth=1
	s_or_b32 exec_lo, exec_lo, s45
.LBB101_873:                            ;   in Loop: Header=BB101_3 Depth=1
	s_delay_alu instid0(SALU_CYCLE_1) | instskip(NEXT) | instid1(SALU_CYCLE_1)
	s_or_b32 exec_lo, exec_lo, s65
	s_mov_b32 s45, exec_lo
	v_readlane_b32 s46, v89, 2
	s_and_b32 s46, s45, s46
	s_delay_alu instid0(SALU_CYCLE_1)
	s_mov_b32 exec_lo, s46
	s_cbranch_execz .LBB101_875
; %bb.874:                              ;   in Loop: Header=BB101_3 Depth=1
	ds_load_b32 v29, v3 offset:3900
	s_wait_dscnt 0x0
	v_mul_f32_e32 v28, v28, v29
	s_delay_alu instid0(VALU_DEP_1)
	v_xor_b32_e32 v29, 0x80000000, v28
	ds_store_b32 v48, v29
.LBB101_875:                            ;   in Loop: Header=BB101_3 Depth=1
	s_or_b32 exec_lo, exec_lo, s45
	s_wait_loadcnt_dscnt 0x0
	s_barrier_signal -1
	s_barrier_wait -1
	s_mov_b32 s45, exec_lo
	v_readlane_b32 s46, v89, 3
	s_and_b32 s46, s45, s46
	s_delay_alu instid0(SALU_CYCLE_1)
	s_mov_b32 exec_lo, s46
	s_cbranch_execz .LBB101_877
; %bb.876:                              ;   in Loop: Header=BB101_3 Depth=1
	ds_load_b32 v29, v50 offset:3840
	ds_load_b32 v30, v48
	s_wait_dscnt 0x0
	v_fma_f32 v28, -v29, v30, v28
.LBB101_877:                            ;   in Loop: Header=BB101_3 Depth=1
	s_or_b32 exec_lo, exec_lo, s45
	s_barrier_signal -1
	s_barrier_wait -1
	s_and_saveexec_b32 s45, s47
	s_cbranch_execz .LBB101_879
; %bb.878:                              ;   in Loop: Header=BB101_3 Depth=1
	ds_load_b32 v29, v3 offset:3640
	s_wait_dscnt 0x0
	v_mul_f32_e32 v28, v28, v29
	s_delay_alu instid0(VALU_DEP_1)
	v_xor_b32_e32 v29, 0x80000000, v28
	ds_store_b32 v48, v29
.LBB101_879:                            ;   in Loop: Header=BB101_3 Depth=1
	s_or_b32 exec_lo, exec_lo, s45
	s_wait_dscnt 0x0
	s_barrier_signal -1
	s_barrier_wait -1
	s_and_saveexec_b32 s45, s48
	s_cbranch_execz .LBB101_881
; %bb.880:                              ;   in Loop: Header=BB101_3 Depth=1
	ds_load_b32 v29, v50 offset:3584
	ds_load_b32 v30, v48
	s_wait_dscnt 0x0
	v_fma_f32 v28, -v29, v30, v28
.LBB101_881:                            ;   in Loop: Header=BB101_3 Depth=1
	s_or_b32 exec_lo, exec_lo, s45
	s_barrier_signal -1
	s_barrier_wait -1
	s_and_saveexec_b32 s45, s49
	s_cbranch_execz .LBB101_883
; %bb.882:                              ;   in Loop: Header=BB101_3 Depth=1
	ds_load_b32 v29, v3 offset:3380
	s_wait_dscnt 0x0
	v_mul_f32_e32 v28, v28, v29
	s_delay_alu instid0(VALU_DEP_1)
	v_xor_b32_e32 v29, 0x80000000, v28
	ds_store_b32 v48, v29
.LBB101_883:                            ;   in Loop: Header=BB101_3 Depth=1
	s_or_b32 exec_lo, exec_lo, s45
	s_wait_dscnt 0x0
	s_barrier_signal -1
	s_barrier_wait -1
	s_and_saveexec_b32 s45, s50
	;; [unrolled: 25-line block ×14, first 2 shown]
	s_cbranch_execz .LBB101_933
; %bb.932:                              ;   in Loop: Header=BB101_3 Depth=1
	ds_load_b32 v29, v3 offset:256
	ds_load_b32 v30, v48
	s_wait_dscnt 0x0
	v_fma_f32 v28, -v29, v30, v28
.LBB101_933:                            ;   in Loop: Header=BB101_3 Depth=1
	s_or_b32 exec_lo, exec_lo, s45
	s_barrier_signal -1
	s_barrier_wait -1
	s_and_saveexec_b32 s45, s34
	s_cbranch_execz .LBB101_935
; %bb.934:                              ;   in Loop: Header=BB101_3 Depth=1
	ds_load_b32 v29, v3
	s_wait_dscnt 0x0
	v_mul_f32_e32 v28, v28, v29
	s_delay_alu instid0(VALU_DEP_1)
	v_xor_b32_e32 v29, 0x80000000, v28
	ds_store_b32 v48, v29
.LBB101_935:                            ;   in Loop: Header=BB101_3 Depth=1
	s_or_b32 exec_lo, exec_lo, s45
	s_wait_dscnt 0x0
	s_barrier_signal -1
	s_barrier_wait -1
	s_barrier_signal -1
	s_barrier_wait -1
	s_and_saveexec_b32 s45, s6
; %bb.936:                              ;   in Loop: Header=BB101_3 Depth=1
	ds_store_b32 v51, v28 offset:7936
; %bb.937:                              ;   in Loop: Header=BB101_3 Depth=1
	s_or_b32 exec_lo, exec_lo, s45
	s_wait_dscnt 0x0
	s_barrier_signal -1
	s_barrier_wait -1
	s_barrier_signal -1
	s_barrier_wait -1
	s_and_saveexec_b32 s65, s84
	s_cbranch_execz .LBB101_939
; %bb.938:                              ;   in Loop: Header=BB101_3 Depth=1
	ds_load_b32 v28, v38 offset:4096
	s_wait_dscnt 0x0
	ds_store_b32 v42, v28 offset:64
	ds_load_b32 v28, v38 offset:4100
	s_wait_dscnt 0x0
	ds_store_b32 v42, v28 offset:320
	ds_load_b32 v28, v38 offset:4104
	s_wait_dscnt 0x0
	ds_store_b32 v42, v28 offset:576
	ds_load_b32 v28, v38 offset:4108
	s_wait_dscnt 0x0
	ds_store_b32 v42, v28 offset:832
	ds_load_b32 v28, v38 offset:4112
	s_wait_dscnt 0x0
	ds_store_b32 v42, v28 offset:1088
	ds_load_b32 v28, v38 offset:4116
	s_wait_dscnt 0x0
	ds_store_b32 v42, v28 offset:1344
	ds_load_b32 v28, v38 offset:4120
	s_wait_dscnt 0x0
	ds_store_b32 v42, v28 offset:1600
	ds_load_b32 v28, v38 offset:4124
	s_wait_dscnt 0x0
	ds_store_b32 v42, v28 offset:1856
	ds_load_b32 v28, v38 offset:4128
	s_wait_dscnt 0x0
	ds_store_b32 v42, v28 offset:2112
	ds_load_b32 v28, v38 offset:4132
	s_wait_dscnt 0x0
	ds_store_b32 v42, v28 offset:2368
	ds_load_b32 v28, v38 offset:4136
	s_wait_dscnt 0x0
	ds_store_b32 v42, v28 offset:2624
	ds_load_b32 v28, v38 offset:4140
	s_wait_dscnt 0x0
	ds_store_b32 v42, v28 offset:2880
	ds_load_b32 v28, v38 offset:4144
	s_wait_dscnt 0x0
	ds_store_b32 v42, v28 offset:3136
	ds_load_b32 v28, v38 offset:4148
	s_wait_dscnt 0x0
	ds_store_b32 v42, v28 offset:3392
	ds_load_b32 v28, v38 offset:4152
	s_wait_dscnt 0x0
	ds_store_b32 v42, v28 offset:3648
	ds_load_b32 v28, v38 offset:4156
	s_wait_dscnt 0x0
	ds_store_b32 v42, v28 offset:3904
.LBB101_939:                            ;   in Loop: Header=BB101_3 Depth=1
	s_or_b32 exec_lo, exec_lo, s65
	s_wait_dscnt 0x0
	s_barrier_signal -1
	s_barrier_wait -1
	s_and_saveexec_b32 s45, s15
	s_cbranch_execz .LBB101_941
; %bb.940:                              ;   in Loop: Header=BB101_3 Depth=1
	ds_load_b64 v[28:29], v3 offset:3896
	ds_load_b32 v30, v3 offset:3640
	s_wait_dscnt 0x0
	v_mul_f32_e32 v29, v30, v29
	s_delay_alu instid0(VALU_DEP_1)
	v_mul_f32_e32 v28, v28, v29
	v_add_nc_u32_e64 v29, 0xc00, 0
	ds_store_2addr_b32 v29, v28, v28 offset0:143 offset1:206
.LBB101_941:                            ;   in Loop: Header=BB101_3 Depth=1
	s_or_b32 exec_lo, exec_lo, s45
	v_mov_b32_e32 v28, 0
	s_wait_dscnt 0x0
	s_barrier_signal -1
	s_barrier_wait -1
	global_wb scope:SCOPE_DEV
	s_wait_storecnt 0x0
	global_inv scope:SCOPE_DEV
	s_and_saveexec_b32 s45, s2
	s_cbranch_execz .LBB101_945
; %bb.942:                              ;   in Loop: Header=BB101_3 Depth=1
	ds_load_b32 v28, v35 offset:3632
	ds_load_b32 v29, v34 offset:3896
	s_wait_dscnt 0x0
	v_fma_f32 v28, v28, v29, 0
	s_and_saveexec_b32 s46, s16
	s_cbranch_execz .LBB101_944
; %bb.943:                              ;   in Loop: Header=BB101_3 Depth=1
	ds_load_b32 v29, v36 offset:3888
	ds_load_b32 v30, v3 offset:3900
	s_wait_dscnt 0x0
	v_fmac_f32_e32 v28, v29, v30
.LBB101_944:                            ;   in Loop: Header=BB101_3 Depth=1
	s_or_b32 exec_lo, exec_lo, s46
.LBB101_945:                            ;   in Loop: Header=BB101_3 Depth=1
	s_delay_alu instid0(SALU_CYCLE_1)
	s_or_b32 exec_lo, exec_lo, s45
	s_and_saveexec_b32 s45, s90
	s_cbranch_execz .LBB101_947
; %bb.946:                              ;   in Loop: Header=BB101_3 Depth=1
	ds_load_b32 v29, v3 offset:3380
	s_wait_dscnt 0x0
	v_mul_f32_e32 v28, v28, v29
	s_delay_alu instid0(VALU_DEP_1)
	v_xor_b32_e32 v29, 0x80000000, v28
	ds_store_b32 v5, v29
.LBB101_947:                            ;   in Loop: Header=BB101_3 Depth=1
	s_or_b32 exec_lo, exec_lo, s45
	s_wait_loadcnt_dscnt 0x0
	s_barrier_signal -1
	s_barrier_wait -1
	s_and_saveexec_b32 s45, s91
	s_cbranch_execz .LBB101_949
; %bb.948:                              ;   in Loop: Header=BB101_3 Depth=1
	ds_load_b32 v29, v3 offset:3376
	ds_load_b32 v30, v5
	s_wait_dscnt 0x0
	v_fma_f32 v28, -v29, v30, v28
.LBB101_949:                            ;   in Loop: Header=BB101_3 Depth=1
	s_or_b32 exec_lo, exec_lo, s45
	s_barrier_signal -1
	s_barrier_wait -1
	s_and_saveexec_b32 s45, s91
	s_cbranch_execz .LBB101_951
; %bb.950:                              ;   in Loop: Header=BB101_3 Depth=1
	ds_load_b32 v29, v3 offset:3120
	s_wait_dscnt 0x0
	v_mul_f32_e32 v28, v28, v29
	s_delay_alu instid0(VALU_DEP_1)
	v_xor_b32_e32 v29, 0x80000000, v28
	ds_store_b32 v5, v29
.LBB101_951:                            ;   in Loop: Header=BB101_3 Depth=1
	s_or_b32 exec_lo, exec_lo, s45
	s_wait_dscnt 0x0
	s_barrier_signal -1
	s_barrier_wait -1
	s_barrier_signal -1
	s_barrier_wait -1
	s_and_saveexec_b32 s45, s2
; %bb.952:                              ;   in Loop: Header=BB101_3 Depth=1
	ds_store_b32 v37, v28 offset:3888
; %bb.953:                              ;   in Loop: Header=BB101_3 Depth=1
	s_or_b32 exec_lo, exec_lo, s45
	s_wait_dscnt 0x0
	s_barrier_signal -1
	s_barrier_wait -1
	s_barrier_signal -1
	s_barrier_wait -1
	s_and_saveexec_b32 s45, s92
	s_cbranch_execz .LBB101_955
; %bb.954:                              ;   in Loop: Header=BB101_3 Depth=1
	ds_load_b32 v28, v38 offset:3632
	s_wait_dscnt 0x0
	ds_store_b32 v36, v28 offset:3128
	ds_load_b32 v28, v38 offset:3636
	s_wait_dscnt 0x0
	ds_store_b32 v36, v28 offset:3384
.LBB101_955:                            ;   in Loop: Header=BB101_3 Depth=1
	s_or_b32 exec_lo, exec_lo, s45
	s_wait_dscnt 0x0
	s_barrier_signal -1
	s_barrier_wait -1
	s_and_saveexec_b32 s45, s15
	s_cbranch_execz .LBB101_957
; %bb.956:                              ;   in Loop: Header=BB101_3 Depth=1
	ds_load_b64 v[28:29], v3 offset:3376
	ds_load_b32 v30, v3 offset:3120
	s_wait_dscnt 0x0
	v_mul_f32_e32 v29, v30, v29
	s_delay_alu instid0(VALU_DEP_1)
	v_mul_f32_e32 v28, v28, v29
	v_add_nc_u32_e64 v29, 0xc00, 0
	ds_store_2addr_b32 v29, v28, v28 offset0:13 offset1:76
.LBB101_957:                            ;   in Loop: Header=BB101_3 Depth=1
	s_or_b32 exec_lo, exec_lo, s45
	v_mov_b32_e32 v28, 0
	s_wait_dscnt 0x0
	s_barrier_signal -1
	s_barrier_wait -1
	global_wb scope:SCOPE_DEV
	s_wait_storecnt 0x0
	global_inv scope:SCOPE_DEV
	s_and_saveexec_b32 s65, s4
	s_cbranch_execz .LBB101_963
; %bb.958:                              ;   in Loop: Header=BB101_3 Depth=1
	ds_load_b32 v28, v41 offset:3104
	ds_load_b32 v29, v40 offset:3888
	s_wait_dscnt 0x0
	v_fma_f32 v28, v28, v29, 0
	s_and_saveexec_b32 s45, s17
	s_cbranch_execnz .LBB101_1247
; %bb.959:                              ;   in Loop: Header=BB101_3 Depth=1
	s_or_b32 exec_lo, exec_lo, s45
	s_and_saveexec_b32 s45, s18
	s_cbranch_execnz .LBB101_1248
.LBB101_960:                            ;   in Loop: Header=BB101_3 Depth=1
	s_or_b32 exec_lo, exec_lo, s45
	s_and_saveexec_b32 s45, s2
	s_cbranch_execz .LBB101_962
.LBB101_961:                            ;   in Loop: Header=BB101_3 Depth=1
	ds_load_b32 v29, v42 offset:3872
	ds_load_b32 v30, v3 offset:3900
	s_wait_dscnt 0x0
	v_fmac_f32_e32 v28, v29, v30
.LBB101_962:                            ;   in Loop: Header=BB101_3 Depth=1
	s_or_b32 exec_lo, exec_lo, s45
.LBB101_963:                            ;   in Loop: Header=BB101_3 Depth=1
	s_delay_alu instid0(SALU_CYCLE_1)
	s_or_b32 exec_lo, exec_lo, s65
	s_and_saveexec_b32 s45, s93
	s_cbranch_execz .LBB101_965
; %bb.964:                              ;   in Loop: Header=BB101_3 Depth=1
	ds_load_b32 v29, v3 offset:2860
	s_wait_dscnt 0x0
	v_mul_f32_e32 v28, v28, v29
	s_delay_alu instid0(VALU_DEP_1)
	v_xor_b32_e32 v29, 0x80000000, v28
	ds_store_b32 v39, v29
.LBB101_965:                            ;   in Loop: Header=BB101_3 Depth=1
	s_or_b32 exec_lo, exec_lo, s45
	s_wait_loadcnt_dscnt 0x0
	s_barrier_signal -1
	s_barrier_wait -1
	s_and_saveexec_b32 s45, s94
	s_cbranch_execz .LBB101_967
; %bb.966:                              ;   in Loop: Header=BB101_3 Depth=1
	ds_load_b32 v29, v41 offset:2848
	ds_load_b32 v30, v39
	s_wait_dscnt 0x0
	v_fma_f32 v28, -v29, v30, v28
.LBB101_967:                            ;   in Loop: Header=BB101_3 Depth=1
	s_or_b32 exec_lo, exec_lo, s45
	s_barrier_signal -1
	s_barrier_wait -1
	s_and_saveexec_b32 s45, s95
	s_cbranch_execz .LBB101_969
; %bb.968:                              ;   in Loop: Header=BB101_3 Depth=1
	ds_load_b32 v29, v3 offset:2600
	s_wait_dscnt 0x0
	v_mul_f32_e32 v28, v28, v29
	s_delay_alu instid0(VALU_DEP_1)
	v_xor_b32_e32 v29, 0x80000000, v28
	ds_store_b32 v39, v29
.LBB101_969:                            ;   in Loop: Header=BB101_3 Depth=1
	s_or_b32 exec_lo, exec_lo, s45
	s_wait_dscnt 0x0
	s_barrier_signal -1
	s_barrier_wait -1
	s_and_saveexec_b32 s45, s96
	s_cbranch_execz .LBB101_971
; %bb.970:                              ;   in Loop: Header=BB101_3 Depth=1
	ds_load_b32 v29, v41 offset:2592
	ds_load_b32 v30, v39
	s_wait_dscnt 0x0
	v_fma_f32 v28, -v29, v30, v28
.LBB101_971:                            ;   in Loop: Header=BB101_3 Depth=1
	s_or_b32 exec_lo, exec_lo, s45
	s_barrier_signal -1
	s_barrier_wait -1
	s_and_saveexec_b32 s45, s97
	s_cbranch_execz .LBB101_973
; %bb.972:                              ;   in Loop: Header=BB101_3 Depth=1
	ds_load_b32 v29, v3 offset:2340
	s_wait_dscnt 0x0
	v_mul_f32_e32 v28, v28, v29
	s_delay_alu instid0(VALU_DEP_1)
	v_xor_b32_e32 v29, 0x80000000, v28
	ds_store_b32 v39, v29
.LBB101_973:                            ;   in Loop: Header=BB101_3 Depth=1
	s_or_b32 exec_lo, exec_lo, s45
	s_wait_dscnt 0x0
	;; [unrolled: 25-line block ×3, first 2 shown]
	s_barrier_signal -1
	s_barrier_wait -1
	s_barrier_signal -1
	s_barrier_wait -1
	s_and_saveexec_b32 s45, s4
; %bb.978:                              ;   in Loop: Header=BB101_3 Depth=1
	ds_store_b32 v43, v28 offset:3872
; %bb.979:                              ;   in Loop: Header=BB101_3 Depth=1
	s_or_b32 exec_lo, exec_lo, s45
	s_wait_dscnt 0x0
	s_barrier_signal -1
	s_barrier_wait -1
	s_barrier_signal -1
	s_barrier_wait -1
	s_and_saveexec_b32 s45, s99
	s_cbranch_execz .LBB101_981
; %bb.980:                              ;   in Loop: Header=BB101_3 Depth=1
	ds_load_b32 v28, v7 offset:3104
	s_wait_dscnt 0x0
	ds_store_b32 v53, v28 offset:2096
	ds_load_b32 v28, v7 offset:3108
	s_wait_dscnt 0x0
	ds_store_b32 v53, v28 offset:2352
	;; [unrolled: 3-line block ×4, first 2 shown]
.LBB101_981:                            ;   in Loop: Header=BB101_3 Depth=1
	s_or_b32 exec_lo, exec_lo, s45
	s_wait_dscnt 0x0
	s_barrier_signal -1
	s_barrier_wait -1
	s_and_saveexec_b32 s45, s15
	s_cbranch_execz .LBB101_983
; %bb.982:                              ;   in Loop: Header=BB101_3 Depth=1
	ds_load_b64 v[28:29], v3 offset:2856
	ds_load_b32 v30, v3 offset:2600
	s_wait_dscnt 0x0
	v_mul_f32_e32 v29, v30, v29
	s_delay_alu instid0(VALU_DEP_1)
	v_mul_f32_e32 v28, v28, v29
	v_add_nc_u32_e64 v29, 0x800, 0
	ds_store_2addr_b32 v29, v28, v28 offset0:139 offset1:202
.LBB101_983:                            ;   in Loop: Header=BB101_3 Depth=1
	s_or_b32 exec_lo, exec_lo, s45
	v_mov_b32_e32 v28, 0
	s_wait_dscnt 0x0
	s_barrier_signal -1
	s_barrier_wait -1
	global_wb scope:SCOPE_DEV
	s_wait_storecnt 0x0
	global_inv scope:SCOPE_DEV
	s_and_saveexec_b32 s45, s2
	s_cbranch_execz .LBB101_987
; %bb.984:                              ;   in Loop: Header=BB101_3 Depth=1
	ds_load_b32 v28, v35 offset:2592
	ds_load_b32 v29, v34 offset:2856
	s_wait_dscnt 0x0
	v_fma_f32 v28, v28, v29, 0
	s_and_saveexec_b32 s46, s16
	s_cbranch_execz .LBB101_986
; %bb.985:                              ;   in Loop: Header=BB101_3 Depth=1
	ds_load_b32 v29, v53 offset:2848
	ds_load_b32 v30, v3 offset:2860
	s_wait_dscnt 0x0
	v_fmac_f32_e32 v28, v29, v30
.LBB101_986:                            ;   in Loop: Header=BB101_3 Depth=1
	s_or_b32 exec_lo, exec_lo, s46
.LBB101_987:                            ;   in Loop: Header=BB101_3 Depth=1
	s_delay_alu instid0(SALU_CYCLE_1)
	s_or_b32 exec_lo, exec_lo, s45
	s_and_saveexec_b32 s45, s90
	s_cbranch_execz .LBB101_989
; %bb.988:                              ;   in Loop: Header=BB101_3 Depth=1
	ds_load_b32 v29, v3 offset:2340
	s_wait_dscnt 0x0
	v_mul_f32_e32 v28, v28, v29
	s_delay_alu instid0(VALU_DEP_1)
	v_xor_b32_e32 v29, 0x80000000, v28
	ds_store_b32 v5, v29
.LBB101_989:                            ;   in Loop: Header=BB101_3 Depth=1
	s_or_b32 exec_lo, exec_lo, s45
	s_wait_loadcnt_dscnt 0x0
	s_barrier_signal -1
	s_barrier_wait -1
	s_and_saveexec_b32 s45, s91
	s_cbranch_execz .LBB101_991
; %bb.990:                              ;   in Loop: Header=BB101_3 Depth=1
	ds_load_b32 v29, v3 offset:2336
	ds_load_b32 v30, v5
	s_wait_dscnt 0x0
	v_fma_f32 v28, -v29, v30, v28
.LBB101_991:                            ;   in Loop: Header=BB101_3 Depth=1
	s_or_b32 exec_lo, exec_lo, s45
	s_barrier_signal -1
	s_barrier_wait -1
	s_and_saveexec_b32 s45, s91
	s_cbranch_execz .LBB101_993
; %bb.992:                              ;   in Loop: Header=BB101_3 Depth=1
	ds_load_b32 v29, v3 offset:2080
	s_wait_dscnt 0x0
	v_mul_f32_e32 v28, v28, v29
	s_delay_alu instid0(VALU_DEP_1)
	v_xor_b32_e32 v29, 0x80000000, v28
	ds_store_b32 v5, v29
.LBB101_993:                            ;   in Loop: Header=BB101_3 Depth=1
	s_or_b32 exec_lo, exec_lo, s45
	s_wait_dscnt 0x0
	s_barrier_signal -1
	s_barrier_wait -1
	s_barrier_signal -1
	s_barrier_wait -1
	s_and_saveexec_b32 s45, s2
; %bb.994:                              ;   in Loop: Header=BB101_3 Depth=1
	ds_store_b32 v37, v28 offset:2848
; %bb.995:                              ;   in Loop: Header=BB101_3 Depth=1
	s_or_b32 exec_lo, exec_lo, s45
	s_wait_dscnt 0x0
	s_barrier_signal -1
	s_barrier_wait -1
	s_barrier_signal -1
	s_barrier_wait -1
	s_and_saveexec_b32 s45, s92
	s_cbranch_execz .LBB101_997
; %bb.996:                              ;   in Loop: Header=BB101_3 Depth=1
	ds_load_b32 v28, v54 offset:2592
	s_wait_dscnt 0x0
	ds_store_b32 v53, v28 offset:2088
	ds_load_b32 v28, v54 offset:2596
	s_wait_dscnt 0x0
	ds_store_b32 v53, v28 offset:2344
.LBB101_997:                            ;   in Loop: Header=BB101_3 Depth=1
	s_or_b32 exec_lo, exec_lo, s45
	s_wait_dscnt 0x0
	s_barrier_signal -1
	s_barrier_wait -1
	s_and_saveexec_b32 s45, s15
	s_cbranch_execz .LBB101_999
; %bb.998:                              ;   in Loop: Header=BB101_3 Depth=1
	ds_load_b64 v[28:29], v3 offset:2336
	ds_load_b32 v30, v3 offset:2080
	s_wait_dscnt 0x0
	v_mul_f32_e32 v29, v30, v29
	s_delay_alu instid0(VALU_DEP_1)
	v_mul_f32_e32 v28, v28, v29
	v_add_nc_u32_e64 v29, 0x800, 0
	ds_store_2addr_b32 v29, v28, v28 offset0:9 offset1:72
.LBB101_999:                            ;   in Loop: Header=BB101_3 Depth=1
	s_or_b32 exec_lo, exec_lo, s45
	v_mov_b32_e32 v28, 0
	s_wait_dscnt 0x0
	s_barrier_signal -1
	s_barrier_wait -1
	global_wb scope:SCOPE_DEV
	s_wait_storecnt 0x0
	global_inv scope:SCOPE_DEV
	s_and_saveexec_b32 s65, s5
	s_cbranch_execz .LBB101_1009
; %bb.1000:                             ;   in Loop: Header=BB101_3 Depth=1
	ds_load_b32 v28, v46 offset:2048
	ds_load_b32 v29, v45 offset:3872
	s_wait_dscnt 0x0
	v_fma_f32 v28, v28, v29, 0
	s_and_saveexec_b32 s45, s19
	s_cbranch_execnz .LBB101_1249
; %bb.1001:                             ;   in Loop: Header=BB101_3 Depth=1
	s_or_b32 exec_lo, exec_lo, s45
	s_and_saveexec_b32 s45, s20
	s_cbranch_execnz .LBB101_1250
.LBB101_1002:                           ;   in Loop: Header=BB101_3 Depth=1
	s_or_b32 exec_lo, exec_lo, s45
	s_and_saveexec_b32 s45, s21
	s_cbranch_execnz .LBB101_1251
.LBB101_1003:                           ;   in Loop: Header=BB101_3 Depth=1
	s_or_b32 exec_lo, exec_lo, s45
	s_and_saveexec_b32 s45, s22
	s_cbranch_execnz .LBB101_1252
.LBB101_1004:                           ;   in Loop: Header=BB101_3 Depth=1
	s_or_b32 exec_lo, exec_lo, s45
	s_and_saveexec_b32 s45, s23
	s_cbranch_execnz .LBB101_1253
.LBB101_1005:                           ;   in Loop: Header=BB101_3 Depth=1
	s_or_b32 exec_lo, exec_lo, s45
	s_and_saveexec_b32 s45, s4
	s_cbranch_execnz .LBB101_1254
.LBB101_1006:                           ;   in Loop: Header=BB101_3 Depth=1
	s_or_b32 exec_lo, exec_lo, s45
	s_and_saveexec_b32 s45, s18
	s_cbranch_execz .LBB101_1008
.LBB101_1007:                           ;   in Loop: Header=BB101_3 Depth=1
	ds_load_b32 v29, v55 offset:3840
	ds_load_b32 v30, v3 offset:3900
	s_wait_dscnt 0x0
	v_fmac_f32_e32 v28, v29, v30
.LBB101_1008:                           ;   in Loop: Header=BB101_3 Depth=1
	s_or_b32 exec_lo, exec_lo, s45
.LBB101_1009:                           ;   in Loop: Header=BB101_3 Depth=1
	s_delay_alu instid0(SALU_CYCLE_1)
	s_or_b32 exec_lo, exec_lo, s65
	s_and_saveexec_b32 s45, s100
	s_cbranch_execz .LBB101_1011
; %bb.1010:                             ;   in Loop: Header=BB101_3 Depth=1
	ds_load_b32 v29, v3 offset:1820
	s_wait_dscnt 0x0
	v_mul_f32_e32 v28, v28, v29
	s_delay_alu instid0(VALU_DEP_1)
	v_xor_b32_e32 v29, 0x80000000, v28
	ds_store_b32 v44, v29
.LBB101_1011:                           ;   in Loop: Header=BB101_3 Depth=1
	s_or_b32 exec_lo, exec_lo, s45
	s_wait_loadcnt_dscnt 0x0
	s_barrier_signal -1
	s_barrier_wait -1
	s_and_saveexec_b32 s45, s101
	s_cbranch_execz .LBB101_1013
; %bb.1012:                             ;   in Loop: Header=BB101_3 Depth=1
	ds_load_b32 v29, v46 offset:1792
	ds_load_b32 v30, v44
	s_wait_dscnt 0x0
	v_fma_f32 v28, -v29, v30, v28
.LBB101_1013:                           ;   in Loop: Header=BB101_3 Depth=1
	s_or_b32 exec_lo, exec_lo, s45
	s_barrier_signal -1
	s_barrier_wait -1
	s_and_saveexec_b32 s45, s102
	s_cbranch_execz .LBB101_1015
; %bb.1014:                             ;   in Loop: Header=BB101_3 Depth=1
	ds_load_b32 v29, v3 offset:1560
	s_wait_dscnt 0x0
	v_mul_f32_e32 v28, v28, v29
	s_delay_alu instid0(VALU_DEP_1)
	v_xor_b32_e32 v29, 0x80000000, v28
	ds_store_b32 v44, v29
.LBB101_1015:                           ;   in Loop: Header=BB101_3 Depth=1
	s_or_b32 exec_lo, exec_lo, s45
	s_wait_dscnt 0x0
	s_barrier_signal -1
	s_barrier_wait -1
	s_and_saveexec_b32 s45, s103
	s_cbranch_execz .LBB101_1017
; %bb.1016:                             ;   in Loop: Header=BB101_3 Depth=1
	ds_load_b32 v29, v46 offset:1536
	ds_load_b32 v30, v44
	s_wait_dscnt 0x0
	v_fma_f32 v28, -v29, v30, v28
.LBB101_1017:                           ;   in Loop: Header=BB101_3 Depth=1
	s_or_b32 exec_lo, exec_lo, s45
	s_barrier_signal -1
	s_barrier_wait -1
	s_and_saveexec_b32 s45, s104
	s_cbranch_execz .LBB101_1019
; %bb.1018:                             ;   in Loop: Header=BB101_3 Depth=1
	ds_load_b32 v29, v3 offset:1300
	s_wait_dscnt 0x0
	v_mul_f32_e32 v28, v28, v29
	s_delay_alu instid0(VALU_DEP_1)
	v_xor_b32_e32 v29, 0x80000000, v28
	ds_store_b32 v44, v29
.LBB101_1019:                           ;   in Loop: Header=BB101_3 Depth=1
	s_or_b32 exec_lo, exec_lo, s45
	s_wait_dscnt 0x0
	s_barrier_signal -1
	s_barrier_wait -1
	s_and_saveexec_b32 s45, vcc_hi
	s_cbranch_execz .LBB101_1021
; %bb.1020:                             ;   in Loop: Header=BB101_3 Depth=1
	ds_load_b32 v29, v46 offset:1280
	ds_load_b32 v30, v44
	s_wait_dscnt 0x0
	v_fma_f32 v28, -v29, v30, v28
.LBB101_1021:                           ;   in Loop: Header=BB101_3 Depth=1
	s_or_b32 exec_lo, exec_lo, s45
	s_barrier_signal -1
	s_barrier_wait -1
	s_and_saveexec_b32 s45, s36
	s_cbranch_execz .LBB101_1023
; %bb.1022:                             ;   in Loop: Header=BB101_3 Depth=1
	ds_load_b32 v29, v3 offset:1040
	s_wait_dscnt 0x0
	v_mul_f32_e32 v28, v28, v29
	s_delay_alu instid0(VALU_DEP_1)
	v_xor_b32_e32 v29, 0x80000000, v28
	ds_store_b32 v44, v29
.LBB101_1023:                           ;   in Loop: Header=BB101_3 Depth=1
	s_or_b32 exec_lo, exec_lo, s45
	s_wait_dscnt 0x0
	s_barrier_signal -1
	s_barrier_wait -1
	s_and_saveexec_b32 s45, s37
	s_cbranch_execz .LBB101_1025
; %bb.1024:                             ;   in Loop: Header=BB101_3 Depth=1
	ds_load_b32 v29, v46 offset:1024
	ds_load_b32 v30, v44
	s_wait_dscnt 0x0
	v_fma_f32 v28, -v29, v30, v28
.LBB101_1025:                           ;   in Loop: Header=BB101_3 Depth=1
	s_or_b32 exec_lo, exec_lo, s45
	s_barrier_signal -1
	s_barrier_wait -1
	s_and_saveexec_b32 s45, s38
	s_cbranch_execz .LBB101_1027
; %bb.1026:                             ;   in Loop: Header=BB101_3 Depth=1
	ds_load_b32 v29, v3 offset:780
	s_wait_dscnt 0x0
	v_mul_f32_e32 v28, v28, v29
	s_delay_alu instid0(VALU_DEP_1)
	v_xor_b32_e32 v29, 0x80000000, v28
	ds_store_b32 v44, v29
.LBB101_1027:                           ;   in Loop: Header=BB101_3 Depth=1
	s_or_b32 exec_lo, exec_lo, s45
	s_wait_dscnt 0x0
	s_barrier_signal -1
	s_barrier_wait -1
	s_and_saveexec_b32 s45, s39
	;; [unrolled: 25-line block ×4, first 2 shown]
	s_cbranch_execz .LBB101_1037
; %bb.1036:                             ;   in Loop: Header=BB101_3 Depth=1
	ds_load_b32 v29, v3 offset:256
	ds_load_b32 v30, v44
	s_wait_dscnt 0x0
	v_fma_f32 v28, -v29, v30, v28
.LBB101_1037:                           ;   in Loop: Header=BB101_3 Depth=1
	s_or_b32 exec_lo, exec_lo, s45
	s_barrier_signal -1
	s_barrier_wait -1
	s_and_saveexec_b32 s45, s43
	s_cbranch_execz .LBB101_1039
; %bb.1038:                             ;   in Loop: Header=BB101_3 Depth=1
	ds_load_b32 v29, v3
	s_wait_dscnt 0x0
	v_mul_f32_e32 v28, v28, v29
	s_delay_alu instid0(VALU_DEP_1)
	v_xor_b32_e32 v29, 0x80000000, v28
	ds_store_b32 v44, v29
.LBB101_1039:                           ;   in Loop: Header=BB101_3 Depth=1
	s_or_b32 exec_lo, exec_lo, s45
	s_wait_dscnt 0x0
	s_barrier_signal -1
	s_barrier_wait -1
	s_barrier_signal -1
	s_barrier_wait -1
	s_and_saveexec_b32 s45, s5
; %bb.1040:                             ;   in Loop: Header=BB101_3 Depth=1
	ds_store_b32 v47, v28 offset:3840
; %bb.1041:                             ;   in Loop: Header=BB101_3 Depth=1
	s_or_b32 exec_lo, exec_lo, s45
	s_wait_dscnt 0x0
	s_barrier_signal -1
	s_barrier_wait -1
	s_barrier_signal -1
	s_barrier_wait -1
	s_and_saveexec_b32 s45, s44
	s_cbranch_execz .LBB101_1043
; %bb.1042:                             ;   in Loop: Header=BB101_3 Depth=1
	ds_load_b32 v28, v56 offset:2048
	s_wait_dscnt 0x0
	ds_store_b32 v57, v28 offset:32
	ds_load_b32 v28, v56 offset:2052
	s_wait_dscnt 0x0
	ds_store_b32 v57, v28 offset:288
	;; [unrolled: 3-line block ×8, first 2 shown]
.LBB101_1043:                           ;   in Loop: Header=BB101_3 Depth=1
	s_or_b32 exec_lo, exec_lo, s45
	s_wait_dscnt 0x0
	s_barrier_signal -1
	s_barrier_wait -1
	s_and_saveexec_b32 s45, s15
	s_cbranch_execz .LBB101_1045
; %bb.1044:                             ;   in Loop: Header=BB101_3 Depth=1
	ds_load_b64 v[28:29], v3 offset:1816
	ds_load_b32 v30, v3 offset:1560
	s_wait_dscnt 0x0
	v_mul_f32_e32 v29, v30, v29
	s_delay_alu instid0(VALU_DEP_1)
	v_mul_f32_e32 v28, v28, v29
	v_add_nc_u32_e64 v29, 0x400, 0
	ds_store_2addr_b32 v29, v28, v28 offset0:135 offset1:198
.LBB101_1045:                           ;   in Loop: Header=BB101_3 Depth=1
	s_or_b32 exec_lo, exec_lo, s45
	v_mov_b32_e32 v28, 0
	s_wait_dscnt 0x0
	s_barrier_signal -1
	s_barrier_wait -1
	global_wb scope:SCOPE_DEV
	s_wait_storecnt 0x0
	global_inv scope:SCOPE_DEV
	s_and_saveexec_b32 s45, s2
	s_cbranch_execz .LBB101_1049
; %bb.1046:                             ;   in Loop: Header=BB101_3 Depth=1
	ds_load_b32 v28, v35 offset:1552
	ds_load_b32 v29, v34 offset:1816
	s_wait_dscnt 0x0
	v_fma_f32 v28, v28, v29, 0
	s_and_saveexec_b32 s46, s16
	s_cbranch_execz .LBB101_1048
; %bb.1047:                             ;   in Loop: Header=BB101_3 Depth=1
	ds_load_b32 v29, v57 offset:1808
	ds_load_b32 v30, v3 offset:1820
	s_wait_dscnt 0x0
	v_fmac_f32_e32 v28, v29, v30
.LBB101_1048:                           ;   in Loop: Header=BB101_3 Depth=1
	s_or_b32 exec_lo, exec_lo, s46
.LBB101_1049:                           ;   in Loop: Header=BB101_3 Depth=1
	s_delay_alu instid0(SALU_CYCLE_1)
	s_or_b32 exec_lo, exec_lo, s45
	s_and_saveexec_b32 s45, s90
	s_cbranch_execz .LBB101_1051
; %bb.1050:                             ;   in Loop: Header=BB101_3 Depth=1
	ds_load_b32 v29, v3 offset:1300
	s_wait_dscnt 0x0
	v_mul_f32_e32 v28, v28, v29
	s_delay_alu instid0(VALU_DEP_1)
	v_xor_b32_e32 v29, 0x80000000, v28
	ds_store_b32 v5, v29
.LBB101_1051:                           ;   in Loop: Header=BB101_3 Depth=1
	s_or_b32 exec_lo, exec_lo, s45
	s_wait_loadcnt_dscnt 0x0
	s_barrier_signal -1
	s_barrier_wait -1
	s_and_saveexec_b32 s45, s91
	s_cbranch_execz .LBB101_1053
; %bb.1052:                             ;   in Loop: Header=BB101_3 Depth=1
	ds_load_b32 v29, v3 offset:1296
	ds_load_b32 v30, v5
	s_wait_dscnt 0x0
	v_fma_f32 v28, -v29, v30, v28
.LBB101_1053:                           ;   in Loop: Header=BB101_3 Depth=1
	s_or_b32 exec_lo, exec_lo, s45
	s_barrier_signal -1
	s_barrier_wait -1
	s_and_saveexec_b32 s45, s91
	s_cbranch_execz .LBB101_1055
; %bb.1054:                             ;   in Loop: Header=BB101_3 Depth=1
	ds_load_b32 v29, v3 offset:1040
	s_wait_dscnt 0x0
	v_mul_f32_e32 v28, v28, v29
	s_delay_alu instid0(VALU_DEP_1)
	v_xor_b32_e32 v29, 0x80000000, v28
	ds_store_b32 v5, v29
.LBB101_1055:                           ;   in Loop: Header=BB101_3 Depth=1
	s_or_b32 exec_lo, exec_lo, s45
	s_wait_dscnt 0x0
	s_barrier_signal -1
	s_barrier_wait -1
	s_barrier_signal -1
	s_barrier_wait -1
	s_and_saveexec_b32 s45, s2
; %bb.1056:                             ;   in Loop: Header=BB101_3 Depth=1
	ds_store_b32 v37, v28 offset:1808
; %bb.1057:                             ;   in Loop: Header=BB101_3 Depth=1
	s_or_b32 exec_lo, exec_lo, s45
	s_wait_dscnt 0x0
	s_barrier_signal -1
	s_barrier_wait -1
	s_barrier_signal -1
	s_barrier_wait -1
	s_and_saveexec_b32 s45, s92
	s_cbranch_execz .LBB101_1059
; %bb.1058:                             ;   in Loop: Header=BB101_3 Depth=1
	ds_load_b32 v28, v58 offset:1552
	s_wait_dscnt 0x0
	ds_store_b32 v57, v28 offset:1048
	ds_load_b32 v28, v58 offset:1556
	s_wait_dscnt 0x0
	ds_store_b32 v57, v28 offset:1304
.LBB101_1059:                           ;   in Loop: Header=BB101_3 Depth=1
	s_or_b32 exec_lo, exec_lo, s45
	s_wait_dscnt 0x0
	s_barrier_signal -1
	s_barrier_wait -1
	s_and_saveexec_b32 s45, s15
	s_cbranch_execz .LBB101_1061
; %bb.1060:                             ;   in Loop: Header=BB101_3 Depth=1
	ds_load_b64 v[28:29], v3 offset:1296
	ds_load_b32 v30, v3 offset:1040
	s_wait_dscnt 0x0
	v_mul_f32_e32 v29, v30, v29
	s_delay_alu instid0(VALU_DEP_1)
	v_mul_f32_e32 v28, v28, v29
	v_add_nc_u32_e64 v29, 0x400, 0
	ds_store_2addr_b32 v29, v28, v28 offset0:5 offset1:68
.LBB101_1061:                           ;   in Loop: Header=BB101_3 Depth=1
	s_or_b32 exec_lo, exec_lo, s45
	v_mov_b32_e32 v28, 0
	s_wait_dscnt 0x0
	s_barrier_signal -1
	s_barrier_wait -1
	global_wb scope:SCOPE_DEV
	s_wait_storecnt 0x0
	global_inv scope:SCOPE_DEV
	s_and_saveexec_b32 s65, s4
	s_cbranch_execz .LBB101_1067
; %bb.1062:                             ;   in Loop: Header=BB101_3 Depth=1
	ds_load_b32 v28, v41 offset:1024
	ds_load_b32 v29, v40 offset:1808
	s_wait_dscnt 0x0
	v_fma_f32 v28, v28, v29, 0
	s_and_saveexec_b32 s45, s17
	s_cbranch_execnz .LBB101_1255
; %bb.1063:                             ;   in Loop: Header=BB101_3 Depth=1
	s_or_b32 exec_lo, exec_lo, s45
	s_and_saveexec_b32 s45, s18
	s_cbranch_execnz .LBB101_1256
.LBB101_1064:                           ;   in Loop: Header=BB101_3 Depth=1
	s_or_b32 exec_lo, exec_lo, s45
	s_and_saveexec_b32 s45, s2
	s_cbranch_execz .LBB101_1066
.LBB101_1065:                           ;   in Loop: Header=BB101_3 Depth=1
	ds_load_b32 v29, v59 offset:1792
	ds_load_b32 v30, v3 offset:1820
	s_wait_dscnt 0x0
	v_fmac_f32_e32 v28, v29, v30
.LBB101_1066:                           ;   in Loop: Header=BB101_3 Depth=1
	s_or_b32 exec_lo, exec_lo, s45
.LBB101_1067:                           ;   in Loop: Header=BB101_3 Depth=1
	s_delay_alu instid0(SALU_CYCLE_1)
	s_or_b32 exec_lo, exec_lo, s65
	s_and_saveexec_b32 s45, s93
	s_cbranch_execz .LBB101_1069
; %bb.1068:                             ;   in Loop: Header=BB101_3 Depth=1
	ds_load_b32 v29, v3 offset:780
	s_wait_dscnt 0x0
	v_mul_f32_e32 v28, v28, v29
	s_delay_alu instid0(VALU_DEP_1)
	v_xor_b32_e32 v29, 0x80000000, v28
	ds_store_b32 v39, v29
.LBB101_1069:                           ;   in Loop: Header=BB101_3 Depth=1
	s_or_b32 exec_lo, exec_lo, s45
	s_wait_loadcnt_dscnt 0x0
	s_barrier_signal -1
	s_barrier_wait -1
	s_and_saveexec_b32 s45, s94
	s_cbranch_execz .LBB101_1071
; %bb.1070:                             ;   in Loop: Header=BB101_3 Depth=1
	ds_load_b32 v29, v41 offset:768
	ds_load_b32 v30, v39
	s_wait_dscnt 0x0
	v_fma_f32 v28, -v29, v30, v28
.LBB101_1071:                           ;   in Loop: Header=BB101_3 Depth=1
	s_or_b32 exec_lo, exec_lo, s45
	s_barrier_signal -1
	s_barrier_wait -1
	s_and_saveexec_b32 s45, s95
	s_cbranch_execz .LBB101_1073
; %bb.1072:                             ;   in Loop: Header=BB101_3 Depth=1
	ds_load_b32 v29, v3 offset:520
	s_wait_dscnt 0x0
	v_mul_f32_e32 v28, v28, v29
	s_delay_alu instid0(VALU_DEP_1)
	v_xor_b32_e32 v29, 0x80000000, v28
	ds_store_b32 v39, v29
.LBB101_1073:                           ;   in Loop: Header=BB101_3 Depth=1
	s_or_b32 exec_lo, exec_lo, s45
	s_wait_dscnt 0x0
	s_barrier_signal -1
	s_barrier_wait -1
	s_and_saveexec_b32 s45, s96
	s_cbranch_execz .LBB101_1075
; %bb.1074:                             ;   in Loop: Header=BB101_3 Depth=1
	ds_load_b32 v29, v41 offset:512
	ds_load_b32 v30, v39
	s_wait_dscnt 0x0
	v_fma_f32 v28, -v29, v30, v28
.LBB101_1075:                           ;   in Loop: Header=BB101_3 Depth=1
	s_or_b32 exec_lo, exec_lo, s45
	s_barrier_signal -1
	s_barrier_wait -1
	s_and_saveexec_b32 s45, s97
	s_cbranch_execz .LBB101_1077
; %bb.1076:                             ;   in Loop: Header=BB101_3 Depth=1
	ds_load_b32 v29, v3 offset:260
	s_wait_dscnt 0x0
	v_mul_f32_e32 v28, v28, v29
	s_delay_alu instid0(VALU_DEP_1)
	v_xor_b32_e32 v29, 0x80000000, v28
	ds_store_b32 v39, v29
.LBB101_1077:                           ;   in Loop: Header=BB101_3 Depth=1
	s_or_b32 exec_lo, exec_lo, s45
	s_wait_dscnt 0x0
	s_barrier_signal -1
	s_barrier_wait -1
	s_and_saveexec_b32 s45, s98
	s_cbranch_execz .LBB101_1079
; %bb.1078:                             ;   in Loop: Header=BB101_3 Depth=1
	ds_load_b32 v29, v3 offset:256
	ds_load_b32 v30, v39
	s_wait_dscnt 0x0
	v_fma_f32 v28, -v29, v30, v28
.LBB101_1079:                           ;   in Loop: Header=BB101_3 Depth=1
	s_or_b32 exec_lo, exec_lo, s45
	s_barrier_signal -1
	s_barrier_wait -1
	s_and_saveexec_b32 s45, s98
	s_cbranch_execz .LBB101_1081
; %bb.1080:                             ;   in Loop: Header=BB101_3 Depth=1
	ds_load_b32 v29, v3
	s_wait_dscnt 0x0
	v_mul_f32_e32 v28, v28, v29
	s_delay_alu instid0(VALU_DEP_1)
	v_xor_b32_e32 v29, 0x80000000, v28
	ds_store_b32 v39, v29
.LBB101_1081:                           ;   in Loop: Header=BB101_3 Depth=1
	s_or_b32 exec_lo, exec_lo, s45
	s_wait_dscnt 0x0
	s_barrier_signal -1
	s_barrier_wait -1
	s_barrier_signal -1
	s_barrier_wait -1
	s_and_saveexec_b32 s45, s4
; %bb.1082:                             ;   in Loop: Header=BB101_3 Depth=1
	ds_store_b32 v43, v28 offset:1792
; %bb.1083:                             ;   in Loop: Header=BB101_3 Depth=1
	s_or_b32 exec_lo, exec_lo, s45
	s_wait_dscnt 0x0
	s_barrier_signal -1
	s_barrier_wait -1
	s_barrier_signal -1
	s_barrier_wait -1
	s_and_saveexec_b32 s45, s99
	s_cbranch_execz .LBB101_1085
; %bb.1084:                             ;   in Loop: Header=BB101_3 Depth=1
	ds_load_b32 v28, v60 offset:1024
	s_wait_dscnt 0x0
	ds_store_b32 v61, v28 offset:16
	ds_load_b32 v28, v60 offset:1028
	s_wait_dscnt 0x0
	ds_store_b32 v61, v28 offset:272
	;; [unrolled: 3-line block ×4, first 2 shown]
.LBB101_1085:                           ;   in Loop: Header=BB101_3 Depth=1
	s_or_b32 exec_lo, exec_lo, s45
	s_wait_dscnt 0x0
	s_barrier_signal -1
	s_barrier_wait -1
	s_and_saveexec_b32 s45, s15
	s_cbranch_execz .LBB101_1087
; %bb.1086:                             ;   in Loop: Header=BB101_3 Depth=1
	ds_load_b64 v[28:29], v3 offset:776
	ds_load_b32 v30, v3 offset:520
	s_wait_dscnt 0x0
	v_mul_f32_e32 v29, v30, v29
	s_delay_alu instid0(VALU_DEP_1)
	v_mul_f32_e32 v28, v28, v29
	ds_store_2addr_b32 v3, v28, v28 offset0:131 offset1:194
.LBB101_1087:                           ;   in Loop: Header=BB101_3 Depth=1
	s_or_b32 exec_lo, exec_lo, s45
	v_mov_b32_e32 v28, 0
	s_wait_dscnt 0x0
	s_barrier_signal -1
	s_barrier_wait -1
	global_wb scope:SCOPE_DEV
	s_wait_storecnt 0x0
	global_inv scope:SCOPE_DEV
	s_and_saveexec_b32 s45, s2
	s_cbranch_execz .LBB101_1091
; %bb.1088:                             ;   in Loop: Header=BB101_3 Depth=1
	ds_load_b32 v28, v35 offset:512
	ds_load_b32 v29, v34 offset:776
	s_wait_dscnt 0x0
	v_fma_f32 v28, v28, v29, 0
	s_and_saveexec_b32 s46, s16
	s_cbranch_execz .LBB101_1090
; %bb.1089:                             ;   in Loop: Header=BB101_3 Depth=1
	ds_load_b32 v29, v61 offset:768
	ds_load_b32 v30, v3 offset:780
	s_wait_dscnt 0x0
	v_fmac_f32_e32 v28, v29, v30
.LBB101_1090:                           ;   in Loop: Header=BB101_3 Depth=1
	s_or_b32 exec_lo, exec_lo, s46
.LBB101_1091:                           ;   in Loop: Header=BB101_3 Depth=1
	s_delay_alu instid0(SALU_CYCLE_1)
	s_or_b32 exec_lo, exec_lo, s45
	s_and_saveexec_b32 s45, s90
	s_cbranch_execz .LBB101_1093
; %bb.1092:                             ;   in Loop: Header=BB101_3 Depth=1
	ds_load_b32 v29, v3 offset:260
	s_wait_dscnt 0x0
	v_mul_f32_e32 v28, v28, v29
	s_delay_alu instid0(VALU_DEP_1)
	v_xor_b32_e32 v29, 0x80000000, v28
	ds_store_b32 v5, v29
.LBB101_1093:                           ;   in Loop: Header=BB101_3 Depth=1
	s_or_b32 exec_lo, exec_lo, s45
	s_wait_loadcnt_dscnt 0x0
	s_barrier_signal -1
	s_barrier_wait -1
	s_and_saveexec_b32 s45, s91
	s_cbranch_execz .LBB101_1095
; %bb.1094:                             ;   in Loop: Header=BB101_3 Depth=1
	ds_load_b32 v29, v3 offset:256
	ds_load_b32 v30, v5
	s_wait_dscnt 0x0
	v_fma_f32 v28, -v29, v30, v28
.LBB101_1095:                           ;   in Loop: Header=BB101_3 Depth=1
	s_or_b32 exec_lo, exec_lo, s45
	s_barrier_signal -1
	s_barrier_wait -1
	s_and_saveexec_b32 s45, s91
	s_cbranch_execz .LBB101_1097
; %bb.1096:                             ;   in Loop: Header=BB101_3 Depth=1
	ds_load_b32 v29, v3
	s_wait_dscnt 0x0
	v_mul_f32_e32 v28, v28, v29
	s_delay_alu instid0(VALU_DEP_1)
	v_xor_b32_e32 v29, 0x80000000, v28
	ds_store_b32 v5, v29
.LBB101_1097:                           ;   in Loop: Header=BB101_3 Depth=1
	s_or_b32 exec_lo, exec_lo, s45
	s_wait_dscnt 0x0
	s_barrier_signal -1
	s_barrier_wait -1
	s_barrier_signal -1
	s_barrier_wait -1
	s_and_saveexec_b32 s45, s2
; %bb.1098:                             ;   in Loop: Header=BB101_3 Depth=1
	ds_store_b32 v37, v28 offset:768
; %bb.1099:                             ;   in Loop: Header=BB101_3 Depth=1
	s_or_b32 exec_lo, exec_lo, s45
	s_wait_dscnt 0x0
	s_barrier_signal -1
	s_barrier_wait -1
	s_barrier_signal -1
	s_barrier_wait -1
	s_and_saveexec_b32 s45, s92
	s_cbranch_execz .LBB101_1101
; %bb.1100:                             ;   in Loop: Header=BB101_3 Depth=1
	ds_load_b32 v28, v62 offset:512
	s_wait_dscnt 0x0
	ds_store_b32 v61, v28 offset:8
	ds_load_b32 v28, v62 offset:516
	s_wait_dscnt 0x0
	ds_store_b32 v61, v28 offset:264
.LBB101_1101:                           ;   in Loop: Header=BB101_3 Depth=1
	s_or_b32 exec_lo, exec_lo, s45
	s_wait_dscnt 0x0
	s_barrier_signal -1
	s_barrier_wait -1
	s_and_saveexec_b32 s45, s15
	s_cbranch_execz .LBB101_1103
; %bb.1102:                             ;   in Loop: Header=BB101_3 Depth=1
	ds_load_b64 v[28:29], v3 offset:256
	ds_load_b32 v30, v3
	s_wait_dscnt 0x0
	v_mul_f32_e32 v29, v30, v29
	s_delay_alu instid0(VALU_DEP_1)
	v_mul_f32_e32 v28, v28, v29
	ds_store_2addr_b32 v3, v28, v28 offset0:1 offset1:64
.LBB101_1103:                           ;   in Loop: Header=BB101_3 Depth=1
	s_or_b32 exec_lo, exec_lo, s45
.LBB101_1104:                           ;   in Loop: Header=BB101_3 Depth=1
	v_add_nc_u64_e32 v[26:27], s[72:73], v[26:27]
	v_mov_b32_e32 v30, 0
	s_wait_dscnt 0x0
	s_barrier_signal -1
	s_barrier_wait -1
	s_and_saveexec_b32 s45, s12
	s_cbranch_execz .LBB101_1106
; %bb.1105:                             ;   in Loop: Header=BB101_3 Depth=1
	v_lshl_add_u64 v[28:29], v[0:1], 2, v[26:27]
	flat_load_b32 v28, v[28:29]
	s_wait_loadcnt_dscnt 0x0
	v_mul_f32_e64 v30, v28, -v2
.LBB101_1106:                           ;   in Loop: Header=BB101_3 Depth=1
	s_or_b32 exec_lo, exec_lo, s45
	s_delay_alu instid0(SALU_CYCLE_1)
	s_and_not1_b32 vcc_lo, exec_lo, s11
	s_cbranch_vccnz .LBB101_1132
; %bb.1107:                             ;   in Loop: Header=BB101_3 Depth=1
	v_mov_b32_e32 v31, -1
	s_lshl_b64 s[82:83], s[66:67], 2
	s_mov_b32 s87, 0
	s_add_nc_u64 s[82:83], s[80:81], s[82:83]
	s_branch .LBB101_1110
.LBB101_1108:                           ;   in Loop: Header=BB101_1110 Depth=2
	s_wait_xcnt 0x0
	ds_load_b32 v28, v66 offset:192
	s_wait_loadcnt_dscnt 0x0
	v_fmac_f32_e32 v30, v2, v28
.LBB101_1109:                           ;   in Loop: Header=BB101_1110 Depth=2
	s_or_b32 exec_lo, exec_lo, s45
	s_add_co_i32 s87, s87, 1
	s_delay_alu instid0(SALU_CYCLE_1)
	s_cmp_eq_u32 s87, s86
	s_cbranch_scc1 .LBB101_1132
.LBB101_1110:                           ;   Parent Loop BB101_3 Depth=1
                                        ; =>  This Loop Header: Depth=2
                                        ;       Child Loop BB101_1112 Depth 3
	v_cmp_gt_i32_e32 vcc_lo, s87, v31
	s_and_b32 s46, s59, vcc_lo
	s_delay_alu instid0(SALU_CYCLE_1)
	s_and_saveexec_b32 s45, s46
	s_cbranch_execz .LBB101_1113
; %bb.1111:                             ;   in Loop: Header=BB101_1110 Depth=2
	global_load_b32 v31, v3, s[82:83]
	s_wait_loadcnt 0x0
	v_cmp_le_i32_e32 vcc_lo, s87, v31
	s_cbranch_vccnz .LBB101_1113
.LBB101_1112:                           ;   Parent Loop BB101_3 Depth=1
                                        ;     Parent Loop BB101_1110 Depth=2
                                        ; =>    This Inner Loop Header: Depth=3
	global_wb scope:SCOPE_DEV
	s_wait_storecnt 0x0
	global_inv scope:SCOPE_DEV
	global_load_b32 v31, v3, s[82:83]
	s_wait_loadcnt 0x0
	v_cmp_gt_i32_e32 vcc_lo, s87, v31
	s_cbranch_vccnz .LBB101_1112
.LBB101_1113:                           ;   in Loop: Header=BB101_1110 Depth=2
	s_or_b32 exec_lo, exec_lo, s45
	s_lshl_b32 s65, s87, 6
	global_wb scope:SCOPE_DEV
	s_wait_storecnt 0x0
	global_inv scope:SCOPE_DEV
	s_wait_loadcnt 0x0
	s_barrier_signal -1
	s_barrier_wait -1
	s_and_saveexec_b32 s45, s60
	s_cbranch_execz .LBB101_1117
; %bb.1114:                             ;   in Loop: Header=BB101_1110 Depth=2
	v_dual_mov_b32 v28, 0 :: v_dual_bitop2_b32 v2, s65, v6 bitop3:0x54
	s_mov_b32 s46, exec_lo
	s_delay_alu instid0(VALU_DEP_1)
	v_cmpx_gt_i32_e64 s85, v2
	s_cbranch_execz .LBB101_1116
; %bb.1115:                             ;   in Loop: Header=BB101_1110 Depth=2
	v_mul_u64_e32 v[28:29], s[74:75], v[2:3]
	s_delay_alu instid0(VALU_DEP_1)
	v_lshl_add_u64 v[28:29], v[28:29], 2, v[26:27]
	flat_load_b32 v28, v[28:29]
.LBB101_1116:                           ;   in Loop: Header=BB101_1110 Depth=2
	s_wait_xcnt 0x0
	s_or_b32 exec_lo, exec_lo, s46
	s_wait_loadcnt_dscnt 0x0
	ds_store_b32 v67, v28
.LBB101_1117:                           ;   in Loop: Header=BB101_1110 Depth=2
	s_or_b32 exec_lo, exec_lo, s45
	v_add_nc_u32_e32 v2, s65, v32
	v_cmp_ne_u32_e32 vcc_lo, s87, v33
	s_wait_dscnt 0x0
	s_barrier_signal -1
	s_barrier_wait -1
	v_cmp_gt_i32_e64 s65, s85, v2
	v_lshl_add_u64 v[28:29], v[2:3], 2, v[24:25]
	v_cndmask_b32_e64 v82, 0, 1, vcc_lo
	s_and_b32 s46, s65, s0
	s_delay_alu instid0(SALU_CYCLE_1)
	s_and_saveexec_b32 s45, s46
	s_cbranch_execz .LBB101_1121
; %bb.1118:                             ;   in Loop: Header=BB101_1110 Depth=2
	v_mov_b32_e32 v83, v78
	s_and_not1_b32 vcc_lo, exec_lo, vcc_lo
	s_cbranch_vccnz .LBB101_1120
; %bb.1119:                             ;   in Loop: Header=BB101_1110 Depth=2
	flat_load_b32 v83, v[28:29]
.LBB101_1120:                           ;   in Loop: Header=BB101_1110 Depth=2
	ds_load_b32 v84, v66
	s_wait_loadcnt_dscnt 0x0
	v_fmac_f32_e32 v30, v83, v84
.LBB101_1121:                           ;   in Loop: Header=BB101_1110 Depth=2
	s_or_b32 exec_lo, exec_lo, s45
	v_add_nc_u32_e32 v83, 16, v2
	s_delay_alu instid0(VALU_DEP_1) | instskip(SKIP_1) | instid1(SALU_CYCLE_1)
	v_cmp_gt_i32_e32 vcc_lo, s85, v83
	s_and_b32 s46, vcc_lo, s0
	s_and_saveexec_b32 s45, s46
	s_cbranch_execz .LBB101_1125
; %bb.1122:                             ;   in Loop: Header=BB101_1110 Depth=2
	v_cmp_ne_u32_e32 vcc_lo, 1, v82
	v_mov_b32_e32 v83, v79
	s_cbranch_vccnz .LBB101_1124
; %bb.1123:                             ;   in Loop: Header=BB101_1110 Depth=2
	flat_load_b32 v83, v[28:29] offset:64
.LBB101_1124:                           ;   in Loop: Header=BB101_1110 Depth=2
	ds_load_b32 v84, v66 offset:64
	s_wait_loadcnt_dscnt 0x0
	v_fmac_f32_e32 v30, v83, v84
.LBB101_1125:                           ;   in Loop: Header=BB101_1110 Depth=2
	s_or_b32 exec_lo, exec_lo, s45
	v_add_nc_u32_e32 v83, 32, v2
	s_delay_alu instid0(VALU_DEP_1) | instskip(SKIP_1) | instid1(SALU_CYCLE_1)
	v_cmp_gt_i32_e32 vcc_lo, s85, v83
	s_and_b32 s46, vcc_lo, s0
	s_and_saveexec_b32 s45, s46
	s_cbranch_execz .LBB101_1129
; %bb.1126:                             ;   in Loop: Header=BB101_1110 Depth=2
	v_cmp_ne_u32_e32 vcc_lo, 1, v82
	v_mov_b32_e32 v83, v80
	s_cbranch_vccnz .LBB101_1128
; %bb.1127:                             ;   in Loop: Header=BB101_1110 Depth=2
	flat_load_b32 v83, v[28:29] offset:128
.LBB101_1128:                           ;   in Loop: Header=BB101_1110 Depth=2
	ds_load_b32 v84, v66 offset:128
	s_wait_loadcnt_dscnt 0x0
	v_fmac_f32_e32 v30, v83, v84
.LBB101_1129:                           ;   in Loop: Header=BB101_1110 Depth=2
	s_or_b32 exec_lo, exec_lo, s45
	v_add_nc_u32_e32 v2, 48, v2
	s_delay_alu instid0(VALU_DEP_1) | instskip(SKIP_1) | instid1(SALU_CYCLE_1)
	v_cmp_gt_i32_e32 vcc_lo, s85, v2
	s_and_b32 s46, vcc_lo, s0
	s_and_saveexec_b32 s45, s46
	s_cbranch_execz .LBB101_1109
; %bb.1130:                             ;   in Loop: Header=BB101_1110 Depth=2
	v_cmp_ne_u32_e32 vcc_lo, 1, v82
	v_mov_b32_e32 v2, v81
	s_cbranch_vccnz .LBB101_1108
; %bb.1131:                             ;   in Loop: Header=BB101_1110 Depth=2
	flat_load_b32 v2, v[28:29] offset:192
	s_branch .LBB101_1108
.LBB101_1132:                           ;   in Loop: Header=BB101_3 Depth=1
	ds_store_b32 v68, v30
	s_wait_dscnt 0x0
	s_barrier_signal -1
	s_barrier_wait -1
	s_and_saveexec_b32 s65, s3
	s_cbranch_execz .LBB101_1134
; %bb.1133:                             ;   in Loop: Header=BB101_3 Depth=1
	ds_load_2addr_stride64_b32 v[24:25], v69 offset0:1 offset1:2
	ds_load_2addr_stride64_b32 v[28:29], v69 offset0:3 offset1:4
	;; [unrolled: 1-line block ×4, first 2 shown]
	v_readlane_b32 s45, v87, 2
	s_wait_dscnt 0x3
	v_add_f32_e32 v2, v30, v24
	s_delay_alu instid0(VALU_DEP_1) | instskip(SKIP_3) | instid1(VALU_DEP_1)
	v_add_f32_e32 v2, v2, v25
	ds_load_2addr_stride64_b32 v[24:25], v69 offset0:9 offset1:10
	s_wait_dscnt 0x3
	v_add_f32_e32 v2, v2, v28
	v_add_f32_e32 v2, v2, v29
	ds_load_2addr_stride64_b32 v[28:29], v69 offset0:11 offset1:12
	s_wait_dscnt 0x3
	v_add_f32_e32 v2, v2, v82
	ds_load_2addr_stride64_b32 v[30:31], v69 offset0:13 offset1:14
	ds_load_b32 v82, v69 offset:3840
	v_add_f32_e32 v2, v2, v83
	s_wait_dscnt 0x4
	s_delay_alu instid0(VALU_DEP_1) | instskip(NEXT) | instid1(VALU_DEP_1)
	v_add_f32_e32 v2, v2, v84
	v_add_f32_e32 v2, v2, v85
	s_wait_dscnt 0x3
	s_delay_alu instid0(VALU_DEP_1) | instskip(NEXT) | instid1(VALU_DEP_1)
	v_add_f32_e32 v2, v2, v24
	v_add_f32_e32 v2, v2, v25
	s_wait_dscnt 0x2
	s_delay_alu instid0(VALU_DEP_1) | instskip(NEXT) | instid1(VALU_DEP_1)
	v_add_f32_e32 v2, v2, v28
	v_add_f32_e32 v2, v2, v29
	s_wait_dscnt 0x1
	s_delay_alu instid0(VALU_DEP_1) | instskip(NEXT) | instid1(VALU_DEP_1)
	v_add_f32_e32 v2, v2, v30
	v_add_f32_e32 v2, v2, v31
	s_wait_dscnt 0x0
	s_delay_alu instid0(VALU_DEP_1) | instskip(NEXT) | instid1(VALU_DEP_1)
	v_add_f32_e32 v2, v2, v82
	v_cndmask_b32_e64 v30, -v2, 0, s45
.LBB101_1134:                           ;   in Loop: Header=BB101_3 Depth=1
	s_or_b32 exec_lo, exec_lo, s65
	s_delay_alu instid0(SALU_CYCLE_1)
	s_and_not1_b32 vcc_lo, exec_lo, s89
	s_cbranch_vccnz .LBB101_1144
; %bb.1135:                             ;   in Loop: Header=BB101_3 Depth=1
	s_and_saveexec_b32 s45, s3
; %bb.1136:                             ;   in Loop: Header=BB101_3 Depth=1
	ds_store_b32 v71, v30
; %bb.1137:                             ;   in Loop: Header=BB101_3 Depth=1
	s_or_b32 exec_lo, exec_lo, s45
	v_mov_b32_e32 v2, 0
	s_wait_dscnt 0x0
	s_barrier_signal -1
	s_barrier_wait -1
	s_and_saveexec_b32 s45, s1
	s_cbranch_execnz .LBB101_1199
; %bb.1138:                             ;   in Loop: Header=BB101_3 Depth=1
	s_or_b32 exec_lo, exec_lo, s45
	s_and_saveexec_b32 s45, s8
	s_cbranch_execnz .LBB101_1200
.LBB101_1139:                           ;   in Loop: Header=BB101_3 Depth=1
	s_or_b32 exec_lo, exec_lo, s45
	s_and_saveexec_b32 s45, s9
	s_cbranch_execnz .LBB101_1201
.LBB101_1140:                           ;   in Loop: Header=BB101_3 Depth=1
	s_or_b32 exec_lo, exec_lo, s45
	s_and_saveexec_b32 s45, s10
	s_cbranch_execz .LBB101_1142
.LBB101_1141:                           ;   in Loop: Header=BB101_3 Depth=1
	ds_load_b32 v24, v70 offset:12288
	ds_load_b32 v25, v66 offset:192
	s_wait_dscnt 0x0
	v_fmac_f32_e32 v2, v24, v25
.LBB101_1142:                           ;   in Loop: Header=BB101_3 Depth=1
	s_or_b32 exec_lo, exec_lo, s45
	s_mov_b32 s82, 0
	s_mov_b32 s65, 0
	ds_store_b32 v68, v2
	s_wait_dscnt 0x0
	s_barrier_signal -1
	s_barrier_wait -1
                                        ; implicit-def: $vgpr24
	s_and_saveexec_b32 s83, s3
	s_cbranch_execz .LBB101_1202
; %bb.1143:                             ;   in Loop: Header=BB101_3 Depth=1
	ds_load_2addr_stride64_b32 v[24:25], v69 offset0:1 offset1:2
	ds_load_2addr_stride64_b32 v[28:29], v69 offset0:3 offset1:4
	;; [unrolled: 1-line block ×4, first 2 shown]
	s_mov_b32 s65, exec_lo
	s_wait_dscnt 0x3
	v_add_f32_e32 v2, v2, v24
	s_delay_alu instid0(VALU_DEP_1) | instskip(SKIP_3) | instid1(VALU_DEP_1)
	v_add_f32_e32 v2, v25, v2
	ds_load_2addr_stride64_b32 v[24:25], v69 offset0:9 offset1:10
	s_wait_dscnt 0x3
	v_add_f32_e32 v2, v28, v2
	v_add_f32_e32 v2, v29, v2
	ds_load_2addr_stride64_b32 v[28:29], v69 offset0:11 offset1:12
	s_wait_dscnt 0x3
	v_add_f32_e32 v2, v82, v2
	s_delay_alu instid0(VALU_DEP_1) | instskip(SKIP_4) | instid1(VALU_DEP_1)
	v_add_f32_e32 v2, v83, v2
	ds_load_2addr_stride64_b32 v[82:83], v69 offset0:13 offset1:14
	ds_load_b32 v31, v69 offset:3840
	s_wait_dscnt 0x4
	v_add_f32_e32 v2, v84, v2
	v_add_f32_e32 v2, v85, v2
	s_wait_dscnt 0x3
	s_delay_alu instid0(VALU_DEP_1) | instskip(NEXT) | instid1(VALU_DEP_1)
	v_add_f32_e32 v2, v24, v2
	v_add_f32_e32 v2, v25, v2
	s_wait_dscnt 0x2
	s_delay_alu instid0(VALU_DEP_1) | instskip(NEXT) | instid1(VALU_DEP_1)
	;; [unrolled: 4-line block ×3, first 2 shown]
	v_add_f32_e32 v2, v82, v2
	v_add_f32_e32 v2, v83, v2
	s_wait_dscnt 0x0
	s_delay_alu instid0(VALU_DEP_1) | instskip(SKIP_1) | instid1(SALU_CYCLE_1)
	v_add_f32_e32 v24, v31, v2
	s_or_b32 exec_lo, exec_lo, s83
	s_and_b32 vcc_lo, exec_lo, s82
	s_cbranch_vccnz .LBB101_1145
	s_branch .LBB101_1203
.LBB101_1144:                           ;   in Loop: Header=BB101_3 Depth=1
	s_mov_b32 s65, 0
                                        ; implicit-def: $vgpr24
	s_cbranch_execz .LBB101_1203
.LBB101_1145:                           ;   in Loop: Header=BB101_3 Depth=1
	v_dual_mov_b32 v2, v4 :: v_dual_mov_b32 v24, v77
	s_mov_b32 s82, 0
	s_branch .LBB101_1147
.LBB101_1146:                           ;   in Loop: Header=BB101_1147 Depth=2
	s_or_b32 exec_lo, exec_lo, s45
	v_add_nc_u32_e32 v24, 0x400, v24
	v_add_nc_u32_e32 v2, -4, v2
	s_add_co_i32 s82, s82, 4
	s_delay_alu instid0(SALU_CYCLE_1)
	s_cmp_lg_u32 s82, 64
	s_barrier_signal -1
	s_barrier_wait -1
	s_cbranch_scc0 .LBB101_1163
.LBB101_1147:                           ;   Parent Loop BB101_3 Depth=1
                                        ; =>  This Inner Loop Header: Depth=2
	s_delay_alu instid0(VALU_DEP_1) | instskip(SKIP_2) | instid1(SALU_CYCLE_1)
	v_cmp_eq_u32_e32 vcc_lo, 0, v2
	v_add_nc_u32_e32 v25, v62, v36
	s_and_b32 s46, s3, vcc_lo
	s_and_saveexec_b32 s45, s46
	s_cbranch_execz .LBB101_1149
; %bb.1148:                             ;   in Loop: Header=BB101_1147 Depth=2
	ds_load_b32 v28, v25
	s_wait_dscnt 0x0
	v_mul_f32_e32 v30, v30, v28
	ds_store_b32 v3, v30 offset:20736
.LBB101_1149:                           ;   in Loop: Header=BB101_1147 Depth=2
	s_or_b32 exec_lo, exec_lo, s45
	v_cmp_lt_u32_e32 vcc_lo, s82, v4
	s_wait_dscnt 0x0
	s_barrier_signal -1
	s_barrier_wait -1
	s_and_b32 s46, s3, vcc_lo
	s_delay_alu instid0(SALU_CYCLE_1)
	s_and_saveexec_b32 s45, s46
	s_cbranch_execz .LBB101_1151
; %bb.1150:                             ;   in Loop: Header=BB101_1147 Depth=2
	ds_load_b32 v28, v24
	ds_load_b32 v29, v3 offset:20736
	s_wait_dscnt 0x0
	v_fmac_f32_e32 v30, v28, v29
.LBB101_1151:                           ;   in Loop: Header=BB101_1147 Depth=2
	s_or_b32 exec_lo, exec_lo, s45
	s_or_b32 s45, s82, 1
	s_delay_alu instid0(SALU_CYCLE_1) | instskip(SKIP_3) | instid1(SALU_CYCLE_1)
	v_cmp_eq_u32_e32 vcc_lo, s45, v4
	s_barrier_signal -1
	s_barrier_wait -1
	s_and_b32 s83, s3, vcc_lo
	s_and_saveexec_b32 s46, s83
	s_cbranch_execz .LBB101_1153
; %bb.1152:                             ;   in Loop: Header=BB101_1147 Depth=2
	ds_load_b32 v28, v25
	s_wait_dscnt 0x0
	v_mul_f32_e32 v30, v30, v28
	ds_store_b32 v3, v30 offset:20736
.LBB101_1153:                           ;   in Loop: Header=BB101_1147 Depth=2
	s_or_b32 exec_lo, exec_lo, s46
	v_cmp_lt_u32_e32 vcc_lo, s45, v4
	s_wait_dscnt 0x0
	s_barrier_signal -1
	s_barrier_wait -1
	s_and_b32 s46, s3, vcc_lo
	s_delay_alu instid0(SALU_CYCLE_1)
	s_and_saveexec_b32 s45, s46
	s_cbranch_execz .LBB101_1155
; %bb.1154:                             ;   in Loop: Header=BB101_1147 Depth=2
	ds_load_b32 v28, v24 offset:256
	ds_load_b32 v29, v3 offset:20736
	s_wait_dscnt 0x0
	v_fmac_f32_e32 v30, v28, v29
.LBB101_1155:                           ;   in Loop: Header=BB101_1147 Depth=2
	s_or_b32 exec_lo, exec_lo, s45
	s_or_b32 s45, s82, 2
	s_delay_alu instid0(SALU_CYCLE_1) | instskip(SKIP_3) | instid1(SALU_CYCLE_1)
	v_cmp_eq_u32_e32 vcc_lo, s45, v4
	s_barrier_signal -1
	s_barrier_wait -1
	s_and_b32 s83, s3, vcc_lo
	s_and_saveexec_b32 s46, s83
	s_cbranch_execz .LBB101_1157
; %bb.1156:                             ;   in Loop: Header=BB101_1147 Depth=2
	ds_load_b32 v28, v25
	s_wait_dscnt 0x0
	v_mul_f32_e32 v30, v30, v28
	ds_store_b32 v3, v30 offset:20736
.LBB101_1157:                           ;   in Loop: Header=BB101_1147 Depth=2
	s_or_b32 exec_lo, exec_lo, s46
	v_cmp_lt_u32_e32 vcc_lo, s45, v4
	s_wait_dscnt 0x0
	s_barrier_signal -1
	s_barrier_wait -1
	s_and_b32 s46, s3, vcc_lo
	s_delay_alu instid0(SALU_CYCLE_1)
	s_and_saveexec_b32 s45, s46
	s_cbranch_execz .LBB101_1159
; %bb.1158:                             ;   in Loop: Header=BB101_1147 Depth=2
	ds_load_b32 v28, v24 offset:512
	ds_load_b32 v29, v3 offset:20736
	s_wait_dscnt 0x0
	v_fmac_f32_e32 v30, v28, v29
.LBB101_1159:                           ;   in Loop: Header=BB101_1147 Depth=2
	s_or_b32 exec_lo, exec_lo, s45
	s_or_b32 s45, s82, 3
	s_delay_alu instid0(SALU_CYCLE_1) | instskip(SKIP_3) | instid1(SALU_CYCLE_1)
	v_cmp_eq_u32_e32 vcc_lo, s45, v4
	s_barrier_signal -1
	s_barrier_wait -1
	s_and_b32 s83, s3, vcc_lo
	s_and_saveexec_b32 s46, s83
	s_cbranch_execz .LBB101_1161
; %bb.1160:                             ;   in Loop: Header=BB101_1147 Depth=2
	ds_load_b32 v25, v25
	s_wait_dscnt 0x0
	v_mul_f32_e32 v30, v30, v25
	ds_store_b32 v3, v30 offset:20736
.LBB101_1161:                           ;   in Loop: Header=BB101_1147 Depth=2
	s_or_b32 exec_lo, exec_lo, s46
	v_cmp_lt_u32_e32 vcc_lo, s45, v4
	s_wait_dscnt 0x0
	s_barrier_signal -1
	s_barrier_wait -1
	s_and_b32 s46, s3, vcc_lo
	s_delay_alu instid0(SALU_CYCLE_1)
	s_and_saveexec_b32 s45, s46
	s_cbranch_execz .LBB101_1146
; %bb.1162:                             ;   in Loop: Header=BB101_1147 Depth=2
	ds_load_b32 v25, v24 offset:768
	ds_load_b32 v28, v3 offset:20736
	s_wait_dscnt 0x0
	v_fmac_f32_e32 v30, v25, v28
	s_branch .LBB101_1146
.LBB101_1163:                           ;   in Loop: Header=BB101_3 Depth=1
	s_and_b32 vcc_lo, exec_lo, s88
	s_mov_b32 s45, -1
	s_cbranch_vccz .LBB101_1165
; %bb.1164:                             ;   in Loop: Header=BB101_3 Depth=1
	s_and_not1_b32 s46, s65, exec_lo
	s_and_b32 s65, s3, exec_lo
	s_mov_b32 s45, 0
	s_or_b32 s65, s46, s65
.LBB101_1165:                           ;   in Loop: Header=BB101_3 Depth=1
	s_and_not1_b32 vcc_lo, exec_lo, s45
	s_cbranch_vccnz .LBB101_1167
; %bb.1166:                             ;   in Loop: Header=BB101_3 Depth=1
	v_readlane_b32 s46, v87, 3
	s_and_not1_b32 s45, s65, exec_lo
	s_and_b32 s46, s46, exec_lo
	s_delay_alu instid0(SALU_CYCLE_1)
	s_or_b32 s65, s45, s46
.LBB101_1167:                           ;   in Loop: Header=BB101_3 Depth=1
	v_mov_b64_e32 v[24:25], v[22:23]
	s_and_saveexec_b32 s45, s65
	s_cbranch_execnz .LBB101_1204
	s_branch .LBB101_1205
.LBB101_1168:                           ;   in Loop: Header=BB101_3 Depth=1
	s_mov_b32 s45, exec_lo
	v_readlane_b32 s46, v87, 12
	s_and_b32 s46, s45, s46
	s_delay_alu instid0(SALU_CYCLE_1)
	s_xor_b32 s45, s46, s45
	s_mov_b32 exec_lo, s46
	s_cbranch_execz .LBB101_1172
; %bb.1169:                             ;   in Loop: Header=BB101_3 Depth=1
	s_mov_b32 s46, exec_lo
	v_readlane_b32 s82, v86, 22
	s_and_b32 s82, s46, s82
	s_delay_alu instid0(SALU_CYCLE_1)
	s_mov_b32 exec_lo, s82
; %bb.1170:                             ;   in Loop: Header=BB101_3 Depth=1
	ds_store_b32 v72, v3
; %bb.1171:                             ;   in Loop: Header=BB101_3 Depth=1
	s_or_b32 exec_lo, exec_lo, s46
.LBB101_1172:                           ;   in Loop: Header=BB101_3 Depth=1
	s_and_not1_saveexec_b32 s45, s45
	s_cbranch_execz .LBB101_1174
; %bb.1173:                             ;   in Loop: Header=BB101_3 Depth=1
	v_lshl_add_u64 v[30:31], v[12:13], 2, v[28:29]
	flat_load_b32 v30, v[30:31]
	s_wait_loadcnt_dscnt 0x0
	v_div_scale_f32 v31, null, v30, v30, 1.0
	s_delay_alu instid0(VALU_DEP_1) | instskip(SKIP_1) | instid1(TRANS32_DEP_1)
	v_rcp_f32_e32 v82, v31
	v_nop
	v_fma_f32 v83, -v31, v82, 1.0
	s_delay_alu instid0(VALU_DEP_1) | instskip(SKIP_1) | instid1(VALU_DEP_1)
	v_fmac_f32_e32 v82, v83, v82
	v_div_scale_f32 v83, vcc_lo, 1.0, v30, 1.0
	v_mul_f32_e32 v84, v83, v82
	s_delay_alu instid0(VALU_DEP_1) | instskip(NEXT) | instid1(VALU_DEP_1)
	v_fma_f32 v85, -v31, v84, v83
	v_fmac_f32_e32 v84, v85, v82
	s_delay_alu instid0(VALU_DEP_1) | instskip(NEXT) | instid1(VALU_DEP_1)
	v_fma_f32 v31, -v31, v84, v83
	v_div_fmas_f32 v31, v31, v82, v84
	s_delay_alu instid0(VALU_DEP_1)
	v_div_fixup_f32 v30, v31, v30, 1.0
	ds_store_b32 v72, v30
.LBB101_1174:                           ;   in Loop: Header=BB101_3 Depth=1
	s_or_b32 exec_lo, exec_lo, s45
	s_and_not1_saveexec_b32 s45, s65
	s_cbranch_execz .LBB101_17
.LBB101_1175:                           ;   in Loop: Header=BB101_3 Depth=1
	v_lshl_add_u64 v[30:31], v[12:13], 2, v[28:29]
	flat_load_b32 v30, v[30:31]
	s_wait_loadcnt_dscnt 0x0
	v_xor_b32_e32 v30, 0x80000000, v30
	ds_store_b32 v72, v30
	s_or_b32 exec_lo, exec_lo, s45
	s_and_saveexec_b32 s45, s8
	s_delay_alu instid0(SALU_CYCLE_1)
	s_xor_b32 s65, exec_lo, s45
	s_cbranch_execz .LBB101_18
.LBB101_1176:                           ;   in Loop: Header=BB101_3 Depth=1
	s_mov_b32 s45, exec_lo
	v_readlane_b32 s46, v87, 14
	s_and_b32 s46, s45, s46
	s_delay_alu instid0(SALU_CYCLE_1)
	s_xor_b32 s45, s46, s45
	s_mov_b32 exec_lo, s46
	s_cbranch_execz .LBB101_1180
; %bb.1177:                             ;   in Loop: Header=BB101_3 Depth=1
	s_mov_b32 s46, exec_lo
	v_readlane_b32 s82, v86, 23
	s_and_b32 s82, s46, s82
	s_delay_alu instid0(SALU_CYCLE_1)
	s_mov_b32 exec_lo, s82
; %bb.1178:                             ;   in Loop: Header=BB101_3 Depth=1
	ds_store_b32 v73, v3
; %bb.1179:                             ;   in Loop: Header=BB101_3 Depth=1
	s_or_b32 exec_lo, exec_lo, s46
.LBB101_1180:                           ;   in Loop: Header=BB101_3 Depth=1
	s_and_not1_saveexec_b32 s45, s45
	s_cbranch_execz .LBB101_1182
; %bb.1181:                             ;   in Loop: Header=BB101_3 Depth=1
	v_lshl_add_u64 v[30:31], v[14:15], 2, v[28:29]
	flat_load_b32 v30, v[30:31]
	s_wait_loadcnt_dscnt 0x0
	v_div_scale_f32 v31, null, v30, v30, 1.0
	s_delay_alu instid0(VALU_DEP_1) | instskip(SKIP_1) | instid1(TRANS32_DEP_1)
	v_rcp_f32_e32 v82, v31
	v_nop
	v_fma_f32 v83, -v31, v82, 1.0
	s_delay_alu instid0(VALU_DEP_1) | instskip(SKIP_1) | instid1(VALU_DEP_1)
	v_fmac_f32_e32 v82, v83, v82
	v_div_scale_f32 v83, vcc_lo, 1.0, v30, 1.0
	v_mul_f32_e32 v84, v83, v82
	s_delay_alu instid0(VALU_DEP_1) | instskip(NEXT) | instid1(VALU_DEP_1)
	v_fma_f32 v85, -v31, v84, v83
	v_fmac_f32_e32 v84, v85, v82
	s_delay_alu instid0(VALU_DEP_1) | instskip(NEXT) | instid1(VALU_DEP_1)
	v_fma_f32 v31, -v31, v84, v83
	v_div_fmas_f32 v31, v31, v82, v84
	s_delay_alu instid0(VALU_DEP_1)
	v_div_fixup_f32 v30, v31, v30, 1.0
	ds_store_b32 v73, v30
.LBB101_1182:                           ;   in Loop: Header=BB101_3 Depth=1
	s_or_b32 exec_lo, exec_lo, s45
	s_and_not1_saveexec_b32 s45, s65
	s_cbranch_execz .LBB101_19
.LBB101_1183:                           ;   in Loop: Header=BB101_3 Depth=1
	v_lshl_add_u64 v[30:31], v[14:15], 2, v[28:29]
	flat_load_b32 v30, v[30:31]
	s_wait_loadcnt_dscnt 0x0
	v_xor_b32_e32 v30, 0x80000000, v30
	ds_store_b32 v73, v30
	s_or_b32 exec_lo, exec_lo, s45
	s_and_saveexec_b32 s45, s9
	s_delay_alu instid0(SALU_CYCLE_1)
	s_xor_b32 s65, exec_lo, s45
	s_cbranch_execz .LBB101_20
.LBB101_1184:                           ;   in Loop: Header=BB101_3 Depth=1
	s_mov_b32 s45, exec_lo
	v_readlane_b32 s46, v87, 16
	s_and_b32 s46, s45, s46
	s_delay_alu instid0(SALU_CYCLE_1)
	s_xor_b32 s45, s46, s45
	s_mov_b32 exec_lo, s46
	s_cbranch_execz .LBB101_1188
; %bb.1185:                             ;   in Loop: Header=BB101_3 Depth=1
	s_mov_b32 s46, exec_lo
	v_readlane_b32 s82, v86, 24
	s_and_b32 s82, s46, s82
	s_delay_alu instid0(SALU_CYCLE_1)
	s_mov_b32 exec_lo, s82
; %bb.1186:                             ;   in Loop: Header=BB101_3 Depth=1
	ds_store_b32 v74, v3
; %bb.1187:                             ;   in Loop: Header=BB101_3 Depth=1
	s_or_b32 exec_lo, exec_lo, s46
.LBB101_1188:                           ;   in Loop: Header=BB101_3 Depth=1
	s_and_not1_saveexec_b32 s45, s45
	s_cbranch_execz .LBB101_1190
; %bb.1189:                             ;   in Loop: Header=BB101_3 Depth=1
	v_lshl_add_u64 v[30:31], v[16:17], 2, v[28:29]
	flat_load_b32 v30, v[30:31]
	s_wait_loadcnt_dscnt 0x0
	v_div_scale_f32 v31, null, v30, v30, 1.0
	s_delay_alu instid0(VALU_DEP_1) | instskip(SKIP_1) | instid1(TRANS32_DEP_1)
	v_rcp_f32_e32 v82, v31
	v_nop
	v_fma_f32 v83, -v31, v82, 1.0
	s_delay_alu instid0(VALU_DEP_1) | instskip(SKIP_1) | instid1(VALU_DEP_1)
	v_fmac_f32_e32 v82, v83, v82
	v_div_scale_f32 v83, vcc_lo, 1.0, v30, 1.0
	v_mul_f32_e32 v84, v83, v82
	s_delay_alu instid0(VALU_DEP_1) | instskip(NEXT) | instid1(VALU_DEP_1)
	v_fma_f32 v85, -v31, v84, v83
	v_fmac_f32_e32 v84, v85, v82
	s_delay_alu instid0(VALU_DEP_1) | instskip(NEXT) | instid1(VALU_DEP_1)
	v_fma_f32 v31, -v31, v84, v83
	v_div_fmas_f32 v31, v31, v82, v84
	s_delay_alu instid0(VALU_DEP_1)
	v_div_fixup_f32 v30, v31, v30, 1.0
	ds_store_b32 v74, v30
.LBB101_1190:                           ;   in Loop: Header=BB101_3 Depth=1
	s_or_b32 exec_lo, exec_lo, s45
	s_and_not1_saveexec_b32 s45, s65
	s_cbranch_execz .LBB101_21
.LBB101_1191:                           ;   in Loop: Header=BB101_3 Depth=1
	v_lshl_add_u64 v[30:31], v[16:17], 2, v[28:29]
	flat_load_b32 v30, v[30:31]
	s_wait_loadcnt_dscnt 0x0
	v_xor_b32_e32 v30, 0x80000000, v30
	ds_store_b32 v74, v30
	s_or_b32 exec_lo, exec_lo, s45
	s_and_saveexec_b32 s45, s10
	s_delay_alu instid0(SALU_CYCLE_1)
	s_xor_b32 s65, exec_lo, s45
	s_cbranch_execz .LBB101_22
.LBB101_1192:                           ;   in Loop: Header=BB101_3 Depth=1
	s_mov_b32 s45, exec_lo
	v_readlane_b32 s46, v87, 18
	s_and_b32 s46, s45, s46
	s_delay_alu instid0(SALU_CYCLE_1)
	s_xor_b32 s45, s46, s45
	s_mov_b32 exec_lo, s46
	s_cbranch_execz .LBB101_1196
; %bb.1193:                             ;   in Loop: Header=BB101_3 Depth=1
	s_mov_b32 s46, exec_lo
	v_readlane_b32 s82, v86, 25
	s_and_b32 s82, s46, s82
	s_delay_alu instid0(SALU_CYCLE_1)
	s_mov_b32 exec_lo, s82
; %bb.1194:                             ;   in Loop: Header=BB101_3 Depth=1
	ds_store_b32 v75, v3
; %bb.1195:                             ;   in Loop: Header=BB101_3 Depth=1
	s_or_b32 exec_lo, exec_lo, s46
.LBB101_1196:                           ;   in Loop: Header=BB101_3 Depth=1
	s_and_not1_saveexec_b32 s45, s45
	s_cbranch_execz .LBB101_1198
; %bb.1197:                             ;   in Loop: Header=BB101_3 Depth=1
	v_lshl_add_u64 v[30:31], v[18:19], 2, v[28:29]
	flat_load_b32 v30, v[30:31]
	s_wait_loadcnt_dscnt 0x0
	v_div_scale_f32 v31, null, v30, v30, 1.0
	s_delay_alu instid0(VALU_DEP_1) | instskip(SKIP_1) | instid1(TRANS32_DEP_1)
	v_rcp_f32_e32 v82, v31
	v_nop
	v_fma_f32 v83, -v31, v82, 1.0
	s_delay_alu instid0(VALU_DEP_1) | instskip(SKIP_1) | instid1(VALU_DEP_1)
	v_fmac_f32_e32 v82, v83, v82
	v_div_scale_f32 v83, vcc_lo, 1.0, v30, 1.0
	v_mul_f32_e32 v84, v83, v82
	s_delay_alu instid0(VALU_DEP_1) | instskip(NEXT) | instid1(VALU_DEP_1)
	v_fma_f32 v85, -v31, v84, v83
	v_fmac_f32_e32 v84, v85, v82
	s_delay_alu instid0(VALU_DEP_1) | instskip(NEXT) | instid1(VALU_DEP_1)
	v_fma_f32 v31, -v31, v84, v83
	v_div_fmas_f32 v31, v31, v82, v84
	s_delay_alu instid0(VALU_DEP_1)
	v_div_fixup_f32 v30, v31, v30, 1.0
	ds_store_b32 v75, v30
.LBB101_1198:                           ;   in Loop: Header=BB101_3 Depth=1
	s_or_b32 exec_lo, exec_lo, s45
	s_and_not1_saveexec_b32 s45, s65
	s_cbranch_execnz .LBB101_23
	s_branch .LBB101_24
.LBB101_1199:                           ;   in Loop: Header=BB101_3 Depth=1
	ds_load_b32 v2, v70
	ds_load_b32 v24, v66
	s_wait_dscnt 0x0
	v_fma_f32 v2, v2, v24, 0
	s_or_b32 exec_lo, exec_lo, s45
	s_and_saveexec_b32 s45, s8
	s_cbranch_execz .LBB101_1139
.LBB101_1200:                           ;   in Loop: Header=BB101_3 Depth=1
	ds_load_b32 v24, v70 offset:4096
	ds_load_b32 v25, v66 offset:64
	s_wait_dscnt 0x0
	v_fmac_f32_e32 v2, v24, v25
	s_or_b32 exec_lo, exec_lo, s45
	s_and_saveexec_b32 s45, s9
	s_cbranch_execz .LBB101_1140
.LBB101_1201:                           ;   in Loop: Header=BB101_3 Depth=1
	ds_load_b32 v24, v70 offset:8192
	ds_load_b32 v25, v66 offset:128
	s_wait_dscnt 0x0
	v_fmac_f32_e32 v2, v24, v25
	s_or_b32 exec_lo, exec_lo, s45
	s_and_saveexec_b32 s45, s10
	s_cbranch_execnz .LBB101_1141
	s_branch .LBB101_1142
.LBB101_1202:                           ;   in Loop: Header=BB101_3 Depth=1
	s_or_b32 exec_lo, exec_lo, s83
	s_delay_alu instid0(SALU_CYCLE_1)
	s_and_b32 vcc_lo, exec_lo, s82
	s_cbranch_vccnz .LBB101_1145
.LBB101_1203:                           ;   in Loop: Header=BB101_3 Depth=1
	v_mov_b32_e32 v30, v24
	v_mov_b64_e32 v[24:25], v[20:21]
	s_and_saveexec_b32 s45, s65
	s_cbranch_execz .LBB101_1205
.LBB101_1204:                           ;   in Loop: Header=BB101_3 Depth=1
	s_delay_alu instid0(VALU_DEP_1)
	v_lshl_add_u64 v[24:25], v[24:25], 2, v[26:27]
	flat_store_b32 v[24:25], v30
.LBB101_1205:                           ;   in Loop: Header=BB101_3 Depth=1
	s_wait_xcnt 0x0
	s_or_b32 exec_lo, exec_lo, s45
	global_wb scope:SCOPE_DEV
	s_wait_storecnt_dscnt 0x0
	global_inv scope:SCOPE_DEV
	s_wait_loadcnt 0x0
	s_barrier_signal -1
	s_barrier_wait -1
	s_and_saveexec_b32 s45, s59
	s_cbranch_execz .LBB101_2
; %bb.1206:                             ;   in Loop: Header=BB101_3 Depth=1
	s_lshl_b64 s[82:83], s[66:67], 2
	s_delay_alu instid0(SALU_CYCLE_1)
	s_add_nc_u64 s[82:83], s[80:81], s[82:83]
	global_load_b32 v2, v3, s[82:83]
	s_wait_loadcnt 0x0
	v_add_nc_u32_e32 v2, 1, v2
	global_store_b32 v3, v2, s[82:83]
	s_branch .LBB101_2
.LBB101_1207:                           ;   in Loop: Header=BB101_3 Depth=1
	ds_load_b32 v29, v41 offset:15840
	ds_load_b32 v30, v40 offset:16372
	s_wait_dscnt 0x0
	v_fmac_f32_e32 v28, v29, v30
	s_or_b32 exec_lo, exec_lo, s45
	s_and_saveexec_b32 s45, s18
	s_cbranch_execz .LBB101_88
.LBB101_1208:                           ;   in Loop: Header=BB101_3 Depth=1
	ds_load_b32 v29, v41 offset:16096
	ds_load_b32 v30, v40 offset:16376
	s_wait_dscnt 0x0
	v_fmac_f32_e32 v28, v29, v30
	s_or_b32 exec_lo, exec_lo, s45
	s_and_saveexec_b32 s45, s2
	s_cbranch_execnz .LBB101_89
	s_branch .LBB101_90
.LBB101_1209:                           ;   in Loop: Header=BB101_3 Depth=1
	ds_load_b32 v29, v46 offset:14784
	ds_load_b32 v30, v45 offset:16356
	s_wait_dscnt 0x0
	v_fmac_f32_e32 v28, v29, v30
	s_or_b32 exec_lo, exec_lo, s45
	s_and_saveexec_b32 s45, s20
	s_cbranch_execz .LBB101_130
.LBB101_1210:                           ;   in Loop: Header=BB101_3 Depth=1
	ds_load_b32 v29, v46 offset:15040
	ds_load_b32 v30, v45 offset:16360
	s_wait_dscnt 0x0
	v_fmac_f32_e32 v28, v29, v30
	s_or_b32 exec_lo, exec_lo, s45
	s_and_saveexec_b32 s45, s21
	s_cbranch_execz .LBB101_131
.LBB101_1211:                           ;   in Loop: Header=BB101_3 Depth=1
	ds_load_b32 v29, v46 offset:15296
	ds_load_b32 v30, v45 offset:16364
	s_wait_dscnt 0x0
	v_fmac_f32_e32 v28, v29, v30
	s_or_b32 exec_lo, exec_lo, s45
	s_and_saveexec_b32 s45, s22
	s_cbranch_execz .LBB101_132
.LBB101_1212:                           ;   in Loop: Header=BB101_3 Depth=1
	ds_load_b32 v29, v46 offset:15552
	ds_load_b32 v30, v45 offset:16368
	s_wait_dscnt 0x0
	v_fmac_f32_e32 v28, v29, v30
	s_or_b32 exec_lo, exec_lo, s45
	s_and_saveexec_b32 s45, s23
	s_cbranch_execz .LBB101_133
.LBB101_1213:                           ;   in Loop: Header=BB101_3 Depth=1
	ds_load_b32 v29, v46 offset:15808
	ds_load_b32 v30, v45 offset:16372
	s_wait_dscnt 0x0
	v_fmac_f32_e32 v28, v29, v30
	s_or_b32 exec_lo, exec_lo, s45
	s_and_saveexec_b32 s45, s4
	s_cbranch_execz .LBB101_134
.LBB101_1214:                           ;   in Loop: Header=BB101_3 Depth=1
	ds_load_b32 v29, v46 offset:16064
	ds_load_b32 v30, v45 offset:16376
	s_wait_dscnt 0x0
	v_fmac_f32_e32 v28, v29, v30
	s_or_b32 exec_lo, exec_lo, s45
	s_and_saveexec_b32 s45, s18
	s_cbranch_execnz .LBB101_135
	s_branch .LBB101_136
.LBB101_1215:                           ;   in Loop: Header=BB101_3 Depth=1
	ds_load_b32 v29, v41 offset:13760
	ds_load_b32 v30, v40 offset:14292
	s_wait_dscnt 0x0
	v_fmac_f32_e32 v28, v29, v30
	s_or_b32 exec_lo, exec_lo, s45
	s_and_saveexec_b32 s45, s18
	s_cbranch_execz .LBB101_192
.LBB101_1216:                           ;   in Loop: Header=BB101_3 Depth=1
	ds_load_b32 v29, v41 offset:14016
	ds_load_b32 v30, v40 offset:14296
	s_wait_dscnt 0x0
	v_fmac_f32_e32 v28, v29, v30
	s_or_b32 exec_lo, exec_lo, s45
	s_and_saveexec_b32 s45, s2
	s_cbranch_execnz .LBB101_193
	s_branch .LBB101_194
.LBB101_1217:                           ;   in Loop: Header=BB101_3 Depth=1
	ds_load_b32 v29, v50 offset:15232
	ds_load_b32 v30, v49 offset:16364
	s_wait_dscnt 0x0
	v_fmac_f32_e32 v28, v29, v30
	s_or_b32 exec_lo, exec_lo, s45
	s_and_saveexec_b32 s45, s5
	s_cbranch_execz .LBB101_254
.LBB101_1218:                           ;   in Loop: Header=BB101_3 Depth=1
	ds_load_b32 v29, v50 offset:15488
	ds_load_b32 v30, v49 offset:16368
	s_wait_dscnt 0x0
	v_fmac_f32_e32 v28, v29, v30
	s_or_b32 exec_lo, exec_lo, s45
	s_and_saveexec_b32 s45, s20
	s_cbranch_execz .LBB101_255
.LBB101_1219:                           ;   in Loop: Header=BB101_3 Depth=1
	ds_load_b32 v29, v50 offset:15744
	ds_load_b32 v30, v49 offset:16372
	s_wait_dscnt 0x0
	v_fmac_f32_e32 v28, v29, v30
	s_or_b32 exec_lo, exec_lo, s45
	s_and_saveexec_b32 s45, s22
	s_cbranch_execz .LBB101_256
.LBB101_1220:                           ;   in Loop: Header=BB101_3 Depth=1
	ds_load_b32 v29, v50 offset:16000
	ds_load_b32 v30, v49 offset:16376
	s_wait_dscnt 0x0
	v_fmac_f32_e32 v28, v29, v30
	s_or_b32 exec_lo, exec_lo, s45
	s_and_saveexec_b32 s45, s4
	s_cbranch_execnz .LBB101_257
	s_branch .LBB101_258
.LBB101_1221:                           ;   in Loop: Header=BB101_3 Depth=1
	ds_load_b32 v29, v41 offset:11680
	ds_load_b32 v30, v40 offset:12212
	s_wait_dscnt 0x0
	v_fmac_f32_e32 v28, v29, v30
	s_or_b32 exec_lo, exec_lo, s45
	s_and_saveexec_b32 s45, s18
	s_cbranch_execz .LBB101_346
.LBB101_1222:                           ;   in Loop: Header=BB101_3 Depth=1
	ds_load_b32 v29, v41 offset:11936
	ds_load_b32 v30, v40 offset:12216
	s_wait_dscnt 0x0
	v_fmac_f32_e32 v28, v29, v30
	s_or_b32 exec_lo, exec_lo, s45
	s_and_saveexec_b32 s45, s2
	s_cbranch_execnz .LBB101_347
	s_branch .LBB101_348
.LBB101_1223:                           ;   in Loop: Header=BB101_3 Depth=1
	ds_load_b32 v29, v46 offset:10624
	ds_load_b32 v30, v45 offset:12196
	s_wait_dscnt 0x0
	v_fmac_f32_e32 v28, v29, v30
	s_or_b32 exec_lo, exec_lo, s45
	s_and_saveexec_b32 s45, s20
	s_cbranch_execz .LBB101_388
.LBB101_1224:                           ;   in Loop: Header=BB101_3 Depth=1
	ds_load_b32 v29, v46 offset:10880
	ds_load_b32 v30, v45 offset:12200
	s_wait_dscnt 0x0
	v_fmac_f32_e32 v28, v29, v30
	s_or_b32 exec_lo, exec_lo, s45
	s_and_saveexec_b32 s45, s21
	s_cbranch_execz .LBB101_389
.LBB101_1225:                           ;   in Loop: Header=BB101_3 Depth=1
	ds_load_b32 v29, v46 offset:11136
	ds_load_b32 v30, v45 offset:12204
	s_wait_dscnt 0x0
	v_fmac_f32_e32 v28, v29, v30
	s_or_b32 exec_lo, exec_lo, s45
	s_and_saveexec_b32 s45, s22
	s_cbranch_execz .LBB101_390
.LBB101_1226:                           ;   in Loop: Header=BB101_3 Depth=1
	ds_load_b32 v29, v46 offset:11392
	ds_load_b32 v30, v45 offset:12208
	s_wait_dscnt 0x0
	v_fmac_f32_e32 v28, v29, v30
	s_or_b32 exec_lo, exec_lo, s45
	s_and_saveexec_b32 s45, s23
	s_cbranch_execz .LBB101_391
.LBB101_1227:                           ;   in Loop: Header=BB101_3 Depth=1
	ds_load_b32 v29, v46 offset:11648
	ds_load_b32 v30, v45 offset:12212
	s_wait_dscnt 0x0
	v_fmac_f32_e32 v28, v29, v30
	s_or_b32 exec_lo, exec_lo, s45
	s_and_saveexec_b32 s45, s4
	s_cbranch_execz .LBB101_392
.LBB101_1228:                           ;   in Loop: Header=BB101_3 Depth=1
	ds_load_b32 v29, v46 offset:11904
	ds_load_b32 v30, v45 offset:12216
	s_wait_dscnt 0x0
	v_fmac_f32_e32 v28, v29, v30
	s_or_b32 exec_lo, exec_lo, s45
	s_and_saveexec_b32 s45, s18
	s_cbranch_execnz .LBB101_393
	s_branch .LBB101_394
.LBB101_1229:                           ;   in Loop: Header=BB101_3 Depth=1
	ds_load_b32 v29, v41 offset:9600
	ds_load_b32 v30, v40 offset:10132
	s_wait_dscnt 0x0
	v_fmac_f32_e32 v28, v29, v30
	s_or_b32 exec_lo, exec_lo, s45
	s_and_saveexec_b32 s45, s18
	s_cbranch_execz .LBB101_450
.LBB101_1230:                           ;   in Loop: Header=BB101_3 Depth=1
	ds_load_b32 v29, v41 offset:9856
	ds_load_b32 v30, v40 offset:10136
	s_wait_dscnt 0x0
	v_fmac_f32_e32 v28, v29, v30
	s_or_b32 exec_lo, exec_lo, s45
	s_and_saveexec_b32 s45, s2
	s_cbranch_execnz .LBB101_451
	s_branch .LBB101_452
.LBB101_1231:                           ;   in Loop: Header=BB101_3 Depth=1
	ds_load_b32 v29, v64 offset:15616
	ds_load_b32 v30, v63 offset:16372
	s_wait_dscnt 0x0
	v_fmac_f32_e32 v28, v29, v30
	s_or_b32 exec_lo, exec_lo, s45
	s_and_saveexec_b32 s45, s5
	s_cbranch_execz .LBB101_548
.LBB101_1232:                           ;   in Loop: Header=BB101_3 Depth=1
	ds_load_b32 v29, v64 offset:15872
	ds_load_b32 v30, v63 offset:16376
	s_wait_dscnt 0x0
	v_fmac_f32_e32 v28, v29, v30
	s_or_b32 exec_lo, exec_lo, s45
	s_and_saveexec_b32 s45, s22
	s_cbranch_execnz .LBB101_549
	s_branch .LBB101_550
.LBB101_1233:                           ;   in Loop: Header=BB101_3 Depth=1
	ds_load_b32 v29, v41 offset:7520
	ds_load_b32 v30, v40 offset:8052
	s_wait_dscnt 0x0
	v_fmac_f32_e32 v28, v29, v30
	s_or_b32 exec_lo, exec_lo, s45
	s_and_saveexec_b32 s45, s18
	s_cbranch_execz .LBB101_702
.LBB101_1234:                           ;   in Loop: Header=BB101_3 Depth=1
	ds_load_b32 v29, v41 offset:7776
	ds_load_b32 v30, v40 offset:8056
	s_wait_dscnt 0x0
	v_fmac_f32_e32 v28, v29, v30
	s_or_b32 exec_lo, exec_lo, s45
	s_and_saveexec_b32 s45, s2
	s_cbranch_execnz .LBB101_703
	s_branch .LBB101_704
.LBB101_1235:                           ;   in Loop: Header=BB101_3 Depth=1
	ds_load_b32 v29, v46 offset:6464
	ds_load_b32 v30, v45 offset:8036
	s_wait_dscnt 0x0
	v_fmac_f32_e32 v28, v29, v30
	s_or_b32 exec_lo, exec_lo, s45
	s_and_saveexec_b32 s45, s20
	s_cbranch_execz .LBB101_744
.LBB101_1236:                           ;   in Loop: Header=BB101_3 Depth=1
	ds_load_b32 v29, v46 offset:6720
	ds_load_b32 v30, v45 offset:8040
	s_wait_dscnt 0x0
	v_fmac_f32_e32 v28, v29, v30
	s_or_b32 exec_lo, exec_lo, s45
	s_and_saveexec_b32 s45, s21
	s_cbranch_execz .LBB101_745
.LBB101_1237:                           ;   in Loop: Header=BB101_3 Depth=1
	ds_load_b32 v29, v46 offset:6976
	ds_load_b32 v30, v45 offset:8044
	s_wait_dscnt 0x0
	v_fmac_f32_e32 v28, v29, v30
	s_or_b32 exec_lo, exec_lo, s45
	s_and_saveexec_b32 s45, s22
	s_cbranch_execz .LBB101_746
.LBB101_1238:                           ;   in Loop: Header=BB101_3 Depth=1
	ds_load_b32 v29, v46 offset:7232
	ds_load_b32 v30, v45 offset:8048
	s_wait_dscnt 0x0
	v_fmac_f32_e32 v28, v29, v30
	s_or_b32 exec_lo, exec_lo, s45
	s_and_saveexec_b32 s45, s23
	s_cbranch_execz .LBB101_747
.LBB101_1239:                           ;   in Loop: Header=BB101_3 Depth=1
	ds_load_b32 v29, v46 offset:7488
	ds_load_b32 v30, v45 offset:8052
	s_wait_dscnt 0x0
	v_fmac_f32_e32 v28, v29, v30
	s_or_b32 exec_lo, exec_lo, s45
	s_and_saveexec_b32 s45, s4
	s_cbranch_execz .LBB101_748
.LBB101_1240:                           ;   in Loop: Header=BB101_3 Depth=1
	ds_load_b32 v29, v46 offset:7744
	ds_load_b32 v30, v45 offset:8056
	s_wait_dscnt 0x0
	v_fmac_f32_e32 v28, v29, v30
	s_or_b32 exec_lo, exec_lo, s45
	s_and_saveexec_b32 s45, s18
	s_cbranch_execnz .LBB101_749
	s_branch .LBB101_750
.LBB101_1241:                           ;   in Loop: Header=BB101_3 Depth=1
	ds_load_b32 v29, v41 offset:5440
	ds_load_b32 v30, v40 offset:5972
	s_wait_dscnt 0x0
	v_fmac_f32_e32 v28, v29, v30
	s_or_b32 exec_lo, exec_lo, s45
	s_and_saveexec_b32 s45, s18
	s_cbranch_execz .LBB101_806
.LBB101_1242:                           ;   in Loop: Header=BB101_3 Depth=1
	ds_load_b32 v29, v41 offset:5696
	ds_load_b32 v30, v40 offset:5976
	s_wait_dscnt 0x0
	v_fmac_f32_e32 v28, v29, v30
	s_or_b32 exec_lo, exec_lo, s45
	s_and_saveexec_b32 s45, s2
	s_cbranch_execnz .LBB101_807
	s_branch .LBB101_808
.LBB101_1243:                           ;   in Loop: Header=BB101_3 Depth=1
	ds_load_b32 v29, v50 offset:6912
	ds_load_b32 v30, v49 offset:8044
	s_wait_dscnt 0x0
	v_fmac_f32_e32 v28, v29, v30
	s_or_b32 exec_lo, exec_lo, s45
	s_and_saveexec_b32 s45, s5
	s_cbranch_execz .LBB101_868
.LBB101_1244:                           ;   in Loop: Header=BB101_3 Depth=1
	ds_load_b32 v29, v50 offset:7168
	ds_load_b32 v30, v49 offset:8048
	s_wait_dscnt 0x0
	v_fmac_f32_e32 v28, v29, v30
	s_or_b32 exec_lo, exec_lo, s45
	s_and_saveexec_b32 s45, s20
	s_cbranch_execz .LBB101_869
.LBB101_1245:                           ;   in Loop: Header=BB101_3 Depth=1
	ds_load_b32 v29, v50 offset:7424
	ds_load_b32 v30, v49 offset:8052
	s_wait_dscnt 0x0
	v_fmac_f32_e32 v28, v29, v30
	s_or_b32 exec_lo, exec_lo, s45
	s_and_saveexec_b32 s45, s22
	s_cbranch_execz .LBB101_870
.LBB101_1246:                           ;   in Loop: Header=BB101_3 Depth=1
	ds_load_b32 v29, v50 offset:7680
	ds_load_b32 v30, v49 offset:8056
	s_wait_dscnt 0x0
	v_fmac_f32_e32 v28, v29, v30
	s_or_b32 exec_lo, exec_lo, s45
	s_and_saveexec_b32 s45, s4
	s_cbranch_execnz .LBB101_871
	s_branch .LBB101_872
.LBB101_1247:                           ;   in Loop: Header=BB101_3 Depth=1
	ds_load_b32 v29, v41 offset:3360
	ds_load_b32 v30, v40 offset:3892
	s_wait_dscnt 0x0
	v_fmac_f32_e32 v28, v29, v30
	s_or_b32 exec_lo, exec_lo, s45
	s_and_saveexec_b32 s45, s18
	s_cbranch_execz .LBB101_960
.LBB101_1248:                           ;   in Loop: Header=BB101_3 Depth=1
	ds_load_b32 v29, v41 offset:3616
	ds_load_b32 v30, v40 offset:3896
	s_wait_dscnt 0x0
	v_fmac_f32_e32 v28, v29, v30
	s_or_b32 exec_lo, exec_lo, s45
	s_and_saveexec_b32 s45, s2
	s_cbranch_execnz .LBB101_961
	s_branch .LBB101_962
.LBB101_1249:                           ;   in Loop: Header=BB101_3 Depth=1
	ds_load_b32 v29, v46 offset:2304
	ds_load_b32 v30, v45 offset:3876
	s_wait_dscnt 0x0
	v_fmac_f32_e32 v28, v29, v30
	s_or_b32 exec_lo, exec_lo, s45
	s_and_saveexec_b32 s45, s20
	s_cbranch_execz .LBB101_1002
.LBB101_1250:                           ;   in Loop: Header=BB101_3 Depth=1
	ds_load_b32 v29, v46 offset:2560
	ds_load_b32 v30, v45 offset:3880
	s_wait_dscnt 0x0
	v_fmac_f32_e32 v28, v29, v30
	s_or_b32 exec_lo, exec_lo, s45
	s_and_saveexec_b32 s45, s21
	s_cbranch_execz .LBB101_1003
.LBB101_1251:                           ;   in Loop: Header=BB101_3 Depth=1
	ds_load_b32 v29, v46 offset:2816
	ds_load_b32 v30, v45 offset:3884
	s_wait_dscnt 0x0
	v_fmac_f32_e32 v28, v29, v30
	s_or_b32 exec_lo, exec_lo, s45
	s_and_saveexec_b32 s45, s22
	s_cbranch_execz .LBB101_1004
.LBB101_1252:                           ;   in Loop: Header=BB101_3 Depth=1
	ds_load_b32 v29, v46 offset:3072
	ds_load_b32 v30, v45 offset:3888
	s_wait_dscnt 0x0
	v_fmac_f32_e32 v28, v29, v30
	s_or_b32 exec_lo, exec_lo, s45
	s_and_saveexec_b32 s45, s23
	s_cbranch_execz .LBB101_1005
.LBB101_1253:                           ;   in Loop: Header=BB101_3 Depth=1
	ds_load_b32 v29, v46 offset:3328
	ds_load_b32 v30, v45 offset:3892
	s_wait_dscnt 0x0
	v_fmac_f32_e32 v28, v29, v30
	s_or_b32 exec_lo, exec_lo, s45
	s_and_saveexec_b32 s45, s4
	s_cbranch_execz .LBB101_1006
.LBB101_1254:                           ;   in Loop: Header=BB101_3 Depth=1
	ds_load_b32 v29, v46 offset:3584
	ds_load_b32 v30, v45 offset:3896
	s_wait_dscnt 0x0
	v_fmac_f32_e32 v28, v29, v30
	s_or_b32 exec_lo, exec_lo, s45
	s_and_saveexec_b32 s45, s18
	s_cbranch_execnz .LBB101_1007
	s_branch .LBB101_1008
.LBB101_1255:                           ;   in Loop: Header=BB101_3 Depth=1
	ds_load_b32 v29, v41 offset:1280
	ds_load_b32 v30, v40 offset:1812
	s_wait_dscnt 0x0
	v_fmac_f32_e32 v28, v29, v30
	s_or_b32 exec_lo, exec_lo, s45
	s_and_saveexec_b32 s45, s18
	s_cbranch_execz .LBB101_1064
.LBB101_1256:                           ;   in Loop: Header=BB101_3 Depth=1
	ds_load_b32 v29, v41 offset:1536
	ds_load_b32 v30, v40 offset:1816
	s_wait_dscnt 0x0
	v_fmac_f32_e32 v28, v29, v30
	s_or_b32 exec_lo, exec_lo, s45
	s_and_saveexec_b32 s45, s2
	s_cbranch_execnz .LBB101_1065
	s_branch .LBB101_1066
.LBB101_1257:
	s_endpgm
	.section	.rodata,"a",@progbits
	.p2align	6, 0x0
	.amdhsa_kernel _ZL19rocblas_trsv_deviceILi64ELi16ELb0ELb1ELb0ELb0EfPKfPKS1_PKPfEviT7_lllT6_T8_lllPii
		.amdhsa_group_segment_fixed_size 20740
		.amdhsa_private_segment_fixed_size 0
		.amdhsa_kernarg_size 352
		.amdhsa_user_sgpr_count 2
		.amdhsa_user_sgpr_dispatch_ptr 0
		.amdhsa_user_sgpr_queue_ptr 0
		.amdhsa_user_sgpr_kernarg_segment_ptr 1
		.amdhsa_user_sgpr_dispatch_id 0
		.amdhsa_user_sgpr_kernarg_preload_length 0
		.amdhsa_user_sgpr_kernarg_preload_offset 0
		.amdhsa_user_sgpr_private_segment_size 0
		.amdhsa_wavefront_size32 1
		.amdhsa_uses_dynamic_stack 0
		.amdhsa_enable_private_segment 0
		.amdhsa_system_sgpr_workgroup_id_x 1
		.amdhsa_system_sgpr_workgroup_id_y 0
		.amdhsa_system_sgpr_workgroup_id_z 1
		.amdhsa_system_sgpr_workgroup_info 0
		.amdhsa_system_vgpr_workitem_id 1
		.amdhsa_next_free_vgpr 90
		.amdhsa_next_free_sgpr 105
		.amdhsa_named_barrier_count 0
		.amdhsa_reserve_vcc 1
		.amdhsa_float_round_mode_32 0
		.amdhsa_float_round_mode_16_64 0
		.amdhsa_float_denorm_mode_32 3
		.amdhsa_float_denorm_mode_16_64 3
		.amdhsa_fp16_overflow 0
		.amdhsa_memory_ordered 1
		.amdhsa_forward_progress 1
		.amdhsa_inst_pref_size 255
		.amdhsa_round_robin_scheduling 0
		.amdhsa_exception_fp_ieee_invalid_op 0
		.amdhsa_exception_fp_denorm_src 0
		.amdhsa_exception_fp_ieee_div_zero 0
		.amdhsa_exception_fp_ieee_overflow 0
		.amdhsa_exception_fp_ieee_underflow 0
		.amdhsa_exception_fp_ieee_inexact 0
		.amdhsa_exception_int_div_zero 0
	.end_amdhsa_kernel
	.section	.text._ZL19rocblas_trsv_deviceILi64ELi16ELb0ELb1ELb0ELb0EfPKfPKS1_PKPfEviT7_lllT6_T8_lllPii,"axG",@progbits,_ZL19rocblas_trsv_deviceILi64ELi16ELb0ELb1ELb0ELb0EfPKfPKS1_PKPfEviT7_lllT6_T8_lllPii,comdat
.Lfunc_end101:
	.size	_ZL19rocblas_trsv_deviceILi64ELi16ELb0ELb1ELb0ELb0EfPKfPKS1_PKPfEviT7_lllT6_T8_lllPii, .Lfunc_end101-_ZL19rocblas_trsv_deviceILi64ELi16ELb0ELb1ELb0ELb0EfPKfPKS1_PKPfEviT7_lllT6_T8_lllPii
                                        ; -- End function
	.set _ZL19rocblas_trsv_deviceILi64ELi16ELb0ELb1ELb0ELb0EfPKfPKS1_PKPfEviT7_lllT6_T8_lllPii.num_vgpr, 90
	.set _ZL19rocblas_trsv_deviceILi64ELi16ELb0ELb1ELb0ELb0EfPKfPKS1_PKPfEviT7_lllT6_T8_lllPii.num_agpr, 0
	.set _ZL19rocblas_trsv_deviceILi64ELi16ELb0ELb1ELb0ELb0EfPKfPKS1_PKPfEviT7_lllT6_T8_lllPii.numbered_sgpr, 105
	.set _ZL19rocblas_trsv_deviceILi64ELi16ELb0ELb1ELb0ELb0EfPKfPKS1_PKPfEviT7_lllT6_T8_lllPii.num_named_barrier, 0
	.set _ZL19rocblas_trsv_deviceILi64ELi16ELb0ELb1ELb0ELb0EfPKfPKS1_PKPfEviT7_lllT6_T8_lllPii.private_seg_size, 0
	.set _ZL19rocblas_trsv_deviceILi64ELi16ELb0ELb1ELb0ELb0EfPKfPKS1_PKPfEviT7_lllT6_T8_lllPii.uses_vcc, 1
	.set _ZL19rocblas_trsv_deviceILi64ELi16ELb0ELb1ELb0ELb0EfPKfPKS1_PKPfEviT7_lllT6_T8_lllPii.uses_flat_scratch, 0
	.set _ZL19rocblas_trsv_deviceILi64ELi16ELb0ELb1ELb0ELb0EfPKfPKS1_PKPfEviT7_lllT6_T8_lllPii.has_dyn_sized_stack, 0
	.set _ZL19rocblas_trsv_deviceILi64ELi16ELb0ELb1ELb0ELb0EfPKfPKS1_PKPfEviT7_lllT6_T8_lllPii.has_recursion, 0
	.set _ZL19rocblas_trsv_deviceILi64ELi16ELb0ELb1ELb0ELb0EfPKfPKS1_PKPfEviT7_lllT6_T8_lllPii.has_indirect_call, 0
	.section	.AMDGPU.csdata,"",@progbits
; Kernel info:
; codeLenInByte = 42788
; TotalNumSgprs: 107
; NumVgprs: 90
; ScratchSize: 0
; MemoryBound: 0
; FloatMode: 240
; IeeeMode: 1
; LDSByteSize: 20740 bytes/workgroup (compile time only)
; SGPRBlocks: 0
; VGPRBlocks: 5
; NumSGPRsForWavesPerEU: 107
; NumVGPRsForWavesPerEU: 90
; NamedBarCnt: 0
; Occupancy: 10
; WaveLimiterHint : 1
; COMPUTE_PGM_RSRC2:SCRATCH_EN: 0
; COMPUTE_PGM_RSRC2:USER_SGPR: 2
; COMPUTE_PGM_RSRC2:TRAP_HANDLER: 0
; COMPUTE_PGM_RSRC2:TGID_X_EN: 1
; COMPUTE_PGM_RSRC2:TGID_Y_EN: 0
; COMPUTE_PGM_RSRC2:TGID_Z_EN: 1
; COMPUTE_PGM_RSRC2:TIDIG_COMP_CNT: 1
	.section	.text._ZL19rocblas_trsv_deviceILi64ELi16ELb0ELb1ELb1ELb0EfPKfPKS1_PKPfEviT7_lllT6_T8_lllPii,"axG",@progbits,_ZL19rocblas_trsv_deviceILi64ELi16ELb0ELb1ELb1ELb0EfPKfPKS1_PKPfEviT7_lllT6_T8_lllPii,comdat
	.globl	_ZL19rocblas_trsv_deviceILi64ELi16ELb0ELb1ELb1ELb0EfPKfPKS1_PKPfEviT7_lllT6_T8_lllPii ; -- Begin function _ZL19rocblas_trsv_deviceILi64ELi16ELb0ELb1ELb1ELb0EfPKfPKS1_PKPfEviT7_lllT6_T8_lllPii
	.p2align	8
	.type	_ZL19rocblas_trsv_deviceILi64ELi16ELb0ELb1ELb1ELb0EfPKfPKS1_PKPfEviT7_lllT6_T8_lllPii,@function
_ZL19rocblas_trsv_deviceILi64ELi16ELb0ELb1ELb1ELb0EfPKfPKS1_PKPfEviT7_lllT6_T8_lllPii: ; @_ZL19rocblas_trsv_deviceILi64ELi16ELb0ELb1ELb1ELb0EfPKfPKS1_PKPfEviT7_lllT6_T8_lllPii
; %bb.0:
	s_load_b32 s6, s[0:1], 0x58
	s_bfe_u32 s2, ttmp6, 0x40014
	s_lshr_b32 s3, ttmp7, 16
	s_add_co_i32 s2, s2, 1
	s_bfe_u32 s5, ttmp6, 0x40008
	s_mul_i32 s4, s3, s2
	s_getreg_b32 s2, hwreg(HW_REG_IB_STS2, 6, 4)
	s_add_co_i32 s5, s5, s4
	s_cmp_eq_u32 s2, 0
	s_mov_b32 s67, 0
	s_cselect_b32 s66, s3, s5
                                        ; implicit-def: $vgpr89 : SGPR spill to VGPR lane
	s_wait_kmcnt 0x0
	s_cmp_ge_u32 s66, s6
	v_writelane_b32 v89, s6, 0
	s_cbranch_scc1 .LBB102_1257
; %bb.1:
	s_clause 0x2
	s_load_b32 s3, s[0:1], 0x6c
	s_load_b32 s85, s[0:1], 0x0
	s_load_b64 s[14:15], s[0:1], 0x18
	s_bfe_u32 s5, ttmp6, 0x4000c
	s_and_b32 s4, ttmp6, 15
	s_add_co_i32 s5, s5, 1
	v_and_b32_e32 v4, 0x3ff, v0
	s_mul_i32 s5, ttmp9, s5
	v_mov_b32_e32 v3, 0
	s_add_co_i32 s4, s4, s5
	s_cmp_eq_u32 s2, 0
	v_bfe_u32 v32, v0, 10, 10
	s_cselect_b32 s86, ttmp9, s4
	v_dual_mov_b32 v7, v3 :: v_dual_lshlrev_b32 v20, 6, v4
	v_mov_b32_e32 v5, v3
	s_delay_alu instid0(VALU_DEP_3)
	v_lshl_add_u32 v26, v32, 6, v4
	v_and_b32_e32 v13, 1, v0
	v_cmp_gt_u32_e64 s6, 2, v4
	v_dual_add_nc_u32 v78, 32, v32 :: v_dual_add_nc_u32 v79, 48, v32
	s_wait_kmcnt 0x0
	s_and_b32 s2, s3, 0xffff
	s_add_co_i32 s3, s85, -1
	s_ashr_i32 s4, s85, 31
	s_ashr_i32 s5, s3, 31
	s_lshr_b32 s4, s4, 26
	s_lshr_b32 s5, s5, 26
	s_add_co_i32 s4, s85, s4
	s_add_co_i32 s3, s3, s5
	s_and_not1_b32 s4, s4, 63
	s_ashr_i32 s3, s3, 6
	s_sub_co_i32 s18, s85, s4
	s_cmp_eq_u32 s3, s86
	v_sub_co_u32 v33, s5, s86, 1
	s_cselect_b32 s3, -1, 0
	s_cmp_lg_u32 s18, 0
	v_mad_u32_u24 v6, v32, s2, v4
	s_cselect_b32 s4, -1, 0
	s_lshl_b32 s16, s86, 6
	s_xor_b32 s2, s5, -1
	v_dual_add_nc_u32 v28, s16, v32 :: v_dual_add_nc_u32 v27, 16, v32
	s_and_b32 s19, s4, s3
	v_writelane_b32 v89, s2, 1
	s_add_nc_u64 s[2:3], s[14:15], 1
	s_delay_alu instid0(VALU_DEP_2)
	v_dual_add_nc_u32 v1, v32, v20 :: v_dual_add_nc_u32 v2, v27, v20
	v_dual_add_nc_u32 v24, s16, v4 :: v_dual_lshrrev_b32 v12, 1, v26
	s_xor_b32 s88, s19, -1
	s_cmp_lt_i32 s86, 5
	v_mad_nc_u64_u32 v[18:19], s2, s16, v[4:5]
	v_subrev_nc_u32_e32 v8, 64, v28
	v_lshl_add_u32 v5, v27, 6, v4
	s_cselect_b32 vcc_lo, -1, 0
	v_dual_cndmask_b32 v30, v26, v1 :: v_dual_ashrrev_i32 v25, 31, v24
	s_or_b32 vcc_lo, vcc_lo, s19
	s_delay_alu instid0(VALU_DEP_2) | instid1(SALU_CYCLE_1)
	v_dual_ashrrev_i32 v9, 31, v8 :: v_dual_cndmask_b32 v31, v5, v2, vcc_lo
	v_lshrrev_b32_e32 v1, 10, v0
	v_dual_lshlrev_b32 v2, 8, v12 :: v_dual_lshlrev_b32 v35, 2, v13
	s_ashr_i32 s17, s16, 31
	s_mul_i32 s3, s3, s16
	s_mul_i32 s2, s2, s17
	v_lshl_add_u32 v5, v12, 2, 0x4000
	v_add3_u32 v19, s2, s3, v19
	v_cmp_gt_u32_e64 s2, 4, v26
	v_cmp_eq_u32_e64 s4, 1, v13
	v_cmp_eq_u32_e64 s5, 0, v13
	v_lshlrev_b32_e32 v12, 6, v26
	v_dual_sub_nc_u32 v37, v35, v2 :: v_dual_bitop2_b32 v13, 3, v0 bitop3:0x40
	v_dual_sub_nc_u32 v34, 0, v2 :: v_dual_lshlrev_b32 v36, 2, v4
	v_cmp_eq_u32_e64 s3, 0, v32
	s_and_b32 s90, s4, s2
	s_and_b32 s91, s5, s2
	v_and_b32_e32 v2, -4, v26
	v_and_b32_e32 v12, 0xffffff00, v12
	v_cmp_gt_u32_e64 s4, 16, v26
	v_cmp_eq_u32_e64 s5, 3, v13
	s_and_b32 s92, s3, s6
	v_dual_lshlrev_b32 v41, 2, v13 :: v_dual_sub_nc_u32 v40, 0, v12
	v_cmp_ne_u32_e64 s6, 3, v13
	s_and_b32 s93, s5, s4
	v_cmp_gt_u32_e64 s5, 2, v13
	v_sub_nc_u32_e32 v43, v41, v12
	v_add_nc_u64_e32 v[22:23], s[16:17], v[6:7]
	s_and_b32 s94, s6, s4
	v_cmp_eq_u32_e64 s6, 0, v13
	s_and_b32 s96, s5, s4
	v_cmp_gt_u32_e64 s5, 4, v4
	v_add_nc_u32_e32 v7, v78, v20
	v_lshl_add_u32 v53, v78, 6, v4
	v_add_nc_u32_e32 v39, 0x4000, v2
	v_dual_lshrrev_b32 v2, 3, v26 :: v_dual_bitop2_b32 v12, 7, v0 bitop3:0x40
	v_cmp_eq_u32_e64 s7, 2, v13
	v_cmp_eq_u32_e64 s8, 1, v13
	s_and_b32 s98, s6, s4
	v_lshlrev_b32_e32 v13, 8, v2
	s_and_b32 s99, s3, s5
	v_cmp_gt_u32_e64 s5, 64, v26
	v_cmp_eq_u32_e64 s6, 7, v12
	s_and_b32 s95, s7, s4
	v_cmp_ne_u32_e64 s7, 7, v12
	s_and_b32 s97, s8, s4
	v_cmp_eq_u32_e64 s8, 6, v12
	s_and_b32 s100, s6, s5
	v_cmp_gt_u32_e64 s6, 6, v12
	s_and_b32 s101, s7, s5
	v_cmp_eq_u32_e64 s7, 5, v12
	s_and_b32 s102, s8, s5
	v_cmp_gt_u32_e64 s8, 5, v12
	;; [unrolled: 4-line block ×3, first 2 shown]
	v_lshl_add_u32 v44, v2, 2, 0x4000
	v_dual_sub_nc_u32 v45, 0, v13 :: v_dual_lshlrev_b32 v46, 2, v12
	s_and_b32 s36, s6, s5
	v_cmp_gt_u32_e64 s6, 3, v12
	s_and_b32 vcc_hi, s8, s5
	v_cmp_eq_u32_e64 s8, 3, v12
	s_and_b32 s37, s7, s5
	v_cmp_eq_u32_e64 s7, 2, v12
	s_and_b32 s39, s6, s5
	v_cmp_eq_u32_e64 s6, 1, v12
	v_dual_lshrrev_b32 v2, 4, v26 :: v_dual_sub_nc_u32 v47, v46, v13
	s_and_b32 s38, s8, s5
	v_cmp_gt_u32_e64 s8, 2, v12
	s_and_b32 s40, s7, s5
	v_cmp_eq_u32_e64 s7, 0, v12
	s_and_b32 s42, s6, s5
	v_cmp_gt_u32_e64 s6, 8, v4
	v_dual_lshlrev_b32 v12, 8, v2 :: v_dual_bitop2_b32 v13, 15, v0 bitop3:0x40
	s_and_b32 s43, s7, s5
	s_and_b32 s41, s8, s5
	;; [unrolled: 1-line block ×3, first 2 shown]
	v_cmp_gt_u32_e64 s6, 0x100, v26
	v_cmp_eq_u32_e64 s7, 15, v13
	v_cmp_ne_u32_e64 s8, 15, v13
	v_cmp_eq_u32_e64 s9, 14, v13
	v_cmp_gt_u32_e64 s10, 14, v13
	v_dual_sub_nc_u32 v49, 0, v12 :: v_dual_lshlrev_b32 v50, 2, v13
	s_and_b32 s7, s7, s6
	s_and_b32 s47, s9, s6
	v_writelane_b32 v89, s7, 2
	s_and_b32 s7, s8, s6
	v_cmp_gt_u32_e64 s8, 13, v13
	v_cmp_eq_u32_e64 s9, 12, v13
	s_and_b32 s48, s10, s6
	v_writelane_b32 v89, s7, 3
	v_cmp_eq_u32_e64 s7, 13, v13
	s_and_b32 s50, s8, s6
	v_cmp_gt_u32_e64 s8, 11, v13
	v_cmp_eq_u32_e64 s10, 11, v13
	s_and_b32 s51, s9, s6
	s_and_b32 s49, s7, s6
	v_cmp_gt_u32_e64 s7, 12, v13
	s_and_b32 s54, s8, s6
	v_cmp_eq_u32_e64 s8, 9, v13
	v_cmp_gt_u32_e64 s9, 10, v13
	s_and_b32 s53, s10, s6
	s_and_b32 s52, s7, s6
	v_cmp_eq_u32_e64 s7, 10, v13
	s_and_b32 s57, s8, s6
	v_cmp_gt_u32_e64 s8, 8, v13
	v_cmp_gt_u32_e64 s10, 9, v13
	s_and_b32 s56, s9, s6
	s_and_b32 s55, s7, s6
	v_cmp_eq_u32_e64 s7, 8, v13
	s_and_b32 s62, s8, s6
	v_cmp_gt_u32_e64 s8, 6, v13
	v_cmp_eq_u32_e64 s9, 7, v13
	v_lshl_add_u32 v48, v2, 2, 0x4000
	s_and_b32 s61, s7, s6
	v_cmp_gt_u32_e64 s7, 7, v13
	s_and_b32 s24, s8, s6
	v_cmp_eq_u32_e64 s8, 4, v13
	s_and_b32 s58, s10, s6
	v_cmp_eq_u32_e64 s10, 6, v13
	;; [unrolled: 2-line block ×3, first 2 shown]
	s_and_b32 s30, s8, s6
	v_cmp_gt_u32_e64 s8, 3, v13
	s_and_b32 s63, s9, s6
	v_cmp_gt_u32_e64 s9, 5, v13
	s_and_b32 s26, s7, s6
	v_cmp_eq_u32_e64 s7, 3, v13
	s_and_b32 s25, s8, s6
	v_cmp_eq_u32_e64 s8, 0, v13
	v_dual_lshrrev_b32 v2, 5, v26 :: v_dual_sub_nc_u32 v51, v50, v12
	s_and_b32 s35, s7, s6
	v_cmp_gt_u32_e64 s7, 2, v13
	s_delay_alu instid0(VALU_DEP_2)
	v_dual_lshlrev_b32 v65, 8, v2 :: v_dual_bitop2_b32 v21, 31, v0 bitop3:0x40
	s_and_b32 s13, s10, s6
	v_cmp_gt_u32_e64 s10, 4, v13
	s_and_b32 s29, s7, s6
	v_cmp_gt_u32_e64 s7, 16, v4
	s_and_b32 s28, s9, s6
	v_cmp_eq_u32_e64 s9, 2, v13
	s_and_b32 s34, s8, s6
	v_cmp_eq_u32_e64 s8, 31, v21
	s_and_b32 s84, s3, s7
	v_cmp_gt_u32_e64 s7, 0x400, v26
	s_and_b32 s33, s10, s6
	v_cmp_eq_u32_e64 s10, 1, v13
	s_and_b32 s27, s9, s6
	v_cmp_ne_u32_e64 s9, 31, v21
	s_and_b32 s8, s8, s7
	v_cmp_gt_u32_e64 s11, 30, v21
	v_writelane_b32 v89, s8, 4
	s_and_b32 s31, s10, s6
	v_cmp_eq_u32_e64 s10, 30, v21
	s_and_b32 s8, s9, s7
	v_cmp_eq_u32_e64 s12, 29, v21
	v_writelane_b32 v89, s8, 5
	v_cmp_eq_u32_e64 s9, 28, v21
	s_and_b32 s8, s10, s7
	v_cmp_gt_u32_e64 s10, 28, v21
	v_lshl_add_u32 v52, v2, 2, 0x4000
	v_writelane_b32 v89, s8, 6
	s_and_b32 s8, s11, s7
	v_cmp_eq_u32_e64 s11, 27, v21
	v_dual_add_nc_u32 v2, s16, v6 :: v_dual_add_nc_u32 v20, v79, v20
	v_writelane_b32 v89, s8, 7
	s_and_b32 s8, s12, s7
	v_cmp_gt_u32_e64 s12, 27, v21
	v_lshl_add_u32 v54, v79, 6, v4
	s_xor_b32 s89, vcc_lo, -1
	v_writelane_b32 v89, s8, 8
	v_cmp_gt_u32_e64 s8, 29, v21
	v_dual_cndmask_b32 v74, v53, v7 :: v_dual_sub_nc_u32 v63, 0, v65
	v_dual_cndmask_b32 v75, v54, v20 :: v_dual_lshlrev_b32 v64, 2, v21
	s_and_b32 s8, s8, s7
	v_cmp_gt_u32_e32 vcc_lo, 21, v21
	v_writelane_b32 v89, s8, 9
	s_and_b32 s8, s9, s7
	v_cmp_gt_u32_e64 s9, 26, v21
                                        ; implicit-def: $vgpr88 : SGPR spill to VGPR lane
                                        ; implicit-def: $vgpr87 : SGPR spill to VGPR lane
	s_load_b256 s[68:75], s[0:1], 0x28
	v_mul_u64_e32 v[10:11], s[14:15], v[24:25]
	v_writelane_b32 v89, s8, 10
	s_and_b32 s8, s10, s7
	v_cmp_eq_u32_e64 s10, 25, v21
	v_mad_nc_u64_u32 v[12:13], s14, v32, v[18:19]
	v_mad_nc_u64_u32 v[14:15], s14, v27, v[18:19]
	v_writelane_b32 v89, s8, 11
	s_and_b32 s8, s11, s7
	v_cmp_gt_u32_e64 s11, 25, v21
	v_mad_nc_u64_u32 v[16:17], s14, v78, v[18:19]
	v_mad_nc_u64_u32 v[18:19], s14, v79, v[18:19]
	v_writelane_b32 v89, s8, 12
	s_and_b32 s8, s12, s7
	v_cmp_eq_u32_e64 s12, 24, v21
	s_clause 0x1
	s_load_b64 s[80:81], s[0:1], 0x50
	s_load_b128 s[76:79], s[0:1], 0x8
	v_writelane_b32 v89, s8, 13
	v_cmp_eq_u32_e64 s8, 26, v21
	s_wait_xcnt 0x0
	v_cmp_gt_i32_e64 s0, s18, v4
	v_cmp_gt_i32_e64 s1, s85, v8
	v_bitop3_b32 v82, v0, v1, 0x3ff bitop3:0xa8
	s_wait_kmcnt 0x0
	v_mul_u64_e32 v[0:1], s[74:75], v[24:25]
	s_and_b32 s8, s8, s7
	v_mad_u32 v13, s15, v32, v13
	v_writelane_b32 v89, s8, 14
	s_and_b32 s8, s9, s7
	v_cmp_eq_u32_e64 s9, 23, v21
	v_mad_u32 v15, s15, v27, v15
	v_mad_u32 v17, s15, v78, v17
	v_writelane_b32 v89, s8, 15
	s_and_b32 s8, s10, s7
	v_cmp_gt_u32_e64 s10, 23, v21
	v_mad_u32 v19, s15, v79, v19
	v_cmp_ne_u32_e64 s16, v4, v27
	v_writelane_b32 v89, s8, 16
	s_and_b32 s8, s11, s7
	v_cmp_eq_u32_e64 s11, 22, v21
	v_cmp_ne_u32_e64 s17, v4, v78
	v_cmp_gt_u32_e64 s45, 0xf0, v26
	v_writelane_b32 v89, s8, 17
	s_and_b32 s8, s12, s7
	v_cmp_gt_u32_e64 s12, 22, v21
                                        ; implicit-def: $vgpr86 : SGPR spill to VGPR lane
	v_mad_u32_u24 v38, 0xfc, v4, v36
	v_mul_i32_i24_e32 v77, 0xffffff04, v4
	v_writelane_b32 v89, s8, 18
	v_cmp_gt_u32_e64 s8, 24, v21
	v_mul_u64_e32 v[22:23], s[74:75], v[22:23]
	v_mad_i32_i24 v42, 0xffffff04, v4, v38
	v_mul_u32_u24_e32 v29, 0xfc, v4
	v_dual_sub_nc_u32 v65, v64, v65 :: v_dual_lshlrev_b32 v76, 2, v32
	s_and_b32 s8, s8, s7
	s_delay_alu instid0(VALU_DEP_3)
	v_mad_u32_u24 v7, 0xfc, v4, v42
	v_writelane_b32 v89, s8, 19
	s_and_b32 s8, s9, s7
	v_cmp_eq_u32_e64 s9, 20, v21
	v_or_b32_e32 v66, 0x5000, v76
	v_mad_i32_i24 v53, 0xffffff04, v4, v7
	v_writelane_b32 v89, s8, 20
	s_and_b32 s8, s10, s7
	s_and_b32 s10, s11, s7
	;; [unrolled: 1-line block ×3, first 2 shown]
	v_mad_u32_u24 v54, 0xfc, v4, v53
	v_writelane_b32 v89, s8, 21
	v_cmp_eq_u32_e64 s8, 21, v21
	v_lshl_add_u32 v67, v6, 2, 0x5000
	v_lshl_add_u32 v68, v26, 2, 0x4000
	v_mad_i32_i24 v55, 0xffffff04, v4, v54
	v_writelane_b32 v89, s10, 22
	s_and_b32 s8, s8, s7
	v_cmp_gt_u32_e64 s10, 20, v21
	v_add_nc_u32_e32 v69, 0x4000, v36
	v_mad_u32_u24 v56, 0xfc, v4, v55
	v_writelane_b32 v89, s11, 23
	v_dual_add_nc_u32 v71, v66, v36 :: v_dual_lshlrev_b32 v72, 2, v30
	v_cmp_gt_u32_e64 s20, 48, v26
	s_delay_alu instid0(VALU_DEP_4)
	v_mad_i32_i24 v57, 0xffffff04, v4, v56
	v_writelane_b32 v89, s8, 24
	s_and_b32 s8, vcc_lo, s7
	v_cmp_eq_u32_e32 vcc_lo, 19, v21
	v_cmp_gt_u32_e64 s21, 40, v26
	v_mad_u32_u24 v58, 0xfc, v4, v57
	v_writelane_b32 v89, s8, 25
	s_and_b32 s8, s9, s7
	v_cmp_gt_u32_e64 s22, 32, v26
	v_cmp_gt_u32_e64 s23, 24, v26
	v_mad_i32_i24 v59, 0xffffff04, v4, v58
	v_writelane_b32 v89, s8, 26
	s_and_b32 s8, s10, s7
	v_cmp_le_i32_e64 s10, s18, v79
	v_cmp_eq_u32_e64 s59, 0, v6
	v_mad_u32_u24 v60, 0xfc, v4, v59
	v_writelane_b32 v89, s8, 27
	s_and_b32 s8, vcc_lo, s7
	v_cmp_gt_u32_e32 vcc_lo, 19, v21
	v_lshl_add_u32 v70, v32, 8, v59
	v_mad_i32_i24 v61, 0xffffff04, v4, v60
	v_writelane_b32 v89, s8, 28
	v_cmp_gt_u32_e64 s60, 64, v6
	s_and_b32 s8, vcc_lo, s7
	v_cmp_eq_u32_e32 vcc_lo, 18, v21
	v_mad_u32_u24 v62, 0xfc, v4, v61
	v_writelane_b32 v89, s8, 29
                                        ; implicit-def: $vgpr80
                                        ; implicit-def: $vgpr81
	v_lshlrev_b32_e32 v73, 2, v31
	v_lshlrev_b32_e32 v75, 2, v75
	s_and_b32 s8, vcc_lo, s7
	v_cmp_gt_u32_e32 vcc_lo, 18, v21
	v_writelane_b32 v89, s8, 30
	v_dual_add_nc_u32 v76, v62, v76 :: v_dual_lshlrev_b32 v74, 2, v74
	s_and_b32 s8, vcc_lo, s7
	v_cmp_eq_u32_e32 vcc_lo, 17, v21
	v_writelane_b32 v89, s8, 31
	s_and_b32 s8, vcc_lo, s7
	v_cmp_gt_u32_e32 vcc_lo, 17, v21
	v_writelane_b32 v88, s8, 0
	s_and_b32 s8, vcc_lo, s7
	v_cmp_eq_u32_e32 vcc_lo, 16, v21
	v_writelane_b32 v88, s8, 1
	s_and_b32 s8, vcc_lo, s7
	v_cmp_gt_u32_e32 vcc_lo, 16, v21
	v_writelane_b32 v88, s8, 2
	;; [unrolled: 6-line block ×16, first 2 shown]
	s_and_b32 s8, vcc_lo, s7
	v_cmp_eq_u32_e32 vcc_lo, 1, v21
	v_writelane_b32 v88, s8, 31
	s_and_b32 s8, vcc_lo, s7
	v_cmp_eq_u32_e32 vcc_lo, 0, v21
	v_writelane_b32 v87, s8, 0
	v_cmp_gt_u32_e64 s8, 32, v4
	v_mul_u64_e32 v[20:21], s[74:75], v[2:3]
	v_subrev_nc_u32_e32 v2, 48, v28
	s_and_b32 s14, vcc_lo, s7
	v_cmp_le_i32_e32 vcc_lo, s18, v4
	s_and_b32 s8, s3, s8
	s_delay_alu instid0(SALU_CYCLE_1)
	v_writelane_b32 v87, s8, 1
	s_and_b32 s9, vcc_lo, s19
	v_cmp_gt_u32_e64 s19, 56, v26
	s_xor_b32 s8, s9, -1
	v_writelane_b32 v87, s9, 2
	s_and_b32 s12, s3, s8
	s_cmp_gt_i32 s86, 0
	s_cselect_b32 s11, -1, 0
	s_and_b32 s0, s3, s0
	s_lshl_b64 s[78:79], s[78:79], 2
	v_writelane_b32 v87, s0, 3
	v_cmp_gt_i32_e64 s0, s85, v24
	v_subrev_nc_u32_e32 v24, 32, v28
	s_lshl_b64 s[72:73], s[72:73], 2
	s_and_b32 s1, s1, s0
	s_delay_alu instid0(SALU_CYCLE_1) | instskip(SKIP_4) | instid1(SALU_CYCLE_1)
	v_writelane_b32 v87, s1, 4
	v_cmp_gt_i32_e64 s1, s85, v2
	v_add_nc_u32_e32 v2, -16, v28
	v_mul_lo_u32 v28, v77, 6
	s_and_b32 s1, s1, s0
	v_writelane_b32 v87, s1, 5
	v_cmp_gt_i32_e64 s1, s85, v24
	v_or_b32_e32 v24, v78, v4
	s_and_b32 s1, s1, s0
	v_mad_u32 v28, v29, 7, v28
	v_writelane_b32 v87, s1, 6
	v_cmp_gt_i32_e64 s1, s85, v2
	v_or_b32_e32 v2, v27, v4
	v_mul_u32_u24_e32 v29, 0xf8, v4
	v_or_b32_e32 v25, v79, v4
	s_and_b32 s1, s1, s0
	s_delay_alu instid0(SALU_CYCLE_1)
	v_writelane_b32 v87, s1, 7
	v_cmp_le_i32_e64 s1, s18, v32
	v_sub_nc_u32_e32 v77, v28, v29
	s_or_b32 s8, s1, vcc_lo
	v_cmp_ge_u32_e64 s1, v4, v32
	s_or_b32 s8, s8, s1
	s_delay_alu instid0(SALU_CYCLE_1) | instskip(SKIP_4) | instid1(SALU_CYCLE_1)
	v_writelane_b32 v87, s8, 8
	v_cmp_le_i32_e64 s8, s18, v27
	s_or_b32 s9, s8, vcc_lo
	v_cmp_ge_u32_e64 s8, v4, v27
	s_or_b32 s9, s9, s8
	v_writelane_b32 v87, s9, 9
	v_cmp_le_i32_e64 s9, s18, v78
	v_cmp_ne_u32_e64 s18, v4, v79
	s_or_b32 s15, s9, vcc_lo
	v_cmp_ge_u32_e64 s9, v4, v78
                                        ; implicit-def: $vgpr78
	s_or_b32 s15, s15, s9
	s_delay_alu instid0(SALU_CYCLE_1) | instskip(SKIP_3) | instid1(SALU_CYCLE_1)
	v_writelane_b32 v87, s15, 10
	s_or_b32 s15, s10, vcc_lo
	v_cmp_ge_u32_e64 s10, v4, v79
                                        ; implicit-def: $vgpr79
	s_or_b32 s15, s15, s10
	v_writelane_b32 v87, s15, 11
	v_cmp_ne_u32_e64 s15, v4, v32
	s_delay_alu instid0(VALU_DEP_1) | instskip(SKIP_1) | instid1(SALU_CYCLE_1)
	v_writelane_b32 v87, s15, 12
	s_or_b32 s15, vcc_lo, s15
	v_writelane_b32 v87, s15, 13
	s_or_b32 s15, vcc_lo, s16
	v_writelane_b32 v87, s16, 14
	v_cmp_gt_u32_e64 s16, 2, v26
	v_writelane_b32 v87, s15, 15
	s_or_b32 s15, vcc_lo, s17
	v_writelane_b32 v87, s17, 16
	v_cmp_gt_u32_e64 s17, 12, v26
	;; [unrolled: 4-line block ×3, first 2 shown]
	v_writelane_b32 v87, s15, 19
	v_cmp_eq_u32_e64 s15, 0, v82
	v_writelane_b32 v87, s45, 20
	v_cmp_gt_u32_e64 s45, 0xe0, v26
	s_delay_alu instid0(VALU_DEP_1) | instskip(SKIP_1) | instid1(VALU_DEP_1)
	v_writelane_b32 v87, s45, 21
	v_cmp_gt_u32_e64 s45, 0xd0, v26
	v_writelane_b32 v87, s45, 22
	v_cmp_gt_u32_e64 s45, 0xc0, v26
	s_delay_alu instid0(VALU_DEP_1) | instskip(SKIP_1) | instid1(VALU_DEP_1)
	v_writelane_b32 v87, s45, 23
	v_cmp_gt_u32_e64 s45, 0xb0, v26
	;; [unrolled: 5-line block ×18, first 2 shown]
	v_writelane_b32 v86, s45, 24
	v_cmp_gt_u32_e64 s45, 64, v25
	s_delay_alu instid0(VALU_DEP_1)
	v_writelane_b32 v86, s45, 25
	s_branch .LBB102_3
.LBB102_2:                              ;   in Loop: Header=BB102_3 Depth=1
	s_wait_xcnt 0x0
	s_or_b32 exec_lo, exec_lo, s45
	v_readlane_b32 s45, v89, 0
	s_add_co_i32 s66, s66, 0x10000
	global_wb scope:SCOPE_DEV
	s_wait_storecnt 0x0
	global_inv scope:SCOPE_DEV
	s_cmp_lt_u32 s66, s45
	s_cbranch_scc0 .LBB102_1257
.LBB102_3:                              ; =>This Loop Header: Depth=1
                                        ;     Child Loop BB102_1110 Depth 2
                                        ;       Child Loop BB102_1112 Depth 3
                                        ;     Child Loop BB102_1147 Depth 2
	v_mov_b32_e32 v2, s66
	v_readlane_b32 s45, v89, 1
	s_clause 0x1
	global_load_b64 v[24:25], v2, s[76:77] scale_offset
	global_load_b64 v[26:27], v2, s[70:71] scale_offset
	global_load_b32 v2, v3, s[68:69]
	s_and_not1_b32 vcc_lo, exec_lo, s45
	s_wait_loadcnt 0x2
	v_add_nc_u64_e32 v[28:29], s[78:79], v[24:25]
	s_delay_alu instid0(VALU_DEP_1)
	v_lshl_add_u64 v[24:25], v[10:11], 2, v[28:29]
	s_cbranch_vccz .LBB102_6
; %bb.4:                                ;   in Loop: Header=BB102_3 Depth=1
	s_and_not1_b32 vcc_lo, exec_lo, s88
	s_mov_b32 s45, -1
	s_cbranch_vccz .LBB102_15
.LBB102_5:                              ;   in Loop: Header=BB102_3 Depth=1
	s_and_b32 vcc_lo, exec_lo, s45
	s_cbranch_vccnz .LBB102_25
	s_branch .LBB102_66
.LBB102_6:                              ;   in Loop: Header=BB102_3 Depth=1
	s_delay_alu instid0(VALU_DEP_1)
	v_lshl_add_u64 v[30:31], v[8:9], 2, v[24:25]
	v_dual_mov_b32 v79, 0 :: v_dual_mov_b32 v78, 0
	s_wait_loadcnt 0x0
	s_barrier_signal -1
	s_barrier_wait -1
	s_wait_xcnt 0x0
	s_mov_b32 s45, exec_lo
	v_readlane_b32 s46, v87, 4
	s_and_b32 s46, s45, s46
	s_delay_alu instid0(SALU_CYCLE_1)
	s_mov_b32 exec_lo, s46
	s_cbranch_execz .LBB102_8
; %bb.7:                                ;   in Loop: Header=BB102_3 Depth=1
	flat_load_b32 v78, v[30:31]
.LBB102_8:                              ;   in Loop: Header=BB102_3 Depth=1
	s_wait_xcnt 0x0
	s_or_b32 exec_lo, exec_lo, s45
	s_wait_loadcnt_dscnt 0x0
	s_barrier_signal -1
	s_barrier_wait -1
	s_mov_b32 s45, exec_lo
	v_readlane_b32 s46, v87, 5
	s_and_b32 s46, s45, s46
	s_delay_alu instid0(SALU_CYCLE_1)
	s_mov_b32 exec_lo, s46
	s_cbranch_execz .LBB102_10
; %bb.9:                                ;   in Loop: Header=BB102_3 Depth=1
	flat_load_b32 v79, v[30:31] offset:64
.LBB102_10:                             ;   in Loop: Header=BB102_3 Depth=1
	s_wait_xcnt 0x0
	s_or_b32 exec_lo, exec_lo, s45
	v_dual_mov_b32 v81, 0 :: v_dual_mov_b32 v80, 0
	s_wait_loadcnt_dscnt 0x0
	s_barrier_signal -1
	s_barrier_wait -1
	s_mov_b32 s45, exec_lo
	v_readlane_b32 s46, v87, 6
	s_and_b32 s46, s45, s46
	s_delay_alu instid0(SALU_CYCLE_1)
	s_mov_b32 exec_lo, s46
	s_cbranch_execz .LBB102_12
; %bb.11:                               ;   in Loop: Header=BB102_3 Depth=1
	flat_load_b32 v80, v[30:31] offset:128
.LBB102_12:                             ;   in Loop: Header=BB102_3 Depth=1
	s_wait_xcnt 0x0
	s_or_b32 exec_lo, exec_lo, s45
	s_wait_loadcnt_dscnt 0x0
	s_barrier_signal -1
	s_barrier_wait -1
	s_mov_b32 s45, exec_lo
	v_readlane_b32 s46, v87, 7
	s_and_b32 s46, s45, s46
	s_delay_alu instid0(SALU_CYCLE_1)
	s_mov_b32 exec_lo, s46
	s_cbranch_execz .LBB102_14
; %bb.13:                               ;   in Loop: Header=BB102_3 Depth=1
	flat_load_b32 v81, v[30:31] offset:192
.LBB102_14:                             ;   in Loop: Header=BB102_3 Depth=1
	s_wait_xcnt 0x0
	s_or_b32 exec_lo, exec_lo, s45
	s_delay_alu instid0(SALU_CYCLE_1)
	s_and_not1_b32 vcc_lo, exec_lo, s88
	s_mov_b32 s45, -1
	s_cbranch_vccnz .LBB102_5
.LBB102_15:                             ;   in Loop: Header=BB102_3 Depth=1
	s_wait_xcnt 0x0
	s_and_saveexec_b32 s45, s1
	s_delay_alu instid0(SALU_CYCLE_1)
	s_xor_b32 s65, exec_lo, s45
	s_cbranch_execnz .LBB102_1168
; %bb.16:                               ;   in Loop: Header=BB102_3 Depth=1
	s_and_not1_saveexec_b32 s45, s65
	s_cbranch_execnz .LBB102_1175
.LBB102_17:                             ;   in Loop: Header=BB102_3 Depth=1
	s_or_b32 exec_lo, exec_lo, s45
	s_and_saveexec_b32 s45, s8
	s_delay_alu instid0(SALU_CYCLE_1)
	s_xor_b32 s65, exec_lo, s45
	s_cbranch_execnz .LBB102_1176
.LBB102_18:                             ;   in Loop: Header=BB102_3 Depth=1
	s_and_not1_saveexec_b32 s45, s65
	s_cbranch_execnz .LBB102_1183
.LBB102_19:                             ;   in Loop: Header=BB102_3 Depth=1
	s_or_b32 exec_lo, exec_lo, s45
	s_and_saveexec_b32 s45, s9
	s_delay_alu instid0(SALU_CYCLE_1)
	s_xor_b32 s65, exec_lo, s45
	s_cbranch_execnz .LBB102_1184
.LBB102_20:                             ;   in Loop: Header=BB102_3 Depth=1
	s_and_not1_saveexec_b32 s45, s65
	s_cbranch_execnz .LBB102_1191
.LBB102_21:                             ;   in Loop: Header=BB102_3 Depth=1
	s_or_b32 exec_lo, exec_lo, s45
	s_and_saveexec_b32 s45, s10
	s_delay_alu instid0(SALU_CYCLE_1)
	s_xor_b32 s65, exec_lo, s45
	s_cbranch_execnz .LBB102_1192
.LBB102_22:                             ;   in Loop: Header=BB102_3 Depth=1
	s_and_not1_saveexec_b32 s45, s65
	s_cbranch_execz .LBB102_24
.LBB102_23:                             ;   in Loop: Header=BB102_3 Depth=1
	v_lshl_add_u64 v[30:31], v[18:19], 2, v[28:29]
	flat_load_b32 v30, v[30:31]
	s_wait_loadcnt_dscnt 0x0
	v_xor_b32_e32 v30, 0x80000000, v30
	ds_store_b32 v75, v30
.LBB102_24:                             ;   in Loop: Header=BB102_3 Depth=1
	s_or_b32 exec_lo, exec_lo, s45
	s_branch .LBB102_66
.LBB102_25:                             ;   in Loop: Header=BB102_3 Depth=1
	s_wait_xcnt 0x0
	s_mov_b32 s45, exec_lo
	v_readlane_b32 s46, v87, 8
	s_and_b32 s46, s45, s46
	s_delay_alu instid0(SALU_CYCLE_1)
	s_xor_b32 s65, s46, s45
	s_mov_b32 exec_lo, s46
	s_cbranch_execz .LBB102_33
; %bb.26:                               ;   in Loop: Header=BB102_3 Depth=1
	s_mov_b32 s45, exec_lo
	v_readlane_b32 s46, v87, 13
	s_and_b32 s46, s45, s46
	s_delay_alu instid0(SALU_CYCLE_1)
	s_xor_b32 s45, s46, s45
	s_mov_b32 exec_lo, s46
	s_cbranch_execz .LBB102_30
; %bb.27:                               ;   in Loop: Header=BB102_3 Depth=1
	s_mov_b32 s46, exec_lo
	v_readlane_b32 s82, v86, 22
	s_and_b32 s82, s46, s82
	s_delay_alu instid0(SALU_CYCLE_1)
	s_mov_b32 exec_lo, s82
; %bb.28:                               ;   in Loop: Header=BB102_3 Depth=1
	ds_store_b32 v76, v3
; %bb.29:                               ;   in Loop: Header=BB102_3 Depth=1
	s_or_b32 exec_lo, exec_lo, s46
.LBB102_30:                             ;   in Loop: Header=BB102_3 Depth=1
	s_and_not1_saveexec_b32 s45, s45
	s_cbranch_execz .LBB102_32
; %bb.31:                               ;   in Loop: Header=BB102_3 Depth=1
	v_lshl_add_u64 v[30:31], v[12:13], 2, v[28:29]
	flat_load_b32 v30, v[30:31]
	s_wait_loadcnt_dscnt 0x0
	v_div_scale_f32 v31, null, v30, v30, 1.0
	s_delay_alu instid0(VALU_DEP_1) | instskip(SKIP_1) | instid1(TRANS32_DEP_1)
	v_rcp_f32_e32 v82, v31
	v_nop
	v_fma_f32 v83, -v31, v82, 1.0
	s_delay_alu instid0(VALU_DEP_1) | instskip(SKIP_1) | instid1(VALU_DEP_1)
	v_fmac_f32_e32 v82, v83, v82
	v_div_scale_f32 v83, vcc_lo, 1.0, v30, 1.0
	v_mul_f32_e32 v84, v83, v82
	s_delay_alu instid0(VALU_DEP_1) | instskip(NEXT) | instid1(VALU_DEP_1)
	v_fma_f32 v85, -v31, v84, v83
	v_fmac_f32_e32 v84, v85, v82
	s_delay_alu instid0(VALU_DEP_1) | instskip(NEXT) | instid1(VALU_DEP_1)
	v_fma_f32 v31, -v31, v84, v83
	v_div_fmas_f32 v31, v31, v82, v84
	s_delay_alu instid0(VALU_DEP_1)
	v_div_fixup_f32 v30, v31, v30, 1.0
	ds_store_b32 v76, v30
.LBB102_32:                             ;   in Loop: Header=BB102_3 Depth=1
	s_or_b32 exec_lo, exec_lo, s45
.LBB102_33:                             ;   in Loop: Header=BB102_3 Depth=1
	s_and_not1_saveexec_b32 s45, s65
	s_cbranch_execz .LBB102_35
; %bb.34:                               ;   in Loop: Header=BB102_3 Depth=1
	v_lshl_add_u64 v[30:31], v[12:13], 2, v[28:29]
	flat_load_b32 v30, v[30:31]
	s_wait_loadcnt_dscnt 0x0
	v_xor_b32_e32 v30, 0x80000000, v30
	ds_store_b32 v76, v30
.LBB102_35:                             ;   in Loop: Header=BB102_3 Depth=1
	s_or_b32 exec_lo, exec_lo, s45
	s_delay_alu instid0(SALU_CYCLE_1) | instskip(SKIP_2) | instid1(SALU_CYCLE_1)
	s_mov_b32 s45, exec_lo
	v_readlane_b32 s46, v87, 9
	s_and_b32 s46, s45, s46
	s_xor_b32 s65, s46, s45
	s_mov_b32 exec_lo, s46
	s_cbranch_execz .LBB102_43
; %bb.36:                               ;   in Loop: Header=BB102_3 Depth=1
	s_mov_b32 s45, exec_lo
	v_readlane_b32 s46, v87, 15
	s_and_b32 s46, s45, s46
	s_delay_alu instid0(SALU_CYCLE_1)
	s_xor_b32 s45, s46, s45
	s_mov_b32 exec_lo, s46
	s_cbranch_execz .LBB102_40
; %bb.37:                               ;   in Loop: Header=BB102_3 Depth=1
	s_mov_b32 s46, exec_lo
	v_readlane_b32 s82, v86, 23
	s_and_b32 s82, s46, s82
	s_delay_alu instid0(SALU_CYCLE_1)
	s_mov_b32 exec_lo, s82
; %bb.38:                               ;   in Loop: Header=BB102_3 Depth=1
	ds_store_b32 v73, v3
; %bb.39:                               ;   in Loop: Header=BB102_3 Depth=1
	s_or_b32 exec_lo, exec_lo, s46
.LBB102_40:                             ;   in Loop: Header=BB102_3 Depth=1
	s_and_not1_saveexec_b32 s45, s45
	s_cbranch_execz .LBB102_42
; %bb.41:                               ;   in Loop: Header=BB102_3 Depth=1
	v_lshl_add_u64 v[30:31], v[14:15], 2, v[28:29]
	flat_load_b32 v30, v[30:31]
	s_wait_loadcnt_dscnt 0x0
	v_div_scale_f32 v31, null, v30, v30, 1.0
	s_delay_alu instid0(VALU_DEP_1) | instskip(SKIP_1) | instid1(TRANS32_DEP_1)
	v_rcp_f32_e32 v82, v31
	v_nop
	v_fma_f32 v83, -v31, v82, 1.0
	s_delay_alu instid0(VALU_DEP_1) | instskip(SKIP_1) | instid1(VALU_DEP_1)
	v_fmac_f32_e32 v82, v83, v82
	v_div_scale_f32 v83, vcc_lo, 1.0, v30, 1.0
	v_mul_f32_e32 v84, v83, v82
	s_delay_alu instid0(VALU_DEP_1) | instskip(NEXT) | instid1(VALU_DEP_1)
	v_fma_f32 v85, -v31, v84, v83
	v_fmac_f32_e32 v84, v85, v82
	s_delay_alu instid0(VALU_DEP_1) | instskip(NEXT) | instid1(VALU_DEP_1)
	v_fma_f32 v31, -v31, v84, v83
	v_div_fmas_f32 v31, v31, v82, v84
	s_delay_alu instid0(VALU_DEP_1)
	v_div_fixup_f32 v30, v31, v30, 1.0
	ds_store_b32 v73, v30
.LBB102_42:                             ;   in Loop: Header=BB102_3 Depth=1
	s_or_b32 exec_lo, exec_lo, s45
.LBB102_43:                             ;   in Loop: Header=BB102_3 Depth=1
	s_and_not1_saveexec_b32 s45, s65
	s_cbranch_execz .LBB102_45
; %bb.44:                               ;   in Loop: Header=BB102_3 Depth=1
	v_lshl_add_u64 v[30:31], v[14:15], 2, v[28:29]
	flat_load_b32 v30, v[30:31]
	s_wait_loadcnt_dscnt 0x0
	v_xor_b32_e32 v30, 0x80000000, v30
	ds_store_b32 v73, v30
.LBB102_45:                             ;   in Loop: Header=BB102_3 Depth=1
	s_or_b32 exec_lo, exec_lo, s45
	s_delay_alu instid0(SALU_CYCLE_1) | instskip(SKIP_2) | instid1(SALU_CYCLE_1)
	s_mov_b32 s45, exec_lo
	v_readlane_b32 s46, v87, 10
	s_and_b32 s46, s45, s46
	;; [unrolled: 63-line block ×3, first 2 shown]
	s_xor_b32 s65, s46, s45
	s_mov_b32 exec_lo, s46
	s_cbranch_execz .LBB102_63
; %bb.56:                               ;   in Loop: Header=BB102_3 Depth=1
	s_mov_b32 s45, exec_lo
	v_readlane_b32 s46, v87, 19
	s_and_b32 s46, s45, s46
	s_delay_alu instid0(SALU_CYCLE_1)
	s_xor_b32 s45, s46, s45
	s_mov_b32 exec_lo, s46
	s_cbranch_execz .LBB102_60
; %bb.57:                               ;   in Loop: Header=BB102_3 Depth=1
	s_mov_b32 s46, exec_lo
	v_readlane_b32 s82, v86, 25
	s_and_b32 s82, s46, s82
	s_delay_alu instid0(SALU_CYCLE_1)
	s_mov_b32 exec_lo, s82
; %bb.58:                               ;   in Loop: Header=BB102_3 Depth=1
	ds_store_b32 v75, v3
; %bb.59:                               ;   in Loop: Header=BB102_3 Depth=1
	s_or_b32 exec_lo, exec_lo, s46
                                        ; implicit-def: $vgpr28_vgpr29
.LBB102_60:                             ;   in Loop: Header=BB102_3 Depth=1
	s_and_not1_saveexec_b32 s45, s45
	s_cbranch_execz .LBB102_62
; %bb.61:                               ;   in Loop: Header=BB102_3 Depth=1
	v_lshl_add_u64 v[28:29], v[18:19], 2, v[28:29]
	flat_load_b32 v28, v[28:29]
	s_wait_loadcnt_dscnt 0x0
	v_div_scale_f32 v29, null, v28, v28, 1.0
	s_delay_alu instid0(VALU_DEP_1) | instskip(SKIP_1) | instid1(TRANS32_DEP_1)
	v_rcp_f32_e32 v30, v29
	v_nop
	v_fma_f32 v31, -v29, v30, 1.0
	s_delay_alu instid0(VALU_DEP_1) | instskip(SKIP_1) | instid1(VALU_DEP_1)
	v_fmac_f32_e32 v30, v31, v30
	v_div_scale_f32 v31, vcc_lo, 1.0, v28, 1.0
	v_mul_f32_e32 v82, v31, v30
	s_delay_alu instid0(VALU_DEP_1) | instskip(NEXT) | instid1(VALU_DEP_1)
	v_fma_f32 v83, -v29, v82, v31
	v_fmac_f32_e32 v82, v83, v30
	s_delay_alu instid0(VALU_DEP_1) | instskip(NEXT) | instid1(VALU_DEP_1)
	v_fma_f32 v29, -v29, v82, v31
	v_div_fmas_f32 v29, v29, v30, v82
	s_delay_alu instid0(VALU_DEP_1)
	v_div_fixup_f32 v28, v29, v28, 1.0
	ds_store_b32 v75, v28
.LBB102_62:                             ;   in Loop: Header=BB102_3 Depth=1
	s_or_b32 exec_lo, exec_lo, s45
                                        ; implicit-def: $vgpr28_vgpr29
.LBB102_63:                             ;   in Loop: Header=BB102_3 Depth=1
	s_and_not1_saveexec_b32 s45, s65
	s_cbranch_execz .LBB102_65
; %bb.64:                               ;   in Loop: Header=BB102_3 Depth=1
	v_lshl_add_u64 v[28:29], v[18:19], 2, v[28:29]
	flat_load_b32 v28, v[28:29]
	s_wait_loadcnt_dscnt 0x0
	v_xor_b32_e32 v28, 0x80000000, v28
	ds_store_b32 v75, v28
.LBB102_65:                             ;   in Loop: Header=BB102_3 Depth=1
	s_or_b32 exec_lo, exec_lo, s45
.LBB102_66:                             ;   in Loop: Header=BB102_3 Depth=1
	s_delay_alu instid0(SALU_CYCLE_1)
	s_and_not1_b32 vcc_lo, exec_lo, s89
	s_wait_loadcnt_dscnt 0x0
	s_barrier_signal -1
	s_barrier_wait -1
	s_cbranch_vccnz .LBB102_1104
; %bb.67:                               ;   in Loop: Header=BB102_3 Depth=1
	s_and_saveexec_b32 s45, s15
	s_cbranch_execz .LBB102_69
; %bb.68:                               ;   in Loop: Header=BB102_3 Depth=1
	ds_load_b64 v[28:29], v3 offset:16376
	ds_load_b32 v30, v3 offset:16120
	s_wait_dscnt 0x0
	v_mul_f32_e32 v29, v30, v29
	s_delay_alu instid0(VALU_DEP_1)
	v_mul_f32_e32 v28, v28, v29
	v_add_nc_u32_e64 v29, 0x3c00, 0
	ds_store_2addr_b32 v29, v28, v28 offset0:191 offset1:254
.LBB102_69:                             ;   in Loop: Header=BB102_3 Depth=1
	s_or_b32 exec_lo, exec_lo, s45
	v_mov_b32_e32 v28, 0
	s_wait_dscnt 0x0
	s_barrier_signal -1
	s_barrier_wait -1
	global_wb scope:SCOPE_DEV
	s_wait_storecnt 0x0
	global_inv scope:SCOPE_DEV
	s_and_saveexec_b32 s45, s2
	s_cbranch_execz .LBB102_73
; %bb.70:                               ;   in Loop: Header=BB102_3 Depth=1
	ds_load_b32 v28, v35 offset:16112
	ds_load_b32 v29, v34 offset:16376
	s_wait_dscnt 0x0
	v_fma_f32 v28, v28, v29, 0
	s_and_saveexec_b32 s46, s16
	s_cbranch_execz .LBB102_72
; %bb.71:                               ;   in Loop: Header=BB102_3 Depth=1
	ds_load_b32 v29, v36 offset:16368
	ds_load_b32 v30, v3 offset:16380
	s_wait_dscnt 0x0
	v_fmac_f32_e32 v28, v29, v30
.LBB102_72:                             ;   in Loop: Header=BB102_3 Depth=1
	s_or_b32 exec_lo, exec_lo, s46
.LBB102_73:                             ;   in Loop: Header=BB102_3 Depth=1
	s_delay_alu instid0(SALU_CYCLE_1)
	s_or_b32 exec_lo, exec_lo, s45
	s_and_saveexec_b32 s45, s90
	s_cbranch_execz .LBB102_75
; %bb.74:                               ;   in Loop: Header=BB102_3 Depth=1
	ds_load_b32 v29, v3 offset:15860
	s_wait_dscnt 0x0
	v_mul_f32_e32 v28, v28, v29
	s_delay_alu instid0(VALU_DEP_1)
	v_xor_b32_e32 v29, 0x80000000, v28
	ds_store_b32 v5, v29
.LBB102_75:                             ;   in Loop: Header=BB102_3 Depth=1
	s_or_b32 exec_lo, exec_lo, s45
	s_wait_loadcnt_dscnt 0x0
	s_barrier_signal -1
	s_barrier_wait -1
	s_and_saveexec_b32 s45, s91
	s_cbranch_execz .LBB102_77
; %bb.76:                               ;   in Loop: Header=BB102_3 Depth=1
	ds_load_b32 v29, v3 offset:15856
	ds_load_b32 v30, v5
	s_wait_dscnt 0x0
	v_fma_f32 v28, -v29, v30, v28
.LBB102_77:                             ;   in Loop: Header=BB102_3 Depth=1
	s_or_b32 exec_lo, exec_lo, s45
	s_barrier_signal -1
	s_barrier_wait -1
	s_and_saveexec_b32 s45, s91
	s_cbranch_execz .LBB102_79
; %bb.78:                               ;   in Loop: Header=BB102_3 Depth=1
	ds_load_b32 v29, v3 offset:15600
	s_wait_dscnt 0x0
	v_mul_f32_e32 v28, v28, v29
	s_delay_alu instid0(VALU_DEP_1)
	v_xor_b32_e32 v29, 0x80000000, v28
	ds_store_b32 v5, v29
.LBB102_79:                             ;   in Loop: Header=BB102_3 Depth=1
	s_or_b32 exec_lo, exec_lo, s45
	s_wait_dscnt 0x0
	s_barrier_signal -1
	s_barrier_wait -1
	s_barrier_signal -1
	s_barrier_wait -1
	s_and_saveexec_b32 s45, s2
; %bb.80:                               ;   in Loop: Header=BB102_3 Depth=1
	ds_store_b32 v37, v28 offset:16368
; %bb.81:                               ;   in Loop: Header=BB102_3 Depth=1
	s_or_b32 exec_lo, exec_lo, s45
	s_wait_dscnt 0x0
	s_barrier_signal -1
	s_barrier_wait -1
	s_barrier_signal -1
	s_barrier_wait -1
	s_and_saveexec_b32 s45, s92
	s_cbranch_execz .LBB102_83
; %bb.82:                               ;   in Loop: Header=BB102_3 Depth=1
	ds_load_b32 v28, v38 offset:16112
	s_wait_dscnt 0x0
	ds_store_b32 v36, v28 offset:15608
	ds_load_b32 v28, v38 offset:16116
	s_wait_dscnt 0x0
	ds_store_b32 v36, v28 offset:15864
.LBB102_83:                             ;   in Loop: Header=BB102_3 Depth=1
	s_or_b32 exec_lo, exec_lo, s45
	s_wait_dscnt 0x0
	s_barrier_signal -1
	s_barrier_wait -1
	s_and_saveexec_b32 s45, s15
	s_cbranch_execz .LBB102_85
; %bb.84:                               ;   in Loop: Header=BB102_3 Depth=1
	ds_load_b64 v[28:29], v3 offset:15856
	ds_load_b32 v30, v3 offset:15600
	s_wait_dscnt 0x0
	v_mul_f32_e32 v29, v30, v29
	s_delay_alu instid0(VALU_DEP_1)
	v_mul_f32_e32 v28, v28, v29
	v_add_nc_u32_e64 v29, 0x3c00, 0
	ds_store_2addr_b32 v29, v28, v28 offset0:61 offset1:124
.LBB102_85:                             ;   in Loop: Header=BB102_3 Depth=1
	s_or_b32 exec_lo, exec_lo, s45
	v_mov_b32_e32 v28, 0
	s_wait_dscnt 0x0
	s_barrier_signal -1
	s_barrier_wait -1
	global_wb scope:SCOPE_DEV
	s_wait_storecnt 0x0
	global_inv scope:SCOPE_DEV
	s_and_saveexec_b32 s65, s4
	s_cbranch_execz .LBB102_91
; %bb.86:                               ;   in Loop: Header=BB102_3 Depth=1
	ds_load_b32 v28, v41 offset:15584
	ds_load_b32 v29, v40 offset:16368
	s_wait_dscnt 0x0
	v_fma_f32 v28, v28, v29, 0
	s_and_saveexec_b32 s45, s17
	s_cbranch_execnz .LBB102_1207
; %bb.87:                               ;   in Loop: Header=BB102_3 Depth=1
	s_or_b32 exec_lo, exec_lo, s45
	s_and_saveexec_b32 s45, s18
	s_cbranch_execnz .LBB102_1208
.LBB102_88:                             ;   in Loop: Header=BB102_3 Depth=1
	s_or_b32 exec_lo, exec_lo, s45
	s_and_saveexec_b32 s45, s2
	s_cbranch_execz .LBB102_90
.LBB102_89:                             ;   in Loop: Header=BB102_3 Depth=1
	ds_load_b32 v29, v42 offset:16352
	ds_load_b32 v30, v3 offset:16380
	s_wait_dscnt 0x0
	v_fmac_f32_e32 v28, v29, v30
.LBB102_90:                             ;   in Loop: Header=BB102_3 Depth=1
	s_or_b32 exec_lo, exec_lo, s45
.LBB102_91:                             ;   in Loop: Header=BB102_3 Depth=1
	s_delay_alu instid0(SALU_CYCLE_1)
	s_or_b32 exec_lo, exec_lo, s65
	s_and_saveexec_b32 s45, s93
	s_cbranch_execz .LBB102_93
; %bb.92:                               ;   in Loop: Header=BB102_3 Depth=1
	ds_load_b32 v29, v3 offset:15340
	s_wait_dscnt 0x0
	v_mul_f32_e32 v28, v28, v29
	s_delay_alu instid0(VALU_DEP_1)
	v_xor_b32_e32 v29, 0x80000000, v28
	ds_store_b32 v39, v29
.LBB102_93:                             ;   in Loop: Header=BB102_3 Depth=1
	s_or_b32 exec_lo, exec_lo, s45
	s_wait_loadcnt_dscnt 0x0
	s_barrier_signal -1
	s_barrier_wait -1
	s_and_saveexec_b32 s45, s94
	s_cbranch_execz .LBB102_95
; %bb.94:                               ;   in Loop: Header=BB102_3 Depth=1
	ds_load_b32 v29, v41 offset:15328
	ds_load_b32 v30, v39
	s_wait_dscnt 0x0
	v_fma_f32 v28, -v29, v30, v28
.LBB102_95:                             ;   in Loop: Header=BB102_3 Depth=1
	s_or_b32 exec_lo, exec_lo, s45
	s_barrier_signal -1
	s_barrier_wait -1
	s_and_saveexec_b32 s45, s95
	s_cbranch_execz .LBB102_97
; %bb.96:                               ;   in Loop: Header=BB102_3 Depth=1
	ds_load_b32 v29, v3 offset:15080
	s_wait_dscnt 0x0
	v_mul_f32_e32 v28, v28, v29
	s_delay_alu instid0(VALU_DEP_1)
	v_xor_b32_e32 v29, 0x80000000, v28
	ds_store_b32 v39, v29
.LBB102_97:                             ;   in Loop: Header=BB102_3 Depth=1
	s_or_b32 exec_lo, exec_lo, s45
	s_wait_dscnt 0x0
	s_barrier_signal -1
	s_barrier_wait -1
	s_and_saveexec_b32 s45, s96
	s_cbranch_execz .LBB102_99
; %bb.98:                               ;   in Loop: Header=BB102_3 Depth=1
	ds_load_b32 v29, v41 offset:15072
	ds_load_b32 v30, v39
	s_wait_dscnt 0x0
	v_fma_f32 v28, -v29, v30, v28
.LBB102_99:                             ;   in Loop: Header=BB102_3 Depth=1
	s_or_b32 exec_lo, exec_lo, s45
	s_barrier_signal -1
	s_barrier_wait -1
	s_and_saveexec_b32 s45, s97
	s_cbranch_execz .LBB102_101
; %bb.100:                              ;   in Loop: Header=BB102_3 Depth=1
	ds_load_b32 v29, v3 offset:14820
	s_wait_dscnt 0x0
	v_mul_f32_e32 v28, v28, v29
	s_delay_alu instid0(VALU_DEP_1)
	v_xor_b32_e32 v29, 0x80000000, v28
	ds_store_b32 v39, v29
.LBB102_101:                            ;   in Loop: Header=BB102_3 Depth=1
	s_or_b32 exec_lo, exec_lo, s45
	s_wait_dscnt 0x0
	s_barrier_signal -1
	s_barrier_wait -1
	s_and_saveexec_b32 s45, s98
	s_cbranch_execz .LBB102_103
; %bb.102:                              ;   in Loop: Header=BB102_3 Depth=1
	ds_load_b32 v29, v3 offset:14816
	ds_load_b32 v30, v39
	s_wait_dscnt 0x0
	v_fma_f32 v28, -v29, v30, v28
.LBB102_103:                            ;   in Loop: Header=BB102_3 Depth=1
	s_or_b32 exec_lo, exec_lo, s45
	s_barrier_signal -1
	s_barrier_wait -1
	s_and_saveexec_b32 s45, s98
	s_cbranch_execz .LBB102_105
; %bb.104:                              ;   in Loop: Header=BB102_3 Depth=1
	ds_load_b32 v29, v3 offset:14560
	s_wait_dscnt 0x0
	v_mul_f32_e32 v28, v28, v29
	s_delay_alu instid0(VALU_DEP_1)
	v_xor_b32_e32 v29, 0x80000000, v28
	ds_store_b32 v39, v29
.LBB102_105:                            ;   in Loop: Header=BB102_3 Depth=1
	s_or_b32 exec_lo, exec_lo, s45
	s_wait_dscnt 0x0
	s_barrier_signal -1
	s_barrier_wait -1
	s_barrier_signal -1
	s_barrier_wait -1
	s_and_saveexec_b32 s45, s4
; %bb.106:                              ;   in Loop: Header=BB102_3 Depth=1
	ds_store_b32 v43, v28 offset:16352
; %bb.107:                              ;   in Loop: Header=BB102_3 Depth=1
	s_or_b32 exec_lo, exec_lo, s45
	s_wait_dscnt 0x0
	s_barrier_signal -1
	s_barrier_wait -1
	s_barrier_signal -1
	s_barrier_wait -1
	s_and_saveexec_b32 s45, s99
	s_cbranch_execz .LBB102_109
; %bb.108:                              ;   in Loop: Header=BB102_3 Depth=1
	ds_load_b32 v28, v7 offset:15584
	s_wait_dscnt 0x0
	ds_store_b32 v53, v28 offset:14576
	ds_load_b32 v28, v7 offset:15588
	s_wait_dscnt 0x0
	ds_store_b32 v53, v28 offset:14832
	;; [unrolled: 3-line block ×4, first 2 shown]
.LBB102_109:                            ;   in Loop: Header=BB102_3 Depth=1
	s_or_b32 exec_lo, exec_lo, s45
	s_wait_dscnt 0x0
	s_barrier_signal -1
	s_barrier_wait -1
	s_and_saveexec_b32 s45, s15
	s_cbranch_execz .LBB102_111
; %bb.110:                              ;   in Loop: Header=BB102_3 Depth=1
	ds_load_b64 v[28:29], v3 offset:15336
	ds_load_b32 v30, v3 offset:15080
	s_wait_dscnt 0x0
	v_mul_f32_e32 v29, v30, v29
	s_delay_alu instid0(VALU_DEP_1)
	v_mul_f32_e32 v28, v28, v29
	v_add_nc_u32_e64 v29, 0x3800, 0
	ds_store_2addr_b32 v29, v28, v28 offset0:187 offset1:250
.LBB102_111:                            ;   in Loop: Header=BB102_3 Depth=1
	s_or_b32 exec_lo, exec_lo, s45
	v_mov_b32_e32 v28, 0
	s_wait_dscnt 0x0
	s_barrier_signal -1
	s_barrier_wait -1
	global_wb scope:SCOPE_DEV
	s_wait_storecnt 0x0
	global_inv scope:SCOPE_DEV
	s_and_saveexec_b32 s45, s2
	s_cbranch_execz .LBB102_115
; %bb.112:                              ;   in Loop: Header=BB102_3 Depth=1
	ds_load_b32 v28, v35 offset:15072
	ds_load_b32 v29, v34 offset:15336
	s_wait_dscnt 0x0
	v_fma_f32 v28, v28, v29, 0
	s_and_saveexec_b32 s46, s16
	s_cbranch_execz .LBB102_114
; %bb.113:                              ;   in Loop: Header=BB102_3 Depth=1
	ds_load_b32 v29, v53 offset:15328
	ds_load_b32 v30, v3 offset:15340
	s_wait_dscnt 0x0
	v_fmac_f32_e32 v28, v29, v30
.LBB102_114:                            ;   in Loop: Header=BB102_3 Depth=1
	s_or_b32 exec_lo, exec_lo, s46
.LBB102_115:                            ;   in Loop: Header=BB102_3 Depth=1
	s_delay_alu instid0(SALU_CYCLE_1)
	s_or_b32 exec_lo, exec_lo, s45
	s_and_saveexec_b32 s45, s90
	s_cbranch_execz .LBB102_117
; %bb.116:                              ;   in Loop: Header=BB102_3 Depth=1
	ds_load_b32 v29, v3 offset:14820
	s_wait_dscnt 0x0
	v_mul_f32_e32 v28, v28, v29
	s_delay_alu instid0(VALU_DEP_1)
	v_xor_b32_e32 v29, 0x80000000, v28
	ds_store_b32 v5, v29
.LBB102_117:                            ;   in Loop: Header=BB102_3 Depth=1
	s_or_b32 exec_lo, exec_lo, s45
	s_wait_loadcnt_dscnt 0x0
	s_barrier_signal -1
	s_barrier_wait -1
	s_and_saveexec_b32 s45, s91
	s_cbranch_execz .LBB102_119
; %bb.118:                              ;   in Loop: Header=BB102_3 Depth=1
	ds_load_b32 v29, v3 offset:14816
	ds_load_b32 v30, v5
	s_wait_dscnt 0x0
	v_fma_f32 v28, -v29, v30, v28
.LBB102_119:                            ;   in Loop: Header=BB102_3 Depth=1
	s_or_b32 exec_lo, exec_lo, s45
	s_barrier_signal -1
	s_barrier_wait -1
	s_and_saveexec_b32 s45, s91
	s_cbranch_execz .LBB102_121
; %bb.120:                              ;   in Loop: Header=BB102_3 Depth=1
	ds_load_b32 v29, v3 offset:14560
	s_wait_dscnt 0x0
	v_mul_f32_e32 v28, v28, v29
	s_delay_alu instid0(VALU_DEP_1)
	v_xor_b32_e32 v29, 0x80000000, v28
	ds_store_b32 v5, v29
.LBB102_121:                            ;   in Loop: Header=BB102_3 Depth=1
	s_or_b32 exec_lo, exec_lo, s45
	s_wait_dscnt 0x0
	s_barrier_signal -1
	s_barrier_wait -1
	s_barrier_signal -1
	s_barrier_wait -1
	s_and_saveexec_b32 s45, s2
; %bb.122:                              ;   in Loop: Header=BB102_3 Depth=1
	ds_store_b32 v37, v28 offset:15328
; %bb.123:                              ;   in Loop: Header=BB102_3 Depth=1
	s_or_b32 exec_lo, exec_lo, s45
	s_wait_dscnt 0x0
	s_barrier_signal -1
	s_barrier_wait -1
	s_barrier_signal -1
	s_barrier_wait -1
	s_and_saveexec_b32 s45, s92
	s_cbranch_execz .LBB102_125
; %bb.124:                              ;   in Loop: Header=BB102_3 Depth=1
	ds_load_b32 v28, v54 offset:15072
	s_wait_dscnt 0x0
	ds_store_b32 v53, v28 offset:14568
	ds_load_b32 v28, v54 offset:15076
	s_wait_dscnt 0x0
	ds_store_b32 v53, v28 offset:14824
.LBB102_125:                            ;   in Loop: Header=BB102_3 Depth=1
	s_or_b32 exec_lo, exec_lo, s45
	s_wait_dscnt 0x0
	s_barrier_signal -1
	s_barrier_wait -1
	s_and_saveexec_b32 s45, s15
	s_cbranch_execz .LBB102_127
; %bb.126:                              ;   in Loop: Header=BB102_3 Depth=1
	ds_load_b64 v[28:29], v3 offset:14816
	ds_load_b32 v30, v3 offset:14560
	s_wait_dscnt 0x0
	v_mul_f32_e32 v29, v30, v29
	s_delay_alu instid0(VALU_DEP_1)
	v_mul_f32_e32 v28, v28, v29
	v_add_nc_u32_e64 v29, 0x3800, 0
	ds_store_2addr_b32 v29, v28, v28 offset0:57 offset1:120
.LBB102_127:                            ;   in Loop: Header=BB102_3 Depth=1
	s_or_b32 exec_lo, exec_lo, s45
	v_mov_b32_e32 v28, 0
	s_wait_dscnt 0x0
	s_barrier_signal -1
	s_barrier_wait -1
	global_wb scope:SCOPE_DEV
	s_wait_storecnt 0x0
	global_inv scope:SCOPE_DEV
	s_and_saveexec_b32 s65, s5
	s_cbranch_execz .LBB102_137
; %bb.128:                              ;   in Loop: Header=BB102_3 Depth=1
	ds_load_b32 v28, v46 offset:14528
	ds_load_b32 v29, v45 offset:16352
	s_wait_dscnt 0x0
	v_fma_f32 v28, v28, v29, 0
	s_and_saveexec_b32 s45, s19
	s_cbranch_execnz .LBB102_1209
; %bb.129:                              ;   in Loop: Header=BB102_3 Depth=1
	s_or_b32 exec_lo, exec_lo, s45
	s_and_saveexec_b32 s45, s20
	s_cbranch_execnz .LBB102_1210
.LBB102_130:                            ;   in Loop: Header=BB102_3 Depth=1
	s_or_b32 exec_lo, exec_lo, s45
	s_and_saveexec_b32 s45, s21
	s_cbranch_execnz .LBB102_1211
.LBB102_131:                            ;   in Loop: Header=BB102_3 Depth=1
	s_or_b32 exec_lo, exec_lo, s45
	s_and_saveexec_b32 s45, s22
	s_cbranch_execnz .LBB102_1212
.LBB102_132:                            ;   in Loop: Header=BB102_3 Depth=1
	s_or_b32 exec_lo, exec_lo, s45
	s_and_saveexec_b32 s45, s23
	s_cbranch_execnz .LBB102_1213
.LBB102_133:                            ;   in Loop: Header=BB102_3 Depth=1
	s_or_b32 exec_lo, exec_lo, s45
	s_and_saveexec_b32 s45, s4
	s_cbranch_execnz .LBB102_1214
.LBB102_134:                            ;   in Loop: Header=BB102_3 Depth=1
	s_or_b32 exec_lo, exec_lo, s45
	s_and_saveexec_b32 s45, s18
	s_cbranch_execz .LBB102_136
.LBB102_135:                            ;   in Loop: Header=BB102_3 Depth=1
	ds_load_b32 v29, v55 offset:16320
	ds_load_b32 v30, v3 offset:16380
	s_wait_dscnt 0x0
	v_fmac_f32_e32 v28, v29, v30
.LBB102_136:                            ;   in Loop: Header=BB102_3 Depth=1
	s_or_b32 exec_lo, exec_lo, s45
.LBB102_137:                            ;   in Loop: Header=BB102_3 Depth=1
	s_delay_alu instid0(SALU_CYCLE_1)
	s_or_b32 exec_lo, exec_lo, s65
	s_and_saveexec_b32 s45, s100
	s_cbranch_execz .LBB102_139
; %bb.138:                              ;   in Loop: Header=BB102_3 Depth=1
	ds_load_b32 v29, v3 offset:14300
	s_wait_dscnt 0x0
	v_mul_f32_e32 v28, v28, v29
	s_delay_alu instid0(VALU_DEP_1)
	v_xor_b32_e32 v29, 0x80000000, v28
	ds_store_b32 v44, v29
.LBB102_139:                            ;   in Loop: Header=BB102_3 Depth=1
	s_or_b32 exec_lo, exec_lo, s45
	s_wait_loadcnt_dscnt 0x0
	s_barrier_signal -1
	s_barrier_wait -1
	s_and_saveexec_b32 s45, s101
	s_cbranch_execz .LBB102_141
; %bb.140:                              ;   in Loop: Header=BB102_3 Depth=1
	ds_load_b32 v29, v46 offset:14272
	ds_load_b32 v30, v44
	s_wait_dscnt 0x0
	v_fma_f32 v28, -v29, v30, v28
.LBB102_141:                            ;   in Loop: Header=BB102_3 Depth=1
	s_or_b32 exec_lo, exec_lo, s45
	s_barrier_signal -1
	s_barrier_wait -1
	s_and_saveexec_b32 s45, s102
	s_cbranch_execz .LBB102_143
; %bb.142:                              ;   in Loop: Header=BB102_3 Depth=1
	ds_load_b32 v29, v3 offset:14040
	s_wait_dscnt 0x0
	v_mul_f32_e32 v28, v28, v29
	s_delay_alu instid0(VALU_DEP_1)
	v_xor_b32_e32 v29, 0x80000000, v28
	ds_store_b32 v44, v29
.LBB102_143:                            ;   in Loop: Header=BB102_3 Depth=1
	s_or_b32 exec_lo, exec_lo, s45
	s_wait_dscnt 0x0
	s_barrier_signal -1
	s_barrier_wait -1
	s_and_saveexec_b32 s45, s103
	s_cbranch_execz .LBB102_145
; %bb.144:                              ;   in Loop: Header=BB102_3 Depth=1
	ds_load_b32 v29, v46 offset:14016
	ds_load_b32 v30, v44
	s_wait_dscnt 0x0
	v_fma_f32 v28, -v29, v30, v28
.LBB102_145:                            ;   in Loop: Header=BB102_3 Depth=1
	s_or_b32 exec_lo, exec_lo, s45
	s_barrier_signal -1
	s_barrier_wait -1
	s_and_saveexec_b32 s45, s104
	s_cbranch_execz .LBB102_147
; %bb.146:                              ;   in Loop: Header=BB102_3 Depth=1
	ds_load_b32 v29, v3 offset:13780
	s_wait_dscnt 0x0
	v_mul_f32_e32 v28, v28, v29
	s_delay_alu instid0(VALU_DEP_1)
	v_xor_b32_e32 v29, 0x80000000, v28
	ds_store_b32 v44, v29
.LBB102_147:                            ;   in Loop: Header=BB102_3 Depth=1
	s_or_b32 exec_lo, exec_lo, s45
	s_wait_dscnt 0x0
	s_barrier_signal -1
	s_barrier_wait -1
	s_and_saveexec_b32 s45, vcc_hi
	s_cbranch_execz .LBB102_149
; %bb.148:                              ;   in Loop: Header=BB102_3 Depth=1
	ds_load_b32 v29, v46 offset:13760
	ds_load_b32 v30, v44
	s_wait_dscnt 0x0
	v_fma_f32 v28, -v29, v30, v28
.LBB102_149:                            ;   in Loop: Header=BB102_3 Depth=1
	s_or_b32 exec_lo, exec_lo, s45
	s_barrier_signal -1
	s_barrier_wait -1
	s_and_saveexec_b32 s45, s36
	s_cbranch_execz .LBB102_151
; %bb.150:                              ;   in Loop: Header=BB102_3 Depth=1
	ds_load_b32 v29, v3 offset:13520
	s_wait_dscnt 0x0
	v_mul_f32_e32 v28, v28, v29
	s_delay_alu instid0(VALU_DEP_1)
	v_xor_b32_e32 v29, 0x80000000, v28
	ds_store_b32 v44, v29
.LBB102_151:                            ;   in Loop: Header=BB102_3 Depth=1
	s_or_b32 exec_lo, exec_lo, s45
	s_wait_dscnt 0x0
	s_barrier_signal -1
	s_barrier_wait -1
	s_and_saveexec_b32 s45, s37
	s_cbranch_execz .LBB102_153
; %bb.152:                              ;   in Loop: Header=BB102_3 Depth=1
	ds_load_b32 v29, v46 offset:13504
	ds_load_b32 v30, v44
	s_wait_dscnt 0x0
	v_fma_f32 v28, -v29, v30, v28
.LBB102_153:                            ;   in Loop: Header=BB102_3 Depth=1
	s_or_b32 exec_lo, exec_lo, s45
	s_barrier_signal -1
	s_barrier_wait -1
	s_and_saveexec_b32 s45, s38
	s_cbranch_execz .LBB102_155
; %bb.154:                              ;   in Loop: Header=BB102_3 Depth=1
	ds_load_b32 v29, v3 offset:13260
	s_wait_dscnt 0x0
	v_mul_f32_e32 v28, v28, v29
	s_delay_alu instid0(VALU_DEP_1)
	v_xor_b32_e32 v29, 0x80000000, v28
	ds_store_b32 v44, v29
.LBB102_155:                            ;   in Loop: Header=BB102_3 Depth=1
	s_or_b32 exec_lo, exec_lo, s45
	s_wait_dscnt 0x0
	s_barrier_signal -1
	s_barrier_wait -1
	s_and_saveexec_b32 s45, s39
	;; [unrolled: 25-line block ×4, first 2 shown]
	s_cbranch_execz .LBB102_165
; %bb.164:                              ;   in Loop: Header=BB102_3 Depth=1
	ds_load_b32 v29, v3 offset:12736
	ds_load_b32 v30, v44
	s_wait_dscnt 0x0
	v_fma_f32 v28, -v29, v30, v28
.LBB102_165:                            ;   in Loop: Header=BB102_3 Depth=1
	s_or_b32 exec_lo, exec_lo, s45
	s_barrier_signal -1
	s_barrier_wait -1
	s_and_saveexec_b32 s45, s43
	s_cbranch_execz .LBB102_167
; %bb.166:                              ;   in Loop: Header=BB102_3 Depth=1
	ds_load_b32 v29, v3 offset:12480
	s_wait_dscnt 0x0
	v_mul_f32_e32 v28, v28, v29
	s_delay_alu instid0(VALU_DEP_1)
	v_xor_b32_e32 v29, 0x80000000, v28
	ds_store_b32 v44, v29
.LBB102_167:                            ;   in Loop: Header=BB102_3 Depth=1
	s_or_b32 exec_lo, exec_lo, s45
	s_wait_dscnt 0x0
	s_barrier_signal -1
	s_barrier_wait -1
	s_barrier_signal -1
	s_barrier_wait -1
	s_and_saveexec_b32 s45, s5
; %bb.168:                              ;   in Loop: Header=BB102_3 Depth=1
	ds_store_b32 v47, v28 offset:16320
; %bb.169:                              ;   in Loop: Header=BB102_3 Depth=1
	s_or_b32 exec_lo, exec_lo, s45
	s_wait_dscnt 0x0
	s_barrier_signal -1
	s_barrier_wait -1
	s_barrier_signal -1
	s_barrier_wait -1
	s_and_saveexec_b32 s45, s44
	s_cbranch_execz .LBB102_171
; %bb.170:                              ;   in Loop: Header=BB102_3 Depth=1
	ds_load_b32 v28, v56 offset:14528
	s_wait_dscnt 0x0
	ds_store_b32 v57, v28 offset:12512
	ds_load_b32 v28, v56 offset:14532
	s_wait_dscnt 0x0
	ds_store_b32 v57, v28 offset:12768
	;; [unrolled: 3-line block ×8, first 2 shown]
.LBB102_171:                            ;   in Loop: Header=BB102_3 Depth=1
	s_or_b32 exec_lo, exec_lo, s45
	s_wait_dscnt 0x0
	s_barrier_signal -1
	s_barrier_wait -1
	s_and_saveexec_b32 s45, s15
	s_cbranch_execz .LBB102_173
; %bb.172:                              ;   in Loop: Header=BB102_3 Depth=1
	ds_load_b64 v[28:29], v3 offset:14296
	ds_load_b32 v30, v3 offset:14040
	s_wait_dscnt 0x0
	v_mul_f32_e32 v29, v30, v29
	s_delay_alu instid0(VALU_DEP_1)
	v_mul_f32_e32 v28, v28, v29
	v_add_nc_u32_e64 v29, 0x3400, 0
	ds_store_2addr_b32 v29, v28, v28 offset0:183 offset1:246
.LBB102_173:                            ;   in Loop: Header=BB102_3 Depth=1
	s_or_b32 exec_lo, exec_lo, s45
	v_mov_b32_e32 v28, 0
	s_wait_dscnt 0x0
	s_barrier_signal -1
	s_barrier_wait -1
	global_wb scope:SCOPE_DEV
	s_wait_storecnt 0x0
	global_inv scope:SCOPE_DEV
	s_and_saveexec_b32 s45, s2
	s_cbranch_execz .LBB102_177
; %bb.174:                              ;   in Loop: Header=BB102_3 Depth=1
	ds_load_b32 v28, v35 offset:14032
	ds_load_b32 v29, v34 offset:14296
	s_wait_dscnt 0x0
	v_fma_f32 v28, v28, v29, 0
	s_and_saveexec_b32 s46, s16
	s_cbranch_execz .LBB102_176
; %bb.175:                              ;   in Loop: Header=BB102_3 Depth=1
	ds_load_b32 v29, v57 offset:14288
	ds_load_b32 v30, v3 offset:14300
	s_wait_dscnt 0x0
	v_fmac_f32_e32 v28, v29, v30
.LBB102_176:                            ;   in Loop: Header=BB102_3 Depth=1
	s_or_b32 exec_lo, exec_lo, s46
.LBB102_177:                            ;   in Loop: Header=BB102_3 Depth=1
	s_delay_alu instid0(SALU_CYCLE_1)
	s_or_b32 exec_lo, exec_lo, s45
	s_and_saveexec_b32 s45, s90
	s_cbranch_execz .LBB102_179
; %bb.178:                              ;   in Loop: Header=BB102_3 Depth=1
	ds_load_b32 v29, v3 offset:13780
	s_wait_dscnt 0x0
	v_mul_f32_e32 v28, v28, v29
	s_delay_alu instid0(VALU_DEP_1)
	v_xor_b32_e32 v29, 0x80000000, v28
	ds_store_b32 v5, v29
.LBB102_179:                            ;   in Loop: Header=BB102_3 Depth=1
	s_or_b32 exec_lo, exec_lo, s45
	s_wait_loadcnt_dscnt 0x0
	s_barrier_signal -1
	s_barrier_wait -1
	s_and_saveexec_b32 s45, s91
	s_cbranch_execz .LBB102_181
; %bb.180:                              ;   in Loop: Header=BB102_3 Depth=1
	ds_load_b32 v29, v3 offset:13776
	ds_load_b32 v30, v5
	s_wait_dscnt 0x0
	v_fma_f32 v28, -v29, v30, v28
.LBB102_181:                            ;   in Loop: Header=BB102_3 Depth=1
	s_or_b32 exec_lo, exec_lo, s45
	s_barrier_signal -1
	s_barrier_wait -1
	s_and_saveexec_b32 s45, s91
	s_cbranch_execz .LBB102_183
; %bb.182:                              ;   in Loop: Header=BB102_3 Depth=1
	ds_load_b32 v29, v3 offset:13520
	s_wait_dscnt 0x0
	v_mul_f32_e32 v28, v28, v29
	s_delay_alu instid0(VALU_DEP_1)
	v_xor_b32_e32 v29, 0x80000000, v28
	ds_store_b32 v5, v29
.LBB102_183:                            ;   in Loop: Header=BB102_3 Depth=1
	s_or_b32 exec_lo, exec_lo, s45
	s_wait_dscnt 0x0
	s_barrier_signal -1
	s_barrier_wait -1
	s_barrier_signal -1
	s_barrier_wait -1
	s_and_saveexec_b32 s45, s2
; %bb.184:                              ;   in Loop: Header=BB102_3 Depth=1
	ds_store_b32 v37, v28 offset:14288
; %bb.185:                              ;   in Loop: Header=BB102_3 Depth=1
	s_or_b32 exec_lo, exec_lo, s45
	s_wait_dscnt 0x0
	s_barrier_signal -1
	s_barrier_wait -1
	s_barrier_signal -1
	s_barrier_wait -1
	s_and_saveexec_b32 s45, s92
	s_cbranch_execz .LBB102_187
; %bb.186:                              ;   in Loop: Header=BB102_3 Depth=1
	ds_load_b32 v28, v58 offset:14032
	s_wait_dscnt 0x0
	ds_store_b32 v57, v28 offset:13528
	ds_load_b32 v28, v58 offset:14036
	s_wait_dscnt 0x0
	ds_store_b32 v57, v28 offset:13784
.LBB102_187:                            ;   in Loop: Header=BB102_3 Depth=1
	s_or_b32 exec_lo, exec_lo, s45
	s_wait_dscnt 0x0
	s_barrier_signal -1
	s_barrier_wait -1
	s_and_saveexec_b32 s45, s15
	s_cbranch_execz .LBB102_189
; %bb.188:                              ;   in Loop: Header=BB102_3 Depth=1
	ds_load_b64 v[28:29], v3 offset:13776
	ds_load_b32 v30, v3 offset:13520
	s_wait_dscnt 0x0
	v_mul_f32_e32 v29, v30, v29
	s_delay_alu instid0(VALU_DEP_1)
	v_mul_f32_e32 v28, v28, v29
	v_add_nc_u32_e64 v29, 0x3400, 0
	ds_store_2addr_b32 v29, v28, v28 offset0:53 offset1:116
.LBB102_189:                            ;   in Loop: Header=BB102_3 Depth=1
	s_or_b32 exec_lo, exec_lo, s45
	v_mov_b32_e32 v28, 0
	s_wait_dscnt 0x0
	s_barrier_signal -1
	s_barrier_wait -1
	global_wb scope:SCOPE_DEV
	s_wait_storecnt 0x0
	global_inv scope:SCOPE_DEV
	s_and_saveexec_b32 s65, s4
	s_cbranch_execz .LBB102_195
; %bb.190:                              ;   in Loop: Header=BB102_3 Depth=1
	ds_load_b32 v28, v41 offset:13504
	ds_load_b32 v29, v40 offset:14288
	s_wait_dscnt 0x0
	v_fma_f32 v28, v28, v29, 0
	s_and_saveexec_b32 s45, s17
	s_cbranch_execnz .LBB102_1215
; %bb.191:                              ;   in Loop: Header=BB102_3 Depth=1
	s_or_b32 exec_lo, exec_lo, s45
	s_and_saveexec_b32 s45, s18
	s_cbranch_execnz .LBB102_1216
.LBB102_192:                            ;   in Loop: Header=BB102_3 Depth=1
	s_or_b32 exec_lo, exec_lo, s45
	s_and_saveexec_b32 s45, s2
	s_cbranch_execz .LBB102_194
.LBB102_193:                            ;   in Loop: Header=BB102_3 Depth=1
	ds_load_b32 v29, v59 offset:14272
	ds_load_b32 v30, v3 offset:14300
	s_wait_dscnt 0x0
	v_fmac_f32_e32 v28, v29, v30
.LBB102_194:                            ;   in Loop: Header=BB102_3 Depth=1
	s_or_b32 exec_lo, exec_lo, s45
.LBB102_195:                            ;   in Loop: Header=BB102_3 Depth=1
	s_delay_alu instid0(SALU_CYCLE_1)
	s_or_b32 exec_lo, exec_lo, s65
	s_and_saveexec_b32 s45, s93
	s_cbranch_execz .LBB102_197
; %bb.196:                              ;   in Loop: Header=BB102_3 Depth=1
	ds_load_b32 v29, v3 offset:13260
	s_wait_dscnt 0x0
	v_mul_f32_e32 v28, v28, v29
	s_delay_alu instid0(VALU_DEP_1)
	v_xor_b32_e32 v29, 0x80000000, v28
	ds_store_b32 v39, v29
.LBB102_197:                            ;   in Loop: Header=BB102_3 Depth=1
	s_or_b32 exec_lo, exec_lo, s45
	s_wait_loadcnt_dscnt 0x0
	s_barrier_signal -1
	s_barrier_wait -1
	s_and_saveexec_b32 s45, s94
	s_cbranch_execz .LBB102_199
; %bb.198:                              ;   in Loop: Header=BB102_3 Depth=1
	ds_load_b32 v29, v41 offset:13248
	ds_load_b32 v30, v39
	s_wait_dscnt 0x0
	v_fma_f32 v28, -v29, v30, v28
.LBB102_199:                            ;   in Loop: Header=BB102_3 Depth=1
	s_or_b32 exec_lo, exec_lo, s45
	s_barrier_signal -1
	s_barrier_wait -1
	s_and_saveexec_b32 s45, s95
	s_cbranch_execz .LBB102_201
; %bb.200:                              ;   in Loop: Header=BB102_3 Depth=1
	ds_load_b32 v29, v3 offset:13000
	s_wait_dscnt 0x0
	v_mul_f32_e32 v28, v28, v29
	s_delay_alu instid0(VALU_DEP_1)
	v_xor_b32_e32 v29, 0x80000000, v28
	ds_store_b32 v39, v29
.LBB102_201:                            ;   in Loop: Header=BB102_3 Depth=1
	s_or_b32 exec_lo, exec_lo, s45
	s_wait_dscnt 0x0
	s_barrier_signal -1
	s_barrier_wait -1
	s_and_saveexec_b32 s45, s96
	s_cbranch_execz .LBB102_203
; %bb.202:                              ;   in Loop: Header=BB102_3 Depth=1
	ds_load_b32 v29, v41 offset:12992
	ds_load_b32 v30, v39
	s_wait_dscnt 0x0
	v_fma_f32 v28, -v29, v30, v28
.LBB102_203:                            ;   in Loop: Header=BB102_3 Depth=1
	s_or_b32 exec_lo, exec_lo, s45
	s_barrier_signal -1
	s_barrier_wait -1
	s_and_saveexec_b32 s45, s97
	s_cbranch_execz .LBB102_205
; %bb.204:                              ;   in Loop: Header=BB102_3 Depth=1
	ds_load_b32 v29, v3 offset:12740
	s_wait_dscnt 0x0
	v_mul_f32_e32 v28, v28, v29
	s_delay_alu instid0(VALU_DEP_1)
	v_xor_b32_e32 v29, 0x80000000, v28
	ds_store_b32 v39, v29
.LBB102_205:                            ;   in Loop: Header=BB102_3 Depth=1
	s_or_b32 exec_lo, exec_lo, s45
	s_wait_dscnt 0x0
	;; [unrolled: 25-line block ×3, first 2 shown]
	s_barrier_signal -1
	s_barrier_wait -1
	s_barrier_signal -1
	s_barrier_wait -1
	s_and_saveexec_b32 s45, s4
; %bb.210:                              ;   in Loop: Header=BB102_3 Depth=1
	ds_store_b32 v43, v28 offset:14272
; %bb.211:                              ;   in Loop: Header=BB102_3 Depth=1
	s_or_b32 exec_lo, exec_lo, s45
	s_wait_dscnt 0x0
	s_barrier_signal -1
	s_barrier_wait -1
	s_barrier_signal -1
	s_barrier_wait -1
	s_and_saveexec_b32 s45, s99
	s_cbranch_execz .LBB102_213
; %bb.212:                              ;   in Loop: Header=BB102_3 Depth=1
	ds_load_b32 v28, v60 offset:13504
	s_wait_dscnt 0x0
	ds_store_b32 v61, v28 offset:12496
	ds_load_b32 v28, v60 offset:13508
	s_wait_dscnt 0x0
	ds_store_b32 v61, v28 offset:12752
	;; [unrolled: 3-line block ×4, first 2 shown]
.LBB102_213:                            ;   in Loop: Header=BB102_3 Depth=1
	s_or_b32 exec_lo, exec_lo, s45
	s_wait_dscnt 0x0
	s_barrier_signal -1
	s_barrier_wait -1
	s_and_saveexec_b32 s45, s15
	s_cbranch_execz .LBB102_215
; %bb.214:                              ;   in Loop: Header=BB102_3 Depth=1
	ds_load_b64 v[28:29], v3 offset:13256
	ds_load_b32 v30, v3 offset:13000
	s_wait_dscnt 0x0
	v_mul_f32_e32 v29, v30, v29
	s_delay_alu instid0(VALU_DEP_1)
	v_mul_f32_e32 v28, v28, v29
	v_add_nc_u32_e64 v29, 0x3000, 0
	ds_store_2addr_b32 v29, v28, v28 offset0:179 offset1:242
.LBB102_215:                            ;   in Loop: Header=BB102_3 Depth=1
	s_or_b32 exec_lo, exec_lo, s45
	v_mov_b32_e32 v28, 0
	s_wait_dscnt 0x0
	s_barrier_signal -1
	s_barrier_wait -1
	global_wb scope:SCOPE_DEV
	s_wait_storecnt 0x0
	global_inv scope:SCOPE_DEV
	s_and_saveexec_b32 s45, s2
	s_cbranch_execz .LBB102_219
; %bb.216:                              ;   in Loop: Header=BB102_3 Depth=1
	ds_load_b32 v28, v35 offset:12992
	ds_load_b32 v29, v34 offset:13256
	s_wait_dscnt 0x0
	v_fma_f32 v28, v28, v29, 0
	s_and_saveexec_b32 s46, s16
	s_cbranch_execz .LBB102_218
; %bb.217:                              ;   in Loop: Header=BB102_3 Depth=1
	ds_load_b32 v29, v61 offset:13248
	ds_load_b32 v30, v3 offset:13260
	s_wait_dscnt 0x0
	v_fmac_f32_e32 v28, v29, v30
.LBB102_218:                            ;   in Loop: Header=BB102_3 Depth=1
	s_or_b32 exec_lo, exec_lo, s46
.LBB102_219:                            ;   in Loop: Header=BB102_3 Depth=1
	s_delay_alu instid0(SALU_CYCLE_1)
	s_or_b32 exec_lo, exec_lo, s45
	s_and_saveexec_b32 s45, s90
	s_cbranch_execz .LBB102_221
; %bb.220:                              ;   in Loop: Header=BB102_3 Depth=1
	ds_load_b32 v29, v3 offset:12740
	s_wait_dscnt 0x0
	v_mul_f32_e32 v28, v28, v29
	s_delay_alu instid0(VALU_DEP_1)
	v_xor_b32_e32 v29, 0x80000000, v28
	ds_store_b32 v5, v29
.LBB102_221:                            ;   in Loop: Header=BB102_3 Depth=1
	s_or_b32 exec_lo, exec_lo, s45
	s_wait_loadcnt_dscnt 0x0
	s_barrier_signal -1
	s_barrier_wait -1
	s_and_saveexec_b32 s45, s91
	s_cbranch_execz .LBB102_223
; %bb.222:                              ;   in Loop: Header=BB102_3 Depth=1
	ds_load_b32 v29, v3 offset:12736
	ds_load_b32 v30, v5
	s_wait_dscnt 0x0
	v_fma_f32 v28, -v29, v30, v28
.LBB102_223:                            ;   in Loop: Header=BB102_3 Depth=1
	s_or_b32 exec_lo, exec_lo, s45
	s_barrier_signal -1
	s_barrier_wait -1
	s_and_saveexec_b32 s45, s91
	s_cbranch_execz .LBB102_225
; %bb.224:                              ;   in Loop: Header=BB102_3 Depth=1
	ds_load_b32 v29, v3 offset:12480
	s_wait_dscnt 0x0
	v_mul_f32_e32 v28, v28, v29
	s_delay_alu instid0(VALU_DEP_1)
	v_xor_b32_e32 v29, 0x80000000, v28
	ds_store_b32 v5, v29
.LBB102_225:                            ;   in Loop: Header=BB102_3 Depth=1
	s_or_b32 exec_lo, exec_lo, s45
	s_wait_dscnt 0x0
	s_barrier_signal -1
	s_barrier_wait -1
	s_barrier_signal -1
	s_barrier_wait -1
	s_and_saveexec_b32 s45, s2
; %bb.226:                              ;   in Loop: Header=BB102_3 Depth=1
	ds_store_b32 v37, v28 offset:13248
; %bb.227:                              ;   in Loop: Header=BB102_3 Depth=1
	s_or_b32 exec_lo, exec_lo, s45
	s_wait_dscnt 0x0
	s_barrier_signal -1
	s_barrier_wait -1
	s_barrier_signal -1
	s_barrier_wait -1
	s_and_saveexec_b32 s45, s92
	s_cbranch_execz .LBB102_229
; %bb.228:                              ;   in Loop: Header=BB102_3 Depth=1
	ds_load_b32 v28, v62 offset:12992
	s_wait_dscnt 0x0
	ds_store_b32 v61, v28 offset:12488
	ds_load_b32 v28, v62 offset:12996
	s_wait_dscnt 0x0
	ds_store_b32 v61, v28 offset:12744
.LBB102_229:                            ;   in Loop: Header=BB102_3 Depth=1
	s_or_b32 exec_lo, exec_lo, s45
	s_wait_dscnt 0x0
	s_barrier_signal -1
	s_barrier_wait -1
	s_and_saveexec_b32 s45, s15
	s_cbranch_execz .LBB102_231
; %bb.230:                              ;   in Loop: Header=BB102_3 Depth=1
	ds_load_b64 v[28:29], v3 offset:12736
	ds_load_b32 v30, v3 offset:12480
	s_wait_dscnt 0x0
	v_mul_f32_e32 v29, v30, v29
	s_delay_alu instid0(VALU_DEP_1)
	v_mul_f32_e32 v28, v28, v29
	v_add_nc_u32_e64 v29, 0x3000, 0
	ds_store_2addr_b32 v29, v28, v28 offset0:49 offset1:112
.LBB102_231:                            ;   in Loop: Header=BB102_3 Depth=1
	s_or_b32 exec_lo, exec_lo, s45
	v_mov_b32_e32 v28, 0
	s_wait_dscnt 0x0
	s_barrier_signal -1
	s_barrier_wait -1
	global_wb scope:SCOPE_DEV
	s_wait_storecnt 0x0
	global_inv scope:SCOPE_DEV
	s_and_saveexec_b32 s65, s6
	s_cbranch_execz .LBB102_259
; %bb.232:                              ;   in Loop: Header=BB102_3 Depth=1
	ds_load_b32 v28, v50 offset:12416
	ds_load_b32 v29, v49 offset:16320
	s_wait_dscnt 0x0
	v_fma_f32 v28, v28, v29, 0
	s_mov_b32 s45, exec_lo
	v_readlane_b32 s46, v87, 20
	s_and_b32 s46, s45, s46
	s_delay_alu instid0(SALU_CYCLE_1)
	s_mov_b32 exec_lo, s46
	s_cbranch_execz .LBB102_234
; %bb.233:                              ;   in Loop: Header=BB102_3 Depth=1
	ds_load_b32 v29, v50 offset:12672
	ds_load_b32 v30, v49 offset:16324
	s_wait_dscnt 0x0
	v_fmac_f32_e32 v28, v29, v30
.LBB102_234:                            ;   in Loop: Header=BB102_3 Depth=1
	s_or_b32 exec_lo, exec_lo, s45
	s_delay_alu instid0(SALU_CYCLE_1) | instskip(SKIP_2) | instid1(SALU_CYCLE_1)
	s_mov_b32 s45, exec_lo
	v_readlane_b32 s46, v87, 21
	s_and_b32 s46, s45, s46
	s_mov_b32 exec_lo, s46
	s_cbranch_execz .LBB102_236
; %bb.235:                              ;   in Loop: Header=BB102_3 Depth=1
	ds_load_b32 v29, v50 offset:12928
	ds_load_b32 v30, v49 offset:16328
	s_wait_dscnt 0x0
	v_fmac_f32_e32 v28, v29, v30
.LBB102_236:                            ;   in Loop: Header=BB102_3 Depth=1
	s_or_b32 exec_lo, exec_lo, s45
	s_delay_alu instid0(SALU_CYCLE_1) | instskip(SKIP_2) | instid1(SALU_CYCLE_1)
	s_mov_b32 s45, exec_lo
	v_readlane_b32 s46, v87, 22
	s_and_b32 s46, s45, s46
	;; [unrolled: 13-line block ×10, first 2 shown]
	s_mov_b32 exec_lo, s46
	s_cbranch_execnz .LBB102_1217
; %bb.253:                              ;   in Loop: Header=BB102_3 Depth=1
	s_or_b32 exec_lo, exec_lo, s45
	s_and_saveexec_b32 s45, s5
	s_cbranch_execnz .LBB102_1218
.LBB102_254:                            ;   in Loop: Header=BB102_3 Depth=1
	s_or_b32 exec_lo, exec_lo, s45
	s_and_saveexec_b32 s45, s20
	s_cbranch_execnz .LBB102_1219
.LBB102_255:                            ;   in Loop: Header=BB102_3 Depth=1
	s_or_b32 exec_lo, exec_lo, s45
	s_and_saveexec_b32 s45, s22
	s_cbranch_execnz .LBB102_1220
.LBB102_256:                            ;   in Loop: Header=BB102_3 Depth=1
	s_or_b32 exec_lo, exec_lo, s45
	s_and_saveexec_b32 s45, s4
	s_cbranch_execz .LBB102_258
.LBB102_257:                            ;   in Loop: Header=BB102_3 Depth=1
	ds_load_b32 v29, v36 offset:16256
	ds_load_b32 v30, v3 offset:16380
	s_wait_dscnt 0x0
	v_fmac_f32_e32 v28, v29, v30
.LBB102_258:                            ;   in Loop: Header=BB102_3 Depth=1
	s_or_b32 exec_lo, exec_lo, s45
.LBB102_259:                            ;   in Loop: Header=BB102_3 Depth=1
	s_delay_alu instid0(SALU_CYCLE_1) | instskip(NEXT) | instid1(SALU_CYCLE_1)
	s_or_b32 exec_lo, exec_lo, s65
	s_mov_b32 s45, exec_lo
	v_readlane_b32 s46, v89, 2
	s_and_b32 s46, s45, s46
	s_delay_alu instid0(SALU_CYCLE_1)
	s_mov_b32 exec_lo, s46
	s_cbranch_execz .LBB102_261
; %bb.260:                              ;   in Loop: Header=BB102_3 Depth=1
	ds_load_b32 v29, v3 offset:12220
	s_wait_dscnt 0x0
	v_mul_f32_e32 v28, v28, v29
	s_delay_alu instid0(VALU_DEP_1)
	v_xor_b32_e32 v29, 0x80000000, v28
	ds_store_b32 v48, v29
.LBB102_261:                            ;   in Loop: Header=BB102_3 Depth=1
	s_or_b32 exec_lo, exec_lo, s45
	s_wait_loadcnt_dscnt 0x0
	s_barrier_signal -1
	s_barrier_wait -1
	s_mov_b32 s45, exec_lo
	v_readlane_b32 s46, v89, 3
	s_and_b32 s46, s45, s46
	s_delay_alu instid0(SALU_CYCLE_1)
	s_mov_b32 exec_lo, s46
	s_cbranch_execz .LBB102_263
; %bb.262:                              ;   in Loop: Header=BB102_3 Depth=1
	ds_load_b32 v29, v50 offset:12160
	ds_load_b32 v30, v48
	s_wait_dscnt 0x0
	v_fma_f32 v28, -v29, v30, v28
.LBB102_263:                            ;   in Loop: Header=BB102_3 Depth=1
	s_or_b32 exec_lo, exec_lo, s45
	s_barrier_signal -1
	s_barrier_wait -1
	s_and_saveexec_b32 s45, s47
	s_cbranch_execz .LBB102_265
; %bb.264:                              ;   in Loop: Header=BB102_3 Depth=1
	ds_load_b32 v29, v3 offset:11960
	s_wait_dscnt 0x0
	v_mul_f32_e32 v28, v28, v29
	s_delay_alu instid0(VALU_DEP_1)
	v_xor_b32_e32 v29, 0x80000000, v28
	ds_store_b32 v48, v29
.LBB102_265:                            ;   in Loop: Header=BB102_3 Depth=1
	s_or_b32 exec_lo, exec_lo, s45
	s_wait_dscnt 0x0
	s_barrier_signal -1
	s_barrier_wait -1
	s_and_saveexec_b32 s45, s48
	s_cbranch_execz .LBB102_267
; %bb.266:                              ;   in Loop: Header=BB102_3 Depth=1
	ds_load_b32 v29, v50 offset:11904
	ds_load_b32 v30, v48
	s_wait_dscnt 0x0
	v_fma_f32 v28, -v29, v30, v28
.LBB102_267:                            ;   in Loop: Header=BB102_3 Depth=1
	s_or_b32 exec_lo, exec_lo, s45
	s_barrier_signal -1
	s_barrier_wait -1
	s_and_saveexec_b32 s45, s49
	s_cbranch_execz .LBB102_269
; %bb.268:                              ;   in Loop: Header=BB102_3 Depth=1
	ds_load_b32 v29, v3 offset:11700
	s_wait_dscnt 0x0
	v_mul_f32_e32 v28, v28, v29
	s_delay_alu instid0(VALU_DEP_1)
	v_xor_b32_e32 v29, 0x80000000, v28
	ds_store_b32 v48, v29
.LBB102_269:                            ;   in Loop: Header=BB102_3 Depth=1
	s_or_b32 exec_lo, exec_lo, s45
	s_wait_dscnt 0x0
	s_barrier_signal -1
	s_barrier_wait -1
	s_and_saveexec_b32 s45, s50
	;; [unrolled: 25-line block ×14, first 2 shown]
	s_cbranch_execz .LBB102_319
; %bb.318:                              ;   in Loop: Header=BB102_3 Depth=1
	ds_load_b32 v29, v3 offset:8576
	ds_load_b32 v30, v48
	s_wait_dscnt 0x0
	v_fma_f32 v28, -v29, v30, v28
.LBB102_319:                            ;   in Loop: Header=BB102_3 Depth=1
	s_or_b32 exec_lo, exec_lo, s45
	s_barrier_signal -1
	s_barrier_wait -1
	s_and_saveexec_b32 s45, s34
	s_cbranch_execz .LBB102_321
; %bb.320:                              ;   in Loop: Header=BB102_3 Depth=1
	ds_load_b32 v29, v3 offset:8320
	s_wait_dscnt 0x0
	v_mul_f32_e32 v28, v28, v29
	s_delay_alu instid0(VALU_DEP_1)
	v_xor_b32_e32 v29, 0x80000000, v28
	ds_store_b32 v48, v29
.LBB102_321:                            ;   in Loop: Header=BB102_3 Depth=1
	s_or_b32 exec_lo, exec_lo, s45
	s_wait_dscnt 0x0
	s_barrier_signal -1
	s_barrier_wait -1
	s_barrier_signal -1
	s_barrier_wait -1
	s_and_saveexec_b32 s45, s6
; %bb.322:                              ;   in Loop: Header=BB102_3 Depth=1
	ds_store_b32 v51, v28 offset:16256
; %bb.323:                              ;   in Loop: Header=BB102_3 Depth=1
	s_or_b32 exec_lo, exec_lo, s45
	s_wait_dscnt 0x0
	s_barrier_signal -1
	s_barrier_wait -1
	s_barrier_signal -1
	s_barrier_wait -1
	s_and_saveexec_b32 s65, s84
	s_cbranch_execz .LBB102_325
; %bb.324:                              ;   in Loop: Header=BB102_3 Depth=1
	ds_load_b32 v28, v38 offset:12416
	s_wait_dscnt 0x0
	ds_store_b32 v42, v28 offset:8384
	ds_load_b32 v28, v38 offset:12420
	s_wait_dscnt 0x0
	ds_store_b32 v42, v28 offset:8640
	;; [unrolled: 3-line block ×16, first 2 shown]
.LBB102_325:                            ;   in Loop: Header=BB102_3 Depth=1
	s_or_b32 exec_lo, exec_lo, s65
	s_wait_dscnt 0x0
	s_barrier_signal -1
	s_barrier_wait -1
	s_and_saveexec_b32 s45, s15
	s_cbranch_execz .LBB102_327
; %bb.326:                              ;   in Loop: Header=BB102_3 Depth=1
	ds_load_b64 v[28:29], v3 offset:12216
	ds_load_b32 v30, v3 offset:11960
	s_wait_dscnt 0x0
	v_mul_f32_e32 v29, v30, v29
	s_delay_alu instid0(VALU_DEP_1)
	v_mul_f32_e32 v28, v28, v29
	v_add_nc_u32_e64 v29, 0x2c00, 0
	ds_store_2addr_b32 v29, v28, v28 offset0:175 offset1:238
.LBB102_327:                            ;   in Loop: Header=BB102_3 Depth=1
	s_or_b32 exec_lo, exec_lo, s45
	v_mov_b32_e32 v28, 0
	s_wait_dscnt 0x0
	s_barrier_signal -1
	s_barrier_wait -1
	global_wb scope:SCOPE_DEV
	s_wait_storecnt 0x0
	global_inv scope:SCOPE_DEV
	s_and_saveexec_b32 s45, s2
	s_cbranch_execz .LBB102_331
; %bb.328:                              ;   in Loop: Header=BB102_3 Depth=1
	ds_load_b32 v28, v35 offset:11952
	ds_load_b32 v29, v34 offset:12216
	s_wait_dscnt 0x0
	v_fma_f32 v28, v28, v29, 0
	s_and_saveexec_b32 s46, s16
	s_cbranch_execz .LBB102_330
; %bb.329:                              ;   in Loop: Header=BB102_3 Depth=1
	ds_load_b32 v29, v36 offset:12208
	ds_load_b32 v30, v3 offset:12220
	s_wait_dscnt 0x0
	v_fmac_f32_e32 v28, v29, v30
.LBB102_330:                            ;   in Loop: Header=BB102_3 Depth=1
	s_or_b32 exec_lo, exec_lo, s46
.LBB102_331:                            ;   in Loop: Header=BB102_3 Depth=1
	s_delay_alu instid0(SALU_CYCLE_1)
	s_or_b32 exec_lo, exec_lo, s45
	s_and_saveexec_b32 s45, s90
	s_cbranch_execz .LBB102_333
; %bb.332:                              ;   in Loop: Header=BB102_3 Depth=1
	ds_load_b32 v29, v3 offset:11700
	s_wait_dscnt 0x0
	v_mul_f32_e32 v28, v28, v29
	s_delay_alu instid0(VALU_DEP_1)
	v_xor_b32_e32 v29, 0x80000000, v28
	ds_store_b32 v5, v29
.LBB102_333:                            ;   in Loop: Header=BB102_3 Depth=1
	s_or_b32 exec_lo, exec_lo, s45
	s_wait_loadcnt_dscnt 0x0
	s_barrier_signal -1
	s_barrier_wait -1
	s_and_saveexec_b32 s45, s91
	s_cbranch_execz .LBB102_335
; %bb.334:                              ;   in Loop: Header=BB102_3 Depth=1
	ds_load_b32 v29, v3 offset:11696
	ds_load_b32 v30, v5
	s_wait_dscnt 0x0
	v_fma_f32 v28, -v29, v30, v28
.LBB102_335:                            ;   in Loop: Header=BB102_3 Depth=1
	s_or_b32 exec_lo, exec_lo, s45
	s_barrier_signal -1
	s_barrier_wait -1
	s_and_saveexec_b32 s45, s91
	s_cbranch_execz .LBB102_337
; %bb.336:                              ;   in Loop: Header=BB102_3 Depth=1
	ds_load_b32 v29, v3 offset:11440
	s_wait_dscnt 0x0
	v_mul_f32_e32 v28, v28, v29
	s_delay_alu instid0(VALU_DEP_1)
	v_xor_b32_e32 v29, 0x80000000, v28
	ds_store_b32 v5, v29
.LBB102_337:                            ;   in Loop: Header=BB102_3 Depth=1
	s_or_b32 exec_lo, exec_lo, s45
	s_wait_dscnt 0x0
	s_barrier_signal -1
	s_barrier_wait -1
	s_barrier_signal -1
	s_barrier_wait -1
	s_and_saveexec_b32 s45, s2
; %bb.338:                              ;   in Loop: Header=BB102_3 Depth=1
	ds_store_b32 v37, v28 offset:12208
; %bb.339:                              ;   in Loop: Header=BB102_3 Depth=1
	s_or_b32 exec_lo, exec_lo, s45
	s_wait_dscnt 0x0
	s_barrier_signal -1
	s_barrier_wait -1
	s_barrier_signal -1
	s_barrier_wait -1
	s_and_saveexec_b32 s45, s92
	s_cbranch_execz .LBB102_341
; %bb.340:                              ;   in Loop: Header=BB102_3 Depth=1
	ds_load_b32 v28, v38 offset:11952
	s_wait_dscnt 0x0
	ds_store_b32 v36, v28 offset:11448
	ds_load_b32 v28, v38 offset:11956
	s_wait_dscnt 0x0
	ds_store_b32 v36, v28 offset:11704
.LBB102_341:                            ;   in Loop: Header=BB102_3 Depth=1
	s_or_b32 exec_lo, exec_lo, s45
	s_wait_dscnt 0x0
	s_barrier_signal -1
	s_barrier_wait -1
	s_and_saveexec_b32 s45, s15
	s_cbranch_execz .LBB102_343
; %bb.342:                              ;   in Loop: Header=BB102_3 Depth=1
	ds_load_b64 v[28:29], v3 offset:11696
	ds_load_b32 v30, v3 offset:11440
	s_wait_dscnt 0x0
	v_mul_f32_e32 v29, v30, v29
	s_delay_alu instid0(VALU_DEP_1)
	v_mul_f32_e32 v28, v28, v29
	v_add_nc_u32_e64 v29, 0x2c00, 0
	ds_store_2addr_b32 v29, v28, v28 offset0:45 offset1:108
.LBB102_343:                            ;   in Loop: Header=BB102_3 Depth=1
	s_or_b32 exec_lo, exec_lo, s45
	v_mov_b32_e32 v28, 0
	s_wait_dscnt 0x0
	s_barrier_signal -1
	s_barrier_wait -1
	global_wb scope:SCOPE_DEV
	s_wait_storecnt 0x0
	global_inv scope:SCOPE_DEV
	s_and_saveexec_b32 s65, s4
	s_cbranch_execz .LBB102_349
; %bb.344:                              ;   in Loop: Header=BB102_3 Depth=1
	ds_load_b32 v28, v41 offset:11424
	ds_load_b32 v29, v40 offset:12208
	s_wait_dscnt 0x0
	v_fma_f32 v28, v28, v29, 0
	s_and_saveexec_b32 s45, s17
	s_cbranch_execnz .LBB102_1221
; %bb.345:                              ;   in Loop: Header=BB102_3 Depth=1
	s_or_b32 exec_lo, exec_lo, s45
	s_and_saveexec_b32 s45, s18
	s_cbranch_execnz .LBB102_1222
.LBB102_346:                            ;   in Loop: Header=BB102_3 Depth=1
	s_or_b32 exec_lo, exec_lo, s45
	s_and_saveexec_b32 s45, s2
	s_cbranch_execz .LBB102_348
.LBB102_347:                            ;   in Loop: Header=BB102_3 Depth=1
	ds_load_b32 v29, v42 offset:12192
	ds_load_b32 v30, v3 offset:12220
	s_wait_dscnt 0x0
	v_fmac_f32_e32 v28, v29, v30
.LBB102_348:                            ;   in Loop: Header=BB102_3 Depth=1
	s_or_b32 exec_lo, exec_lo, s45
.LBB102_349:                            ;   in Loop: Header=BB102_3 Depth=1
	s_delay_alu instid0(SALU_CYCLE_1)
	s_or_b32 exec_lo, exec_lo, s65
	s_and_saveexec_b32 s45, s93
	s_cbranch_execz .LBB102_351
; %bb.350:                              ;   in Loop: Header=BB102_3 Depth=1
	ds_load_b32 v29, v3 offset:11180
	s_wait_dscnt 0x0
	v_mul_f32_e32 v28, v28, v29
	s_delay_alu instid0(VALU_DEP_1)
	v_xor_b32_e32 v29, 0x80000000, v28
	ds_store_b32 v39, v29
.LBB102_351:                            ;   in Loop: Header=BB102_3 Depth=1
	s_or_b32 exec_lo, exec_lo, s45
	s_wait_loadcnt_dscnt 0x0
	s_barrier_signal -1
	s_barrier_wait -1
	s_and_saveexec_b32 s45, s94
	s_cbranch_execz .LBB102_353
; %bb.352:                              ;   in Loop: Header=BB102_3 Depth=1
	ds_load_b32 v29, v41 offset:11168
	ds_load_b32 v30, v39
	s_wait_dscnt 0x0
	v_fma_f32 v28, -v29, v30, v28
.LBB102_353:                            ;   in Loop: Header=BB102_3 Depth=1
	s_or_b32 exec_lo, exec_lo, s45
	s_barrier_signal -1
	s_barrier_wait -1
	s_and_saveexec_b32 s45, s95
	s_cbranch_execz .LBB102_355
; %bb.354:                              ;   in Loop: Header=BB102_3 Depth=1
	ds_load_b32 v29, v3 offset:10920
	s_wait_dscnt 0x0
	v_mul_f32_e32 v28, v28, v29
	s_delay_alu instid0(VALU_DEP_1)
	v_xor_b32_e32 v29, 0x80000000, v28
	ds_store_b32 v39, v29
.LBB102_355:                            ;   in Loop: Header=BB102_3 Depth=1
	s_or_b32 exec_lo, exec_lo, s45
	s_wait_dscnt 0x0
	s_barrier_signal -1
	s_barrier_wait -1
	s_and_saveexec_b32 s45, s96
	s_cbranch_execz .LBB102_357
; %bb.356:                              ;   in Loop: Header=BB102_3 Depth=1
	ds_load_b32 v29, v41 offset:10912
	ds_load_b32 v30, v39
	s_wait_dscnt 0x0
	v_fma_f32 v28, -v29, v30, v28
.LBB102_357:                            ;   in Loop: Header=BB102_3 Depth=1
	s_or_b32 exec_lo, exec_lo, s45
	s_barrier_signal -1
	s_barrier_wait -1
	s_and_saveexec_b32 s45, s97
	s_cbranch_execz .LBB102_359
; %bb.358:                              ;   in Loop: Header=BB102_3 Depth=1
	ds_load_b32 v29, v3 offset:10660
	s_wait_dscnt 0x0
	v_mul_f32_e32 v28, v28, v29
	s_delay_alu instid0(VALU_DEP_1)
	v_xor_b32_e32 v29, 0x80000000, v28
	ds_store_b32 v39, v29
.LBB102_359:                            ;   in Loop: Header=BB102_3 Depth=1
	s_or_b32 exec_lo, exec_lo, s45
	s_wait_dscnt 0x0
	;; [unrolled: 25-line block ×3, first 2 shown]
	s_barrier_signal -1
	s_barrier_wait -1
	s_barrier_signal -1
	s_barrier_wait -1
	s_and_saveexec_b32 s45, s4
; %bb.364:                              ;   in Loop: Header=BB102_3 Depth=1
	ds_store_b32 v43, v28 offset:12192
; %bb.365:                              ;   in Loop: Header=BB102_3 Depth=1
	s_or_b32 exec_lo, exec_lo, s45
	s_wait_dscnt 0x0
	s_barrier_signal -1
	s_barrier_wait -1
	s_barrier_signal -1
	s_barrier_wait -1
	s_and_saveexec_b32 s45, s99
	s_cbranch_execz .LBB102_367
; %bb.366:                              ;   in Loop: Header=BB102_3 Depth=1
	ds_load_b32 v28, v7 offset:11424
	s_wait_dscnt 0x0
	ds_store_b32 v53, v28 offset:10416
	ds_load_b32 v28, v7 offset:11428
	s_wait_dscnt 0x0
	ds_store_b32 v53, v28 offset:10672
	;; [unrolled: 3-line block ×4, first 2 shown]
.LBB102_367:                            ;   in Loop: Header=BB102_3 Depth=1
	s_or_b32 exec_lo, exec_lo, s45
	s_wait_dscnt 0x0
	s_barrier_signal -1
	s_barrier_wait -1
	s_and_saveexec_b32 s45, s15
	s_cbranch_execz .LBB102_369
; %bb.368:                              ;   in Loop: Header=BB102_3 Depth=1
	ds_load_b64 v[28:29], v3 offset:11176
	ds_load_b32 v30, v3 offset:10920
	s_wait_dscnt 0x0
	v_mul_f32_e32 v29, v30, v29
	s_delay_alu instid0(VALU_DEP_1)
	v_mul_f32_e32 v28, v28, v29
	v_add_nc_u32_e64 v29, 0x2800, 0
	ds_store_2addr_b32 v29, v28, v28 offset0:171 offset1:234
.LBB102_369:                            ;   in Loop: Header=BB102_3 Depth=1
	s_or_b32 exec_lo, exec_lo, s45
	v_mov_b32_e32 v28, 0
	s_wait_dscnt 0x0
	s_barrier_signal -1
	s_barrier_wait -1
	global_wb scope:SCOPE_DEV
	s_wait_storecnt 0x0
	global_inv scope:SCOPE_DEV
	s_and_saveexec_b32 s45, s2
	s_cbranch_execz .LBB102_373
; %bb.370:                              ;   in Loop: Header=BB102_3 Depth=1
	ds_load_b32 v28, v35 offset:10912
	ds_load_b32 v29, v34 offset:11176
	s_wait_dscnt 0x0
	v_fma_f32 v28, v28, v29, 0
	s_and_saveexec_b32 s46, s16
	s_cbranch_execz .LBB102_372
; %bb.371:                              ;   in Loop: Header=BB102_3 Depth=1
	ds_load_b32 v29, v53 offset:11168
	ds_load_b32 v30, v3 offset:11180
	s_wait_dscnt 0x0
	v_fmac_f32_e32 v28, v29, v30
.LBB102_372:                            ;   in Loop: Header=BB102_3 Depth=1
	s_or_b32 exec_lo, exec_lo, s46
.LBB102_373:                            ;   in Loop: Header=BB102_3 Depth=1
	s_delay_alu instid0(SALU_CYCLE_1)
	s_or_b32 exec_lo, exec_lo, s45
	s_and_saveexec_b32 s45, s90
	s_cbranch_execz .LBB102_375
; %bb.374:                              ;   in Loop: Header=BB102_3 Depth=1
	ds_load_b32 v29, v3 offset:10660
	s_wait_dscnt 0x0
	v_mul_f32_e32 v28, v28, v29
	s_delay_alu instid0(VALU_DEP_1)
	v_xor_b32_e32 v29, 0x80000000, v28
	ds_store_b32 v5, v29
.LBB102_375:                            ;   in Loop: Header=BB102_3 Depth=1
	s_or_b32 exec_lo, exec_lo, s45
	s_wait_loadcnt_dscnt 0x0
	s_barrier_signal -1
	s_barrier_wait -1
	s_and_saveexec_b32 s45, s91
	s_cbranch_execz .LBB102_377
; %bb.376:                              ;   in Loop: Header=BB102_3 Depth=1
	ds_load_b32 v29, v3 offset:10656
	ds_load_b32 v30, v5
	s_wait_dscnt 0x0
	v_fma_f32 v28, -v29, v30, v28
.LBB102_377:                            ;   in Loop: Header=BB102_3 Depth=1
	s_or_b32 exec_lo, exec_lo, s45
	s_barrier_signal -1
	s_barrier_wait -1
	s_and_saveexec_b32 s45, s91
	s_cbranch_execz .LBB102_379
; %bb.378:                              ;   in Loop: Header=BB102_3 Depth=1
	ds_load_b32 v29, v3 offset:10400
	s_wait_dscnt 0x0
	v_mul_f32_e32 v28, v28, v29
	s_delay_alu instid0(VALU_DEP_1)
	v_xor_b32_e32 v29, 0x80000000, v28
	ds_store_b32 v5, v29
.LBB102_379:                            ;   in Loop: Header=BB102_3 Depth=1
	s_or_b32 exec_lo, exec_lo, s45
	s_wait_dscnt 0x0
	s_barrier_signal -1
	s_barrier_wait -1
	s_barrier_signal -1
	s_barrier_wait -1
	s_and_saveexec_b32 s45, s2
; %bb.380:                              ;   in Loop: Header=BB102_3 Depth=1
	ds_store_b32 v37, v28 offset:11168
; %bb.381:                              ;   in Loop: Header=BB102_3 Depth=1
	s_or_b32 exec_lo, exec_lo, s45
	s_wait_dscnt 0x0
	s_barrier_signal -1
	s_barrier_wait -1
	s_barrier_signal -1
	s_barrier_wait -1
	s_and_saveexec_b32 s45, s92
	s_cbranch_execz .LBB102_383
; %bb.382:                              ;   in Loop: Header=BB102_3 Depth=1
	ds_load_b32 v28, v54 offset:10912
	s_wait_dscnt 0x0
	ds_store_b32 v53, v28 offset:10408
	ds_load_b32 v28, v54 offset:10916
	s_wait_dscnt 0x0
	ds_store_b32 v53, v28 offset:10664
.LBB102_383:                            ;   in Loop: Header=BB102_3 Depth=1
	s_or_b32 exec_lo, exec_lo, s45
	s_wait_dscnt 0x0
	s_barrier_signal -1
	s_barrier_wait -1
	s_and_saveexec_b32 s45, s15
	s_cbranch_execz .LBB102_385
; %bb.384:                              ;   in Loop: Header=BB102_3 Depth=1
	ds_load_b64 v[28:29], v3 offset:10656
	ds_load_b32 v30, v3 offset:10400
	s_wait_dscnt 0x0
	v_mul_f32_e32 v29, v30, v29
	s_delay_alu instid0(VALU_DEP_1)
	v_mul_f32_e32 v28, v28, v29
	v_add_nc_u32_e64 v29, 0x2800, 0
	ds_store_2addr_b32 v29, v28, v28 offset0:41 offset1:104
.LBB102_385:                            ;   in Loop: Header=BB102_3 Depth=1
	s_or_b32 exec_lo, exec_lo, s45
	v_mov_b32_e32 v28, 0
	s_wait_dscnt 0x0
	s_barrier_signal -1
	s_barrier_wait -1
	global_wb scope:SCOPE_DEV
	s_wait_storecnt 0x0
	global_inv scope:SCOPE_DEV
	s_and_saveexec_b32 s65, s5
	s_cbranch_execz .LBB102_395
; %bb.386:                              ;   in Loop: Header=BB102_3 Depth=1
	ds_load_b32 v28, v46 offset:10368
	ds_load_b32 v29, v45 offset:12192
	s_wait_dscnt 0x0
	v_fma_f32 v28, v28, v29, 0
	s_and_saveexec_b32 s45, s19
	s_cbranch_execnz .LBB102_1223
; %bb.387:                              ;   in Loop: Header=BB102_3 Depth=1
	s_or_b32 exec_lo, exec_lo, s45
	s_and_saveexec_b32 s45, s20
	s_cbranch_execnz .LBB102_1224
.LBB102_388:                            ;   in Loop: Header=BB102_3 Depth=1
	s_or_b32 exec_lo, exec_lo, s45
	s_and_saveexec_b32 s45, s21
	s_cbranch_execnz .LBB102_1225
.LBB102_389:                            ;   in Loop: Header=BB102_3 Depth=1
	s_or_b32 exec_lo, exec_lo, s45
	s_and_saveexec_b32 s45, s22
	s_cbranch_execnz .LBB102_1226
.LBB102_390:                            ;   in Loop: Header=BB102_3 Depth=1
	s_or_b32 exec_lo, exec_lo, s45
	s_and_saveexec_b32 s45, s23
	s_cbranch_execnz .LBB102_1227
.LBB102_391:                            ;   in Loop: Header=BB102_3 Depth=1
	s_or_b32 exec_lo, exec_lo, s45
	s_and_saveexec_b32 s45, s4
	s_cbranch_execnz .LBB102_1228
.LBB102_392:                            ;   in Loop: Header=BB102_3 Depth=1
	s_or_b32 exec_lo, exec_lo, s45
	s_and_saveexec_b32 s45, s18
	s_cbranch_execz .LBB102_394
.LBB102_393:                            ;   in Loop: Header=BB102_3 Depth=1
	ds_load_b32 v29, v55 offset:12160
	ds_load_b32 v30, v3 offset:12220
	s_wait_dscnt 0x0
	v_fmac_f32_e32 v28, v29, v30
.LBB102_394:                            ;   in Loop: Header=BB102_3 Depth=1
	s_or_b32 exec_lo, exec_lo, s45
.LBB102_395:                            ;   in Loop: Header=BB102_3 Depth=1
	s_delay_alu instid0(SALU_CYCLE_1)
	s_or_b32 exec_lo, exec_lo, s65
	s_and_saveexec_b32 s45, s100
	s_cbranch_execz .LBB102_397
; %bb.396:                              ;   in Loop: Header=BB102_3 Depth=1
	ds_load_b32 v29, v3 offset:10140
	s_wait_dscnt 0x0
	v_mul_f32_e32 v28, v28, v29
	s_delay_alu instid0(VALU_DEP_1)
	v_xor_b32_e32 v29, 0x80000000, v28
	ds_store_b32 v44, v29
.LBB102_397:                            ;   in Loop: Header=BB102_3 Depth=1
	s_or_b32 exec_lo, exec_lo, s45
	s_wait_loadcnt_dscnt 0x0
	s_barrier_signal -1
	s_barrier_wait -1
	s_and_saveexec_b32 s45, s101
	s_cbranch_execz .LBB102_399
; %bb.398:                              ;   in Loop: Header=BB102_3 Depth=1
	ds_load_b32 v29, v46 offset:10112
	ds_load_b32 v30, v44
	s_wait_dscnt 0x0
	v_fma_f32 v28, -v29, v30, v28
.LBB102_399:                            ;   in Loop: Header=BB102_3 Depth=1
	s_or_b32 exec_lo, exec_lo, s45
	s_barrier_signal -1
	s_barrier_wait -1
	s_and_saveexec_b32 s45, s102
	s_cbranch_execz .LBB102_401
; %bb.400:                              ;   in Loop: Header=BB102_3 Depth=1
	ds_load_b32 v29, v3 offset:9880
	s_wait_dscnt 0x0
	v_mul_f32_e32 v28, v28, v29
	s_delay_alu instid0(VALU_DEP_1)
	v_xor_b32_e32 v29, 0x80000000, v28
	ds_store_b32 v44, v29
.LBB102_401:                            ;   in Loop: Header=BB102_3 Depth=1
	s_or_b32 exec_lo, exec_lo, s45
	s_wait_dscnt 0x0
	s_barrier_signal -1
	s_barrier_wait -1
	s_and_saveexec_b32 s45, s103
	s_cbranch_execz .LBB102_403
; %bb.402:                              ;   in Loop: Header=BB102_3 Depth=1
	ds_load_b32 v29, v46 offset:9856
	ds_load_b32 v30, v44
	s_wait_dscnt 0x0
	v_fma_f32 v28, -v29, v30, v28
.LBB102_403:                            ;   in Loop: Header=BB102_3 Depth=1
	s_or_b32 exec_lo, exec_lo, s45
	s_barrier_signal -1
	s_barrier_wait -1
	s_and_saveexec_b32 s45, s104
	s_cbranch_execz .LBB102_405
; %bb.404:                              ;   in Loop: Header=BB102_3 Depth=1
	ds_load_b32 v29, v3 offset:9620
	s_wait_dscnt 0x0
	v_mul_f32_e32 v28, v28, v29
	s_delay_alu instid0(VALU_DEP_1)
	v_xor_b32_e32 v29, 0x80000000, v28
	ds_store_b32 v44, v29
.LBB102_405:                            ;   in Loop: Header=BB102_3 Depth=1
	s_or_b32 exec_lo, exec_lo, s45
	s_wait_dscnt 0x0
	s_barrier_signal -1
	s_barrier_wait -1
	s_and_saveexec_b32 s45, vcc_hi
	s_cbranch_execz .LBB102_407
; %bb.406:                              ;   in Loop: Header=BB102_3 Depth=1
	ds_load_b32 v29, v46 offset:9600
	ds_load_b32 v30, v44
	s_wait_dscnt 0x0
	v_fma_f32 v28, -v29, v30, v28
.LBB102_407:                            ;   in Loop: Header=BB102_3 Depth=1
	s_or_b32 exec_lo, exec_lo, s45
	s_barrier_signal -1
	s_barrier_wait -1
	s_and_saveexec_b32 s45, s36
	s_cbranch_execz .LBB102_409
; %bb.408:                              ;   in Loop: Header=BB102_3 Depth=1
	ds_load_b32 v29, v3 offset:9360
	s_wait_dscnt 0x0
	v_mul_f32_e32 v28, v28, v29
	s_delay_alu instid0(VALU_DEP_1)
	v_xor_b32_e32 v29, 0x80000000, v28
	ds_store_b32 v44, v29
.LBB102_409:                            ;   in Loop: Header=BB102_3 Depth=1
	s_or_b32 exec_lo, exec_lo, s45
	s_wait_dscnt 0x0
	s_barrier_signal -1
	s_barrier_wait -1
	s_and_saveexec_b32 s45, s37
	s_cbranch_execz .LBB102_411
; %bb.410:                              ;   in Loop: Header=BB102_3 Depth=1
	ds_load_b32 v29, v46 offset:9344
	ds_load_b32 v30, v44
	s_wait_dscnt 0x0
	v_fma_f32 v28, -v29, v30, v28
.LBB102_411:                            ;   in Loop: Header=BB102_3 Depth=1
	s_or_b32 exec_lo, exec_lo, s45
	s_barrier_signal -1
	s_barrier_wait -1
	s_and_saveexec_b32 s45, s38
	s_cbranch_execz .LBB102_413
; %bb.412:                              ;   in Loop: Header=BB102_3 Depth=1
	ds_load_b32 v29, v3 offset:9100
	s_wait_dscnt 0x0
	v_mul_f32_e32 v28, v28, v29
	s_delay_alu instid0(VALU_DEP_1)
	v_xor_b32_e32 v29, 0x80000000, v28
	ds_store_b32 v44, v29
.LBB102_413:                            ;   in Loop: Header=BB102_3 Depth=1
	s_or_b32 exec_lo, exec_lo, s45
	s_wait_dscnt 0x0
	s_barrier_signal -1
	s_barrier_wait -1
	s_and_saveexec_b32 s45, s39
	;; [unrolled: 25-line block ×4, first 2 shown]
	s_cbranch_execz .LBB102_423
; %bb.422:                              ;   in Loop: Header=BB102_3 Depth=1
	ds_load_b32 v29, v3 offset:8576
	ds_load_b32 v30, v44
	s_wait_dscnt 0x0
	v_fma_f32 v28, -v29, v30, v28
.LBB102_423:                            ;   in Loop: Header=BB102_3 Depth=1
	s_or_b32 exec_lo, exec_lo, s45
	s_barrier_signal -1
	s_barrier_wait -1
	s_and_saveexec_b32 s45, s43
	s_cbranch_execz .LBB102_425
; %bb.424:                              ;   in Loop: Header=BB102_3 Depth=1
	ds_load_b32 v29, v3 offset:8320
	s_wait_dscnt 0x0
	v_mul_f32_e32 v28, v28, v29
	s_delay_alu instid0(VALU_DEP_1)
	v_xor_b32_e32 v29, 0x80000000, v28
	ds_store_b32 v44, v29
.LBB102_425:                            ;   in Loop: Header=BB102_3 Depth=1
	s_or_b32 exec_lo, exec_lo, s45
	s_wait_dscnt 0x0
	s_barrier_signal -1
	s_barrier_wait -1
	s_barrier_signal -1
	s_barrier_wait -1
	s_and_saveexec_b32 s45, s5
; %bb.426:                              ;   in Loop: Header=BB102_3 Depth=1
	ds_store_b32 v47, v28 offset:12160
; %bb.427:                              ;   in Loop: Header=BB102_3 Depth=1
	s_or_b32 exec_lo, exec_lo, s45
	s_wait_dscnt 0x0
	s_barrier_signal -1
	s_barrier_wait -1
	s_barrier_signal -1
	s_barrier_wait -1
	s_and_saveexec_b32 s45, s44
	s_cbranch_execz .LBB102_429
; %bb.428:                              ;   in Loop: Header=BB102_3 Depth=1
	ds_load_b32 v28, v56 offset:10368
	s_wait_dscnt 0x0
	ds_store_b32 v57, v28 offset:8352
	ds_load_b32 v28, v56 offset:10372
	s_wait_dscnt 0x0
	ds_store_b32 v57, v28 offset:8608
	;; [unrolled: 3-line block ×8, first 2 shown]
.LBB102_429:                            ;   in Loop: Header=BB102_3 Depth=1
	s_or_b32 exec_lo, exec_lo, s45
	s_wait_dscnt 0x0
	s_barrier_signal -1
	s_barrier_wait -1
	s_and_saveexec_b32 s45, s15
	s_cbranch_execz .LBB102_431
; %bb.430:                              ;   in Loop: Header=BB102_3 Depth=1
	ds_load_b64 v[28:29], v3 offset:10136
	ds_load_b32 v30, v3 offset:9880
	s_wait_dscnt 0x0
	v_mul_f32_e32 v29, v30, v29
	s_delay_alu instid0(VALU_DEP_1)
	v_mul_f32_e32 v28, v28, v29
	v_add_nc_u32_e64 v29, 0x2400, 0
	ds_store_2addr_b32 v29, v28, v28 offset0:167 offset1:230
.LBB102_431:                            ;   in Loop: Header=BB102_3 Depth=1
	s_or_b32 exec_lo, exec_lo, s45
	v_mov_b32_e32 v28, 0
	s_wait_dscnt 0x0
	s_barrier_signal -1
	s_barrier_wait -1
	global_wb scope:SCOPE_DEV
	s_wait_storecnt 0x0
	global_inv scope:SCOPE_DEV
	s_and_saveexec_b32 s45, s2
	s_cbranch_execz .LBB102_435
; %bb.432:                              ;   in Loop: Header=BB102_3 Depth=1
	ds_load_b32 v28, v35 offset:9872
	ds_load_b32 v29, v34 offset:10136
	s_wait_dscnt 0x0
	v_fma_f32 v28, v28, v29, 0
	s_and_saveexec_b32 s46, s16
	s_cbranch_execz .LBB102_434
; %bb.433:                              ;   in Loop: Header=BB102_3 Depth=1
	ds_load_b32 v29, v57 offset:10128
	ds_load_b32 v30, v3 offset:10140
	s_wait_dscnt 0x0
	v_fmac_f32_e32 v28, v29, v30
.LBB102_434:                            ;   in Loop: Header=BB102_3 Depth=1
	s_or_b32 exec_lo, exec_lo, s46
.LBB102_435:                            ;   in Loop: Header=BB102_3 Depth=1
	s_delay_alu instid0(SALU_CYCLE_1)
	s_or_b32 exec_lo, exec_lo, s45
	s_and_saveexec_b32 s45, s90
	s_cbranch_execz .LBB102_437
; %bb.436:                              ;   in Loop: Header=BB102_3 Depth=1
	ds_load_b32 v29, v3 offset:9620
	s_wait_dscnt 0x0
	v_mul_f32_e32 v28, v28, v29
	s_delay_alu instid0(VALU_DEP_1)
	v_xor_b32_e32 v29, 0x80000000, v28
	ds_store_b32 v5, v29
.LBB102_437:                            ;   in Loop: Header=BB102_3 Depth=1
	s_or_b32 exec_lo, exec_lo, s45
	s_wait_loadcnt_dscnt 0x0
	s_barrier_signal -1
	s_barrier_wait -1
	s_and_saveexec_b32 s45, s91
	s_cbranch_execz .LBB102_439
; %bb.438:                              ;   in Loop: Header=BB102_3 Depth=1
	ds_load_b32 v29, v3 offset:9616
	ds_load_b32 v30, v5
	s_wait_dscnt 0x0
	v_fma_f32 v28, -v29, v30, v28
.LBB102_439:                            ;   in Loop: Header=BB102_3 Depth=1
	s_or_b32 exec_lo, exec_lo, s45
	s_barrier_signal -1
	s_barrier_wait -1
	s_and_saveexec_b32 s45, s91
	s_cbranch_execz .LBB102_441
; %bb.440:                              ;   in Loop: Header=BB102_3 Depth=1
	ds_load_b32 v29, v3 offset:9360
	s_wait_dscnt 0x0
	v_mul_f32_e32 v28, v28, v29
	s_delay_alu instid0(VALU_DEP_1)
	v_xor_b32_e32 v29, 0x80000000, v28
	ds_store_b32 v5, v29
.LBB102_441:                            ;   in Loop: Header=BB102_3 Depth=1
	s_or_b32 exec_lo, exec_lo, s45
	s_wait_dscnt 0x0
	s_barrier_signal -1
	s_barrier_wait -1
	s_barrier_signal -1
	s_barrier_wait -1
	s_and_saveexec_b32 s45, s2
; %bb.442:                              ;   in Loop: Header=BB102_3 Depth=1
	ds_store_b32 v37, v28 offset:10128
; %bb.443:                              ;   in Loop: Header=BB102_3 Depth=1
	s_or_b32 exec_lo, exec_lo, s45
	s_wait_dscnt 0x0
	s_barrier_signal -1
	s_barrier_wait -1
	s_barrier_signal -1
	s_barrier_wait -1
	s_and_saveexec_b32 s45, s92
	s_cbranch_execz .LBB102_445
; %bb.444:                              ;   in Loop: Header=BB102_3 Depth=1
	ds_load_b32 v28, v58 offset:9872
	s_wait_dscnt 0x0
	ds_store_b32 v57, v28 offset:9368
	ds_load_b32 v28, v58 offset:9876
	s_wait_dscnt 0x0
	ds_store_b32 v57, v28 offset:9624
.LBB102_445:                            ;   in Loop: Header=BB102_3 Depth=1
	s_or_b32 exec_lo, exec_lo, s45
	s_wait_dscnt 0x0
	s_barrier_signal -1
	s_barrier_wait -1
	s_and_saveexec_b32 s45, s15
	s_cbranch_execz .LBB102_447
; %bb.446:                              ;   in Loop: Header=BB102_3 Depth=1
	ds_load_b64 v[28:29], v3 offset:9616
	ds_load_b32 v30, v3 offset:9360
	s_wait_dscnt 0x0
	v_mul_f32_e32 v29, v30, v29
	s_delay_alu instid0(VALU_DEP_1)
	v_mul_f32_e32 v28, v28, v29
	v_add_nc_u32_e64 v29, 0x2400, 0
	ds_store_2addr_b32 v29, v28, v28 offset0:37 offset1:100
.LBB102_447:                            ;   in Loop: Header=BB102_3 Depth=1
	s_or_b32 exec_lo, exec_lo, s45
	v_mov_b32_e32 v28, 0
	s_wait_dscnt 0x0
	s_barrier_signal -1
	s_barrier_wait -1
	global_wb scope:SCOPE_DEV
	s_wait_storecnt 0x0
	global_inv scope:SCOPE_DEV
	s_and_saveexec_b32 s65, s4
	s_cbranch_execz .LBB102_453
; %bb.448:                              ;   in Loop: Header=BB102_3 Depth=1
	ds_load_b32 v28, v41 offset:9344
	ds_load_b32 v29, v40 offset:10128
	s_wait_dscnt 0x0
	v_fma_f32 v28, v28, v29, 0
	s_and_saveexec_b32 s45, s17
	s_cbranch_execnz .LBB102_1229
; %bb.449:                              ;   in Loop: Header=BB102_3 Depth=1
	s_or_b32 exec_lo, exec_lo, s45
	s_and_saveexec_b32 s45, s18
	s_cbranch_execnz .LBB102_1230
.LBB102_450:                            ;   in Loop: Header=BB102_3 Depth=1
	s_or_b32 exec_lo, exec_lo, s45
	s_and_saveexec_b32 s45, s2
	s_cbranch_execz .LBB102_452
.LBB102_451:                            ;   in Loop: Header=BB102_3 Depth=1
	ds_load_b32 v29, v59 offset:10112
	ds_load_b32 v30, v3 offset:10140
	s_wait_dscnt 0x0
	v_fmac_f32_e32 v28, v29, v30
.LBB102_452:                            ;   in Loop: Header=BB102_3 Depth=1
	s_or_b32 exec_lo, exec_lo, s45
.LBB102_453:                            ;   in Loop: Header=BB102_3 Depth=1
	s_delay_alu instid0(SALU_CYCLE_1)
	s_or_b32 exec_lo, exec_lo, s65
	s_and_saveexec_b32 s45, s93
	s_cbranch_execz .LBB102_455
; %bb.454:                              ;   in Loop: Header=BB102_3 Depth=1
	ds_load_b32 v29, v3 offset:9100
	s_wait_dscnt 0x0
	v_mul_f32_e32 v28, v28, v29
	s_delay_alu instid0(VALU_DEP_1)
	v_xor_b32_e32 v29, 0x80000000, v28
	ds_store_b32 v39, v29
.LBB102_455:                            ;   in Loop: Header=BB102_3 Depth=1
	s_or_b32 exec_lo, exec_lo, s45
	s_wait_loadcnt_dscnt 0x0
	s_barrier_signal -1
	s_barrier_wait -1
	s_and_saveexec_b32 s45, s94
	s_cbranch_execz .LBB102_457
; %bb.456:                              ;   in Loop: Header=BB102_3 Depth=1
	ds_load_b32 v29, v41 offset:9088
	ds_load_b32 v30, v39
	s_wait_dscnt 0x0
	v_fma_f32 v28, -v29, v30, v28
.LBB102_457:                            ;   in Loop: Header=BB102_3 Depth=1
	s_or_b32 exec_lo, exec_lo, s45
	s_barrier_signal -1
	s_barrier_wait -1
	s_and_saveexec_b32 s45, s95
	s_cbranch_execz .LBB102_459
; %bb.458:                              ;   in Loop: Header=BB102_3 Depth=1
	ds_load_b32 v29, v3 offset:8840
	s_wait_dscnt 0x0
	v_mul_f32_e32 v28, v28, v29
	s_delay_alu instid0(VALU_DEP_1)
	v_xor_b32_e32 v29, 0x80000000, v28
	ds_store_b32 v39, v29
.LBB102_459:                            ;   in Loop: Header=BB102_3 Depth=1
	s_or_b32 exec_lo, exec_lo, s45
	s_wait_dscnt 0x0
	s_barrier_signal -1
	s_barrier_wait -1
	s_and_saveexec_b32 s45, s96
	s_cbranch_execz .LBB102_461
; %bb.460:                              ;   in Loop: Header=BB102_3 Depth=1
	ds_load_b32 v29, v41 offset:8832
	ds_load_b32 v30, v39
	s_wait_dscnt 0x0
	v_fma_f32 v28, -v29, v30, v28
.LBB102_461:                            ;   in Loop: Header=BB102_3 Depth=1
	s_or_b32 exec_lo, exec_lo, s45
	s_barrier_signal -1
	s_barrier_wait -1
	s_and_saveexec_b32 s45, s97
	s_cbranch_execz .LBB102_463
; %bb.462:                              ;   in Loop: Header=BB102_3 Depth=1
	ds_load_b32 v29, v3 offset:8580
	s_wait_dscnt 0x0
	v_mul_f32_e32 v28, v28, v29
	s_delay_alu instid0(VALU_DEP_1)
	v_xor_b32_e32 v29, 0x80000000, v28
	ds_store_b32 v39, v29
.LBB102_463:                            ;   in Loop: Header=BB102_3 Depth=1
	s_or_b32 exec_lo, exec_lo, s45
	s_wait_dscnt 0x0
	s_barrier_signal -1
	s_barrier_wait -1
	s_and_saveexec_b32 s45, s98
	s_cbranch_execz .LBB102_465
; %bb.464:                              ;   in Loop: Header=BB102_3 Depth=1
	ds_load_b32 v29, v3 offset:8576
	ds_load_b32 v30, v39
	s_wait_dscnt 0x0
	v_fma_f32 v28, -v29, v30, v28
.LBB102_465:                            ;   in Loop: Header=BB102_3 Depth=1
	s_or_b32 exec_lo, exec_lo, s45
	s_barrier_signal -1
	s_barrier_wait -1
	s_and_saveexec_b32 s45, s98
	s_cbranch_execz .LBB102_467
; %bb.466:                              ;   in Loop: Header=BB102_3 Depth=1
	ds_load_b32 v29, v3 offset:8320
	s_wait_dscnt 0x0
	v_mul_f32_e32 v28, v28, v29
	s_delay_alu instid0(VALU_DEP_1)
	v_xor_b32_e32 v29, 0x80000000, v28
	ds_store_b32 v39, v29
.LBB102_467:                            ;   in Loop: Header=BB102_3 Depth=1
	s_or_b32 exec_lo, exec_lo, s45
	s_wait_dscnt 0x0
	s_barrier_signal -1
	s_barrier_wait -1
	s_barrier_signal -1
	s_barrier_wait -1
	s_and_saveexec_b32 s45, s4
; %bb.468:                              ;   in Loop: Header=BB102_3 Depth=1
	ds_store_b32 v43, v28 offset:10112
; %bb.469:                              ;   in Loop: Header=BB102_3 Depth=1
	s_or_b32 exec_lo, exec_lo, s45
	s_wait_dscnt 0x0
	s_barrier_signal -1
	s_barrier_wait -1
	s_barrier_signal -1
	s_barrier_wait -1
	s_and_saveexec_b32 s45, s99
	s_cbranch_execz .LBB102_471
; %bb.470:                              ;   in Loop: Header=BB102_3 Depth=1
	ds_load_b32 v28, v60 offset:9344
	s_wait_dscnt 0x0
	ds_store_b32 v61, v28 offset:8336
	ds_load_b32 v28, v60 offset:9348
	s_wait_dscnt 0x0
	ds_store_b32 v61, v28 offset:8592
	;; [unrolled: 3-line block ×4, first 2 shown]
.LBB102_471:                            ;   in Loop: Header=BB102_3 Depth=1
	s_or_b32 exec_lo, exec_lo, s45
	s_wait_dscnt 0x0
	s_barrier_signal -1
	s_barrier_wait -1
	s_and_saveexec_b32 s45, s15
	s_cbranch_execz .LBB102_473
; %bb.472:                              ;   in Loop: Header=BB102_3 Depth=1
	ds_load_b64 v[28:29], v3 offset:9096
	ds_load_b32 v30, v3 offset:8840
	s_wait_dscnt 0x0
	v_mul_f32_e32 v29, v30, v29
	s_delay_alu instid0(VALU_DEP_1)
	v_mul_f32_e32 v28, v28, v29
	v_add_nc_u32_e64 v29, 0x2000, 0
	ds_store_2addr_b32 v29, v28, v28 offset0:163 offset1:226
.LBB102_473:                            ;   in Loop: Header=BB102_3 Depth=1
	s_or_b32 exec_lo, exec_lo, s45
	v_mov_b32_e32 v28, 0
	s_wait_dscnt 0x0
	s_barrier_signal -1
	s_barrier_wait -1
	global_wb scope:SCOPE_DEV
	s_wait_storecnt 0x0
	global_inv scope:SCOPE_DEV
	s_and_saveexec_b32 s45, s2
	s_cbranch_execz .LBB102_477
; %bb.474:                              ;   in Loop: Header=BB102_3 Depth=1
	ds_load_b32 v28, v35 offset:8832
	ds_load_b32 v29, v34 offset:9096
	s_wait_dscnt 0x0
	v_fma_f32 v28, v28, v29, 0
	s_and_saveexec_b32 s46, s16
	s_cbranch_execz .LBB102_476
; %bb.475:                              ;   in Loop: Header=BB102_3 Depth=1
	ds_load_b32 v29, v61 offset:9088
	ds_load_b32 v30, v3 offset:9100
	s_wait_dscnt 0x0
	v_fmac_f32_e32 v28, v29, v30
.LBB102_476:                            ;   in Loop: Header=BB102_3 Depth=1
	s_or_b32 exec_lo, exec_lo, s46
.LBB102_477:                            ;   in Loop: Header=BB102_3 Depth=1
	s_delay_alu instid0(SALU_CYCLE_1)
	s_or_b32 exec_lo, exec_lo, s45
	s_and_saveexec_b32 s45, s90
	s_cbranch_execz .LBB102_479
; %bb.478:                              ;   in Loop: Header=BB102_3 Depth=1
	ds_load_b32 v29, v3 offset:8580
	s_wait_dscnt 0x0
	v_mul_f32_e32 v28, v28, v29
	s_delay_alu instid0(VALU_DEP_1)
	v_xor_b32_e32 v29, 0x80000000, v28
	ds_store_b32 v5, v29
.LBB102_479:                            ;   in Loop: Header=BB102_3 Depth=1
	s_or_b32 exec_lo, exec_lo, s45
	s_wait_loadcnt_dscnt 0x0
	s_barrier_signal -1
	s_barrier_wait -1
	s_and_saveexec_b32 s45, s91
	s_cbranch_execz .LBB102_481
; %bb.480:                              ;   in Loop: Header=BB102_3 Depth=1
	ds_load_b32 v29, v3 offset:8576
	ds_load_b32 v30, v5
	s_wait_dscnt 0x0
	v_fma_f32 v28, -v29, v30, v28
.LBB102_481:                            ;   in Loop: Header=BB102_3 Depth=1
	s_or_b32 exec_lo, exec_lo, s45
	s_barrier_signal -1
	s_barrier_wait -1
	s_and_saveexec_b32 s45, s91
	s_cbranch_execz .LBB102_483
; %bb.482:                              ;   in Loop: Header=BB102_3 Depth=1
	ds_load_b32 v29, v3 offset:8320
	s_wait_dscnt 0x0
	v_mul_f32_e32 v28, v28, v29
	s_delay_alu instid0(VALU_DEP_1)
	v_xor_b32_e32 v29, 0x80000000, v28
	ds_store_b32 v5, v29
.LBB102_483:                            ;   in Loop: Header=BB102_3 Depth=1
	s_or_b32 exec_lo, exec_lo, s45
	s_wait_dscnt 0x0
	s_barrier_signal -1
	s_barrier_wait -1
	s_barrier_signal -1
	s_barrier_wait -1
	s_and_saveexec_b32 s45, s2
; %bb.484:                              ;   in Loop: Header=BB102_3 Depth=1
	ds_store_b32 v37, v28 offset:9088
; %bb.485:                              ;   in Loop: Header=BB102_3 Depth=1
	s_or_b32 exec_lo, exec_lo, s45
	s_wait_dscnt 0x0
	s_barrier_signal -1
	s_barrier_wait -1
	s_barrier_signal -1
	s_barrier_wait -1
	s_and_saveexec_b32 s45, s92
	s_cbranch_execz .LBB102_487
; %bb.486:                              ;   in Loop: Header=BB102_3 Depth=1
	ds_load_b32 v28, v62 offset:8832
	s_wait_dscnt 0x0
	ds_store_b32 v61, v28 offset:8328
	ds_load_b32 v28, v62 offset:8836
	s_wait_dscnt 0x0
	ds_store_b32 v61, v28 offset:8584
.LBB102_487:                            ;   in Loop: Header=BB102_3 Depth=1
	s_or_b32 exec_lo, exec_lo, s45
	s_wait_dscnt 0x0
	s_barrier_signal -1
	s_barrier_wait -1
	s_and_saveexec_b32 s45, s15
	s_cbranch_execz .LBB102_489
; %bb.488:                              ;   in Loop: Header=BB102_3 Depth=1
	ds_load_b64 v[28:29], v3 offset:8576
	ds_load_b32 v30, v3 offset:8320
	s_wait_dscnt 0x0
	v_mul_f32_e32 v29, v30, v29
	s_delay_alu instid0(VALU_DEP_1)
	v_mul_f32_e32 v28, v28, v29
	v_add_nc_u32_e64 v29, 0x2000, 0
	ds_store_2addr_b32 v29, v28, v28 offset0:33 offset1:96
.LBB102_489:                            ;   in Loop: Header=BB102_3 Depth=1
	s_or_b32 exec_lo, exec_lo, s45
	v_mov_b32_e32 v28, 0
	s_wait_dscnt 0x0
	s_barrier_signal -1
	s_barrier_wait -1
	global_wb scope:SCOPE_DEV
	s_wait_storecnt 0x0
	global_inv scope:SCOPE_DEV
	s_and_saveexec_b32 s65, s7
	s_cbranch_execz .LBB102_551
; %bb.490:                              ;   in Loop: Header=BB102_3 Depth=1
	ds_load_b32 v28, v64 offset:8192
	ds_load_b32 v29, v63 offset:16256
	s_wait_dscnt 0x0
	v_fma_f32 v28, v28, v29, 0
	s_mov_b32 s45, exec_lo
	v_readlane_b32 s46, v87, 31
	s_and_b32 s46, s45, s46
	s_delay_alu instid0(SALU_CYCLE_1)
	s_mov_b32 exec_lo, s46
	s_cbranch_execz .LBB102_492
; %bb.491:                              ;   in Loop: Header=BB102_3 Depth=1
	ds_load_b32 v29, v64 offset:8448
	ds_load_b32 v30, v63 offset:16260
	s_wait_dscnt 0x0
	v_fmac_f32_e32 v28, v29, v30
.LBB102_492:                            ;   in Loop: Header=BB102_3 Depth=1
	s_or_b32 exec_lo, exec_lo, s45
	s_delay_alu instid0(SALU_CYCLE_1) | instskip(SKIP_2) | instid1(SALU_CYCLE_1)
	s_mov_b32 s45, exec_lo
	v_readlane_b32 s46, v86, 0
	s_and_b32 s46, s45, s46
	s_mov_b32 exec_lo, s46
	s_cbranch_execz .LBB102_494
; %bb.493:                              ;   in Loop: Header=BB102_3 Depth=1
	ds_load_b32 v29, v64 offset:8704
	ds_load_b32 v30, v63 offset:16264
	s_wait_dscnt 0x0
	v_fmac_f32_e32 v28, v29, v30
.LBB102_494:                            ;   in Loop: Header=BB102_3 Depth=1
	s_or_b32 exec_lo, exec_lo, s45
	s_delay_alu instid0(SALU_CYCLE_1) | instskip(SKIP_2) | instid1(SALU_CYCLE_1)
	s_mov_b32 s45, exec_lo
	v_readlane_b32 s46, v86, 1
	s_and_b32 s46, s45, s46
	;; [unrolled: 13-line block ×22, first 2 shown]
	s_mov_b32 exec_lo, s46
	s_cbranch_execz .LBB102_536
; %bb.535:                              ;   in Loop: Header=BB102_3 Depth=1
	ds_load_b32 v29, v64 offset:14080
	ds_load_b32 v30, v63 offset:16348
	s_wait_dscnt 0x0
	v_fmac_f32_e32 v28, v29, v30
.LBB102_536:                            ;   in Loop: Header=BB102_3 Depth=1
	s_or_b32 exec_lo, exec_lo, s45
	s_and_saveexec_b32 s45, s6
	s_cbranch_execz .LBB102_538
; %bb.537:                              ;   in Loop: Header=BB102_3 Depth=1
	ds_load_b32 v29, v64 offset:14336
	ds_load_b32 v30, v63 offset:16352
	s_wait_dscnt 0x0
	v_fmac_f32_e32 v28, v29, v30
.LBB102_538:                            ;   in Loop: Header=BB102_3 Depth=1
	s_or_b32 exec_lo, exec_lo, s45
	s_delay_alu instid0(SALU_CYCLE_1) | instskip(SKIP_2) | instid1(SALU_CYCLE_1)
	s_mov_b32 s45, exec_lo
	v_readlane_b32 s46, v87, 21
	s_and_b32 s46, s45, s46
	s_mov_b32 exec_lo, s46
	s_cbranch_execz .LBB102_540
; %bb.539:                              ;   in Loop: Header=BB102_3 Depth=1
	ds_load_b32 v29, v64 offset:14592
	ds_load_b32 v30, v63 offset:16356
	s_wait_dscnt 0x0
	v_fmac_f32_e32 v28, v29, v30
.LBB102_540:                            ;   in Loop: Header=BB102_3 Depth=1
	s_or_b32 exec_lo, exec_lo, s45
	s_delay_alu instid0(SALU_CYCLE_1) | instskip(SKIP_2) | instid1(SALU_CYCLE_1)
	s_mov_b32 s45, exec_lo
	v_readlane_b32 s46, v87, 23
	s_and_b32 s46, s45, s46
	s_mov_b32 exec_lo, s46
	;; [unrolled: 13-line block ×5, first 2 shown]
	s_cbranch_execnz .LBB102_1231
; %bb.547:                              ;   in Loop: Header=BB102_3 Depth=1
	s_or_b32 exec_lo, exec_lo, s45
	s_and_saveexec_b32 s45, s5
	s_cbranch_execnz .LBB102_1232
.LBB102_548:                            ;   in Loop: Header=BB102_3 Depth=1
	s_or_b32 exec_lo, exec_lo, s45
	s_and_saveexec_b32 s45, s22
	s_cbranch_execz .LBB102_550
.LBB102_549:                            ;   in Loop: Header=BB102_3 Depth=1
	ds_load_b32 v29, v36 offset:16128
	ds_load_b32 v30, v3 offset:16380
	s_wait_dscnt 0x0
	v_fmac_f32_e32 v28, v29, v30
.LBB102_550:                            ;   in Loop: Header=BB102_3 Depth=1
	s_or_b32 exec_lo, exec_lo, s45
.LBB102_551:                            ;   in Loop: Header=BB102_3 Depth=1
	s_delay_alu instid0(SALU_CYCLE_1) | instskip(NEXT) | instid1(SALU_CYCLE_1)
	s_or_b32 exec_lo, exec_lo, s65
	s_mov_b32 s45, exec_lo
	v_readlane_b32 s46, v89, 4
	s_and_b32 s46, s45, s46
	s_delay_alu instid0(SALU_CYCLE_1)
	s_mov_b32 exec_lo, s46
	s_cbranch_execz .LBB102_553
; %bb.552:                              ;   in Loop: Header=BB102_3 Depth=1
	ds_load_b32 v29, v3 offset:8060
	s_wait_dscnt 0x0
	v_mul_f32_e32 v28, v28, v29
	s_delay_alu instid0(VALU_DEP_1)
	v_xor_b32_e32 v29, 0x80000000, v28
	ds_store_b32 v52, v29
.LBB102_553:                            ;   in Loop: Header=BB102_3 Depth=1
	s_or_b32 exec_lo, exec_lo, s45
	s_wait_loadcnt_dscnt 0x0
	s_barrier_signal -1
	s_barrier_wait -1
	s_mov_b32 s45, exec_lo
	v_readlane_b32 s46, v89, 5
	s_and_b32 s46, s45, s46
	s_delay_alu instid0(SALU_CYCLE_1)
	s_mov_b32 exec_lo, s46
	s_cbranch_execz .LBB102_555
; %bb.554:                              ;   in Loop: Header=BB102_3 Depth=1
	ds_load_b32 v29, v64 offset:7936
	ds_load_b32 v30, v52
	s_wait_dscnt 0x0
	v_fma_f32 v28, -v29, v30, v28
.LBB102_555:                            ;   in Loop: Header=BB102_3 Depth=1
	s_or_b32 exec_lo, exec_lo, s45
	s_barrier_signal -1
	s_barrier_wait -1
	s_mov_b32 s45, exec_lo
	v_readlane_b32 s46, v89, 6
	s_and_b32 s46, s45, s46
	s_delay_alu instid0(SALU_CYCLE_1)
	s_mov_b32 exec_lo, s46
	s_cbranch_execz .LBB102_557
; %bb.556:                              ;   in Loop: Header=BB102_3 Depth=1
	ds_load_b32 v29, v3 offset:7800
	s_wait_dscnt 0x0
	v_mul_f32_e32 v28, v28, v29
	s_delay_alu instid0(VALU_DEP_1)
	v_xor_b32_e32 v29, 0x80000000, v28
	ds_store_b32 v52, v29
.LBB102_557:                            ;   in Loop: Header=BB102_3 Depth=1
	s_or_b32 exec_lo, exec_lo, s45
	s_wait_dscnt 0x0
	s_barrier_signal -1
	s_barrier_wait -1
	s_mov_b32 s45, exec_lo
	v_readlane_b32 s46, v89, 7
	s_and_b32 s46, s45, s46
	s_delay_alu instid0(SALU_CYCLE_1)
	s_mov_b32 exec_lo, s46
	s_cbranch_execz .LBB102_559
; %bb.558:                              ;   in Loop: Header=BB102_3 Depth=1
	ds_load_b32 v29, v64 offset:7680
	ds_load_b32 v30, v52
	s_wait_dscnt 0x0
	v_fma_f32 v28, -v29, v30, v28
.LBB102_559:                            ;   in Loop: Header=BB102_3 Depth=1
	s_or_b32 exec_lo, exec_lo, s45
	s_barrier_signal -1
	s_barrier_wait -1
	s_mov_b32 s45, exec_lo
	v_readlane_b32 s46, v89, 8
	s_and_b32 s46, s45, s46
	s_delay_alu instid0(SALU_CYCLE_1)
	s_mov_b32 exec_lo, s46
	s_cbranch_execz .LBB102_561
; %bb.560:                              ;   in Loop: Header=BB102_3 Depth=1
	ds_load_b32 v29, v3 offset:7540
	s_wait_dscnt 0x0
	v_mul_f32_e32 v28, v28, v29
	s_delay_alu instid0(VALU_DEP_1)
	v_xor_b32_e32 v29, 0x80000000, v28
	ds_store_b32 v52, v29
.LBB102_561:                            ;   in Loop: Header=BB102_3 Depth=1
	s_or_b32 exec_lo, exec_lo, s45
	s_wait_dscnt 0x0
	;; [unrolled: 33-line block ×30, first 2 shown]
	s_barrier_signal -1
	s_barrier_wait -1
	s_and_saveexec_b32 s45, s14
	s_cbranch_execz .LBB102_675
; %bb.674:                              ;   in Loop: Header=BB102_3 Depth=1
	ds_load_b32 v29, v3 offset:256
	ds_load_b32 v30, v52
	s_wait_dscnt 0x0
	v_fma_f32 v28, -v29, v30, v28
.LBB102_675:                            ;   in Loop: Header=BB102_3 Depth=1
	s_or_b32 exec_lo, exec_lo, s45
	s_barrier_signal -1
	s_barrier_wait -1
	s_and_saveexec_b32 s45, s14
	s_cbranch_execz .LBB102_677
; %bb.676:                              ;   in Loop: Header=BB102_3 Depth=1
	ds_load_b32 v29, v3
	s_wait_dscnt 0x0
	v_mul_f32_e32 v28, v28, v29
	s_delay_alu instid0(VALU_DEP_1)
	v_xor_b32_e32 v29, 0x80000000, v28
	ds_store_b32 v52, v29
.LBB102_677:                            ;   in Loop: Header=BB102_3 Depth=1
	s_or_b32 exec_lo, exec_lo, s45
	s_wait_dscnt 0x0
	s_barrier_signal -1
	s_barrier_wait -1
	s_barrier_signal -1
	s_barrier_wait -1
	s_and_saveexec_b32 s45, s7
; %bb.678:                              ;   in Loop: Header=BB102_3 Depth=1
	ds_store_b32 v65, v28 offset:16128
; %bb.679:                              ;   in Loop: Header=BB102_3 Depth=1
	s_or_b32 exec_lo, exec_lo, s45
	s_wait_dscnt 0x0
	s_barrier_signal -1
	s_barrier_wait -1
	s_barrier_signal -1
	s_barrier_wait -1
	s_mov_b32 s65, exec_lo
	v_readlane_b32 s45, v87, 1
	s_and_b32 s45, s65, s45
	s_delay_alu instid0(SALU_CYCLE_1)
	s_mov_b32 exec_lo, s45
	s_cbranch_execz .LBB102_681
; %bb.680:                              ;   in Loop: Header=BB102_3 Depth=1
	ds_load_b32 v28, v38 offset:8192
	s_wait_dscnt 0x0
	ds_store_b32 v42, v28 offset:128
	ds_load_b32 v28, v38 offset:8196
	s_wait_dscnt 0x0
	ds_store_b32 v42, v28 offset:384
	;; [unrolled: 3-line block ×32, first 2 shown]
.LBB102_681:                            ;   in Loop: Header=BB102_3 Depth=1
	s_or_b32 exec_lo, exec_lo, s65
	s_wait_dscnt 0x0
	s_barrier_signal -1
	s_barrier_wait -1
	s_and_saveexec_b32 s45, s15
	s_cbranch_execz .LBB102_683
; %bb.682:                              ;   in Loop: Header=BB102_3 Depth=1
	ds_load_b64 v[28:29], v3 offset:8056
	ds_load_b32 v30, v3 offset:7800
	s_wait_dscnt 0x0
	v_mul_f32_e32 v29, v30, v29
	s_delay_alu instid0(VALU_DEP_1)
	v_mul_f32_e32 v28, v28, v29
	v_add_nc_u32_e64 v29, 0x1c00, 0
	ds_store_2addr_b32 v29, v28, v28 offset0:159 offset1:222
.LBB102_683:                            ;   in Loop: Header=BB102_3 Depth=1
	s_or_b32 exec_lo, exec_lo, s45
	v_mov_b32_e32 v28, 0
	s_wait_dscnt 0x0
	s_barrier_signal -1
	s_barrier_wait -1
	global_wb scope:SCOPE_DEV
	s_wait_storecnt 0x0
	global_inv scope:SCOPE_DEV
	s_and_saveexec_b32 s45, s2
	s_cbranch_execz .LBB102_687
; %bb.684:                              ;   in Loop: Header=BB102_3 Depth=1
	ds_load_b32 v28, v35 offset:7792
	ds_load_b32 v29, v34 offset:8056
	s_wait_dscnt 0x0
	v_fma_f32 v28, v28, v29, 0
	s_and_saveexec_b32 s46, s16
	s_cbranch_execz .LBB102_686
; %bb.685:                              ;   in Loop: Header=BB102_3 Depth=1
	ds_load_b32 v29, v36 offset:8048
	ds_load_b32 v30, v3 offset:8060
	s_wait_dscnt 0x0
	v_fmac_f32_e32 v28, v29, v30
.LBB102_686:                            ;   in Loop: Header=BB102_3 Depth=1
	s_or_b32 exec_lo, exec_lo, s46
.LBB102_687:                            ;   in Loop: Header=BB102_3 Depth=1
	s_delay_alu instid0(SALU_CYCLE_1)
	s_or_b32 exec_lo, exec_lo, s45
	s_and_saveexec_b32 s45, s90
	s_cbranch_execz .LBB102_689
; %bb.688:                              ;   in Loop: Header=BB102_3 Depth=1
	ds_load_b32 v29, v3 offset:7540
	s_wait_dscnt 0x0
	v_mul_f32_e32 v28, v28, v29
	s_delay_alu instid0(VALU_DEP_1)
	v_xor_b32_e32 v29, 0x80000000, v28
	ds_store_b32 v5, v29
.LBB102_689:                            ;   in Loop: Header=BB102_3 Depth=1
	s_or_b32 exec_lo, exec_lo, s45
	s_wait_loadcnt_dscnt 0x0
	s_barrier_signal -1
	s_barrier_wait -1
	s_and_saveexec_b32 s45, s91
	s_cbranch_execz .LBB102_691
; %bb.690:                              ;   in Loop: Header=BB102_3 Depth=1
	ds_load_b32 v29, v3 offset:7536
	ds_load_b32 v30, v5
	s_wait_dscnt 0x0
	v_fma_f32 v28, -v29, v30, v28
.LBB102_691:                            ;   in Loop: Header=BB102_3 Depth=1
	s_or_b32 exec_lo, exec_lo, s45
	s_barrier_signal -1
	s_barrier_wait -1
	s_and_saveexec_b32 s45, s91
	s_cbranch_execz .LBB102_693
; %bb.692:                              ;   in Loop: Header=BB102_3 Depth=1
	ds_load_b32 v29, v3 offset:7280
	s_wait_dscnt 0x0
	v_mul_f32_e32 v28, v28, v29
	s_delay_alu instid0(VALU_DEP_1)
	v_xor_b32_e32 v29, 0x80000000, v28
	ds_store_b32 v5, v29
.LBB102_693:                            ;   in Loop: Header=BB102_3 Depth=1
	s_or_b32 exec_lo, exec_lo, s45
	s_wait_dscnt 0x0
	s_barrier_signal -1
	s_barrier_wait -1
	s_barrier_signal -1
	s_barrier_wait -1
	s_and_saveexec_b32 s45, s2
; %bb.694:                              ;   in Loop: Header=BB102_3 Depth=1
	ds_store_b32 v37, v28 offset:8048
; %bb.695:                              ;   in Loop: Header=BB102_3 Depth=1
	s_or_b32 exec_lo, exec_lo, s45
	s_wait_dscnt 0x0
	s_barrier_signal -1
	s_barrier_wait -1
	s_barrier_signal -1
	s_barrier_wait -1
	s_and_saveexec_b32 s45, s92
	s_cbranch_execz .LBB102_697
; %bb.696:                              ;   in Loop: Header=BB102_3 Depth=1
	ds_load_b32 v28, v38 offset:7792
	s_wait_dscnt 0x0
	ds_store_b32 v36, v28 offset:7288
	ds_load_b32 v28, v38 offset:7796
	s_wait_dscnt 0x0
	ds_store_b32 v36, v28 offset:7544
.LBB102_697:                            ;   in Loop: Header=BB102_3 Depth=1
	s_or_b32 exec_lo, exec_lo, s45
	s_wait_dscnt 0x0
	s_barrier_signal -1
	s_barrier_wait -1
	s_and_saveexec_b32 s45, s15
	s_cbranch_execz .LBB102_699
; %bb.698:                              ;   in Loop: Header=BB102_3 Depth=1
	ds_load_b64 v[28:29], v3 offset:7536
	ds_load_b32 v30, v3 offset:7280
	s_wait_dscnt 0x0
	v_mul_f32_e32 v29, v30, v29
	s_delay_alu instid0(VALU_DEP_1)
	v_mul_f32_e32 v28, v28, v29
	v_add_nc_u32_e64 v29, 0x1c00, 0
	ds_store_2addr_b32 v29, v28, v28 offset0:29 offset1:92
.LBB102_699:                            ;   in Loop: Header=BB102_3 Depth=1
	s_or_b32 exec_lo, exec_lo, s45
	v_mov_b32_e32 v28, 0
	s_wait_dscnt 0x0
	s_barrier_signal -1
	s_barrier_wait -1
	global_wb scope:SCOPE_DEV
	s_wait_storecnt 0x0
	global_inv scope:SCOPE_DEV
	s_and_saveexec_b32 s65, s4
	s_cbranch_execz .LBB102_705
; %bb.700:                              ;   in Loop: Header=BB102_3 Depth=1
	ds_load_b32 v28, v41 offset:7264
	ds_load_b32 v29, v40 offset:8048
	s_wait_dscnt 0x0
	v_fma_f32 v28, v28, v29, 0
	s_and_saveexec_b32 s45, s17
	s_cbranch_execnz .LBB102_1233
; %bb.701:                              ;   in Loop: Header=BB102_3 Depth=1
	s_or_b32 exec_lo, exec_lo, s45
	s_and_saveexec_b32 s45, s18
	s_cbranch_execnz .LBB102_1234
.LBB102_702:                            ;   in Loop: Header=BB102_3 Depth=1
	s_or_b32 exec_lo, exec_lo, s45
	s_and_saveexec_b32 s45, s2
	s_cbranch_execz .LBB102_704
.LBB102_703:                            ;   in Loop: Header=BB102_3 Depth=1
	ds_load_b32 v29, v42 offset:8032
	ds_load_b32 v30, v3 offset:8060
	s_wait_dscnt 0x0
	v_fmac_f32_e32 v28, v29, v30
.LBB102_704:                            ;   in Loop: Header=BB102_3 Depth=1
	s_or_b32 exec_lo, exec_lo, s45
.LBB102_705:                            ;   in Loop: Header=BB102_3 Depth=1
	s_delay_alu instid0(SALU_CYCLE_1)
	s_or_b32 exec_lo, exec_lo, s65
	s_and_saveexec_b32 s45, s93
	s_cbranch_execz .LBB102_707
; %bb.706:                              ;   in Loop: Header=BB102_3 Depth=1
	ds_load_b32 v29, v3 offset:7020
	s_wait_dscnt 0x0
	v_mul_f32_e32 v28, v28, v29
	s_delay_alu instid0(VALU_DEP_1)
	v_xor_b32_e32 v29, 0x80000000, v28
	ds_store_b32 v39, v29
.LBB102_707:                            ;   in Loop: Header=BB102_3 Depth=1
	s_or_b32 exec_lo, exec_lo, s45
	s_wait_loadcnt_dscnt 0x0
	s_barrier_signal -1
	s_barrier_wait -1
	s_and_saveexec_b32 s45, s94
	s_cbranch_execz .LBB102_709
; %bb.708:                              ;   in Loop: Header=BB102_3 Depth=1
	ds_load_b32 v29, v41 offset:7008
	ds_load_b32 v30, v39
	s_wait_dscnt 0x0
	v_fma_f32 v28, -v29, v30, v28
.LBB102_709:                            ;   in Loop: Header=BB102_3 Depth=1
	s_or_b32 exec_lo, exec_lo, s45
	s_barrier_signal -1
	s_barrier_wait -1
	s_and_saveexec_b32 s45, s95
	s_cbranch_execz .LBB102_711
; %bb.710:                              ;   in Loop: Header=BB102_3 Depth=1
	ds_load_b32 v29, v3 offset:6760
	s_wait_dscnt 0x0
	v_mul_f32_e32 v28, v28, v29
	s_delay_alu instid0(VALU_DEP_1)
	v_xor_b32_e32 v29, 0x80000000, v28
	ds_store_b32 v39, v29
.LBB102_711:                            ;   in Loop: Header=BB102_3 Depth=1
	s_or_b32 exec_lo, exec_lo, s45
	s_wait_dscnt 0x0
	s_barrier_signal -1
	s_barrier_wait -1
	s_and_saveexec_b32 s45, s96
	s_cbranch_execz .LBB102_713
; %bb.712:                              ;   in Loop: Header=BB102_3 Depth=1
	ds_load_b32 v29, v41 offset:6752
	ds_load_b32 v30, v39
	s_wait_dscnt 0x0
	v_fma_f32 v28, -v29, v30, v28
.LBB102_713:                            ;   in Loop: Header=BB102_3 Depth=1
	s_or_b32 exec_lo, exec_lo, s45
	s_barrier_signal -1
	s_barrier_wait -1
	s_and_saveexec_b32 s45, s97
	s_cbranch_execz .LBB102_715
; %bb.714:                              ;   in Loop: Header=BB102_3 Depth=1
	ds_load_b32 v29, v3 offset:6500
	s_wait_dscnt 0x0
	v_mul_f32_e32 v28, v28, v29
	s_delay_alu instid0(VALU_DEP_1)
	v_xor_b32_e32 v29, 0x80000000, v28
	ds_store_b32 v39, v29
.LBB102_715:                            ;   in Loop: Header=BB102_3 Depth=1
	s_or_b32 exec_lo, exec_lo, s45
	s_wait_dscnt 0x0
	s_barrier_signal -1
	s_barrier_wait -1
	s_and_saveexec_b32 s45, s98
	s_cbranch_execz .LBB102_717
; %bb.716:                              ;   in Loop: Header=BB102_3 Depth=1
	ds_load_b32 v29, v3 offset:6496
	ds_load_b32 v30, v39
	s_wait_dscnt 0x0
	v_fma_f32 v28, -v29, v30, v28
.LBB102_717:                            ;   in Loop: Header=BB102_3 Depth=1
	s_or_b32 exec_lo, exec_lo, s45
	s_barrier_signal -1
	s_barrier_wait -1
	s_and_saveexec_b32 s45, s98
	s_cbranch_execz .LBB102_719
; %bb.718:                              ;   in Loop: Header=BB102_3 Depth=1
	ds_load_b32 v29, v3 offset:6240
	s_wait_dscnt 0x0
	v_mul_f32_e32 v28, v28, v29
	s_delay_alu instid0(VALU_DEP_1)
	v_xor_b32_e32 v29, 0x80000000, v28
	ds_store_b32 v39, v29
.LBB102_719:                            ;   in Loop: Header=BB102_3 Depth=1
	s_or_b32 exec_lo, exec_lo, s45
	s_wait_dscnt 0x0
	s_barrier_signal -1
	s_barrier_wait -1
	s_barrier_signal -1
	s_barrier_wait -1
	s_and_saveexec_b32 s45, s4
; %bb.720:                              ;   in Loop: Header=BB102_3 Depth=1
	ds_store_b32 v43, v28 offset:8032
; %bb.721:                              ;   in Loop: Header=BB102_3 Depth=1
	s_or_b32 exec_lo, exec_lo, s45
	s_wait_dscnt 0x0
	s_barrier_signal -1
	s_barrier_wait -1
	s_barrier_signal -1
	s_barrier_wait -1
	s_and_saveexec_b32 s45, s99
	s_cbranch_execz .LBB102_723
; %bb.722:                              ;   in Loop: Header=BB102_3 Depth=1
	ds_load_b32 v28, v7 offset:7264
	s_wait_dscnt 0x0
	ds_store_b32 v53, v28 offset:6256
	ds_load_b32 v28, v7 offset:7268
	s_wait_dscnt 0x0
	ds_store_b32 v53, v28 offset:6512
	;; [unrolled: 3-line block ×4, first 2 shown]
.LBB102_723:                            ;   in Loop: Header=BB102_3 Depth=1
	s_or_b32 exec_lo, exec_lo, s45
	s_wait_dscnt 0x0
	s_barrier_signal -1
	s_barrier_wait -1
	s_and_saveexec_b32 s45, s15
	s_cbranch_execz .LBB102_725
; %bb.724:                              ;   in Loop: Header=BB102_3 Depth=1
	ds_load_b64 v[28:29], v3 offset:7016
	ds_load_b32 v30, v3 offset:6760
	s_wait_dscnt 0x0
	v_mul_f32_e32 v29, v30, v29
	s_delay_alu instid0(VALU_DEP_1)
	v_mul_f32_e32 v28, v28, v29
	v_add_nc_u32_e64 v29, 0x1800, 0
	ds_store_2addr_b32 v29, v28, v28 offset0:155 offset1:218
.LBB102_725:                            ;   in Loop: Header=BB102_3 Depth=1
	s_or_b32 exec_lo, exec_lo, s45
	v_mov_b32_e32 v28, 0
	s_wait_dscnt 0x0
	s_barrier_signal -1
	s_barrier_wait -1
	global_wb scope:SCOPE_DEV
	s_wait_storecnt 0x0
	global_inv scope:SCOPE_DEV
	s_and_saveexec_b32 s45, s2
	s_cbranch_execz .LBB102_729
; %bb.726:                              ;   in Loop: Header=BB102_3 Depth=1
	ds_load_b32 v28, v35 offset:6752
	ds_load_b32 v29, v34 offset:7016
	s_wait_dscnt 0x0
	v_fma_f32 v28, v28, v29, 0
	s_and_saveexec_b32 s46, s16
	s_cbranch_execz .LBB102_728
; %bb.727:                              ;   in Loop: Header=BB102_3 Depth=1
	ds_load_b32 v29, v53 offset:7008
	ds_load_b32 v30, v3 offset:7020
	s_wait_dscnt 0x0
	v_fmac_f32_e32 v28, v29, v30
.LBB102_728:                            ;   in Loop: Header=BB102_3 Depth=1
	s_or_b32 exec_lo, exec_lo, s46
.LBB102_729:                            ;   in Loop: Header=BB102_3 Depth=1
	s_delay_alu instid0(SALU_CYCLE_1)
	s_or_b32 exec_lo, exec_lo, s45
	s_and_saveexec_b32 s45, s90
	s_cbranch_execz .LBB102_731
; %bb.730:                              ;   in Loop: Header=BB102_3 Depth=1
	ds_load_b32 v29, v3 offset:6500
	s_wait_dscnt 0x0
	v_mul_f32_e32 v28, v28, v29
	s_delay_alu instid0(VALU_DEP_1)
	v_xor_b32_e32 v29, 0x80000000, v28
	ds_store_b32 v5, v29
.LBB102_731:                            ;   in Loop: Header=BB102_3 Depth=1
	s_or_b32 exec_lo, exec_lo, s45
	s_wait_loadcnt_dscnt 0x0
	s_barrier_signal -1
	s_barrier_wait -1
	s_and_saveexec_b32 s45, s91
	s_cbranch_execz .LBB102_733
; %bb.732:                              ;   in Loop: Header=BB102_3 Depth=1
	ds_load_b32 v29, v3 offset:6496
	ds_load_b32 v30, v5
	s_wait_dscnt 0x0
	v_fma_f32 v28, -v29, v30, v28
.LBB102_733:                            ;   in Loop: Header=BB102_3 Depth=1
	s_or_b32 exec_lo, exec_lo, s45
	s_barrier_signal -1
	s_barrier_wait -1
	s_and_saveexec_b32 s45, s91
	s_cbranch_execz .LBB102_735
; %bb.734:                              ;   in Loop: Header=BB102_3 Depth=1
	ds_load_b32 v29, v3 offset:6240
	s_wait_dscnt 0x0
	v_mul_f32_e32 v28, v28, v29
	s_delay_alu instid0(VALU_DEP_1)
	v_xor_b32_e32 v29, 0x80000000, v28
	ds_store_b32 v5, v29
.LBB102_735:                            ;   in Loop: Header=BB102_3 Depth=1
	s_or_b32 exec_lo, exec_lo, s45
	s_wait_dscnt 0x0
	s_barrier_signal -1
	s_barrier_wait -1
	s_barrier_signal -1
	s_barrier_wait -1
	s_and_saveexec_b32 s45, s2
; %bb.736:                              ;   in Loop: Header=BB102_3 Depth=1
	ds_store_b32 v37, v28 offset:7008
; %bb.737:                              ;   in Loop: Header=BB102_3 Depth=1
	s_or_b32 exec_lo, exec_lo, s45
	s_wait_dscnt 0x0
	s_barrier_signal -1
	s_barrier_wait -1
	s_barrier_signal -1
	s_barrier_wait -1
	s_and_saveexec_b32 s45, s92
	s_cbranch_execz .LBB102_739
; %bb.738:                              ;   in Loop: Header=BB102_3 Depth=1
	ds_load_b32 v28, v54 offset:6752
	s_wait_dscnt 0x0
	ds_store_b32 v53, v28 offset:6248
	ds_load_b32 v28, v54 offset:6756
	s_wait_dscnt 0x0
	ds_store_b32 v53, v28 offset:6504
.LBB102_739:                            ;   in Loop: Header=BB102_3 Depth=1
	s_or_b32 exec_lo, exec_lo, s45
	s_wait_dscnt 0x0
	s_barrier_signal -1
	s_barrier_wait -1
	s_and_saveexec_b32 s45, s15
	s_cbranch_execz .LBB102_741
; %bb.740:                              ;   in Loop: Header=BB102_3 Depth=1
	ds_load_b64 v[28:29], v3 offset:6496
	ds_load_b32 v30, v3 offset:6240
	s_wait_dscnt 0x0
	v_mul_f32_e32 v29, v30, v29
	s_delay_alu instid0(VALU_DEP_1)
	v_mul_f32_e32 v28, v28, v29
	v_add_nc_u32_e64 v29, 0x1800, 0
	ds_store_2addr_b32 v29, v28, v28 offset0:25 offset1:88
.LBB102_741:                            ;   in Loop: Header=BB102_3 Depth=1
	s_or_b32 exec_lo, exec_lo, s45
	v_mov_b32_e32 v28, 0
	s_wait_dscnt 0x0
	s_barrier_signal -1
	s_barrier_wait -1
	global_wb scope:SCOPE_DEV
	s_wait_storecnt 0x0
	global_inv scope:SCOPE_DEV
	s_and_saveexec_b32 s65, s5
	s_cbranch_execz .LBB102_751
; %bb.742:                              ;   in Loop: Header=BB102_3 Depth=1
	ds_load_b32 v28, v46 offset:6208
	ds_load_b32 v29, v45 offset:8032
	s_wait_dscnt 0x0
	v_fma_f32 v28, v28, v29, 0
	s_and_saveexec_b32 s45, s19
	s_cbranch_execnz .LBB102_1235
; %bb.743:                              ;   in Loop: Header=BB102_3 Depth=1
	s_or_b32 exec_lo, exec_lo, s45
	s_and_saveexec_b32 s45, s20
	s_cbranch_execnz .LBB102_1236
.LBB102_744:                            ;   in Loop: Header=BB102_3 Depth=1
	s_or_b32 exec_lo, exec_lo, s45
	s_and_saveexec_b32 s45, s21
	s_cbranch_execnz .LBB102_1237
.LBB102_745:                            ;   in Loop: Header=BB102_3 Depth=1
	s_or_b32 exec_lo, exec_lo, s45
	s_and_saveexec_b32 s45, s22
	s_cbranch_execnz .LBB102_1238
.LBB102_746:                            ;   in Loop: Header=BB102_3 Depth=1
	s_or_b32 exec_lo, exec_lo, s45
	s_and_saveexec_b32 s45, s23
	s_cbranch_execnz .LBB102_1239
.LBB102_747:                            ;   in Loop: Header=BB102_3 Depth=1
	s_or_b32 exec_lo, exec_lo, s45
	s_and_saveexec_b32 s45, s4
	s_cbranch_execnz .LBB102_1240
.LBB102_748:                            ;   in Loop: Header=BB102_3 Depth=1
	s_or_b32 exec_lo, exec_lo, s45
	s_and_saveexec_b32 s45, s18
	s_cbranch_execz .LBB102_750
.LBB102_749:                            ;   in Loop: Header=BB102_3 Depth=1
	ds_load_b32 v29, v55 offset:8000
	ds_load_b32 v30, v3 offset:8060
	s_wait_dscnt 0x0
	v_fmac_f32_e32 v28, v29, v30
.LBB102_750:                            ;   in Loop: Header=BB102_3 Depth=1
	s_or_b32 exec_lo, exec_lo, s45
.LBB102_751:                            ;   in Loop: Header=BB102_3 Depth=1
	s_delay_alu instid0(SALU_CYCLE_1)
	s_or_b32 exec_lo, exec_lo, s65
	s_and_saveexec_b32 s45, s100
	s_cbranch_execz .LBB102_753
; %bb.752:                              ;   in Loop: Header=BB102_3 Depth=1
	ds_load_b32 v29, v3 offset:5980
	s_wait_dscnt 0x0
	v_mul_f32_e32 v28, v28, v29
	s_delay_alu instid0(VALU_DEP_1)
	v_xor_b32_e32 v29, 0x80000000, v28
	ds_store_b32 v44, v29
.LBB102_753:                            ;   in Loop: Header=BB102_3 Depth=1
	s_or_b32 exec_lo, exec_lo, s45
	s_wait_loadcnt_dscnt 0x0
	s_barrier_signal -1
	s_barrier_wait -1
	s_and_saveexec_b32 s45, s101
	s_cbranch_execz .LBB102_755
; %bb.754:                              ;   in Loop: Header=BB102_3 Depth=1
	ds_load_b32 v29, v46 offset:5952
	ds_load_b32 v30, v44
	s_wait_dscnt 0x0
	v_fma_f32 v28, -v29, v30, v28
.LBB102_755:                            ;   in Loop: Header=BB102_3 Depth=1
	s_or_b32 exec_lo, exec_lo, s45
	s_barrier_signal -1
	s_barrier_wait -1
	s_and_saveexec_b32 s45, s102
	s_cbranch_execz .LBB102_757
; %bb.756:                              ;   in Loop: Header=BB102_3 Depth=1
	ds_load_b32 v29, v3 offset:5720
	s_wait_dscnt 0x0
	v_mul_f32_e32 v28, v28, v29
	s_delay_alu instid0(VALU_DEP_1)
	v_xor_b32_e32 v29, 0x80000000, v28
	ds_store_b32 v44, v29
.LBB102_757:                            ;   in Loop: Header=BB102_3 Depth=1
	s_or_b32 exec_lo, exec_lo, s45
	s_wait_dscnt 0x0
	s_barrier_signal -1
	s_barrier_wait -1
	s_and_saveexec_b32 s45, s103
	s_cbranch_execz .LBB102_759
; %bb.758:                              ;   in Loop: Header=BB102_3 Depth=1
	ds_load_b32 v29, v46 offset:5696
	ds_load_b32 v30, v44
	s_wait_dscnt 0x0
	v_fma_f32 v28, -v29, v30, v28
.LBB102_759:                            ;   in Loop: Header=BB102_3 Depth=1
	s_or_b32 exec_lo, exec_lo, s45
	s_barrier_signal -1
	s_barrier_wait -1
	s_and_saveexec_b32 s45, s104
	s_cbranch_execz .LBB102_761
; %bb.760:                              ;   in Loop: Header=BB102_3 Depth=1
	ds_load_b32 v29, v3 offset:5460
	s_wait_dscnt 0x0
	v_mul_f32_e32 v28, v28, v29
	s_delay_alu instid0(VALU_DEP_1)
	v_xor_b32_e32 v29, 0x80000000, v28
	ds_store_b32 v44, v29
.LBB102_761:                            ;   in Loop: Header=BB102_3 Depth=1
	s_or_b32 exec_lo, exec_lo, s45
	s_wait_dscnt 0x0
	s_barrier_signal -1
	s_barrier_wait -1
	s_and_saveexec_b32 s45, vcc_hi
	s_cbranch_execz .LBB102_763
; %bb.762:                              ;   in Loop: Header=BB102_3 Depth=1
	ds_load_b32 v29, v46 offset:5440
	ds_load_b32 v30, v44
	s_wait_dscnt 0x0
	v_fma_f32 v28, -v29, v30, v28
.LBB102_763:                            ;   in Loop: Header=BB102_3 Depth=1
	s_or_b32 exec_lo, exec_lo, s45
	s_barrier_signal -1
	s_barrier_wait -1
	s_and_saveexec_b32 s45, s36
	s_cbranch_execz .LBB102_765
; %bb.764:                              ;   in Loop: Header=BB102_3 Depth=1
	ds_load_b32 v29, v3 offset:5200
	s_wait_dscnt 0x0
	v_mul_f32_e32 v28, v28, v29
	s_delay_alu instid0(VALU_DEP_1)
	v_xor_b32_e32 v29, 0x80000000, v28
	ds_store_b32 v44, v29
.LBB102_765:                            ;   in Loop: Header=BB102_3 Depth=1
	s_or_b32 exec_lo, exec_lo, s45
	s_wait_dscnt 0x0
	s_barrier_signal -1
	s_barrier_wait -1
	s_and_saveexec_b32 s45, s37
	s_cbranch_execz .LBB102_767
; %bb.766:                              ;   in Loop: Header=BB102_3 Depth=1
	ds_load_b32 v29, v46 offset:5184
	ds_load_b32 v30, v44
	s_wait_dscnt 0x0
	v_fma_f32 v28, -v29, v30, v28
.LBB102_767:                            ;   in Loop: Header=BB102_3 Depth=1
	s_or_b32 exec_lo, exec_lo, s45
	s_barrier_signal -1
	s_barrier_wait -1
	s_and_saveexec_b32 s45, s38
	s_cbranch_execz .LBB102_769
; %bb.768:                              ;   in Loop: Header=BB102_3 Depth=1
	ds_load_b32 v29, v3 offset:4940
	s_wait_dscnt 0x0
	v_mul_f32_e32 v28, v28, v29
	s_delay_alu instid0(VALU_DEP_1)
	v_xor_b32_e32 v29, 0x80000000, v28
	ds_store_b32 v44, v29
.LBB102_769:                            ;   in Loop: Header=BB102_3 Depth=1
	s_or_b32 exec_lo, exec_lo, s45
	s_wait_dscnt 0x0
	s_barrier_signal -1
	s_barrier_wait -1
	s_and_saveexec_b32 s45, s39
	;; [unrolled: 25-line block ×4, first 2 shown]
	s_cbranch_execz .LBB102_779
; %bb.778:                              ;   in Loop: Header=BB102_3 Depth=1
	ds_load_b32 v29, v3 offset:4416
	ds_load_b32 v30, v44
	s_wait_dscnt 0x0
	v_fma_f32 v28, -v29, v30, v28
.LBB102_779:                            ;   in Loop: Header=BB102_3 Depth=1
	s_or_b32 exec_lo, exec_lo, s45
	s_barrier_signal -1
	s_barrier_wait -1
	s_and_saveexec_b32 s45, s43
	s_cbranch_execz .LBB102_781
; %bb.780:                              ;   in Loop: Header=BB102_3 Depth=1
	ds_load_b32 v29, v3 offset:4160
	s_wait_dscnt 0x0
	v_mul_f32_e32 v28, v28, v29
	s_delay_alu instid0(VALU_DEP_1)
	v_xor_b32_e32 v29, 0x80000000, v28
	ds_store_b32 v44, v29
.LBB102_781:                            ;   in Loop: Header=BB102_3 Depth=1
	s_or_b32 exec_lo, exec_lo, s45
	s_wait_dscnt 0x0
	s_barrier_signal -1
	s_barrier_wait -1
	s_barrier_signal -1
	s_barrier_wait -1
	s_and_saveexec_b32 s45, s5
; %bb.782:                              ;   in Loop: Header=BB102_3 Depth=1
	ds_store_b32 v47, v28 offset:8000
; %bb.783:                              ;   in Loop: Header=BB102_3 Depth=1
	s_or_b32 exec_lo, exec_lo, s45
	s_wait_dscnt 0x0
	s_barrier_signal -1
	s_barrier_wait -1
	s_barrier_signal -1
	s_barrier_wait -1
	s_and_saveexec_b32 s45, s44
	s_cbranch_execz .LBB102_785
; %bb.784:                              ;   in Loop: Header=BB102_3 Depth=1
	ds_load_b32 v28, v56 offset:6208
	s_wait_dscnt 0x0
	ds_store_b32 v57, v28 offset:4192
	ds_load_b32 v28, v56 offset:6212
	s_wait_dscnt 0x0
	ds_store_b32 v57, v28 offset:4448
	;; [unrolled: 3-line block ×8, first 2 shown]
.LBB102_785:                            ;   in Loop: Header=BB102_3 Depth=1
	s_or_b32 exec_lo, exec_lo, s45
	s_wait_dscnt 0x0
	s_barrier_signal -1
	s_barrier_wait -1
	s_and_saveexec_b32 s45, s15
	s_cbranch_execz .LBB102_787
; %bb.786:                              ;   in Loop: Header=BB102_3 Depth=1
	ds_load_b64 v[28:29], v3 offset:5976
	ds_load_b32 v30, v3 offset:5720
	s_wait_dscnt 0x0
	v_mul_f32_e32 v29, v30, v29
	s_delay_alu instid0(VALU_DEP_1)
	v_mul_f32_e32 v28, v28, v29
	v_add_nc_u32_e64 v29, 0x1400, 0
	ds_store_2addr_b32 v29, v28, v28 offset0:151 offset1:214
.LBB102_787:                            ;   in Loop: Header=BB102_3 Depth=1
	s_or_b32 exec_lo, exec_lo, s45
	v_mov_b32_e32 v28, 0
	s_wait_dscnt 0x0
	s_barrier_signal -1
	s_barrier_wait -1
	global_wb scope:SCOPE_DEV
	s_wait_storecnt 0x0
	global_inv scope:SCOPE_DEV
	s_and_saveexec_b32 s45, s2
	s_cbranch_execz .LBB102_791
; %bb.788:                              ;   in Loop: Header=BB102_3 Depth=1
	ds_load_b32 v28, v35 offset:5712
	ds_load_b32 v29, v34 offset:5976
	s_wait_dscnt 0x0
	v_fma_f32 v28, v28, v29, 0
	s_and_saveexec_b32 s46, s16
	s_cbranch_execz .LBB102_790
; %bb.789:                              ;   in Loop: Header=BB102_3 Depth=1
	ds_load_b32 v29, v57 offset:5968
	ds_load_b32 v30, v3 offset:5980
	s_wait_dscnt 0x0
	v_fmac_f32_e32 v28, v29, v30
.LBB102_790:                            ;   in Loop: Header=BB102_3 Depth=1
	s_or_b32 exec_lo, exec_lo, s46
.LBB102_791:                            ;   in Loop: Header=BB102_3 Depth=1
	s_delay_alu instid0(SALU_CYCLE_1)
	s_or_b32 exec_lo, exec_lo, s45
	s_and_saveexec_b32 s45, s90
	s_cbranch_execz .LBB102_793
; %bb.792:                              ;   in Loop: Header=BB102_3 Depth=1
	ds_load_b32 v29, v3 offset:5460
	s_wait_dscnt 0x0
	v_mul_f32_e32 v28, v28, v29
	s_delay_alu instid0(VALU_DEP_1)
	v_xor_b32_e32 v29, 0x80000000, v28
	ds_store_b32 v5, v29
.LBB102_793:                            ;   in Loop: Header=BB102_3 Depth=1
	s_or_b32 exec_lo, exec_lo, s45
	s_wait_loadcnt_dscnt 0x0
	s_barrier_signal -1
	s_barrier_wait -1
	s_and_saveexec_b32 s45, s91
	s_cbranch_execz .LBB102_795
; %bb.794:                              ;   in Loop: Header=BB102_3 Depth=1
	ds_load_b32 v29, v3 offset:5456
	ds_load_b32 v30, v5
	s_wait_dscnt 0x0
	v_fma_f32 v28, -v29, v30, v28
.LBB102_795:                            ;   in Loop: Header=BB102_3 Depth=1
	s_or_b32 exec_lo, exec_lo, s45
	s_barrier_signal -1
	s_barrier_wait -1
	s_and_saveexec_b32 s45, s91
	s_cbranch_execz .LBB102_797
; %bb.796:                              ;   in Loop: Header=BB102_3 Depth=1
	ds_load_b32 v29, v3 offset:5200
	s_wait_dscnt 0x0
	v_mul_f32_e32 v28, v28, v29
	s_delay_alu instid0(VALU_DEP_1)
	v_xor_b32_e32 v29, 0x80000000, v28
	ds_store_b32 v5, v29
.LBB102_797:                            ;   in Loop: Header=BB102_3 Depth=1
	s_or_b32 exec_lo, exec_lo, s45
	s_wait_dscnt 0x0
	s_barrier_signal -1
	s_barrier_wait -1
	s_barrier_signal -1
	s_barrier_wait -1
	s_and_saveexec_b32 s45, s2
; %bb.798:                              ;   in Loop: Header=BB102_3 Depth=1
	ds_store_b32 v37, v28 offset:5968
; %bb.799:                              ;   in Loop: Header=BB102_3 Depth=1
	s_or_b32 exec_lo, exec_lo, s45
	s_wait_dscnt 0x0
	s_barrier_signal -1
	s_barrier_wait -1
	s_barrier_signal -1
	s_barrier_wait -1
	s_and_saveexec_b32 s45, s92
	s_cbranch_execz .LBB102_801
; %bb.800:                              ;   in Loop: Header=BB102_3 Depth=1
	ds_load_b32 v28, v58 offset:5712
	s_wait_dscnt 0x0
	ds_store_b32 v57, v28 offset:5208
	ds_load_b32 v28, v58 offset:5716
	s_wait_dscnt 0x0
	ds_store_b32 v57, v28 offset:5464
.LBB102_801:                            ;   in Loop: Header=BB102_3 Depth=1
	s_or_b32 exec_lo, exec_lo, s45
	s_wait_dscnt 0x0
	s_barrier_signal -1
	s_barrier_wait -1
	s_and_saveexec_b32 s45, s15
	s_cbranch_execz .LBB102_803
; %bb.802:                              ;   in Loop: Header=BB102_3 Depth=1
	ds_load_b64 v[28:29], v3 offset:5456
	ds_load_b32 v30, v3 offset:5200
	s_wait_dscnt 0x0
	v_mul_f32_e32 v29, v30, v29
	s_delay_alu instid0(VALU_DEP_1)
	v_mul_f32_e32 v28, v28, v29
	v_add_nc_u32_e64 v29, 0x1400, 0
	ds_store_2addr_b32 v29, v28, v28 offset0:21 offset1:84
.LBB102_803:                            ;   in Loop: Header=BB102_3 Depth=1
	s_or_b32 exec_lo, exec_lo, s45
	v_mov_b32_e32 v28, 0
	s_wait_dscnt 0x0
	s_barrier_signal -1
	s_barrier_wait -1
	global_wb scope:SCOPE_DEV
	s_wait_storecnt 0x0
	global_inv scope:SCOPE_DEV
	s_and_saveexec_b32 s65, s4
	s_cbranch_execz .LBB102_809
; %bb.804:                              ;   in Loop: Header=BB102_3 Depth=1
	ds_load_b32 v28, v41 offset:5184
	ds_load_b32 v29, v40 offset:5968
	s_wait_dscnt 0x0
	v_fma_f32 v28, v28, v29, 0
	s_and_saveexec_b32 s45, s17
	s_cbranch_execnz .LBB102_1241
; %bb.805:                              ;   in Loop: Header=BB102_3 Depth=1
	s_or_b32 exec_lo, exec_lo, s45
	s_and_saveexec_b32 s45, s18
	s_cbranch_execnz .LBB102_1242
.LBB102_806:                            ;   in Loop: Header=BB102_3 Depth=1
	s_or_b32 exec_lo, exec_lo, s45
	s_and_saveexec_b32 s45, s2
	s_cbranch_execz .LBB102_808
.LBB102_807:                            ;   in Loop: Header=BB102_3 Depth=1
	ds_load_b32 v29, v59 offset:5952
	ds_load_b32 v30, v3 offset:5980
	s_wait_dscnt 0x0
	v_fmac_f32_e32 v28, v29, v30
.LBB102_808:                            ;   in Loop: Header=BB102_3 Depth=1
	s_or_b32 exec_lo, exec_lo, s45
.LBB102_809:                            ;   in Loop: Header=BB102_3 Depth=1
	s_delay_alu instid0(SALU_CYCLE_1)
	s_or_b32 exec_lo, exec_lo, s65
	s_and_saveexec_b32 s45, s93
	s_cbranch_execz .LBB102_811
; %bb.810:                              ;   in Loop: Header=BB102_3 Depth=1
	ds_load_b32 v29, v3 offset:4940
	s_wait_dscnt 0x0
	v_mul_f32_e32 v28, v28, v29
	s_delay_alu instid0(VALU_DEP_1)
	v_xor_b32_e32 v29, 0x80000000, v28
	ds_store_b32 v39, v29
.LBB102_811:                            ;   in Loop: Header=BB102_3 Depth=1
	s_or_b32 exec_lo, exec_lo, s45
	s_wait_loadcnt_dscnt 0x0
	s_barrier_signal -1
	s_barrier_wait -1
	s_and_saveexec_b32 s45, s94
	s_cbranch_execz .LBB102_813
; %bb.812:                              ;   in Loop: Header=BB102_3 Depth=1
	ds_load_b32 v29, v41 offset:4928
	ds_load_b32 v30, v39
	s_wait_dscnt 0x0
	v_fma_f32 v28, -v29, v30, v28
.LBB102_813:                            ;   in Loop: Header=BB102_3 Depth=1
	s_or_b32 exec_lo, exec_lo, s45
	s_barrier_signal -1
	s_barrier_wait -1
	s_and_saveexec_b32 s45, s95
	s_cbranch_execz .LBB102_815
; %bb.814:                              ;   in Loop: Header=BB102_3 Depth=1
	ds_load_b32 v29, v3 offset:4680
	s_wait_dscnt 0x0
	v_mul_f32_e32 v28, v28, v29
	s_delay_alu instid0(VALU_DEP_1)
	v_xor_b32_e32 v29, 0x80000000, v28
	ds_store_b32 v39, v29
.LBB102_815:                            ;   in Loop: Header=BB102_3 Depth=1
	s_or_b32 exec_lo, exec_lo, s45
	s_wait_dscnt 0x0
	s_barrier_signal -1
	s_barrier_wait -1
	s_and_saveexec_b32 s45, s96
	s_cbranch_execz .LBB102_817
; %bb.816:                              ;   in Loop: Header=BB102_3 Depth=1
	ds_load_b32 v29, v41 offset:4672
	ds_load_b32 v30, v39
	s_wait_dscnt 0x0
	v_fma_f32 v28, -v29, v30, v28
.LBB102_817:                            ;   in Loop: Header=BB102_3 Depth=1
	s_or_b32 exec_lo, exec_lo, s45
	s_barrier_signal -1
	s_barrier_wait -1
	s_and_saveexec_b32 s45, s97
	s_cbranch_execz .LBB102_819
; %bb.818:                              ;   in Loop: Header=BB102_3 Depth=1
	ds_load_b32 v29, v3 offset:4420
	s_wait_dscnt 0x0
	v_mul_f32_e32 v28, v28, v29
	s_delay_alu instid0(VALU_DEP_1)
	v_xor_b32_e32 v29, 0x80000000, v28
	ds_store_b32 v39, v29
.LBB102_819:                            ;   in Loop: Header=BB102_3 Depth=1
	s_or_b32 exec_lo, exec_lo, s45
	s_wait_dscnt 0x0
	;; [unrolled: 25-line block ×3, first 2 shown]
	s_barrier_signal -1
	s_barrier_wait -1
	s_barrier_signal -1
	s_barrier_wait -1
	s_and_saveexec_b32 s45, s4
; %bb.824:                              ;   in Loop: Header=BB102_3 Depth=1
	ds_store_b32 v43, v28 offset:5952
; %bb.825:                              ;   in Loop: Header=BB102_3 Depth=1
	s_or_b32 exec_lo, exec_lo, s45
	s_wait_dscnt 0x0
	s_barrier_signal -1
	s_barrier_wait -1
	s_barrier_signal -1
	s_barrier_wait -1
	s_and_saveexec_b32 s45, s99
	s_cbranch_execz .LBB102_827
; %bb.826:                              ;   in Loop: Header=BB102_3 Depth=1
	ds_load_b32 v28, v60 offset:5184
	s_wait_dscnt 0x0
	ds_store_b32 v61, v28 offset:4176
	ds_load_b32 v28, v60 offset:5188
	s_wait_dscnt 0x0
	ds_store_b32 v61, v28 offset:4432
	;; [unrolled: 3-line block ×4, first 2 shown]
.LBB102_827:                            ;   in Loop: Header=BB102_3 Depth=1
	s_or_b32 exec_lo, exec_lo, s45
	s_wait_dscnt 0x0
	s_barrier_signal -1
	s_barrier_wait -1
	s_and_saveexec_b32 s45, s15
	s_cbranch_execz .LBB102_829
; %bb.828:                              ;   in Loop: Header=BB102_3 Depth=1
	ds_load_b64 v[28:29], v3 offset:4936
	ds_load_b32 v30, v3 offset:4680
	s_wait_dscnt 0x0
	v_mul_f32_e32 v29, v30, v29
	s_delay_alu instid0(VALU_DEP_1)
	v_mul_f32_e32 v28, v28, v29
	v_add_nc_u32_e64 v29, 0x1000, 0
	ds_store_2addr_b32 v29, v28, v28 offset0:147 offset1:210
.LBB102_829:                            ;   in Loop: Header=BB102_3 Depth=1
	s_or_b32 exec_lo, exec_lo, s45
	v_mov_b32_e32 v28, 0
	s_wait_dscnt 0x0
	s_barrier_signal -1
	s_barrier_wait -1
	global_wb scope:SCOPE_DEV
	s_wait_storecnt 0x0
	global_inv scope:SCOPE_DEV
	s_and_saveexec_b32 s45, s2
	s_cbranch_execz .LBB102_833
; %bb.830:                              ;   in Loop: Header=BB102_3 Depth=1
	ds_load_b32 v28, v35 offset:4672
	ds_load_b32 v29, v34 offset:4936
	s_wait_dscnt 0x0
	v_fma_f32 v28, v28, v29, 0
	s_and_saveexec_b32 s46, s16
	s_cbranch_execz .LBB102_832
; %bb.831:                              ;   in Loop: Header=BB102_3 Depth=1
	ds_load_b32 v29, v61 offset:4928
	ds_load_b32 v30, v3 offset:4940
	s_wait_dscnt 0x0
	v_fmac_f32_e32 v28, v29, v30
.LBB102_832:                            ;   in Loop: Header=BB102_3 Depth=1
	s_or_b32 exec_lo, exec_lo, s46
.LBB102_833:                            ;   in Loop: Header=BB102_3 Depth=1
	s_delay_alu instid0(SALU_CYCLE_1)
	s_or_b32 exec_lo, exec_lo, s45
	s_and_saveexec_b32 s45, s90
	s_cbranch_execz .LBB102_835
; %bb.834:                              ;   in Loop: Header=BB102_3 Depth=1
	ds_load_b32 v29, v3 offset:4420
	s_wait_dscnt 0x0
	v_mul_f32_e32 v28, v28, v29
	s_delay_alu instid0(VALU_DEP_1)
	v_xor_b32_e32 v29, 0x80000000, v28
	ds_store_b32 v5, v29
.LBB102_835:                            ;   in Loop: Header=BB102_3 Depth=1
	s_or_b32 exec_lo, exec_lo, s45
	s_wait_loadcnt_dscnt 0x0
	s_barrier_signal -1
	s_barrier_wait -1
	s_and_saveexec_b32 s45, s91
	s_cbranch_execz .LBB102_837
; %bb.836:                              ;   in Loop: Header=BB102_3 Depth=1
	ds_load_b32 v29, v3 offset:4416
	ds_load_b32 v30, v5
	s_wait_dscnt 0x0
	v_fma_f32 v28, -v29, v30, v28
.LBB102_837:                            ;   in Loop: Header=BB102_3 Depth=1
	s_or_b32 exec_lo, exec_lo, s45
	s_barrier_signal -1
	s_barrier_wait -1
	s_and_saveexec_b32 s45, s91
	s_cbranch_execz .LBB102_839
; %bb.838:                              ;   in Loop: Header=BB102_3 Depth=1
	ds_load_b32 v29, v3 offset:4160
	s_wait_dscnt 0x0
	v_mul_f32_e32 v28, v28, v29
	s_delay_alu instid0(VALU_DEP_1)
	v_xor_b32_e32 v29, 0x80000000, v28
	ds_store_b32 v5, v29
.LBB102_839:                            ;   in Loop: Header=BB102_3 Depth=1
	s_or_b32 exec_lo, exec_lo, s45
	s_wait_dscnt 0x0
	s_barrier_signal -1
	s_barrier_wait -1
	s_barrier_signal -1
	s_barrier_wait -1
	s_and_saveexec_b32 s45, s2
; %bb.840:                              ;   in Loop: Header=BB102_3 Depth=1
	ds_store_b32 v37, v28 offset:4928
; %bb.841:                              ;   in Loop: Header=BB102_3 Depth=1
	s_or_b32 exec_lo, exec_lo, s45
	s_wait_dscnt 0x0
	s_barrier_signal -1
	s_barrier_wait -1
	s_barrier_signal -1
	s_barrier_wait -1
	s_and_saveexec_b32 s45, s92
	s_cbranch_execz .LBB102_843
; %bb.842:                              ;   in Loop: Header=BB102_3 Depth=1
	ds_load_b32 v28, v62 offset:4672
	s_wait_dscnt 0x0
	ds_store_b32 v61, v28 offset:4168
	ds_load_b32 v28, v62 offset:4676
	s_wait_dscnt 0x0
	ds_store_b32 v61, v28 offset:4424
.LBB102_843:                            ;   in Loop: Header=BB102_3 Depth=1
	s_or_b32 exec_lo, exec_lo, s45
	s_wait_dscnt 0x0
	s_barrier_signal -1
	s_barrier_wait -1
	s_and_saveexec_b32 s45, s15
	s_cbranch_execz .LBB102_845
; %bb.844:                              ;   in Loop: Header=BB102_3 Depth=1
	ds_load_b64 v[28:29], v3 offset:4416
	ds_load_b32 v30, v3 offset:4160
	s_wait_dscnt 0x0
	v_mul_f32_e32 v29, v30, v29
	s_delay_alu instid0(VALU_DEP_1)
	v_mul_f32_e32 v28, v28, v29
	v_add_nc_u32_e64 v29, 0x1000, 0
	ds_store_2addr_b32 v29, v28, v28 offset0:17 offset1:80
.LBB102_845:                            ;   in Loop: Header=BB102_3 Depth=1
	s_or_b32 exec_lo, exec_lo, s45
	v_mov_b32_e32 v28, 0
	s_wait_dscnt 0x0
	s_barrier_signal -1
	s_barrier_wait -1
	global_wb scope:SCOPE_DEV
	s_wait_storecnt 0x0
	global_inv scope:SCOPE_DEV
	s_and_saveexec_b32 s65, s6
	s_cbranch_execz .LBB102_873
; %bb.846:                              ;   in Loop: Header=BB102_3 Depth=1
	ds_load_b32 v28, v50 offset:4096
	ds_load_b32 v29, v49 offset:8000
	s_wait_dscnt 0x0
	v_fma_f32 v28, v28, v29, 0
	s_mov_b32 s45, exec_lo
	v_readlane_b32 s46, v87, 20
	s_and_b32 s46, s45, s46
	s_delay_alu instid0(SALU_CYCLE_1)
	s_mov_b32 exec_lo, s46
	s_cbranch_execz .LBB102_848
; %bb.847:                              ;   in Loop: Header=BB102_3 Depth=1
	ds_load_b32 v29, v50 offset:4352
	ds_load_b32 v30, v49 offset:8004
	s_wait_dscnt 0x0
	v_fmac_f32_e32 v28, v29, v30
.LBB102_848:                            ;   in Loop: Header=BB102_3 Depth=1
	s_or_b32 exec_lo, exec_lo, s45
	s_delay_alu instid0(SALU_CYCLE_1) | instskip(SKIP_2) | instid1(SALU_CYCLE_1)
	s_mov_b32 s45, exec_lo
	v_readlane_b32 s46, v87, 21
	s_and_b32 s46, s45, s46
	s_mov_b32 exec_lo, s46
	s_cbranch_execz .LBB102_850
; %bb.849:                              ;   in Loop: Header=BB102_3 Depth=1
	ds_load_b32 v29, v50 offset:4608
	ds_load_b32 v30, v49 offset:8008
	s_wait_dscnt 0x0
	v_fmac_f32_e32 v28, v29, v30
.LBB102_850:                            ;   in Loop: Header=BB102_3 Depth=1
	s_or_b32 exec_lo, exec_lo, s45
	s_delay_alu instid0(SALU_CYCLE_1) | instskip(SKIP_2) | instid1(SALU_CYCLE_1)
	s_mov_b32 s45, exec_lo
	v_readlane_b32 s46, v87, 22
	s_and_b32 s46, s45, s46
	;; [unrolled: 13-line block ×10, first 2 shown]
	s_mov_b32 exec_lo, s46
	s_cbranch_execnz .LBB102_1243
; %bb.867:                              ;   in Loop: Header=BB102_3 Depth=1
	s_or_b32 exec_lo, exec_lo, s45
	s_and_saveexec_b32 s45, s5
	s_cbranch_execnz .LBB102_1244
.LBB102_868:                            ;   in Loop: Header=BB102_3 Depth=1
	s_or_b32 exec_lo, exec_lo, s45
	s_and_saveexec_b32 s45, s20
	s_cbranch_execnz .LBB102_1245
.LBB102_869:                            ;   in Loop: Header=BB102_3 Depth=1
	s_or_b32 exec_lo, exec_lo, s45
	s_and_saveexec_b32 s45, s22
	s_cbranch_execnz .LBB102_1246
.LBB102_870:                            ;   in Loop: Header=BB102_3 Depth=1
	s_or_b32 exec_lo, exec_lo, s45
	s_and_saveexec_b32 s45, s4
	s_cbranch_execz .LBB102_872
.LBB102_871:                            ;   in Loop: Header=BB102_3 Depth=1
	ds_load_b32 v29, v36 offset:7936
	ds_load_b32 v30, v3 offset:8060
	s_wait_dscnt 0x0
	v_fmac_f32_e32 v28, v29, v30
.LBB102_872:                            ;   in Loop: Header=BB102_3 Depth=1
	s_or_b32 exec_lo, exec_lo, s45
.LBB102_873:                            ;   in Loop: Header=BB102_3 Depth=1
	s_delay_alu instid0(SALU_CYCLE_1) | instskip(NEXT) | instid1(SALU_CYCLE_1)
	s_or_b32 exec_lo, exec_lo, s65
	s_mov_b32 s45, exec_lo
	v_readlane_b32 s46, v89, 2
	s_and_b32 s46, s45, s46
	s_delay_alu instid0(SALU_CYCLE_1)
	s_mov_b32 exec_lo, s46
	s_cbranch_execz .LBB102_875
; %bb.874:                              ;   in Loop: Header=BB102_3 Depth=1
	ds_load_b32 v29, v3 offset:3900
	s_wait_dscnt 0x0
	v_mul_f32_e32 v28, v28, v29
	s_delay_alu instid0(VALU_DEP_1)
	v_xor_b32_e32 v29, 0x80000000, v28
	ds_store_b32 v48, v29
.LBB102_875:                            ;   in Loop: Header=BB102_3 Depth=1
	s_or_b32 exec_lo, exec_lo, s45
	s_wait_loadcnt_dscnt 0x0
	s_barrier_signal -1
	s_barrier_wait -1
	s_mov_b32 s45, exec_lo
	v_readlane_b32 s46, v89, 3
	s_and_b32 s46, s45, s46
	s_delay_alu instid0(SALU_CYCLE_1)
	s_mov_b32 exec_lo, s46
	s_cbranch_execz .LBB102_877
; %bb.876:                              ;   in Loop: Header=BB102_3 Depth=1
	ds_load_b32 v29, v50 offset:3840
	ds_load_b32 v30, v48
	s_wait_dscnt 0x0
	v_fma_f32 v28, -v29, v30, v28
.LBB102_877:                            ;   in Loop: Header=BB102_3 Depth=1
	s_or_b32 exec_lo, exec_lo, s45
	s_barrier_signal -1
	s_barrier_wait -1
	s_and_saveexec_b32 s45, s47
	s_cbranch_execz .LBB102_879
; %bb.878:                              ;   in Loop: Header=BB102_3 Depth=1
	ds_load_b32 v29, v3 offset:3640
	s_wait_dscnt 0x0
	v_mul_f32_e32 v28, v28, v29
	s_delay_alu instid0(VALU_DEP_1)
	v_xor_b32_e32 v29, 0x80000000, v28
	ds_store_b32 v48, v29
.LBB102_879:                            ;   in Loop: Header=BB102_3 Depth=1
	s_or_b32 exec_lo, exec_lo, s45
	s_wait_dscnt 0x0
	s_barrier_signal -1
	s_barrier_wait -1
	s_and_saveexec_b32 s45, s48
	s_cbranch_execz .LBB102_881
; %bb.880:                              ;   in Loop: Header=BB102_3 Depth=1
	ds_load_b32 v29, v50 offset:3584
	ds_load_b32 v30, v48
	s_wait_dscnt 0x0
	v_fma_f32 v28, -v29, v30, v28
.LBB102_881:                            ;   in Loop: Header=BB102_3 Depth=1
	s_or_b32 exec_lo, exec_lo, s45
	s_barrier_signal -1
	s_barrier_wait -1
	s_and_saveexec_b32 s45, s49
	s_cbranch_execz .LBB102_883
; %bb.882:                              ;   in Loop: Header=BB102_3 Depth=1
	ds_load_b32 v29, v3 offset:3380
	s_wait_dscnt 0x0
	v_mul_f32_e32 v28, v28, v29
	s_delay_alu instid0(VALU_DEP_1)
	v_xor_b32_e32 v29, 0x80000000, v28
	ds_store_b32 v48, v29
.LBB102_883:                            ;   in Loop: Header=BB102_3 Depth=1
	s_or_b32 exec_lo, exec_lo, s45
	s_wait_dscnt 0x0
	s_barrier_signal -1
	s_barrier_wait -1
	s_and_saveexec_b32 s45, s50
	;; [unrolled: 25-line block ×14, first 2 shown]
	s_cbranch_execz .LBB102_933
; %bb.932:                              ;   in Loop: Header=BB102_3 Depth=1
	ds_load_b32 v29, v3 offset:256
	ds_load_b32 v30, v48
	s_wait_dscnt 0x0
	v_fma_f32 v28, -v29, v30, v28
.LBB102_933:                            ;   in Loop: Header=BB102_3 Depth=1
	s_or_b32 exec_lo, exec_lo, s45
	s_barrier_signal -1
	s_barrier_wait -1
	s_and_saveexec_b32 s45, s34
	s_cbranch_execz .LBB102_935
; %bb.934:                              ;   in Loop: Header=BB102_3 Depth=1
	ds_load_b32 v29, v3
	s_wait_dscnt 0x0
	v_mul_f32_e32 v28, v28, v29
	s_delay_alu instid0(VALU_DEP_1)
	v_xor_b32_e32 v29, 0x80000000, v28
	ds_store_b32 v48, v29
.LBB102_935:                            ;   in Loop: Header=BB102_3 Depth=1
	s_or_b32 exec_lo, exec_lo, s45
	s_wait_dscnt 0x0
	s_barrier_signal -1
	s_barrier_wait -1
	s_barrier_signal -1
	s_barrier_wait -1
	s_and_saveexec_b32 s45, s6
; %bb.936:                              ;   in Loop: Header=BB102_3 Depth=1
	ds_store_b32 v51, v28 offset:7936
; %bb.937:                              ;   in Loop: Header=BB102_3 Depth=1
	s_or_b32 exec_lo, exec_lo, s45
	s_wait_dscnt 0x0
	s_barrier_signal -1
	s_barrier_wait -1
	s_barrier_signal -1
	s_barrier_wait -1
	s_and_saveexec_b32 s65, s84
	s_cbranch_execz .LBB102_939
; %bb.938:                              ;   in Loop: Header=BB102_3 Depth=1
	ds_load_b32 v28, v38 offset:4096
	s_wait_dscnt 0x0
	ds_store_b32 v42, v28 offset:64
	ds_load_b32 v28, v38 offset:4100
	s_wait_dscnt 0x0
	ds_store_b32 v42, v28 offset:320
	;; [unrolled: 3-line block ×16, first 2 shown]
.LBB102_939:                            ;   in Loop: Header=BB102_3 Depth=1
	s_or_b32 exec_lo, exec_lo, s65
	s_wait_dscnt 0x0
	s_barrier_signal -1
	s_barrier_wait -1
	s_and_saveexec_b32 s45, s15
	s_cbranch_execz .LBB102_941
; %bb.940:                              ;   in Loop: Header=BB102_3 Depth=1
	ds_load_b64 v[28:29], v3 offset:3896
	ds_load_b32 v30, v3 offset:3640
	s_wait_dscnt 0x0
	v_mul_f32_e32 v29, v30, v29
	s_delay_alu instid0(VALU_DEP_1)
	v_mul_f32_e32 v28, v28, v29
	v_add_nc_u32_e64 v29, 0xc00, 0
	ds_store_2addr_b32 v29, v28, v28 offset0:143 offset1:206
.LBB102_941:                            ;   in Loop: Header=BB102_3 Depth=1
	s_or_b32 exec_lo, exec_lo, s45
	v_mov_b32_e32 v28, 0
	s_wait_dscnt 0x0
	s_barrier_signal -1
	s_barrier_wait -1
	global_wb scope:SCOPE_DEV
	s_wait_storecnt 0x0
	global_inv scope:SCOPE_DEV
	s_and_saveexec_b32 s45, s2
	s_cbranch_execz .LBB102_945
; %bb.942:                              ;   in Loop: Header=BB102_3 Depth=1
	ds_load_b32 v28, v35 offset:3632
	ds_load_b32 v29, v34 offset:3896
	s_wait_dscnt 0x0
	v_fma_f32 v28, v28, v29, 0
	s_and_saveexec_b32 s46, s16
	s_cbranch_execz .LBB102_944
; %bb.943:                              ;   in Loop: Header=BB102_3 Depth=1
	ds_load_b32 v29, v36 offset:3888
	ds_load_b32 v30, v3 offset:3900
	s_wait_dscnt 0x0
	v_fmac_f32_e32 v28, v29, v30
.LBB102_944:                            ;   in Loop: Header=BB102_3 Depth=1
	s_or_b32 exec_lo, exec_lo, s46
.LBB102_945:                            ;   in Loop: Header=BB102_3 Depth=1
	s_delay_alu instid0(SALU_CYCLE_1)
	s_or_b32 exec_lo, exec_lo, s45
	s_and_saveexec_b32 s45, s90
	s_cbranch_execz .LBB102_947
; %bb.946:                              ;   in Loop: Header=BB102_3 Depth=1
	ds_load_b32 v29, v3 offset:3380
	s_wait_dscnt 0x0
	v_mul_f32_e32 v28, v28, v29
	s_delay_alu instid0(VALU_DEP_1)
	v_xor_b32_e32 v29, 0x80000000, v28
	ds_store_b32 v5, v29
.LBB102_947:                            ;   in Loop: Header=BB102_3 Depth=1
	s_or_b32 exec_lo, exec_lo, s45
	s_wait_loadcnt_dscnt 0x0
	s_barrier_signal -1
	s_barrier_wait -1
	s_and_saveexec_b32 s45, s91
	s_cbranch_execz .LBB102_949
; %bb.948:                              ;   in Loop: Header=BB102_3 Depth=1
	ds_load_b32 v29, v3 offset:3376
	ds_load_b32 v30, v5
	s_wait_dscnt 0x0
	v_fma_f32 v28, -v29, v30, v28
.LBB102_949:                            ;   in Loop: Header=BB102_3 Depth=1
	s_or_b32 exec_lo, exec_lo, s45
	s_barrier_signal -1
	s_barrier_wait -1
	s_and_saveexec_b32 s45, s91
	s_cbranch_execz .LBB102_951
; %bb.950:                              ;   in Loop: Header=BB102_3 Depth=1
	ds_load_b32 v29, v3 offset:3120
	s_wait_dscnt 0x0
	v_mul_f32_e32 v28, v28, v29
	s_delay_alu instid0(VALU_DEP_1)
	v_xor_b32_e32 v29, 0x80000000, v28
	ds_store_b32 v5, v29
.LBB102_951:                            ;   in Loop: Header=BB102_3 Depth=1
	s_or_b32 exec_lo, exec_lo, s45
	s_wait_dscnt 0x0
	s_barrier_signal -1
	s_barrier_wait -1
	s_barrier_signal -1
	s_barrier_wait -1
	s_and_saveexec_b32 s45, s2
; %bb.952:                              ;   in Loop: Header=BB102_3 Depth=1
	ds_store_b32 v37, v28 offset:3888
; %bb.953:                              ;   in Loop: Header=BB102_3 Depth=1
	s_or_b32 exec_lo, exec_lo, s45
	s_wait_dscnt 0x0
	s_barrier_signal -1
	s_barrier_wait -1
	s_barrier_signal -1
	s_barrier_wait -1
	s_and_saveexec_b32 s45, s92
	s_cbranch_execz .LBB102_955
; %bb.954:                              ;   in Loop: Header=BB102_3 Depth=1
	ds_load_b32 v28, v38 offset:3632
	s_wait_dscnt 0x0
	ds_store_b32 v36, v28 offset:3128
	ds_load_b32 v28, v38 offset:3636
	s_wait_dscnt 0x0
	ds_store_b32 v36, v28 offset:3384
.LBB102_955:                            ;   in Loop: Header=BB102_3 Depth=1
	s_or_b32 exec_lo, exec_lo, s45
	s_wait_dscnt 0x0
	s_barrier_signal -1
	s_barrier_wait -1
	s_and_saveexec_b32 s45, s15
	s_cbranch_execz .LBB102_957
; %bb.956:                              ;   in Loop: Header=BB102_3 Depth=1
	ds_load_b64 v[28:29], v3 offset:3376
	ds_load_b32 v30, v3 offset:3120
	s_wait_dscnt 0x0
	v_mul_f32_e32 v29, v30, v29
	s_delay_alu instid0(VALU_DEP_1)
	v_mul_f32_e32 v28, v28, v29
	v_add_nc_u32_e64 v29, 0xc00, 0
	ds_store_2addr_b32 v29, v28, v28 offset0:13 offset1:76
.LBB102_957:                            ;   in Loop: Header=BB102_3 Depth=1
	s_or_b32 exec_lo, exec_lo, s45
	v_mov_b32_e32 v28, 0
	s_wait_dscnt 0x0
	s_barrier_signal -1
	s_barrier_wait -1
	global_wb scope:SCOPE_DEV
	s_wait_storecnt 0x0
	global_inv scope:SCOPE_DEV
	s_and_saveexec_b32 s65, s4
	s_cbranch_execz .LBB102_963
; %bb.958:                              ;   in Loop: Header=BB102_3 Depth=1
	ds_load_b32 v28, v41 offset:3104
	ds_load_b32 v29, v40 offset:3888
	s_wait_dscnt 0x0
	v_fma_f32 v28, v28, v29, 0
	s_and_saveexec_b32 s45, s17
	s_cbranch_execnz .LBB102_1247
; %bb.959:                              ;   in Loop: Header=BB102_3 Depth=1
	s_or_b32 exec_lo, exec_lo, s45
	s_and_saveexec_b32 s45, s18
	s_cbranch_execnz .LBB102_1248
.LBB102_960:                            ;   in Loop: Header=BB102_3 Depth=1
	s_or_b32 exec_lo, exec_lo, s45
	s_and_saveexec_b32 s45, s2
	s_cbranch_execz .LBB102_962
.LBB102_961:                            ;   in Loop: Header=BB102_3 Depth=1
	ds_load_b32 v29, v42 offset:3872
	ds_load_b32 v30, v3 offset:3900
	s_wait_dscnt 0x0
	v_fmac_f32_e32 v28, v29, v30
.LBB102_962:                            ;   in Loop: Header=BB102_3 Depth=1
	s_or_b32 exec_lo, exec_lo, s45
.LBB102_963:                            ;   in Loop: Header=BB102_3 Depth=1
	s_delay_alu instid0(SALU_CYCLE_1)
	s_or_b32 exec_lo, exec_lo, s65
	s_and_saveexec_b32 s45, s93
	s_cbranch_execz .LBB102_965
; %bb.964:                              ;   in Loop: Header=BB102_3 Depth=1
	ds_load_b32 v29, v3 offset:2860
	s_wait_dscnt 0x0
	v_mul_f32_e32 v28, v28, v29
	s_delay_alu instid0(VALU_DEP_1)
	v_xor_b32_e32 v29, 0x80000000, v28
	ds_store_b32 v39, v29
.LBB102_965:                            ;   in Loop: Header=BB102_3 Depth=1
	s_or_b32 exec_lo, exec_lo, s45
	s_wait_loadcnt_dscnt 0x0
	s_barrier_signal -1
	s_barrier_wait -1
	s_and_saveexec_b32 s45, s94
	s_cbranch_execz .LBB102_967
; %bb.966:                              ;   in Loop: Header=BB102_3 Depth=1
	ds_load_b32 v29, v41 offset:2848
	ds_load_b32 v30, v39
	s_wait_dscnt 0x0
	v_fma_f32 v28, -v29, v30, v28
.LBB102_967:                            ;   in Loop: Header=BB102_3 Depth=1
	s_or_b32 exec_lo, exec_lo, s45
	s_barrier_signal -1
	s_barrier_wait -1
	s_and_saveexec_b32 s45, s95
	s_cbranch_execz .LBB102_969
; %bb.968:                              ;   in Loop: Header=BB102_3 Depth=1
	ds_load_b32 v29, v3 offset:2600
	s_wait_dscnt 0x0
	v_mul_f32_e32 v28, v28, v29
	s_delay_alu instid0(VALU_DEP_1)
	v_xor_b32_e32 v29, 0x80000000, v28
	ds_store_b32 v39, v29
.LBB102_969:                            ;   in Loop: Header=BB102_3 Depth=1
	s_or_b32 exec_lo, exec_lo, s45
	s_wait_dscnt 0x0
	s_barrier_signal -1
	s_barrier_wait -1
	s_and_saveexec_b32 s45, s96
	s_cbranch_execz .LBB102_971
; %bb.970:                              ;   in Loop: Header=BB102_3 Depth=1
	ds_load_b32 v29, v41 offset:2592
	ds_load_b32 v30, v39
	s_wait_dscnt 0x0
	v_fma_f32 v28, -v29, v30, v28
.LBB102_971:                            ;   in Loop: Header=BB102_3 Depth=1
	s_or_b32 exec_lo, exec_lo, s45
	s_barrier_signal -1
	s_barrier_wait -1
	s_and_saveexec_b32 s45, s97
	s_cbranch_execz .LBB102_973
; %bb.972:                              ;   in Loop: Header=BB102_3 Depth=1
	ds_load_b32 v29, v3 offset:2340
	s_wait_dscnt 0x0
	v_mul_f32_e32 v28, v28, v29
	s_delay_alu instid0(VALU_DEP_1)
	v_xor_b32_e32 v29, 0x80000000, v28
	ds_store_b32 v39, v29
.LBB102_973:                            ;   in Loop: Header=BB102_3 Depth=1
	s_or_b32 exec_lo, exec_lo, s45
	s_wait_dscnt 0x0
	;; [unrolled: 25-line block ×3, first 2 shown]
	s_barrier_signal -1
	s_barrier_wait -1
	s_barrier_signal -1
	s_barrier_wait -1
	s_and_saveexec_b32 s45, s4
; %bb.978:                              ;   in Loop: Header=BB102_3 Depth=1
	ds_store_b32 v43, v28 offset:3872
; %bb.979:                              ;   in Loop: Header=BB102_3 Depth=1
	s_or_b32 exec_lo, exec_lo, s45
	s_wait_dscnt 0x0
	s_barrier_signal -1
	s_barrier_wait -1
	s_barrier_signal -1
	s_barrier_wait -1
	s_and_saveexec_b32 s45, s99
	s_cbranch_execz .LBB102_981
; %bb.980:                              ;   in Loop: Header=BB102_3 Depth=1
	ds_load_b32 v28, v7 offset:3104
	s_wait_dscnt 0x0
	ds_store_b32 v53, v28 offset:2096
	ds_load_b32 v28, v7 offset:3108
	s_wait_dscnt 0x0
	ds_store_b32 v53, v28 offset:2352
	;; [unrolled: 3-line block ×4, first 2 shown]
.LBB102_981:                            ;   in Loop: Header=BB102_3 Depth=1
	s_or_b32 exec_lo, exec_lo, s45
	s_wait_dscnt 0x0
	s_barrier_signal -1
	s_barrier_wait -1
	s_and_saveexec_b32 s45, s15
	s_cbranch_execz .LBB102_983
; %bb.982:                              ;   in Loop: Header=BB102_3 Depth=1
	ds_load_b64 v[28:29], v3 offset:2856
	ds_load_b32 v30, v3 offset:2600
	s_wait_dscnt 0x0
	v_mul_f32_e32 v29, v30, v29
	s_delay_alu instid0(VALU_DEP_1)
	v_mul_f32_e32 v28, v28, v29
	v_add_nc_u32_e64 v29, 0x800, 0
	ds_store_2addr_b32 v29, v28, v28 offset0:139 offset1:202
.LBB102_983:                            ;   in Loop: Header=BB102_3 Depth=1
	s_or_b32 exec_lo, exec_lo, s45
	v_mov_b32_e32 v28, 0
	s_wait_dscnt 0x0
	s_barrier_signal -1
	s_barrier_wait -1
	global_wb scope:SCOPE_DEV
	s_wait_storecnt 0x0
	global_inv scope:SCOPE_DEV
	s_and_saveexec_b32 s45, s2
	s_cbranch_execz .LBB102_987
; %bb.984:                              ;   in Loop: Header=BB102_3 Depth=1
	ds_load_b32 v28, v35 offset:2592
	ds_load_b32 v29, v34 offset:2856
	s_wait_dscnt 0x0
	v_fma_f32 v28, v28, v29, 0
	s_and_saveexec_b32 s46, s16
	s_cbranch_execz .LBB102_986
; %bb.985:                              ;   in Loop: Header=BB102_3 Depth=1
	ds_load_b32 v29, v53 offset:2848
	ds_load_b32 v30, v3 offset:2860
	s_wait_dscnt 0x0
	v_fmac_f32_e32 v28, v29, v30
.LBB102_986:                            ;   in Loop: Header=BB102_3 Depth=1
	s_or_b32 exec_lo, exec_lo, s46
.LBB102_987:                            ;   in Loop: Header=BB102_3 Depth=1
	s_delay_alu instid0(SALU_CYCLE_1)
	s_or_b32 exec_lo, exec_lo, s45
	s_and_saveexec_b32 s45, s90
	s_cbranch_execz .LBB102_989
; %bb.988:                              ;   in Loop: Header=BB102_3 Depth=1
	ds_load_b32 v29, v3 offset:2340
	s_wait_dscnt 0x0
	v_mul_f32_e32 v28, v28, v29
	s_delay_alu instid0(VALU_DEP_1)
	v_xor_b32_e32 v29, 0x80000000, v28
	ds_store_b32 v5, v29
.LBB102_989:                            ;   in Loop: Header=BB102_3 Depth=1
	s_or_b32 exec_lo, exec_lo, s45
	s_wait_loadcnt_dscnt 0x0
	s_barrier_signal -1
	s_barrier_wait -1
	s_and_saveexec_b32 s45, s91
	s_cbranch_execz .LBB102_991
; %bb.990:                              ;   in Loop: Header=BB102_3 Depth=1
	ds_load_b32 v29, v3 offset:2336
	ds_load_b32 v30, v5
	s_wait_dscnt 0x0
	v_fma_f32 v28, -v29, v30, v28
.LBB102_991:                            ;   in Loop: Header=BB102_3 Depth=1
	s_or_b32 exec_lo, exec_lo, s45
	s_barrier_signal -1
	s_barrier_wait -1
	s_and_saveexec_b32 s45, s91
	s_cbranch_execz .LBB102_993
; %bb.992:                              ;   in Loop: Header=BB102_3 Depth=1
	ds_load_b32 v29, v3 offset:2080
	s_wait_dscnt 0x0
	v_mul_f32_e32 v28, v28, v29
	s_delay_alu instid0(VALU_DEP_1)
	v_xor_b32_e32 v29, 0x80000000, v28
	ds_store_b32 v5, v29
.LBB102_993:                            ;   in Loop: Header=BB102_3 Depth=1
	s_or_b32 exec_lo, exec_lo, s45
	s_wait_dscnt 0x0
	s_barrier_signal -1
	s_barrier_wait -1
	s_barrier_signal -1
	s_barrier_wait -1
	s_and_saveexec_b32 s45, s2
; %bb.994:                              ;   in Loop: Header=BB102_3 Depth=1
	ds_store_b32 v37, v28 offset:2848
; %bb.995:                              ;   in Loop: Header=BB102_3 Depth=1
	s_or_b32 exec_lo, exec_lo, s45
	s_wait_dscnt 0x0
	s_barrier_signal -1
	s_barrier_wait -1
	s_barrier_signal -1
	s_barrier_wait -1
	s_and_saveexec_b32 s45, s92
	s_cbranch_execz .LBB102_997
; %bb.996:                              ;   in Loop: Header=BB102_3 Depth=1
	ds_load_b32 v28, v54 offset:2592
	s_wait_dscnt 0x0
	ds_store_b32 v53, v28 offset:2088
	ds_load_b32 v28, v54 offset:2596
	s_wait_dscnt 0x0
	ds_store_b32 v53, v28 offset:2344
.LBB102_997:                            ;   in Loop: Header=BB102_3 Depth=1
	s_or_b32 exec_lo, exec_lo, s45
	s_wait_dscnt 0x0
	s_barrier_signal -1
	s_barrier_wait -1
	s_and_saveexec_b32 s45, s15
	s_cbranch_execz .LBB102_999
; %bb.998:                              ;   in Loop: Header=BB102_3 Depth=1
	ds_load_b64 v[28:29], v3 offset:2336
	ds_load_b32 v30, v3 offset:2080
	s_wait_dscnt 0x0
	v_mul_f32_e32 v29, v30, v29
	s_delay_alu instid0(VALU_DEP_1)
	v_mul_f32_e32 v28, v28, v29
	v_add_nc_u32_e64 v29, 0x800, 0
	ds_store_2addr_b32 v29, v28, v28 offset0:9 offset1:72
.LBB102_999:                            ;   in Loop: Header=BB102_3 Depth=1
	s_or_b32 exec_lo, exec_lo, s45
	v_mov_b32_e32 v28, 0
	s_wait_dscnt 0x0
	s_barrier_signal -1
	s_barrier_wait -1
	global_wb scope:SCOPE_DEV
	s_wait_storecnt 0x0
	global_inv scope:SCOPE_DEV
	s_and_saveexec_b32 s65, s5
	s_cbranch_execz .LBB102_1009
; %bb.1000:                             ;   in Loop: Header=BB102_3 Depth=1
	ds_load_b32 v28, v46 offset:2048
	ds_load_b32 v29, v45 offset:3872
	s_wait_dscnt 0x0
	v_fma_f32 v28, v28, v29, 0
	s_and_saveexec_b32 s45, s19
	s_cbranch_execnz .LBB102_1249
; %bb.1001:                             ;   in Loop: Header=BB102_3 Depth=1
	s_or_b32 exec_lo, exec_lo, s45
	s_and_saveexec_b32 s45, s20
	s_cbranch_execnz .LBB102_1250
.LBB102_1002:                           ;   in Loop: Header=BB102_3 Depth=1
	s_or_b32 exec_lo, exec_lo, s45
	s_and_saveexec_b32 s45, s21
	s_cbranch_execnz .LBB102_1251
.LBB102_1003:                           ;   in Loop: Header=BB102_3 Depth=1
	s_or_b32 exec_lo, exec_lo, s45
	s_and_saveexec_b32 s45, s22
	s_cbranch_execnz .LBB102_1252
.LBB102_1004:                           ;   in Loop: Header=BB102_3 Depth=1
	s_or_b32 exec_lo, exec_lo, s45
	s_and_saveexec_b32 s45, s23
	s_cbranch_execnz .LBB102_1253
.LBB102_1005:                           ;   in Loop: Header=BB102_3 Depth=1
	s_or_b32 exec_lo, exec_lo, s45
	s_and_saveexec_b32 s45, s4
	s_cbranch_execnz .LBB102_1254
.LBB102_1006:                           ;   in Loop: Header=BB102_3 Depth=1
	s_or_b32 exec_lo, exec_lo, s45
	s_and_saveexec_b32 s45, s18
	s_cbranch_execz .LBB102_1008
.LBB102_1007:                           ;   in Loop: Header=BB102_3 Depth=1
	ds_load_b32 v29, v55 offset:3840
	ds_load_b32 v30, v3 offset:3900
	s_wait_dscnt 0x0
	v_fmac_f32_e32 v28, v29, v30
.LBB102_1008:                           ;   in Loop: Header=BB102_3 Depth=1
	s_or_b32 exec_lo, exec_lo, s45
.LBB102_1009:                           ;   in Loop: Header=BB102_3 Depth=1
	s_delay_alu instid0(SALU_CYCLE_1)
	s_or_b32 exec_lo, exec_lo, s65
	s_and_saveexec_b32 s45, s100
	s_cbranch_execz .LBB102_1011
; %bb.1010:                             ;   in Loop: Header=BB102_3 Depth=1
	ds_load_b32 v29, v3 offset:1820
	s_wait_dscnt 0x0
	v_mul_f32_e32 v28, v28, v29
	s_delay_alu instid0(VALU_DEP_1)
	v_xor_b32_e32 v29, 0x80000000, v28
	ds_store_b32 v44, v29
.LBB102_1011:                           ;   in Loop: Header=BB102_3 Depth=1
	s_or_b32 exec_lo, exec_lo, s45
	s_wait_loadcnt_dscnt 0x0
	s_barrier_signal -1
	s_barrier_wait -1
	s_and_saveexec_b32 s45, s101
	s_cbranch_execz .LBB102_1013
; %bb.1012:                             ;   in Loop: Header=BB102_3 Depth=1
	ds_load_b32 v29, v46 offset:1792
	ds_load_b32 v30, v44
	s_wait_dscnt 0x0
	v_fma_f32 v28, -v29, v30, v28
.LBB102_1013:                           ;   in Loop: Header=BB102_3 Depth=1
	s_or_b32 exec_lo, exec_lo, s45
	s_barrier_signal -1
	s_barrier_wait -1
	s_and_saveexec_b32 s45, s102
	s_cbranch_execz .LBB102_1015
; %bb.1014:                             ;   in Loop: Header=BB102_3 Depth=1
	ds_load_b32 v29, v3 offset:1560
	s_wait_dscnt 0x0
	v_mul_f32_e32 v28, v28, v29
	s_delay_alu instid0(VALU_DEP_1)
	v_xor_b32_e32 v29, 0x80000000, v28
	ds_store_b32 v44, v29
.LBB102_1015:                           ;   in Loop: Header=BB102_3 Depth=1
	s_or_b32 exec_lo, exec_lo, s45
	s_wait_dscnt 0x0
	s_barrier_signal -1
	s_barrier_wait -1
	s_and_saveexec_b32 s45, s103
	s_cbranch_execz .LBB102_1017
; %bb.1016:                             ;   in Loop: Header=BB102_3 Depth=1
	ds_load_b32 v29, v46 offset:1536
	ds_load_b32 v30, v44
	s_wait_dscnt 0x0
	v_fma_f32 v28, -v29, v30, v28
.LBB102_1017:                           ;   in Loop: Header=BB102_3 Depth=1
	s_or_b32 exec_lo, exec_lo, s45
	s_barrier_signal -1
	s_barrier_wait -1
	s_and_saveexec_b32 s45, s104
	s_cbranch_execz .LBB102_1019
; %bb.1018:                             ;   in Loop: Header=BB102_3 Depth=1
	ds_load_b32 v29, v3 offset:1300
	s_wait_dscnt 0x0
	v_mul_f32_e32 v28, v28, v29
	s_delay_alu instid0(VALU_DEP_1)
	v_xor_b32_e32 v29, 0x80000000, v28
	ds_store_b32 v44, v29
.LBB102_1019:                           ;   in Loop: Header=BB102_3 Depth=1
	s_or_b32 exec_lo, exec_lo, s45
	s_wait_dscnt 0x0
	s_barrier_signal -1
	s_barrier_wait -1
	s_and_saveexec_b32 s45, vcc_hi
	s_cbranch_execz .LBB102_1021
; %bb.1020:                             ;   in Loop: Header=BB102_3 Depth=1
	ds_load_b32 v29, v46 offset:1280
	ds_load_b32 v30, v44
	s_wait_dscnt 0x0
	v_fma_f32 v28, -v29, v30, v28
.LBB102_1021:                           ;   in Loop: Header=BB102_3 Depth=1
	s_or_b32 exec_lo, exec_lo, s45
	s_barrier_signal -1
	s_barrier_wait -1
	s_and_saveexec_b32 s45, s36
	s_cbranch_execz .LBB102_1023
; %bb.1022:                             ;   in Loop: Header=BB102_3 Depth=1
	ds_load_b32 v29, v3 offset:1040
	s_wait_dscnt 0x0
	v_mul_f32_e32 v28, v28, v29
	s_delay_alu instid0(VALU_DEP_1)
	v_xor_b32_e32 v29, 0x80000000, v28
	ds_store_b32 v44, v29
.LBB102_1023:                           ;   in Loop: Header=BB102_3 Depth=1
	s_or_b32 exec_lo, exec_lo, s45
	s_wait_dscnt 0x0
	s_barrier_signal -1
	s_barrier_wait -1
	s_and_saveexec_b32 s45, s37
	s_cbranch_execz .LBB102_1025
; %bb.1024:                             ;   in Loop: Header=BB102_3 Depth=1
	ds_load_b32 v29, v46 offset:1024
	ds_load_b32 v30, v44
	s_wait_dscnt 0x0
	v_fma_f32 v28, -v29, v30, v28
.LBB102_1025:                           ;   in Loop: Header=BB102_3 Depth=1
	s_or_b32 exec_lo, exec_lo, s45
	s_barrier_signal -1
	s_barrier_wait -1
	s_and_saveexec_b32 s45, s38
	s_cbranch_execz .LBB102_1027
; %bb.1026:                             ;   in Loop: Header=BB102_3 Depth=1
	ds_load_b32 v29, v3 offset:780
	s_wait_dscnt 0x0
	v_mul_f32_e32 v28, v28, v29
	s_delay_alu instid0(VALU_DEP_1)
	v_xor_b32_e32 v29, 0x80000000, v28
	ds_store_b32 v44, v29
.LBB102_1027:                           ;   in Loop: Header=BB102_3 Depth=1
	s_or_b32 exec_lo, exec_lo, s45
	s_wait_dscnt 0x0
	s_barrier_signal -1
	s_barrier_wait -1
	s_and_saveexec_b32 s45, s39
	;; [unrolled: 25-line block ×4, first 2 shown]
	s_cbranch_execz .LBB102_1037
; %bb.1036:                             ;   in Loop: Header=BB102_3 Depth=1
	ds_load_b32 v29, v3 offset:256
	ds_load_b32 v30, v44
	s_wait_dscnt 0x0
	v_fma_f32 v28, -v29, v30, v28
.LBB102_1037:                           ;   in Loop: Header=BB102_3 Depth=1
	s_or_b32 exec_lo, exec_lo, s45
	s_barrier_signal -1
	s_barrier_wait -1
	s_and_saveexec_b32 s45, s43
	s_cbranch_execz .LBB102_1039
; %bb.1038:                             ;   in Loop: Header=BB102_3 Depth=1
	ds_load_b32 v29, v3
	s_wait_dscnt 0x0
	v_mul_f32_e32 v28, v28, v29
	s_delay_alu instid0(VALU_DEP_1)
	v_xor_b32_e32 v29, 0x80000000, v28
	ds_store_b32 v44, v29
.LBB102_1039:                           ;   in Loop: Header=BB102_3 Depth=1
	s_or_b32 exec_lo, exec_lo, s45
	s_wait_dscnt 0x0
	s_barrier_signal -1
	s_barrier_wait -1
	s_barrier_signal -1
	s_barrier_wait -1
	s_and_saveexec_b32 s45, s5
; %bb.1040:                             ;   in Loop: Header=BB102_3 Depth=1
	ds_store_b32 v47, v28 offset:3840
; %bb.1041:                             ;   in Loop: Header=BB102_3 Depth=1
	s_or_b32 exec_lo, exec_lo, s45
	s_wait_dscnt 0x0
	s_barrier_signal -1
	s_barrier_wait -1
	s_barrier_signal -1
	s_barrier_wait -1
	s_and_saveexec_b32 s45, s44
	s_cbranch_execz .LBB102_1043
; %bb.1042:                             ;   in Loop: Header=BB102_3 Depth=1
	ds_load_b32 v28, v56 offset:2048
	s_wait_dscnt 0x0
	ds_store_b32 v57, v28 offset:32
	ds_load_b32 v28, v56 offset:2052
	s_wait_dscnt 0x0
	ds_store_b32 v57, v28 offset:288
	;; [unrolled: 3-line block ×8, first 2 shown]
.LBB102_1043:                           ;   in Loop: Header=BB102_3 Depth=1
	s_or_b32 exec_lo, exec_lo, s45
	s_wait_dscnt 0x0
	s_barrier_signal -1
	s_barrier_wait -1
	s_and_saveexec_b32 s45, s15
	s_cbranch_execz .LBB102_1045
; %bb.1044:                             ;   in Loop: Header=BB102_3 Depth=1
	ds_load_b64 v[28:29], v3 offset:1816
	ds_load_b32 v30, v3 offset:1560
	s_wait_dscnt 0x0
	v_mul_f32_e32 v29, v30, v29
	s_delay_alu instid0(VALU_DEP_1)
	v_mul_f32_e32 v28, v28, v29
	v_add_nc_u32_e64 v29, 0x400, 0
	ds_store_2addr_b32 v29, v28, v28 offset0:135 offset1:198
.LBB102_1045:                           ;   in Loop: Header=BB102_3 Depth=1
	s_or_b32 exec_lo, exec_lo, s45
	v_mov_b32_e32 v28, 0
	s_wait_dscnt 0x0
	s_barrier_signal -1
	s_barrier_wait -1
	global_wb scope:SCOPE_DEV
	s_wait_storecnt 0x0
	global_inv scope:SCOPE_DEV
	s_and_saveexec_b32 s45, s2
	s_cbranch_execz .LBB102_1049
; %bb.1046:                             ;   in Loop: Header=BB102_3 Depth=1
	ds_load_b32 v28, v35 offset:1552
	ds_load_b32 v29, v34 offset:1816
	s_wait_dscnt 0x0
	v_fma_f32 v28, v28, v29, 0
	s_and_saveexec_b32 s46, s16
	s_cbranch_execz .LBB102_1048
; %bb.1047:                             ;   in Loop: Header=BB102_3 Depth=1
	ds_load_b32 v29, v57 offset:1808
	ds_load_b32 v30, v3 offset:1820
	s_wait_dscnt 0x0
	v_fmac_f32_e32 v28, v29, v30
.LBB102_1048:                           ;   in Loop: Header=BB102_3 Depth=1
	s_or_b32 exec_lo, exec_lo, s46
.LBB102_1049:                           ;   in Loop: Header=BB102_3 Depth=1
	s_delay_alu instid0(SALU_CYCLE_1)
	s_or_b32 exec_lo, exec_lo, s45
	s_and_saveexec_b32 s45, s90
	s_cbranch_execz .LBB102_1051
; %bb.1050:                             ;   in Loop: Header=BB102_3 Depth=1
	ds_load_b32 v29, v3 offset:1300
	s_wait_dscnt 0x0
	v_mul_f32_e32 v28, v28, v29
	s_delay_alu instid0(VALU_DEP_1)
	v_xor_b32_e32 v29, 0x80000000, v28
	ds_store_b32 v5, v29
.LBB102_1051:                           ;   in Loop: Header=BB102_3 Depth=1
	s_or_b32 exec_lo, exec_lo, s45
	s_wait_loadcnt_dscnt 0x0
	s_barrier_signal -1
	s_barrier_wait -1
	s_and_saveexec_b32 s45, s91
	s_cbranch_execz .LBB102_1053
; %bb.1052:                             ;   in Loop: Header=BB102_3 Depth=1
	ds_load_b32 v29, v3 offset:1296
	ds_load_b32 v30, v5
	s_wait_dscnt 0x0
	v_fma_f32 v28, -v29, v30, v28
.LBB102_1053:                           ;   in Loop: Header=BB102_3 Depth=1
	s_or_b32 exec_lo, exec_lo, s45
	s_barrier_signal -1
	s_barrier_wait -1
	s_and_saveexec_b32 s45, s91
	s_cbranch_execz .LBB102_1055
; %bb.1054:                             ;   in Loop: Header=BB102_3 Depth=1
	ds_load_b32 v29, v3 offset:1040
	s_wait_dscnt 0x0
	v_mul_f32_e32 v28, v28, v29
	s_delay_alu instid0(VALU_DEP_1)
	v_xor_b32_e32 v29, 0x80000000, v28
	ds_store_b32 v5, v29
.LBB102_1055:                           ;   in Loop: Header=BB102_3 Depth=1
	s_or_b32 exec_lo, exec_lo, s45
	s_wait_dscnt 0x0
	s_barrier_signal -1
	s_barrier_wait -1
	s_barrier_signal -1
	s_barrier_wait -1
	s_and_saveexec_b32 s45, s2
; %bb.1056:                             ;   in Loop: Header=BB102_3 Depth=1
	ds_store_b32 v37, v28 offset:1808
; %bb.1057:                             ;   in Loop: Header=BB102_3 Depth=1
	s_or_b32 exec_lo, exec_lo, s45
	s_wait_dscnt 0x0
	s_barrier_signal -1
	s_barrier_wait -1
	s_barrier_signal -1
	s_barrier_wait -1
	s_and_saveexec_b32 s45, s92
	s_cbranch_execz .LBB102_1059
; %bb.1058:                             ;   in Loop: Header=BB102_3 Depth=1
	ds_load_b32 v28, v58 offset:1552
	s_wait_dscnt 0x0
	ds_store_b32 v57, v28 offset:1048
	ds_load_b32 v28, v58 offset:1556
	s_wait_dscnt 0x0
	ds_store_b32 v57, v28 offset:1304
.LBB102_1059:                           ;   in Loop: Header=BB102_3 Depth=1
	s_or_b32 exec_lo, exec_lo, s45
	s_wait_dscnt 0x0
	s_barrier_signal -1
	s_barrier_wait -1
	s_and_saveexec_b32 s45, s15
	s_cbranch_execz .LBB102_1061
; %bb.1060:                             ;   in Loop: Header=BB102_3 Depth=1
	ds_load_b64 v[28:29], v3 offset:1296
	ds_load_b32 v30, v3 offset:1040
	s_wait_dscnt 0x0
	v_mul_f32_e32 v29, v30, v29
	s_delay_alu instid0(VALU_DEP_1)
	v_mul_f32_e32 v28, v28, v29
	v_add_nc_u32_e64 v29, 0x400, 0
	ds_store_2addr_b32 v29, v28, v28 offset0:5 offset1:68
.LBB102_1061:                           ;   in Loop: Header=BB102_3 Depth=1
	s_or_b32 exec_lo, exec_lo, s45
	v_mov_b32_e32 v28, 0
	s_wait_dscnt 0x0
	s_barrier_signal -1
	s_barrier_wait -1
	global_wb scope:SCOPE_DEV
	s_wait_storecnt 0x0
	global_inv scope:SCOPE_DEV
	s_and_saveexec_b32 s65, s4
	s_cbranch_execz .LBB102_1067
; %bb.1062:                             ;   in Loop: Header=BB102_3 Depth=1
	ds_load_b32 v28, v41 offset:1024
	ds_load_b32 v29, v40 offset:1808
	s_wait_dscnt 0x0
	v_fma_f32 v28, v28, v29, 0
	s_and_saveexec_b32 s45, s17
	s_cbranch_execnz .LBB102_1255
; %bb.1063:                             ;   in Loop: Header=BB102_3 Depth=1
	s_or_b32 exec_lo, exec_lo, s45
	s_and_saveexec_b32 s45, s18
	s_cbranch_execnz .LBB102_1256
.LBB102_1064:                           ;   in Loop: Header=BB102_3 Depth=1
	s_or_b32 exec_lo, exec_lo, s45
	s_and_saveexec_b32 s45, s2
	s_cbranch_execz .LBB102_1066
.LBB102_1065:                           ;   in Loop: Header=BB102_3 Depth=1
	ds_load_b32 v29, v59 offset:1792
	ds_load_b32 v30, v3 offset:1820
	s_wait_dscnt 0x0
	v_fmac_f32_e32 v28, v29, v30
.LBB102_1066:                           ;   in Loop: Header=BB102_3 Depth=1
	s_or_b32 exec_lo, exec_lo, s45
.LBB102_1067:                           ;   in Loop: Header=BB102_3 Depth=1
	s_delay_alu instid0(SALU_CYCLE_1)
	s_or_b32 exec_lo, exec_lo, s65
	s_and_saveexec_b32 s45, s93
	s_cbranch_execz .LBB102_1069
; %bb.1068:                             ;   in Loop: Header=BB102_3 Depth=1
	ds_load_b32 v29, v3 offset:780
	s_wait_dscnt 0x0
	v_mul_f32_e32 v28, v28, v29
	s_delay_alu instid0(VALU_DEP_1)
	v_xor_b32_e32 v29, 0x80000000, v28
	ds_store_b32 v39, v29
.LBB102_1069:                           ;   in Loop: Header=BB102_3 Depth=1
	s_or_b32 exec_lo, exec_lo, s45
	s_wait_loadcnt_dscnt 0x0
	s_barrier_signal -1
	s_barrier_wait -1
	s_and_saveexec_b32 s45, s94
	s_cbranch_execz .LBB102_1071
; %bb.1070:                             ;   in Loop: Header=BB102_3 Depth=1
	ds_load_b32 v29, v41 offset:768
	ds_load_b32 v30, v39
	s_wait_dscnt 0x0
	v_fma_f32 v28, -v29, v30, v28
.LBB102_1071:                           ;   in Loop: Header=BB102_3 Depth=1
	s_or_b32 exec_lo, exec_lo, s45
	s_barrier_signal -1
	s_barrier_wait -1
	s_and_saveexec_b32 s45, s95
	s_cbranch_execz .LBB102_1073
; %bb.1072:                             ;   in Loop: Header=BB102_3 Depth=1
	ds_load_b32 v29, v3 offset:520
	s_wait_dscnt 0x0
	v_mul_f32_e32 v28, v28, v29
	s_delay_alu instid0(VALU_DEP_1)
	v_xor_b32_e32 v29, 0x80000000, v28
	ds_store_b32 v39, v29
.LBB102_1073:                           ;   in Loop: Header=BB102_3 Depth=1
	s_or_b32 exec_lo, exec_lo, s45
	s_wait_dscnt 0x0
	s_barrier_signal -1
	s_barrier_wait -1
	s_and_saveexec_b32 s45, s96
	s_cbranch_execz .LBB102_1075
; %bb.1074:                             ;   in Loop: Header=BB102_3 Depth=1
	ds_load_b32 v29, v41 offset:512
	ds_load_b32 v30, v39
	s_wait_dscnt 0x0
	v_fma_f32 v28, -v29, v30, v28
.LBB102_1075:                           ;   in Loop: Header=BB102_3 Depth=1
	s_or_b32 exec_lo, exec_lo, s45
	s_barrier_signal -1
	s_barrier_wait -1
	s_and_saveexec_b32 s45, s97
	s_cbranch_execz .LBB102_1077
; %bb.1076:                             ;   in Loop: Header=BB102_3 Depth=1
	ds_load_b32 v29, v3 offset:260
	s_wait_dscnt 0x0
	v_mul_f32_e32 v28, v28, v29
	s_delay_alu instid0(VALU_DEP_1)
	v_xor_b32_e32 v29, 0x80000000, v28
	ds_store_b32 v39, v29
.LBB102_1077:                           ;   in Loop: Header=BB102_3 Depth=1
	s_or_b32 exec_lo, exec_lo, s45
	s_wait_dscnt 0x0
	s_barrier_signal -1
	s_barrier_wait -1
	s_and_saveexec_b32 s45, s98
	s_cbranch_execz .LBB102_1079
; %bb.1078:                             ;   in Loop: Header=BB102_3 Depth=1
	ds_load_b32 v29, v3 offset:256
	ds_load_b32 v30, v39
	s_wait_dscnt 0x0
	v_fma_f32 v28, -v29, v30, v28
.LBB102_1079:                           ;   in Loop: Header=BB102_3 Depth=1
	s_or_b32 exec_lo, exec_lo, s45
	s_barrier_signal -1
	s_barrier_wait -1
	s_and_saveexec_b32 s45, s98
	s_cbranch_execz .LBB102_1081
; %bb.1080:                             ;   in Loop: Header=BB102_3 Depth=1
	ds_load_b32 v29, v3
	s_wait_dscnt 0x0
	v_mul_f32_e32 v28, v28, v29
	s_delay_alu instid0(VALU_DEP_1)
	v_xor_b32_e32 v29, 0x80000000, v28
	ds_store_b32 v39, v29
.LBB102_1081:                           ;   in Loop: Header=BB102_3 Depth=1
	s_or_b32 exec_lo, exec_lo, s45
	s_wait_dscnt 0x0
	s_barrier_signal -1
	s_barrier_wait -1
	s_barrier_signal -1
	s_barrier_wait -1
	s_and_saveexec_b32 s45, s4
; %bb.1082:                             ;   in Loop: Header=BB102_3 Depth=1
	ds_store_b32 v43, v28 offset:1792
; %bb.1083:                             ;   in Loop: Header=BB102_3 Depth=1
	s_or_b32 exec_lo, exec_lo, s45
	s_wait_dscnt 0x0
	s_barrier_signal -1
	s_barrier_wait -1
	s_barrier_signal -1
	s_barrier_wait -1
	s_and_saveexec_b32 s45, s99
	s_cbranch_execz .LBB102_1085
; %bb.1084:                             ;   in Loop: Header=BB102_3 Depth=1
	ds_load_b32 v28, v60 offset:1024
	s_wait_dscnt 0x0
	ds_store_b32 v61, v28 offset:16
	ds_load_b32 v28, v60 offset:1028
	s_wait_dscnt 0x0
	ds_store_b32 v61, v28 offset:272
	;; [unrolled: 3-line block ×4, first 2 shown]
.LBB102_1085:                           ;   in Loop: Header=BB102_3 Depth=1
	s_or_b32 exec_lo, exec_lo, s45
	s_wait_dscnt 0x0
	s_barrier_signal -1
	s_barrier_wait -1
	s_and_saveexec_b32 s45, s15
	s_cbranch_execz .LBB102_1087
; %bb.1086:                             ;   in Loop: Header=BB102_3 Depth=1
	ds_load_b64 v[28:29], v3 offset:776
	ds_load_b32 v30, v3 offset:520
	s_wait_dscnt 0x0
	v_mul_f32_e32 v29, v30, v29
	s_delay_alu instid0(VALU_DEP_1)
	v_mul_f32_e32 v28, v28, v29
	ds_store_2addr_b32 v3, v28, v28 offset0:131 offset1:194
.LBB102_1087:                           ;   in Loop: Header=BB102_3 Depth=1
	s_or_b32 exec_lo, exec_lo, s45
	v_mov_b32_e32 v28, 0
	s_wait_dscnt 0x0
	s_barrier_signal -1
	s_barrier_wait -1
	global_wb scope:SCOPE_DEV
	s_wait_storecnt 0x0
	global_inv scope:SCOPE_DEV
	s_and_saveexec_b32 s45, s2
	s_cbranch_execz .LBB102_1091
; %bb.1088:                             ;   in Loop: Header=BB102_3 Depth=1
	ds_load_b32 v28, v35 offset:512
	ds_load_b32 v29, v34 offset:776
	s_wait_dscnt 0x0
	v_fma_f32 v28, v28, v29, 0
	s_and_saveexec_b32 s46, s16
	s_cbranch_execz .LBB102_1090
; %bb.1089:                             ;   in Loop: Header=BB102_3 Depth=1
	ds_load_b32 v29, v61 offset:768
	ds_load_b32 v30, v3 offset:780
	s_wait_dscnt 0x0
	v_fmac_f32_e32 v28, v29, v30
.LBB102_1090:                           ;   in Loop: Header=BB102_3 Depth=1
	s_or_b32 exec_lo, exec_lo, s46
.LBB102_1091:                           ;   in Loop: Header=BB102_3 Depth=1
	s_delay_alu instid0(SALU_CYCLE_1)
	s_or_b32 exec_lo, exec_lo, s45
	s_and_saveexec_b32 s45, s90
	s_cbranch_execz .LBB102_1093
; %bb.1092:                             ;   in Loop: Header=BB102_3 Depth=1
	ds_load_b32 v29, v3 offset:260
	s_wait_dscnt 0x0
	v_mul_f32_e32 v28, v28, v29
	s_delay_alu instid0(VALU_DEP_1)
	v_xor_b32_e32 v29, 0x80000000, v28
	ds_store_b32 v5, v29
.LBB102_1093:                           ;   in Loop: Header=BB102_3 Depth=1
	s_or_b32 exec_lo, exec_lo, s45
	s_wait_loadcnt_dscnt 0x0
	s_barrier_signal -1
	s_barrier_wait -1
	s_and_saveexec_b32 s45, s91
	s_cbranch_execz .LBB102_1095
; %bb.1094:                             ;   in Loop: Header=BB102_3 Depth=1
	ds_load_b32 v29, v3 offset:256
	ds_load_b32 v30, v5
	s_wait_dscnt 0x0
	v_fma_f32 v28, -v29, v30, v28
.LBB102_1095:                           ;   in Loop: Header=BB102_3 Depth=1
	s_or_b32 exec_lo, exec_lo, s45
	s_barrier_signal -1
	s_barrier_wait -1
	s_and_saveexec_b32 s45, s91
	s_cbranch_execz .LBB102_1097
; %bb.1096:                             ;   in Loop: Header=BB102_3 Depth=1
	ds_load_b32 v29, v3
	s_wait_dscnt 0x0
	v_mul_f32_e32 v28, v28, v29
	s_delay_alu instid0(VALU_DEP_1)
	v_xor_b32_e32 v29, 0x80000000, v28
	ds_store_b32 v5, v29
.LBB102_1097:                           ;   in Loop: Header=BB102_3 Depth=1
	s_or_b32 exec_lo, exec_lo, s45
	s_wait_dscnt 0x0
	s_barrier_signal -1
	s_barrier_wait -1
	s_barrier_signal -1
	s_barrier_wait -1
	s_and_saveexec_b32 s45, s2
; %bb.1098:                             ;   in Loop: Header=BB102_3 Depth=1
	ds_store_b32 v37, v28 offset:768
; %bb.1099:                             ;   in Loop: Header=BB102_3 Depth=1
	s_or_b32 exec_lo, exec_lo, s45
	s_wait_dscnt 0x0
	s_barrier_signal -1
	s_barrier_wait -1
	s_barrier_signal -1
	s_barrier_wait -1
	s_and_saveexec_b32 s45, s92
	s_cbranch_execz .LBB102_1101
; %bb.1100:                             ;   in Loop: Header=BB102_3 Depth=1
	ds_load_b32 v28, v62 offset:512
	s_wait_dscnt 0x0
	ds_store_b32 v61, v28 offset:8
	ds_load_b32 v28, v62 offset:516
	s_wait_dscnt 0x0
	ds_store_b32 v61, v28 offset:264
.LBB102_1101:                           ;   in Loop: Header=BB102_3 Depth=1
	s_or_b32 exec_lo, exec_lo, s45
	s_wait_dscnt 0x0
	s_barrier_signal -1
	s_barrier_wait -1
	s_and_saveexec_b32 s45, s15
	s_cbranch_execz .LBB102_1103
; %bb.1102:                             ;   in Loop: Header=BB102_3 Depth=1
	ds_load_b64 v[28:29], v3 offset:256
	ds_load_b32 v30, v3
	s_wait_dscnt 0x0
	v_mul_f32_e32 v29, v30, v29
	s_delay_alu instid0(VALU_DEP_1)
	v_mul_f32_e32 v28, v28, v29
	ds_store_2addr_b32 v3, v28, v28 offset0:1 offset1:64
.LBB102_1103:                           ;   in Loop: Header=BB102_3 Depth=1
	s_or_b32 exec_lo, exec_lo, s45
.LBB102_1104:                           ;   in Loop: Header=BB102_3 Depth=1
	v_add_nc_u64_e32 v[26:27], s[72:73], v[26:27]
	v_mov_b32_e32 v30, 0
	s_wait_dscnt 0x0
	s_barrier_signal -1
	s_barrier_wait -1
	s_and_saveexec_b32 s45, s12
	s_cbranch_execz .LBB102_1106
; %bb.1105:                             ;   in Loop: Header=BB102_3 Depth=1
	v_lshl_add_u64 v[28:29], v[0:1], 2, v[26:27]
	flat_load_b32 v28, v[28:29]
	s_wait_loadcnt_dscnt 0x0
	v_mul_f32_e64 v30, v28, -v2
.LBB102_1106:                           ;   in Loop: Header=BB102_3 Depth=1
	s_or_b32 exec_lo, exec_lo, s45
	s_delay_alu instid0(SALU_CYCLE_1)
	s_and_not1_b32 vcc_lo, exec_lo, s11
	s_cbranch_vccnz .LBB102_1132
; %bb.1107:                             ;   in Loop: Header=BB102_3 Depth=1
	v_mov_b32_e32 v31, -1
	s_lshl_b64 s[82:83], s[66:67], 2
	s_mov_b32 s87, 0
	s_add_nc_u64 s[82:83], s[80:81], s[82:83]
	s_branch .LBB102_1110
.LBB102_1108:                           ;   in Loop: Header=BB102_1110 Depth=2
	s_wait_xcnt 0x0
	ds_load_b32 v28, v66 offset:192
	s_wait_loadcnt_dscnt 0x0
	v_fmac_f32_e32 v30, v2, v28
.LBB102_1109:                           ;   in Loop: Header=BB102_1110 Depth=2
	s_or_b32 exec_lo, exec_lo, s45
	s_add_co_i32 s87, s87, 1
	s_delay_alu instid0(SALU_CYCLE_1)
	s_cmp_eq_u32 s87, s86
	s_cbranch_scc1 .LBB102_1132
.LBB102_1110:                           ;   Parent Loop BB102_3 Depth=1
                                        ; =>  This Loop Header: Depth=2
                                        ;       Child Loop BB102_1112 Depth 3
	v_cmp_gt_i32_e32 vcc_lo, s87, v31
	s_and_b32 s46, s59, vcc_lo
	s_delay_alu instid0(SALU_CYCLE_1)
	s_and_saveexec_b32 s45, s46
	s_cbranch_execz .LBB102_1113
; %bb.1111:                             ;   in Loop: Header=BB102_1110 Depth=2
	global_load_b32 v31, v3, s[82:83]
	s_wait_loadcnt 0x0
	v_cmp_le_i32_e32 vcc_lo, s87, v31
	s_cbranch_vccnz .LBB102_1113
.LBB102_1112:                           ;   Parent Loop BB102_3 Depth=1
                                        ;     Parent Loop BB102_1110 Depth=2
                                        ; =>    This Inner Loop Header: Depth=3
	global_wb scope:SCOPE_DEV
	s_wait_storecnt 0x0
	global_inv scope:SCOPE_DEV
	global_load_b32 v31, v3, s[82:83]
	s_wait_loadcnt 0x0
	v_cmp_gt_i32_e32 vcc_lo, s87, v31
	s_cbranch_vccnz .LBB102_1112
.LBB102_1113:                           ;   in Loop: Header=BB102_1110 Depth=2
	s_or_b32 exec_lo, exec_lo, s45
	s_lshl_b32 s65, s87, 6
	global_wb scope:SCOPE_DEV
	s_wait_storecnt 0x0
	global_inv scope:SCOPE_DEV
	s_wait_loadcnt 0x0
	s_barrier_signal -1
	s_barrier_wait -1
	s_and_saveexec_b32 s45, s60
	s_cbranch_execz .LBB102_1117
; %bb.1114:                             ;   in Loop: Header=BB102_1110 Depth=2
	v_dual_mov_b32 v28, 0 :: v_dual_bitop2_b32 v2, s65, v6 bitop3:0x54
	s_mov_b32 s46, exec_lo
	s_delay_alu instid0(VALU_DEP_1)
	v_cmpx_gt_i32_e64 s85, v2
	s_cbranch_execz .LBB102_1116
; %bb.1115:                             ;   in Loop: Header=BB102_1110 Depth=2
	v_mul_u64_e32 v[28:29], s[74:75], v[2:3]
	s_delay_alu instid0(VALU_DEP_1)
	v_lshl_add_u64 v[28:29], v[28:29], 2, v[26:27]
	flat_load_b32 v28, v[28:29]
.LBB102_1116:                           ;   in Loop: Header=BB102_1110 Depth=2
	s_wait_xcnt 0x0
	s_or_b32 exec_lo, exec_lo, s46
	s_wait_loadcnt_dscnt 0x0
	ds_store_b32 v67, v28
.LBB102_1117:                           ;   in Loop: Header=BB102_1110 Depth=2
	s_or_b32 exec_lo, exec_lo, s45
	v_add_nc_u32_e32 v2, s65, v32
	v_cmp_ne_u32_e32 vcc_lo, s87, v33
	s_wait_dscnt 0x0
	s_barrier_signal -1
	s_barrier_wait -1
	v_cmp_gt_i32_e64 s65, s85, v2
	v_lshl_add_u64 v[28:29], v[2:3], 2, v[24:25]
	v_cndmask_b32_e64 v82, 0, 1, vcc_lo
	s_and_b32 s46, s65, s0
	s_delay_alu instid0(SALU_CYCLE_1)
	s_and_saveexec_b32 s45, s46
	s_cbranch_execz .LBB102_1121
; %bb.1118:                             ;   in Loop: Header=BB102_1110 Depth=2
	v_mov_b32_e32 v83, v78
	s_and_not1_b32 vcc_lo, exec_lo, vcc_lo
	s_cbranch_vccnz .LBB102_1120
; %bb.1119:                             ;   in Loop: Header=BB102_1110 Depth=2
	flat_load_b32 v83, v[28:29]
.LBB102_1120:                           ;   in Loop: Header=BB102_1110 Depth=2
	ds_load_b32 v84, v66
	s_wait_loadcnt_dscnt 0x0
	v_fmac_f32_e32 v30, v83, v84
.LBB102_1121:                           ;   in Loop: Header=BB102_1110 Depth=2
	s_or_b32 exec_lo, exec_lo, s45
	v_add_nc_u32_e32 v83, 16, v2
	s_delay_alu instid0(VALU_DEP_1) | instskip(SKIP_1) | instid1(SALU_CYCLE_1)
	v_cmp_gt_i32_e32 vcc_lo, s85, v83
	s_and_b32 s46, vcc_lo, s0
	s_and_saveexec_b32 s45, s46
	s_cbranch_execz .LBB102_1125
; %bb.1122:                             ;   in Loop: Header=BB102_1110 Depth=2
	v_cmp_ne_u32_e32 vcc_lo, 1, v82
	v_mov_b32_e32 v83, v79
	s_cbranch_vccnz .LBB102_1124
; %bb.1123:                             ;   in Loop: Header=BB102_1110 Depth=2
	flat_load_b32 v83, v[28:29] offset:64
.LBB102_1124:                           ;   in Loop: Header=BB102_1110 Depth=2
	ds_load_b32 v84, v66 offset:64
	s_wait_loadcnt_dscnt 0x0
	v_fmac_f32_e32 v30, v83, v84
.LBB102_1125:                           ;   in Loop: Header=BB102_1110 Depth=2
	s_or_b32 exec_lo, exec_lo, s45
	v_add_nc_u32_e32 v83, 32, v2
	s_delay_alu instid0(VALU_DEP_1) | instskip(SKIP_1) | instid1(SALU_CYCLE_1)
	v_cmp_gt_i32_e32 vcc_lo, s85, v83
	s_and_b32 s46, vcc_lo, s0
	s_and_saveexec_b32 s45, s46
	s_cbranch_execz .LBB102_1129
; %bb.1126:                             ;   in Loop: Header=BB102_1110 Depth=2
	v_cmp_ne_u32_e32 vcc_lo, 1, v82
	v_mov_b32_e32 v83, v80
	s_cbranch_vccnz .LBB102_1128
; %bb.1127:                             ;   in Loop: Header=BB102_1110 Depth=2
	flat_load_b32 v83, v[28:29] offset:128
.LBB102_1128:                           ;   in Loop: Header=BB102_1110 Depth=2
	ds_load_b32 v84, v66 offset:128
	s_wait_loadcnt_dscnt 0x0
	v_fmac_f32_e32 v30, v83, v84
.LBB102_1129:                           ;   in Loop: Header=BB102_1110 Depth=2
	s_or_b32 exec_lo, exec_lo, s45
	v_add_nc_u32_e32 v2, 48, v2
	s_delay_alu instid0(VALU_DEP_1) | instskip(SKIP_1) | instid1(SALU_CYCLE_1)
	v_cmp_gt_i32_e32 vcc_lo, s85, v2
	s_and_b32 s46, vcc_lo, s0
	s_and_saveexec_b32 s45, s46
	s_cbranch_execz .LBB102_1109
; %bb.1130:                             ;   in Loop: Header=BB102_1110 Depth=2
	v_cmp_ne_u32_e32 vcc_lo, 1, v82
	v_mov_b32_e32 v2, v81
	s_cbranch_vccnz .LBB102_1108
; %bb.1131:                             ;   in Loop: Header=BB102_1110 Depth=2
	flat_load_b32 v2, v[28:29] offset:192
	s_branch .LBB102_1108
.LBB102_1132:                           ;   in Loop: Header=BB102_3 Depth=1
	ds_store_b32 v68, v30
	s_wait_dscnt 0x0
	s_barrier_signal -1
	s_barrier_wait -1
	s_and_saveexec_b32 s65, s3
	s_cbranch_execz .LBB102_1134
; %bb.1133:                             ;   in Loop: Header=BB102_3 Depth=1
	ds_load_2addr_stride64_b32 v[24:25], v69 offset0:1 offset1:2
	ds_load_2addr_stride64_b32 v[28:29], v69 offset0:3 offset1:4
	;; [unrolled: 1-line block ×4, first 2 shown]
	v_readlane_b32 s45, v87, 2
	s_wait_dscnt 0x3
	v_add_f32_e32 v2, v30, v24
	s_delay_alu instid0(VALU_DEP_1) | instskip(SKIP_3) | instid1(VALU_DEP_1)
	v_add_f32_e32 v2, v2, v25
	ds_load_2addr_stride64_b32 v[24:25], v69 offset0:9 offset1:10
	s_wait_dscnt 0x3
	v_add_f32_e32 v2, v2, v28
	v_add_f32_e32 v2, v2, v29
	ds_load_2addr_stride64_b32 v[28:29], v69 offset0:11 offset1:12
	s_wait_dscnt 0x3
	v_add_f32_e32 v2, v2, v82
	ds_load_2addr_stride64_b32 v[30:31], v69 offset0:13 offset1:14
	ds_load_b32 v82, v69 offset:3840
	v_add_f32_e32 v2, v2, v83
	s_wait_dscnt 0x4
	s_delay_alu instid0(VALU_DEP_1) | instskip(NEXT) | instid1(VALU_DEP_1)
	v_add_f32_e32 v2, v2, v84
	v_add_f32_e32 v2, v2, v85
	s_wait_dscnt 0x3
	s_delay_alu instid0(VALU_DEP_1) | instskip(NEXT) | instid1(VALU_DEP_1)
	v_add_f32_e32 v2, v2, v24
	;; [unrolled: 4-line block ×5, first 2 shown]
	v_cndmask_b32_e64 v30, -v2, 0, s45
.LBB102_1134:                           ;   in Loop: Header=BB102_3 Depth=1
	s_or_b32 exec_lo, exec_lo, s65
	s_delay_alu instid0(SALU_CYCLE_1)
	s_and_not1_b32 vcc_lo, exec_lo, s89
	s_cbranch_vccnz .LBB102_1144
; %bb.1135:                             ;   in Loop: Header=BB102_3 Depth=1
	s_and_saveexec_b32 s45, s3
; %bb.1136:                             ;   in Loop: Header=BB102_3 Depth=1
	ds_store_b32 v71, v30
; %bb.1137:                             ;   in Loop: Header=BB102_3 Depth=1
	s_or_b32 exec_lo, exec_lo, s45
	v_mov_b32_e32 v2, 0
	s_wait_dscnt 0x0
	s_barrier_signal -1
	s_barrier_wait -1
	s_and_saveexec_b32 s45, s1
	s_cbranch_execnz .LBB102_1199
; %bb.1138:                             ;   in Loop: Header=BB102_3 Depth=1
	s_or_b32 exec_lo, exec_lo, s45
	s_and_saveexec_b32 s45, s8
	s_cbranch_execnz .LBB102_1200
.LBB102_1139:                           ;   in Loop: Header=BB102_3 Depth=1
	s_or_b32 exec_lo, exec_lo, s45
	s_and_saveexec_b32 s45, s9
	s_cbranch_execnz .LBB102_1201
.LBB102_1140:                           ;   in Loop: Header=BB102_3 Depth=1
	s_or_b32 exec_lo, exec_lo, s45
	s_and_saveexec_b32 s45, s10
	s_cbranch_execz .LBB102_1142
.LBB102_1141:                           ;   in Loop: Header=BB102_3 Depth=1
	ds_load_b32 v24, v70 offset:12288
	ds_load_b32 v25, v66 offset:192
	s_wait_dscnt 0x0
	v_fmac_f32_e32 v2, v24, v25
.LBB102_1142:                           ;   in Loop: Header=BB102_3 Depth=1
	s_or_b32 exec_lo, exec_lo, s45
	s_mov_b32 s82, 0
	s_mov_b32 s65, 0
	ds_store_b32 v68, v2
	s_wait_dscnt 0x0
	s_barrier_signal -1
	s_barrier_wait -1
                                        ; implicit-def: $vgpr24
	s_and_saveexec_b32 s83, s3
	s_cbranch_execz .LBB102_1202
; %bb.1143:                             ;   in Loop: Header=BB102_3 Depth=1
	ds_load_2addr_stride64_b32 v[24:25], v69 offset0:1 offset1:2
	ds_load_2addr_stride64_b32 v[28:29], v69 offset0:3 offset1:4
	;; [unrolled: 1-line block ×4, first 2 shown]
	s_mov_b32 s65, exec_lo
	s_wait_dscnt 0x3
	v_add_f32_e32 v2, v2, v24
	s_delay_alu instid0(VALU_DEP_1) | instskip(SKIP_3) | instid1(VALU_DEP_1)
	v_add_f32_e32 v2, v25, v2
	ds_load_2addr_stride64_b32 v[24:25], v69 offset0:9 offset1:10
	s_wait_dscnt 0x3
	v_add_f32_e32 v2, v28, v2
	v_add_f32_e32 v2, v29, v2
	ds_load_2addr_stride64_b32 v[28:29], v69 offset0:11 offset1:12
	s_wait_dscnt 0x3
	v_add_f32_e32 v2, v82, v2
	s_delay_alu instid0(VALU_DEP_1) | instskip(SKIP_4) | instid1(VALU_DEP_1)
	v_add_f32_e32 v2, v83, v2
	ds_load_2addr_stride64_b32 v[82:83], v69 offset0:13 offset1:14
	ds_load_b32 v31, v69 offset:3840
	s_wait_dscnt 0x4
	v_add_f32_e32 v2, v84, v2
	v_add_f32_e32 v2, v85, v2
	s_wait_dscnt 0x3
	s_delay_alu instid0(VALU_DEP_1) | instskip(NEXT) | instid1(VALU_DEP_1)
	v_add_f32_e32 v2, v24, v2
	v_add_f32_e32 v2, v25, v2
	s_wait_dscnt 0x2
	s_delay_alu instid0(VALU_DEP_1) | instskip(NEXT) | instid1(VALU_DEP_1)
	;; [unrolled: 4-line block ×3, first 2 shown]
	v_add_f32_e32 v2, v82, v2
	v_add_f32_e32 v2, v83, v2
	s_wait_dscnt 0x0
	s_delay_alu instid0(VALU_DEP_1) | instskip(SKIP_1) | instid1(SALU_CYCLE_1)
	v_add_f32_e32 v24, v31, v2
	s_or_b32 exec_lo, exec_lo, s83
	s_and_b32 vcc_lo, exec_lo, s82
	s_cbranch_vccnz .LBB102_1145
	s_branch .LBB102_1203
.LBB102_1144:                           ;   in Loop: Header=BB102_3 Depth=1
	s_mov_b32 s65, 0
                                        ; implicit-def: $vgpr24
	s_cbranch_execz .LBB102_1203
.LBB102_1145:                           ;   in Loop: Header=BB102_3 Depth=1
	v_dual_mov_b32 v2, v4 :: v_dual_mov_b32 v24, v77
	s_mov_b32 s82, 0
	s_branch .LBB102_1147
.LBB102_1146:                           ;   in Loop: Header=BB102_1147 Depth=2
	s_or_b32 exec_lo, exec_lo, s45
	v_add_nc_u32_e32 v24, 0x400, v24
	v_add_nc_u32_e32 v2, -4, v2
	s_add_co_i32 s82, s82, 4
	s_delay_alu instid0(SALU_CYCLE_1)
	s_cmp_lg_u32 s82, 64
	s_barrier_signal -1
	s_barrier_wait -1
	s_cbranch_scc0 .LBB102_1163
.LBB102_1147:                           ;   Parent Loop BB102_3 Depth=1
                                        ; =>  This Inner Loop Header: Depth=2
	s_delay_alu instid0(VALU_DEP_1) | instskip(SKIP_2) | instid1(SALU_CYCLE_1)
	v_cmp_eq_u32_e32 vcc_lo, 0, v2
	v_add_nc_u32_e32 v25, v62, v36
	s_and_b32 s46, s3, vcc_lo
	s_and_saveexec_b32 s45, s46
	s_cbranch_execz .LBB102_1149
; %bb.1148:                             ;   in Loop: Header=BB102_1147 Depth=2
	ds_load_b32 v28, v25
	s_wait_dscnt 0x0
	v_mul_f32_e32 v30, v30, v28
	ds_store_b32 v3, v30 offset:20736
.LBB102_1149:                           ;   in Loop: Header=BB102_1147 Depth=2
	s_or_b32 exec_lo, exec_lo, s45
	v_cmp_lt_u32_e32 vcc_lo, s82, v4
	s_wait_dscnt 0x0
	s_barrier_signal -1
	s_barrier_wait -1
	s_and_b32 s46, s3, vcc_lo
	s_delay_alu instid0(SALU_CYCLE_1)
	s_and_saveexec_b32 s45, s46
	s_cbranch_execz .LBB102_1151
; %bb.1150:                             ;   in Loop: Header=BB102_1147 Depth=2
	ds_load_b32 v28, v24
	ds_load_b32 v29, v3 offset:20736
	s_wait_dscnt 0x0
	v_fmac_f32_e32 v30, v28, v29
.LBB102_1151:                           ;   in Loop: Header=BB102_1147 Depth=2
	s_or_b32 exec_lo, exec_lo, s45
	s_or_b32 s45, s82, 1
	s_delay_alu instid0(SALU_CYCLE_1) | instskip(SKIP_3) | instid1(SALU_CYCLE_1)
	v_cmp_eq_u32_e32 vcc_lo, s45, v4
	s_barrier_signal -1
	s_barrier_wait -1
	s_and_b32 s83, s3, vcc_lo
	s_and_saveexec_b32 s46, s83
	s_cbranch_execz .LBB102_1153
; %bb.1152:                             ;   in Loop: Header=BB102_1147 Depth=2
	ds_load_b32 v28, v25
	s_wait_dscnt 0x0
	v_mul_f32_e32 v30, v30, v28
	ds_store_b32 v3, v30 offset:20736
.LBB102_1153:                           ;   in Loop: Header=BB102_1147 Depth=2
	s_or_b32 exec_lo, exec_lo, s46
	v_cmp_lt_u32_e32 vcc_lo, s45, v4
	s_wait_dscnt 0x0
	s_barrier_signal -1
	s_barrier_wait -1
	s_and_b32 s46, s3, vcc_lo
	s_delay_alu instid0(SALU_CYCLE_1)
	s_and_saveexec_b32 s45, s46
	s_cbranch_execz .LBB102_1155
; %bb.1154:                             ;   in Loop: Header=BB102_1147 Depth=2
	ds_load_b32 v28, v24 offset:256
	ds_load_b32 v29, v3 offset:20736
	s_wait_dscnt 0x0
	v_fmac_f32_e32 v30, v28, v29
.LBB102_1155:                           ;   in Loop: Header=BB102_1147 Depth=2
	s_or_b32 exec_lo, exec_lo, s45
	s_or_b32 s45, s82, 2
	s_delay_alu instid0(SALU_CYCLE_1) | instskip(SKIP_3) | instid1(SALU_CYCLE_1)
	v_cmp_eq_u32_e32 vcc_lo, s45, v4
	s_barrier_signal -1
	s_barrier_wait -1
	s_and_b32 s83, s3, vcc_lo
	s_and_saveexec_b32 s46, s83
	s_cbranch_execz .LBB102_1157
; %bb.1156:                             ;   in Loop: Header=BB102_1147 Depth=2
	ds_load_b32 v28, v25
	s_wait_dscnt 0x0
	v_mul_f32_e32 v30, v30, v28
	ds_store_b32 v3, v30 offset:20736
.LBB102_1157:                           ;   in Loop: Header=BB102_1147 Depth=2
	s_or_b32 exec_lo, exec_lo, s46
	v_cmp_lt_u32_e32 vcc_lo, s45, v4
	s_wait_dscnt 0x0
	s_barrier_signal -1
	s_barrier_wait -1
	s_and_b32 s46, s3, vcc_lo
	s_delay_alu instid0(SALU_CYCLE_1)
	s_and_saveexec_b32 s45, s46
	s_cbranch_execz .LBB102_1159
; %bb.1158:                             ;   in Loop: Header=BB102_1147 Depth=2
	ds_load_b32 v28, v24 offset:512
	ds_load_b32 v29, v3 offset:20736
	s_wait_dscnt 0x0
	v_fmac_f32_e32 v30, v28, v29
.LBB102_1159:                           ;   in Loop: Header=BB102_1147 Depth=2
	s_or_b32 exec_lo, exec_lo, s45
	s_or_b32 s45, s82, 3
	s_delay_alu instid0(SALU_CYCLE_1) | instskip(SKIP_3) | instid1(SALU_CYCLE_1)
	v_cmp_eq_u32_e32 vcc_lo, s45, v4
	s_barrier_signal -1
	s_barrier_wait -1
	s_and_b32 s83, s3, vcc_lo
	s_and_saveexec_b32 s46, s83
	s_cbranch_execz .LBB102_1161
; %bb.1160:                             ;   in Loop: Header=BB102_1147 Depth=2
	ds_load_b32 v25, v25
	s_wait_dscnt 0x0
	v_mul_f32_e32 v30, v30, v25
	ds_store_b32 v3, v30 offset:20736
.LBB102_1161:                           ;   in Loop: Header=BB102_1147 Depth=2
	s_or_b32 exec_lo, exec_lo, s46
	v_cmp_lt_u32_e32 vcc_lo, s45, v4
	s_wait_dscnt 0x0
	s_barrier_signal -1
	s_barrier_wait -1
	s_and_b32 s46, s3, vcc_lo
	s_delay_alu instid0(SALU_CYCLE_1)
	s_and_saveexec_b32 s45, s46
	s_cbranch_execz .LBB102_1146
; %bb.1162:                             ;   in Loop: Header=BB102_1147 Depth=2
	ds_load_b32 v25, v24 offset:768
	ds_load_b32 v28, v3 offset:20736
	s_wait_dscnt 0x0
	v_fmac_f32_e32 v30, v25, v28
	s_branch .LBB102_1146
.LBB102_1163:                           ;   in Loop: Header=BB102_3 Depth=1
	s_and_b32 vcc_lo, exec_lo, s88
	s_mov_b32 s45, -1
	s_cbranch_vccz .LBB102_1165
; %bb.1164:                             ;   in Loop: Header=BB102_3 Depth=1
	s_and_not1_b32 s46, s65, exec_lo
	s_and_b32 s65, s3, exec_lo
	s_mov_b32 s45, 0
	s_or_b32 s65, s46, s65
.LBB102_1165:                           ;   in Loop: Header=BB102_3 Depth=1
	s_and_not1_b32 vcc_lo, exec_lo, s45
	s_cbranch_vccnz .LBB102_1167
; %bb.1166:                             ;   in Loop: Header=BB102_3 Depth=1
	v_readlane_b32 s46, v87, 3
	s_and_not1_b32 s45, s65, exec_lo
	s_and_b32 s46, s46, exec_lo
	s_delay_alu instid0(SALU_CYCLE_1)
	s_or_b32 s65, s45, s46
.LBB102_1167:                           ;   in Loop: Header=BB102_3 Depth=1
	v_mov_b64_e32 v[24:25], v[22:23]
	s_and_saveexec_b32 s45, s65
	s_cbranch_execnz .LBB102_1204
	s_branch .LBB102_1205
.LBB102_1168:                           ;   in Loop: Header=BB102_3 Depth=1
	s_mov_b32 s45, exec_lo
	v_readlane_b32 s46, v87, 12
	s_and_b32 s46, s45, s46
	s_delay_alu instid0(SALU_CYCLE_1)
	s_xor_b32 s45, s46, s45
	s_mov_b32 exec_lo, s46
	s_cbranch_execz .LBB102_1172
; %bb.1169:                             ;   in Loop: Header=BB102_3 Depth=1
	s_mov_b32 s46, exec_lo
	v_readlane_b32 s82, v86, 22
	s_and_b32 s82, s46, s82
	s_delay_alu instid0(SALU_CYCLE_1)
	s_mov_b32 exec_lo, s82
; %bb.1170:                             ;   in Loop: Header=BB102_3 Depth=1
	ds_store_b32 v72, v3
; %bb.1171:                             ;   in Loop: Header=BB102_3 Depth=1
	s_or_b32 exec_lo, exec_lo, s46
.LBB102_1172:                           ;   in Loop: Header=BB102_3 Depth=1
	s_and_not1_saveexec_b32 s45, s45
	s_cbranch_execz .LBB102_1174
; %bb.1173:                             ;   in Loop: Header=BB102_3 Depth=1
	v_lshl_add_u64 v[30:31], v[12:13], 2, v[28:29]
	flat_load_b32 v30, v[30:31]
	s_wait_loadcnt_dscnt 0x0
	v_div_scale_f32 v31, null, v30, v30, 1.0
	s_delay_alu instid0(VALU_DEP_1) | instskip(SKIP_1) | instid1(TRANS32_DEP_1)
	v_rcp_f32_e32 v82, v31
	v_nop
	v_fma_f32 v83, -v31, v82, 1.0
	s_delay_alu instid0(VALU_DEP_1) | instskip(SKIP_1) | instid1(VALU_DEP_1)
	v_fmac_f32_e32 v82, v83, v82
	v_div_scale_f32 v83, vcc_lo, 1.0, v30, 1.0
	v_mul_f32_e32 v84, v83, v82
	s_delay_alu instid0(VALU_DEP_1) | instskip(NEXT) | instid1(VALU_DEP_1)
	v_fma_f32 v85, -v31, v84, v83
	v_fmac_f32_e32 v84, v85, v82
	s_delay_alu instid0(VALU_DEP_1) | instskip(NEXT) | instid1(VALU_DEP_1)
	v_fma_f32 v31, -v31, v84, v83
	v_div_fmas_f32 v31, v31, v82, v84
	s_delay_alu instid0(VALU_DEP_1)
	v_div_fixup_f32 v30, v31, v30, 1.0
	ds_store_b32 v72, v30
.LBB102_1174:                           ;   in Loop: Header=BB102_3 Depth=1
	s_or_b32 exec_lo, exec_lo, s45
	s_and_not1_saveexec_b32 s45, s65
	s_cbranch_execz .LBB102_17
.LBB102_1175:                           ;   in Loop: Header=BB102_3 Depth=1
	v_lshl_add_u64 v[30:31], v[12:13], 2, v[28:29]
	flat_load_b32 v30, v[30:31]
	s_wait_loadcnt_dscnt 0x0
	v_xor_b32_e32 v30, 0x80000000, v30
	ds_store_b32 v72, v30
	s_or_b32 exec_lo, exec_lo, s45
	s_and_saveexec_b32 s45, s8
	s_delay_alu instid0(SALU_CYCLE_1)
	s_xor_b32 s65, exec_lo, s45
	s_cbranch_execz .LBB102_18
.LBB102_1176:                           ;   in Loop: Header=BB102_3 Depth=1
	s_mov_b32 s45, exec_lo
	v_readlane_b32 s46, v87, 14
	s_and_b32 s46, s45, s46
	s_delay_alu instid0(SALU_CYCLE_1)
	s_xor_b32 s45, s46, s45
	s_mov_b32 exec_lo, s46
	s_cbranch_execz .LBB102_1180
; %bb.1177:                             ;   in Loop: Header=BB102_3 Depth=1
	s_mov_b32 s46, exec_lo
	v_readlane_b32 s82, v86, 23
	s_and_b32 s82, s46, s82
	s_delay_alu instid0(SALU_CYCLE_1)
	s_mov_b32 exec_lo, s82
; %bb.1178:                             ;   in Loop: Header=BB102_3 Depth=1
	ds_store_b32 v73, v3
; %bb.1179:                             ;   in Loop: Header=BB102_3 Depth=1
	s_or_b32 exec_lo, exec_lo, s46
.LBB102_1180:                           ;   in Loop: Header=BB102_3 Depth=1
	s_and_not1_saveexec_b32 s45, s45
	s_cbranch_execz .LBB102_1182
; %bb.1181:                             ;   in Loop: Header=BB102_3 Depth=1
	v_lshl_add_u64 v[30:31], v[14:15], 2, v[28:29]
	flat_load_b32 v30, v[30:31]
	s_wait_loadcnt_dscnt 0x0
	v_div_scale_f32 v31, null, v30, v30, 1.0
	s_delay_alu instid0(VALU_DEP_1) | instskip(SKIP_1) | instid1(TRANS32_DEP_1)
	v_rcp_f32_e32 v82, v31
	v_nop
	v_fma_f32 v83, -v31, v82, 1.0
	s_delay_alu instid0(VALU_DEP_1) | instskip(SKIP_1) | instid1(VALU_DEP_1)
	v_fmac_f32_e32 v82, v83, v82
	v_div_scale_f32 v83, vcc_lo, 1.0, v30, 1.0
	v_mul_f32_e32 v84, v83, v82
	s_delay_alu instid0(VALU_DEP_1) | instskip(NEXT) | instid1(VALU_DEP_1)
	v_fma_f32 v85, -v31, v84, v83
	v_fmac_f32_e32 v84, v85, v82
	s_delay_alu instid0(VALU_DEP_1) | instskip(NEXT) | instid1(VALU_DEP_1)
	v_fma_f32 v31, -v31, v84, v83
	v_div_fmas_f32 v31, v31, v82, v84
	s_delay_alu instid0(VALU_DEP_1)
	v_div_fixup_f32 v30, v31, v30, 1.0
	ds_store_b32 v73, v30
.LBB102_1182:                           ;   in Loop: Header=BB102_3 Depth=1
	s_or_b32 exec_lo, exec_lo, s45
	s_and_not1_saveexec_b32 s45, s65
	s_cbranch_execz .LBB102_19
.LBB102_1183:                           ;   in Loop: Header=BB102_3 Depth=1
	v_lshl_add_u64 v[30:31], v[14:15], 2, v[28:29]
	flat_load_b32 v30, v[30:31]
	s_wait_loadcnt_dscnt 0x0
	v_xor_b32_e32 v30, 0x80000000, v30
	ds_store_b32 v73, v30
	s_or_b32 exec_lo, exec_lo, s45
	s_and_saveexec_b32 s45, s9
	s_delay_alu instid0(SALU_CYCLE_1)
	s_xor_b32 s65, exec_lo, s45
	s_cbranch_execz .LBB102_20
.LBB102_1184:                           ;   in Loop: Header=BB102_3 Depth=1
	s_mov_b32 s45, exec_lo
	v_readlane_b32 s46, v87, 16
	s_and_b32 s46, s45, s46
	s_delay_alu instid0(SALU_CYCLE_1)
	s_xor_b32 s45, s46, s45
	s_mov_b32 exec_lo, s46
	s_cbranch_execz .LBB102_1188
; %bb.1185:                             ;   in Loop: Header=BB102_3 Depth=1
	s_mov_b32 s46, exec_lo
	v_readlane_b32 s82, v86, 24
	s_and_b32 s82, s46, s82
	s_delay_alu instid0(SALU_CYCLE_1)
	s_mov_b32 exec_lo, s82
; %bb.1186:                             ;   in Loop: Header=BB102_3 Depth=1
	ds_store_b32 v74, v3
; %bb.1187:                             ;   in Loop: Header=BB102_3 Depth=1
	s_or_b32 exec_lo, exec_lo, s46
.LBB102_1188:                           ;   in Loop: Header=BB102_3 Depth=1
	s_and_not1_saveexec_b32 s45, s45
	s_cbranch_execz .LBB102_1190
; %bb.1189:                             ;   in Loop: Header=BB102_3 Depth=1
	v_lshl_add_u64 v[30:31], v[16:17], 2, v[28:29]
	flat_load_b32 v30, v[30:31]
	s_wait_loadcnt_dscnt 0x0
	v_div_scale_f32 v31, null, v30, v30, 1.0
	s_delay_alu instid0(VALU_DEP_1) | instskip(SKIP_1) | instid1(TRANS32_DEP_1)
	v_rcp_f32_e32 v82, v31
	v_nop
	v_fma_f32 v83, -v31, v82, 1.0
	s_delay_alu instid0(VALU_DEP_1) | instskip(SKIP_1) | instid1(VALU_DEP_1)
	v_fmac_f32_e32 v82, v83, v82
	v_div_scale_f32 v83, vcc_lo, 1.0, v30, 1.0
	v_mul_f32_e32 v84, v83, v82
	s_delay_alu instid0(VALU_DEP_1) | instskip(NEXT) | instid1(VALU_DEP_1)
	v_fma_f32 v85, -v31, v84, v83
	v_fmac_f32_e32 v84, v85, v82
	s_delay_alu instid0(VALU_DEP_1) | instskip(NEXT) | instid1(VALU_DEP_1)
	v_fma_f32 v31, -v31, v84, v83
	v_div_fmas_f32 v31, v31, v82, v84
	s_delay_alu instid0(VALU_DEP_1)
	v_div_fixup_f32 v30, v31, v30, 1.0
	ds_store_b32 v74, v30
.LBB102_1190:                           ;   in Loop: Header=BB102_3 Depth=1
	s_or_b32 exec_lo, exec_lo, s45
	s_and_not1_saveexec_b32 s45, s65
	s_cbranch_execz .LBB102_21
.LBB102_1191:                           ;   in Loop: Header=BB102_3 Depth=1
	v_lshl_add_u64 v[30:31], v[16:17], 2, v[28:29]
	flat_load_b32 v30, v[30:31]
	s_wait_loadcnt_dscnt 0x0
	v_xor_b32_e32 v30, 0x80000000, v30
	ds_store_b32 v74, v30
	s_or_b32 exec_lo, exec_lo, s45
	s_and_saveexec_b32 s45, s10
	s_delay_alu instid0(SALU_CYCLE_1)
	s_xor_b32 s65, exec_lo, s45
	s_cbranch_execz .LBB102_22
.LBB102_1192:                           ;   in Loop: Header=BB102_3 Depth=1
	s_mov_b32 s45, exec_lo
	v_readlane_b32 s46, v87, 18
	s_and_b32 s46, s45, s46
	s_delay_alu instid0(SALU_CYCLE_1)
	s_xor_b32 s45, s46, s45
	s_mov_b32 exec_lo, s46
	s_cbranch_execz .LBB102_1196
; %bb.1193:                             ;   in Loop: Header=BB102_3 Depth=1
	s_mov_b32 s46, exec_lo
	v_readlane_b32 s82, v86, 25
	s_and_b32 s82, s46, s82
	s_delay_alu instid0(SALU_CYCLE_1)
	s_mov_b32 exec_lo, s82
; %bb.1194:                             ;   in Loop: Header=BB102_3 Depth=1
	ds_store_b32 v75, v3
; %bb.1195:                             ;   in Loop: Header=BB102_3 Depth=1
	s_or_b32 exec_lo, exec_lo, s46
.LBB102_1196:                           ;   in Loop: Header=BB102_3 Depth=1
	s_and_not1_saveexec_b32 s45, s45
	s_cbranch_execz .LBB102_1198
; %bb.1197:                             ;   in Loop: Header=BB102_3 Depth=1
	v_lshl_add_u64 v[30:31], v[18:19], 2, v[28:29]
	flat_load_b32 v30, v[30:31]
	s_wait_loadcnt_dscnt 0x0
	v_div_scale_f32 v31, null, v30, v30, 1.0
	s_delay_alu instid0(VALU_DEP_1) | instskip(SKIP_1) | instid1(TRANS32_DEP_1)
	v_rcp_f32_e32 v82, v31
	v_nop
	v_fma_f32 v83, -v31, v82, 1.0
	s_delay_alu instid0(VALU_DEP_1) | instskip(SKIP_1) | instid1(VALU_DEP_1)
	v_fmac_f32_e32 v82, v83, v82
	v_div_scale_f32 v83, vcc_lo, 1.0, v30, 1.0
	v_mul_f32_e32 v84, v83, v82
	s_delay_alu instid0(VALU_DEP_1) | instskip(NEXT) | instid1(VALU_DEP_1)
	v_fma_f32 v85, -v31, v84, v83
	v_fmac_f32_e32 v84, v85, v82
	s_delay_alu instid0(VALU_DEP_1) | instskip(NEXT) | instid1(VALU_DEP_1)
	v_fma_f32 v31, -v31, v84, v83
	v_div_fmas_f32 v31, v31, v82, v84
	s_delay_alu instid0(VALU_DEP_1)
	v_div_fixup_f32 v30, v31, v30, 1.0
	ds_store_b32 v75, v30
.LBB102_1198:                           ;   in Loop: Header=BB102_3 Depth=1
	s_or_b32 exec_lo, exec_lo, s45
	s_and_not1_saveexec_b32 s45, s65
	s_cbranch_execnz .LBB102_23
	s_branch .LBB102_24
.LBB102_1199:                           ;   in Loop: Header=BB102_3 Depth=1
	ds_load_b32 v2, v70
	ds_load_b32 v24, v66
	s_wait_dscnt 0x0
	v_fma_f32 v2, v2, v24, 0
	s_or_b32 exec_lo, exec_lo, s45
	s_and_saveexec_b32 s45, s8
	s_cbranch_execz .LBB102_1139
.LBB102_1200:                           ;   in Loop: Header=BB102_3 Depth=1
	ds_load_b32 v24, v70 offset:4096
	ds_load_b32 v25, v66 offset:64
	s_wait_dscnt 0x0
	v_fmac_f32_e32 v2, v24, v25
	s_or_b32 exec_lo, exec_lo, s45
	s_and_saveexec_b32 s45, s9
	s_cbranch_execz .LBB102_1140
.LBB102_1201:                           ;   in Loop: Header=BB102_3 Depth=1
	ds_load_b32 v24, v70 offset:8192
	ds_load_b32 v25, v66 offset:128
	s_wait_dscnt 0x0
	v_fmac_f32_e32 v2, v24, v25
	s_or_b32 exec_lo, exec_lo, s45
	s_and_saveexec_b32 s45, s10
	s_cbranch_execnz .LBB102_1141
	s_branch .LBB102_1142
.LBB102_1202:                           ;   in Loop: Header=BB102_3 Depth=1
	s_or_b32 exec_lo, exec_lo, s83
	s_delay_alu instid0(SALU_CYCLE_1)
	s_and_b32 vcc_lo, exec_lo, s82
	s_cbranch_vccnz .LBB102_1145
.LBB102_1203:                           ;   in Loop: Header=BB102_3 Depth=1
	v_mov_b32_e32 v30, v24
	v_mov_b64_e32 v[24:25], v[20:21]
	s_and_saveexec_b32 s45, s65
	s_cbranch_execz .LBB102_1205
.LBB102_1204:                           ;   in Loop: Header=BB102_3 Depth=1
	s_delay_alu instid0(VALU_DEP_1)
	v_lshl_add_u64 v[24:25], v[24:25], 2, v[26:27]
	flat_store_b32 v[24:25], v30
.LBB102_1205:                           ;   in Loop: Header=BB102_3 Depth=1
	s_wait_xcnt 0x0
	s_or_b32 exec_lo, exec_lo, s45
	global_wb scope:SCOPE_DEV
	s_wait_storecnt_dscnt 0x0
	global_inv scope:SCOPE_DEV
	s_wait_loadcnt 0x0
	s_barrier_signal -1
	s_barrier_wait -1
	s_and_saveexec_b32 s45, s59
	s_cbranch_execz .LBB102_2
; %bb.1206:                             ;   in Loop: Header=BB102_3 Depth=1
	s_lshl_b64 s[82:83], s[66:67], 2
	s_delay_alu instid0(SALU_CYCLE_1)
	s_add_nc_u64 s[82:83], s[80:81], s[82:83]
	global_load_b32 v2, v3, s[82:83]
	s_wait_loadcnt 0x0
	v_add_nc_u32_e32 v2, 1, v2
	global_store_b32 v3, v2, s[82:83]
	s_branch .LBB102_2
.LBB102_1207:                           ;   in Loop: Header=BB102_3 Depth=1
	ds_load_b32 v29, v41 offset:15840
	ds_load_b32 v30, v40 offset:16372
	s_wait_dscnt 0x0
	v_fmac_f32_e32 v28, v29, v30
	s_or_b32 exec_lo, exec_lo, s45
	s_and_saveexec_b32 s45, s18
	s_cbranch_execz .LBB102_88
.LBB102_1208:                           ;   in Loop: Header=BB102_3 Depth=1
	ds_load_b32 v29, v41 offset:16096
	ds_load_b32 v30, v40 offset:16376
	s_wait_dscnt 0x0
	v_fmac_f32_e32 v28, v29, v30
	s_or_b32 exec_lo, exec_lo, s45
	s_and_saveexec_b32 s45, s2
	s_cbranch_execnz .LBB102_89
	s_branch .LBB102_90
.LBB102_1209:                           ;   in Loop: Header=BB102_3 Depth=1
	ds_load_b32 v29, v46 offset:14784
	ds_load_b32 v30, v45 offset:16356
	s_wait_dscnt 0x0
	v_fmac_f32_e32 v28, v29, v30
	s_or_b32 exec_lo, exec_lo, s45
	s_and_saveexec_b32 s45, s20
	s_cbranch_execz .LBB102_130
.LBB102_1210:                           ;   in Loop: Header=BB102_3 Depth=1
	ds_load_b32 v29, v46 offset:15040
	ds_load_b32 v30, v45 offset:16360
	s_wait_dscnt 0x0
	v_fmac_f32_e32 v28, v29, v30
	s_or_b32 exec_lo, exec_lo, s45
	s_and_saveexec_b32 s45, s21
	s_cbranch_execz .LBB102_131
.LBB102_1211:                           ;   in Loop: Header=BB102_3 Depth=1
	ds_load_b32 v29, v46 offset:15296
	ds_load_b32 v30, v45 offset:16364
	s_wait_dscnt 0x0
	v_fmac_f32_e32 v28, v29, v30
	s_or_b32 exec_lo, exec_lo, s45
	s_and_saveexec_b32 s45, s22
	s_cbranch_execz .LBB102_132
.LBB102_1212:                           ;   in Loop: Header=BB102_3 Depth=1
	ds_load_b32 v29, v46 offset:15552
	ds_load_b32 v30, v45 offset:16368
	s_wait_dscnt 0x0
	v_fmac_f32_e32 v28, v29, v30
	s_or_b32 exec_lo, exec_lo, s45
	s_and_saveexec_b32 s45, s23
	s_cbranch_execz .LBB102_133
.LBB102_1213:                           ;   in Loop: Header=BB102_3 Depth=1
	ds_load_b32 v29, v46 offset:15808
	ds_load_b32 v30, v45 offset:16372
	s_wait_dscnt 0x0
	v_fmac_f32_e32 v28, v29, v30
	s_or_b32 exec_lo, exec_lo, s45
	s_and_saveexec_b32 s45, s4
	s_cbranch_execz .LBB102_134
.LBB102_1214:                           ;   in Loop: Header=BB102_3 Depth=1
	ds_load_b32 v29, v46 offset:16064
	ds_load_b32 v30, v45 offset:16376
	s_wait_dscnt 0x0
	v_fmac_f32_e32 v28, v29, v30
	s_or_b32 exec_lo, exec_lo, s45
	s_and_saveexec_b32 s45, s18
	s_cbranch_execnz .LBB102_135
	s_branch .LBB102_136
.LBB102_1215:                           ;   in Loop: Header=BB102_3 Depth=1
	ds_load_b32 v29, v41 offset:13760
	ds_load_b32 v30, v40 offset:14292
	s_wait_dscnt 0x0
	v_fmac_f32_e32 v28, v29, v30
	s_or_b32 exec_lo, exec_lo, s45
	s_and_saveexec_b32 s45, s18
	s_cbranch_execz .LBB102_192
.LBB102_1216:                           ;   in Loop: Header=BB102_3 Depth=1
	ds_load_b32 v29, v41 offset:14016
	ds_load_b32 v30, v40 offset:14296
	s_wait_dscnt 0x0
	v_fmac_f32_e32 v28, v29, v30
	s_or_b32 exec_lo, exec_lo, s45
	s_and_saveexec_b32 s45, s2
	s_cbranch_execnz .LBB102_193
	s_branch .LBB102_194
.LBB102_1217:                           ;   in Loop: Header=BB102_3 Depth=1
	ds_load_b32 v29, v50 offset:15232
	ds_load_b32 v30, v49 offset:16364
	s_wait_dscnt 0x0
	v_fmac_f32_e32 v28, v29, v30
	s_or_b32 exec_lo, exec_lo, s45
	s_and_saveexec_b32 s45, s5
	s_cbranch_execz .LBB102_254
.LBB102_1218:                           ;   in Loop: Header=BB102_3 Depth=1
	ds_load_b32 v29, v50 offset:15488
	ds_load_b32 v30, v49 offset:16368
	s_wait_dscnt 0x0
	v_fmac_f32_e32 v28, v29, v30
	s_or_b32 exec_lo, exec_lo, s45
	s_and_saveexec_b32 s45, s20
	s_cbranch_execz .LBB102_255
.LBB102_1219:                           ;   in Loop: Header=BB102_3 Depth=1
	ds_load_b32 v29, v50 offset:15744
	ds_load_b32 v30, v49 offset:16372
	s_wait_dscnt 0x0
	v_fmac_f32_e32 v28, v29, v30
	s_or_b32 exec_lo, exec_lo, s45
	s_and_saveexec_b32 s45, s22
	s_cbranch_execz .LBB102_256
.LBB102_1220:                           ;   in Loop: Header=BB102_3 Depth=1
	ds_load_b32 v29, v50 offset:16000
	ds_load_b32 v30, v49 offset:16376
	s_wait_dscnt 0x0
	v_fmac_f32_e32 v28, v29, v30
	s_or_b32 exec_lo, exec_lo, s45
	s_and_saveexec_b32 s45, s4
	s_cbranch_execnz .LBB102_257
	s_branch .LBB102_258
.LBB102_1221:                           ;   in Loop: Header=BB102_3 Depth=1
	ds_load_b32 v29, v41 offset:11680
	ds_load_b32 v30, v40 offset:12212
	s_wait_dscnt 0x0
	v_fmac_f32_e32 v28, v29, v30
	s_or_b32 exec_lo, exec_lo, s45
	s_and_saveexec_b32 s45, s18
	s_cbranch_execz .LBB102_346
.LBB102_1222:                           ;   in Loop: Header=BB102_3 Depth=1
	ds_load_b32 v29, v41 offset:11936
	ds_load_b32 v30, v40 offset:12216
	s_wait_dscnt 0x0
	v_fmac_f32_e32 v28, v29, v30
	s_or_b32 exec_lo, exec_lo, s45
	s_and_saveexec_b32 s45, s2
	s_cbranch_execnz .LBB102_347
	s_branch .LBB102_348
.LBB102_1223:                           ;   in Loop: Header=BB102_3 Depth=1
	ds_load_b32 v29, v46 offset:10624
	ds_load_b32 v30, v45 offset:12196
	s_wait_dscnt 0x0
	v_fmac_f32_e32 v28, v29, v30
	s_or_b32 exec_lo, exec_lo, s45
	s_and_saveexec_b32 s45, s20
	s_cbranch_execz .LBB102_388
.LBB102_1224:                           ;   in Loop: Header=BB102_3 Depth=1
	ds_load_b32 v29, v46 offset:10880
	ds_load_b32 v30, v45 offset:12200
	s_wait_dscnt 0x0
	v_fmac_f32_e32 v28, v29, v30
	s_or_b32 exec_lo, exec_lo, s45
	s_and_saveexec_b32 s45, s21
	s_cbranch_execz .LBB102_389
.LBB102_1225:                           ;   in Loop: Header=BB102_3 Depth=1
	ds_load_b32 v29, v46 offset:11136
	ds_load_b32 v30, v45 offset:12204
	s_wait_dscnt 0x0
	v_fmac_f32_e32 v28, v29, v30
	s_or_b32 exec_lo, exec_lo, s45
	s_and_saveexec_b32 s45, s22
	s_cbranch_execz .LBB102_390
.LBB102_1226:                           ;   in Loop: Header=BB102_3 Depth=1
	ds_load_b32 v29, v46 offset:11392
	ds_load_b32 v30, v45 offset:12208
	s_wait_dscnt 0x0
	v_fmac_f32_e32 v28, v29, v30
	s_or_b32 exec_lo, exec_lo, s45
	s_and_saveexec_b32 s45, s23
	s_cbranch_execz .LBB102_391
.LBB102_1227:                           ;   in Loop: Header=BB102_3 Depth=1
	ds_load_b32 v29, v46 offset:11648
	ds_load_b32 v30, v45 offset:12212
	s_wait_dscnt 0x0
	v_fmac_f32_e32 v28, v29, v30
	s_or_b32 exec_lo, exec_lo, s45
	s_and_saveexec_b32 s45, s4
	s_cbranch_execz .LBB102_392
.LBB102_1228:                           ;   in Loop: Header=BB102_3 Depth=1
	ds_load_b32 v29, v46 offset:11904
	ds_load_b32 v30, v45 offset:12216
	s_wait_dscnt 0x0
	v_fmac_f32_e32 v28, v29, v30
	s_or_b32 exec_lo, exec_lo, s45
	s_and_saveexec_b32 s45, s18
	s_cbranch_execnz .LBB102_393
	s_branch .LBB102_394
.LBB102_1229:                           ;   in Loop: Header=BB102_3 Depth=1
	ds_load_b32 v29, v41 offset:9600
	ds_load_b32 v30, v40 offset:10132
	s_wait_dscnt 0x0
	v_fmac_f32_e32 v28, v29, v30
	s_or_b32 exec_lo, exec_lo, s45
	s_and_saveexec_b32 s45, s18
	s_cbranch_execz .LBB102_450
.LBB102_1230:                           ;   in Loop: Header=BB102_3 Depth=1
	ds_load_b32 v29, v41 offset:9856
	ds_load_b32 v30, v40 offset:10136
	s_wait_dscnt 0x0
	v_fmac_f32_e32 v28, v29, v30
	s_or_b32 exec_lo, exec_lo, s45
	s_and_saveexec_b32 s45, s2
	s_cbranch_execnz .LBB102_451
	s_branch .LBB102_452
.LBB102_1231:                           ;   in Loop: Header=BB102_3 Depth=1
	ds_load_b32 v29, v64 offset:15616
	ds_load_b32 v30, v63 offset:16372
	s_wait_dscnt 0x0
	v_fmac_f32_e32 v28, v29, v30
	s_or_b32 exec_lo, exec_lo, s45
	s_and_saveexec_b32 s45, s5
	s_cbranch_execz .LBB102_548
.LBB102_1232:                           ;   in Loop: Header=BB102_3 Depth=1
	ds_load_b32 v29, v64 offset:15872
	ds_load_b32 v30, v63 offset:16376
	s_wait_dscnt 0x0
	v_fmac_f32_e32 v28, v29, v30
	s_or_b32 exec_lo, exec_lo, s45
	s_and_saveexec_b32 s45, s22
	s_cbranch_execnz .LBB102_549
	s_branch .LBB102_550
.LBB102_1233:                           ;   in Loop: Header=BB102_3 Depth=1
	ds_load_b32 v29, v41 offset:7520
	ds_load_b32 v30, v40 offset:8052
	s_wait_dscnt 0x0
	v_fmac_f32_e32 v28, v29, v30
	s_or_b32 exec_lo, exec_lo, s45
	s_and_saveexec_b32 s45, s18
	s_cbranch_execz .LBB102_702
.LBB102_1234:                           ;   in Loop: Header=BB102_3 Depth=1
	ds_load_b32 v29, v41 offset:7776
	ds_load_b32 v30, v40 offset:8056
	s_wait_dscnt 0x0
	v_fmac_f32_e32 v28, v29, v30
	s_or_b32 exec_lo, exec_lo, s45
	s_and_saveexec_b32 s45, s2
	s_cbranch_execnz .LBB102_703
	s_branch .LBB102_704
.LBB102_1235:                           ;   in Loop: Header=BB102_3 Depth=1
	ds_load_b32 v29, v46 offset:6464
	ds_load_b32 v30, v45 offset:8036
	s_wait_dscnt 0x0
	v_fmac_f32_e32 v28, v29, v30
	s_or_b32 exec_lo, exec_lo, s45
	s_and_saveexec_b32 s45, s20
	s_cbranch_execz .LBB102_744
.LBB102_1236:                           ;   in Loop: Header=BB102_3 Depth=1
	ds_load_b32 v29, v46 offset:6720
	ds_load_b32 v30, v45 offset:8040
	s_wait_dscnt 0x0
	v_fmac_f32_e32 v28, v29, v30
	s_or_b32 exec_lo, exec_lo, s45
	s_and_saveexec_b32 s45, s21
	s_cbranch_execz .LBB102_745
.LBB102_1237:                           ;   in Loop: Header=BB102_3 Depth=1
	ds_load_b32 v29, v46 offset:6976
	ds_load_b32 v30, v45 offset:8044
	s_wait_dscnt 0x0
	v_fmac_f32_e32 v28, v29, v30
	s_or_b32 exec_lo, exec_lo, s45
	s_and_saveexec_b32 s45, s22
	s_cbranch_execz .LBB102_746
.LBB102_1238:                           ;   in Loop: Header=BB102_3 Depth=1
	ds_load_b32 v29, v46 offset:7232
	ds_load_b32 v30, v45 offset:8048
	s_wait_dscnt 0x0
	v_fmac_f32_e32 v28, v29, v30
	s_or_b32 exec_lo, exec_lo, s45
	s_and_saveexec_b32 s45, s23
	s_cbranch_execz .LBB102_747
.LBB102_1239:                           ;   in Loop: Header=BB102_3 Depth=1
	ds_load_b32 v29, v46 offset:7488
	ds_load_b32 v30, v45 offset:8052
	s_wait_dscnt 0x0
	v_fmac_f32_e32 v28, v29, v30
	s_or_b32 exec_lo, exec_lo, s45
	s_and_saveexec_b32 s45, s4
	s_cbranch_execz .LBB102_748
.LBB102_1240:                           ;   in Loop: Header=BB102_3 Depth=1
	ds_load_b32 v29, v46 offset:7744
	ds_load_b32 v30, v45 offset:8056
	s_wait_dscnt 0x0
	v_fmac_f32_e32 v28, v29, v30
	s_or_b32 exec_lo, exec_lo, s45
	s_and_saveexec_b32 s45, s18
	s_cbranch_execnz .LBB102_749
	s_branch .LBB102_750
.LBB102_1241:                           ;   in Loop: Header=BB102_3 Depth=1
	ds_load_b32 v29, v41 offset:5440
	ds_load_b32 v30, v40 offset:5972
	s_wait_dscnt 0x0
	v_fmac_f32_e32 v28, v29, v30
	s_or_b32 exec_lo, exec_lo, s45
	s_and_saveexec_b32 s45, s18
	s_cbranch_execz .LBB102_806
.LBB102_1242:                           ;   in Loop: Header=BB102_3 Depth=1
	ds_load_b32 v29, v41 offset:5696
	ds_load_b32 v30, v40 offset:5976
	s_wait_dscnt 0x0
	v_fmac_f32_e32 v28, v29, v30
	s_or_b32 exec_lo, exec_lo, s45
	s_and_saveexec_b32 s45, s2
	s_cbranch_execnz .LBB102_807
	s_branch .LBB102_808
.LBB102_1243:                           ;   in Loop: Header=BB102_3 Depth=1
	ds_load_b32 v29, v50 offset:6912
	ds_load_b32 v30, v49 offset:8044
	s_wait_dscnt 0x0
	v_fmac_f32_e32 v28, v29, v30
	s_or_b32 exec_lo, exec_lo, s45
	s_and_saveexec_b32 s45, s5
	s_cbranch_execz .LBB102_868
.LBB102_1244:                           ;   in Loop: Header=BB102_3 Depth=1
	ds_load_b32 v29, v50 offset:7168
	ds_load_b32 v30, v49 offset:8048
	s_wait_dscnt 0x0
	v_fmac_f32_e32 v28, v29, v30
	s_or_b32 exec_lo, exec_lo, s45
	s_and_saveexec_b32 s45, s20
	s_cbranch_execz .LBB102_869
.LBB102_1245:                           ;   in Loop: Header=BB102_3 Depth=1
	ds_load_b32 v29, v50 offset:7424
	ds_load_b32 v30, v49 offset:8052
	s_wait_dscnt 0x0
	v_fmac_f32_e32 v28, v29, v30
	s_or_b32 exec_lo, exec_lo, s45
	s_and_saveexec_b32 s45, s22
	s_cbranch_execz .LBB102_870
.LBB102_1246:                           ;   in Loop: Header=BB102_3 Depth=1
	ds_load_b32 v29, v50 offset:7680
	ds_load_b32 v30, v49 offset:8056
	s_wait_dscnt 0x0
	v_fmac_f32_e32 v28, v29, v30
	s_or_b32 exec_lo, exec_lo, s45
	s_and_saveexec_b32 s45, s4
	s_cbranch_execnz .LBB102_871
	s_branch .LBB102_872
.LBB102_1247:                           ;   in Loop: Header=BB102_3 Depth=1
	ds_load_b32 v29, v41 offset:3360
	ds_load_b32 v30, v40 offset:3892
	s_wait_dscnt 0x0
	v_fmac_f32_e32 v28, v29, v30
	s_or_b32 exec_lo, exec_lo, s45
	s_and_saveexec_b32 s45, s18
	s_cbranch_execz .LBB102_960
.LBB102_1248:                           ;   in Loop: Header=BB102_3 Depth=1
	ds_load_b32 v29, v41 offset:3616
	ds_load_b32 v30, v40 offset:3896
	s_wait_dscnt 0x0
	v_fmac_f32_e32 v28, v29, v30
	s_or_b32 exec_lo, exec_lo, s45
	s_and_saveexec_b32 s45, s2
	s_cbranch_execnz .LBB102_961
	s_branch .LBB102_962
.LBB102_1249:                           ;   in Loop: Header=BB102_3 Depth=1
	ds_load_b32 v29, v46 offset:2304
	ds_load_b32 v30, v45 offset:3876
	s_wait_dscnt 0x0
	v_fmac_f32_e32 v28, v29, v30
	s_or_b32 exec_lo, exec_lo, s45
	s_and_saveexec_b32 s45, s20
	s_cbranch_execz .LBB102_1002
.LBB102_1250:                           ;   in Loop: Header=BB102_3 Depth=1
	ds_load_b32 v29, v46 offset:2560
	ds_load_b32 v30, v45 offset:3880
	s_wait_dscnt 0x0
	v_fmac_f32_e32 v28, v29, v30
	s_or_b32 exec_lo, exec_lo, s45
	s_and_saveexec_b32 s45, s21
	s_cbranch_execz .LBB102_1003
.LBB102_1251:                           ;   in Loop: Header=BB102_3 Depth=1
	ds_load_b32 v29, v46 offset:2816
	ds_load_b32 v30, v45 offset:3884
	s_wait_dscnt 0x0
	v_fmac_f32_e32 v28, v29, v30
	s_or_b32 exec_lo, exec_lo, s45
	s_and_saveexec_b32 s45, s22
	s_cbranch_execz .LBB102_1004
.LBB102_1252:                           ;   in Loop: Header=BB102_3 Depth=1
	ds_load_b32 v29, v46 offset:3072
	ds_load_b32 v30, v45 offset:3888
	s_wait_dscnt 0x0
	v_fmac_f32_e32 v28, v29, v30
	s_or_b32 exec_lo, exec_lo, s45
	s_and_saveexec_b32 s45, s23
	s_cbranch_execz .LBB102_1005
.LBB102_1253:                           ;   in Loop: Header=BB102_3 Depth=1
	ds_load_b32 v29, v46 offset:3328
	ds_load_b32 v30, v45 offset:3892
	s_wait_dscnt 0x0
	v_fmac_f32_e32 v28, v29, v30
	s_or_b32 exec_lo, exec_lo, s45
	s_and_saveexec_b32 s45, s4
	s_cbranch_execz .LBB102_1006
.LBB102_1254:                           ;   in Loop: Header=BB102_3 Depth=1
	ds_load_b32 v29, v46 offset:3584
	ds_load_b32 v30, v45 offset:3896
	s_wait_dscnt 0x0
	v_fmac_f32_e32 v28, v29, v30
	s_or_b32 exec_lo, exec_lo, s45
	s_and_saveexec_b32 s45, s18
	s_cbranch_execnz .LBB102_1007
	s_branch .LBB102_1008
.LBB102_1255:                           ;   in Loop: Header=BB102_3 Depth=1
	ds_load_b32 v29, v41 offset:1280
	ds_load_b32 v30, v40 offset:1812
	s_wait_dscnt 0x0
	v_fmac_f32_e32 v28, v29, v30
	s_or_b32 exec_lo, exec_lo, s45
	s_and_saveexec_b32 s45, s18
	s_cbranch_execz .LBB102_1064
.LBB102_1256:                           ;   in Loop: Header=BB102_3 Depth=1
	ds_load_b32 v29, v41 offset:1536
	ds_load_b32 v30, v40 offset:1816
	s_wait_dscnt 0x0
	v_fmac_f32_e32 v28, v29, v30
	s_or_b32 exec_lo, exec_lo, s45
	s_and_saveexec_b32 s45, s2
	s_cbranch_execnz .LBB102_1065
	s_branch .LBB102_1066
.LBB102_1257:
	s_endpgm
	.section	.rodata,"a",@progbits
	.p2align	6, 0x0
	.amdhsa_kernel _ZL19rocblas_trsv_deviceILi64ELi16ELb0ELb1ELb1ELb0EfPKfPKS1_PKPfEviT7_lllT6_T8_lllPii
		.amdhsa_group_segment_fixed_size 20740
		.amdhsa_private_segment_fixed_size 0
		.amdhsa_kernarg_size 352
		.amdhsa_user_sgpr_count 2
		.amdhsa_user_sgpr_dispatch_ptr 0
		.amdhsa_user_sgpr_queue_ptr 0
		.amdhsa_user_sgpr_kernarg_segment_ptr 1
		.amdhsa_user_sgpr_dispatch_id 0
		.amdhsa_user_sgpr_kernarg_preload_length 0
		.amdhsa_user_sgpr_kernarg_preload_offset 0
		.amdhsa_user_sgpr_private_segment_size 0
		.amdhsa_wavefront_size32 1
		.amdhsa_uses_dynamic_stack 0
		.amdhsa_enable_private_segment 0
		.amdhsa_system_sgpr_workgroup_id_x 1
		.amdhsa_system_sgpr_workgroup_id_y 0
		.amdhsa_system_sgpr_workgroup_id_z 1
		.amdhsa_system_sgpr_workgroup_info 0
		.amdhsa_system_vgpr_workitem_id 1
		.amdhsa_next_free_vgpr 90
		.amdhsa_next_free_sgpr 105
		.amdhsa_named_barrier_count 0
		.amdhsa_reserve_vcc 1
		.amdhsa_float_round_mode_32 0
		.amdhsa_float_round_mode_16_64 0
		.amdhsa_float_denorm_mode_32 3
		.amdhsa_float_denorm_mode_16_64 3
		.amdhsa_fp16_overflow 0
		.amdhsa_memory_ordered 1
		.amdhsa_forward_progress 1
		.amdhsa_inst_pref_size 255
		.amdhsa_round_robin_scheduling 0
		.amdhsa_exception_fp_ieee_invalid_op 0
		.amdhsa_exception_fp_denorm_src 0
		.amdhsa_exception_fp_ieee_div_zero 0
		.amdhsa_exception_fp_ieee_overflow 0
		.amdhsa_exception_fp_ieee_underflow 0
		.amdhsa_exception_fp_ieee_inexact 0
		.amdhsa_exception_int_div_zero 0
	.end_amdhsa_kernel
	.section	.text._ZL19rocblas_trsv_deviceILi64ELi16ELb0ELb1ELb1ELb0EfPKfPKS1_PKPfEviT7_lllT6_T8_lllPii,"axG",@progbits,_ZL19rocblas_trsv_deviceILi64ELi16ELb0ELb1ELb1ELb0EfPKfPKS1_PKPfEviT7_lllT6_T8_lllPii,comdat
.Lfunc_end102:
	.size	_ZL19rocblas_trsv_deviceILi64ELi16ELb0ELb1ELb1ELb0EfPKfPKS1_PKPfEviT7_lllT6_T8_lllPii, .Lfunc_end102-_ZL19rocblas_trsv_deviceILi64ELi16ELb0ELb1ELb1ELb0EfPKfPKS1_PKPfEviT7_lllT6_T8_lllPii
                                        ; -- End function
	.set _ZL19rocblas_trsv_deviceILi64ELi16ELb0ELb1ELb1ELb0EfPKfPKS1_PKPfEviT7_lllT6_T8_lllPii.num_vgpr, 90
	.set _ZL19rocblas_trsv_deviceILi64ELi16ELb0ELb1ELb1ELb0EfPKfPKS1_PKPfEviT7_lllT6_T8_lllPii.num_agpr, 0
	.set _ZL19rocblas_trsv_deviceILi64ELi16ELb0ELb1ELb1ELb0EfPKfPKS1_PKPfEviT7_lllT6_T8_lllPii.numbered_sgpr, 105
	.set _ZL19rocblas_trsv_deviceILi64ELi16ELb0ELb1ELb1ELb0EfPKfPKS1_PKPfEviT7_lllT6_T8_lllPii.num_named_barrier, 0
	.set _ZL19rocblas_trsv_deviceILi64ELi16ELb0ELb1ELb1ELb0EfPKfPKS1_PKPfEviT7_lllT6_T8_lllPii.private_seg_size, 0
	.set _ZL19rocblas_trsv_deviceILi64ELi16ELb0ELb1ELb1ELb0EfPKfPKS1_PKPfEviT7_lllT6_T8_lllPii.uses_vcc, 1
	.set _ZL19rocblas_trsv_deviceILi64ELi16ELb0ELb1ELb1ELb0EfPKfPKS1_PKPfEviT7_lllT6_T8_lllPii.uses_flat_scratch, 0
	.set _ZL19rocblas_trsv_deviceILi64ELi16ELb0ELb1ELb1ELb0EfPKfPKS1_PKPfEviT7_lllT6_T8_lllPii.has_dyn_sized_stack, 0
	.set _ZL19rocblas_trsv_deviceILi64ELi16ELb0ELb1ELb1ELb0EfPKfPKS1_PKPfEviT7_lllT6_T8_lllPii.has_recursion, 0
	.set _ZL19rocblas_trsv_deviceILi64ELi16ELb0ELb1ELb1ELb0EfPKfPKS1_PKPfEviT7_lllT6_T8_lllPii.has_indirect_call, 0
	.section	.AMDGPU.csdata,"",@progbits
; Kernel info:
; codeLenInByte = 42788
; TotalNumSgprs: 107
; NumVgprs: 90
; ScratchSize: 0
; MemoryBound: 0
; FloatMode: 240
; IeeeMode: 1
; LDSByteSize: 20740 bytes/workgroup (compile time only)
; SGPRBlocks: 0
; VGPRBlocks: 5
; NumSGPRsForWavesPerEU: 107
; NumVGPRsForWavesPerEU: 90
; NamedBarCnt: 0
; Occupancy: 10
; WaveLimiterHint : 1
; COMPUTE_PGM_RSRC2:SCRATCH_EN: 0
; COMPUTE_PGM_RSRC2:USER_SGPR: 2
; COMPUTE_PGM_RSRC2:TRAP_HANDLER: 0
; COMPUTE_PGM_RSRC2:TGID_X_EN: 1
; COMPUTE_PGM_RSRC2:TGID_Y_EN: 0
; COMPUTE_PGM_RSRC2:TGID_Z_EN: 1
; COMPUTE_PGM_RSRC2:TIDIG_COMP_CNT: 1
	.section	.text._ZL19rocblas_trsv_deviceILi64ELi16ELb1ELb0ELb0ELb1EfPKfPKS1_PKPfEviT7_lllT6_T8_lllPii,"axG",@progbits,_ZL19rocblas_trsv_deviceILi64ELi16ELb1ELb0ELb0ELb1EfPKfPKS1_PKPfEviT7_lllT6_T8_lllPii,comdat
	.globl	_ZL19rocblas_trsv_deviceILi64ELi16ELb1ELb0ELb0ELb1EfPKfPKS1_PKPfEviT7_lllT6_T8_lllPii ; -- Begin function _ZL19rocblas_trsv_deviceILi64ELi16ELb1ELb0ELb0ELb1EfPKfPKS1_PKPfEviT7_lllT6_T8_lllPii
	.p2align	8
	.type	_ZL19rocblas_trsv_deviceILi64ELi16ELb1ELb0ELb0ELb1EfPKfPKS1_PKPfEviT7_lllT6_T8_lllPii,@function
_ZL19rocblas_trsv_deviceILi64ELi16ELb1ELb0ELb0ELb1EfPKfPKS1_PKPfEviT7_lllT6_T8_lllPii: ; @_ZL19rocblas_trsv_deviceILi64ELi16ELb1ELb0ELb0ELb1EfPKfPKS1_PKPfEviT7_lllT6_T8_lllPii
; %bb.0:
	s_load_b32 s6, s[0:1], 0x58
	s_bfe_u32 s2, ttmp6, 0x40014
	s_lshr_b32 s3, ttmp7, 16
	s_add_co_i32 s2, s2, 1
	s_bfe_u32 s5, ttmp6, 0x40008
	s_mul_i32 s4, s3, s2
	s_getreg_b32 s2, hwreg(HW_REG_IB_STS2, 6, 4)
	s_add_co_i32 s5, s5, s4
	s_cmp_eq_u32 s2, 0
	s_mov_b32 s67, 0
	s_cselect_b32 s66, s3, s5
                                        ; implicit-def: $vgpr79 : SGPR spill to VGPR lane
	s_wait_kmcnt 0x0
	s_cmp_ge_u32 s66, s6
	v_writelane_b32 v79, s6, 0
	s_cbranch_scc1 .LBB103_1163
; %bb.1:
	s_clause 0x2
	s_load_b32 s3, s[0:1], 0x6c
	s_load_b32 s95, s[0:1], 0x0
	s_load_b64 s[80:81], s[0:1], 0x18
	s_bfe_u32 s5, ttmp6, 0x4000c
	s_and_b32 s4, ttmp6, 15
	s_add_co_i32 s5, s5, 1
	v_bfe_u32 v2, v0, 10, 10
	s_mul_i32 s5, ttmp9, s5
	v_and_b32_e32 v6, 0x3ff, v0
	s_add_co_i32 s4, s4, s5
	s_cmp_eq_u32 s2, 0
	v_dual_lshlrev_b32 v11, 6, v2 :: v_dual_bitop2_b32 v14, 1, v0 bitop3:0x40
	s_cselect_b32 s96, ttmp9, s4
	v_and_b32_e32 v1, 3, v0
	v_sub_co_u32 v7, s4, s96, 1
	s_delay_alu instid0(VALU_DEP_3)
	v_add_nc_u32_e32 v70, v11, v6
	v_cmp_eq_u32_e32 vcc_lo, 1, v14
	v_dual_add_nc_u32 v32, 16, v2 :: v_dual_bitop2_b32 v15, 7, v0 bitop3:0x40
	s_wait_kmcnt 0x0
	s_add_co_i32 s2, s95, -1
	s_and_b32 s5, s3, 0xffff
	s_ashr_i32 s3, s95, 31
	s_ashr_i32 s6, s2, 31
	s_lshr_b32 s3, s3, 26
	s_lshr_b32 s6, s6, 26
	s_add_co_i32 s3, s95, s3
	s_add_co_i32 s2, s2, s6
	s_and_not1_b32 s3, s3, 63
	s_ashr_i32 s2, s2, 6
	s_sub_co_i32 s11, s95, s3
	s_cmp_eq_u32 s2, s96
	v_mad_u32_u24 v8, v2, s5, v6
	s_cselect_b32 s6, -1, 0
	s_cmp_lg_u32 s11, 0
	s_add_nc_u64 s[2:3], s[80:81], 1
	s_cselect_b32 s5, -1, 0
	s_lshl_b32 s14, s96, 6
	s_and_b32 s16, s5, s6
	s_ashr_i32 s15, s14, 31
	s_xor_b32 s4, s4, -1
	s_xor_b32 s98, s16, -1
	s_mul_u64 s[12:13], s[2:3], s[14:15]
	v_cmp_gt_u32_e64 s3, 16, v70
	v_cmp_ne_u32_e64 s5, 0, v1
	v_cmp_eq_u32_e64 s6, 1, v1
	s_cmp_gt_i32 s96, 4
	v_writelane_b32 v79, s4, 1
	s_cselect_b32 s2, -1, 0
	v_cmp_eq_u32_e64 s4, 0, v1
	s_and_b32 s99, s2, s98
	v_cmp_gt_u32_e64 s2, 4, v70
	s_and_b32 s103, s5, s3
	s_and_b32 s104, s6, s3
	v_cmp_eq_u32_e64 s5, 2, v1
	v_cmp_eq_u32_e64 s6, 3, v1
	s_xor_b32 s7, vcc_lo, -1
	s_and_b32 s101, vcc_lo, s2
	s_and_b32 s102, s4, s3
	v_cmp_lt_u32_e32 vcc_lo, 1, v1
	v_cmp_gt_u32_e64 s4, 64, v70
	s_and_b32 s31, s5, s3
	s_and_b32 s33, s6, s3
	v_cmp_eq_u32_e64 s5, 1, v15
	v_cmp_lt_u32_e64 s6, 1, v15
	v_cmp_lt_u32_e64 s8, 2, v15
	s_and_b32 vcc_hi, vcc_lo, s3
	v_cmp_ne_u32_e32 vcc_lo, 0, v15
	s_and_b32 s36, s5, s4
	s_and_b32 s37, s6, s4
	;; [unrolled: 1-line block ×3, first 2 shown]
	v_cmp_lt_u32_e64 s5, 3, v15
	v_cmp_eq_u32_e64 s6, 4, v15
	v_cmp_eq_u32_e64 s8, 5, v15
	v_dual_add_nc_u32 v30, 32, v2 :: v_dual_bitop2_b32 v18, 15, v0 bitop3:0x40
	s_and_b32 s100, s7, s2
	v_cmp_eq_u32_e64 s7, 0, v15
	s_and_b32 s35, vcc_lo, s4
	v_cmp_eq_u32_e32 vcc_lo, 3, v15
	s_and_b32 s41, s5, s4
	s_and_b32 s42, s6, s4
	;; [unrolled: 1-line block ×3, first 2 shown]
	v_cmp_eq_u32_e64 s6, 6, v15
	v_cmp_gt_u32_e64 s5, 0x100, v70
	v_cmp_eq_u32_e64 s8, 0, v18
	s_and_b32 s34, s7, s4
	v_cmp_eq_u32_e64 s7, 2, v15
	s_and_b32 s40, vcc_lo, s4
	v_cmp_lt_u32_e32 vcc_lo, 5, v15
	v_cmp_ne_u32_e64 s9, 0, v18
	s_and_b32 s46, s6, s4
	s_and_b32 s6, s8, s5
	s_and_b32 s38, s7, s4
	v_cmp_lt_u32_e64 s7, 4, v15
	v_writelane_b32 v79, s6, 2
	s_and_b32 s45, vcc_lo, s4
	s_and_b32 s6, s9, s5
	v_cmp_eq_u32_e32 vcc_lo, 1, v18
	s_and_b32 s43, s7, s4
	v_cmp_eq_u32_e64 s7, 7, v15
	v_writelane_b32 v79, s6, 3
	v_cmp_lt_u32_e64 s6, 1, v18
	s_and_b32 s10, vcc_lo, s5
	v_cmp_eq_u32_e64 s9, 3, v18
	s_and_b32 s47, s7, s4
	v_cmp_eq_u32_e64 s7, 2, v18
	v_writelane_b32 v79, s10, 4
	s_and_b32 s6, s6, s5
	s_and_b32 s54, s9, s5
	v_cmp_lt_u32_e32 vcc_lo, 3, v18
	s_and_b32 s52, s7, s5
	v_writelane_b32 v79, s6, 5
	v_cmp_eq_u32_e64 s6, 4, v18
	v_cmp_lt_u32_e64 s7, 4, v18
	v_cmp_lt_u32_e64 s9, 5, v18
	;; [unrolled: 1-line block ×3, first 2 shown]
	s_and_b32 s20, vcc_lo, s5
	s_and_b32 s22, s6, s5
	s_and_b32 s24, s7, s5
	;; [unrolled: 1-line block ×3, first 2 shown]
	v_cmp_eq_u32_e32 vcc_lo, 6, v18
	v_cmp_lt_u32_e64 s6, 6, v18
	v_cmp_eq_u32_e64 s7, 7, v18
	v_cmp_eq_u32_e64 s9, 8, v18
	s_and_b32 s53, s8, s5
	v_cmp_eq_u32_e64 s8, 5, v18
	s_and_b32 s30, vcc_lo, s5
	s_and_b32 s57, s6, s5
	s_and_b32 s58, s7, s5
	;; [unrolled: 1-line block ×3, first 2 shown]
	v_cmp_lt_u32_e32 vcc_lo, 8, v18
	v_cmp_eq_u32_e64 s6, 9, v18
	v_cmp_lt_u32_e64 s7, 9, v18
	v_cmp_lt_u32_e64 s9, 10, v18
	s_and_b32 s26, s8, s5
	v_cmp_lt_u32_e64 s8, 7, v18
	s_and_b32 s61, vcc_lo, s5
	s_and_b32 s62, s6, s5
	s_and_b32 s63, s7, s5
	;; [unrolled: 1-line block ×3, first 2 shown]
	v_cmp_eq_u32_e32 vcc_lo, 11, v18
	v_cmp_lt_u32_e64 s6, 11, v18
	v_cmp_eq_u32_e64 s7, 12, v18
	v_cmp_eq_u32_e64 s9, 13, v18
	v_dual_add_nc_u32 v28, 48, v2 :: v_dual_bitop2_b32 v19, 31, v0 bitop3:0x40
	s_and_b32 s59, s8, s5
	v_cmp_eq_u32_e64 s8, 10, v18
	s_and_b32 s23, vcc_lo, s5
	s_and_b32 s25, s6, s5
	s_and_b32 s27, s7, s5
	;; [unrolled: 1-line block ×3, first 2 shown]
	v_cmp_lt_u32_e32 vcc_lo, 13, v18
	v_cmp_eq_u32_e64 s7, 14, v18
	v_cmp_gt_u32_e64 s6, 0x400, v70
	v_cmp_eq_u32_e64 s9, 0, v19
	s_and_b32 s64, s8, s5
	v_cmp_lt_u32_e64 s8, 12, v18
	s_and_b32 s97, vcc_lo, s5
	s_and_b32 s48, s7, s5
	v_cmp_ne_u32_e32 vcc_lo, 0, v19
	s_and_b32 s7, s9, s6
	s_and_b32 s29, s8, s5
	v_writelane_b32 v79, s7, 6
	v_cmp_eq_u32_e64 s8, 15, v18
	v_cmp_eq_u32_e64 s7, 1, v19
	s_and_b32 s17, vcc_lo, s6
	v_cmp_eq_u32_e64 s9, 2, v19
	v_writelane_b32 v79, s17, 7
	s_and_b32 s49, s8, s5
	v_cmp_lt_u32_e64 s8, 1, v19
	s_and_b32 s7, s7, s6
	v_cmp_lt_u32_e64 s10, 2, v19
	v_writelane_b32 v79, s7, 8
	v_cmp_eq_u32_e32 vcc_lo, 3, v19
	s_and_b32 s7, s8, s6
	v_cmp_eq_u32_e64 s8, 4, v19
                                        ; implicit-def: $vgpr78 : SGPR spill to VGPR lane
                                        ; implicit-def: $vgpr77 : SGPR spill to VGPR lane
	v_dual_mov_b32 v5, 0 :: v_dual_add_nc_u32 v3, s14, v2
	v_writelane_b32 v79, s7, 9
	s_and_b32 s7, s9, s6
	s_and_b32 s17, vcc_lo, s6
	v_cmp_lt_u32_e64 s9, 4, v19
	v_cmp_lt_u32_e32 vcc_lo, 5, v19
	v_writelane_b32 v79, s7, 10
	s_and_b32 s7, s10, s6
	v_cmp_eq_u32_e64 s10, 5, v19
	v_dual_mov_b32 v9, v5 :: v_dual_add_nc_u32 v10, s14, v6
	v_writelane_b32 v79, s7, 11
	v_cmp_lt_u32_e64 s7, 3, v19
	v_add_nc_u32_e32 v4, s14, v8
	s_delay_alu instid0(VALU_DEP_4)
	v_add_nc_u64_e32 v[16:17], s[14:15], v[8:9]
	v_xor_b32_e32 v9, v11, v6
	v_writelane_b32 v79, s17, 12
	s_and_b32 s7, s7, s6
	s_and_b32 s17, vcc_lo, s6
	v_cmp_eq_u32_e32 vcc_lo, 8, v19
	v_subrev_nc_u32_e32 v20, 64, v3
	v_writelane_b32 v79, s7, 13
	s_and_b32 s7, s8, s6
	v_cmp_lt_u32_e64 s8, 6, v19
	s_delay_alu instid0(VALU_DEP_3)
	v_dual_ashrrev_i32 v21, 31, v20 :: v_dual_bitop2_b32 v11, v11, v6 bitop3:0x40
	v_writelane_b32 v79, s7, 14
	s_and_b32 s7, s9, s6
	v_cmp_eq_u32_e64 s9, 7, v19
	v_lshrrev_b16 v9, 1, v9
	v_lshrrev_b32_e32 v22, 10, v0
	v_writelane_b32 v79, s7, 15
	s_and_b32 s7, s10, s6
	v_cmp_lt_u32_e64 s10, 7, v19
	v_add_nc_u16 v9, v11, v9
	v_ashrrev_i32_e32 v11, 31, v10
	v_writelane_b32 v79, s7, 16
	v_cmp_eq_u32_e64 s7, 6, v19
	v_mul_u64_e32 v[12:13], s[80:81], v[20:21]
	v_and_b32_e32 v21, 0xffff, v9
	v_dual_lshlrev_b32 v14, 2, v14 :: v_dual_lshlrev_b32 v37, 2, v1
	v_writelane_b32 v79, s17, 17
	s_and_b32 s7, s7, s6
	s_and_b32 s17, vcc_lo, s6
	v_cmp_lt_u32_e32 vcc_lo, 10, v19
	v_bitop3_b32 v71, v0, v22, 0x3ff bitop3:0xa8
	v_writelane_b32 v79, s7, 18
	s_and_b32 s7, s8, s6
	v_cmp_eq_u32_e64 s8, 9, v19
	v_lshrrev_b32_e32 v0, 2, v70
	s_load_b256 s[68:75], s[0:1], 0x28
	v_writelane_b32 v79, s7, 19
	s_and_b32 s7, s9, s6
	v_cmp_lt_u32_e64 s9, 9, v19
	s_and_b32 s8, s8, s6
	v_lshl_add_u32 v9, v21, 2, 0x4000
	v_writelane_b32 v79, s7, 20
	s_and_b32 s7, s10, s6
	v_cmp_eq_u32_e64 s10, 10, v19
	s_and_b32 s9, s9, s6
	v_lshl_or_b32 v34, v21, 8, v14
	v_writelane_b32 v79, s7, 21
	v_cmp_lt_u32_e64 s7, 8, v19
	v_mul_u32_u24_e32 v35, 0x104, v21
	v_and_b32_e32 v14, 0x1fffc, v70
	v_lshrrev_b32_e32 v21, 3, v70
	v_writelane_b32 v79, s17, 22
	s_and_b32 s7, s7, s6
	v_mul_u32_u24_e32 v36, 0x104, v0
	v_lshlrev_b32_e32 v38, 2, v6
	v_add_nc_u32_e32 v39, 0x4000, v14
	v_writelane_b32 v79, s7, 23
	v_cmp_eq_u32_e64 s7, 11, v19
	v_dual_sub_nc_u32 v1, v36, v14 :: v_dual_lshlrev_b32 v44, 2, v15
	v_lshlrev_b32_e32 v14, 2, v21
	v_writelane_b32 v79, s8, 24
	v_cmp_lt_u32_e64 s8, 11, v19
	s_and_b32 s7, s7, s6
	v_lshl_or_b32 v40, v0, 8, v37
	v_mul_u32_u24_e32 v41, 0x104, v21
	v_writelane_b32 v79, s9, 25
	s_and_b32 s9, s10, s6
	v_dual_lshrrev_b32 v0, 4, v70 :: v_dual_add_nc_u32 v42, v1, v37
	v_add_nc_u32_e32 v43, 0x4000, v14
	v_writelane_b32 v79, s9, 26
	s_and_b32 s9, vcc_lo, s6
	v_cmp_eq_u32_e32 vcc_lo, 12, v19
	v_dual_sub_nc_u32 v1, v41, v14 :: v_dual_lshlrev_b32 v14, 2, v0
	v_writelane_b32 v79, s9, 27
	v_mul_u32_u24_e32 v45, 0x104, v0
	s_delay_alu instid0(VALU_DEP_3)
	v_dual_lshrrev_b32 v15, 5, v70 :: v_dual_add_nc_u32 v47, v1, v44
	s_load_b64 s[82:83], s[0:1], 0x50
	v_writelane_b32 v79, s7, 28
	s_and_b32 s7, s8, s6
	s_load_b128 s[76:79], s[0:1], 0x8
	v_dual_lshlrev_b32 v48, 2, v18 :: v_dual_lshlrev_b32 v49, 2, v15
	v_writelane_b32 v79, s7, 29
	s_and_b32 s7, vcc_lo, s6
	v_cmp_lt_u32_e32 vcc_lo, 12, v19
	v_dual_sub_nc_u32 v1, v45, v14 :: v_dual_lshlrev_b32 v50, 8, v15
	v_writelane_b32 v79, s7, 30
	v_add_nc_u32_e32 v52, 0x4000, v14
	s_and_b32 s7, vcc_lo, s6
	v_cmp_eq_u32_e32 vcc_lo, 13, v19
	s_wait_kmcnt 0x0
	v_mul_u64_e32 v[14:15], s[74:75], v[4:5]
	v_writelane_b32 v79, s7, 31
	v_subrev_nc_u32_e32 v4, 48, v3
	v_subrev_nc_u32_e32 v18, 32, v3
	s_and_b32 s7, vcc_lo, s6
	v_cmp_lt_u32_e32 vcc_lo, 13, v19
	v_writelane_b32 v78, s7, 0
                                        ; implicit-def: $vgpr76 : SGPR spill to VGPR lane
	v_dual_mov_b32 v33, v5 :: v_dual_add_nc_u32 v60, 0x4000, v38
	v_lshl_or_b32 v46, v21, 8, v44
	s_and_b32 s7, vcc_lo, s6
	v_cmp_eq_u32_e32 vcc_lo, 14, v19
	v_writelane_b32 v78, s7, 1
	v_dual_lshlrev_b32 v51, 2, v19 :: v_dual_add_nc_u32 v54, v1, v48
	v_lshl_or_b32 v53, v0, 8, v48
	s_and_b32 s7, vcc_lo, s6
	v_cmp_lt_u32_e32 vcc_lo, 14, v19
	v_writelane_b32 v78, s7, 2
	v_mul_u64_e32 v[0:1], s[74:75], v[10:11]
	v_mul_u64_e32 v[16:17], s[74:75], v[16:17]
	v_lshl_add_u32 v57, v2, 2, 0x5000
	s_and_b32 s7, vcc_lo, s6
	v_cmp_eq_u32_e32 vcc_lo, 15, v19
	v_writelane_b32 v78, s7, 3
	v_add_nc_u32_e32 v55, 0x4000, v49
	v_dual_add_nc_u32 v62, v57, v38 :: v_dual_bitop2_b32 v56, v50, v51 bitop3:0x54
	s_and_b32 s7, vcc_lo, s6
	v_cmp_lt_u32_e32 vcc_lo, 15, v19
	v_writelane_b32 v78, s7, 4
	v_lshl_add_u32 v58, v8, 2, 0x5000
	v_lshl_add_u32 v59, v70, 2, 0x4000
	;; [unrolled: 1-line block ×3, first 2 shown]
	s_and_b32 s7, vcc_lo, s6
	v_cmp_eq_u32_e32 vcc_lo, 16, v19
	v_writelane_b32 v78, s7, 5
	v_lshl_add_u32 v63, v30, 8, v38
	v_lshl_add_u32 v64, v28, 8, v38
	v_mov_b32_e32 v65, 1.0
	s_and_b32 s7, vcc_lo, s6
	v_cmp_lt_u32_e32 vcc_lo, 16, v19
	v_writelane_b32 v78, s7, 6
	v_cmp_gt_u32_e64 s17, 40, v70
	v_cmp_gt_u32_e64 s18, 32, v70
	;; [unrolled: 1-line block ×3, first 2 shown]
	s_and_b32 s7, vcc_lo, s6
	v_cmp_eq_u32_e32 vcc_lo, 17, v19
	v_writelane_b32 v78, s7, 7
	v_cmp_eq_u32_e64 s55, 0, v8
	v_cmp_gt_u32_e64 s56, 64, v8
	s_mul_u64 s[90:91], s[80:81], 0xc0
	s_and_b32 s7, vcc_lo, s6
	v_cmp_lt_u32_e32 vcc_lo, 17, v19
	v_writelane_b32 v78, s7, 8
                                        ; implicit-def: $vgpr66
                                        ; implicit-def: $vgpr67
                                        ; implicit-def: $vgpr68
                                        ; implicit-def: $vgpr69
	v_dual_mov_b32 v31, v5 :: v_dual_lshlrev_b32 v26, 2, v6
	v_mov_b32_e32 v27, v5
	s_and_b32 s7, vcc_lo, s6
	v_cmp_eq_u32_e32 vcc_lo, 18, v19
	v_writelane_b32 v78, s7, 9
	v_mul_u64_e32 v[22:23], s[80:81], v[30:31]
	v_dual_mov_b32 v29, v5 :: v_dual_bitop2_b32 v31, v28, v6 bitop3:0x54
	s_and_b32 s7, vcc_lo, s6
	v_cmp_lt_u32_e32 vcc_lo, 18, v19
	v_writelane_b32 v78, s7, 10
	s_delay_alu instid0(VALU_DEP_3)
	v_mul_u64_e32 v[24:25], s[80:81], v[28:29]
	s_and_b32 s7, vcc_lo, s6
	v_cmp_eq_u32_e32 vcc_lo, 19, v19
	v_writelane_b32 v78, s7, 11
	s_and_b32 s7, vcc_lo, s6
	v_cmp_lt_u32_e32 vcc_lo, 19, v19
	v_writelane_b32 v78, s7, 12
	s_and_b32 s7, vcc_lo, s6
	v_cmp_eq_u32_e32 vcc_lo, 20, v19
	v_writelane_b32 v78, s7, 13
	s_and_b32 s7, vcc_lo, s6
	v_cmp_lt_u32_e32 vcc_lo, 20, v19
	v_writelane_b32 v78, s7, 14
	;; [unrolled: 6-line block ×11, first 2 shown]
	s_and_b32 s7, vcc_lo, s6
	v_cmp_eq_u32_e32 vcc_lo, 30, v19
	v_writelane_b32 v77, s7, 1
	s_and_b32 s7, vcc_lo, s6
	v_cmp_eq_u32_e32 vcc_lo, 31, v19
	v_writelane_b32 v77, s7, 2
	v_cmp_eq_u32_e64 s7, 0, v2
	s_and_b32 s9, vcc_lo, s6
	v_cmp_le_i32_e32 vcc_lo, s11, v6
	s_and_b32 s8, vcc_lo, s16
	s_delay_alu instid0(SALU_CYCLE_1) | instskip(SKIP_1) | instid1(SALU_CYCLE_1)
	v_writelane_b32 v77, s8, 3
	s_xor_b32 s8, s8, -1
	s_and_b32 s10, s7, s8
	v_cmp_le_i32_e64 s8, s11, v2
	s_cmp_gt_i32 s96, 0
	s_cselect_b32 s50, -1, 0
	s_lshl_b64 s[84:85], s[12:13], 2
	s_or_b32 s14, s8, vcc_lo
	v_cmp_le_i32_e64 s8, s11, v32
	v_cmp_gt_u32_e64 s12, 2, v70
	v_cmp_gt_u32_e64 s13, 12, v70
	s_lshl_b64 s[86:87], s[80:81], 6
	s_lshl_b64 s[88:89], s[80:81], 7
	s_or_b32 s15, s8, vcc_lo
	v_cmp_le_i32_e64 s8, s11, v30
	s_lshl_b64 s[78:79], s[78:79], 2
	s_lshl_b64 s[72:73], s[72:73], 2
	s_or_b32 s16, s8, vcc_lo
	v_cmp_le_i32_e64 s8, s11, v28
	s_or_b32 s8, s8, vcc_lo
	v_cmp_gt_i32_e32 vcc_lo, s11, v6
	v_cmp_eq_u32_e64 s11, 0, v71
	s_and_b32 s0, s7, vcc_lo
	v_cmp_gt_i32_e32 vcc_lo, s95, v20
	v_writelane_b32 v77, s0, 4
	v_cmp_gt_i32_e64 s0, s95, v10
	v_mul_u64_e32 v[20:21], s[80:81], v[32:33]
	v_or_b32_e32 v33, v30, v6
	s_and_b32 s1, s0, vcc_lo
	v_cmp_gt_i32_e32 vcc_lo, s95, v4
	v_writelane_b32 v77, s1, 5
	v_dual_mov_b32 v3, v5 :: v_dual_add_nc_u32 v4, -16, v3
	s_and_b32 s1, s0, vcc_lo
	v_cmp_gt_i32_e32 vcc_lo, s95, v18
	v_writelane_b32 v77, s1, 6
	s_delay_alu instid0(VALU_DEP_3)
	v_mul_u64_e32 v[18:19], s[80:81], v[2:3]
	v_lshl_add_u32 v3, v32, 8, v38
	s_and_b32 s1, s0, vcc_lo
	v_cmp_gt_i32_e32 vcc_lo, s95, v4
	v_writelane_b32 v77, s1, 7
	v_or_b32_e32 v4, v32, v6
	s_and_b32 s1, s0, vcc_lo
	s_delay_alu instid0(SALU_CYCLE_1) | instskip(SKIP_1) | instid1(VALU_DEP_1)
	v_writelane_b32 v77, s1, 8
	v_cmp_le_u32_e64 s1, v6, v2
	v_writelane_b32 v77, s1, 9
	s_or_b32 s1, s14, s1
	v_cmp_gt_u32_e64 s14, 8, v70
	v_writelane_b32 v77, s1, 10
	v_cmp_le_u32_e64 s1, v6, v32
	s_delay_alu instid0(VALU_DEP_1) | instskip(SKIP_4) | instid1(VALU_DEP_1)
	v_writelane_b32 v77, s1, 11
	s_or_b32 s1, s15, s1
	v_cmp_gt_u32_e64 s15, 56, v70
	v_writelane_b32 v77, s1, 12
	v_cmp_le_u32_e64 s1, v6, v30
	v_writelane_b32 v77, s1, 13
	s_or_b32 s1, s16, s1
	v_cmp_gt_u32_e64 s16, 48, v70
	v_writelane_b32 v77, s1, 14
	v_cmp_le_u32_e64 s1, v6, v28
	s_delay_alu instid0(VALU_DEP_1) | instskip(SKIP_1) | instid1(SALU_CYCLE_1)
	v_writelane_b32 v77, s1, 15
	s_or_b32 s1, s8, s1
	v_writelane_b32 v77, s1, 16
	v_cmp_gt_u32_e64 s1, 0xf0, v70
	s_delay_alu instid0(VALU_DEP_1) | instskip(SKIP_1) | instid1(VALU_DEP_1)
	v_writelane_b32 v77, s1, 17
	v_cmp_gt_u32_e64 s1, 0xe0, v70
	v_writelane_b32 v77, s1, 18
	v_cmp_gt_u32_e64 s1, 0xd0, v70
	s_delay_alu instid0(VALU_DEP_1) | instskip(SKIP_1) | instid1(VALU_DEP_1)
	v_writelane_b32 v77, s1, 19
	v_cmp_gt_u32_e64 s1, 0xc0, v70
	;; [unrolled: 5-line block ×17, first 2 shown]
	v_writelane_b32 v76, s1, 18
	v_cmp_ge_u32_e64 s1, v6, v2
	s_delay_alu instid0(VALU_DEP_1) | instskip(SKIP_1) | instid1(VALU_DEP_1)
	v_writelane_b32 v76, s1, 19
	v_cmp_ge_u32_e64 s1, v6, v32
	v_writelane_b32 v76, s1, 20
	v_cmp_ge_u32_e64 s1, v6, v30
	s_delay_alu instid0(VALU_DEP_1) | instskip(SKIP_1) | instid1(VALU_DEP_1)
	v_writelane_b32 v76, s1, 21
	v_cmp_ge_u32_e64 s1, v6, v28
	v_writelane_b32 v76, s1, 22
	v_cmp_gt_u32_e64 s1, 64, v71
	s_delay_alu instid0(VALU_DEP_1) | instskip(SKIP_1) | instid1(VALU_DEP_1)
	v_writelane_b32 v76, s1, 23
	v_cmp_gt_u32_e64 s1, 64, v4
	v_writelane_b32 v76, s1, 24
	v_cmp_gt_u32_e64 s1, 64, v33
	s_delay_alu instid0(VALU_DEP_1) | instskip(SKIP_1) | instid1(VALU_DEP_1)
	v_writelane_b32 v76, s1, 25
	v_cmp_gt_u32_e64 s1, 64, v31
	v_writelane_b32 v76, s1, 26
	s_branch .LBB103_3
.LBB103_2:                              ;   in Loop: Header=BB103_3 Depth=1
	s_wait_xcnt 0x0
	s_or_b32 exec_lo, exec_lo, s1
	v_readlane_b32 s1, v79, 0
	s_add_co_i32 s66, s66, 0x10000
	global_wb scope:SCOPE_DEV
	s_wait_storecnt 0x0
	global_inv scope:SCOPE_DEV
	s_cmp_lt_u32 s66, s1
	s_cbranch_scc0 .LBB103_1163
.LBB103_3:                              ; =>This Loop Header: Depth=1
                                        ;     Child Loop BB103_1043 Depth 2
                                        ;       Child Loop BB103_1045 Depth 3
                                        ;     Child Loop BB103_1083 Depth 2
	v_mov_b32_e32 v4, s66
	v_readlane_b32 s1, v79, 1
	s_clause 0x1
	global_load_b64 v[28:29], v4, s[76:77] scale_offset
	global_load_b64 v[30:31], v4, s[70:71] scale_offset
	global_load_b32 v4, v5, s[68:69]
	s_and_not1_b32 vcc_lo, exec_lo, s1
	s_wait_loadcnt 0x2
	v_add_nc_u64_e32 v[28:29], s[78:79], v[28:29]
	s_cbranch_vccnz .LBB103_13
; %bb.4:                                ;   in Loop: Header=BB103_3 Depth=1
	s_delay_alu instid0(VALU_DEP_1) | instskip(SKIP_3) | instid1(VALU_DEP_2)
	v_lshl_add_u64 v[32:33], v[12:13], 2, v[28:29]
	v_dual_mov_b32 v67, 0 :: v_dual_mov_b32 v66, 0
	s_wait_loadcnt 0x0
	s_barrier_signal -1
	v_lshl_add_u64 v[32:33], v[10:11], 2, v[32:33]
	s_barrier_wait -1
	s_wait_xcnt 0x0
	s_mov_b32 s1, exec_lo
	v_readlane_b32 s8, v77, 5
	s_and_b32 s8, s1, s8
	s_delay_alu instid0(SALU_CYCLE_1)
	s_mov_b32 exec_lo, s8
	s_cbranch_execz .LBB103_6
; %bb.5:                                ;   in Loop: Header=BB103_3 Depth=1
	flat_load_b32 v66, v[32:33]
.LBB103_6:                              ;   in Loop: Header=BB103_3 Depth=1
	s_wait_xcnt 0x0
	s_or_b32 exec_lo, exec_lo, s1
	s_wait_loadcnt_dscnt 0x0
	s_barrier_signal -1
	s_barrier_wait -1
	s_mov_b32 s1, exec_lo
	v_readlane_b32 s8, v77, 6
	s_and_b32 s8, s1, s8
	s_delay_alu instid0(SALU_CYCLE_1)
	s_mov_b32 exec_lo, s8
	s_cbranch_execz .LBB103_8
; %bb.7:                                ;   in Loop: Header=BB103_3 Depth=1
	v_add_nc_u64_e32 v[68:69], s[86:87], v[32:33]
	flat_load_b32 v67, v[68:69]
.LBB103_8:                              ;   in Loop: Header=BB103_3 Depth=1
	s_wait_xcnt 0x0
	s_or_b32 exec_lo, exec_lo, s1
	v_dual_mov_b32 v69, 0 :: v_dual_mov_b32 v68, 0
	s_wait_loadcnt_dscnt 0x0
	s_barrier_signal -1
	s_barrier_wait -1
	s_mov_b32 s1, exec_lo
	v_readlane_b32 s8, v77, 7
	s_and_b32 s8, s1, s8
	s_delay_alu instid0(SALU_CYCLE_1)
	s_mov_b32 exec_lo, s8
	s_cbranch_execz .LBB103_10
; %bb.9:                                ;   in Loop: Header=BB103_3 Depth=1
	v_add_nc_u64_e32 v[70:71], s[88:89], v[32:33]
	flat_load_b32 v68, v[70:71]
.LBB103_10:                             ;   in Loop: Header=BB103_3 Depth=1
	s_wait_xcnt 0x0
	s_or_b32 exec_lo, exec_lo, s1
	s_wait_loadcnt_dscnt 0x0
	s_barrier_signal -1
	s_barrier_wait -1
	s_mov_b32 s1, exec_lo
	v_readlane_b32 s8, v77, 8
	s_and_b32 s8, s1, s8
	s_delay_alu instid0(SALU_CYCLE_1)
	s_mov_b32 exec_lo, s8
	s_cbranch_execz .LBB103_12
; %bb.11:                               ;   in Loop: Header=BB103_3 Depth=1
	v_add_nc_u64_e32 v[32:33], s[90:91], v[32:33]
	flat_load_b32 v69, v[32:33]
.LBB103_12:                             ;   in Loop: Header=BB103_3 Depth=1
	s_wait_xcnt 0x0
	s_or_b32 exec_lo, exec_lo, s1
.LBB103_13:                             ;   in Loop: Header=BB103_3 Depth=1
	s_delay_alu instid0(VALU_DEP_1) | instskip(SKIP_2) | instid1(VALU_DEP_1)
	v_add_nc_u64_e32 v[32:33], s[84:85], v[28:29]
	s_and_not1_b32 vcc_lo, exec_lo, s98
	s_mov_b32 s1, -1
	v_add_nc_u64_e32 v[32:33], v[32:33], v[26:27]
	s_cbranch_vccnz .LBB103_37
; %bb.14:                               ;   in Loop: Header=BB103_3 Depth=1
	s_mov_b32 s8, 0
	s_wait_xcnt 0x0
	s_mov_b32 s1, exec_lo
	v_readlane_b32 s51, v77, 9
	s_and_b32 s51, s1, s51
	s_delay_alu instid0(SALU_CYCLE_1)
	s_xor_b32 s1, s51, s1
	s_mov_b32 exec_lo, s51
	s_cbranch_execnz .LBB103_1104
; %bb.15:                               ;   in Loop: Header=BB103_3 Depth=1
	s_or_saveexec_b32 s1, s1
	v_mov_b32_e32 v70, 0
	s_xor_b32 exec_lo, exec_lo, s1
	s_cbranch_execnz .LBB103_1105
.LBB103_16:                             ;   in Loop: Header=BB103_3 Depth=1
	s_or_b32 exec_lo, exec_lo, s1
	s_and_saveexec_b32 s1, s8
.LBB103_17:                             ;   in Loop: Header=BB103_3 Depth=1
	ds_store_b32 v61, v70
.LBB103_18:                             ;   in Loop: Header=BB103_3 Depth=1
	s_or_b32 exec_lo, exec_lo, s1
	s_delay_alu instid0(SALU_CYCLE_1) | instskip(SKIP_2) | instid1(SALU_CYCLE_1)
	s_mov_b32 s1, exec_lo
	v_readlane_b32 s8, v77, 11
	s_and_b32 s8, s1, s8
	s_xor_b32 s1, s8, s1
	s_mov_b32 exec_lo, s8
	s_cbranch_execz .LBB103_22
; %bb.19:                               ;   in Loop: Header=BB103_3 Depth=1
	s_mov_b32 s8, exec_lo
	v_readlane_b32 s51, v76, 24
	s_and_b32 s51, s8, s51
	s_delay_alu instid0(SALU_CYCLE_1)
	s_mov_b32 exec_lo, s51
; %bb.20:                               ;   in Loop: Header=BB103_3 Depth=1
	ds_store_b32 v3, v5
; %bb.21:                               ;   in Loop: Header=BB103_3 Depth=1
	s_or_b32 exec_lo, exec_lo, s8
.LBB103_22:                             ;   in Loop: Header=BB103_3 Depth=1
	s_and_not1_saveexec_b32 s1, s1
	s_cbranch_execz .LBB103_24
; %bb.23:                               ;   in Loop: Header=BB103_3 Depth=1
	v_lshl_add_u64 v[70:71], v[20:21], 2, v[32:33]
	flat_load_b32 v70, v[70:71]
	s_wait_loadcnt_dscnt 0x0
	v_xor_b32_e32 v70, 0x80000000, v70
	ds_store_b32 v3, v70
.LBB103_24:                             ;   in Loop: Header=BB103_3 Depth=1
	s_or_b32 exec_lo, exec_lo, s1
	s_delay_alu instid0(SALU_CYCLE_1) | instskip(SKIP_2) | instid1(SALU_CYCLE_1)
	s_mov_b32 s1, exec_lo
	v_readlane_b32 s8, v77, 13
	s_and_b32 s8, s1, s8
	s_xor_b32 s1, s8, s1
	s_mov_b32 exec_lo, s8
	s_cbranch_execz .LBB103_28
; %bb.25:                               ;   in Loop: Header=BB103_3 Depth=1
	s_mov_b32 s8, exec_lo
	v_readlane_b32 s51, v76, 25
	s_and_b32 s51, s8, s51
	s_delay_alu instid0(SALU_CYCLE_1)
	s_mov_b32 exec_lo, s51
; %bb.26:                               ;   in Loop: Header=BB103_3 Depth=1
	ds_store_b32 v63, v5
; %bb.27:                               ;   in Loop: Header=BB103_3 Depth=1
	s_or_b32 exec_lo, exec_lo, s8
.LBB103_28:                             ;   in Loop: Header=BB103_3 Depth=1
	s_and_not1_saveexec_b32 s1, s1
	s_cbranch_execz .LBB103_30
; %bb.29:                               ;   in Loop: Header=BB103_3 Depth=1
	v_lshl_add_u64 v[70:71], v[22:23], 2, v[32:33]
	flat_load_b32 v70, v[70:71]
	s_wait_loadcnt_dscnt 0x0
	v_xor_b32_e32 v70, 0x80000000, v70
	ds_store_b32 v63, v70
.LBB103_30:                             ;   in Loop: Header=BB103_3 Depth=1
	;; [unrolled: 28-line block ×3, first 2 shown]
	s_or_b32 exec_lo, exec_lo, s1
	s_mov_b32 s1, 0
.LBB103_37:                             ;   in Loop: Header=BB103_3 Depth=1
	s_delay_alu instid0(SALU_CYCLE_1)
	s_and_b32 vcc_lo, exec_lo, s1
	s_cbranch_vccz .LBB103_61
; %bb.38:                               ;   in Loop: Header=BB103_3 Depth=1
	s_mov_b32 s8, 0
	s_wait_xcnt 0x0
	s_mov_b32 s1, exec_lo
	v_readlane_b32 s51, v77, 10
	s_and_b32 s51, s1, s51
	s_delay_alu instid0(SALU_CYCLE_1)
	s_xor_b32 s1, s51, s1
	s_mov_b32 exec_lo, s51
	s_cbranch_execnz .LBB103_1106
; %bb.39:                               ;   in Loop: Header=BB103_3 Depth=1
	s_or_saveexec_b32 s1, s1
	v_mov_b32_e32 v70, 0
	s_xor_b32 exec_lo, exec_lo, s1
	s_cbranch_execnz .LBB103_1107
.LBB103_40:                             ;   in Loop: Header=BB103_3 Depth=1
	s_or_b32 exec_lo, exec_lo, s1
	s_and_saveexec_b32 s1, s8
.LBB103_41:                             ;   in Loop: Header=BB103_3 Depth=1
	ds_store_b32 v61, v70
.LBB103_42:                             ;   in Loop: Header=BB103_3 Depth=1
	s_or_b32 exec_lo, exec_lo, s1
	s_delay_alu instid0(SALU_CYCLE_1) | instskip(SKIP_2) | instid1(SALU_CYCLE_1)
	s_mov_b32 s1, exec_lo
	v_readlane_b32 s8, v77, 12
	s_and_b32 s8, s1, s8
	s_xor_b32 s1, s8, s1
	s_mov_b32 exec_lo, s8
	s_cbranch_execz .LBB103_46
; %bb.43:                               ;   in Loop: Header=BB103_3 Depth=1
	s_mov_b32 s8, exec_lo
	v_readlane_b32 s51, v76, 24
	s_and_b32 s51, s8, s51
	s_delay_alu instid0(SALU_CYCLE_1)
	s_mov_b32 exec_lo, s51
; %bb.44:                               ;   in Loop: Header=BB103_3 Depth=1
	ds_store_b32 v3, v5
; %bb.45:                               ;   in Loop: Header=BB103_3 Depth=1
	s_or_b32 exec_lo, exec_lo, s8
.LBB103_46:                             ;   in Loop: Header=BB103_3 Depth=1
	s_and_not1_saveexec_b32 s1, s1
	s_cbranch_execz .LBB103_48
; %bb.47:                               ;   in Loop: Header=BB103_3 Depth=1
	v_lshl_add_u64 v[70:71], v[20:21], 2, v[32:33]
	flat_load_b32 v70, v[70:71]
	s_wait_loadcnt_dscnt 0x0
	v_xor_b32_e32 v70, 0x80000000, v70
	ds_store_b32 v3, v70
.LBB103_48:                             ;   in Loop: Header=BB103_3 Depth=1
	s_or_b32 exec_lo, exec_lo, s1
	s_delay_alu instid0(SALU_CYCLE_1) | instskip(SKIP_2) | instid1(SALU_CYCLE_1)
	s_mov_b32 s1, exec_lo
	v_readlane_b32 s8, v77, 14
	s_and_b32 s8, s1, s8
	s_xor_b32 s1, s8, s1
	s_mov_b32 exec_lo, s8
	s_cbranch_execz .LBB103_52
; %bb.49:                               ;   in Loop: Header=BB103_3 Depth=1
	s_mov_b32 s8, exec_lo
	v_readlane_b32 s51, v76, 25
	s_and_b32 s51, s8, s51
	s_delay_alu instid0(SALU_CYCLE_1)
	s_mov_b32 exec_lo, s51
; %bb.50:                               ;   in Loop: Header=BB103_3 Depth=1
	ds_store_b32 v63, v5
; %bb.51:                               ;   in Loop: Header=BB103_3 Depth=1
	s_or_b32 exec_lo, exec_lo, s8
.LBB103_52:                             ;   in Loop: Header=BB103_3 Depth=1
	s_and_not1_saveexec_b32 s1, s1
	s_cbranch_execz .LBB103_54
; %bb.53:                               ;   in Loop: Header=BB103_3 Depth=1
	v_lshl_add_u64 v[70:71], v[22:23], 2, v[32:33]
	flat_load_b32 v70, v[70:71]
	s_wait_loadcnt_dscnt 0x0
	v_xor_b32_e32 v70, 0x80000000, v70
	ds_store_b32 v63, v70
.LBB103_54:                             ;   in Loop: Header=BB103_3 Depth=1
	s_or_b32 exec_lo, exec_lo, s1
	s_delay_alu instid0(SALU_CYCLE_1) | instskip(SKIP_2) | instid1(SALU_CYCLE_1)
	s_mov_b32 s1, exec_lo
	v_readlane_b32 s8, v77, 16
	s_and_b32 s8, s1, s8
	s_xor_b32 s1, s8, s1
	s_mov_b32 exec_lo, s8
	s_cbranch_execz .LBB103_58
; %bb.55:                               ;   in Loop: Header=BB103_3 Depth=1
	s_mov_b32 s8, exec_lo
	v_readlane_b32 s51, v76, 26
	s_and_b32 s51, s8, s51
	s_delay_alu instid0(SALU_CYCLE_1)
	s_mov_b32 exec_lo, s51
; %bb.56:                               ;   in Loop: Header=BB103_3 Depth=1
	ds_store_b32 v64, v5
; %bb.57:                               ;   in Loop: Header=BB103_3 Depth=1
	s_or_b32 exec_lo, exec_lo, s8
                                        ; implicit-def: $vgpr32_vgpr33
.LBB103_58:                             ;   in Loop: Header=BB103_3 Depth=1
	s_and_not1_saveexec_b32 s1, s1
	s_cbranch_execz .LBB103_60
; %bb.59:                               ;   in Loop: Header=BB103_3 Depth=1
	v_lshl_add_u64 v[32:33], v[24:25], 2, v[32:33]
	flat_load_b32 v32, v[32:33]
	s_wait_loadcnt_dscnt 0x0
	v_xor_b32_e32 v32, 0x80000000, v32
	ds_store_b32 v64, v32
.LBB103_60:                             ;   in Loop: Header=BB103_3 Depth=1
	s_or_b32 exec_lo, exec_lo, s1
.LBB103_61:                             ;   in Loop: Header=BB103_3 Depth=1
	s_delay_alu instid0(SALU_CYCLE_1)
	s_and_not1_b32 vcc_lo, exec_lo, s99
	s_wait_loadcnt_dscnt 0x0
	s_barrier_signal -1
	s_barrier_wait -1
	s_cbranch_vccnz .LBB103_1037
; %bb.62:                               ;   in Loop: Header=BB103_3 Depth=1
	s_and_saveexec_b32 s1, s11
; %bb.63:                               ;   in Loop: Header=BB103_3 Depth=1
	ds_store_2addr_b32 v5, v65, v65 offset1:65
; %bb.64:                               ;   in Loop: Header=BB103_3 Depth=1
	s_or_b32 exec_lo, exec_lo, s1
	v_mov_b32_e32 v32, 0
	s_wait_dscnt 0x0
	s_barrier_signal -1
	s_barrier_wait -1
	s_and_saveexec_b32 s8, s2
	s_cbranch_execz .LBB103_68
; %bb.65:                               ;   in Loop: Header=BB103_3 Depth=1
	ds_load_b32 v32, v34 offset:8
	ds_load_b32 v33, v35
	s_wait_dscnt 0x0
	v_fma_f32 v32, v32, v33, 0
	s_and_saveexec_b32 s1, s12
	s_cbranch_execz .LBB103_67
; %bb.66:                               ;   in Loop: Header=BB103_3 Depth=1
	ds_load_b32 v33, v38 offset:264
	ds_load_b32 v70, v5 offset:4
	s_wait_dscnt 0x0
	v_fmac_f32_e32 v32, v33, v70
.LBB103_67:                             ;   in Loop: Header=BB103_3 Depth=1
	s_or_b32 exec_lo, exec_lo, s1
	s_delay_alu instid0(VALU_DEP_1)
	v_xor_b32_e32 v32, 0x80000000, v32
.LBB103_68:                             ;   in Loop: Header=BB103_3 Depth=1
	s_or_b32 exec_lo, exec_lo, s8
	s_and_saveexec_b32 s1, s100
; %bb.69:                               ;   in Loop: Header=BB103_3 Depth=1
	ds_store_b32 v9, v32
; %bb.70:                               ;   in Loop: Header=BB103_3 Depth=1
	s_or_b32 exec_lo, exec_lo, s1
	s_wait_dscnt 0x0
	s_barrier_signal -1
	s_barrier_wait -1
	s_and_saveexec_b32 s1, s101
	s_cbranch_execz .LBB103_72
; %bb.71:                               ;   in Loop: Header=BB103_3 Depth=1
	ds_load_b32 v33, v5 offset:524
	ds_load_b32 v70, v9
	s_wait_dscnt 0x0
	v_fmac_f32_e32 v32, v33, v70
.LBB103_72:                             ;   in Loop: Header=BB103_3 Depth=1
	s_or_b32 exec_lo, exec_lo, s1
	s_barrier_signal -1
	s_barrier_wait -1
	s_and_saveexec_b32 s1, s101
; %bb.73:                               ;   in Loop: Header=BB103_3 Depth=1
	ds_store_b32 v9, v32
; %bb.74:                               ;   in Loop: Header=BB103_3 Depth=1
	s_or_b32 exec_lo, exec_lo, s1
	s_wait_dscnt 0x0
	s_barrier_signal -1
	s_barrier_wait -1
	s_barrier_signal -1
	s_barrier_wait -1
	s_and_saveexec_b32 s1, s2
; %bb.75:                               ;   in Loop: Header=BB103_3 Depth=1
	v_xor_b32_e32 v32, 0x80000000, v32
	ds_store_b32 v34, v32 offset:8
; %bb.76:                               ;   in Loop: Header=BB103_3 Depth=1
	s_or_b32 exec_lo, exec_lo, s1
	s_wait_dscnt 0x0
	s_barrier_signal -1
	s_barrier_wait -1
	s_barrier_signal -1
	s_barrier_wait -1
	s_and_saveexec_b32 s1, s11
; %bb.77:                               ;   in Loop: Header=BB103_3 Depth=1
	ds_store_2addr_b32 v5, v65, v65 offset0:130 offset1:195
; %bb.78:                               ;   in Loop: Header=BB103_3 Depth=1
	s_or_b32 exec_lo, exec_lo, s1
	v_mov_b32_e32 v32, 0
	s_wait_dscnt 0x0
	s_barrier_signal -1
	s_barrier_wait -1
	s_and_saveexec_b32 s8, s3
	s_cbranch_execz .LBB103_84
; %bb.79:                               ;   in Loop: Header=BB103_3 Depth=1
	ds_load_b32 v32, v40 offset:16
	ds_load_b32 v33, v36
	s_wait_dscnt 0x0
	v_fma_f32 v32, v32, v33, 0
	s_and_saveexec_b32 s1, s13
	s_cbranch_execnz .LBB103_1113
; %bb.80:                               ;   in Loop: Header=BB103_3 Depth=1
	s_or_b32 exec_lo, exec_lo, s1
	s_and_saveexec_b32 s1, s14
	s_cbranch_execnz .LBB103_1114
.LBB103_81:                             ;   in Loop: Header=BB103_3 Depth=1
	s_or_b32 exec_lo, exec_lo, s1
	s_and_saveexec_b32 s1, s2
	s_cbranch_execz .LBB103_83
.LBB103_82:                             ;   in Loop: Header=BB103_3 Depth=1
	ds_load_b32 v33, v38 offset:784
	ds_load_b32 v70, v5 offset:12
	s_wait_dscnt 0x0
	v_fmac_f32_e32 v32, v33, v70
.LBB103_83:                             ;   in Loop: Header=BB103_3 Depth=1
	s_or_b32 exec_lo, exec_lo, s1
	s_delay_alu instid0(VALU_DEP_1)
	v_xor_b32_e32 v32, 0x80000000, v32
.LBB103_84:                             ;   in Loop: Header=BB103_3 Depth=1
	s_or_b32 exec_lo, exec_lo, s8
	s_and_saveexec_b32 s1, s102
; %bb.85:                               ;   in Loop: Header=BB103_3 Depth=1
	ds_store_b32 v39, v32
; %bb.86:                               ;   in Loop: Header=BB103_3 Depth=1
	s_or_b32 exec_lo, exec_lo, s1
	s_wait_dscnt 0x0
	s_barrier_signal -1
	s_barrier_wait -1
	s_and_saveexec_b32 s1, s103
	s_cbranch_execz .LBB103_88
; %bb.87:                               ;   in Loop: Header=BB103_3 Depth=1
	ds_load_b32 v33, v37 offset:1040
	ds_load_b32 v70, v39
	s_wait_dscnt 0x0
	v_fmac_f32_e32 v32, v33, v70
.LBB103_88:                             ;   in Loop: Header=BB103_3 Depth=1
	s_or_b32 exec_lo, exec_lo, s1
	s_barrier_signal -1
	s_barrier_wait -1
	s_and_saveexec_b32 s1, s104
; %bb.89:                               ;   in Loop: Header=BB103_3 Depth=1
	ds_store_b32 v39, v32
; %bb.90:                               ;   in Loop: Header=BB103_3 Depth=1
	s_or_b32 exec_lo, exec_lo, s1
	s_wait_dscnt 0x0
	s_barrier_signal -1
	s_barrier_wait -1
	s_and_saveexec_b32 s1, vcc_hi
	s_cbranch_execz .LBB103_92
; %bb.91:                               ;   in Loop: Header=BB103_3 Depth=1
	ds_load_b32 v33, v37 offset:1296
	ds_load_b32 v70, v39
	s_wait_dscnt 0x0
	v_fmac_f32_e32 v32, v33, v70
.LBB103_92:                             ;   in Loop: Header=BB103_3 Depth=1
	s_or_b32 exec_lo, exec_lo, s1
	s_barrier_signal -1
	s_barrier_wait -1
	s_and_saveexec_b32 s1, s31
; %bb.93:                               ;   in Loop: Header=BB103_3 Depth=1
	ds_store_b32 v39, v32
; %bb.94:                               ;   in Loop: Header=BB103_3 Depth=1
	s_or_b32 exec_lo, exec_lo, s1
	s_wait_dscnt 0x0
	s_barrier_signal -1
	s_barrier_wait -1
	s_and_saveexec_b32 s1, s33
	s_cbranch_execz .LBB103_96
; %bb.95:                               ;   in Loop: Header=BB103_3 Depth=1
	ds_load_b32 v33, v5 offset:1564
	ds_load_b32 v70, v39
	s_wait_dscnt 0x0
	v_fmac_f32_e32 v32, v33, v70
.LBB103_96:                             ;   in Loop: Header=BB103_3 Depth=1
	s_or_b32 exec_lo, exec_lo, s1
	s_barrier_signal -1
	s_barrier_wait -1
	s_and_saveexec_b32 s1, s33
; %bb.97:                               ;   in Loop: Header=BB103_3 Depth=1
	ds_store_b32 v39, v32
; %bb.98:                               ;   in Loop: Header=BB103_3 Depth=1
	s_or_b32 exec_lo, exec_lo, s1
	s_wait_dscnt 0x0
	s_barrier_signal -1
	s_barrier_wait -1
	s_barrier_signal -1
	s_barrier_wait -1
	s_and_saveexec_b32 s1, s3
; %bb.99:                               ;   in Loop: Header=BB103_3 Depth=1
	v_xor_b32_e32 v32, 0x80000000, v32
	ds_store_b32 v40, v32 offset:16
; %bb.100:                              ;   in Loop: Header=BB103_3 Depth=1
	s_or_b32 exec_lo, exec_lo, s1
	s_wait_dscnt 0x0
	s_barrier_signal -1
	s_barrier_wait -1
	s_barrier_signal -1
	s_barrier_wait -1
	s_and_saveexec_b32 s1, s11
; %bb.101:                              ;   in Loop: Header=BB103_3 Depth=1
	v_add_nc_u32_e64 v32, 0x400, 0
	ds_store_2addr_b32 v32, v65, v65 offset0:4 offset1:69
; %bb.102:                              ;   in Loop: Header=BB103_3 Depth=1
	s_or_b32 exec_lo, exec_lo, s1
	v_mov_b32_e32 v32, 0
	s_wait_dscnt 0x0
	s_barrier_signal -1
	s_barrier_wait -1
	s_and_saveexec_b32 s8, s2
	s_cbranch_execz .LBB103_106
; %bb.103:                              ;   in Loop: Header=BB103_3 Depth=1
	ds_load_b32 v32, v34 offset:1048
	ds_load_b32 v33, v35 offset:1040
	s_wait_dscnt 0x0
	v_fma_f32 v32, v32, v33, 0
	s_and_saveexec_b32 s1, s12
	s_cbranch_execz .LBB103_105
; %bb.104:                              ;   in Loop: Header=BB103_3 Depth=1
	ds_load_b32 v33, v38 offset:1304
	ds_load_b32 v70, v5 offset:1044
	s_wait_dscnt 0x0
	v_fmac_f32_e32 v32, v33, v70
.LBB103_105:                            ;   in Loop: Header=BB103_3 Depth=1
	s_or_b32 exec_lo, exec_lo, s1
	s_delay_alu instid0(VALU_DEP_1)
	v_xor_b32_e32 v32, 0x80000000, v32
.LBB103_106:                            ;   in Loop: Header=BB103_3 Depth=1
	s_or_b32 exec_lo, exec_lo, s8
	s_and_saveexec_b32 s1, s100
; %bb.107:                              ;   in Loop: Header=BB103_3 Depth=1
	ds_store_b32 v9, v32
; %bb.108:                              ;   in Loop: Header=BB103_3 Depth=1
	s_or_b32 exec_lo, exec_lo, s1
	s_wait_dscnt 0x0
	s_barrier_signal -1
	s_barrier_wait -1
	s_and_saveexec_b32 s1, s101
	s_cbranch_execz .LBB103_110
; %bb.109:                              ;   in Loop: Header=BB103_3 Depth=1
	ds_load_b32 v33, v5 offset:1564
	ds_load_b32 v70, v9
	s_wait_dscnt 0x0
	v_fmac_f32_e32 v32, v33, v70
.LBB103_110:                            ;   in Loop: Header=BB103_3 Depth=1
	s_or_b32 exec_lo, exec_lo, s1
	s_barrier_signal -1
	s_barrier_wait -1
	s_and_saveexec_b32 s1, s101
; %bb.111:                              ;   in Loop: Header=BB103_3 Depth=1
	ds_store_b32 v9, v32
; %bb.112:                              ;   in Loop: Header=BB103_3 Depth=1
	s_or_b32 exec_lo, exec_lo, s1
	s_wait_dscnt 0x0
	s_barrier_signal -1
	s_barrier_wait -1
	s_barrier_signal -1
	s_barrier_wait -1
	s_and_saveexec_b32 s1, s2
; %bb.113:                              ;   in Loop: Header=BB103_3 Depth=1
	v_xor_b32_e32 v32, 0x80000000, v32
	ds_store_b32 v34, v32 offset:1048
; %bb.114:                              ;   in Loop: Header=BB103_3 Depth=1
	s_or_b32 exec_lo, exec_lo, s1
	s_wait_dscnt 0x0
	s_barrier_signal -1
	s_barrier_wait -1
	s_barrier_signal -1
	s_barrier_wait -1
	s_and_saveexec_b32 s1, s11
; %bb.115:                              ;   in Loop: Header=BB103_3 Depth=1
	v_add_nc_u32_e64 v32, 0x400, 0
	ds_store_2addr_b32 v32, v65, v65 offset0:134 offset1:199
; %bb.116:                              ;   in Loop: Header=BB103_3 Depth=1
	s_or_b32 exec_lo, exec_lo, s1
	v_mov_b32_e32 v32, 0
	s_wait_dscnt 0x0
	s_barrier_signal -1
	s_barrier_wait -1
	s_and_saveexec_b32 s8, s4
	s_cbranch_execz .LBB103_126
; %bb.117:                              ;   in Loop: Header=BB103_3 Depth=1
	ds_load_b32 v32, v46 offset:32
	ds_load_b32 v33, v41
	s_wait_dscnt 0x0
	v_fma_f32 v32, v32, v33, 0
	s_and_saveexec_b32 s1, s15
	s_cbranch_execnz .LBB103_1115
; %bb.118:                              ;   in Loop: Header=BB103_3 Depth=1
	s_or_b32 exec_lo, exec_lo, s1
	s_and_saveexec_b32 s1, s16
	s_cbranch_execnz .LBB103_1116
.LBB103_119:                            ;   in Loop: Header=BB103_3 Depth=1
	s_or_b32 exec_lo, exec_lo, s1
	s_and_saveexec_b32 s1, s17
	s_cbranch_execnz .LBB103_1117
.LBB103_120:                            ;   in Loop: Header=BB103_3 Depth=1
	s_or_b32 exec_lo, exec_lo, s1
	s_and_saveexec_b32 s1, s18
	s_cbranch_execnz .LBB103_1118
.LBB103_121:                            ;   in Loop: Header=BB103_3 Depth=1
	s_or_b32 exec_lo, exec_lo, s1
	s_and_saveexec_b32 s1, s19
	s_cbranch_execnz .LBB103_1119
.LBB103_122:                            ;   in Loop: Header=BB103_3 Depth=1
	s_or_b32 exec_lo, exec_lo, s1
	s_and_saveexec_b32 s1, s3
	s_cbranch_execnz .LBB103_1120
.LBB103_123:                            ;   in Loop: Header=BB103_3 Depth=1
	s_or_b32 exec_lo, exec_lo, s1
	s_and_saveexec_b32 s1, s14
	s_cbranch_execz .LBB103_125
.LBB103_124:                            ;   in Loop: Header=BB103_3 Depth=1
	ds_load_b32 v33, v38 offset:1824
	ds_load_b32 v70, v5 offset:28
	s_wait_dscnt 0x0
	v_fmac_f32_e32 v32, v33, v70
.LBB103_125:                            ;   in Loop: Header=BB103_3 Depth=1
	s_or_b32 exec_lo, exec_lo, s1
	s_delay_alu instid0(VALU_DEP_1)
	v_xor_b32_e32 v32, 0x80000000, v32
.LBB103_126:                            ;   in Loop: Header=BB103_3 Depth=1
	s_or_b32 exec_lo, exec_lo, s8
	s_and_saveexec_b32 s1, s34
; %bb.127:                              ;   in Loop: Header=BB103_3 Depth=1
	ds_store_b32 v43, v32
; %bb.128:                              ;   in Loop: Header=BB103_3 Depth=1
	s_or_b32 exec_lo, exec_lo, s1
	s_wait_dscnt 0x0
	s_barrier_signal -1
	s_barrier_wait -1
	s_and_saveexec_b32 s1, s35
	s_cbranch_execz .LBB103_130
; %bb.129:                              ;   in Loop: Header=BB103_3 Depth=1
	ds_load_b32 v33, v44 offset:2080
	ds_load_b32 v70, v43
	s_wait_dscnt 0x0
	v_fmac_f32_e32 v32, v33, v70
.LBB103_130:                            ;   in Loop: Header=BB103_3 Depth=1
	s_or_b32 exec_lo, exec_lo, s1
	s_barrier_signal -1
	s_barrier_wait -1
	s_and_saveexec_b32 s1, s36
; %bb.131:                              ;   in Loop: Header=BB103_3 Depth=1
	ds_store_b32 v43, v32
; %bb.132:                              ;   in Loop: Header=BB103_3 Depth=1
	s_or_b32 exec_lo, exec_lo, s1
	s_wait_dscnt 0x0
	s_barrier_signal -1
	s_barrier_wait -1
	s_and_saveexec_b32 s1, s37
	s_cbranch_execz .LBB103_134
; %bb.133:                              ;   in Loop: Header=BB103_3 Depth=1
	ds_load_b32 v33, v44 offset:2336
	ds_load_b32 v70, v43
	s_wait_dscnt 0x0
	v_fmac_f32_e32 v32, v33, v70
.LBB103_134:                            ;   in Loop: Header=BB103_3 Depth=1
	s_or_b32 exec_lo, exec_lo, s1
	s_barrier_signal -1
	s_barrier_wait -1
	;; [unrolled: 19-line block ×7, first 2 shown]
	s_and_saveexec_b32 s1, s47
; %bb.155:                              ;   in Loop: Header=BB103_3 Depth=1
	ds_store_b32 v43, v32
; %bb.156:                              ;   in Loop: Header=BB103_3 Depth=1
	s_or_b32 exec_lo, exec_lo, s1
	s_wait_dscnt 0x0
	s_barrier_signal -1
	s_barrier_wait -1
	s_barrier_signal -1
	s_barrier_wait -1
	s_and_saveexec_b32 s1, s4
; %bb.157:                              ;   in Loop: Header=BB103_3 Depth=1
	v_xor_b32_e32 v32, 0x80000000, v32
	ds_store_b32 v46, v32 offset:32
; %bb.158:                              ;   in Loop: Header=BB103_3 Depth=1
	s_or_b32 exec_lo, exec_lo, s1
	s_wait_dscnt 0x0
	s_barrier_signal -1
	s_barrier_wait -1
	s_barrier_signal -1
	s_barrier_wait -1
	s_and_saveexec_b32 s1, s11
; %bb.159:                              ;   in Loop: Header=BB103_3 Depth=1
	v_add_nc_u32_e64 v32, 0x800, 0
	ds_store_2addr_b32 v32, v65, v65 offset0:8 offset1:73
; %bb.160:                              ;   in Loop: Header=BB103_3 Depth=1
	s_or_b32 exec_lo, exec_lo, s1
	v_mov_b32_e32 v32, 0
	s_wait_dscnt 0x0
	s_barrier_signal -1
	s_barrier_wait -1
	s_and_saveexec_b32 s8, s2
	s_cbranch_execz .LBB103_164
; %bb.161:                              ;   in Loop: Header=BB103_3 Depth=1
	ds_load_b32 v32, v34 offset:2088
	ds_load_b32 v33, v35 offset:2080
	s_wait_dscnt 0x0
	v_fma_f32 v32, v32, v33, 0
	s_and_saveexec_b32 s1, s12
	s_cbranch_execz .LBB103_163
; %bb.162:                              ;   in Loop: Header=BB103_3 Depth=1
	ds_load_b32 v33, v38 offset:2344
	ds_load_b32 v70, v5 offset:2084
	s_wait_dscnt 0x0
	v_fmac_f32_e32 v32, v33, v70
.LBB103_163:                            ;   in Loop: Header=BB103_3 Depth=1
	s_or_b32 exec_lo, exec_lo, s1
	s_delay_alu instid0(VALU_DEP_1)
	v_xor_b32_e32 v32, 0x80000000, v32
.LBB103_164:                            ;   in Loop: Header=BB103_3 Depth=1
	s_or_b32 exec_lo, exec_lo, s8
	s_and_saveexec_b32 s1, s100
; %bb.165:                              ;   in Loop: Header=BB103_3 Depth=1
	ds_store_b32 v9, v32
; %bb.166:                              ;   in Loop: Header=BB103_3 Depth=1
	s_or_b32 exec_lo, exec_lo, s1
	s_wait_dscnt 0x0
	s_barrier_signal -1
	s_barrier_wait -1
	s_and_saveexec_b32 s1, s101
	s_cbranch_execz .LBB103_168
; %bb.167:                              ;   in Loop: Header=BB103_3 Depth=1
	ds_load_b32 v33, v5 offset:2604
	ds_load_b32 v70, v9
	s_wait_dscnt 0x0
	v_fmac_f32_e32 v32, v33, v70
.LBB103_168:                            ;   in Loop: Header=BB103_3 Depth=1
	s_or_b32 exec_lo, exec_lo, s1
	s_barrier_signal -1
	s_barrier_wait -1
	s_and_saveexec_b32 s1, s101
; %bb.169:                              ;   in Loop: Header=BB103_3 Depth=1
	ds_store_b32 v9, v32
; %bb.170:                              ;   in Loop: Header=BB103_3 Depth=1
	s_or_b32 exec_lo, exec_lo, s1
	s_wait_dscnt 0x0
	s_barrier_signal -1
	s_barrier_wait -1
	s_barrier_signal -1
	s_barrier_wait -1
	s_and_saveexec_b32 s1, s2
; %bb.171:                              ;   in Loop: Header=BB103_3 Depth=1
	v_xor_b32_e32 v32, 0x80000000, v32
	ds_store_b32 v34, v32 offset:2088
; %bb.172:                              ;   in Loop: Header=BB103_3 Depth=1
	s_or_b32 exec_lo, exec_lo, s1
	s_wait_dscnt 0x0
	s_barrier_signal -1
	s_barrier_wait -1
	s_barrier_signal -1
	s_barrier_wait -1
	s_and_saveexec_b32 s1, s11
; %bb.173:                              ;   in Loop: Header=BB103_3 Depth=1
	v_add_nc_u32_e64 v32, 0x800, 0
	ds_store_2addr_b32 v32, v65, v65 offset0:138 offset1:203
; %bb.174:                              ;   in Loop: Header=BB103_3 Depth=1
	s_or_b32 exec_lo, exec_lo, s1
	v_mov_b32_e32 v32, 0
	s_wait_dscnt 0x0
	s_barrier_signal -1
	s_barrier_wait -1
	s_and_saveexec_b32 s8, s3
	s_cbranch_execz .LBB103_180
; %bb.175:                              ;   in Loop: Header=BB103_3 Depth=1
	ds_load_b32 v32, v40 offset:2096
	ds_load_b32 v33, v36 offset:2080
	s_wait_dscnt 0x0
	v_fma_f32 v32, v32, v33, 0
	s_and_saveexec_b32 s1, s13
	s_cbranch_execnz .LBB103_1121
; %bb.176:                              ;   in Loop: Header=BB103_3 Depth=1
	s_or_b32 exec_lo, exec_lo, s1
	s_and_saveexec_b32 s1, s14
	s_cbranch_execnz .LBB103_1122
.LBB103_177:                            ;   in Loop: Header=BB103_3 Depth=1
	s_or_b32 exec_lo, exec_lo, s1
	s_and_saveexec_b32 s1, s2
	s_cbranch_execz .LBB103_179
.LBB103_178:                            ;   in Loop: Header=BB103_3 Depth=1
	ds_load_b32 v33, v38 offset:2864
	ds_load_b32 v70, v5 offset:2092
	s_wait_dscnt 0x0
	v_fmac_f32_e32 v32, v33, v70
.LBB103_179:                            ;   in Loop: Header=BB103_3 Depth=1
	s_or_b32 exec_lo, exec_lo, s1
	s_delay_alu instid0(VALU_DEP_1)
	v_xor_b32_e32 v32, 0x80000000, v32
.LBB103_180:                            ;   in Loop: Header=BB103_3 Depth=1
	s_or_b32 exec_lo, exec_lo, s8
	s_and_saveexec_b32 s1, s102
; %bb.181:                              ;   in Loop: Header=BB103_3 Depth=1
	ds_store_b32 v39, v32
; %bb.182:                              ;   in Loop: Header=BB103_3 Depth=1
	s_or_b32 exec_lo, exec_lo, s1
	s_wait_dscnt 0x0
	s_barrier_signal -1
	s_barrier_wait -1
	s_and_saveexec_b32 s1, s103
	s_cbranch_execz .LBB103_184
; %bb.183:                              ;   in Loop: Header=BB103_3 Depth=1
	ds_load_b32 v33, v37 offset:3120
	ds_load_b32 v70, v39
	s_wait_dscnt 0x0
	v_fmac_f32_e32 v32, v33, v70
.LBB103_184:                            ;   in Loop: Header=BB103_3 Depth=1
	s_or_b32 exec_lo, exec_lo, s1
	s_barrier_signal -1
	s_barrier_wait -1
	s_and_saveexec_b32 s1, s104
; %bb.185:                              ;   in Loop: Header=BB103_3 Depth=1
	ds_store_b32 v39, v32
; %bb.186:                              ;   in Loop: Header=BB103_3 Depth=1
	s_or_b32 exec_lo, exec_lo, s1
	s_wait_dscnt 0x0
	s_barrier_signal -1
	s_barrier_wait -1
	s_and_saveexec_b32 s1, vcc_hi
	s_cbranch_execz .LBB103_188
; %bb.187:                              ;   in Loop: Header=BB103_3 Depth=1
	ds_load_b32 v33, v37 offset:3376
	ds_load_b32 v70, v39
	s_wait_dscnt 0x0
	v_fmac_f32_e32 v32, v33, v70
.LBB103_188:                            ;   in Loop: Header=BB103_3 Depth=1
	s_or_b32 exec_lo, exec_lo, s1
	s_barrier_signal -1
	s_barrier_wait -1
	s_and_saveexec_b32 s1, s31
; %bb.189:                              ;   in Loop: Header=BB103_3 Depth=1
	ds_store_b32 v39, v32
; %bb.190:                              ;   in Loop: Header=BB103_3 Depth=1
	s_or_b32 exec_lo, exec_lo, s1
	s_wait_dscnt 0x0
	s_barrier_signal -1
	s_barrier_wait -1
	s_and_saveexec_b32 s1, s33
	s_cbranch_execz .LBB103_192
; %bb.191:                              ;   in Loop: Header=BB103_3 Depth=1
	ds_load_b32 v33, v5 offset:3644
	ds_load_b32 v70, v39
	s_wait_dscnt 0x0
	v_fmac_f32_e32 v32, v33, v70
.LBB103_192:                            ;   in Loop: Header=BB103_3 Depth=1
	s_or_b32 exec_lo, exec_lo, s1
	s_barrier_signal -1
	s_barrier_wait -1
	s_and_saveexec_b32 s1, s33
; %bb.193:                              ;   in Loop: Header=BB103_3 Depth=1
	ds_store_b32 v39, v32
; %bb.194:                              ;   in Loop: Header=BB103_3 Depth=1
	s_or_b32 exec_lo, exec_lo, s1
	s_wait_dscnt 0x0
	s_barrier_signal -1
	s_barrier_wait -1
	s_barrier_signal -1
	s_barrier_wait -1
	s_and_saveexec_b32 s1, s3
; %bb.195:                              ;   in Loop: Header=BB103_3 Depth=1
	v_xor_b32_e32 v32, 0x80000000, v32
	ds_store_b32 v40, v32 offset:2096
; %bb.196:                              ;   in Loop: Header=BB103_3 Depth=1
	s_or_b32 exec_lo, exec_lo, s1
	s_wait_dscnt 0x0
	s_barrier_signal -1
	s_barrier_wait -1
	s_barrier_signal -1
	s_barrier_wait -1
	s_and_saveexec_b32 s1, s11
; %bb.197:                              ;   in Loop: Header=BB103_3 Depth=1
	v_add_nc_u32_e64 v32, 0xc00, 0
	ds_store_2addr_b32 v32, v65, v65 offset0:12 offset1:77
; %bb.198:                              ;   in Loop: Header=BB103_3 Depth=1
	s_or_b32 exec_lo, exec_lo, s1
	v_mov_b32_e32 v32, 0
	s_wait_dscnt 0x0
	s_barrier_signal -1
	s_barrier_wait -1
	s_and_saveexec_b32 s8, s2
	s_cbranch_execz .LBB103_202
; %bb.199:                              ;   in Loop: Header=BB103_3 Depth=1
	ds_load_b32 v32, v34 offset:3128
	ds_load_b32 v33, v35 offset:3120
	s_wait_dscnt 0x0
	v_fma_f32 v32, v32, v33, 0
	s_and_saveexec_b32 s1, s12
	s_cbranch_execz .LBB103_201
; %bb.200:                              ;   in Loop: Header=BB103_3 Depth=1
	ds_load_b32 v33, v38 offset:3384
	ds_load_b32 v70, v5 offset:3124
	s_wait_dscnt 0x0
	v_fmac_f32_e32 v32, v33, v70
.LBB103_201:                            ;   in Loop: Header=BB103_3 Depth=1
	s_or_b32 exec_lo, exec_lo, s1
	s_delay_alu instid0(VALU_DEP_1)
	v_xor_b32_e32 v32, 0x80000000, v32
.LBB103_202:                            ;   in Loop: Header=BB103_3 Depth=1
	s_or_b32 exec_lo, exec_lo, s8
	s_and_saveexec_b32 s1, s100
; %bb.203:                              ;   in Loop: Header=BB103_3 Depth=1
	ds_store_b32 v9, v32
; %bb.204:                              ;   in Loop: Header=BB103_3 Depth=1
	s_or_b32 exec_lo, exec_lo, s1
	s_wait_dscnt 0x0
	s_barrier_signal -1
	s_barrier_wait -1
	s_and_saveexec_b32 s1, s101
	s_cbranch_execz .LBB103_206
; %bb.205:                              ;   in Loop: Header=BB103_3 Depth=1
	ds_load_b32 v33, v5 offset:3644
	ds_load_b32 v70, v9
	s_wait_dscnt 0x0
	v_fmac_f32_e32 v32, v33, v70
.LBB103_206:                            ;   in Loop: Header=BB103_3 Depth=1
	s_or_b32 exec_lo, exec_lo, s1
	s_barrier_signal -1
	s_barrier_wait -1
	s_and_saveexec_b32 s1, s101
; %bb.207:                              ;   in Loop: Header=BB103_3 Depth=1
	ds_store_b32 v9, v32
; %bb.208:                              ;   in Loop: Header=BB103_3 Depth=1
	s_or_b32 exec_lo, exec_lo, s1
	s_wait_dscnt 0x0
	s_barrier_signal -1
	s_barrier_wait -1
	s_barrier_signal -1
	s_barrier_wait -1
	s_and_saveexec_b32 s1, s2
; %bb.209:                              ;   in Loop: Header=BB103_3 Depth=1
	v_xor_b32_e32 v32, 0x80000000, v32
	ds_store_b32 v34, v32 offset:3128
; %bb.210:                              ;   in Loop: Header=BB103_3 Depth=1
	s_or_b32 exec_lo, exec_lo, s1
	s_wait_dscnt 0x0
	s_barrier_signal -1
	s_barrier_wait -1
	s_barrier_signal -1
	s_barrier_wait -1
	s_and_saveexec_b32 s1, s11
; %bb.211:                              ;   in Loop: Header=BB103_3 Depth=1
	v_add_nc_u32_e64 v32, 0xc00, 0
	ds_store_2addr_b32 v32, v65, v65 offset0:142 offset1:207
; %bb.212:                              ;   in Loop: Header=BB103_3 Depth=1
	s_or_b32 exec_lo, exec_lo, s1
	v_mov_b32_e32 v32, 0
	s_wait_dscnt 0x0
	s_barrier_signal -1
	s_barrier_wait -1
	s_and_saveexec_b32 s65, s5
	s_cbranch_execz .LBB103_240
; %bb.213:                              ;   in Loop: Header=BB103_3 Depth=1
	ds_load_b32 v32, v53 offset:64
	ds_load_b32 v33, v45
	s_wait_dscnt 0x0
	v_fma_f32 v32, v32, v33, 0
	s_mov_b32 s1, exec_lo
	v_readlane_b32 s8, v77, 17
	s_and_b32 s8, s1, s8
	s_delay_alu instid0(SALU_CYCLE_1)
	s_mov_b32 exec_lo, s8
	s_cbranch_execz .LBB103_215
; %bb.214:                              ;   in Loop: Header=BB103_3 Depth=1
	ds_load_b32 v33, v54 offset:320
	ds_load_b32 v70, v45 offset:4
	s_wait_dscnt 0x0
	v_fmac_f32_e32 v32, v33, v70
.LBB103_215:                            ;   in Loop: Header=BB103_3 Depth=1
	s_or_b32 exec_lo, exec_lo, s1
	s_delay_alu instid0(SALU_CYCLE_1) | instskip(SKIP_2) | instid1(SALU_CYCLE_1)
	s_mov_b32 s1, exec_lo
	v_readlane_b32 s8, v77, 18
	s_and_b32 s8, s1, s8
	s_mov_b32 exec_lo, s8
	s_cbranch_execz .LBB103_217
; %bb.216:                              ;   in Loop: Header=BB103_3 Depth=1
	ds_load_b32 v33, v54 offset:576
	ds_load_b32 v70, v45 offset:8
	s_wait_dscnt 0x0
	v_fmac_f32_e32 v32, v33, v70
.LBB103_217:                            ;   in Loop: Header=BB103_3 Depth=1
	s_or_b32 exec_lo, exec_lo, s1
	s_delay_alu instid0(SALU_CYCLE_1) | instskip(SKIP_2) | instid1(SALU_CYCLE_1)
	s_mov_b32 s1, exec_lo
	v_readlane_b32 s8, v77, 19
	s_and_b32 s8, s1, s8
	;; [unrolled: 13-line block ×10, first 2 shown]
	s_mov_b32 exec_lo, s8
	s_cbranch_execnz .LBB103_1123
; %bb.234:                              ;   in Loop: Header=BB103_3 Depth=1
	s_or_b32 exec_lo, exec_lo, s1
	s_and_saveexec_b32 s1, s4
	s_cbranch_execnz .LBB103_1124
.LBB103_235:                            ;   in Loop: Header=BB103_3 Depth=1
	s_or_b32 exec_lo, exec_lo, s1
	s_and_saveexec_b32 s1, s16
	s_cbranch_execnz .LBB103_1125
.LBB103_236:                            ;   in Loop: Header=BB103_3 Depth=1
	s_or_b32 exec_lo, exec_lo, s1
	s_and_saveexec_b32 s1, s18
	s_cbranch_execnz .LBB103_1126
.LBB103_237:                            ;   in Loop: Header=BB103_3 Depth=1
	s_or_b32 exec_lo, exec_lo, s1
	s_and_saveexec_b32 s1, s3
	s_cbranch_execz .LBB103_239
.LBB103_238:                            ;   in Loop: Header=BB103_3 Depth=1
	ds_load_b32 v33, v38 offset:3904
	ds_load_b32 v70, v5 offset:60
	s_wait_dscnt 0x0
	v_fmac_f32_e32 v32, v33, v70
.LBB103_239:                            ;   in Loop: Header=BB103_3 Depth=1
	s_or_b32 exec_lo, exec_lo, s1
	s_delay_alu instid0(VALU_DEP_1)
	v_xor_b32_e32 v32, 0x80000000, v32
.LBB103_240:                            ;   in Loop: Header=BB103_3 Depth=1
	s_or_b32 exec_lo, exec_lo, s65
	s_delay_alu instid0(SALU_CYCLE_1) | instskip(SKIP_2) | instid1(SALU_CYCLE_1)
	s_mov_b32 s1, exec_lo
	v_readlane_b32 s8, v79, 2
	s_and_b32 s8, s1, s8
	s_mov_b32 exec_lo, s8
; %bb.241:                              ;   in Loop: Header=BB103_3 Depth=1
	ds_store_b32 v52, v32
; %bb.242:                              ;   in Loop: Header=BB103_3 Depth=1
	s_or_b32 exec_lo, exec_lo, s1
	s_wait_dscnt 0x0
	s_barrier_signal -1
	s_barrier_wait -1
	s_mov_b32 s1, exec_lo
	v_readlane_b32 s8, v79, 3
	s_and_b32 s8, s1, s8
	s_delay_alu instid0(SALU_CYCLE_1)
	s_mov_b32 exec_lo, s8
	s_cbranch_execz .LBB103_244
; %bb.243:                              ;   in Loop: Header=BB103_3 Depth=1
	ds_load_b32 v33, v48 offset:4160
	ds_load_b32 v70, v52
	s_wait_dscnt 0x0
	v_fmac_f32_e32 v32, v33, v70
.LBB103_244:                            ;   in Loop: Header=BB103_3 Depth=1
	s_or_b32 exec_lo, exec_lo, s1
	s_barrier_signal -1
	s_barrier_wait -1
	s_mov_b32 s1, exec_lo
	v_readlane_b32 s8, v79, 4
	s_and_b32 s8, s1, s8
	s_delay_alu instid0(SALU_CYCLE_1)
	s_mov_b32 exec_lo, s8
; %bb.245:                              ;   in Loop: Header=BB103_3 Depth=1
	ds_store_b32 v52, v32
; %bb.246:                              ;   in Loop: Header=BB103_3 Depth=1
	s_or_b32 exec_lo, exec_lo, s1
	s_wait_dscnt 0x0
	s_barrier_signal -1
	s_barrier_wait -1
	s_mov_b32 s1, exec_lo
	v_readlane_b32 s8, v79, 5
	s_and_b32 s8, s1, s8
	s_delay_alu instid0(SALU_CYCLE_1)
	s_mov_b32 exec_lo, s8
	s_cbranch_execz .LBB103_248
; %bb.247:                              ;   in Loop: Header=BB103_3 Depth=1
	ds_load_b32 v33, v48 offset:4416
	ds_load_b32 v70, v52
	s_wait_dscnt 0x0
	v_fmac_f32_e32 v32, v33, v70
.LBB103_248:                            ;   in Loop: Header=BB103_3 Depth=1
	s_or_b32 exec_lo, exec_lo, s1
	s_barrier_signal -1
	s_barrier_wait -1
	s_and_saveexec_b32 s1, s52
; %bb.249:                              ;   in Loop: Header=BB103_3 Depth=1
	ds_store_b32 v52, v32
; %bb.250:                              ;   in Loop: Header=BB103_3 Depth=1
	s_or_b32 exec_lo, exec_lo, s1
	s_wait_dscnt 0x0
	s_barrier_signal -1
	s_barrier_wait -1
	s_and_saveexec_b32 s1, s53
	s_cbranch_execz .LBB103_252
; %bb.251:                              ;   in Loop: Header=BB103_3 Depth=1
	ds_load_b32 v33, v48 offset:4672
	ds_load_b32 v70, v52
	s_wait_dscnt 0x0
	v_fmac_f32_e32 v32, v33, v70
.LBB103_252:                            ;   in Loop: Header=BB103_3 Depth=1
	s_or_b32 exec_lo, exec_lo, s1
	s_barrier_signal -1
	s_barrier_wait -1
	s_and_saveexec_b32 s1, s54
; %bb.253:                              ;   in Loop: Header=BB103_3 Depth=1
	ds_store_b32 v52, v32
; %bb.254:                              ;   in Loop: Header=BB103_3 Depth=1
	s_or_b32 exec_lo, exec_lo, s1
	s_wait_dscnt 0x0
	s_barrier_signal -1
	s_barrier_wait -1
	s_and_saveexec_b32 s1, s20
	;; [unrolled: 19-line block ×13, first 2 shown]
	s_cbranch_execz .LBB103_300
; %bb.299:                              ;   in Loop: Header=BB103_3 Depth=1
	ds_load_b32 v33, v5 offset:7804
	ds_load_b32 v70, v52
	s_wait_dscnt 0x0
	v_fmac_f32_e32 v32, v33, v70
.LBB103_300:                            ;   in Loop: Header=BB103_3 Depth=1
	s_or_b32 exec_lo, exec_lo, s1
	s_barrier_signal -1
	s_barrier_wait -1
	s_and_saveexec_b32 s1, s49
; %bb.301:                              ;   in Loop: Header=BB103_3 Depth=1
	ds_store_b32 v52, v32
; %bb.302:                              ;   in Loop: Header=BB103_3 Depth=1
	s_or_b32 exec_lo, exec_lo, s1
	s_wait_dscnt 0x0
	s_barrier_signal -1
	s_barrier_wait -1
	s_barrier_signal -1
	s_barrier_wait -1
	s_and_saveexec_b32 s1, s5
; %bb.303:                              ;   in Loop: Header=BB103_3 Depth=1
	v_xor_b32_e32 v32, 0x80000000, v32
	ds_store_b32 v53, v32 offset:64
; %bb.304:                              ;   in Loop: Header=BB103_3 Depth=1
	s_or_b32 exec_lo, exec_lo, s1
	s_wait_dscnt 0x0
	s_barrier_signal -1
	s_barrier_wait -1
	s_barrier_signal -1
	s_barrier_wait -1
	s_and_saveexec_b32 s1, s11
; %bb.305:                              ;   in Loop: Header=BB103_3 Depth=1
	v_add_nc_u32_e64 v32, 0x1000, 0
	ds_store_2addr_b32 v32, v65, v65 offset0:16 offset1:81
; %bb.306:                              ;   in Loop: Header=BB103_3 Depth=1
	s_or_b32 exec_lo, exec_lo, s1
	v_mov_b32_e32 v32, 0
	s_wait_dscnt 0x0
	s_barrier_signal -1
	s_barrier_wait -1
	s_and_saveexec_b32 s8, s2
	s_cbranch_execz .LBB103_310
; %bb.307:                              ;   in Loop: Header=BB103_3 Depth=1
	ds_load_b32 v32, v34 offset:4168
	ds_load_b32 v33, v35 offset:4160
	s_wait_dscnt 0x0
	v_fma_f32 v32, v32, v33, 0
	s_and_saveexec_b32 s1, s12
	s_cbranch_execz .LBB103_309
; %bb.308:                              ;   in Loop: Header=BB103_3 Depth=1
	ds_load_b32 v33, v38 offset:4424
	ds_load_b32 v70, v5 offset:4164
	s_wait_dscnt 0x0
	v_fmac_f32_e32 v32, v33, v70
.LBB103_309:                            ;   in Loop: Header=BB103_3 Depth=1
	s_or_b32 exec_lo, exec_lo, s1
	s_delay_alu instid0(VALU_DEP_1)
	v_xor_b32_e32 v32, 0x80000000, v32
.LBB103_310:                            ;   in Loop: Header=BB103_3 Depth=1
	s_or_b32 exec_lo, exec_lo, s8
	s_and_saveexec_b32 s1, s100
; %bb.311:                              ;   in Loop: Header=BB103_3 Depth=1
	ds_store_b32 v9, v32
; %bb.312:                              ;   in Loop: Header=BB103_3 Depth=1
	s_or_b32 exec_lo, exec_lo, s1
	s_wait_dscnt 0x0
	s_barrier_signal -1
	s_barrier_wait -1
	s_and_saveexec_b32 s1, s101
	s_cbranch_execz .LBB103_314
; %bb.313:                              ;   in Loop: Header=BB103_3 Depth=1
	ds_load_b32 v33, v5 offset:4684
	ds_load_b32 v70, v9
	s_wait_dscnt 0x0
	v_fmac_f32_e32 v32, v33, v70
.LBB103_314:                            ;   in Loop: Header=BB103_3 Depth=1
	s_or_b32 exec_lo, exec_lo, s1
	s_barrier_signal -1
	s_barrier_wait -1
	s_and_saveexec_b32 s1, s101
; %bb.315:                              ;   in Loop: Header=BB103_3 Depth=1
	ds_store_b32 v9, v32
; %bb.316:                              ;   in Loop: Header=BB103_3 Depth=1
	s_or_b32 exec_lo, exec_lo, s1
	s_wait_dscnt 0x0
	s_barrier_signal -1
	s_barrier_wait -1
	s_barrier_signal -1
	s_barrier_wait -1
	s_and_saveexec_b32 s1, s2
; %bb.317:                              ;   in Loop: Header=BB103_3 Depth=1
	v_xor_b32_e32 v32, 0x80000000, v32
	ds_store_b32 v34, v32 offset:4168
; %bb.318:                              ;   in Loop: Header=BB103_3 Depth=1
	s_or_b32 exec_lo, exec_lo, s1
	s_wait_dscnt 0x0
	s_barrier_signal -1
	s_barrier_wait -1
	s_barrier_signal -1
	s_barrier_wait -1
	s_and_saveexec_b32 s1, s11
; %bb.319:                              ;   in Loop: Header=BB103_3 Depth=1
	v_add_nc_u32_e64 v32, 0x1000, 0
	ds_store_2addr_b32 v32, v65, v65 offset0:146 offset1:211
; %bb.320:                              ;   in Loop: Header=BB103_3 Depth=1
	s_or_b32 exec_lo, exec_lo, s1
	v_mov_b32_e32 v32, 0
	s_wait_dscnt 0x0
	s_barrier_signal -1
	s_barrier_wait -1
	s_and_saveexec_b32 s8, s3
	s_cbranch_execz .LBB103_326
; %bb.321:                              ;   in Loop: Header=BB103_3 Depth=1
	ds_load_b32 v32, v40 offset:4176
	ds_load_b32 v33, v36 offset:4160
	s_wait_dscnt 0x0
	v_fma_f32 v32, v32, v33, 0
	s_and_saveexec_b32 s1, s13
	s_cbranch_execnz .LBB103_1127
; %bb.322:                              ;   in Loop: Header=BB103_3 Depth=1
	s_or_b32 exec_lo, exec_lo, s1
	s_and_saveexec_b32 s1, s14
	s_cbranch_execnz .LBB103_1128
.LBB103_323:                            ;   in Loop: Header=BB103_3 Depth=1
	s_or_b32 exec_lo, exec_lo, s1
	s_and_saveexec_b32 s1, s2
	s_cbranch_execz .LBB103_325
.LBB103_324:                            ;   in Loop: Header=BB103_3 Depth=1
	ds_load_b32 v33, v38 offset:4944
	ds_load_b32 v70, v5 offset:4172
	s_wait_dscnt 0x0
	v_fmac_f32_e32 v32, v33, v70
.LBB103_325:                            ;   in Loop: Header=BB103_3 Depth=1
	s_or_b32 exec_lo, exec_lo, s1
	s_delay_alu instid0(VALU_DEP_1)
	v_xor_b32_e32 v32, 0x80000000, v32
.LBB103_326:                            ;   in Loop: Header=BB103_3 Depth=1
	s_or_b32 exec_lo, exec_lo, s8
	s_and_saveexec_b32 s1, s102
; %bb.327:                              ;   in Loop: Header=BB103_3 Depth=1
	ds_store_b32 v39, v32
; %bb.328:                              ;   in Loop: Header=BB103_3 Depth=1
	s_or_b32 exec_lo, exec_lo, s1
	s_wait_dscnt 0x0
	s_barrier_signal -1
	s_barrier_wait -1
	s_and_saveexec_b32 s1, s103
	s_cbranch_execz .LBB103_330
; %bb.329:                              ;   in Loop: Header=BB103_3 Depth=1
	ds_load_b32 v33, v37 offset:5200
	ds_load_b32 v70, v39
	s_wait_dscnt 0x0
	v_fmac_f32_e32 v32, v33, v70
.LBB103_330:                            ;   in Loop: Header=BB103_3 Depth=1
	s_or_b32 exec_lo, exec_lo, s1
	s_barrier_signal -1
	s_barrier_wait -1
	s_and_saveexec_b32 s1, s104
; %bb.331:                              ;   in Loop: Header=BB103_3 Depth=1
	ds_store_b32 v39, v32
; %bb.332:                              ;   in Loop: Header=BB103_3 Depth=1
	s_or_b32 exec_lo, exec_lo, s1
	s_wait_dscnt 0x0
	s_barrier_signal -1
	s_barrier_wait -1
	s_and_saveexec_b32 s1, vcc_hi
	s_cbranch_execz .LBB103_334
; %bb.333:                              ;   in Loop: Header=BB103_3 Depth=1
	ds_load_b32 v33, v37 offset:5456
	ds_load_b32 v70, v39
	s_wait_dscnt 0x0
	v_fmac_f32_e32 v32, v33, v70
.LBB103_334:                            ;   in Loop: Header=BB103_3 Depth=1
	s_or_b32 exec_lo, exec_lo, s1
	s_barrier_signal -1
	s_barrier_wait -1
	s_and_saveexec_b32 s1, s31
; %bb.335:                              ;   in Loop: Header=BB103_3 Depth=1
	ds_store_b32 v39, v32
; %bb.336:                              ;   in Loop: Header=BB103_3 Depth=1
	s_or_b32 exec_lo, exec_lo, s1
	s_wait_dscnt 0x0
	s_barrier_signal -1
	s_barrier_wait -1
	s_and_saveexec_b32 s1, s33
	s_cbranch_execz .LBB103_338
; %bb.337:                              ;   in Loop: Header=BB103_3 Depth=1
	ds_load_b32 v33, v5 offset:5724
	ds_load_b32 v70, v39
	s_wait_dscnt 0x0
	v_fmac_f32_e32 v32, v33, v70
.LBB103_338:                            ;   in Loop: Header=BB103_3 Depth=1
	s_or_b32 exec_lo, exec_lo, s1
	s_barrier_signal -1
	s_barrier_wait -1
	s_and_saveexec_b32 s1, s33
; %bb.339:                              ;   in Loop: Header=BB103_3 Depth=1
	ds_store_b32 v39, v32
; %bb.340:                              ;   in Loop: Header=BB103_3 Depth=1
	s_or_b32 exec_lo, exec_lo, s1
	s_wait_dscnt 0x0
	s_barrier_signal -1
	s_barrier_wait -1
	s_barrier_signal -1
	s_barrier_wait -1
	s_and_saveexec_b32 s1, s3
; %bb.341:                              ;   in Loop: Header=BB103_3 Depth=1
	v_xor_b32_e32 v32, 0x80000000, v32
	ds_store_b32 v40, v32 offset:4176
; %bb.342:                              ;   in Loop: Header=BB103_3 Depth=1
	s_or_b32 exec_lo, exec_lo, s1
	s_wait_dscnt 0x0
	s_barrier_signal -1
	s_barrier_wait -1
	s_barrier_signal -1
	s_barrier_wait -1
	s_and_saveexec_b32 s1, s11
; %bb.343:                              ;   in Loop: Header=BB103_3 Depth=1
	v_add_nc_u32_e64 v32, 0x1400, 0
	ds_store_2addr_b32 v32, v65, v65 offset0:20 offset1:85
; %bb.344:                              ;   in Loop: Header=BB103_3 Depth=1
	s_or_b32 exec_lo, exec_lo, s1
	v_mov_b32_e32 v32, 0
	s_wait_dscnt 0x0
	s_barrier_signal -1
	s_barrier_wait -1
	s_and_saveexec_b32 s8, s2
	s_cbranch_execz .LBB103_348
; %bb.345:                              ;   in Loop: Header=BB103_3 Depth=1
	ds_load_b32 v32, v34 offset:5208
	ds_load_b32 v33, v35 offset:5200
	s_wait_dscnt 0x0
	v_fma_f32 v32, v32, v33, 0
	s_and_saveexec_b32 s1, s12
	s_cbranch_execz .LBB103_347
; %bb.346:                              ;   in Loop: Header=BB103_3 Depth=1
	ds_load_b32 v33, v38 offset:5464
	ds_load_b32 v70, v5 offset:5204
	s_wait_dscnt 0x0
	v_fmac_f32_e32 v32, v33, v70
.LBB103_347:                            ;   in Loop: Header=BB103_3 Depth=1
	s_or_b32 exec_lo, exec_lo, s1
	s_delay_alu instid0(VALU_DEP_1)
	v_xor_b32_e32 v32, 0x80000000, v32
.LBB103_348:                            ;   in Loop: Header=BB103_3 Depth=1
	s_or_b32 exec_lo, exec_lo, s8
	s_and_saveexec_b32 s1, s100
; %bb.349:                              ;   in Loop: Header=BB103_3 Depth=1
	ds_store_b32 v9, v32
; %bb.350:                              ;   in Loop: Header=BB103_3 Depth=1
	s_or_b32 exec_lo, exec_lo, s1
	s_wait_dscnt 0x0
	s_barrier_signal -1
	s_barrier_wait -1
	s_and_saveexec_b32 s1, s101
	s_cbranch_execz .LBB103_352
; %bb.351:                              ;   in Loop: Header=BB103_3 Depth=1
	ds_load_b32 v33, v5 offset:5724
	ds_load_b32 v70, v9
	s_wait_dscnt 0x0
	v_fmac_f32_e32 v32, v33, v70
.LBB103_352:                            ;   in Loop: Header=BB103_3 Depth=1
	s_or_b32 exec_lo, exec_lo, s1
	s_barrier_signal -1
	s_barrier_wait -1
	s_and_saveexec_b32 s1, s101
; %bb.353:                              ;   in Loop: Header=BB103_3 Depth=1
	ds_store_b32 v9, v32
; %bb.354:                              ;   in Loop: Header=BB103_3 Depth=1
	s_or_b32 exec_lo, exec_lo, s1
	s_wait_dscnt 0x0
	s_barrier_signal -1
	s_barrier_wait -1
	s_barrier_signal -1
	s_barrier_wait -1
	s_and_saveexec_b32 s1, s2
; %bb.355:                              ;   in Loop: Header=BB103_3 Depth=1
	v_xor_b32_e32 v32, 0x80000000, v32
	ds_store_b32 v34, v32 offset:5208
; %bb.356:                              ;   in Loop: Header=BB103_3 Depth=1
	s_or_b32 exec_lo, exec_lo, s1
	s_wait_dscnt 0x0
	s_barrier_signal -1
	s_barrier_wait -1
	s_barrier_signal -1
	s_barrier_wait -1
	s_and_saveexec_b32 s1, s11
; %bb.357:                              ;   in Loop: Header=BB103_3 Depth=1
	v_add_nc_u32_e64 v32, 0x1400, 0
	ds_store_2addr_b32 v32, v65, v65 offset0:150 offset1:215
; %bb.358:                              ;   in Loop: Header=BB103_3 Depth=1
	s_or_b32 exec_lo, exec_lo, s1
	v_mov_b32_e32 v32, 0
	s_wait_dscnt 0x0
	s_barrier_signal -1
	s_barrier_wait -1
	s_and_saveexec_b32 s8, s4
	s_cbranch_execz .LBB103_368
; %bb.359:                              ;   in Loop: Header=BB103_3 Depth=1
	ds_load_b32 v32, v46 offset:4192
	ds_load_b32 v33, v41 offset:4160
	s_wait_dscnt 0x0
	v_fma_f32 v32, v32, v33, 0
	s_and_saveexec_b32 s1, s15
	s_cbranch_execnz .LBB103_1129
; %bb.360:                              ;   in Loop: Header=BB103_3 Depth=1
	s_or_b32 exec_lo, exec_lo, s1
	s_and_saveexec_b32 s1, s16
	s_cbranch_execnz .LBB103_1130
.LBB103_361:                            ;   in Loop: Header=BB103_3 Depth=1
	s_or_b32 exec_lo, exec_lo, s1
	s_and_saveexec_b32 s1, s17
	s_cbranch_execnz .LBB103_1131
.LBB103_362:                            ;   in Loop: Header=BB103_3 Depth=1
	s_or_b32 exec_lo, exec_lo, s1
	s_and_saveexec_b32 s1, s18
	s_cbranch_execnz .LBB103_1132
.LBB103_363:                            ;   in Loop: Header=BB103_3 Depth=1
	s_or_b32 exec_lo, exec_lo, s1
	s_and_saveexec_b32 s1, s19
	s_cbranch_execnz .LBB103_1133
.LBB103_364:                            ;   in Loop: Header=BB103_3 Depth=1
	s_or_b32 exec_lo, exec_lo, s1
	s_and_saveexec_b32 s1, s3
	s_cbranch_execnz .LBB103_1134
.LBB103_365:                            ;   in Loop: Header=BB103_3 Depth=1
	s_or_b32 exec_lo, exec_lo, s1
	s_and_saveexec_b32 s1, s14
	s_cbranch_execz .LBB103_367
.LBB103_366:                            ;   in Loop: Header=BB103_3 Depth=1
	ds_load_b32 v33, v38 offset:5984
	ds_load_b32 v70, v5 offset:4188
	s_wait_dscnt 0x0
	v_fmac_f32_e32 v32, v33, v70
.LBB103_367:                            ;   in Loop: Header=BB103_3 Depth=1
	s_or_b32 exec_lo, exec_lo, s1
	s_delay_alu instid0(VALU_DEP_1)
	v_xor_b32_e32 v32, 0x80000000, v32
.LBB103_368:                            ;   in Loop: Header=BB103_3 Depth=1
	s_or_b32 exec_lo, exec_lo, s8
	s_and_saveexec_b32 s1, s34
; %bb.369:                              ;   in Loop: Header=BB103_3 Depth=1
	ds_store_b32 v43, v32
; %bb.370:                              ;   in Loop: Header=BB103_3 Depth=1
	s_or_b32 exec_lo, exec_lo, s1
	s_wait_dscnt 0x0
	s_barrier_signal -1
	s_barrier_wait -1
	s_and_saveexec_b32 s1, s35
	s_cbranch_execz .LBB103_372
; %bb.371:                              ;   in Loop: Header=BB103_3 Depth=1
	ds_load_b32 v33, v44 offset:6240
	ds_load_b32 v70, v43
	s_wait_dscnt 0x0
	v_fmac_f32_e32 v32, v33, v70
.LBB103_372:                            ;   in Loop: Header=BB103_3 Depth=1
	s_or_b32 exec_lo, exec_lo, s1
	s_barrier_signal -1
	s_barrier_wait -1
	s_and_saveexec_b32 s1, s36
; %bb.373:                              ;   in Loop: Header=BB103_3 Depth=1
	ds_store_b32 v43, v32
; %bb.374:                              ;   in Loop: Header=BB103_3 Depth=1
	s_or_b32 exec_lo, exec_lo, s1
	s_wait_dscnt 0x0
	s_barrier_signal -1
	s_barrier_wait -1
	s_and_saveexec_b32 s1, s37
	s_cbranch_execz .LBB103_376
; %bb.375:                              ;   in Loop: Header=BB103_3 Depth=1
	ds_load_b32 v33, v44 offset:6496
	ds_load_b32 v70, v43
	s_wait_dscnt 0x0
	v_fmac_f32_e32 v32, v33, v70
.LBB103_376:                            ;   in Loop: Header=BB103_3 Depth=1
	s_or_b32 exec_lo, exec_lo, s1
	s_barrier_signal -1
	s_barrier_wait -1
	;; [unrolled: 19-line block ×7, first 2 shown]
	s_and_saveexec_b32 s1, s47
; %bb.397:                              ;   in Loop: Header=BB103_3 Depth=1
	ds_store_b32 v43, v32
; %bb.398:                              ;   in Loop: Header=BB103_3 Depth=1
	s_or_b32 exec_lo, exec_lo, s1
	s_wait_dscnt 0x0
	s_barrier_signal -1
	s_barrier_wait -1
	s_barrier_signal -1
	s_barrier_wait -1
	s_and_saveexec_b32 s1, s4
; %bb.399:                              ;   in Loop: Header=BB103_3 Depth=1
	v_xor_b32_e32 v32, 0x80000000, v32
	ds_store_b32 v46, v32 offset:4192
; %bb.400:                              ;   in Loop: Header=BB103_3 Depth=1
	s_or_b32 exec_lo, exec_lo, s1
	s_wait_dscnt 0x0
	s_barrier_signal -1
	s_barrier_wait -1
	s_barrier_signal -1
	s_barrier_wait -1
	s_and_saveexec_b32 s1, s11
; %bb.401:                              ;   in Loop: Header=BB103_3 Depth=1
	v_add_nc_u32_e64 v32, 0x1800, 0
	ds_store_2addr_b32 v32, v65, v65 offset0:24 offset1:89
; %bb.402:                              ;   in Loop: Header=BB103_3 Depth=1
	s_or_b32 exec_lo, exec_lo, s1
	v_mov_b32_e32 v32, 0
	s_wait_dscnt 0x0
	s_barrier_signal -1
	s_barrier_wait -1
	s_and_saveexec_b32 s8, s2
	s_cbranch_execz .LBB103_406
; %bb.403:                              ;   in Loop: Header=BB103_3 Depth=1
	ds_load_b32 v32, v34 offset:6248
	ds_load_b32 v33, v35 offset:6240
	s_wait_dscnt 0x0
	v_fma_f32 v32, v32, v33, 0
	s_and_saveexec_b32 s1, s12
	s_cbranch_execz .LBB103_405
; %bb.404:                              ;   in Loop: Header=BB103_3 Depth=1
	ds_load_b32 v33, v38 offset:6504
	ds_load_b32 v70, v5 offset:6244
	s_wait_dscnt 0x0
	v_fmac_f32_e32 v32, v33, v70
.LBB103_405:                            ;   in Loop: Header=BB103_3 Depth=1
	s_or_b32 exec_lo, exec_lo, s1
	s_delay_alu instid0(VALU_DEP_1)
	v_xor_b32_e32 v32, 0x80000000, v32
.LBB103_406:                            ;   in Loop: Header=BB103_3 Depth=1
	s_or_b32 exec_lo, exec_lo, s8
	s_and_saveexec_b32 s1, s100
; %bb.407:                              ;   in Loop: Header=BB103_3 Depth=1
	ds_store_b32 v9, v32
; %bb.408:                              ;   in Loop: Header=BB103_3 Depth=1
	s_or_b32 exec_lo, exec_lo, s1
	s_wait_dscnt 0x0
	s_barrier_signal -1
	s_barrier_wait -1
	s_and_saveexec_b32 s1, s101
	s_cbranch_execz .LBB103_410
; %bb.409:                              ;   in Loop: Header=BB103_3 Depth=1
	ds_load_b32 v33, v5 offset:6764
	ds_load_b32 v70, v9
	s_wait_dscnt 0x0
	v_fmac_f32_e32 v32, v33, v70
.LBB103_410:                            ;   in Loop: Header=BB103_3 Depth=1
	s_or_b32 exec_lo, exec_lo, s1
	s_barrier_signal -1
	s_barrier_wait -1
	s_and_saveexec_b32 s1, s101
; %bb.411:                              ;   in Loop: Header=BB103_3 Depth=1
	ds_store_b32 v9, v32
; %bb.412:                              ;   in Loop: Header=BB103_3 Depth=1
	s_or_b32 exec_lo, exec_lo, s1
	s_wait_dscnt 0x0
	s_barrier_signal -1
	s_barrier_wait -1
	s_barrier_signal -1
	s_barrier_wait -1
	s_and_saveexec_b32 s1, s2
; %bb.413:                              ;   in Loop: Header=BB103_3 Depth=1
	v_xor_b32_e32 v32, 0x80000000, v32
	ds_store_b32 v34, v32 offset:6248
; %bb.414:                              ;   in Loop: Header=BB103_3 Depth=1
	s_or_b32 exec_lo, exec_lo, s1
	s_wait_dscnt 0x0
	s_barrier_signal -1
	s_barrier_wait -1
	s_barrier_signal -1
	s_barrier_wait -1
	s_and_saveexec_b32 s1, s11
; %bb.415:                              ;   in Loop: Header=BB103_3 Depth=1
	v_add_nc_u32_e64 v32, 0x1800, 0
	ds_store_2addr_b32 v32, v65, v65 offset0:154 offset1:219
; %bb.416:                              ;   in Loop: Header=BB103_3 Depth=1
	s_or_b32 exec_lo, exec_lo, s1
	v_mov_b32_e32 v32, 0
	s_wait_dscnt 0x0
	s_barrier_signal -1
	s_barrier_wait -1
	s_and_saveexec_b32 s8, s3
	s_cbranch_execz .LBB103_422
; %bb.417:                              ;   in Loop: Header=BB103_3 Depth=1
	ds_load_b32 v32, v40 offset:6256
	ds_load_b32 v33, v36 offset:6240
	s_wait_dscnt 0x0
	v_fma_f32 v32, v32, v33, 0
	s_and_saveexec_b32 s1, s13
	s_cbranch_execnz .LBB103_1135
; %bb.418:                              ;   in Loop: Header=BB103_3 Depth=1
	s_or_b32 exec_lo, exec_lo, s1
	s_and_saveexec_b32 s1, s14
	s_cbranch_execnz .LBB103_1136
.LBB103_419:                            ;   in Loop: Header=BB103_3 Depth=1
	s_or_b32 exec_lo, exec_lo, s1
	s_and_saveexec_b32 s1, s2
	s_cbranch_execz .LBB103_421
.LBB103_420:                            ;   in Loop: Header=BB103_3 Depth=1
	ds_load_b32 v33, v38 offset:7024
	ds_load_b32 v70, v5 offset:6252
	s_wait_dscnt 0x0
	v_fmac_f32_e32 v32, v33, v70
.LBB103_421:                            ;   in Loop: Header=BB103_3 Depth=1
	s_or_b32 exec_lo, exec_lo, s1
	s_delay_alu instid0(VALU_DEP_1)
	v_xor_b32_e32 v32, 0x80000000, v32
.LBB103_422:                            ;   in Loop: Header=BB103_3 Depth=1
	s_or_b32 exec_lo, exec_lo, s8
	s_and_saveexec_b32 s1, s102
; %bb.423:                              ;   in Loop: Header=BB103_3 Depth=1
	ds_store_b32 v39, v32
; %bb.424:                              ;   in Loop: Header=BB103_3 Depth=1
	s_or_b32 exec_lo, exec_lo, s1
	s_wait_dscnt 0x0
	s_barrier_signal -1
	s_barrier_wait -1
	s_and_saveexec_b32 s1, s103
	s_cbranch_execz .LBB103_426
; %bb.425:                              ;   in Loop: Header=BB103_3 Depth=1
	ds_load_b32 v33, v37 offset:7280
	ds_load_b32 v70, v39
	s_wait_dscnt 0x0
	v_fmac_f32_e32 v32, v33, v70
.LBB103_426:                            ;   in Loop: Header=BB103_3 Depth=1
	s_or_b32 exec_lo, exec_lo, s1
	s_barrier_signal -1
	s_barrier_wait -1
	s_and_saveexec_b32 s1, s104
; %bb.427:                              ;   in Loop: Header=BB103_3 Depth=1
	ds_store_b32 v39, v32
; %bb.428:                              ;   in Loop: Header=BB103_3 Depth=1
	s_or_b32 exec_lo, exec_lo, s1
	s_wait_dscnt 0x0
	s_barrier_signal -1
	s_barrier_wait -1
	s_and_saveexec_b32 s1, vcc_hi
	s_cbranch_execz .LBB103_430
; %bb.429:                              ;   in Loop: Header=BB103_3 Depth=1
	ds_load_b32 v33, v37 offset:7536
	ds_load_b32 v70, v39
	s_wait_dscnt 0x0
	v_fmac_f32_e32 v32, v33, v70
.LBB103_430:                            ;   in Loop: Header=BB103_3 Depth=1
	s_or_b32 exec_lo, exec_lo, s1
	s_barrier_signal -1
	s_barrier_wait -1
	s_and_saveexec_b32 s1, s31
; %bb.431:                              ;   in Loop: Header=BB103_3 Depth=1
	ds_store_b32 v39, v32
; %bb.432:                              ;   in Loop: Header=BB103_3 Depth=1
	s_or_b32 exec_lo, exec_lo, s1
	s_wait_dscnt 0x0
	s_barrier_signal -1
	s_barrier_wait -1
	s_and_saveexec_b32 s1, s33
	s_cbranch_execz .LBB103_434
; %bb.433:                              ;   in Loop: Header=BB103_3 Depth=1
	ds_load_b32 v33, v5 offset:7804
	ds_load_b32 v70, v39
	s_wait_dscnt 0x0
	v_fmac_f32_e32 v32, v33, v70
.LBB103_434:                            ;   in Loop: Header=BB103_3 Depth=1
	s_or_b32 exec_lo, exec_lo, s1
	s_barrier_signal -1
	s_barrier_wait -1
	s_and_saveexec_b32 s1, s33
; %bb.435:                              ;   in Loop: Header=BB103_3 Depth=1
	ds_store_b32 v39, v32
; %bb.436:                              ;   in Loop: Header=BB103_3 Depth=1
	s_or_b32 exec_lo, exec_lo, s1
	s_wait_dscnt 0x0
	s_barrier_signal -1
	s_barrier_wait -1
	s_barrier_signal -1
	s_barrier_wait -1
	s_and_saveexec_b32 s1, s3
; %bb.437:                              ;   in Loop: Header=BB103_3 Depth=1
	v_xor_b32_e32 v32, 0x80000000, v32
	ds_store_b32 v40, v32 offset:6256
; %bb.438:                              ;   in Loop: Header=BB103_3 Depth=1
	s_or_b32 exec_lo, exec_lo, s1
	s_wait_dscnt 0x0
	s_barrier_signal -1
	s_barrier_wait -1
	s_barrier_signal -1
	s_barrier_wait -1
	s_and_saveexec_b32 s1, s11
; %bb.439:                              ;   in Loop: Header=BB103_3 Depth=1
	v_add_nc_u32_e64 v32, 0x1c00, 0
	ds_store_2addr_b32 v32, v65, v65 offset0:28 offset1:93
; %bb.440:                              ;   in Loop: Header=BB103_3 Depth=1
	s_or_b32 exec_lo, exec_lo, s1
	v_mov_b32_e32 v32, 0
	s_wait_dscnt 0x0
	s_barrier_signal -1
	s_barrier_wait -1
	s_and_saveexec_b32 s8, s2
	s_cbranch_execz .LBB103_444
; %bb.441:                              ;   in Loop: Header=BB103_3 Depth=1
	ds_load_b32 v32, v34 offset:7288
	ds_load_b32 v33, v35 offset:7280
	s_wait_dscnt 0x0
	v_fma_f32 v32, v32, v33, 0
	s_and_saveexec_b32 s1, s12
	s_cbranch_execz .LBB103_443
; %bb.442:                              ;   in Loop: Header=BB103_3 Depth=1
	ds_load_b32 v33, v38 offset:7544
	ds_load_b32 v70, v5 offset:7284
	s_wait_dscnt 0x0
	v_fmac_f32_e32 v32, v33, v70
.LBB103_443:                            ;   in Loop: Header=BB103_3 Depth=1
	s_or_b32 exec_lo, exec_lo, s1
	s_delay_alu instid0(VALU_DEP_1)
	v_xor_b32_e32 v32, 0x80000000, v32
.LBB103_444:                            ;   in Loop: Header=BB103_3 Depth=1
	s_or_b32 exec_lo, exec_lo, s8
	s_and_saveexec_b32 s1, s100
; %bb.445:                              ;   in Loop: Header=BB103_3 Depth=1
	ds_store_b32 v9, v32
; %bb.446:                              ;   in Loop: Header=BB103_3 Depth=1
	s_or_b32 exec_lo, exec_lo, s1
	s_wait_dscnt 0x0
	s_barrier_signal -1
	s_barrier_wait -1
	s_and_saveexec_b32 s1, s101
	s_cbranch_execz .LBB103_448
; %bb.447:                              ;   in Loop: Header=BB103_3 Depth=1
	ds_load_b32 v33, v5 offset:7804
	ds_load_b32 v70, v9
	s_wait_dscnt 0x0
	v_fmac_f32_e32 v32, v33, v70
.LBB103_448:                            ;   in Loop: Header=BB103_3 Depth=1
	s_or_b32 exec_lo, exec_lo, s1
	s_barrier_signal -1
	s_barrier_wait -1
	s_and_saveexec_b32 s1, s101
; %bb.449:                              ;   in Loop: Header=BB103_3 Depth=1
	ds_store_b32 v9, v32
; %bb.450:                              ;   in Loop: Header=BB103_3 Depth=1
	s_or_b32 exec_lo, exec_lo, s1
	s_wait_dscnt 0x0
	s_barrier_signal -1
	s_barrier_wait -1
	s_barrier_signal -1
	s_barrier_wait -1
	s_and_saveexec_b32 s1, s2
; %bb.451:                              ;   in Loop: Header=BB103_3 Depth=1
	v_xor_b32_e32 v32, 0x80000000, v32
	ds_store_b32 v34, v32 offset:7288
; %bb.452:                              ;   in Loop: Header=BB103_3 Depth=1
	s_or_b32 exec_lo, exec_lo, s1
	s_wait_dscnt 0x0
	s_barrier_signal -1
	s_barrier_wait -1
	s_barrier_signal -1
	s_barrier_wait -1
	s_and_saveexec_b32 s1, s11
; %bb.453:                              ;   in Loop: Header=BB103_3 Depth=1
	v_add_nc_u32_e64 v32, 0x1c00, 0
	ds_store_2addr_b32 v32, v65, v65 offset0:158 offset1:223
; %bb.454:                              ;   in Loop: Header=BB103_3 Depth=1
	s_or_b32 exec_lo, exec_lo, s1
	v_mov_b32_e32 v32, 0
	s_wait_dscnt 0x0
	s_barrier_signal -1
	s_barrier_wait -1
	s_and_saveexec_b32 s65, s6
	s_cbranch_execz .LBB103_516
; %bb.455:                              ;   in Loop: Header=BB103_3 Depth=1
	v_add_nc_u32_e32 v33, v50, v49
	ds_load_b32 v32, v56 offset:128
	ds_load_b32 v70, v33
	s_wait_dscnt 0x0
	v_fma_f32 v32, v32, v70, 0
	s_mov_b32 s1, exec_lo
	v_readlane_b32 s8, v77, 28
	s_and_b32 s8, s1, s8
	s_delay_alu instid0(SALU_CYCLE_1)
	s_mov_b32 exec_lo, s8
	s_cbranch_execz .LBB103_457
; %bb.456:                              ;   in Loop: Header=BB103_3 Depth=1
	ds_load_b32 v70, v56 offset:384
	ds_load_b32 v71, v33 offset:4
	s_wait_dscnt 0x0
	v_fmac_f32_e32 v32, v70, v71
.LBB103_457:                            ;   in Loop: Header=BB103_3 Depth=1
	s_or_b32 exec_lo, exec_lo, s1
	s_delay_alu instid0(SALU_CYCLE_1) | instskip(SKIP_2) | instid1(SALU_CYCLE_1)
	s_mov_b32 s1, exec_lo
	v_readlane_b32 s8, v77, 29
	s_and_b32 s8, s1, s8
	s_mov_b32 exec_lo, s8
	s_cbranch_execz .LBB103_459
; %bb.458:                              ;   in Loop: Header=BB103_3 Depth=1
	ds_load_b32 v70, v56 offset:640
	ds_load_b32 v71, v33 offset:8
	s_wait_dscnt 0x0
	v_fmac_f32_e32 v32, v70, v71
.LBB103_459:                            ;   in Loop: Header=BB103_3 Depth=1
	s_or_b32 exec_lo, exec_lo, s1
	s_delay_alu instid0(SALU_CYCLE_1) | instskip(SKIP_2) | instid1(SALU_CYCLE_1)
	s_mov_b32 s1, exec_lo
	v_readlane_b32 s8, v77, 30
	s_and_b32 s8, s1, s8
	;; [unrolled: 13-line block ×22, first 2 shown]
	s_mov_b32 exec_lo, s8
	s_cbranch_execz .LBB103_501
; %bb.500:                              ;   in Loop: Header=BB103_3 Depth=1
	ds_load_b32 v70, v56 offset:6016
	ds_load_b32 v71, v33 offset:92
	s_wait_dscnt 0x0
	v_fmac_f32_e32 v32, v70, v71
.LBB103_501:                            ;   in Loop: Header=BB103_3 Depth=1
	s_or_b32 exec_lo, exec_lo, s1
	s_and_saveexec_b32 s1, s5
	s_cbranch_execz .LBB103_503
; %bb.502:                              ;   in Loop: Header=BB103_3 Depth=1
	ds_load_b32 v70, v56 offset:6272
	ds_load_b32 v71, v33 offset:96
	s_wait_dscnt 0x0
	v_fmac_f32_e32 v32, v70, v71
.LBB103_503:                            ;   in Loop: Header=BB103_3 Depth=1
	s_or_b32 exec_lo, exec_lo, s1
	s_delay_alu instid0(SALU_CYCLE_1) | instskip(SKIP_2) | instid1(SALU_CYCLE_1)
	s_mov_b32 s1, exec_lo
	v_readlane_b32 s8, v77, 18
	s_and_b32 s8, s1, s8
	s_mov_b32 exec_lo, s8
	s_cbranch_execz .LBB103_505
; %bb.504:                              ;   in Loop: Header=BB103_3 Depth=1
	ds_load_b32 v70, v56 offset:6528
	ds_load_b32 v71, v33 offset:100
	s_wait_dscnt 0x0
	v_fmac_f32_e32 v32, v70, v71
.LBB103_505:                            ;   in Loop: Header=BB103_3 Depth=1
	s_or_b32 exec_lo, exec_lo, s1
	s_delay_alu instid0(SALU_CYCLE_1) | instskip(SKIP_2) | instid1(SALU_CYCLE_1)
	s_mov_b32 s1, exec_lo
	v_readlane_b32 s8, v77, 20
	s_and_b32 s8, s1, s8
	s_mov_b32 exec_lo, s8
	;; [unrolled: 13-line block ×5, first 2 shown]
	s_cbranch_execnz .LBB103_1137
; %bb.512:                              ;   in Loop: Header=BB103_3 Depth=1
	s_or_b32 exec_lo, exec_lo, s1
	s_and_saveexec_b32 s1, s4
	s_cbranch_execnz .LBB103_1138
.LBB103_513:                            ;   in Loop: Header=BB103_3 Depth=1
	s_or_b32 exec_lo, exec_lo, s1
	s_and_saveexec_b32 s1, s18
	s_cbranch_execz .LBB103_515
.LBB103_514:                            ;   in Loop: Header=BB103_3 Depth=1
	ds_load_b32 v33, v38 offset:8064
	ds_load_b32 v70, v5 offset:124
	s_wait_dscnt 0x0
	v_fmac_f32_e32 v32, v33, v70
.LBB103_515:                            ;   in Loop: Header=BB103_3 Depth=1
	s_or_b32 exec_lo, exec_lo, s1
	s_delay_alu instid0(VALU_DEP_1)
	v_xor_b32_e32 v32, 0x80000000, v32
.LBB103_516:                            ;   in Loop: Header=BB103_3 Depth=1
	s_or_b32 exec_lo, exec_lo, s65
	s_delay_alu instid0(SALU_CYCLE_1) | instskip(SKIP_2) | instid1(SALU_CYCLE_1)
	s_mov_b32 s1, exec_lo
	v_readlane_b32 s8, v79, 6
	s_and_b32 s8, s1, s8
	s_mov_b32 exec_lo, s8
; %bb.517:                              ;   in Loop: Header=BB103_3 Depth=1
	ds_store_b32 v55, v32
; %bb.518:                              ;   in Loop: Header=BB103_3 Depth=1
	s_or_b32 exec_lo, exec_lo, s1
	s_wait_dscnt 0x0
	s_barrier_signal -1
	s_barrier_wait -1
	s_mov_b32 s1, exec_lo
	v_readlane_b32 s8, v79, 7
	s_and_b32 s8, s1, s8
	s_delay_alu instid0(SALU_CYCLE_1)
	s_mov_b32 exec_lo, s8
	s_cbranch_execz .LBB103_520
; %bb.519:                              ;   in Loop: Header=BB103_3 Depth=1
	ds_load_b32 v33, v51 offset:8320
	ds_load_b32 v70, v55
	s_wait_dscnt 0x0
	v_fmac_f32_e32 v32, v33, v70
.LBB103_520:                            ;   in Loop: Header=BB103_3 Depth=1
	s_or_b32 exec_lo, exec_lo, s1
	s_barrier_signal -1
	s_barrier_wait -1
	s_mov_b32 s1, exec_lo
	v_readlane_b32 s8, v79, 8
	s_and_b32 s8, s1, s8
	s_delay_alu instid0(SALU_CYCLE_1)
	s_mov_b32 exec_lo, s8
; %bb.521:                              ;   in Loop: Header=BB103_3 Depth=1
	ds_store_b32 v55, v32
; %bb.522:                              ;   in Loop: Header=BB103_3 Depth=1
	s_or_b32 exec_lo, exec_lo, s1
	s_wait_dscnt 0x0
	s_barrier_signal -1
	s_barrier_wait -1
	s_mov_b32 s1, exec_lo
	v_readlane_b32 s8, v79, 9
	s_and_b32 s8, s1, s8
	s_delay_alu instid0(SALU_CYCLE_1)
	s_mov_b32 exec_lo, s8
	s_cbranch_execz .LBB103_524
; %bb.523:                              ;   in Loop: Header=BB103_3 Depth=1
	ds_load_b32 v33, v51 offset:8576
	ds_load_b32 v70, v55
	s_wait_dscnt 0x0
	v_fmac_f32_e32 v32, v33, v70
.LBB103_524:                            ;   in Loop: Header=BB103_3 Depth=1
	s_or_b32 exec_lo, exec_lo, s1
	s_barrier_signal -1
	s_barrier_wait -1
	s_mov_b32 s1, exec_lo
	v_readlane_b32 s8, v79, 10
	s_and_b32 s8, s1, s8
	s_delay_alu instid0(SALU_CYCLE_1)
	;; [unrolled: 27-line block ×30, first 2 shown]
	s_mov_b32 exec_lo, s8
; %bb.637:                              ;   in Loop: Header=BB103_3 Depth=1
	ds_store_b32 v55, v32
; %bb.638:                              ;   in Loop: Header=BB103_3 Depth=1
	s_or_b32 exec_lo, exec_lo, s1
	s_wait_dscnt 0x0
	s_barrier_signal -1
	s_barrier_wait -1
	s_and_saveexec_b32 s1, s9
	s_cbranch_execz .LBB103_640
; %bb.639:                              ;   in Loop: Header=BB103_3 Depth=1
	ds_load_b32 v33, v5 offset:16124
	ds_load_b32 v70, v55
	s_wait_dscnt 0x0
	v_fmac_f32_e32 v32, v33, v70
.LBB103_640:                            ;   in Loop: Header=BB103_3 Depth=1
	s_or_b32 exec_lo, exec_lo, s1
	s_barrier_signal -1
	s_barrier_wait -1
	s_and_saveexec_b32 s1, s9
; %bb.641:                              ;   in Loop: Header=BB103_3 Depth=1
	ds_store_b32 v55, v32
; %bb.642:                              ;   in Loop: Header=BB103_3 Depth=1
	s_or_b32 exec_lo, exec_lo, s1
	s_wait_dscnt 0x0
	s_barrier_signal -1
	s_barrier_wait -1
	s_barrier_signal -1
	s_barrier_wait -1
	s_and_saveexec_b32 s1, s6
; %bb.643:                              ;   in Loop: Header=BB103_3 Depth=1
	v_xor_b32_e32 v32, 0x80000000, v32
	ds_store_b32 v56, v32 offset:128
; %bb.644:                              ;   in Loop: Header=BB103_3 Depth=1
	s_or_b32 exec_lo, exec_lo, s1
	s_wait_dscnt 0x0
	s_barrier_signal -1
	s_barrier_wait -1
	s_barrier_signal -1
	s_barrier_wait -1
	s_and_saveexec_b32 s1, s11
; %bb.645:                              ;   in Loop: Header=BB103_3 Depth=1
	v_add_nc_u32_e64 v32, 0x2000, 0
	ds_store_2addr_b32 v32, v65, v65 offset0:32 offset1:97
; %bb.646:                              ;   in Loop: Header=BB103_3 Depth=1
	s_or_b32 exec_lo, exec_lo, s1
	v_mov_b32_e32 v32, 0
	s_wait_dscnt 0x0
	s_barrier_signal -1
	s_barrier_wait -1
	s_and_saveexec_b32 s8, s2
	s_cbranch_execz .LBB103_650
; %bb.647:                              ;   in Loop: Header=BB103_3 Depth=1
	ds_load_b32 v32, v34 offset:8328
	ds_load_b32 v33, v35 offset:8320
	s_wait_dscnt 0x0
	v_fma_f32 v32, v32, v33, 0
	s_and_saveexec_b32 s1, s12
	s_cbranch_execz .LBB103_649
; %bb.648:                              ;   in Loop: Header=BB103_3 Depth=1
	ds_load_b32 v33, v38 offset:8584
	ds_load_b32 v70, v5 offset:8324
	s_wait_dscnt 0x0
	v_fmac_f32_e32 v32, v33, v70
.LBB103_649:                            ;   in Loop: Header=BB103_3 Depth=1
	s_or_b32 exec_lo, exec_lo, s1
	s_delay_alu instid0(VALU_DEP_1)
	v_xor_b32_e32 v32, 0x80000000, v32
.LBB103_650:                            ;   in Loop: Header=BB103_3 Depth=1
	s_or_b32 exec_lo, exec_lo, s8
	s_and_saveexec_b32 s1, s100
; %bb.651:                              ;   in Loop: Header=BB103_3 Depth=1
	ds_store_b32 v9, v32
; %bb.652:                              ;   in Loop: Header=BB103_3 Depth=1
	s_or_b32 exec_lo, exec_lo, s1
	s_wait_dscnt 0x0
	s_barrier_signal -1
	s_barrier_wait -1
	s_and_saveexec_b32 s1, s101
	s_cbranch_execz .LBB103_654
; %bb.653:                              ;   in Loop: Header=BB103_3 Depth=1
	ds_load_b32 v33, v5 offset:8844
	ds_load_b32 v70, v9
	s_wait_dscnt 0x0
	v_fmac_f32_e32 v32, v33, v70
.LBB103_654:                            ;   in Loop: Header=BB103_3 Depth=1
	s_or_b32 exec_lo, exec_lo, s1
	s_barrier_signal -1
	s_barrier_wait -1
	s_and_saveexec_b32 s1, s101
; %bb.655:                              ;   in Loop: Header=BB103_3 Depth=1
	ds_store_b32 v9, v32
; %bb.656:                              ;   in Loop: Header=BB103_3 Depth=1
	s_or_b32 exec_lo, exec_lo, s1
	s_wait_dscnt 0x0
	s_barrier_signal -1
	s_barrier_wait -1
	s_barrier_signal -1
	s_barrier_wait -1
	s_and_saveexec_b32 s1, s2
; %bb.657:                              ;   in Loop: Header=BB103_3 Depth=1
	v_xor_b32_e32 v32, 0x80000000, v32
	ds_store_b32 v34, v32 offset:8328
; %bb.658:                              ;   in Loop: Header=BB103_3 Depth=1
	s_or_b32 exec_lo, exec_lo, s1
	s_wait_dscnt 0x0
	s_barrier_signal -1
	s_barrier_wait -1
	s_barrier_signal -1
	s_barrier_wait -1
	s_and_saveexec_b32 s1, s11
; %bb.659:                              ;   in Loop: Header=BB103_3 Depth=1
	v_add_nc_u32_e64 v32, 0x2000, 0
	ds_store_2addr_b32 v32, v65, v65 offset0:162 offset1:227
; %bb.660:                              ;   in Loop: Header=BB103_3 Depth=1
	s_or_b32 exec_lo, exec_lo, s1
	v_mov_b32_e32 v32, 0
	s_wait_dscnt 0x0
	s_barrier_signal -1
	s_barrier_wait -1
	s_and_saveexec_b32 s8, s3
	s_cbranch_execz .LBB103_666
; %bb.661:                              ;   in Loop: Header=BB103_3 Depth=1
	ds_load_b32 v32, v40 offset:8336
	ds_load_b32 v33, v36 offset:8320
	s_wait_dscnt 0x0
	v_fma_f32 v32, v32, v33, 0
	s_and_saveexec_b32 s1, s13
	s_cbranch_execnz .LBB103_1139
; %bb.662:                              ;   in Loop: Header=BB103_3 Depth=1
	s_or_b32 exec_lo, exec_lo, s1
	s_and_saveexec_b32 s1, s14
	s_cbranch_execnz .LBB103_1140
.LBB103_663:                            ;   in Loop: Header=BB103_3 Depth=1
	s_or_b32 exec_lo, exec_lo, s1
	s_and_saveexec_b32 s1, s2
	s_cbranch_execz .LBB103_665
.LBB103_664:                            ;   in Loop: Header=BB103_3 Depth=1
	ds_load_b32 v33, v38 offset:9104
	ds_load_b32 v70, v5 offset:8332
	s_wait_dscnt 0x0
	v_fmac_f32_e32 v32, v33, v70
.LBB103_665:                            ;   in Loop: Header=BB103_3 Depth=1
	s_or_b32 exec_lo, exec_lo, s1
	s_delay_alu instid0(VALU_DEP_1)
	v_xor_b32_e32 v32, 0x80000000, v32
.LBB103_666:                            ;   in Loop: Header=BB103_3 Depth=1
	s_or_b32 exec_lo, exec_lo, s8
	s_and_saveexec_b32 s1, s102
; %bb.667:                              ;   in Loop: Header=BB103_3 Depth=1
	ds_store_b32 v39, v32
; %bb.668:                              ;   in Loop: Header=BB103_3 Depth=1
	s_or_b32 exec_lo, exec_lo, s1
	s_wait_dscnt 0x0
	s_barrier_signal -1
	s_barrier_wait -1
	s_and_saveexec_b32 s1, s103
	s_cbranch_execz .LBB103_670
; %bb.669:                              ;   in Loop: Header=BB103_3 Depth=1
	ds_load_b32 v33, v37 offset:9360
	ds_load_b32 v70, v39
	s_wait_dscnt 0x0
	v_fmac_f32_e32 v32, v33, v70
.LBB103_670:                            ;   in Loop: Header=BB103_3 Depth=1
	s_or_b32 exec_lo, exec_lo, s1
	s_barrier_signal -1
	s_barrier_wait -1
	s_and_saveexec_b32 s1, s104
; %bb.671:                              ;   in Loop: Header=BB103_3 Depth=1
	ds_store_b32 v39, v32
; %bb.672:                              ;   in Loop: Header=BB103_3 Depth=1
	s_or_b32 exec_lo, exec_lo, s1
	s_wait_dscnt 0x0
	s_barrier_signal -1
	s_barrier_wait -1
	s_and_saveexec_b32 s1, vcc_hi
	s_cbranch_execz .LBB103_674
; %bb.673:                              ;   in Loop: Header=BB103_3 Depth=1
	ds_load_b32 v33, v37 offset:9616
	ds_load_b32 v70, v39
	s_wait_dscnt 0x0
	v_fmac_f32_e32 v32, v33, v70
.LBB103_674:                            ;   in Loop: Header=BB103_3 Depth=1
	s_or_b32 exec_lo, exec_lo, s1
	s_barrier_signal -1
	s_barrier_wait -1
	s_and_saveexec_b32 s1, s31
; %bb.675:                              ;   in Loop: Header=BB103_3 Depth=1
	ds_store_b32 v39, v32
; %bb.676:                              ;   in Loop: Header=BB103_3 Depth=1
	s_or_b32 exec_lo, exec_lo, s1
	s_wait_dscnt 0x0
	s_barrier_signal -1
	s_barrier_wait -1
	s_and_saveexec_b32 s1, s33
	s_cbranch_execz .LBB103_678
; %bb.677:                              ;   in Loop: Header=BB103_3 Depth=1
	ds_load_b32 v33, v5 offset:9884
	ds_load_b32 v70, v39
	s_wait_dscnt 0x0
	v_fmac_f32_e32 v32, v33, v70
.LBB103_678:                            ;   in Loop: Header=BB103_3 Depth=1
	s_or_b32 exec_lo, exec_lo, s1
	s_barrier_signal -1
	s_barrier_wait -1
	s_and_saveexec_b32 s1, s33
; %bb.679:                              ;   in Loop: Header=BB103_3 Depth=1
	ds_store_b32 v39, v32
; %bb.680:                              ;   in Loop: Header=BB103_3 Depth=1
	s_or_b32 exec_lo, exec_lo, s1
	s_wait_dscnt 0x0
	s_barrier_signal -1
	s_barrier_wait -1
	s_barrier_signal -1
	s_barrier_wait -1
	s_and_saveexec_b32 s1, s3
; %bb.681:                              ;   in Loop: Header=BB103_3 Depth=1
	v_xor_b32_e32 v32, 0x80000000, v32
	ds_store_b32 v40, v32 offset:8336
; %bb.682:                              ;   in Loop: Header=BB103_3 Depth=1
	s_or_b32 exec_lo, exec_lo, s1
	s_wait_dscnt 0x0
	s_barrier_signal -1
	s_barrier_wait -1
	s_barrier_signal -1
	s_barrier_wait -1
	s_and_saveexec_b32 s1, s11
; %bb.683:                              ;   in Loop: Header=BB103_3 Depth=1
	v_add_nc_u32_e64 v32, 0x2400, 0
	ds_store_2addr_b32 v32, v65, v65 offset0:36 offset1:101
; %bb.684:                              ;   in Loop: Header=BB103_3 Depth=1
	s_or_b32 exec_lo, exec_lo, s1
	v_mov_b32_e32 v32, 0
	s_wait_dscnt 0x0
	s_barrier_signal -1
	s_barrier_wait -1
	s_and_saveexec_b32 s8, s2
	s_cbranch_execz .LBB103_688
; %bb.685:                              ;   in Loop: Header=BB103_3 Depth=1
	ds_load_b32 v32, v34 offset:9368
	ds_load_b32 v33, v35 offset:9360
	s_wait_dscnt 0x0
	v_fma_f32 v32, v32, v33, 0
	s_and_saveexec_b32 s1, s12
	s_cbranch_execz .LBB103_687
; %bb.686:                              ;   in Loop: Header=BB103_3 Depth=1
	ds_load_b32 v33, v38 offset:9624
	ds_load_b32 v70, v5 offset:9364
	s_wait_dscnt 0x0
	v_fmac_f32_e32 v32, v33, v70
.LBB103_687:                            ;   in Loop: Header=BB103_3 Depth=1
	s_or_b32 exec_lo, exec_lo, s1
	s_delay_alu instid0(VALU_DEP_1)
	v_xor_b32_e32 v32, 0x80000000, v32
.LBB103_688:                            ;   in Loop: Header=BB103_3 Depth=1
	s_or_b32 exec_lo, exec_lo, s8
	s_and_saveexec_b32 s1, s100
; %bb.689:                              ;   in Loop: Header=BB103_3 Depth=1
	ds_store_b32 v9, v32
; %bb.690:                              ;   in Loop: Header=BB103_3 Depth=1
	s_or_b32 exec_lo, exec_lo, s1
	s_wait_dscnt 0x0
	s_barrier_signal -1
	s_barrier_wait -1
	s_and_saveexec_b32 s1, s101
	s_cbranch_execz .LBB103_692
; %bb.691:                              ;   in Loop: Header=BB103_3 Depth=1
	ds_load_b32 v33, v5 offset:9884
	ds_load_b32 v70, v9
	s_wait_dscnt 0x0
	v_fmac_f32_e32 v32, v33, v70
.LBB103_692:                            ;   in Loop: Header=BB103_3 Depth=1
	s_or_b32 exec_lo, exec_lo, s1
	s_barrier_signal -1
	s_barrier_wait -1
	s_and_saveexec_b32 s1, s101
; %bb.693:                              ;   in Loop: Header=BB103_3 Depth=1
	ds_store_b32 v9, v32
; %bb.694:                              ;   in Loop: Header=BB103_3 Depth=1
	s_or_b32 exec_lo, exec_lo, s1
	s_wait_dscnt 0x0
	s_barrier_signal -1
	s_barrier_wait -1
	s_barrier_signal -1
	s_barrier_wait -1
	s_and_saveexec_b32 s1, s2
; %bb.695:                              ;   in Loop: Header=BB103_3 Depth=1
	v_xor_b32_e32 v32, 0x80000000, v32
	ds_store_b32 v34, v32 offset:9368
; %bb.696:                              ;   in Loop: Header=BB103_3 Depth=1
	s_or_b32 exec_lo, exec_lo, s1
	s_wait_dscnt 0x0
	s_barrier_signal -1
	s_barrier_wait -1
	s_barrier_signal -1
	s_barrier_wait -1
	s_and_saveexec_b32 s1, s11
; %bb.697:                              ;   in Loop: Header=BB103_3 Depth=1
	v_add_nc_u32_e64 v32, 0x2400, 0
	ds_store_2addr_b32 v32, v65, v65 offset0:166 offset1:231
; %bb.698:                              ;   in Loop: Header=BB103_3 Depth=1
	s_or_b32 exec_lo, exec_lo, s1
	v_mov_b32_e32 v32, 0
	s_wait_dscnt 0x0
	s_barrier_signal -1
	s_barrier_wait -1
	s_and_saveexec_b32 s8, s4
	s_cbranch_execz .LBB103_708
; %bb.699:                              ;   in Loop: Header=BB103_3 Depth=1
	ds_load_b32 v32, v46 offset:8352
	ds_load_b32 v33, v41 offset:8320
	s_wait_dscnt 0x0
	v_fma_f32 v32, v32, v33, 0
	s_and_saveexec_b32 s1, s15
	s_cbranch_execnz .LBB103_1141
; %bb.700:                              ;   in Loop: Header=BB103_3 Depth=1
	s_or_b32 exec_lo, exec_lo, s1
	s_and_saveexec_b32 s1, s16
	s_cbranch_execnz .LBB103_1142
.LBB103_701:                            ;   in Loop: Header=BB103_3 Depth=1
	s_or_b32 exec_lo, exec_lo, s1
	s_and_saveexec_b32 s1, s17
	s_cbranch_execnz .LBB103_1143
.LBB103_702:                            ;   in Loop: Header=BB103_3 Depth=1
	s_or_b32 exec_lo, exec_lo, s1
	s_and_saveexec_b32 s1, s18
	s_cbranch_execnz .LBB103_1144
.LBB103_703:                            ;   in Loop: Header=BB103_3 Depth=1
	s_or_b32 exec_lo, exec_lo, s1
	s_and_saveexec_b32 s1, s19
	s_cbranch_execnz .LBB103_1145
.LBB103_704:                            ;   in Loop: Header=BB103_3 Depth=1
	s_or_b32 exec_lo, exec_lo, s1
	s_and_saveexec_b32 s1, s3
	s_cbranch_execnz .LBB103_1146
.LBB103_705:                            ;   in Loop: Header=BB103_3 Depth=1
	s_or_b32 exec_lo, exec_lo, s1
	s_and_saveexec_b32 s1, s14
	s_cbranch_execz .LBB103_707
.LBB103_706:                            ;   in Loop: Header=BB103_3 Depth=1
	ds_load_b32 v33, v38 offset:10144
	ds_load_b32 v70, v5 offset:8348
	s_wait_dscnt 0x0
	v_fmac_f32_e32 v32, v33, v70
.LBB103_707:                            ;   in Loop: Header=BB103_3 Depth=1
	s_or_b32 exec_lo, exec_lo, s1
	s_delay_alu instid0(VALU_DEP_1)
	v_xor_b32_e32 v32, 0x80000000, v32
.LBB103_708:                            ;   in Loop: Header=BB103_3 Depth=1
	s_or_b32 exec_lo, exec_lo, s8
	s_and_saveexec_b32 s1, s34
; %bb.709:                              ;   in Loop: Header=BB103_3 Depth=1
	ds_store_b32 v43, v32
; %bb.710:                              ;   in Loop: Header=BB103_3 Depth=1
	s_or_b32 exec_lo, exec_lo, s1
	s_wait_dscnt 0x0
	s_barrier_signal -1
	s_barrier_wait -1
	s_and_saveexec_b32 s1, s35
	s_cbranch_execz .LBB103_712
; %bb.711:                              ;   in Loop: Header=BB103_3 Depth=1
	ds_load_b32 v33, v44 offset:10400
	ds_load_b32 v70, v43
	s_wait_dscnt 0x0
	v_fmac_f32_e32 v32, v33, v70
.LBB103_712:                            ;   in Loop: Header=BB103_3 Depth=1
	s_or_b32 exec_lo, exec_lo, s1
	s_barrier_signal -1
	s_barrier_wait -1
	s_and_saveexec_b32 s1, s36
; %bb.713:                              ;   in Loop: Header=BB103_3 Depth=1
	ds_store_b32 v43, v32
; %bb.714:                              ;   in Loop: Header=BB103_3 Depth=1
	s_or_b32 exec_lo, exec_lo, s1
	s_wait_dscnt 0x0
	s_barrier_signal -1
	s_barrier_wait -1
	s_and_saveexec_b32 s1, s37
	s_cbranch_execz .LBB103_716
; %bb.715:                              ;   in Loop: Header=BB103_3 Depth=1
	ds_load_b32 v33, v44 offset:10656
	ds_load_b32 v70, v43
	s_wait_dscnt 0x0
	v_fmac_f32_e32 v32, v33, v70
.LBB103_716:                            ;   in Loop: Header=BB103_3 Depth=1
	s_or_b32 exec_lo, exec_lo, s1
	s_barrier_signal -1
	s_barrier_wait -1
	;; [unrolled: 19-line block ×7, first 2 shown]
	s_and_saveexec_b32 s1, s47
; %bb.737:                              ;   in Loop: Header=BB103_3 Depth=1
	ds_store_b32 v43, v32
; %bb.738:                              ;   in Loop: Header=BB103_3 Depth=1
	s_or_b32 exec_lo, exec_lo, s1
	s_wait_dscnt 0x0
	s_barrier_signal -1
	s_barrier_wait -1
	s_barrier_signal -1
	s_barrier_wait -1
	s_and_saveexec_b32 s1, s4
; %bb.739:                              ;   in Loop: Header=BB103_3 Depth=1
	v_xor_b32_e32 v32, 0x80000000, v32
	ds_store_b32 v46, v32 offset:8352
; %bb.740:                              ;   in Loop: Header=BB103_3 Depth=1
	s_or_b32 exec_lo, exec_lo, s1
	s_wait_dscnt 0x0
	s_barrier_signal -1
	s_barrier_wait -1
	s_barrier_signal -1
	s_barrier_wait -1
	s_and_saveexec_b32 s1, s11
; %bb.741:                              ;   in Loop: Header=BB103_3 Depth=1
	v_add_nc_u32_e64 v32, 0x2800, 0
	ds_store_2addr_b32 v32, v65, v65 offset0:40 offset1:105
; %bb.742:                              ;   in Loop: Header=BB103_3 Depth=1
	s_or_b32 exec_lo, exec_lo, s1
	v_mov_b32_e32 v32, 0
	s_wait_dscnt 0x0
	s_barrier_signal -1
	s_barrier_wait -1
	s_and_saveexec_b32 s8, s2
	s_cbranch_execz .LBB103_746
; %bb.743:                              ;   in Loop: Header=BB103_3 Depth=1
	ds_load_b32 v32, v34 offset:10408
	ds_load_b32 v33, v35 offset:10400
	s_wait_dscnt 0x0
	v_fma_f32 v32, v32, v33, 0
	s_and_saveexec_b32 s1, s12
	s_cbranch_execz .LBB103_745
; %bb.744:                              ;   in Loop: Header=BB103_3 Depth=1
	ds_load_b32 v33, v38 offset:10664
	ds_load_b32 v70, v5 offset:10404
	s_wait_dscnt 0x0
	v_fmac_f32_e32 v32, v33, v70
.LBB103_745:                            ;   in Loop: Header=BB103_3 Depth=1
	s_or_b32 exec_lo, exec_lo, s1
	s_delay_alu instid0(VALU_DEP_1)
	v_xor_b32_e32 v32, 0x80000000, v32
.LBB103_746:                            ;   in Loop: Header=BB103_3 Depth=1
	s_or_b32 exec_lo, exec_lo, s8
	s_and_saveexec_b32 s1, s100
; %bb.747:                              ;   in Loop: Header=BB103_3 Depth=1
	ds_store_b32 v9, v32
; %bb.748:                              ;   in Loop: Header=BB103_3 Depth=1
	s_or_b32 exec_lo, exec_lo, s1
	s_wait_dscnt 0x0
	s_barrier_signal -1
	s_barrier_wait -1
	s_and_saveexec_b32 s1, s101
	s_cbranch_execz .LBB103_750
; %bb.749:                              ;   in Loop: Header=BB103_3 Depth=1
	ds_load_b32 v33, v5 offset:10924
	ds_load_b32 v70, v9
	s_wait_dscnt 0x0
	v_fmac_f32_e32 v32, v33, v70
.LBB103_750:                            ;   in Loop: Header=BB103_3 Depth=1
	s_or_b32 exec_lo, exec_lo, s1
	s_barrier_signal -1
	s_barrier_wait -1
	s_and_saveexec_b32 s1, s101
; %bb.751:                              ;   in Loop: Header=BB103_3 Depth=1
	ds_store_b32 v9, v32
; %bb.752:                              ;   in Loop: Header=BB103_3 Depth=1
	s_or_b32 exec_lo, exec_lo, s1
	s_wait_dscnt 0x0
	s_barrier_signal -1
	s_barrier_wait -1
	s_barrier_signal -1
	s_barrier_wait -1
	s_and_saveexec_b32 s1, s2
; %bb.753:                              ;   in Loop: Header=BB103_3 Depth=1
	v_xor_b32_e32 v32, 0x80000000, v32
	ds_store_b32 v34, v32 offset:10408
; %bb.754:                              ;   in Loop: Header=BB103_3 Depth=1
	s_or_b32 exec_lo, exec_lo, s1
	s_wait_dscnt 0x0
	s_barrier_signal -1
	s_barrier_wait -1
	s_barrier_signal -1
	s_barrier_wait -1
	s_and_saveexec_b32 s1, s11
; %bb.755:                              ;   in Loop: Header=BB103_3 Depth=1
	v_add_nc_u32_e64 v32, 0x2800, 0
	ds_store_2addr_b32 v32, v65, v65 offset0:170 offset1:235
; %bb.756:                              ;   in Loop: Header=BB103_3 Depth=1
	s_or_b32 exec_lo, exec_lo, s1
	v_mov_b32_e32 v32, 0
	s_wait_dscnt 0x0
	s_barrier_signal -1
	s_barrier_wait -1
	s_and_saveexec_b32 s8, s3
	s_cbranch_execz .LBB103_762
; %bb.757:                              ;   in Loop: Header=BB103_3 Depth=1
	ds_load_b32 v32, v40 offset:10416
	ds_load_b32 v33, v36 offset:10400
	s_wait_dscnt 0x0
	v_fma_f32 v32, v32, v33, 0
	s_and_saveexec_b32 s1, s13
	s_cbranch_execnz .LBB103_1147
; %bb.758:                              ;   in Loop: Header=BB103_3 Depth=1
	s_or_b32 exec_lo, exec_lo, s1
	s_and_saveexec_b32 s1, s14
	s_cbranch_execnz .LBB103_1148
.LBB103_759:                            ;   in Loop: Header=BB103_3 Depth=1
	s_or_b32 exec_lo, exec_lo, s1
	s_and_saveexec_b32 s1, s2
	s_cbranch_execz .LBB103_761
.LBB103_760:                            ;   in Loop: Header=BB103_3 Depth=1
	ds_load_b32 v33, v38 offset:11184
	ds_load_b32 v70, v5 offset:10412
	s_wait_dscnt 0x0
	v_fmac_f32_e32 v32, v33, v70
.LBB103_761:                            ;   in Loop: Header=BB103_3 Depth=1
	s_or_b32 exec_lo, exec_lo, s1
	s_delay_alu instid0(VALU_DEP_1)
	v_xor_b32_e32 v32, 0x80000000, v32
.LBB103_762:                            ;   in Loop: Header=BB103_3 Depth=1
	s_or_b32 exec_lo, exec_lo, s8
	s_and_saveexec_b32 s1, s102
; %bb.763:                              ;   in Loop: Header=BB103_3 Depth=1
	ds_store_b32 v39, v32
; %bb.764:                              ;   in Loop: Header=BB103_3 Depth=1
	s_or_b32 exec_lo, exec_lo, s1
	s_wait_dscnt 0x0
	s_barrier_signal -1
	s_barrier_wait -1
	s_and_saveexec_b32 s1, s103
	s_cbranch_execz .LBB103_766
; %bb.765:                              ;   in Loop: Header=BB103_3 Depth=1
	ds_load_b32 v33, v37 offset:11440
	ds_load_b32 v70, v39
	s_wait_dscnt 0x0
	v_fmac_f32_e32 v32, v33, v70
.LBB103_766:                            ;   in Loop: Header=BB103_3 Depth=1
	s_or_b32 exec_lo, exec_lo, s1
	s_barrier_signal -1
	s_barrier_wait -1
	s_and_saveexec_b32 s1, s104
; %bb.767:                              ;   in Loop: Header=BB103_3 Depth=1
	ds_store_b32 v39, v32
; %bb.768:                              ;   in Loop: Header=BB103_3 Depth=1
	s_or_b32 exec_lo, exec_lo, s1
	s_wait_dscnt 0x0
	s_barrier_signal -1
	s_barrier_wait -1
	s_and_saveexec_b32 s1, vcc_hi
	s_cbranch_execz .LBB103_770
; %bb.769:                              ;   in Loop: Header=BB103_3 Depth=1
	ds_load_b32 v33, v37 offset:11696
	ds_load_b32 v70, v39
	s_wait_dscnt 0x0
	v_fmac_f32_e32 v32, v33, v70
.LBB103_770:                            ;   in Loop: Header=BB103_3 Depth=1
	s_or_b32 exec_lo, exec_lo, s1
	s_barrier_signal -1
	s_barrier_wait -1
	s_and_saveexec_b32 s1, s31
; %bb.771:                              ;   in Loop: Header=BB103_3 Depth=1
	ds_store_b32 v39, v32
; %bb.772:                              ;   in Loop: Header=BB103_3 Depth=1
	s_or_b32 exec_lo, exec_lo, s1
	s_wait_dscnt 0x0
	s_barrier_signal -1
	s_barrier_wait -1
	s_and_saveexec_b32 s1, s33
	s_cbranch_execz .LBB103_774
; %bb.773:                              ;   in Loop: Header=BB103_3 Depth=1
	ds_load_b32 v33, v5 offset:11964
	ds_load_b32 v70, v39
	s_wait_dscnt 0x0
	v_fmac_f32_e32 v32, v33, v70
.LBB103_774:                            ;   in Loop: Header=BB103_3 Depth=1
	s_or_b32 exec_lo, exec_lo, s1
	s_barrier_signal -1
	s_barrier_wait -1
	s_and_saveexec_b32 s1, s33
; %bb.775:                              ;   in Loop: Header=BB103_3 Depth=1
	ds_store_b32 v39, v32
; %bb.776:                              ;   in Loop: Header=BB103_3 Depth=1
	s_or_b32 exec_lo, exec_lo, s1
	s_wait_dscnt 0x0
	s_barrier_signal -1
	s_barrier_wait -1
	s_barrier_signal -1
	s_barrier_wait -1
	s_and_saveexec_b32 s1, s3
; %bb.777:                              ;   in Loop: Header=BB103_3 Depth=1
	v_xor_b32_e32 v32, 0x80000000, v32
	ds_store_b32 v40, v32 offset:10416
; %bb.778:                              ;   in Loop: Header=BB103_3 Depth=1
	s_or_b32 exec_lo, exec_lo, s1
	s_wait_dscnt 0x0
	s_barrier_signal -1
	s_barrier_wait -1
	s_barrier_signal -1
	s_barrier_wait -1
	s_and_saveexec_b32 s1, s11
; %bb.779:                              ;   in Loop: Header=BB103_3 Depth=1
	v_add_nc_u32_e64 v32, 0x2c00, 0
	ds_store_2addr_b32 v32, v65, v65 offset0:44 offset1:109
; %bb.780:                              ;   in Loop: Header=BB103_3 Depth=1
	s_or_b32 exec_lo, exec_lo, s1
	v_mov_b32_e32 v32, 0
	s_wait_dscnt 0x0
	s_barrier_signal -1
	s_barrier_wait -1
	s_and_saveexec_b32 s8, s2
	s_cbranch_execz .LBB103_784
; %bb.781:                              ;   in Loop: Header=BB103_3 Depth=1
	ds_load_b32 v32, v34 offset:11448
	ds_load_b32 v33, v35 offset:11440
	s_wait_dscnt 0x0
	v_fma_f32 v32, v32, v33, 0
	s_and_saveexec_b32 s1, s12
	s_cbranch_execz .LBB103_783
; %bb.782:                              ;   in Loop: Header=BB103_3 Depth=1
	ds_load_b32 v33, v38 offset:11704
	ds_load_b32 v70, v5 offset:11444
	s_wait_dscnt 0x0
	v_fmac_f32_e32 v32, v33, v70
.LBB103_783:                            ;   in Loop: Header=BB103_3 Depth=1
	s_or_b32 exec_lo, exec_lo, s1
	s_delay_alu instid0(VALU_DEP_1)
	v_xor_b32_e32 v32, 0x80000000, v32
.LBB103_784:                            ;   in Loop: Header=BB103_3 Depth=1
	s_or_b32 exec_lo, exec_lo, s8
	s_and_saveexec_b32 s1, s100
; %bb.785:                              ;   in Loop: Header=BB103_3 Depth=1
	ds_store_b32 v9, v32
; %bb.786:                              ;   in Loop: Header=BB103_3 Depth=1
	s_or_b32 exec_lo, exec_lo, s1
	s_wait_dscnt 0x0
	s_barrier_signal -1
	s_barrier_wait -1
	s_and_saveexec_b32 s1, s101
	s_cbranch_execz .LBB103_788
; %bb.787:                              ;   in Loop: Header=BB103_3 Depth=1
	ds_load_b32 v33, v5 offset:11964
	ds_load_b32 v70, v9
	s_wait_dscnt 0x0
	v_fmac_f32_e32 v32, v33, v70
.LBB103_788:                            ;   in Loop: Header=BB103_3 Depth=1
	s_or_b32 exec_lo, exec_lo, s1
	s_barrier_signal -1
	s_barrier_wait -1
	s_and_saveexec_b32 s1, s101
; %bb.789:                              ;   in Loop: Header=BB103_3 Depth=1
	ds_store_b32 v9, v32
; %bb.790:                              ;   in Loop: Header=BB103_3 Depth=1
	s_or_b32 exec_lo, exec_lo, s1
	s_wait_dscnt 0x0
	s_barrier_signal -1
	s_barrier_wait -1
	s_barrier_signal -1
	s_barrier_wait -1
	s_and_saveexec_b32 s1, s2
; %bb.791:                              ;   in Loop: Header=BB103_3 Depth=1
	v_xor_b32_e32 v32, 0x80000000, v32
	ds_store_b32 v34, v32 offset:11448
; %bb.792:                              ;   in Loop: Header=BB103_3 Depth=1
	s_or_b32 exec_lo, exec_lo, s1
	s_wait_dscnt 0x0
	s_barrier_signal -1
	s_barrier_wait -1
	s_barrier_signal -1
	s_barrier_wait -1
	s_and_saveexec_b32 s1, s11
; %bb.793:                              ;   in Loop: Header=BB103_3 Depth=1
	v_add_nc_u32_e64 v32, 0x2c00, 0
	ds_store_2addr_b32 v32, v65, v65 offset0:174 offset1:239
; %bb.794:                              ;   in Loop: Header=BB103_3 Depth=1
	s_or_b32 exec_lo, exec_lo, s1
	v_mov_b32_e32 v32, 0
	s_wait_dscnt 0x0
	s_barrier_signal -1
	s_barrier_wait -1
	s_and_saveexec_b32 s65, s5
	s_cbranch_execz .LBB103_822
; %bb.795:                              ;   in Loop: Header=BB103_3 Depth=1
	ds_load_b32 v32, v53 offset:8384
	ds_load_b32 v33, v45 offset:8320
	s_wait_dscnt 0x0
	v_fma_f32 v32, v32, v33, 0
	s_mov_b32 s1, exec_lo
	v_readlane_b32 s8, v77, 17
	s_and_b32 s8, s1, s8
	s_delay_alu instid0(SALU_CYCLE_1)
	s_mov_b32 exec_lo, s8
	s_cbranch_execz .LBB103_797
; %bb.796:                              ;   in Loop: Header=BB103_3 Depth=1
	ds_load_b32 v33, v54 offset:8640
	ds_load_b32 v70, v45 offset:8324
	s_wait_dscnt 0x0
	v_fmac_f32_e32 v32, v33, v70
.LBB103_797:                            ;   in Loop: Header=BB103_3 Depth=1
	s_or_b32 exec_lo, exec_lo, s1
	s_delay_alu instid0(SALU_CYCLE_1) | instskip(SKIP_2) | instid1(SALU_CYCLE_1)
	s_mov_b32 s1, exec_lo
	v_readlane_b32 s8, v77, 18
	s_and_b32 s8, s1, s8
	s_mov_b32 exec_lo, s8
	s_cbranch_execz .LBB103_799
; %bb.798:                              ;   in Loop: Header=BB103_3 Depth=1
	ds_load_b32 v33, v54 offset:8896
	ds_load_b32 v70, v45 offset:8328
	s_wait_dscnt 0x0
	v_fmac_f32_e32 v32, v33, v70
.LBB103_799:                            ;   in Loop: Header=BB103_3 Depth=1
	s_or_b32 exec_lo, exec_lo, s1
	s_delay_alu instid0(SALU_CYCLE_1) | instskip(SKIP_2) | instid1(SALU_CYCLE_1)
	s_mov_b32 s1, exec_lo
	v_readlane_b32 s8, v77, 19
	s_and_b32 s8, s1, s8
	;; [unrolled: 13-line block ×10, first 2 shown]
	s_mov_b32 exec_lo, s8
	s_cbranch_execnz .LBB103_1149
; %bb.816:                              ;   in Loop: Header=BB103_3 Depth=1
	s_or_b32 exec_lo, exec_lo, s1
	s_and_saveexec_b32 s1, s4
	s_cbranch_execnz .LBB103_1150
.LBB103_817:                            ;   in Loop: Header=BB103_3 Depth=1
	s_or_b32 exec_lo, exec_lo, s1
	s_and_saveexec_b32 s1, s16
	s_cbranch_execnz .LBB103_1151
.LBB103_818:                            ;   in Loop: Header=BB103_3 Depth=1
	s_or_b32 exec_lo, exec_lo, s1
	s_and_saveexec_b32 s1, s18
	s_cbranch_execnz .LBB103_1152
.LBB103_819:                            ;   in Loop: Header=BB103_3 Depth=1
	s_or_b32 exec_lo, exec_lo, s1
	s_and_saveexec_b32 s1, s3
	s_cbranch_execz .LBB103_821
.LBB103_820:                            ;   in Loop: Header=BB103_3 Depth=1
	ds_load_b32 v33, v38 offset:12224
	ds_load_b32 v70, v5 offset:8380
	s_wait_dscnt 0x0
	v_fmac_f32_e32 v32, v33, v70
.LBB103_821:                            ;   in Loop: Header=BB103_3 Depth=1
	s_or_b32 exec_lo, exec_lo, s1
	s_delay_alu instid0(VALU_DEP_1)
	v_xor_b32_e32 v32, 0x80000000, v32
.LBB103_822:                            ;   in Loop: Header=BB103_3 Depth=1
	s_or_b32 exec_lo, exec_lo, s65
	s_delay_alu instid0(SALU_CYCLE_1) | instskip(SKIP_2) | instid1(SALU_CYCLE_1)
	s_mov_b32 s1, exec_lo
	v_readlane_b32 s8, v79, 2
	s_and_b32 s8, s1, s8
	s_mov_b32 exec_lo, s8
; %bb.823:                              ;   in Loop: Header=BB103_3 Depth=1
	ds_store_b32 v52, v32
; %bb.824:                              ;   in Loop: Header=BB103_3 Depth=1
	s_or_b32 exec_lo, exec_lo, s1
	s_wait_dscnt 0x0
	s_barrier_signal -1
	s_barrier_wait -1
	s_mov_b32 s1, exec_lo
	v_readlane_b32 s8, v79, 3
	s_and_b32 s8, s1, s8
	s_delay_alu instid0(SALU_CYCLE_1)
	s_mov_b32 exec_lo, s8
	s_cbranch_execz .LBB103_826
; %bb.825:                              ;   in Loop: Header=BB103_3 Depth=1
	ds_load_b32 v33, v48 offset:12480
	ds_load_b32 v70, v52
	s_wait_dscnt 0x0
	v_fmac_f32_e32 v32, v33, v70
.LBB103_826:                            ;   in Loop: Header=BB103_3 Depth=1
	s_or_b32 exec_lo, exec_lo, s1
	s_barrier_signal -1
	s_barrier_wait -1
	s_mov_b32 s1, exec_lo
	v_readlane_b32 s8, v79, 4
	s_and_b32 s8, s1, s8
	s_delay_alu instid0(SALU_CYCLE_1)
	s_mov_b32 exec_lo, s8
; %bb.827:                              ;   in Loop: Header=BB103_3 Depth=1
	ds_store_b32 v52, v32
; %bb.828:                              ;   in Loop: Header=BB103_3 Depth=1
	s_or_b32 exec_lo, exec_lo, s1
	s_wait_dscnt 0x0
	s_barrier_signal -1
	s_barrier_wait -1
	s_mov_b32 s1, exec_lo
	v_readlane_b32 s8, v79, 5
	s_and_b32 s8, s1, s8
	s_delay_alu instid0(SALU_CYCLE_1)
	s_mov_b32 exec_lo, s8
	s_cbranch_execz .LBB103_830
; %bb.829:                              ;   in Loop: Header=BB103_3 Depth=1
	ds_load_b32 v33, v48 offset:12736
	ds_load_b32 v70, v52
	s_wait_dscnt 0x0
	v_fmac_f32_e32 v32, v33, v70
.LBB103_830:                            ;   in Loop: Header=BB103_3 Depth=1
	s_or_b32 exec_lo, exec_lo, s1
	s_barrier_signal -1
	s_barrier_wait -1
	s_and_saveexec_b32 s1, s52
; %bb.831:                              ;   in Loop: Header=BB103_3 Depth=1
	ds_store_b32 v52, v32
; %bb.832:                              ;   in Loop: Header=BB103_3 Depth=1
	s_or_b32 exec_lo, exec_lo, s1
	s_wait_dscnt 0x0
	s_barrier_signal -1
	s_barrier_wait -1
	s_and_saveexec_b32 s1, s53
	s_cbranch_execz .LBB103_834
; %bb.833:                              ;   in Loop: Header=BB103_3 Depth=1
	ds_load_b32 v33, v48 offset:12992
	ds_load_b32 v70, v52
	s_wait_dscnt 0x0
	v_fmac_f32_e32 v32, v33, v70
.LBB103_834:                            ;   in Loop: Header=BB103_3 Depth=1
	s_or_b32 exec_lo, exec_lo, s1
	s_barrier_signal -1
	s_barrier_wait -1
	s_and_saveexec_b32 s1, s54
; %bb.835:                              ;   in Loop: Header=BB103_3 Depth=1
	ds_store_b32 v52, v32
; %bb.836:                              ;   in Loop: Header=BB103_3 Depth=1
	s_or_b32 exec_lo, exec_lo, s1
	s_wait_dscnt 0x0
	s_barrier_signal -1
	s_barrier_wait -1
	s_and_saveexec_b32 s1, s20
	;; [unrolled: 19-line block ×13, first 2 shown]
	s_cbranch_execz .LBB103_882
; %bb.881:                              ;   in Loop: Header=BB103_3 Depth=1
	ds_load_b32 v33, v5 offset:16124
	ds_load_b32 v70, v52
	s_wait_dscnt 0x0
	v_fmac_f32_e32 v32, v33, v70
.LBB103_882:                            ;   in Loop: Header=BB103_3 Depth=1
	s_or_b32 exec_lo, exec_lo, s1
	s_barrier_signal -1
	s_barrier_wait -1
	s_and_saveexec_b32 s1, s49
; %bb.883:                              ;   in Loop: Header=BB103_3 Depth=1
	ds_store_b32 v52, v32
; %bb.884:                              ;   in Loop: Header=BB103_3 Depth=1
	s_or_b32 exec_lo, exec_lo, s1
	s_wait_dscnt 0x0
	s_barrier_signal -1
	s_barrier_wait -1
	s_barrier_signal -1
	s_barrier_wait -1
	s_and_saveexec_b32 s1, s5
; %bb.885:                              ;   in Loop: Header=BB103_3 Depth=1
	v_xor_b32_e32 v32, 0x80000000, v32
	ds_store_b32 v53, v32 offset:8384
; %bb.886:                              ;   in Loop: Header=BB103_3 Depth=1
	s_or_b32 exec_lo, exec_lo, s1
	s_wait_dscnt 0x0
	s_barrier_signal -1
	s_barrier_wait -1
	s_barrier_signal -1
	s_barrier_wait -1
	s_and_saveexec_b32 s1, s11
; %bb.887:                              ;   in Loop: Header=BB103_3 Depth=1
	v_add_nc_u32_e64 v32, 0x3000, 0
	ds_store_2addr_b32 v32, v65, v65 offset0:48 offset1:113
; %bb.888:                              ;   in Loop: Header=BB103_3 Depth=1
	s_or_b32 exec_lo, exec_lo, s1
	v_mov_b32_e32 v32, 0
	s_wait_dscnt 0x0
	s_barrier_signal -1
	s_barrier_wait -1
	s_and_saveexec_b32 s8, s2
	s_cbranch_execz .LBB103_892
; %bb.889:                              ;   in Loop: Header=BB103_3 Depth=1
	ds_load_b32 v32, v34 offset:12488
	ds_load_b32 v33, v35 offset:12480
	s_wait_dscnt 0x0
	v_fma_f32 v32, v32, v33, 0
	s_and_saveexec_b32 s1, s12
	s_cbranch_execz .LBB103_891
; %bb.890:                              ;   in Loop: Header=BB103_3 Depth=1
	ds_load_b32 v33, v38 offset:12744
	ds_load_b32 v70, v5 offset:12484
	s_wait_dscnt 0x0
	v_fmac_f32_e32 v32, v33, v70
.LBB103_891:                            ;   in Loop: Header=BB103_3 Depth=1
	s_or_b32 exec_lo, exec_lo, s1
	s_delay_alu instid0(VALU_DEP_1)
	v_xor_b32_e32 v32, 0x80000000, v32
.LBB103_892:                            ;   in Loop: Header=BB103_3 Depth=1
	s_or_b32 exec_lo, exec_lo, s8
	s_and_saveexec_b32 s1, s100
; %bb.893:                              ;   in Loop: Header=BB103_3 Depth=1
	ds_store_b32 v9, v32
; %bb.894:                              ;   in Loop: Header=BB103_3 Depth=1
	s_or_b32 exec_lo, exec_lo, s1
	s_wait_dscnt 0x0
	s_barrier_signal -1
	s_barrier_wait -1
	s_and_saveexec_b32 s1, s101
	s_cbranch_execz .LBB103_896
; %bb.895:                              ;   in Loop: Header=BB103_3 Depth=1
	ds_load_b32 v33, v5 offset:13004
	ds_load_b32 v70, v9
	s_wait_dscnt 0x0
	v_fmac_f32_e32 v32, v33, v70
.LBB103_896:                            ;   in Loop: Header=BB103_3 Depth=1
	s_or_b32 exec_lo, exec_lo, s1
	s_barrier_signal -1
	s_barrier_wait -1
	s_and_saveexec_b32 s1, s101
; %bb.897:                              ;   in Loop: Header=BB103_3 Depth=1
	ds_store_b32 v9, v32
; %bb.898:                              ;   in Loop: Header=BB103_3 Depth=1
	s_or_b32 exec_lo, exec_lo, s1
	s_wait_dscnt 0x0
	s_barrier_signal -1
	s_barrier_wait -1
	s_barrier_signal -1
	s_barrier_wait -1
	s_and_saveexec_b32 s1, s2
; %bb.899:                              ;   in Loop: Header=BB103_3 Depth=1
	v_xor_b32_e32 v32, 0x80000000, v32
	ds_store_b32 v34, v32 offset:12488
; %bb.900:                              ;   in Loop: Header=BB103_3 Depth=1
	s_or_b32 exec_lo, exec_lo, s1
	s_wait_dscnt 0x0
	s_barrier_signal -1
	s_barrier_wait -1
	s_barrier_signal -1
	s_barrier_wait -1
	s_and_saveexec_b32 s1, s11
; %bb.901:                              ;   in Loop: Header=BB103_3 Depth=1
	v_add_nc_u32_e64 v32, 0x3000, 0
	ds_store_2addr_b32 v32, v65, v65 offset0:178 offset1:243
; %bb.902:                              ;   in Loop: Header=BB103_3 Depth=1
	s_or_b32 exec_lo, exec_lo, s1
	v_mov_b32_e32 v32, 0
	s_wait_dscnt 0x0
	s_barrier_signal -1
	s_barrier_wait -1
	s_and_saveexec_b32 s8, s3
	s_cbranch_execz .LBB103_908
; %bb.903:                              ;   in Loop: Header=BB103_3 Depth=1
	ds_load_b32 v32, v40 offset:12496
	ds_load_b32 v33, v36 offset:12480
	s_wait_dscnt 0x0
	v_fma_f32 v32, v32, v33, 0
	s_and_saveexec_b32 s1, s13
	s_cbranch_execnz .LBB103_1153
; %bb.904:                              ;   in Loop: Header=BB103_3 Depth=1
	s_or_b32 exec_lo, exec_lo, s1
	s_and_saveexec_b32 s1, s14
	s_cbranch_execnz .LBB103_1154
.LBB103_905:                            ;   in Loop: Header=BB103_3 Depth=1
	s_or_b32 exec_lo, exec_lo, s1
	s_and_saveexec_b32 s1, s2
	s_cbranch_execz .LBB103_907
.LBB103_906:                            ;   in Loop: Header=BB103_3 Depth=1
	ds_load_b32 v33, v38 offset:13264
	ds_load_b32 v70, v5 offset:12492
	s_wait_dscnt 0x0
	v_fmac_f32_e32 v32, v33, v70
.LBB103_907:                            ;   in Loop: Header=BB103_3 Depth=1
	s_or_b32 exec_lo, exec_lo, s1
	s_delay_alu instid0(VALU_DEP_1)
	v_xor_b32_e32 v32, 0x80000000, v32
.LBB103_908:                            ;   in Loop: Header=BB103_3 Depth=1
	s_or_b32 exec_lo, exec_lo, s8
	s_and_saveexec_b32 s1, s102
; %bb.909:                              ;   in Loop: Header=BB103_3 Depth=1
	ds_store_b32 v39, v32
; %bb.910:                              ;   in Loop: Header=BB103_3 Depth=1
	s_or_b32 exec_lo, exec_lo, s1
	s_wait_dscnt 0x0
	s_barrier_signal -1
	s_barrier_wait -1
	s_and_saveexec_b32 s1, s103
	s_cbranch_execz .LBB103_912
; %bb.911:                              ;   in Loop: Header=BB103_3 Depth=1
	ds_load_b32 v33, v37 offset:13520
	ds_load_b32 v70, v39
	s_wait_dscnt 0x0
	v_fmac_f32_e32 v32, v33, v70
.LBB103_912:                            ;   in Loop: Header=BB103_3 Depth=1
	s_or_b32 exec_lo, exec_lo, s1
	s_barrier_signal -1
	s_barrier_wait -1
	s_and_saveexec_b32 s1, s104
; %bb.913:                              ;   in Loop: Header=BB103_3 Depth=1
	ds_store_b32 v39, v32
; %bb.914:                              ;   in Loop: Header=BB103_3 Depth=1
	s_or_b32 exec_lo, exec_lo, s1
	s_wait_dscnt 0x0
	s_barrier_signal -1
	s_barrier_wait -1
	s_and_saveexec_b32 s1, vcc_hi
	s_cbranch_execz .LBB103_916
; %bb.915:                              ;   in Loop: Header=BB103_3 Depth=1
	ds_load_b32 v33, v37 offset:13776
	ds_load_b32 v70, v39
	s_wait_dscnt 0x0
	v_fmac_f32_e32 v32, v33, v70
.LBB103_916:                            ;   in Loop: Header=BB103_3 Depth=1
	s_or_b32 exec_lo, exec_lo, s1
	s_barrier_signal -1
	s_barrier_wait -1
	s_and_saveexec_b32 s1, s31
; %bb.917:                              ;   in Loop: Header=BB103_3 Depth=1
	ds_store_b32 v39, v32
; %bb.918:                              ;   in Loop: Header=BB103_3 Depth=1
	s_or_b32 exec_lo, exec_lo, s1
	s_wait_dscnt 0x0
	s_barrier_signal -1
	s_barrier_wait -1
	s_and_saveexec_b32 s1, s33
	s_cbranch_execz .LBB103_920
; %bb.919:                              ;   in Loop: Header=BB103_3 Depth=1
	ds_load_b32 v33, v5 offset:14044
	ds_load_b32 v70, v39
	s_wait_dscnt 0x0
	v_fmac_f32_e32 v32, v33, v70
.LBB103_920:                            ;   in Loop: Header=BB103_3 Depth=1
	s_or_b32 exec_lo, exec_lo, s1
	s_barrier_signal -1
	s_barrier_wait -1
	s_and_saveexec_b32 s1, s33
; %bb.921:                              ;   in Loop: Header=BB103_3 Depth=1
	ds_store_b32 v39, v32
; %bb.922:                              ;   in Loop: Header=BB103_3 Depth=1
	s_or_b32 exec_lo, exec_lo, s1
	s_wait_dscnt 0x0
	s_barrier_signal -1
	s_barrier_wait -1
	s_barrier_signal -1
	s_barrier_wait -1
	s_and_saveexec_b32 s1, s3
; %bb.923:                              ;   in Loop: Header=BB103_3 Depth=1
	v_xor_b32_e32 v32, 0x80000000, v32
	ds_store_b32 v40, v32 offset:12496
; %bb.924:                              ;   in Loop: Header=BB103_3 Depth=1
	s_or_b32 exec_lo, exec_lo, s1
	s_wait_dscnt 0x0
	s_barrier_signal -1
	s_barrier_wait -1
	s_barrier_signal -1
	s_barrier_wait -1
	s_and_saveexec_b32 s1, s11
; %bb.925:                              ;   in Loop: Header=BB103_3 Depth=1
	v_add_nc_u32_e64 v32, 0x3400, 0
	ds_store_2addr_b32 v32, v65, v65 offset0:52 offset1:117
; %bb.926:                              ;   in Loop: Header=BB103_3 Depth=1
	s_or_b32 exec_lo, exec_lo, s1
	v_mov_b32_e32 v32, 0
	s_wait_dscnt 0x0
	s_barrier_signal -1
	s_barrier_wait -1
	s_and_saveexec_b32 s8, s2
	s_cbranch_execz .LBB103_930
; %bb.927:                              ;   in Loop: Header=BB103_3 Depth=1
	ds_load_b32 v32, v34 offset:13528
	ds_load_b32 v33, v35 offset:13520
	s_wait_dscnt 0x0
	v_fma_f32 v32, v32, v33, 0
	s_and_saveexec_b32 s1, s12
	s_cbranch_execz .LBB103_929
; %bb.928:                              ;   in Loop: Header=BB103_3 Depth=1
	ds_load_b32 v33, v38 offset:13784
	ds_load_b32 v70, v5 offset:13524
	s_wait_dscnt 0x0
	v_fmac_f32_e32 v32, v33, v70
.LBB103_929:                            ;   in Loop: Header=BB103_3 Depth=1
	s_or_b32 exec_lo, exec_lo, s1
	s_delay_alu instid0(VALU_DEP_1)
	v_xor_b32_e32 v32, 0x80000000, v32
.LBB103_930:                            ;   in Loop: Header=BB103_3 Depth=1
	s_or_b32 exec_lo, exec_lo, s8
	s_and_saveexec_b32 s1, s100
; %bb.931:                              ;   in Loop: Header=BB103_3 Depth=1
	ds_store_b32 v9, v32
; %bb.932:                              ;   in Loop: Header=BB103_3 Depth=1
	s_or_b32 exec_lo, exec_lo, s1
	s_wait_dscnt 0x0
	s_barrier_signal -1
	s_barrier_wait -1
	s_and_saveexec_b32 s1, s101
	s_cbranch_execz .LBB103_934
; %bb.933:                              ;   in Loop: Header=BB103_3 Depth=1
	ds_load_b32 v33, v5 offset:14044
	ds_load_b32 v70, v9
	s_wait_dscnt 0x0
	v_fmac_f32_e32 v32, v33, v70
.LBB103_934:                            ;   in Loop: Header=BB103_3 Depth=1
	s_or_b32 exec_lo, exec_lo, s1
	s_barrier_signal -1
	s_barrier_wait -1
	s_and_saveexec_b32 s1, s101
; %bb.935:                              ;   in Loop: Header=BB103_3 Depth=1
	ds_store_b32 v9, v32
; %bb.936:                              ;   in Loop: Header=BB103_3 Depth=1
	s_or_b32 exec_lo, exec_lo, s1
	s_wait_dscnt 0x0
	s_barrier_signal -1
	s_barrier_wait -1
	s_barrier_signal -1
	s_barrier_wait -1
	s_and_saveexec_b32 s1, s2
; %bb.937:                              ;   in Loop: Header=BB103_3 Depth=1
	v_xor_b32_e32 v32, 0x80000000, v32
	ds_store_b32 v34, v32 offset:13528
; %bb.938:                              ;   in Loop: Header=BB103_3 Depth=1
	s_or_b32 exec_lo, exec_lo, s1
	s_wait_dscnt 0x0
	s_barrier_signal -1
	s_barrier_wait -1
	s_barrier_signal -1
	s_barrier_wait -1
	s_and_saveexec_b32 s1, s11
; %bb.939:                              ;   in Loop: Header=BB103_3 Depth=1
	v_add_nc_u32_e64 v32, 0x3400, 0
	ds_store_2addr_b32 v32, v65, v65 offset0:182 offset1:247
; %bb.940:                              ;   in Loop: Header=BB103_3 Depth=1
	s_or_b32 exec_lo, exec_lo, s1
	v_mov_b32_e32 v32, 0
	s_wait_dscnt 0x0
	s_barrier_signal -1
	s_barrier_wait -1
	s_and_saveexec_b32 s8, s4
	s_cbranch_execz .LBB103_950
; %bb.941:                              ;   in Loop: Header=BB103_3 Depth=1
	ds_load_b32 v32, v46 offset:12512
	ds_load_b32 v33, v41 offset:12480
	s_wait_dscnt 0x0
	v_fma_f32 v32, v32, v33, 0
	s_and_saveexec_b32 s1, s15
	s_cbranch_execnz .LBB103_1155
; %bb.942:                              ;   in Loop: Header=BB103_3 Depth=1
	s_or_b32 exec_lo, exec_lo, s1
	s_and_saveexec_b32 s1, s16
	s_cbranch_execnz .LBB103_1156
.LBB103_943:                            ;   in Loop: Header=BB103_3 Depth=1
	s_or_b32 exec_lo, exec_lo, s1
	s_and_saveexec_b32 s1, s17
	s_cbranch_execnz .LBB103_1157
.LBB103_944:                            ;   in Loop: Header=BB103_3 Depth=1
	s_or_b32 exec_lo, exec_lo, s1
	s_and_saveexec_b32 s1, s18
	s_cbranch_execnz .LBB103_1158
.LBB103_945:                            ;   in Loop: Header=BB103_3 Depth=1
	s_or_b32 exec_lo, exec_lo, s1
	s_and_saveexec_b32 s1, s19
	s_cbranch_execnz .LBB103_1159
.LBB103_946:                            ;   in Loop: Header=BB103_3 Depth=1
	s_or_b32 exec_lo, exec_lo, s1
	s_and_saveexec_b32 s1, s3
	s_cbranch_execnz .LBB103_1160
.LBB103_947:                            ;   in Loop: Header=BB103_3 Depth=1
	s_or_b32 exec_lo, exec_lo, s1
	s_and_saveexec_b32 s1, s14
	s_cbranch_execz .LBB103_949
.LBB103_948:                            ;   in Loop: Header=BB103_3 Depth=1
	ds_load_b32 v33, v38 offset:14304
	ds_load_b32 v70, v5 offset:12508
	s_wait_dscnt 0x0
	v_fmac_f32_e32 v32, v33, v70
.LBB103_949:                            ;   in Loop: Header=BB103_3 Depth=1
	s_or_b32 exec_lo, exec_lo, s1
	s_delay_alu instid0(VALU_DEP_1)
	v_xor_b32_e32 v32, 0x80000000, v32
.LBB103_950:                            ;   in Loop: Header=BB103_3 Depth=1
	s_or_b32 exec_lo, exec_lo, s8
	s_and_saveexec_b32 s1, s34
; %bb.951:                              ;   in Loop: Header=BB103_3 Depth=1
	ds_store_b32 v43, v32
; %bb.952:                              ;   in Loop: Header=BB103_3 Depth=1
	s_or_b32 exec_lo, exec_lo, s1
	s_wait_dscnt 0x0
	s_barrier_signal -1
	s_barrier_wait -1
	s_and_saveexec_b32 s1, s35
	s_cbranch_execz .LBB103_954
; %bb.953:                              ;   in Loop: Header=BB103_3 Depth=1
	ds_load_b32 v33, v44 offset:14560
	ds_load_b32 v70, v43
	s_wait_dscnt 0x0
	v_fmac_f32_e32 v32, v33, v70
.LBB103_954:                            ;   in Loop: Header=BB103_3 Depth=1
	s_or_b32 exec_lo, exec_lo, s1
	s_barrier_signal -1
	s_barrier_wait -1
	s_and_saveexec_b32 s1, s36
; %bb.955:                              ;   in Loop: Header=BB103_3 Depth=1
	ds_store_b32 v43, v32
; %bb.956:                              ;   in Loop: Header=BB103_3 Depth=1
	s_or_b32 exec_lo, exec_lo, s1
	s_wait_dscnt 0x0
	s_barrier_signal -1
	s_barrier_wait -1
	s_and_saveexec_b32 s1, s37
	s_cbranch_execz .LBB103_958
; %bb.957:                              ;   in Loop: Header=BB103_3 Depth=1
	ds_load_b32 v33, v44 offset:14816
	ds_load_b32 v70, v43
	s_wait_dscnt 0x0
	v_fmac_f32_e32 v32, v33, v70
.LBB103_958:                            ;   in Loop: Header=BB103_3 Depth=1
	s_or_b32 exec_lo, exec_lo, s1
	s_barrier_signal -1
	s_barrier_wait -1
	;; [unrolled: 19-line block ×7, first 2 shown]
	s_and_saveexec_b32 s1, s47
; %bb.979:                              ;   in Loop: Header=BB103_3 Depth=1
	ds_store_b32 v43, v32
; %bb.980:                              ;   in Loop: Header=BB103_3 Depth=1
	s_or_b32 exec_lo, exec_lo, s1
	s_wait_dscnt 0x0
	s_barrier_signal -1
	s_barrier_wait -1
	s_barrier_signal -1
	s_barrier_wait -1
	s_and_saveexec_b32 s1, s4
; %bb.981:                              ;   in Loop: Header=BB103_3 Depth=1
	v_xor_b32_e32 v32, 0x80000000, v32
	ds_store_b32 v46, v32 offset:12512
; %bb.982:                              ;   in Loop: Header=BB103_3 Depth=1
	s_or_b32 exec_lo, exec_lo, s1
	s_wait_dscnt 0x0
	s_barrier_signal -1
	s_barrier_wait -1
	s_barrier_signal -1
	s_barrier_wait -1
	s_and_saveexec_b32 s1, s11
; %bb.983:                              ;   in Loop: Header=BB103_3 Depth=1
	v_add_nc_u32_e64 v32, 0x3800, 0
	ds_store_2addr_b32 v32, v65, v65 offset0:56 offset1:121
; %bb.984:                              ;   in Loop: Header=BB103_3 Depth=1
	s_or_b32 exec_lo, exec_lo, s1
	v_mov_b32_e32 v32, 0
	s_wait_dscnt 0x0
	s_barrier_signal -1
	s_barrier_wait -1
	s_and_saveexec_b32 s8, s2
	s_cbranch_execz .LBB103_988
; %bb.985:                              ;   in Loop: Header=BB103_3 Depth=1
	ds_load_b32 v32, v34 offset:14568
	ds_load_b32 v33, v35 offset:14560
	s_wait_dscnt 0x0
	v_fma_f32 v32, v32, v33, 0
	s_and_saveexec_b32 s1, s12
	s_cbranch_execz .LBB103_987
; %bb.986:                              ;   in Loop: Header=BB103_3 Depth=1
	ds_load_b32 v33, v38 offset:14824
	ds_load_b32 v70, v5 offset:14564
	s_wait_dscnt 0x0
	v_fmac_f32_e32 v32, v33, v70
.LBB103_987:                            ;   in Loop: Header=BB103_3 Depth=1
	s_or_b32 exec_lo, exec_lo, s1
	s_delay_alu instid0(VALU_DEP_1)
	v_xor_b32_e32 v32, 0x80000000, v32
.LBB103_988:                            ;   in Loop: Header=BB103_3 Depth=1
	s_or_b32 exec_lo, exec_lo, s8
	s_and_saveexec_b32 s1, s100
; %bb.989:                              ;   in Loop: Header=BB103_3 Depth=1
	ds_store_b32 v9, v32
; %bb.990:                              ;   in Loop: Header=BB103_3 Depth=1
	s_or_b32 exec_lo, exec_lo, s1
	s_wait_dscnt 0x0
	s_barrier_signal -1
	s_barrier_wait -1
	s_and_saveexec_b32 s1, s101
	s_cbranch_execz .LBB103_992
; %bb.991:                              ;   in Loop: Header=BB103_3 Depth=1
	ds_load_b32 v33, v5 offset:15084
	ds_load_b32 v70, v9
	s_wait_dscnt 0x0
	v_fmac_f32_e32 v32, v33, v70
.LBB103_992:                            ;   in Loop: Header=BB103_3 Depth=1
	s_or_b32 exec_lo, exec_lo, s1
	s_barrier_signal -1
	s_barrier_wait -1
	s_and_saveexec_b32 s1, s101
; %bb.993:                              ;   in Loop: Header=BB103_3 Depth=1
	ds_store_b32 v9, v32
; %bb.994:                              ;   in Loop: Header=BB103_3 Depth=1
	s_or_b32 exec_lo, exec_lo, s1
	s_wait_dscnt 0x0
	s_barrier_signal -1
	s_barrier_wait -1
	s_barrier_signal -1
	s_barrier_wait -1
	s_and_saveexec_b32 s1, s2
; %bb.995:                              ;   in Loop: Header=BB103_3 Depth=1
	v_xor_b32_e32 v32, 0x80000000, v32
	ds_store_b32 v34, v32 offset:14568
; %bb.996:                              ;   in Loop: Header=BB103_3 Depth=1
	s_or_b32 exec_lo, exec_lo, s1
	s_wait_dscnt 0x0
	s_barrier_signal -1
	s_barrier_wait -1
	s_barrier_signal -1
	s_barrier_wait -1
	s_and_saveexec_b32 s1, s11
; %bb.997:                              ;   in Loop: Header=BB103_3 Depth=1
	v_add_nc_u32_e64 v32, 0x3800, 0
	ds_store_2addr_b32 v32, v65, v65 offset0:186 offset1:251
; %bb.998:                              ;   in Loop: Header=BB103_3 Depth=1
	s_or_b32 exec_lo, exec_lo, s1
	v_mov_b32_e32 v32, 0
	s_wait_dscnt 0x0
	s_barrier_signal -1
	s_barrier_wait -1
	s_and_saveexec_b32 s8, s3
	s_cbranch_execz .LBB103_1004
; %bb.999:                              ;   in Loop: Header=BB103_3 Depth=1
	ds_load_b32 v32, v40 offset:14576
	ds_load_b32 v33, v36 offset:14560
	s_wait_dscnt 0x0
	v_fma_f32 v32, v32, v33, 0
	s_and_saveexec_b32 s1, s13
	s_cbranch_execnz .LBB103_1161
; %bb.1000:                             ;   in Loop: Header=BB103_3 Depth=1
	s_or_b32 exec_lo, exec_lo, s1
	s_and_saveexec_b32 s1, s14
	s_cbranch_execnz .LBB103_1162
.LBB103_1001:                           ;   in Loop: Header=BB103_3 Depth=1
	s_or_b32 exec_lo, exec_lo, s1
	s_and_saveexec_b32 s1, s2
	s_cbranch_execz .LBB103_1003
.LBB103_1002:                           ;   in Loop: Header=BB103_3 Depth=1
	ds_load_b32 v33, v38 offset:15344
	ds_load_b32 v70, v5 offset:14572
	s_wait_dscnt 0x0
	v_fmac_f32_e32 v32, v33, v70
.LBB103_1003:                           ;   in Loop: Header=BB103_3 Depth=1
	s_or_b32 exec_lo, exec_lo, s1
	s_delay_alu instid0(VALU_DEP_1)
	v_xor_b32_e32 v32, 0x80000000, v32
.LBB103_1004:                           ;   in Loop: Header=BB103_3 Depth=1
	s_or_b32 exec_lo, exec_lo, s8
	s_and_saveexec_b32 s1, s102
; %bb.1005:                             ;   in Loop: Header=BB103_3 Depth=1
	ds_store_b32 v39, v32
; %bb.1006:                             ;   in Loop: Header=BB103_3 Depth=1
	s_or_b32 exec_lo, exec_lo, s1
	s_wait_dscnt 0x0
	s_barrier_signal -1
	s_barrier_wait -1
	s_and_saveexec_b32 s1, s103
	s_cbranch_execz .LBB103_1008
; %bb.1007:                             ;   in Loop: Header=BB103_3 Depth=1
	ds_load_b32 v33, v37 offset:15600
	ds_load_b32 v70, v39
	s_wait_dscnt 0x0
	v_fmac_f32_e32 v32, v33, v70
.LBB103_1008:                           ;   in Loop: Header=BB103_3 Depth=1
	s_or_b32 exec_lo, exec_lo, s1
	s_barrier_signal -1
	s_barrier_wait -1
	s_and_saveexec_b32 s1, s104
; %bb.1009:                             ;   in Loop: Header=BB103_3 Depth=1
	ds_store_b32 v39, v32
; %bb.1010:                             ;   in Loop: Header=BB103_3 Depth=1
	s_or_b32 exec_lo, exec_lo, s1
	s_wait_dscnt 0x0
	s_barrier_signal -1
	s_barrier_wait -1
	s_and_saveexec_b32 s1, vcc_hi
	s_cbranch_execz .LBB103_1012
; %bb.1011:                             ;   in Loop: Header=BB103_3 Depth=1
	ds_load_b32 v33, v37 offset:15856
	ds_load_b32 v70, v39
	s_wait_dscnt 0x0
	v_fmac_f32_e32 v32, v33, v70
.LBB103_1012:                           ;   in Loop: Header=BB103_3 Depth=1
	s_or_b32 exec_lo, exec_lo, s1
	s_barrier_signal -1
	s_barrier_wait -1
	s_and_saveexec_b32 s1, s31
; %bb.1013:                             ;   in Loop: Header=BB103_3 Depth=1
	ds_store_b32 v39, v32
; %bb.1014:                             ;   in Loop: Header=BB103_3 Depth=1
	s_or_b32 exec_lo, exec_lo, s1
	s_wait_dscnt 0x0
	s_barrier_signal -1
	s_barrier_wait -1
	s_and_saveexec_b32 s1, s33
	s_cbranch_execz .LBB103_1016
; %bb.1015:                             ;   in Loop: Header=BB103_3 Depth=1
	ds_load_b32 v33, v5 offset:16124
	ds_load_b32 v70, v39
	s_wait_dscnt 0x0
	v_fmac_f32_e32 v32, v33, v70
.LBB103_1016:                           ;   in Loop: Header=BB103_3 Depth=1
	s_or_b32 exec_lo, exec_lo, s1
	s_barrier_signal -1
	s_barrier_wait -1
	s_and_saveexec_b32 s1, s33
; %bb.1017:                             ;   in Loop: Header=BB103_3 Depth=1
	ds_store_b32 v39, v32
; %bb.1018:                             ;   in Loop: Header=BB103_3 Depth=1
	s_or_b32 exec_lo, exec_lo, s1
	s_wait_dscnt 0x0
	s_barrier_signal -1
	s_barrier_wait -1
	s_barrier_signal -1
	s_barrier_wait -1
	s_and_saveexec_b32 s1, s3
; %bb.1019:                             ;   in Loop: Header=BB103_3 Depth=1
	v_xor_b32_e32 v32, 0x80000000, v32
	ds_store_b32 v40, v32 offset:14576
; %bb.1020:                             ;   in Loop: Header=BB103_3 Depth=1
	s_or_b32 exec_lo, exec_lo, s1
	s_wait_dscnt 0x0
	s_barrier_signal -1
	s_barrier_wait -1
	s_barrier_signal -1
	s_barrier_wait -1
	s_and_saveexec_b32 s1, s11
; %bb.1021:                             ;   in Loop: Header=BB103_3 Depth=1
	v_add_nc_u32_e64 v32, 0x3c00, 0
	ds_store_2addr_b32 v32, v65, v65 offset0:60 offset1:125
; %bb.1022:                             ;   in Loop: Header=BB103_3 Depth=1
	s_or_b32 exec_lo, exec_lo, s1
	v_mov_b32_e32 v32, 0
	s_wait_dscnt 0x0
	s_barrier_signal -1
	s_barrier_wait -1
	s_and_saveexec_b32 s8, s2
	s_cbranch_execz .LBB103_1026
; %bb.1023:                             ;   in Loop: Header=BB103_3 Depth=1
	ds_load_b32 v32, v34 offset:15608
	ds_load_b32 v33, v35 offset:15600
	s_wait_dscnt 0x0
	v_fma_f32 v32, v32, v33, 0
	s_and_saveexec_b32 s1, s12
	s_cbranch_execz .LBB103_1025
; %bb.1024:                             ;   in Loop: Header=BB103_3 Depth=1
	ds_load_b32 v33, v38 offset:15864
	ds_load_b32 v70, v5 offset:15604
	s_wait_dscnt 0x0
	v_fmac_f32_e32 v32, v33, v70
.LBB103_1025:                           ;   in Loop: Header=BB103_3 Depth=1
	s_or_b32 exec_lo, exec_lo, s1
	s_delay_alu instid0(VALU_DEP_1)
	v_xor_b32_e32 v32, 0x80000000, v32
.LBB103_1026:                           ;   in Loop: Header=BB103_3 Depth=1
	s_or_b32 exec_lo, exec_lo, s8
	s_and_saveexec_b32 s1, s100
; %bb.1027:                             ;   in Loop: Header=BB103_3 Depth=1
	ds_store_b32 v9, v32
; %bb.1028:                             ;   in Loop: Header=BB103_3 Depth=1
	s_or_b32 exec_lo, exec_lo, s1
	s_wait_dscnt 0x0
	s_barrier_signal -1
	s_barrier_wait -1
	s_and_saveexec_b32 s1, s101
	s_cbranch_execz .LBB103_1030
; %bb.1029:                             ;   in Loop: Header=BB103_3 Depth=1
	ds_load_b32 v33, v5 offset:16124
	ds_load_b32 v70, v9
	s_wait_dscnt 0x0
	v_fmac_f32_e32 v32, v33, v70
.LBB103_1030:                           ;   in Loop: Header=BB103_3 Depth=1
	s_or_b32 exec_lo, exec_lo, s1
	s_barrier_signal -1
	s_barrier_wait -1
	s_and_saveexec_b32 s1, s101
; %bb.1031:                             ;   in Loop: Header=BB103_3 Depth=1
	ds_store_b32 v9, v32
; %bb.1032:                             ;   in Loop: Header=BB103_3 Depth=1
	s_or_b32 exec_lo, exec_lo, s1
	s_wait_dscnt 0x0
	s_barrier_signal -1
	s_barrier_wait -1
	s_barrier_signal -1
	s_barrier_wait -1
	s_and_saveexec_b32 s1, s2
; %bb.1033:                             ;   in Loop: Header=BB103_3 Depth=1
	v_xor_b32_e32 v32, 0x80000000, v32
	ds_store_b32 v34, v32 offset:15608
; %bb.1034:                             ;   in Loop: Header=BB103_3 Depth=1
	s_or_b32 exec_lo, exec_lo, s1
	s_wait_dscnt 0x0
	s_barrier_signal -1
	s_barrier_wait -1
	s_barrier_signal -1
	s_barrier_wait -1
	s_and_saveexec_b32 s1, s11
; %bb.1035:                             ;   in Loop: Header=BB103_3 Depth=1
	v_add_nc_u32_e64 v32, 0x3c00, 0
	ds_store_2addr_b32 v32, v65, v65 offset0:190 offset1:255
; %bb.1036:                             ;   in Loop: Header=BB103_3 Depth=1
	s_or_b32 exec_lo, exec_lo, s1
.LBB103_1037:                           ;   in Loop: Header=BB103_3 Depth=1
	v_add_nc_u64_e32 v[30:31], s[72:73], v[30:31]
	v_mov_b32_e32 v70, 0
	s_wait_dscnt 0x0
	s_barrier_signal -1
	s_barrier_wait -1
	s_and_saveexec_b32 s1, s10
	s_cbranch_execz .LBB103_1039
; %bb.1038:                             ;   in Loop: Header=BB103_3 Depth=1
	v_lshl_add_u64 v[32:33], v[0:1], 2, v[30:31]
	flat_load_b32 v32, v[32:33]
	s_wait_loadcnt_dscnt 0x0
	v_mul_f32_e64 v70, v32, -v4
.LBB103_1039:                           ;   in Loop: Header=BB103_3 Depth=1
	s_or_b32 exec_lo, exec_lo, s1
	s_delay_alu instid0(SALU_CYCLE_1)
	s_and_not1_b32 vcc_lo, exec_lo, s50
	s_cbranch_vccnz .LBB103_1065
; %bb.1040:                             ;   in Loop: Header=BB103_3 Depth=1
	v_lshl_add_u64 v[28:29], v[10:11], 2, v[28:29]
	v_mov_b32_e32 v71, -1
	s_lshl_b64 s[92:93], s[66:67], 2
	s_mov_b32 s8, 0
	s_add_nc_u64 s[92:93], s[82:83], s[92:93]
	s_branch .LBB103_1043
.LBB103_1041:                           ;   in Loop: Header=BB103_1043 Depth=2
	s_wait_xcnt 0x0
	ds_load_b32 v32, v57 offset:192
	s_wait_loadcnt_dscnt 0x0
	v_fmac_f32_e32 v70, v4, v32
.LBB103_1042:                           ;   in Loop: Header=BB103_1043 Depth=2
	s_or_b32 exec_lo, exec_lo, s1
	s_add_co_i32 s8, s8, 1
	s_delay_alu instid0(SALU_CYCLE_1)
	s_cmp_eq_u32 s8, s96
	s_cbranch_scc1 .LBB103_1065
.LBB103_1043:                           ;   Parent Loop BB103_3 Depth=1
                                        ; =>  This Loop Header: Depth=2
                                        ;       Child Loop BB103_1045 Depth 3
	v_cmp_gt_i32_e32 vcc_lo, s8, v71
	s_and_b32 s51, s55, vcc_lo
	s_delay_alu instid0(SALU_CYCLE_1)
	s_and_saveexec_b32 s1, s51
	s_cbranch_execz .LBB103_1046
; %bb.1044:                             ;   in Loop: Header=BB103_1043 Depth=2
	global_load_b32 v71, v5, s[92:93]
	s_wait_loadcnt 0x0
	v_cmp_le_i32_e32 vcc_lo, s8, v71
	s_cbranch_vccnz .LBB103_1046
.LBB103_1045:                           ;   Parent Loop BB103_3 Depth=1
                                        ;     Parent Loop BB103_1043 Depth=2
                                        ; =>    This Inner Loop Header: Depth=3
	global_wb scope:SCOPE_DEV
	s_wait_storecnt 0x0
	global_inv scope:SCOPE_DEV
	global_load_b32 v71, v5, s[92:93]
	s_wait_loadcnt 0x0
	v_cmp_gt_i32_e32 vcc_lo, s8, v71
	s_cbranch_vccnz .LBB103_1045
.LBB103_1046:                           ;   in Loop: Header=BB103_1043 Depth=2
	s_or_b32 exec_lo, exec_lo, s1
	s_lshl_b32 s65, s8, 6
	global_wb scope:SCOPE_DEV
	s_wait_storecnt 0x0
	global_inv scope:SCOPE_DEV
	s_wait_loadcnt 0x0
	s_barrier_signal -1
	s_barrier_wait -1
	s_and_saveexec_b32 s1, s56
	s_cbranch_execz .LBB103_1050
; %bb.1047:                             ;   in Loop: Header=BB103_1043 Depth=2
	v_dual_mov_b32 v32, 0 :: v_dual_bitop2_b32 v4, s65, v8 bitop3:0x54
	s_mov_b32 s51, exec_lo
	s_delay_alu instid0(VALU_DEP_1)
	v_cmpx_gt_i32_e64 s95, v4
	s_cbranch_execz .LBB103_1049
; %bb.1048:                             ;   in Loop: Header=BB103_1043 Depth=2
	v_mul_u64_e32 v[32:33], s[74:75], v[4:5]
	s_delay_alu instid0(VALU_DEP_1)
	v_lshl_add_u64 v[32:33], v[32:33], 2, v[30:31]
	flat_load_b32 v32, v[32:33]
.LBB103_1049:                           ;   in Loop: Header=BB103_1043 Depth=2
	s_wait_xcnt 0x0
	s_or_b32 exec_lo, exec_lo, s51
	s_wait_loadcnt_dscnt 0x0
	ds_store_b32 v58, v32
.LBB103_1050:                           ;   in Loop: Header=BB103_1043 Depth=2
	s_or_b32 exec_lo, exec_lo, s1
	v_add_nc_u32_e32 v4, s65, v2
	v_cmp_ne_u32_e32 vcc_lo, s8, v7
	s_wait_dscnt 0x0
	s_barrier_signal -1
	s_barrier_wait -1
	v_mul_u64_e32 v[32:33], s[80:81], v[4:5]
	v_cmp_gt_i32_e64 s65, s95, v4
	v_cndmask_b32_e64 v72, 0, 1, vcc_lo
	s_and_b32 s51, s0, s65
	v_lshl_add_u64 v[32:33], v[32:33], 2, v[28:29]
	s_and_saveexec_b32 s1, s51
	s_cbranch_execz .LBB103_1054
; %bb.1051:                             ;   in Loop: Header=BB103_1043 Depth=2
	v_mov_b32_e32 v73, v66
	s_and_not1_b32 vcc_lo, exec_lo, vcc_lo
	s_cbranch_vccnz .LBB103_1053
; %bb.1052:                             ;   in Loop: Header=BB103_1043 Depth=2
	flat_load_b32 v73, v[32:33]
.LBB103_1053:                           ;   in Loop: Header=BB103_1043 Depth=2
	ds_load_b32 v74, v57
	s_wait_loadcnt_dscnt 0x0
	v_fmac_f32_e32 v70, v73, v74
.LBB103_1054:                           ;   in Loop: Header=BB103_1043 Depth=2
	s_or_b32 exec_lo, exec_lo, s1
	v_add_nc_u32_e32 v73, 16, v4
	s_delay_alu instid0(VALU_DEP_1) | instskip(SKIP_1) | instid1(SALU_CYCLE_1)
	v_cmp_gt_i32_e32 vcc_lo, s95, v73
	s_and_b32 s51, s0, vcc_lo
	s_and_saveexec_b32 s1, s51
	s_cbranch_execz .LBB103_1058
; %bb.1055:                             ;   in Loop: Header=BB103_1043 Depth=2
	v_cmp_ne_u32_e32 vcc_lo, 1, v72
	v_mov_b32_e32 v73, v67
	s_cbranch_vccnz .LBB103_1057
; %bb.1056:                             ;   in Loop: Header=BB103_1043 Depth=2
	v_add_nc_u64_e32 v[74:75], s[86:87], v[32:33]
	flat_load_b32 v73, v[74:75]
.LBB103_1057:                           ;   in Loop: Header=BB103_1043 Depth=2
	s_wait_xcnt 0x0
	ds_load_b32 v74, v57 offset:64
	s_wait_loadcnt_dscnt 0x0
	v_fmac_f32_e32 v70, v73, v74
.LBB103_1058:                           ;   in Loop: Header=BB103_1043 Depth=2
	s_or_b32 exec_lo, exec_lo, s1
	v_add_nc_u32_e32 v73, 32, v4
	s_delay_alu instid0(VALU_DEP_1) | instskip(SKIP_1) | instid1(SALU_CYCLE_1)
	v_cmp_gt_i32_e32 vcc_lo, s95, v73
	s_and_b32 s51, s0, vcc_lo
	s_and_saveexec_b32 s1, s51
	s_cbranch_execz .LBB103_1062
; %bb.1059:                             ;   in Loop: Header=BB103_1043 Depth=2
	v_cmp_ne_u32_e32 vcc_lo, 1, v72
	v_mov_b32_e32 v73, v68
	s_cbranch_vccnz .LBB103_1061
; %bb.1060:                             ;   in Loop: Header=BB103_1043 Depth=2
	v_add_nc_u64_e32 v[74:75], s[88:89], v[32:33]
	flat_load_b32 v73, v[74:75]
.LBB103_1061:                           ;   in Loop: Header=BB103_1043 Depth=2
	s_wait_xcnt 0x0
	ds_load_b32 v74, v57 offset:128
	s_wait_loadcnt_dscnt 0x0
	v_fmac_f32_e32 v70, v73, v74
.LBB103_1062:                           ;   in Loop: Header=BB103_1043 Depth=2
	s_or_b32 exec_lo, exec_lo, s1
	v_add_nc_u32_e32 v4, 48, v4
	s_delay_alu instid0(VALU_DEP_1) | instskip(SKIP_1) | instid1(SALU_CYCLE_1)
	v_cmp_gt_i32_e32 vcc_lo, s95, v4
	s_and_b32 s51, s0, vcc_lo
	s_and_saveexec_b32 s1, s51
	s_cbranch_execz .LBB103_1042
; %bb.1063:                             ;   in Loop: Header=BB103_1043 Depth=2
	v_cmp_ne_u32_e32 vcc_lo, 1, v72
	v_mov_b32_e32 v4, v69
	s_cbranch_vccnz .LBB103_1041
; %bb.1064:                             ;   in Loop: Header=BB103_1043 Depth=2
	v_add_nc_u64_e32 v[32:33], s[90:91], v[32:33]
	flat_load_b32 v4, v[32:33]
	s_branch .LBB103_1041
.LBB103_1065:                           ;   in Loop: Header=BB103_3 Depth=1
	ds_store_b32 v59, v70
	s_wait_dscnt 0x0
	s_barrier_signal -1
	s_barrier_wait -1
	s_and_saveexec_b32 s8, s7
	s_cbranch_execz .LBB103_1067
; %bb.1066:                             ;   in Loop: Header=BB103_3 Depth=1
	ds_load_2addr_stride64_b32 v[28:29], v60 offset0:1 offset1:2
	ds_load_2addr_stride64_b32 v[32:33], v60 offset0:3 offset1:4
	;; [unrolled: 1-line block ×4, first 2 shown]
	v_readlane_b32 s1, v77, 3
	s_wait_dscnt 0x3
	v_add_f32_e32 v4, v70, v28
	s_delay_alu instid0(VALU_DEP_1) | instskip(SKIP_3) | instid1(VALU_DEP_1)
	v_add_f32_e32 v4, v4, v29
	ds_load_2addr_stride64_b32 v[28:29], v60 offset0:9 offset1:10
	s_wait_dscnt 0x3
	v_add_f32_e32 v4, v4, v32
	v_add_f32_e32 v4, v4, v33
	ds_load_2addr_stride64_b32 v[32:33], v60 offset0:11 offset1:12
	s_wait_dscnt 0x3
	v_add_f32_e32 v4, v4, v72
	ds_load_2addr_stride64_b32 v[70:71], v60 offset0:13 offset1:14
	ds_load_b32 v72, v60 offset:3840
	v_add_f32_e32 v4, v4, v73
	s_wait_dscnt 0x4
	s_delay_alu instid0(VALU_DEP_1) | instskip(NEXT) | instid1(VALU_DEP_1)
	v_add_f32_e32 v4, v4, v74
	v_add_f32_e32 v4, v4, v75
	s_wait_dscnt 0x3
	s_delay_alu instid0(VALU_DEP_1) | instskip(NEXT) | instid1(VALU_DEP_1)
	v_add_f32_e32 v4, v4, v28
	;; [unrolled: 4-line block ×5, first 2 shown]
	v_cndmask_b32_e64 v70, -v4, 0, s1
.LBB103_1067:                           ;   in Loop: Header=BB103_3 Depth=1
	s_or_b32 exec_lo, exec_lo, s8
	s_delay_alu instid0(SALU_CYCLE_1)
	s_and_not1_b32 vcc_lo, exec_lo, s99
	s_cbranch_vccnz .LBB103_1080
; %bb.1068:                             ;   in Loop: Header=BB103_3 Depth=1
	s_and_saveexec_b32 s1, s7
; %bb.1069:                             ;   in Loop: Header=BB103_3 Depth=1
	ds_store_b32 v62, v70
; %bb.1070:                             ;   in Loop: Header=BB103_3 Depth=1
	s_or_b32 exec_lo, exec_lo, s1
	v_mov_b32_e32 v4, 0
	s_wait_dscnt 0x0
	s_barrier_signal -1
	s_barrier_wait -1
	s_mov_b32 s1, exec_lo
	v_readlane_b32 s8, v76, 19
	s_and_b32 s8, s1, s8
	s_delay_alu instid0(SALU_CYCLE_1)
	s_mov_b32 exec_lo, s8
	s_cbranch_execz .LBB103_1072
; %bb.1071:                             ;   in Loop: Header=BB103_3 Depth=1
	ds_load_b32 v4, v61
	ds_load_b32 v28, v57
	s_wait_dscnt 0x0
	v_fma_f32 v4, v4, v28, 0
.LBB103_1072:                           ;   in Loop: Header=BB103_3 Depth=1
	s_or_b32 exec_lo, exec_lo, s1
	s_delay_alu instid0(SALU_CYCLE_1) | instskip(SKIP_2) | instid1(SALU_CYCLE_1)
	s_mov_b32 s1, exec_lo
	v_readlane_b32 s8, v76, 20
	s_and_b32 s8, s1, s8
	s_mov_b32 exec_lo, s8
	s_cbranch_execz .LBB103_1074
; %bb.1073:                             ;   in Loop: Header=BB103_3 Depth=1
	ds_load_b32 v28, v61 offset:4096
	ds_load_b32 v29, v57 offset:64
	s_wait_dscnt 0x0
	v_fmac_f32_e32 v4, v28, v29
.LBB103_1074:                           ;   in Loop: Header=BB103_3 Depth=1
	s_or_b32 exec_lo, exec_lo, s1
	s_delay_alu instid0(SALU_CYCLE_1) | instskip(SKIP_2) | instid1(SALU_CYCLE_1)
	s_mov_b32 s1, exec_lo
	v_readlane_b32 s8, v76, 21
	s_and_b32 s8, s1, s8
	s_mov_b32 exec_lo, s8
	s_cbranch_execz .LBB103_1076
; %bb.1075:                             ;   in Loop: Header=BB103_3 Depth=1
	ds_load_b32 v28, v61 offset:8192
	ds_load_b32 v29, v57 offset:128
	s_wait_dscnt 0x0
	v_fmac_f32_e32 v4, v28, v29
.LBB103_1076:                           ;   in Loop: Header=BB103_3 Depth=1
	;; [unrolled: 13-line block ×3, first 2 shown]
	s_or_b32 exec_lo, exec_lo, s1
	s_mov_b32 s8, 0
	s_mov_b32 s65, 0
	ds_store_b32 v59, v4
	s_wait_dscnt 0x0
	s_barrier_signal -1
	s_barrier_wait -1
                                        ; implicit-def: $vgpr28
	s_and_saveexec_b32 s92, s7
	s_cbranch_execz .LBB103_1108
; %bb.1079:                             ;   in Loop: Header=BB103_3 Depth=1
	ds_load_2addr_stride64_b32 v[28:29], v60 offset0:1 offset1:2
	ds_load_2addr_stride64_b32 v[32:33], v60 offset0:3 offset1:4
	;; [unrolled: 1-line block ×4, first 2 shown]
	s_mov_b32 s65, exec_lo
	s_wait_dscnt 0x3
	v_add_f32_e32 v4, v4, v28
	s_delay_alu instid0(VALU_DEP_1) | instskip(SKIP_3) | instid1(VALU_DEP_1)
	v_add_f32_e32 v4, v29, v4
	ds_load_2addr_stride64_b32 v[28:29], v60 offset0:9 offset1:10
	s_wait_dscnt 0x3
	v_add_f32_e32 v4, v32, v4
	v_add_f32_e32 v4, v33, v4
	ds_load_2addr_stride64_b32 v[32:33], v60 offset0:11 offset1:12
	s_wait_dscnt 0x3
	v_add_f32_e32 v4, v72, v4
	s_delay_alu instid0(VALU_DEP_1) | instskip(SKIP_4) | instid1(VALU_DEP_1)
	v_add_f32_e32 v4, v73, v4
	ds_load_2addr_stride64_b32 v[72:73], v60 offset0:13 offset1:14
	ds_load_b32 v71, v60 offset:3840
	s_wait_dscnt 0x4
	v_add_f32_e32 v4, v74, v4
	v_add_f32_e32 v4, v75, v4
	s_wait_dscnt 0x3
	s_delay_alu instid0(VALU_DEP_1) | instskip(NEXT) | instid1(VALU_DEP_1)
	v_add_f32_e32 v4, v28, v4
	v_add_f32_e32 v4, v29, v4
	s_wait_dscnt 0x2
	s_delay_alu instid0(VALU_DEP_1) | instskip(NEXT) | instid1(VALU_DEP_1)
	;; [unrolled: 4-line block ×3, first 2 shown]
	v_add_f32_e32 v4, v72, v4
	v_add_f32_e32 v4, v73, v4
	s_wait_dscnt 0x0
	s_delay_alu instid0(VALU_DEP_1) | instskip(SKIP_1) | instid1(SALU_CYCLE_1)
	v_add_f32_e32 v28, v71, v4
	s_or_b32 exec_lo, exec_lo, s92
	s_and_b32 vcc_lo, exec_lo, s8
	s_cbranch_vccnz .LBB103_1081
	s_branch .LBB103_1109
.LBB103_1080:                           ;   in Loop: Header=BB103_3 Depth=1
	s_mov_b32 s65, 0
                                        ; implicit-def: $vgpr28
	s_cbranch_execz .LBB103_1109
.LBB103_1081:                           ;   in Loop: Header=BB103_3 Depth=1
	v_dual_mov_b32 v4, v6 :: v_dual_mov_b32 v28, v38
	s_mov_b32 s8, 0
	s_branch .LBB103_1083
.LBB103_1082:                           ;   in Loop: Header=BB103_1083 Depth=2
	s_or_b32 exec_lo, exec_lo, s1
	v_add_nc_u32_e32 v28, 0x400, v28
	v_add_nc_u32_e32 v4, -4, v4
	s_add_co_i32 s8, s8, 4
	s_delay_alu instid0(SALU_CYCLE_1)
	s_cmp_lg_u32 s8, 64
	s_barrier_signal -1
	s_barrier_wait -1
	s_cbranch_scc0 .LBB103_1099
.LBB103_1083:                           ;   Parent Loop BB103_3 Depth=1
                                        ; =>  This Inner Loop Header: Depth=2
	s_delay_alu instid0(VALU_DEP_1) | instskip(SKIP_1) | instid1(SALU_CYCLE_1)
	v_cmp_eq_u32_e32 vcc_lo, 0, v4
	s_and_b32 s51, s7, vcc_lo
	s_and_saveexec_b32 s1, s51
; %bb.1084:                             ;   in Loop: Header=BB103_1083 Depth=2
	ds_store_b32 v5, v70 offset:20736
; %bb.1085:                             ;   in Loop: Header=BB103_1083 Depth=2
	s_or_b32 exec_lo, exec_lo, s1
	v_cmp_lt_u32_e32 vcc_lo, s8, v6
	s_wait_dscnt 0x0
	s_barrier_signal -1
	s_barrier_wait -1
	s_and_b32 s51, s7, vcc_lo
	s_delay_alu instid0(SALU_CYCLE_1)
	s_and_saveexec_b32 s1, s51
	s_cbranch_execz .LBB103_1087
; %bb.1086:                             ;   in Loop: Header=BB103_1083 Depth=2
	ds_load_b32 v29, v28
	ds_load_b32 v32, v5 offset:20736
	s_wait_dscnt 0x0
	v_fmac_f32_e32 v70, v29, v32
.LBB103_1087:                           ;   in Loop: Header=BB103_1083 Depth=2
	s_or_b32 exec_lo, exec_lo, s1
	s_or_b32 s1, s8, 1
	s_delay_alu instid0(SALU_CYCLE_1) | instskip(SKIP_3) | instid1(SALU_CYCLE_1)
	v_cmp_eq_u32_e32 vcc_lo, s1, v6
	s_barrier_signal -1
	s_barrier_wait -1
	s_and_b32 s92, s7, vcc_lo
	s_and_saveexec_b32 s51, s92
; %bb.1088:                             ;   in Loop: Header=BB103_1083 Depth=2
	ds_store_b32 v5, v70 offset:20736
; %bb.1089:                             ;   in Loop: Header=BB103_1083 Depth=2
	s_or_b32 exec_lo, exec_lo, s51
	v_cmp_lt_u32_e32 vcc_lo, s1, v6
	s_wait_dscnt 0x0
	s_barrier_signal -1
	s_barrier_wait -1
	s_and_b32 s51, s7, vcc_lo
	s_delay_alu instid0(SALU_CYCLE_1)
	s_and_saveexec_b32 s1, s51
	s_cbranch_execz .LBB103_1091
; %bb.1090:                             ;   in Loop: Header=BB103_1083 Depth=2
	ds_load_b32 v29, v28 offset:256
	ds_load_b32 v32, v5 offset:20736
	s_wait_dscnt 0x0
	v_fmac_f32_e32 v70, v29, v32
.LBB103_1091:                           ;   in Loop: Header=BB103_1083 Depth=2
	s_or_b32 exec_lo, exec_lo, s1
	s_or_b32 s1, s8, 2
	s_delay_alu instid0(SALU_CYCLE_1) | instskip(SKIP_3) | instid1(SALU_CYCLE_1)
	v_cmp_eq_u32_e32 vcc_lo, s1, v6
	s_barrier_signal -1
	s_barrier_wait -1
	s_and_b32 s92, s7, vcc_lo
	s_and_saveexec_b32 s51, s92
; %bb.1092:                             ;   in Loop: Header=BB103_1083 Depth=2
	ds_store_b32 v5, v70 offset:20736
; %bb.1093:                             ;   in Loop: Header=BB103_1083 Depth=2
	s_or_b32 exec_lo, exec_lo, s51
	v_cmp_lt_u32_e32 vcc_lo, s1, v6
	s_wait_dscnt 0x0
	s_barrier_signal -1
	s_barrier_wait -1
	s_and_b32 s51, s7, vcc_lo
	s_delay_alu instid0(SALU_CYCLE_1)
	s_and_saveexec_b32 s1, s51
	s_cbranch_execz .LBB103_1095
; %bb.1094:                             ;   in Loop: Header=BB103_1083 Depth=2
	ds_load_b32 v29, v28 offset:512
	ds_load_b32 v32, v5 offset:20736
	s_wait_dscnt 0x0
	v_fmac_f32_e32 v70, v29, v32
.LBB103_1095:                           ;   in Loop: Header=BB103_1083 Depth=2
	s_or_b32 exec_lo, exec_lo, s1
	s_or_b32 s1, s8, 3
	s_delay_alu instid0(SALU_CYCLE_1) | instskip(SKIP_3) | instid1(SALU_CYCLE_1)
	v_cmp_eq_u32_e32 vcc_lo, s1, v6
	s_barrier_signal -1
	s_barrier_wait -1
	s_and_b32 s92, s7, vcc_lo
	s_and_saveexec_b32 s51, s92
; %bb.1096:                             ;   in Loop: Header=BB103_1083 Depth=2
	ds_store_b32 v5, v70 offset:20736
; %bb.1097:                             ;   in Loop: Header=BB103_1083 Depth=2
	s_or_b32 exec_lo, exec_lo, s51
	v_cmp_lt_u32_e32 vcc_lo, s1, v6
	s_wait_dscnt 0x0
	s_barrier_signal -1
	s_barrier_wait -1
	s_and_b32 s51, s7, vcc_lo
	s_delay_alu instid0(SALU_CYCLE_1)
	s_and_saveexec_b32 s1, s51
	s_cbranch_execz .LBB103_1082
; %bb.1098:                             ;   in Loop: Header=BB103_1083 Depth=2
	ds_load_b32 v29, v28 offset:768
	ds_load_b32 v32, v5 offset:20736
	s_wait_dscnt 0x0
	v_fmac_f32_e32 v70, v29, v32
	s_branch .LBB103_1082
.LBB103_1099:                           ;   in Loop: Header=BB103_3 Depth=1
	s_and_b32 vcc_lo, exec_lo, s98
	s_mov_b32 s1, -1
	s_cbranch_vccz .LBB103_1101
; %bb.1100:                             ;   in Loop: Header=BB103_3 Depth=1
	s_and_not1_b32 s8, s65, exec_lo
	s_and_b32 s51, s7, exec_lo
	s_mov_b32 s1, 0
	s_or_b32 s65, s8, s51
.LBB103_1101:                           ;   in Loop: Header=BB103_3 Depth=1
	s_and_not1_b32 vcc_lo, exec_lo, s1
	s_cbranch_vccnz .LBB103_1103
; %bb.1102:                             ;   in Loop: Header=BB103_3 Depth=1
	v_readlane_b32 s8, v77, 4
	s_and_not1_b32 s1, s65, exec_lo
	s_and_b32 s8, s8, exec_lo
	s_delay_alu instid0(SALU_CYCLE_1)
	s_or_b32 s65, s1, s8
.LBB103_1103:                           ;   in Loop: Header=BB103_3 Depth=1
	v_mov_b64_e32 v[28:29], v[16:17]
	s_and_saveexec_b32 s1, s65
	s_cbranch_execnz .LBB103_1110
	s_branch .LBB103_1111
.LBB103_1104:                           ;   in Loop: Header=BB103_3 Depth=1
	v_readlane_b32 s8, v76, 23
	s_and_b32 s8, s8, exec_lo
	s_or_saveexec_b32 s1, s1
	v_mov_b32_e32 v70, 0
	s_xor_b32 exec_lo, exec_lo, s1
	s_cbranch_execz .LBB103_16
.LBB103_1105:                           ;   in Loop: Header=BB103_3 Depth=1
	v_lshl_add_u64 v[70:71], v[18:19], 2, v[32:33]
	s_or_b32 s8, s8, exec_lo
	flat_load_b32 v70, v[70:71]
	s_wait_loadcnt_dscnt 0x0
	v_xor_b32_e32 v70, 0x80000000, v70
	s_or_b32 exec_lo, exec_lo, s1
	s_and_saveexec_b32 s1, s8
	s_cbranch_execnz .LBB103_17
	s_branch .LBB103_18
.LBB103_1106:                           ;   in Loop: Header=BB103_3 Depth=1
	v_readlane_b32 s8, v76, 23
	s_and_b32 s8, s8, exec_lo
	s_or_saveexec_b32 s1, s1
	v_mov_b32_e32 v70, 0
	s_xor_b32 exec_lo, exec_lo, s1
	s_cbranch_execz .LBB103_40
.LBB103_1107:                           ;   in Loop: Header=BB103_3 Depth=1
	v_lshl_add_u64 v[70:71], v[18:19], 2, v[32:33]
	s_or_b32 s8, s8, exec_lo
	flat_load_b32 v70, v[70:71]
	s_wait_loadcnt_dscnt 0x0
	v_xor_b32_e32 v70, 0x80000000, v70
	s_or_b32 exec_lo, exec_lo, s1
	s_and_saveexec_b32 s1, s8
	s_cbranch_execnz .LBB103_41
	s_branch .LBB103_42
.LBB103_1108:                           ;   in Loop: Header=BB103_3 Depth=1
	s_or_b32 exec_lo, exec_lo, s92
	s_delay_alu instid0(SALU_CYCLE_1)
	s_and_b32 vcc_lo, exec_lo, s8
	s_cbranch_vccnz .LBB103_1081
.LBB103_1109:                           ;   in Loop: Header=BB103_3 Depth=1
	v_mov_b32_e32 v70, v28
	v_mov_b64_e32 v[28:29], v[14:15]
	s_and_saveexec_b32 s1, s65
	s_cbranch_execz .LBB103_1111
.LBB103_1110:                           ;   in Loop: Header=BB103_3 Depth=1
	s_delay_alu instid0(VALU_DEP_1)
	v_lshl_add_u64 v[28:29], v[28:29], 2, v[30:31]
	flat_store_b32 v[28:29], v70
.LBB103_1111:                           ;   in Loop: Header=BB103_3 Depth=1
	s_wait_xcnt 0x0
	s_or_b32 exec_lo, exec_lo, s1
	global_wb scope:SCOPE_DEV
	s_wait_storecnt_dscnt 0x0
	global_inv scope:SCOPE_DEV
	s_wait_loadcnt 0x0
	s_barrier_signal -1
	s_barrier_wait -1
	s_and_saveexec_b32 s1, s55
	s_cbranch_execz .LBB103_2
; %bb.1112:                             ;   in Loop: Header=BB103_3 Depth=1
	s_lshl_b64 s[92:93], s[66:67], 2
	s_delay_alu instid0(SALU_CYCLE_1)
	s_add_nc_u64 s[92:93], s[82:83], s[92:93]
	global_load_b32 v4, v5, s[92:93]
	s_wait_loadcnt 0x0
	v_add_nc_u32_e32 v4, 1, v4
	global_store_b32 v5, v4, s[92:93]
	s_branch .LBB103_2
.LBB103_1113:                           ;   in Loop: Header=BB103_3 Depth=1
	ds_load_b32 v33, v42 offset:272
	ds_load_b32 v70, v36 offset:4
	s_wait_dscnt 0x0
	v_fmac_f32_e32 v32, v33, v70
	s_or_b32 exec_lo, exec_lo, s1
	s_and_saveexec_b32 s1, s14
	s_cbranch_execz .LBB103_81
.LBB103_1114:                           ;   in Loop: Header=BB103_3 Depth=1
	ds_load_b32 v33, v40 offset:528
	ds_load_b32 v70, v36 offset:8
	s_wait_dscnt 0x0
	v_fmac_f32_e32 v32, v33, v70
	s_or_b32 exec_lo, exec_lo, s1
	s_and_saveexec_b32 s1, s2
	s_cbranch_execnz .LBB103_82
	s_branch .LBB103_83
.LBB103_1115:                           ;   in Loop: Header=BB103_3 Depth=1
	ds_load_b32 v33, v47 offset:288
	ds_load_b32 v70, v41 offset:4
	s_wait_dscnt 0x0
	v_fmac_f32_e32 v32, v33, v70
	s_or_b32 exec_lo, exec_lo, s1
	s_and_saveexec_b32 s1, s16
	s_cbranch_execz .LBB103_119
.LBB103_1116:                           ;   in Loop: Header=BB103_3 Depth=1
	ds_load_b32 v33, v47 offset:544
	ds_load_b32 v70, v41 offset:8
	s_wait_dscnt 0x0
	v_fmac_f32_e32 v32, v33, v70
	s_or_b32 exec_lo, exec_lo, s1
	s_and_saveexec_b32 s1, s17
	s_cbranch_execz .LBB103_120
.LBB103_1117:                           ;   in Loop: Header=BB103_3 Depth=1
	ds_load_b32 v33, v47 offset:800
	ds_load_b32 v70, v41 offset:12
	s_wait_dscnt 0x0
	v_fmac_f32_e32 v32, v33, v70
	s_or_b32 exec_lo, exec_lo, s1
	s_and_saveexec_b32 s1, s18
	s_cbranch_execz .LBB103_121
.LBB103_1118:                           ;   in Loop: Header=BB103_3 Depth=1
	ds_load_b32 v33, v46 offset:1056
	ds_load_b32 v70, v41 offset:16
	s_wait_dscnt 0x0
	v_fmac_f32_e32 v32, v33, v70
	s_or_b32 exec_lo, exec_lo, s1
	s_and_saveexec_b32 s1, s19
	s_cbranch_execz .LBB103_122
.LBB103_1119:                           ;   in Loop: Header=BB103_3 Depth=1
	ds_load_b32 v33, v47 offset:1312
	ds_load_b32 v70, v41 offset:20
	s_wait_dscnt 0x0
	v_fmac_f32_e32 v32, v33, v70
	s_or_b32 exec_lo, exec_lo, s1
	s_and_saveexec_b32 s1, s3
	s_cbranch_execz .LBB103_123
.LBB103_1120:                           ;   in Loop: Header=BB103_3 Depth=1
	ds_load_b32 v33, v46 offset:1568
	ds_load_b32 v70, v41 offset:24
	s_wait_dscnt 0x0
	v_fmac_f32_e32 v32, v33, v70
	s_or_b32 exec_lo, exec_lo, s1
	s_and_saveexec_b32 s1, s14
	s_cbranch_execnz .LBB103_124
	s_branch .LBB103_125
.LBB103_1121:                           ;   in Loop: Header=BB103_3 Depth=1
	ds_load_b32 v33, v42 offset:2352
	ds_load_b32 v70, v36 offset:2084
	s_wait_dscnt 0x0
	v_fmac_f32_e32 v32, v33, v70
	s_or_b32 exec_lo, exec_lo, s1
	s_and_saveexec_b32 s1, s14
	s_cbranch_execz .LBB103_177
.LBB103_1122:                           ;   in Loop: Header=BB103_3 Depth=1
	ds_load_b32 v33, v40 offset:2608
	ds_load_b32 v70, v36 offset:2088
	s_wait_dscnt 0x0
	v_fmac_f32_e32 v32, v33, v70
	s_or_b32 exec_lo, exec_lo, s1
	s_and_saveexec_b32 s1, s2
	s_cbranch_execnz .LBB103_178
	s_branch .LBB103_179
.LBB103_1123:                           ;   in Loop: Header=BB103_3 Depth=1
	ds_load_b32 v33, v54 offset:2880
	ds_load_b32 v70, v45 offset:44
	s_wait_dscnt 0x0
	v_fmac_f32_e32 v32, v33, v70
	s_or_b32 exec_lo, exec_lo, s1
	s_and_saveexec_b32 s1, s4
	s_cbranch_execz .LBB103_235
.LBB103_1124:                           ;   in Loop: Header=BB103_3 Depth=1
	ds_load_b32 v33, v53 offset:3136
	ds_load_b32 v70, v45 offset:48
	s_wait_dscnt 0x0
	v_fmac_f32_e32 v32, v33, v70
	s_or_b32 exec_lo, exec_lo, s1
	s_and_saveexec_b32 s1, s16
	s_cbranch_execz .LBB103_236
.LBB103_1125:                           ;   in Loop: Header=BB103_3 Depth=1
	ds_load_b32 v33, v54 offset:3392
	ds_load_b32 v70, v45 offset:52
	s_wait_dscnt 0x0
	v_fmac_f32_e32 v32, v33, v70
	s_or_b32 exec_lo, exec_lo, s1
	s_and_saveexec_b32 s1, s18
	s_cbranch_execz .LBB103_237
.LBB103_1126:                           ;   in Loop: Header=BB103_3 Depth=1
	ds_load_b32 v33, v53 offset:3648
	ds_load_b32 v70, v45 offset:56
	s_wait_dscnt 0x0
	v_fmac_f32_e32 v32, v33, v70
	s_or_b32 exec_lo, exec_lo, s1
	s_and_saveexec_b32 s1, s3
	s_cbranch_execnz .LBB103_238
	s_branch .LBB103_239
.LBB103_1127:                           ;   in Loop: Header=BB103_3 Depth=1
	ds_load_b32 v33, v42 offset:4432
	ds_load_b32 v70, v36 offset:4164
	s_wait_dscnt 0x0
	v_fmac_f32_e32 v32, v33, v70
	s_or_b32 exec_lo, exec_lo, s1
	s_and_saveexec_b32 s1, s14
	s_cbranch_execz .LBB103_323
.LBB103_1128:                           ;   in Loop: Header=BB103_3 Depth=1
	ds_load_b32 v33, v40 offset:4688
	ds_load_b32 v70, v36 offset:4168
	s_wait_dscnt 0x0
	v_fmac_f32_e32 v32, v33, v70
	s_or_b32 exec_lo, exec_lo, s1
	s_and_saveexec_b32 s1, s2
	s_cbranch_execnz .LBB103_324
	s_branch .LBB103_325
.LBB103_1129:                           ;   in Loop: Header=BB103_3 Depth=1
	ds_load_b32 v33, v47 offset:4448
	ds_load_b32 v70, v41 offset:4164
	s_wait_dscnt 0x0
	v_fmac_f32_e32 v32, v33, v70
	s_or_b32 exec_lo, exec_lo, s1
	s_and_saveexec_b32 s1, s16
	s_cbranch_execz .LBB103_361
.LBB103_1130:                           ;   in Loop: Header=BB103_3 Depth=1
	ds_load_b32 v33, v47 offset:4704
	ds_load_b32 v70, v41 offset:4168
	s_wait_dscnt 0x0
	v_fmac_f32_e32 v32, v33, v70
	s_or_b32 exec_lo, exec_lo, s1
	s_and_saveexec_b32 s1, s17
	s_cbranch_execz .LBB103_362
.LBB103_1131:                           ;   in Loop: Header=BB103_3 Depth=1
	ds_load_b32 v33, v47 offset:4960
	ds_load_b32 v70, v41 offset:4172
	s_wait_dscnt 0x0
	v_fmac_f32_e32 v32, v33, v70
	s_or_b32 exec_lo, exec_lo, s1
	s_and_saveexec_b32 s1, s18
	s_cbranch_execz .LBB103_363
.LBB103_1132:                           ;   in Loop: Header=BB103_3 Depth=1
	ds_load_b32 v33, v46 offset:5216
	ds_load_b32 v70, v41 offset:4176
	s_wait_dscnt 0x0
	v_fmac_f32_e32 v32, v33, v70
	s_or_b32 exec_lo, exec_lo, s1
	s_and_saveexec_b32 s1, s19
	s_cbranch_execz .LBB103_364
.LBB103_1133:                           ;   in Loop: Header=BB103_3 Depth=1
	ds_load_b32 v33, v47 offset:5472
	ds_load_b32 v70, v41 offset:4180
	s_wait_dscnt 0x0
	v_fmac_f32_e32 v32, v33, v70
	s_or_b32 exec_lo, exec_lo, s1
	s_and_saveexec_b32 s1, s3
	s_cbranch_execz .LBB103_365
.LBB103_1134:                           ;   in Loop: Header=BB103_3 Depth=1
	ds_load_b32 v33, v46 offset:5728
	ds_load_b32 v70, v41 offset:4184
	s_wait_dscnt 0x0
	v_fmac_f32_e32 v32, v33, v70
	s_or_b32 exec_lo, exec_lo, s1
	s_and_saveexec_b32 s1, s14
	s_cbranch_execnz .LBB103_366
	s_branch .LBB103_367
.LBB103_1135:                           ;   in Loop: Header=BB103_3 Depth=1
	ds_load_b32 v33, v42 offset:6512
	ds_load_b32 v70, v36 offset:6244
	s_wait_dscnt 0x0
	v_fmac_f32_e32 v32, v33, v70
	s_or_b32 exec_lo, exec_lo, s1
	s_and_saveexec_b32 s1, s14
	s_cbranch_execz .LBB103_419
.LBB103_1136:                           ;   in Loop: Header=BB103_3 Depth=1
	ds_load_b32 v33, v40 offset:6768
	ds_load_b32 v70, v36 offset:6248
	s_wait_dscnt 0x0
	v_fmac_f32_e32 v32, v33, v70
	s_or_b32 exec_lo, exec_lo, s1
	s_and_saveexec_b32 s1, s2
	s_cbranch_execnz .LBB103_420
	s_branch .LBB103_421
.LBB103_1137:                           ;   in Loop: Header=BB103_3 Depth=1
	ds_load_b32 v70, v56 offset:7552
	ds_load_b32 v71, v33 offset:116
	s_wait_dscnt 0x0
	v_fmac_f32_e32 v32, v70, v71
	s_or_b32 exec_lo, exec_lo, s1
	s_and_saveexec_b32 s1, s4
	s_cbranch_execz .LBB103_513
.LBB103_1138:                           ;   in Loop: Header=BB103_3 Depth=1
	ds_load_b32 v70, v56 offset:7808
	ds_load_b32 v33, v33 offset:120
	s_wait_dscnt 0x0
	v_fmac_f32_e32 v32, v70, v33
	s_or_b32 exec_lo, exec_lo, s1
	s_and_saveexec_b32 s1, s18
	s_cbranch_execnz .LBB103_514
	s_branch .LBB103_515
.LBB103_1139:                           ;   in Loop: Header=BB103_3 Depth=1
	ds_load_b32 v33, v42 offset:8592
	ds_load_b32 v70, v36 offset:8324
	s_wait_dscnt 0x0
	v_fmac_f32_e32 v32, v33, v70
	s_or_b32 exec_lo, exec_lo, s1
	s_and_saveexec_b32 s1, s14
	s_cbranch_execz .LBB103_663
.LBB103_1140:                           ;   in Loop: Header=BB103_3 Depth=1
	ds_load_b32 v33, v40 offset:8848
	ds_load_b32 v70, v36 offset:8328
	s_wait_dscnt 0x0
	v_fmac_f32_e32 v32, v33, v70
	s_or_b32 exec_lo, exec_lo, s1
	s_and_saveexec_b32 s1, s2
	s_cbranch_execnz .LBB103_664
	s_branch .LBB103_665
.LBB103_1141:                           ;   in Loop: Header=BB103_3 Depth=1
	ds_load_b32 v33, v47 offset:8608
	ds_load_b32 v70, v41 offset:8324
	s_wait_dscnt 0x0
	v_fmac_f32_e32 v32, v33, v70
	s_or_b32 exec_lo, exec_lo, s1
	s_and_saveexec_b32 s1, s16
	s_cbranch_execz .LBB103_701
.LBB103_1142:                           ;   in Loop: Header=BB103_3 Depth=1
	ds_load_b32 v33, v47 offset:8864
	ds_load_b32 v70, v41 offset:8328
	s_wait_dscnt 0x0
	v_fmac_f32_e32 v32, v33, v70
	s_or_b32 exec_lo, exec_lo, s1
	s_and_saveexec_b32 s1, s17
	s_cbranch_execz .LBB103_702
.LBB103_1143:                           ;   in Loop: Header=BB103_3 Depth=1
	ds_load_b32 v33, v47 offset:9120
	ds_load_b32 v70, v41 offset:8332
	s_wait_dscnt 0x0
	v_fmac_f32_e32 v32, v33, v70
	s_or_b32 exec_lo, exec_lo, s1
	s_and_saveexec_b32 s1, s18
	s_cbranch_execz .LBB103_703
.LBB103_1144:                           ;   in Loop: Header=BB103_3 Depth=1
	ds_load_b32 v33, v46 offset:9376
	ds_load_b32 v70, v41 offset:8336
	s_wait_dscnt 0x0
	v_fmac_f32_e32 v32, v33, v70
	s_or_b32 exec_lo, exec_lo, s1
	s_and_saveexec_b32 s1, s19
	s_cbranch_execz .LBB103_704
.LBB103_1145:                           ;   in Loop: Header=BB103_3 Depth=1
	ds_load_b32 v33, v47 offset:9632
	ds_load_b32 v70, v41 offset:8340
	s_wait_dscnt 0x0
	v_fmac_f32_e32 v32, v33, v70
	s_or_b32 exec_lo, exec_lo, s1
	s_and_saveexec_b32 s1, s3
	s_cbranch_execz .LBB103_705
.LBB103_1146:                           ;   in Loop: Header=BB103_3 Depth=1
	ds_load_b32 v33, v46 offset:9888
	ds_load_b32 v70, v41 offset:8344
	s_wait_dscnt 0x0
	v_fmac_f32_e32 v32, v33, v70
	s_or_b32 exec_lo, exec_lo, s1
	s_and_saveexec_b32 s1, s14
	s_cbranch_execnz .LBB103_706
	s_branch .LBB103_707
.LBB103_1147:                           ;   in Loop: Header=BB103_3 Depth=1
	ds_load_b32 v33, v42 offset:10672
	ds_load_b32 v70, v36 offset:10404
	s_wait_dscnt 0x0
	v_fmac_f32_e32 v32, v33, v70
	s_or_b32 exec_lo, exec_lo, s1
	s_and_saveexec_b32 s1, s14
	s_cbranch_execz .LBB103_759
.LBB103_1148:                           ;   in Loop: Header=BB103_3 Depth=1
	ds_load_b32 v33, v40 offset:10928
	ds_load_b32 v70, v36 offset:10408
	s_wait_dscnt 0x0
	v_fmac_f32_e32 v32, v33, v70
	s_or_b32 exec_lo, exec_lo, s1
	s_and_saveexec_b32 s1, s2
	s_cbranch_execnz .LBB103_760
	s_branch .LBB103_761
.LBB103_1149:                           ;   in Loop: Header=BB103_3 Depth=1
	ds_load_b32 v33, v54 offset:11200
	ds_load_b32 v70, v45 offset:8364
	s_wait_dscnt 0x0
	v_fmac_f32_e32 v32, v33, v70
	s_or_b32 exec_lo, exec_lo, s1
	s_and_saveexec_b32 s1, s4
	s_cbranch_execz .LBB103_817
.LBB103_1150:                           ;   in Loop: Header=BB103_3 Depth=1
	ds_load_b32 v33, v53 offset:11456
	ds_load_b32 v70, v45 offset:8368
	s_wait_dscnt 0x0
	v_fmac_f32_e32 v32, v33, v70
	s_or_b32 exec_lo, exec_lo, s1
	s_and_saveexec_b32 s1, s16
	s_cbranch_execz .LBB103_818
.LBB103_1151:                           ;   in Loop: Header=BB103_3 Depth=1
	ds_load_b32 v33, v54 offset:11712
	ds_load_b32 v70, v45 offset:8372
	s_wait_dscnt 0x0
	v_fmac_f32_e32 v32, v33, v70
	s_or_b32 exec_lo, exec_lo, s1
	s_and_saveexec_b32 s1, s18
	s_cbranch_execz .LBB103_819
.LBB103_1152:                           ;   in Loop: Header=BB103_3 Depth=1
	ds_load_b32 v33, v53 offset:11968
	ds_load_b32 v70, v45 offset:8376
	s_wait_dscnt 0x0
	v_fmac_f32_e32 v32, v33, v70
	s_or_b32 exec_lo, exec_lo, s1
	s_and_saveexec_b32 s1, s3
	s_cbranch_execnz .LBB103_820
	s_branch .LBB103_821
.LBB103_1153:                           ;   in Loop: Header=BB103_3 Depth=1
	ds_load_b32 v33, v42 offset:12752
	ds_load_b32 v70, v36 offset:12484
	s_wait_dscnt 0x0
	v_fmac_f32_e32 v32, v33, v70
	s_or_b32 exec_lo, exec_lo, s1
	s_and_saveexec_b32 s1, s14
	s_cbranch_execz .LBB103_905
.LBB103_1154:                           ;   in Loop: Header=BB103_3 Depth=1
	ds_load_b32 v33, v40 offset:13008
	ds_load_b32 v70, v36 offset:12488
	s_wait_dscnt 0x0
	v_fmac_f32_e32 v32, v33, v70
	s_or_b32 exec_lo, exec_lo, s1
	s_and_saveexec_b32 s1, s2
	s_cbranch_execnz .LBB103_906
	s_branch .LBB103_907
.LBB103_1155:                           ;   in Loop: Header=BB103_3 Depth=1
	ds_load_b32 v33, v47 offset:12768
	ds_load_b32 v70, v41 offset:12484
	s_wait_dscnt 0x0
	v_fmac_f32_e32 v32, v33, v70
	s_or_b32 exec_lo, exec_lo, s1
	s_and_saveexec_b32 s1, s16
	s_cbranch_execz .LBB103_943
.LBB103_1156:                           ;   in Loop: Header=BB103_3 Depth=1
	ds_load_b32 v33, v47 offset:13024
	ds_load_b32 v70, v41 offset:12488
	s_wait_dscnt 0x0
	v_fmac_f32_e32 v32, v33, v70
	s_or_b32 exec_lo, exec_lo, s1
	s_and_saveexec_b32 s1, s17
	s_cbranch_execz .LBB103_944
.LBB103_1157:                           ;   in Loop: Header=BB103_3 Depth=1
	ds_load_b32 v33, v47 offset:13280
	ds_load_b32 v70, v41 offset:12492
	s_wait_dscnt 0x0
	v_fmac_f32_e32 v32, v33, v70
	s_or_b32 exec_lo, exec_lo, s1
	s_and_saveexec_b32 s1, s18
	s_cbranch_execz .LBB103_945
.LBB103_1158:                           ;   in Loop: Header=BB103_3 Depth=1
	ds_load_b32 v33, v46 offset:13536
	ds_load_b32 v70, v41 offset:12496
	s_wait_dscnt 0x0
	v_fmac_f32_e32 v32, v33, v70
	s_or_b32 exec_lo, exec_lo, s1
	s_and_saveexec_b32 s1, s19
	s_cbranch_execz .LBB103_946
.LBB103_1159:                           ;   in Loop: Header=BB103_3 Depth=1
	ds_load_b32 v33, v47 offset:13792
	ds_load_b32 v70, v41 offset:12500
	s_wait_dscnt 0x0
	v_fmac_f32_e32 v32, v33, v70
	s_or_b32 exec_lo, exec_lo, s1
	s_and_saveexec_b32 s1, s3
	s_cbranch_execz .LBB103_947
.LBB103_1160:                           ;   in Loop: Header=BB103_3 Depth=1
	ds_load_b32 v33, v46 offset:14048
	ds_load_b32 v70, v41 offset:12504
	s_wait_dscnt 0x0
	v_fmac_f32_e32 v32, v33, v70
	s_or_b32 exec_lo, exec_lo, s1
	s_and_saveexec_b32 s1, s14
	s_cbranch_execnz .LBB103_948
	s_branch .LBB103_949
.LBB103_1161:                           ;   in Loop: Header=BB103_3 Depth=1
	ds_load_b32 v33, v42 offset:14832
	ds_load_b32 v70, v36 offset:14564
	s_wait_dscnt 0x0
	v_fmac_f32_e32 v32, v33, v70
	s_or_b32 exec_lo, exec_lo, s1
	s_and_saveexec_b32 s1, s14
	s_cbranch_execz .LBB103_1001
.LBB103_1162:                           ;   in Loop: Header=BB103_3 Depth=1
	ds_load_b32 v33, v40 offset:15088
	ds_load_b32 v70, v36 offset:14568
	s_wait_dscnt 0x0
	v_fmac_f32_e32 v32, v33, v70
	s_or_b32 exec_lo, exec_lo, s1
	s_and_saveexec_b32 s1, s2
	s_cbranch_execnz .LBB103_1002
	s_branch .LBB103_1003
.LBB103_1163:
	s_endpgm
	.section	.rodata,"a",@progbits
	.p2align	6, 0x0
	.amdhsa_kernel _ZL19rocblas_trsv_deviceILi64ELi16ELb1ELb0ELb0ELb1EfPKfPKS1_PKPfEviT7_lllT6_T8_lllPii
		.amdhsa_group_segment_fixed_size 20740
		.amdhsa_private_segment_fixed_size 0
		.amdhsa_kernarg_size 352
		.amdhsa_user_sgpr_count 2
		.amdhsa_user_sgpr_dispatch_ptr 0
		.amdhsa_user_sgpr_queue_ptr 0
		.amdhsa_user_sgpr_kernarg_segment_ptr 1
		.amdhsa_user_sgpr_dispatch_id 0
		.amdhsa_user_sgpr_kernarg_preload_length 0
		.amdhsa_user_sgpr_kernarg_preload_offset 0
		.amdhsa_user_sgpr_private_segment_size 0
		.amdhsa_wavefront_size32 1
		.amdhsa_uses_dynamic_stack 0
		.amdhsa_enable_private_segment 0
		.amdhsa_system_sgpr_workgroup_id_x 1
		.amdhsa_system_sgpr_workgroup_id_y 0
		.amdhsa_system_sgpr_workgroup_id_z 1
		.amdhsa_system_sgpr_workgroup_info 0
		.amdhsa_system_vgpr_workitem_id 1
		.amdhsa_next_free_vgpr 80
		.amdhsa_next_free_sgpr 105
		.amdhsa_named_barrier_count 0
		.amdhsa_reserve_vcc 1
		.amdhsa_float_round_mode_32 0
		.amdhsa_float_round_mode_16_64 0
		.amdhsa_float_denorm_mode_32 3
		.amdhsa_float_denorm_mode_16_64 3
		.amdhsa_fp16_overflow 0
		.amdhsa_memory_ordered 1
		.amdhsa_forward_progress 1
		.amdhsa_inst_pref_size 235
		.amdhsa_round_robin_scheduling 0
		.amdhsa_exception_fp_ieee_invalid_op 0
		.amdhsa_exception_fp_denorm_src 0
		.amdhsa_exception_fp_ieee_div_zero 0
		.amdhsa_exception_fp_ieee_overflow 0
		.amdhsa_exception_fp_ieee_underflow 0
		.amdhsa_exception_fp_ieee_inexact 0
		.amdhsa_exception_int_div_zero 0
	.end_amdhsa_kernel
	.section	.text._ZL19rocblas_trsv_deviceILi64ELi16ELb1ELb0ELb0ELb1EfPKfPKS1_PKPfEviT7_lllT6_T8_lllPii,"axG",@progbits,_ZL19rocblas_trsv_deviceILi64ELi16ELb1ELb0ELb0ELb1EfPKfPKS1_PKPfEviT7_lllT6_T8_lllPii,comdat
.Lfunc_end103:
	.size	_ZL19rocblas_trsv_deviceILi64ELi16ELb1ELb0ELb0ELb1EfPKfPKS1_PKPfEviT7_lllT6_T8_lllPii, .Lfunc_end103-_ZL19rocblas_trsv_deviceILi64ELi16ELb1ELb0ELb0ELb1EfPKfPKS1_PKPfEviT7_lllT6_T8_lllPii
                                        ; -- End function
	.set _ZL19rocblas_trsv_deviceILi64ELi16ELb1ELb0ELb0ELb1EfPKfPKS1_PKPfEviT7_lllT6_T8_lllPii.num_vgpr, 80
	.set _ZL19rocblas_trsv_deviceILi64ELi16ELb1ELb0ELb0ELb1EfPKfPKS1_PKPfEviT7_lllT6_T8_lllPii.num_agpr, 0
	.set _ZL19rocblas_trsv_deviceILi64ELi16ELb1ELb0ELb0ELb1EfPKfPKS1_PKPfEviT7_lllT6_T8_lllPii.numbered_sgpr, 105
	.set _ZL19rocblas_trsv_deviceILi64ELi16ELb1ELb0ELb0ELb1EfPKfPKS1_PKPfEviT7_lllT6_T8_lllPii.num_named_barrier, 0
	.set _ZL19rocblas_trsv_deviceILi64ELi16ELb1ELb0ELb0ELb1EfPKfPKS1_PKPfEviT7_lllT6_T8_lllPii.private_seg_size, 0
	.set _ZL19rocblas_trsv_deviceILi64ELi16ELb1ELb0ELb0ELb1EfPKfPKS1_PKPfEviT7_lllT6_T8_lllPii.uses_vcc, 1
	.set _ZL19rocblas_trsv_deviceILi64ELi16ELb1ELb0ELb0ELb1EfPKfPKS1_PKPfEviT7_lllT6_T8_lllPii.uses_flat_scratch, 0
	.set _ZL19rocblas_trsv_deviceILi64ELi16ELb1ELb0ELb0ELb1EfPKfPKS1_PKPfEviT7_lllT6_T8_lllPii.has_dyn_sized_stack, 0
	.set _ZL19rocblas_trsv_deviceILi64ELi16ELb1ELb0ELb0ELb1EfPKfPKS1_PKPfEviT7_lllT6_T8_lllPii.has_recursion, 0
	.set _ZL19rocblas_trsv_deviceILi64ELi16ELb1ELb0ELb0ELb1EfPKfPKS1_PKPfEviT7_lllT6_T8_lllPii.has_indirect_call, 0
	.section	.AMDGPU.csdata,"",@progbits
; Kernel info:
; codeLenInByte = 29996
; TotalNumSgprs: 107
; NumVgprs: 80
; ScratchSize: 0
; MemoryBound: 0
; FloatMode: 240
; IeeeMode: 1
; LDSByteSize: 20740 bytes/workgroup (compile time only)
; SGPRBlocks: 0
; VGPRBlocks: 4
; NumSGPRsForWavesPerEU: 107
; NumVGPRsForWavesPerEU: 80
; NamedBarCnt: 0
; Occupancy: 12
; WaveLimiterHint : 1
; COMPUTE_PGM_RSRC2:SCRATCH_EN: 0
; COMPUTE_PGM_RSRC2:USER_SGPR: 2
; COMPUTE_PGM_RSRC2:TRAP_HANDLER: 0
; COMPUTE_PGM_RSRC2:TGID_X_EN: 1
; COMPUTE_PGM_RSRC2:TGID_Y_EN: 0
; COMPUTE_PGM_RSRC2:TGID_Z_EN: 1
; COMPUTE_PGM_RSRC2:TIDIG_COMP_CNT: 1
	.section	.text._ZL19rocblas_trsv_deviceILi64ELi16ELb1ELb1ELb0ELb1EfPKfPKS1_PKPfEviT7_lllT6_T8_lllPii,"axG",@progbits,_ZL19rocblas_trsv_deviceILi64ELi16ELb1ELb1ELb0ELb1EfPKfPKS1_PKPfEviT7_lllT6_T8_lllPii,comdat
	.globl	_ZL19rocblas_trsv_deviceILi64ELi16ELb1ELb1ELb0ELb1EfPKfPKS1_PKPfEviT7_lllT6_T8_lllPii ; -- Begin function _ZL19rocblas_trsv_deviceILi64ELi16ELb1ELb1ELb0ELb1EfPKfPKS1_PKPfEviT7_lllT6_T8_lllPii
	.p2align	8
	.type	_ZL19rocblas_trsv_deviceILi64ELi16ELb1ELb1ELb0ELb1EfPKfPKS1_PKPfEviT7_lllT6_T8_lllPii,@function
_ZL19rocblas_trsv_deviceILi64ELi16ELb1ELb1ELb0ELb1EfPKfPKS1_PKPfEviT7_lllT6_T8_lllPii: ; @_ZL19rocblas_trsv_deviceILi64ELi16ELb1ELb1ELb0ELb1EfPKfPKS1_PKPfEviT7_lllT6_T8_lllPii
; %bb.0:
	s_load_b32 s6, s[0:1], 0x58
	s_bfe_u32 s2, ttmp6, 0x40014
	s_lshr_b32 s3, ttmp7, 16
	s_add_co_i32 s2, s2, 1
	s_bfe_u32 s5, ttmp6, 0x40008
	s_mul_i32 s4, s3, s2
	s_getreg_b32 s2, hwreg(HW_REG_IB_STS2, 6, 4)
	s_add_co_i32 s5, s5, s4
	s_cmp_eq_u32 s2, 0
	s_mov_b32 s63, 0
	s_cselect_b32 s62, s3, s5
                                        ; implicit-def: $vgpr95 : SGPR spill to VGPR lane
	s_wait_kmcnt 0x0
	s_cmp_ge_u32 s62, s6
	v_writelane_b32 v95, s6, 0
	s_cbranch_scc1 .LBB104_1225
; %bb.1:
	s_clause 0x3
	s_load_b32 s3, s[0:1], 0x6c
	s_load_b32 s85, s[0:1], 0x60
	;; [unrolled: 1-line block ×3, first 2 shown]
	s_load_b64 s[14:15], s[0:1], 0x18
	s_bfe_u32 s5, ttmp6, 0x4000c
	s_and_b32 s4, ttmp6, 15
	s_add_co_i32 s5, s5, 1
	v_and_b32_e32 v4, 0x3ff, v0
	s_mul_i32 s5, ttmp9, s5
	v_dual_mov_b32 v7, 0 :: v_dual_bitop2_b32 v1, 1, v0 bitop3:0x40
	s_add_co_i32 s4, s4, s5
	s_cmp_eq_u32 s2, 0
	v_bfe_u32 v2, v0, 10, 10
	s_cselect_b32 s84, ttmp9, s4
	v_dual_mov_b32 v9, v7 :: v_dual_lshlrev_b32 v5, 6, v4
	v_cmp_eq_u32_e32 vcc_lo, 1, v1
	s_delay_alu instid0(VALU_DEP_3)
	v_lshl_add_u32 v30, v2, 6, v4
	v_and_b32_e32 v45, 3, v0
	s_wait_kmcnt 0x0
	s_and_b32 s2, s3, 0xffff
	s_add_co_i32 s85, s85, -1
	s_add_co_i32 s3, s76, -1
	s_ashr_i32 s77, s76, 31
	s_ashr_i32 s4, s3, 31
	s_lshr_b32 s5, s77, 26
	s_lshr_b32 s4, s4, 26
	s_add_co_i32 s5, s76, s5
	s_add_co_i32 s3, s3, s4
	s_and_not1_b32 s5, s5, 63
	s_sub_co_i32 s42, s85, s84
	s_ashr_i32 s3, s3, 6
	s_sub_co_i32 s13, s76, s5
	s_cmp_eq_u32 s3, s42
	v_mad_u32_u24 v8, v2, s2, v4
	s_cselect_b32 s3, -1, 0
	s_cmp_lg_u32 s13, 0
	v_dual_add_nc_u32 v28, 32, v2 :: v_dual_bitop2_b32 v51, 7, v0 bitop3:0x40
	s_cselect_b32 s4, -1, 0
	v_dual_add_nc_u32 v26, 48, v2 :: v_dual_bitop2_b32 v60, 15, v0 bitop3:0x40
	s_and_b32 s40, s4, s3
	s_add_nc_u64 s[4:5], s[14:15], 1
	s_xor_b32 s86, s40, -1
	s_cmp_lg_u32 s84, 0
	v_cmp_ne_u32_e64 s10, 0, v51
	s_cselect_b32 s3, -1, 0
	s_lshl_b32 s18, s42, 6
	s_delay_alu instid0(SALU_CYCLE_1) | instskip(SKIP_2) | instid1(VALU_DEP_2)
	v_dual_add_nc_u32 v6, 16, v2 :: v_dual_add_nc_u32 v24, s18, v4
	v_add_nc_u32_e32 v3, v2, v5
	s_cmp_lt_i32 s84, 5
	v_dual_add_nc_u32 v33, s18, v2 :: v_dual_add_nc_u32 v12, v6, v5
	s_cselect_b32 s2, -1, 0
	v_lshl_add_u32 v13, v6, 6, v4
	v_ashrrev_i32_e32 v25, 31, v24
	s_or_b32 s8, s2, s40
	v_cndmask_b32_e64 v31, v30, v3, s2
	v_cmp_gt_u32_e64 s2, 4, v30
	v_writelane_b32 v95, s3, 1
	s_ashr_i32 s19, s18, 31
	s_xor_b32 s3, vcc_lo, -1
	s_mul_u64 s[16:17], s[4:5], s[18:19]
	s_and_b32 s89, s3, s2
	s_and_b32 s90, vcc_lo, s2
	v_cmp_eq_u32_e64 s3, 0, v2
	v_cmp_gt_u32_e32 vcc_lo, 2, v4
	v_cmp_gt_u32_e64 s4, 16, v30
	v_mov_b32_e32 v3, v7
	v_cmp_eq_u32_e64 s5, 0, v45
	v_cmp_ne_u32_e64 s6, 0, v45
	v_cmp_eq_u32_e64 s7, 1, v45
	v_cmp_lt_u32_e64 s9, 1, v45
	s_and_b32 s91, s3, vcc_lo
	s_and_b32 s92, s5, s4
	s_and_b32 s93, s6, s4
	;; [unrolled: 1-line block ×3, first 2 shown]
	v_cmp_eq_u32_e32 vcc_lo, 2, v45
	v_cmp_eq_u32_e64 s6, 3, v45
	v_cmp_gt_u32_e64 s7, 4, v4
	v_cmp_gt_u32_e64 s5, 64, v30
	s_and_b32 s95, s9, s4
	v_cmp_eq_u32_e64 s9, 0, v51
	s_and_b32 s96, vcc_lo, s4
	s_and_b32 s97, s6, s4
	s_and_b32 s98, s3, s7
	;; [unrolled: 1-line block ×3, first 2 shown]
	v_cmp_eq_u32_e32 vcc_lo, 1, v51
	v_cmp_lt_u32_e64 s6, 1, v51
	v_cmp_eq_u32_e64 s7, 2, v51
	v_cmp_eq_u32_e64 s10, 3, v51
	s_and_b32 s99, s9, s5
	v_cmp_lt_u32_e64 s9, 2, v51
	s_and_b32 s101, vcc_lo, s5
	s_and_b32 s102, s6, s5
	s_and_b32 s103, s7, s5
	s_and_b32 vcc_hi, s10, s5
	v_cmp_lt_u32_e32 vcc_lo, 3, v51
	v_cmp_eq_u32_e64 s6, 4, v51
	v_cmp_lt_u32_e64 s7, 4, v51
	v_cmp_lt_u32_e64 s10, 5, v51
	s_and_b32 s104, s9, s5
	v_cmp_eq_u32_e64 s9, 5, v51
	s_and_b32 s31, vcc_lo, s5
	s_and_b32 s33, s6, s5
	s_and_b32 s34, s7, s5
	;; [unrolled: 1-line block ×3, first 2 shown]
	v_cmp_eq_u32_e32 vcc_lo, 6, v51
	v_cmp_eq_u32_e64 s7, 7, v51
	v_cmp_gt_u32_e64 s6, 0x100, v30
	v_cmp_eq_u32_e64 s10, 0, v60
	s_and_b32 s35, s9, s5
	v_cmp_gt_u32_e64 s9, 8, v4
	s_and_b32 s37, vcc_lo, s5
	v_cmp_ne_u32_e32 vcc_lo, 0, v60
	s_and_b32 s38, s7, s5
	s_and_b32 s7, s10, s6
	s_and_b32 s39, s3, s9
	v_writelane_b32 v95, s7, 2
	v_cmp_eq_u32_e64 s7, 1, v60
	s_and_b32 s9, vcc_lo, s6
	v_cmp_lt_u32_e32 vcc_lo, 1, v60
	v_cmp_lt_u32_e64 s10, 2, v60
	v_writelane_b32 v95, s9, 3
	s_and_b32 s7, s7, s6
	v_cmp_eq_u32_e64 s9, 2, v60
	s_and_b32 s11, vcc_lo, s6
	v_cmp_lt_u32_e32 vcc_lo, 3, v60
	v_writelane_b32 v95, s7, 4
	v_cmp_eq_u32_e64 s7, 3, v60
	s_and_b32 s9, s9, s6
	v_dual_mov_b32 v29, v7 :: v_dual_bitop2_b32 v63, 31, v0 bitop3:0x40
	v_writelane_b32 v95, s11, 5
	s_and_b32 s7, s7, s6
	s_and_b32 s11, vcc_lo, s6
	v_cmp_lt_u32_e32 vcc_lo, 5, v60
	v_cmp_eq_u32_e64 s12, 2, v63
	v_writelane_b32 v95, s9, 6
	s_and_b32 s9, s10, s6
	v_cmp_eq_u32_e64 s10, 5, v60
	s_and_b32 s51, vcc_lo, s6
	v_cmp_lt_u32_e32 vcc_lo, 6, v60
	v_writelane_b32 v95, s9, 7
	v_cmp_lt_u32_e64 s9, 4, v60
	s_and_b32 s50, s10, s6
	v_cmp_lt_u32_e64 s10, 7, v60
	s_and_b32 s53, vcc_lo, s6
	v_writelane_b32 v95, s7, 8
	v_cmp_eq_u32_e64 s7, 4, v60
	v_cmp_lt_u32_e32 vcc_lo, 8, v60
	s_and_b32 s49, s9, s6
	v_cmp_eq_u32_e64 s9, 7, v60
	s_and_b32 s20, s10, s6
	s_and_b32 s48, s7, s6
	v_cmp_eq_u32_e64 s7, 6, v60
	s_and_b32 s24, vcc_lo, s6
	v_cmp_lt_u32_e32 vcc_lo, 10, v60
	s_and_b32 s54, s9, s6
	v_cmp_lt_u32_e64 s9, 9, v60
	s_and_b32 s52, s7, s6
	v_cmp_eq_u32_e64 s7, 8, v60
	s_and_b32 s57, vcc_lo, s6
	v_cmp_lt_u32_e32 vcc_lo, 11, v60
	v_cmp_eq_u32_e64 s10, 10, v60
	s_and_b32 s28, s9, s6
	s_and_b32 s22, s7, s6
	v_cmp_eq_u32_e64 s7, 9, v60
	v_cmp_eq_u32_e64 s9, 12, v60
	s_and_b32 s59, vcc_lo, s6
	v_cmp_lt_u32_e32 vcc_lo, 13, v60
	s_and_b32 s30, s10, s6
	s_and_b32 s26, s7, s6
	v_cmp_eq_u32_e64 s7, 11, v60
	v_cmp_lt_u32_e64 s10, 12, v60
	s_and_b32 s60, s9, s6
	v_cmp_eq_u32_e64 s9, 15, v60
	s_and_b32 s25, vcc_lo, s6
	s_and_b32 s58, s7, s6
	v_cmp_eq_u32_e64 s7, 13, v60
	v_cmp_eq_u32_e32 vcc_lo, 0, v63
	v_writelane_b32 v95, s11, 9
	s_and_b32 s21, s10, s6
	v_cmp_gt_u32_e64 s10, 16, v4
	s_and_b32 s23, s7, s6
	v_cmp_eq_u32_e64 s7, 14, v60
	s_and_b32 s29, s9, s6
	v_cmp_ne_u32_e64 s9, 0, v63
	s_and_b32 s61, s3, s10
	v_cmp_eq_u32_e64 s10, 1, v63
	s_and_b32 s27, s7, s6
	v_cmp_gt_u32_e64 s7, 0x400, v30
	v_cmp_lt_u32_e64 s11, 1, v63
	v_mov_b32_e32 v27, v7
	v_mul_u64_e32 v[10:11], s[14:15], v[24:25]
	v_cndmask_b32_e64 v32, v13, v12, s8
	s_and_b32 s41, vcc_lo, s7
	s_and_b32 s9, s9, s7
	v_writelane_b32 v95, s41, 10
	v_cmp_lt_u32_e32 vcc_lo, 2, v63
	v_mul_u64_e32 v[12:13], s[14:15], v[2:3]
	v_mul_u64_e32 v[14:15], s[14:15], v[6:7]
	;; [unrolled: 1-line block ×3, first 2 shown]
	v_writelane_b32 v95, s9, 11
	s_and_b32 s9, s10, s7
	s_and_b32 s41, vcc_lo, s7
	v_cmp_lt_u32_e64 s10, 3, v63
	v_cmp_eq_u32_e32 vcc_lo, 5, v63
	v_writelane_b32 v95, s9, 12
	s_and_b32 s9, s11, s7
	v_cmp_eq_u32_e64 s11, 4, v63
	v_add_nc_u32_e32 v3, v28, v5
	v_mul_u64_e32 v[18:19], s[14:15], v[26:27]
	v_writelane_b32 v95, s9, 13
	s_and_b32 s9, s12, s7
	v_cmp_lt_u32_e64 s12, 4, v63
	s_and_b32 s14, vcc_lo, s7
	v_add_nc_u64_e32 v[22:23], s[18:19], v[8:9]
	v_writelane_b32 v95, s9, 14
	v_cmp_eq_u32_e64 s9, 3, v63
	v_lshl_add_u32 v9, v28, 6, v4
	v_add_nc_u32_e32 v5, v26, v5
	v_lshl_add_u32 v20, v26, 6, v4
	v_writelane_b32 v95, s41, 15
	s_and_b32 s9, s9, s7
	v_cmp_lt_u32_e32 vcc_lo, 7, v63
	s_xor_b32 s88, s8, -1
	v_cndmask_b32_e64 v29, v9, v3, s8
	v_writelane_b32 v95, s9, 16
	s_and_b32 s9, s10, s7
	v_cmp_eq_u32_e64 s10, 6, v63
	v_dual_cndmask_b32 v27, v20, v5, s8 :: v_dual_lshlrev_b32 v3, 2, v4
	v_writelane_b32 v95, s9, 17
	s_and_b32 s9, s11, s7
	v_cmp_lt_u32_e64 s11, 6, v63
	v_cmp_eq_u32_e64 s8, 8, v63
                                        ; implicit-def: $vgpr94 : SGPR spill to VGPR lane
                                        ; implicit-def: $vgpr93 : SGPR spill to VGPR lane
	v_dual_add_nc_u32 v20, 64, v33 :: v_dual_lshrrev_b32 v37, 10, v0
	v_writelane_b32 v95, s9, 18
	s_and_b32 s9, s12, s7
	v_cmp_eq_u32_e64 s12, 7, v63
	s_and_b32 s8, s8, s7
	v_dual_ashrrev_i32 v21, 31, v20 :: v_dual_lshrrev_b32 v40, 1, v30
	v_writelane_b32 v95, s9, 19
	v_cmp_lt_u32_e64 s9, 5, v63
	v_lshlrev_b32_e32 v1, 2, v1
	v_bitop3_b32 v87, v0, v37, 0x3ff bitop3:0xa8
	v_lshrrev_b32_e32 v0, 2, v30
	v_writelane_b32 v95, s14, 20
	s_and_b32 s9, s9, s7
	v_lshl_or_b32 v39, v40, 8, v1
	v_dual_lshlrev_b32 v43, 8, v4 :: v_dual_bitop2_b32 v1, -4, v30 bitop3:0x40
	v_writelane_b32 v95, s9, 21
	s_and_b32 s9, s10, s7
	s_and_b32 s10, s11, s7
	v_mul_u32_u24_e32 v41, 0x104, v0
	v_lshlrev_b32_e32 v45, 2, v45
	v_writelane_b32 v95, s9, 22
	v_cmp_lt_u32_e64 s9, 8, v63
	v_add_nc_u32_e32 v47, 0x4000, v1
	v_dual_sub_nc_u32 v49, v41, v1 :: v_dual_lshrrev_b32 v1, 3, v30
	v_writelane_b32 v95, s10, 23
	s_and_b32 s10, s12, s7
	s_load_b256 s[64:71], s[0:1], 0x28
	v_lshl_or_b32 v48, v0, 8, v45
	v_lshlrev_b32_e32 v0, 2, v1
	v_writelane_b32 v95, s10, 24
	s_and_b32 s10, vcc_lo, s7
	v_cmp_eq_u32_e32 vcc_lo, 9, v63
	v_dual_add_nc_u32 v49, v49, v45 :: v_dual_lshlrev_b32 v51, 2, v51
	v_writelane_b32 v95, s10, 25
	v_mul_u32_u24_e32 v52, 0x104, v1
	v_lshrrev_b32_e32 v65, 4, v30
	v_add_nc_u32_e32 v54, 0x4000, v0
	v_lshl_or_b32 v55, v1, 8, v51
	v_writelane_b32 v95, s8, 26
	s_and_b32 s8, s9, s7
	v_dual_sub_nc_u32 v0, v52, v0 :: v_dual_lshlrev_b32 v1, 2, v65
	v_lshrrev_b32_e32 v62, 5, v30
	v_writelane_b32 v95, s8, 27
	s_and_b32 s8, vcc_lo, s7
	v_cmp_lt_u32_e32 vcc_lo, 9, v63
	v_mul_u32_u24_e32 v57, 0x104, v65
	v_dual_add_nc_u32 v58, v0, v51 :: v_dual_lshlrev_b32 v60, 2, v60
	v_writelane_b32 v95, s8, 28
	s_and_b32 s8, vcc_lo, s7
	v_cmp_eq_u32_e32 vcc_lo, 10, v63
	v_dual_sub_nc_u32 v0, v57, v1 :: v_dual_lshlrev_b32 v61, 2, v62
	v_writelane_b32 v95, s8, 29
	s_load_b64 s[78:79], s[0:1], 0x50
	s_and_b32 s8, vcc_lo, s7
	v_cmp_lt_u32_e32 vcc_lo, 10, v63
	s_load_b128 s[72:75], s[0:1], 0x8
	v_writelane_b32 v95, s8, 30
	v_lshlrev_b32_e32 v62, 8, v62
	v_add_nc_u32_e32 v64, 0x4000, v1
	s_and_b32 s8, vcc_lo, s7
	v_cmp_eq_u32_e32 vcc_lo, 11, v63
	v_writelane_b32 v95, s8, 31
	v_cmp_gt_u32_e64 s43, 0xf0, v30
                                        ; implicit-def: $vgpr92 : SGPR spill to VGPR lane
	v_mad_u32_u24 v5, 0xfc, v4, v3
	s_wait_kmcnt 0x0
	v_mul_u64_e32 v[22:23], s[70:71], v[22:23]
	s_and_b32 s8, vcc_lo, s7
	v_cmp_lt_u32_e32 vcc_lo, 11, v63
	v_writelane_b32 v94, s8, 0
	v_mad_i32_i24 v9, 0xffffff04, v4, v5
	v_mul_i32_i24_e32 v81, 0xffffff04, v4
	v_lshlrev_b32_e32 v76, 2, v31
	s_and_b32 s8, vcc_lo, s7
	v_cmp_eq_u32_e32 vcc_lo, 12, v63
	v_writelane_b32 v94, s8, 1
	v_mad_u32_u24 v34, 0xfc, v4, v9
	v_dual_lshlrev_b32 v80, 2, v2 :: v_dual_bitop2_b32 v31, v28, v4 bitop3:0x54
	v_lshlrev_b32_e32 v79, 2, v27
	s_and_b32 s8, vcc_lo, s7
	v_cmp_lt_u32_e32 vcc_lo, 12, v63
	v_writelane_b32 v94, s8, 2
	v_mad_i32_i24 v35, 0xffffff04, v4, v34
	v_mad_i32_i24 v69, 0xffffff04, v4, v43
	v_or_b32_e32 v71, 0x5000, v80
	s_and_b32 s8, vcc_lo, s7
	v_cmp_eq_u32_e32 vcc_lo, 13, v63
	v_writelane_b32 v94, s8, 3
	v_mad_u32_u24 v36, 0xfc, v4, v35
	v_dual_lshlrev_b32 v77, 2, v32 :: v_dual_lshlrev_b32 v78, 2, v29
	s_and_b32 s8, vcc_lo, s7
	v_cmp_lt_u32_e32 vcc_lo, 13, v63
	v_writelane_b32 v94, s8, 4
	v_mad_i32_i24 v38, 0xffffff04, v4, v36
	v_or_b32_e32 v29, v26, v4
	v_lshl_add_u32 v37, v40, 2, 0x4000
	s_and_b32 s8, vcc_lo, s7
	v_cmp_eq_u32_e32 vcc_lo, 14, v63
	v_writelane_b32 v94, s8, 5
	v_mad_u32_u24 v42, 0xfc, v4, v38
	v_mul_u32_u24_e32 v40, 0x104, v40
	v_mul_u32_u24_e32 v44, 0xfc, v4
	s_and_b32 s8, vcc_lo, s7
	v_cmp_lt_u32_e32 vcc_lo, 14, v63
	v_writelane_b32 v94, s8, 6
	v_mad_i32_i24 v46, 0xffffff04, v4, v42
	v_lshl_or_b32 v65, v65, 8, v60
	v_add_nc_u32_e32 v67, 0x4000, v61
	s_and_b32 s8, vcc_lo, s7
	v_cmp_eq_u32_e32 vcc_lo, 15, v63
	v_writelane_b32 v94, s8, 7
	v_mad_u32_u24 v50, 0xfc, v4, v46
	v_lshl_add_u32 v70, v8, 2, 0x5000
	v_lshl_add_u32 v72, v30, 2, 0x4000
	s_and_b32 s8, vcc_lo, s7
	v_cmp_lt_u32_e32 vcc_lo, 15, v63
	v_writelane_b32 v94, s8, 8
	v_mad_i32_i24 v53, 0xffffff04, v4, v50
	v_add_nc_u32_e32 v73, 0x4000, v3
	v_lshl_add_u32 v74, v2, 8, v69
	s_and_b32 s8, vcc_lo, s7
	v_cmp_eq_u32_e32 vcc_lo, 16, v63
	v_writelane_b32 v94, s8, 9
	v_mad_u32_u24 v56, 0xfc, v4, v53
	v_add_nc_u32_e32 v75, v71, v3
	v_add_nc_u32_e32 v80, v43, v80
	s_and_b32 s8, vcc_lo, s7
	v_cmp_lt_u32_e32 vcc_lo, 16, v63
	v_writelane_b32 v94, s8, 10
	v_mad_i32_i24 v59, 0xffffff04, v4, v56
	v_subrev_nc_u32_e32 v82, 63, v4
	v_cmp_gt_u32_e64 s14, 8, v30
	s_and_b32 s8, vcc_lo, s7
	v_cmp_eq_u32_e32 vcc_lo, 17, v63
	v_writelane_b32 v94, s8, 11
	v_cmp_gt_u32_e64 s15, 56, v30
	v_cmp_gt_u32_e64 s18, 32, v30
	;; [unrolled: 1-line block ×3, first 2 shown]
	s_and_b32 s8, vcc_lo, s7
	v_cmp_lt_u32_e32 vcc_lo, 17, v63
	v_writelane_b32 v94, s8, 12
	v_cmp_eq_u32_e64 s55, 0, v8
	v_cmp_gt_u32_e64 s56, 64, v8
                                        ; implicit-def: $vgpr83
                                        ; implicit-def: $vgpr84
                                        ; implicit-def: $vgpr85
                                        ; implicit-def: $vgpr86
	s_and_b32 s8, vcc_lo, s7
	v_cmp_eq_u32_e32 vcc_lo, 18, v63
	v_writelane_b32 v94, s8, 13
	s_and_b32 s8, vcc_lo, s7
	v_cmp_lt_u32_e32 vcc_lo, 18, v63
	v_writelane_b32 v94, s8, 14
	s_and_b32 s8, vcc_lo, s7
	v_cmp_eq_u32_e32 vcc_lo, 19, v63
	v_writelane_b32 v94, s8, 15
	s_and_b32 s8, vcc_lo, s7
	v_cmp_lt_u32_e32 vcc_lo, 19, v63
	v_writelane_b32 v94, s8, 16
	;; [unrolled: 6-line block ×12, first 2 shown]
	s_and_b32 s8, vcc_lo, s7
	v_cmp_eq_u32_e32 vcc_lo, 30, v63
	v_writelane_b32 v93, s8, 5
	s_and_b32 s8, vcc_lo, s7
	v_cmp_eq_u32_e32 vcc_lo, 31, v63
	v_writelane_b32 v93, s8, 6
	v_cmp_gt_u32_e64 s8, 32, v4
	v_dual_lshlrev_b32 v63, 2, v63 :: v_dual_add_nc_u32 v66, v0, v60
	s_and_b32 s87, vcc_lo, s7
	v_cmp_le_i32_e32 vcc_lo, s13, v4
	s_and_b32 s8, s3, s8
	v_mul_u64_e32 v[0:1], s[70:71], v[24:25]
	v_writelane_b32 v93, s8, 7
	v_add_nc_u32_e32 v25, 0x50, v33
	s_and_b32 s9, vcc_lo, s40
	v_or_b32_e32 v68, v62, v63
	s_xor_b32 s8, s9, -1
	v_writelane_b32 v93, s9, 8
	s_and_b32 s40, s3, s8
	v_cmp_le_i32_e64 s8, s13, v2
	s_cmp_gt_i32 s84, 0
	s_cselect_b32 s41, -1, 0
	s_lshl_b64 s[80:81], s[16:17], 2
	s_or_b32 s9, s8, vcc_lo
	v_cmp_le_i32_e64 s8, s13, v6
	v_cmp_gt_u32_e64 s16, 48, v30
	v_cmp_gt_u32_e64 s17, 40, v30
	s_add_co_i32 s42, s42, 1
	s_lshl_b64 s[74:75], s[74:75], 2
	s_or_b32 s10, s8, vcc_lo
	v_cmp_le_i32_e64 s8, s13, v28
	s_lshl_b64 s[68:69], s[68:69], 2
	s_or_b32 s11, s8, vcc_lo
	v_cmp_le_i32_e64 s8, s13, v26
	s_or_b32 s12, s8, vcc_lo
	v_cmp_gt_i32_e32 vcc_lo, s13, v4
	v_cmp_gt_u32_e64 s13, 12, v30
	s_and_b32 s0, s3, vcc_lo
	v_cmp_gt_i32_e32 vcc_lo, s76, v20
	v_writelane_b32 v93, s0, 9
	v_cmp_gt_i32_e64 s0, s76, v24
	v_add_nc_u32_e32 v24, 0x60, v33
	s_and_b32 s1, vcc_lo, s0
	v_cmp_gt_i32_e32 vcc_lo, s76, v25
	v_writelane_b32 v93, s1, 10
	v_add_nc_u32_e32 v25, 0x70, v33
	s_and_b32 s1, vcc_lo, s0
	v_cmp_gt_i32_e32 vcc_lo, s76, v24
	v_writelane_b32 v93, s1, 11
	v_or_b32_e32 v24, v6, v4
	s_and_b32 s1, vcc_lo, s0
	v_cmp_gt_i32_e32 vcc_lo, s76, v25
	v_writelane_b32 v93, s1, 12
	v_mad_u32_u24 v25, 0xfc, v4, v81
	s_and_b32 s1, vcc_lo, s0
	s_delay_alu instid0(SALU_CYCLE_1) | instskip(SKIP_2) | instid1(SALU_CYCLE_1)
	v_writelane_b32 v93, s1, 13
	v_cmp_le_u32_e64 s1, v4, v2
	s_or_b32 s8, s9, s1
	v_writelane_b32 v93, s8, 14
	v_cmp_le_u32_e64 s8, v4, v6
	v_mul_lo_u32 v6, v25, 7
	v_mov_b32_e32 v25, 1.0
	s_or_b32 s9, s10, s8
	s_delay_alu instid0(SALU_CYCLE_1) | instskip(SKIP_1) | instid1(VALU_DEP_4)
	v_writelane_b32 v93, s9, 15
	v_cmp_le_u32_e64 s9, v4, v28
	v_add3_u32 v81, v6, v3, 0x3c00
	s_or_b32 s10, s11, s9
	v_lshlrev_b32_e32 v6, 2, v4
	v_writelane_b32 v93, s10, 16
	v_cmp_le_u32_e64 s10, v4, v26
	s_or_b32 s11, s12, s10
	v_cmp_gt_u32_e64 s12, 2, v30
	v_writelane_b32 v93, s11, 17
	v_cmp_eq_u32_e64 s11, 0, v87
	v_writelane_b32 v93, s43, 18
	v_cmp_gt_u32_e64 s43, 0xe0, v30
	s_delay_alu instid0(VALU_DEP_1) | instskip(SKIP_1) | instid1(VALU_DEP_1)
	v_writelane_b32 v93, s43, 19
	v_cmp_gt_u32_e64 s43, 0xd0, v30
	v_writelane_b32 v93, s43, 20
	v_cmp_gt_u32_e64 s43, 0xc0, v30
	s_delay_alu instid0(VALU_DEP_1) | instskip(SKIP_1) | instid1(VALU_DEP_1)
	v_writelane_b32 v93, s43, 21
	v_cmp_gt_u32_e64 s43, 0xb0, v30
	;; [unrolled: 5-line block ×18, first 2 shown]
	v_writelane_b32 v92, s43, 22
	v_cmp_gt_u32_e64 s43, 64, v29
	s_delay_alu instid0(VALU_DEP_1)
	v_writelane_b32 v92, s43, 23
	s_branch .LBB104_3
.LBB104_2:                              ;   in Loop: Header=BB104_3 Depth=1
	s_wait_xcnt 0x0
	s_or_b32 exec_lo, exec_lo, s43
	v_readlane_b32 s43, v95, 0
	s_add_co_i32 s62, s62, 0x10000
	global_wb scope:SCOPE_DEV
	s_wait_storecnt 0x0
	global_inv scope:SCOPE_DEV
	s_cmp_lt_u32 s62, s43
	s_cbranch_scc0 .LBB104_1225
.LBB104_3:                              ; =>This Loop Header: Depth=1
                                        ;     Child Loop BB104_1094 Depth 2
                                        ;       Child Loop BB104_1096 Depth 3
                                        ;     Child Loop BB104_1131 Depth 2
	v_mov_b32_e32 v24, s62
	v_readlane_b32 s43, v95, 1
	s_clause 0x1
	global_load_b64 v[26:27], v24, s[72:73] scale_offset
	global_load_b64 v[28:29], v24, s[66:67] scale_offset
	global_load_b32 v87, v7, s[64:65]
	s_and_not1_b32 vcc_lo, exec_lo, s43
	s_wait_loadcnt 0x2
	v_add_nc_u64_e32 v[30:31], s[74:75], v[26:27]
	s_delay_alu instid0(VALU_DEP_1)
	v_lshl_add_u64 v[26:27], v[10:11], 2, v[30:31]
	s_cbranch_vccnz .LBB104_13
; %bb.4:                                ;   in Loop: Header=BB104_3 Depth=1
	s_delay_alu instid0(VALU_DEP_1)
	v_lshl_add_u64 v[32:33], v[20:21], 2, v[26:27]
	v_dual_mov_b32 v84, 0 :: v_dual_mov_b32 v83, 0
	s_wait_loadcnt 0x0
	s_barrier_signal -1
	s_barrier_wait -1
	s_wait_xcnt 0x0
	s_mov_b32 s43, exec_lo
	v_readlane_b32 s44, v93, 10
	s_and_b32 s44, s43, s44
	s_delay_alu instid0(SALU_CYCLE_1)
	s_mov_b32 exec_lo, s44
	s_cbranch_execz .LBB104_6
; %bb.5:                                ;   in Loop: Header=BB104_3 Depth=1
	flat_load_b32 v83, v[32:33]
.LBB104_6:                              ;   in Loop: Header=BB104_3 Depth=1
	s_wait_xcnt 0x0
	s_or_b32 exec_lo, exec_lo, s43
	s_wait_loadcnt_dscnt 0x0
	s_barrier_signal -1
	s_barrier_wait -1
	s_mov_b32 s43, exec_lo
	v_readlane_b32 s44, v93, 11
	s_and_b32 s44, s43, s44
	s_delay_alu instid0(SALU_CYCLE_1)
	s_mov_b32 exec_lo, s44
	s_cbranch_execz .LBB104_8
; %bb.7:                                ;   in Loop: Header=BB104_3 Depth=1
	flat_load_b32 v84, v[32:33] offset:64
.LBB104_8:                              ;   in Loop: Header=BB104_3 Depth=1
	s_wait_xcnt 0x0
	s_or_b32 exec_lo, exec_lo, s43
	v_dual_mov_b32 v86, 0 :: v_dual_mov_b32 v85, 0
	s_wait_loadcnt_dscnt 0x0
	s_barrier_signal -1
	s_barrier_wait -1
	s_mov_b32 s43, exec_lo
	v_readlane_b32 s44, v93, 12
	s_and_b32 s44, s43, s44
	s_delay_alu instid0(SALU_CYCLE_1)
	s_mov_b32 exec_lo, s44
	s_cbranch_execz .LBB104_10
; %bb.9:                                ;   in Loop: Header=BB104_3 Depth=1
	flat_load_b32 v85, v[32:33] offset:128
.LBB104_10:                             ;   in Loop: Header=BB104_3 Depth=1
	s_wait_xcnt 0x0
	s_or_b32 exec_lo, exec_lo, s43
	s_wait_loadcnt_dscnt 0x0
	s_barrier_signal -1
	s_barrier_wait -1
	s_mov_b32 s43, exec_lo
	v_readlane_b32 s44, v93, 13
	s_and_b32 s44, s43, s44
	s_delay_alu instid0(SALU_CYCLE_1)
	s_mov_b32 exec_lo, s44
	s_cbranch_execz .LBB104_12
; %bb.11:                               ;   in Loop: Header=BB104_3 Depth=1
	flat_load_b32 v86, v[32:33] offset:192
.LBB104_12:                             ;   in Loop: Header=BB104_3 Depth=1
	s_wait_xcnt 0x0
	s_or_b32 exec_lo, exec_lo, s43
.LBB104_13:                             ;   in Loop: Header=BB104_3 Depth=1
	v_add_nc_u64_e32 v[30:31], s[80:81], v[30:31]
	s_and_not1_b32 vcc_lo, exec_lo, s86
	s_mov_b32 s43, -1
	s_delay_alu instid0(VALU_DEP_1)
	v_add_nc_u64_e32 v[30:31], v[30:31], v[6:7]
	s_cbranch_vccnz .LBB104_24
; %bb.14:                               ;   in Loop: Header=BB104_3 Depth=1
	s_wait_xcnt 0x0
	s_and_saveexec_b32 s43, s1
	s_delay_alu instid0(SALU_CYCLE_1)
	s_xor_b32 s43, exec_lo, s43
	s_cbranch_execnz .LBB104_1153
; %bb.15:                               ;   in Loop: Header=BB104_3 Depth=1
	s_and_not1_saveexec_b32 s43, s43
	s_cbranch_execnz .LBB104_1156
.LBB104_16:                             ;   in Loop: Header=BB104_3 Depth=1
	s_or_b32 exec_lo, exec_lo, s43
	s_and_saveexec_b32 s43, s8
	s_delay_alu instid0(SALU_CYCLE_1)
	s_xor_b32 s43, exec_lo, s43
	s_cbranch_execnz .LBB104_1157
.LBB104_17:                             ;   in Loop: Header=BB104_3 Depth=1
	s_and_not1_saveexec_b32 s43, s43
	s_cbranch_execnz .LBB104_1160
.LBB104_18:                             ;   in Loop: Header=BB104_3 Depth=1
	s_or_b32 exec_lo, exec_lo, s43
	s_and_saveexec_b32 s43, s9
	s_delay_alu instid0(SALU_CYCLE_1)
	s_xor_b32 s43, exec_lo, s43
	s_cbranch_execnz .LBB104_1161
.LBB104_19:                             ;   in Loop: Header=BB104_3 Depth=1
	s_and_not1_saveexec_b32 s43, s43
	s_cbranch_execnz .LBB104_1164
.LBB104_20:                             ;   in Loop: Header=BB104_3 Depth=1
	s_or_b32 exec_lo, exec_lo, s43
	s_and_saveexec_b32 s43, s10
	s_delay_alu instid0(SALU_CYCLE_1)
	s_xor_b32 s43, exec_lo, s43
	s_cbranch_execnz .LBB104_1165
.LBB104_21:                             ;   in Loop: Header=BB104_3 Depth=1
	s_and_not1_saveexec_b32 s43, s43
	s_cbranch_execz .LBB104_23
.LBB104_22:                             ;   in Loop: Header=BB104_3 Depth=1
	v_lshl_add_u64 v[32:33], v[18:19], 2, v[30:31]
	flat_load_b32 v24, v[32:33]
	s_wait_loadcnt_dscnt 0x0
	v_xor_b32_e32 v24, 0x80000000, v24
	ds_store_b32 v79, v24
.LBB104_23:                             ;   in Loop: Header=BB104_3 Depth=1
	s_or_b32 exec_lo, exec_lo, s43
	s_mov_b32 s43, 0
.LBB104_24:                             ;   in Loop: Header=BB104_3 Depth=1
	s_delay_alu instid0(SALU_CYCLE_1)
	s_and_b32 vcc_lo, exec_lo, s43
	s_cbranch_vccz .LBB104_50
; %bb.25:                               ;   in Loop: Header=BB104_3 Depth=1
	s_wait_xcnt 0x0
	s_mov_b32 s43, exec_lo
	v_readlane_b32 s44, v93, 14
	s_and_b32 s44, s43, s44
	s_delay_alu instid0(SALU_CYCLE_1)
	s_xor_b32 s43, s44, s43
	s_mov_b32 exec_lo, s44
	s_cbranch_execz .LBB104_29
; %bb.26:                               ;   in Loop: Header=BB104_3 Depth=1
	s_mov_b32 s44, exec_lo
	v_readlane_b32 s45, v92, 20
	s_and_b32 s45, s44, s45
	s_delay_alu instid0(SALU_CYCLE_1)
	s_mov_b32 exec_lo, s45
; %bb.27:                               ;   in Loop: Header=BB104_3 Depth=1
	ds_store_b32 v80, v7
; %bb.28:                               ;   in Loop: Header=BB104_3 Depth=1
	s_or_b32 exec_lo, exec_lo, s44
.LBB104_29:                             ;   in Loop: Header=BB104_3 Depth=1
	s_and_not1_saveexec_b32 s43, s43
	s_cbranch_execz .LBB104_31
; %bb.30:                               ;   in Loop: Header=BB104_3 Depth=1
	v_lshl_add_u64 v[32:33], v[12:13], 2, v[30:31]
	flat_load_b32 v24, v[32:33]
	s_wait_loadcnt_dscnt 0x0
	v_xor_b32_e32 v24, 0x80000000, v24
	ds_store_b32 v80, v24
.LBB104_31:                             ;   in Loop: Header=BB104_3 Depth=1
	s_or_b32 exec_lo, exec_lo, s43
	s_delay_alu instid0(SALU_CYCLE_1) | instskip(SKIP_2) | instid1(SALU_CYCLE_1)
	s_mov_b32 s43, exec_lo
	v_readlane_b32 s44, v93, 15
	s_and_b32 s44, s43, s44
	s_xor_b32 s43, s44, s43
	s_mov_b32 exec_lo, s44
	s_cbranch_execz .LBB104_35
; %bb.32:                               ;   in Loop: Header=BB104_3 Depth=1
	s_mov_b32 s44, exec_lo
	v_readlane_b32 s45, v92, 21
	s_and_b32 s45, s44, s45
	s_delay_alu instid0(SALU_CYCLE_1)
	s_mov_b32 exec_lo, s45
; %bb.33:                               ;   in Loop: Header=BB104_3 Depth=1
	ds_store_b32 v77, v7
; %bb.34:                               ;   in Loop: Header=BB104_3 Depth=1
	s_or_b32 exec_lo, exec_lo, s44
.LBB104_35:                             ;   in Loop: Header=BB104_3 Depth=1
	s_and_not1_saveexec_b32 s43, s43
	s_cbranch_execz .LBB104_37
; %bb.36:                               ;   in Loop: Header=BB104_3 Depth=1
	v_lshl_add_u64 v[32:33], v[14:15], 2, v[30:31]
	flat_load_b32 v24, v[32:33]
	s_wait_loadcnt_dscnt 0x0
	v_xor_b32_e32 v24, 0x80000000, v24
	ds_store_b32 v77, v24
.LBB104_37:                             ;   in Loop: Header=BB104_3 Depth=1
	s_or_b32 exec_lo, exec_lo, s43
	s_delay_alu instid0(SALU_CYCLE_1) | instskip(SKIP_2) | instid1(SALU_CYCLE_1)
	s_mov_b32 s43, exec_lo
	v_readlane_b32 s44, v93, 16
	s_and_b32 s44, s43, s44
	;; [unrolled: 28-line block ×3, first 2 shown]
	s_xor_b32 s43, s44, s43
	s_mov_b32 exec_lo, s44
	s_cbranch_execz .LBB104_47
; %bb.44:                               ;   in Loop: Header=BB104_3 Depth=1
	s_mov_b32 s44, exec_lo
	v_readlane_b32 s45, v92, 23
	s_and_b32 s45, s44, s45
	s_delay_alu instid0(SALU_CYCLE_1)
	s_mov_b32 exec_lo, s45
; %bb.45:                               ;   in Loop: Header=BB104_3 Depth=1
	ds_store_b32 v79, v7
; %bb.46:                               ;   in Loop: Header=BB104_3 Depth=1
	s_or_b32 exec_lo, exec_lo, s44
                                        ; implicit-def: $vgpr30_vgpr31
.LBB104_47:                             ;   in Loop: Header=BB104_3 Depth=1
	s_and_not1_saveexec_b32 s43, s43
	s_cbranch_execz .LBB104_49
; %bb.48:                               ;   in Loop: Header=BB104_3 Depth=1
	v_lshl_add_u64 v[30:31], v[18:19], 2, v[30:31]
	flat_load_b32 v24, v[30:31]
	s_wait_loadcnt_dscnt 0x0
	v_xor_b32_e32 v24, 0x80000000, v24
	ds_store_b32 v79, v24
.LBB104_49:                             ;   in Loop: Header=BB104_3 Depth=1
	s_or_b32 exec_lo, exec_lo, s43
.LBB104_50:                             ;   in Loop: Header=BB104_3 Depth=1
	s_delay_alu instid0(SALU_CYCLE_1)
	s_and_not1_b32 vcc_lo, exec_lo, s88
	s_wait_loadcnt_dscnt 0x0
	s_barrier_signal -1
	s_barrier_wait -1
	s_cbranch_vccnz .LBB104_1088
; %bb.51:                               ;   in Loop: Header=BB104_3 Depth=1
	s_wait_xcnt 0x0
	s_and_saveexec_b32 s43, s11
	s_cbranch_execz .LBB104_53
; %bb.52:                               ;   in Loop: Header=BB104_3 Depth=1
	ds_load_b32 v24, v7 offset:4
	ds_store_b32 v7, v25
	s_wait_dscnt 0x1
	ds_store_b64 v7, v[24:25] offset:256
.LBB104_53:                             ;   in Loop: Header=BB104_3 Depth=1
	s_or_b32 exec_lo, exec_lo, s43
	v_mov_b32_e32 v24, 0
	s_wait_dscnt 0x0
	s_barrier_signal -1
	s_barrier_wait -1
	s_and_saveexec_b32 s43, s2
	s_cbranch_execz .LBB104_57
; %bb.54:                               ;   in Loop: Header=BB104_3 Depth=1
	ds_load_b32 v24, v39 offset:8
	ds_load_b32 v30, v40
	s_wait_dscnt 0x0
	v_fma_f32 v24, v24, v30, 0
	s_and_saveexec_b32 s44, s12
	s_cbranch_execz .LBB104_56
; %bb.55:                               ;   in Loop: Header=BB104_3 Depth=1
	ds_load_b32 v30, v3 offset:264
	ds_load_b32 v31, v7 offset:4
	s_wait_dscnt 0x0
	v_fmac_f32_e32 v24, v30, v31
.LBB104_56:                             ;   in Loop: Header=BB104_3 Depth=1
	s_or_b32 exec_lo, exec_lo, s44
	s_delay_alu instid0(VALU_DEP_1)
	v_xor_b32_e32 v24, 0x80000000, v24
.LBB104_57:                             ;   in Loop: Header=BB104_3 Depth=1
	s_or_b32 exec_lo, exec_lo, s43
	s_and_saveexec_b32 s43, s89
; %bb.58:                               ;   in Loop: Header=BB104_3 Depth=1
	ds_store_b32 v37, v24
; %bb.59:                               ;   in Loop: Header=BB104_3 Depth=1
	s_or_b32 exec_lo, exec_lo, s43
	s_wait_dscnt 0x0
	s_barrier_signal -1
	s_barrier_wait -1
	s_and_saveexec_b32 s43, s90
	s_cbranch_execz .LBB104_61
; %bb.60:                               ;   in Loop: Header=BB104_3 Depth=1
	ds_load_b32 v30, v7 offset:524
	ds_load_b32 v31, v37
	s_wait_dscnt 0x0
	v_fmac_f32_e32 v24, v30, v31
.LBB104_61:                             ;   in Loop: Header=BB104_3 Depth=1
	s_or_b32 exec_lo, exec_lo, s43
	s_barrier_signal -1
	s_barrier_wait -1
	s_and_saveexec_b32 s43, s90
; %bb.62:                               ;   in Loop: Header=BB104_3 Depth=1
	ds_store_b32 v37, v24
; %bb.63:                               ;   in Loop: Header=BB104_3 Depth=1
	s_or_b32 exec_lo, exec_lo, s43
	s_wait_dscnt 0x0
	s_barrier_signal -1
	s_barrier_wait -1
	s_barrier_signal -1
	s_barrier_wait -1
	s_and_saveexec_b32 s43, s2
; %bb.64:                               ;   in Loop: Header=BB104_3 Depth=1
	v_xor_b32_e32 v24, 0x80000000, v24
	ds_store_b32 v39, v24 offset:8
; %bb.65:                               ;   in Loop: Header=BB104_3 Depth=1
	s_or_b32 exec_lo, exec_lo, s43
	s_wait_dscnt 0x0
	s_barrier_signal -1
	s_barrier_wait -1
	s_barrier_signal -1
	s_barrier_wait -1
	s_and_saveexec_b32 s43, s91
	s_cbranch_execz .LBB104_67
; %bb.66:                               ;   in Loop: Header=BB104_3 Depth=1
	ds_load_b32 v24, v5 offset:8
	s_wait_dscnt 0x0
	ds_store_b32 v3, v24 offset:512
	ds_load_b32 v24, v5 offset:12
	s_wait_dscnt 0x0
	ds_store_b32 v3, v24 offset:768
.LBB104_67:                             ;   in Loop: Header=BB104_3 Depth=1
	s_or_b32 exec_lo, exec_lo, s43
	s_wait_dscnt 0x0
	s_barrier_signal -1
	s_barrier_wait -1
	s_and_saveexec_b32 s43, s11
	s_cbranch_execz .LBB104_69
; %bb.68:                               ;   in Loop: Header=BB104_3 Depth=1
	ds_load_b32 v24, v7 offset:524
	ds_store_b32 v7, v25 offset:520
	s_wait_dscnt 0x1
	ds_store_b64 v7, v[24:25] offset:776
.LBB104_69:                             ;   in Loop: Header=BB104_3 Depth=1
	s_or_b32 exec_lo, exec_lo, s43
	v_mov_b32_e32 v24, 0
	s_wait_dscnt 0x0
	s_barrier_signal -1
	s_barrier_wait -1
	s_and_saveexec_b32 s43, s4
	s_cbranch_execz .LBB104_75
; %bb.70:                               ;   in Loop: Header=BB104_3 Depth=1
	ds_load_b32 v24, v48 offset:16
	ds_load_b32 v30, v41
	s_wait_dscnt 0x0
	v_fma_f32 v24, v24, v30, 0
	s_and_saveexec_b32 s44, s13
	s_cbranch_execnz .LBB104_1175
; %bb.71:                               ;   in Loop: Header=BB104_3 Depth=1
	s_or_b32 exec_lo, exec_lo, s44
	s_and_saveexec_b32 s44, s14
	s_cbranch_execnz .LBB104_1176
.LBB104_72:                             ;   in Loop: Header=BB104_3 Depth=1
	s_or_b32 exec_lo, exec_lo, s44
	s_and_saveexec_b32 s44, s2
	s_cbranch_execz .LBB104_74
.LBB104_73:                             ;   in Loop: Header=BB104_3 Depth=1
	ds_load_b32 v30, v9 offset:784
	ds_load_b32 v31, v7 offset:12
	s_wait_dscnt 0x0
	v_fmac_f32_e32 v24, v30, v31
.LBB104_74:                             ;   in Loop: Header=BB104_3 Depth=1
	s_or_b32 exec_lo, exec_lo, s44
	s_delay_alu instid0(VALU_DEP_1)
	v_xor_b32_e32 v24, 0x80000000, v24
.LBB104_75:                             ;   in Loop: Header=BB104_3 Depth=1
	s_or_b32 exec_lo, exec_lo, s43
	s_and_saveexec_b32 s43, s92
; %bb.76:                               ;   in Loop: Header=BB104_3 Depth=1
	ds_store_b32 v47, v24
; %bb.77:                               ;   in Loop: Header=BB104_3 Depth=1
	s_or_b32 exec_lo, exec_lo, s43
	s_wait_dscnt 0x0
	s_barrier_signal -1
	s_barrier_wait -1
	s_and_saveexec_b32 s43, s93
	s_cbranch_execz .LBB104_79
; %bb.78:                               ;   in Loop: Header=BB104_3 Depth=1
	ds_load_b32 v30, v45 offset:1040
	ds_load_b32 v31, v47
	s_wait_dscnt 0x0
	v_fmac_f32_e32 v24, v30, v31
.LBB104_79:                             ;   in Loop: Header=BB104_3 Depth=1
	s_or_b32 exec_lo, exec_lo, s43
	s_barrier_signal -1
	s_barrier_wait -1
	s_and_saveexec_b32 s43, s94
; %bb.80:                               ;   in Loop: Header=BB104_3 Depth=1
	ds_store_b32 v47, v24
; %bb.81:                               ;   in Loop: Header=BB104_3 Depth=1
	s_or_b32 exec_lo, exec_lo, s43
	s_wait_dscnt 0x0
	s_barrier_signal -1
	s_barrier_wait -1
	s_and_saveexec_b32 s43, s95
	s_cbranch_execz .LBB104_83
; %bb.82:                               ;   in Loop: Header=BB104_3 Depth=1
	ds_load_b32 v30, v45 offset:1296
	ds_load_b32 v31, v47
	s_wait_dscnt 0x0
	v_fmac_f32_e32 v24, v30, v31
.LBB104_83:                             ;   in Loop: Header=BB104_3 Depth=1
	s_or_b32 exec_lo, exec_lo, s43
	s_barrier_signal -1
	s_barrier_wait -1
	;; [unrolled: 19-line block ×3, first 2 shown]
	s_and_saveexec_b32 s43, s97
; %bb.88:                               ;   in Loop: Header=BB104_3 Depth=1
	ds_store_b32 v47, v24
; %bb.89:                               ;   in Loop: Header=BB104_3 Depth=1
	s_or_b32 exec_lo, exec_lo, s43
	s_wait_dscnt 0x0
	s_barrier_signal -1
	s_barrier_wait -1
	s_barrier_signal -1
	s_barrier_wait -1
	s_and_saveexec_b32 s43, s4
; %bb.90:                               ;   in Loop: Header=BB104_3 Depth=1
	v_xor_b32_e32 v24, 0x80000000, v24
	ds_store_b32 v48, v24 offset:16
; %bb.91:                               ;   in Loop: Header=BB104_3 Depth=1
	s_or_b32 exec_lo, exec_lo, s43
	s_wait_dscnt 0x0
	s_barrier_signal -1
	s_barrier_wait -1
	s_barrier_signal -1
	s_barrier_wait -1
	s_and_saveexec_b32 s43, s98
	s_cbranch_execz .LBB104_93
; %bb.92:                               ;   in Loop: Header=BB104_3 Depth=1
	ds_load_b32 v24, v34 offset:16
	s_wait_dscnt 0x0
	ds_store_b32 v35, v24 offset:1024
	ds_load_b32 v24, v34 offset:20
	s_wait_dscnt 0x0
	ds_store_b32 v35, v24 offset:1280
	ds_load_b32 v24, v34 offset:24
	s_wait_dscnt 0x0
	ds_store_b32 v35, v24 offset:1536
	ds_load_b32 v24, v34 offset:28
	s_wait_dscnt 0x0
	ds_store_b32 v35, v24 offset:1792
.LBB104_93:                             ;   in Loop: Header=BB104_3 Depth=1
	s_or_b32 exec_lo, exec_lo, s43
	s_wait_dscnt 0x0
	s_barrier_signal -1
	s_barrier_wait -1
	s_and_saveexec_b32 s43, s11
	s_cbranch_execz .LBB104_95
; %bb.94:                               ;   in Loop: Header=BB104_3 Depth=1
	ds_load_b32 v24, v7 offset:1044
	ds_store_b32 v7, v25 offset:1040
	s_wait_dscnt 0x1
	ds_store_b64 v7, v[24:25] offset:1296
.LBB104_95:                             ;   in Loop: Header=BB104_3 Depth=1
	s_or_b32 exec_lo, exec_lo, s43
	v_mov_b32_e32 v24, 0
	s_wait_dscnt 0x0
	s_barrier_signal -1
	s_barrier_wait -1
	s_and_saveexec_b32 s43, s2
	s_cbranch_execz .LBB104_99
; %bb.96:                               ;   in Loop: Header=BB104_3 Depth=1
	ds_load_b32 v24, v39 offset:1048
	ds_load_b32 v30, v40 offset:1040
	s_wait_dscnt 0x0
	v_fma_f32 v24, v24, v30, 0
	s_and_saveexec_b32 s44, s12
	s_cbranch_execz .LBB104_98
; %bb.97:                               ;   in Loop: Header=BB104_3 Depth=1
	ds_load_b32 v30, v35 offset:1304
	ds_load_b32 v31, v7 offset:1044
	s_wait_dscnt 0x0
	v_fmac_f32_e32 v24, v30, v31
.LBB104_98:                             ;   in Loop: Header=BB104_3 Depth=1
	s_or_b32 exec_lo, exec_lo, s44
	s_delay_alu instid0(VALU_DEP_1)
	v_xor_b32_e32 v24, 0x80000000, v24
.LBB104_99:                             ;   in Loop: Header=BB104_3 Depth=1
	s_or_b32 exec_lo, exec_lo, s43
	s_and_saveexec_b32 s43, s89
; %bb.100:                              ;   in Loop: Header=BB104_3 Depth=1
	ds_store_b32 v37, v24
; %bb.101:                              ;   in Loop: Header=BB104_3 Depth=1
	s_or_b32 exec_lo, exec_lo, s43
	s_wait_dscnt 0x0
	s_barrier_signal -1
	s_barrier_wait -1
	s_and_saveexec_b32 s43, s90
	s_cbranch_execz .LBB104_103
; %bb.102:                              ;   in Loop: Header=BB104_3 Depth=1
	ds_load_b32 v30, v7 offset:1564
	ds_load_b32 v31, v37
	s_wait_dscnt 0x0
	v_fmac_f32_e32 v24, v30, v31
.LBB104_103:                            ;   in Loop: Header=BB104_3 Depth=1
	s_or_b32 exec_lo, exec_lo, s43
	s_barrier_signal -1
	s_barrier_wait -1
	s_and_saveexec_b32 s43, s90
; %bb.104:                              ;   in Loop: Header=BB104_3 Depth=1
	ds_store_b32 v37, v24
; %bb.105:                              ;   in Loop: Header=BB104_3 Depth=1
	s_or_b32 exec_lo, exec_lo, s43
	s_wait_dscnt 0x0
	s_barrier_signal -1
	s_barrier_wait -1
	s_barrier_signal -1
	s_barrier_wait -1
	s_and_saveexec_b32 s43, s2
; %bb.106:                              ;   in Loop: Header=BB104_3 Depth=1
	v_xor_b32_e32 v24, 0x80000000, v24
	ds_store_b32 v39, v24 offset:1048
; %bb.107:                              ;   in Loop: Header=BB104_3 Depth=1
	s_or_b32 exec_lo, exec_lo, s43
	s_wait_dscnt 0x0
	s_barrier_signal -1
	s_barrier_wait -1
	s_barrier_signal -1
	s_barrier_wait -1
	s_and_saveexec_b32 s43, s91
	s_cbranch_execz .LBB104_109
; %bb.108:                              ;   in Loop: Header=BB104_3 Depth=1
	ds_load_b32 v24, v36 offset:1048
	s_wait_dscnt 0x0
	ds_store_b32 v35, v24 offset:1552
	ds_load_b32 v24, v36 offset:1052
	s_wait_dscnt 0x0
	ds_store_b32 v35, v24 offset:1808
.LBB104_109:                            ;   in Loop: Header=BB104_3 Depth=1
	s_or_b32 exec_lo, exec_lo, s43
	s_wait_dscnt 0x0
	s_barrier_signal -1
	s_barrier_wait -1
	s_and_saveexec_b32 s43, s11
	s_cbranch_execz .LBB104_111
; %bb.110:                              ;   in Loop: Header=BB104_3 Depth=1
	ds_load_b32 v24, v7 offset:1564
	ds_store_b32 v7, v25 offset:1560
	s_wait_dscnt 0x1
	ds_store_b64 v7, v[24:25] offset:1816
.LBB104_111:                            ;   in Loop: Header=BB104_3 Depth=1
	s_or_b32 exec_lo, exec_lo, s43
	v_mov_b32_e32 v24, 0
	s_wait_dscnt 0x0
	s_barrier_signal -1
	s_barrier_wait -1
	s_and_saveexec_b32 s43, s5
	s_cbranch_execz .LBB104_121
; %bb.112:                              ;   in Loop: Header=BB104_3 Depth=1
	ds_load_b32 v24, v55 offset:32
	ds_load_b32 v30, v52
	s_wait_dscnt 0x0
	v_fma_f32 v24, v24, v30, 0
	s_and_saveexec_b32 s44, s15
	s_cbranch_execnz .LBB104_1177
; %bb.113:                              ;   in Loop: Header=BB104_3 Depth=1
	s_or_b32 exec_lo, exec_lo, s44
	s_and_saveexec_b32 s44, s16
	s_cbranch_execnz .LBB104_1178
.LBB104_114:                            ;   in Loop: Header=BB104_3 Depth=1
	s_or_b32 exec_lo, exec_lo, s44
	s_and_saveexec_b32 s44, s17
	s_cbranch_execnz .LBB104_1179
.LBB104_115:                            ;   in Loop: Header=BB104_3 Depth=1
	s_or_b32 exec_lo, exec_lo, s44
	s_and_saveexec_b32 s44, s18
	s_cbranch_execnz .LBB104_1180
.LBB104_116:                            ;   in Loop: Header=BB104_3 Depth=1
	s_or_b32 exec_lo, exec_lo, s44
	s_and_saveexec_b32 s44, s19
	s_cbranch_execnz .LBB104_1181
.LBB104_117:                            ;   in Loop: Header=BB104_3 Depth=1
	s_or_b32 exec_lo, exec_lo, s44
	s_and_saveexec_b32 s44, s4
	s_cbranch_execnz .LBB104_1182
.LBB104_118:                            ;   in Loop: Header=BB104_3 Depth=1
	s_or_b32 exec_lo, exec_lo, s44
	s_and_saveexec_b32 s44, s14
	s_cbranch_execz .LBB104_120
.LBB104_119:                            ;   in Loop: Header=BB104_3 Depth=1
	ds_load_b32 v30, v38 offset:1824
	ds_load_b32 v31, v7 offset:28
	s_wait_dscnt 0x0
	v_fmac_f32_e32 v24, v30, v31
.LBB104_120:                            ;   in Loop: Header=BB104_3 Depth=1
	s_or_b32 exec_lo, exec_lo, s44
	s_delay_alu instid0(VALU_DEP_1)
	v_xor_b32_e32 v24, 0x80000000, v24
.LBB104_121:                            ;   in Loop: Header=BB104_3 Depth=1
	s_or_b32 exec_lo, exec_lo, s43
	s_and_saveexec_b32 s43, s99
; %bb.122:                              ;   in Loop: Header=BB104_3 Depth=1
	ds_store_b32 v54, v24
; %bb.123:                              ;   in Loop: Header=BB104_3 Depth=1
	s_or_b32 exec_lo, exec_lo, s43
	s_wait_dscnt 0x0
	s_barrier_signal -1
	s_barrier_wait -1
	s_and_saveexec_b32 s43, s100
	s_cbranch_execz .LBB104_125
; %bb.124:                              ;   in Loop: Header=BB104_3 Depth=1
	ds_load_b32 v30, v51 offset:2080
	ds_load_b32 v31, v54
	s_wait_dscnt 0x0
	v_fmac_f32_e32 v24, v30, v31
.LBB104_125:                            ;   in Loop: Header=BB104_3 Depth=1
	s_or_b32 exec_lo, exec_lo, s43
	s_barrier_signal -1
	s_barrier_wait -1
	s_and_saveexec_b32 s43, s101
; %bb.126:                              ;   in Loop: Header=BB104_3 Depth=1
	ds_store_b32 v54, v24
; %bb.127:                              ;   in Loop: Header=BB104_3 Depth=1
	s_or_b32 exec_lo, exec_lo, s43
	s_wait_dscnt 0x0
	s_barrier_signal -1
	s_barrier_wait -1
	s_and_saveexec_b32 s43, s102
	s_cbranch_execz .LBB104_129
; %bb.128:                              ;   in Loop: Header=BB104_3 Depth=1
	ds_load_b32 v30, v51 offset:2336
	ds_load_b32 v31, v54
	s_wait_dscnt 0x0
	v_fmac_f32_e32 v24, v30, v31
.LBB104_129:                            ;   in Loop: Header=BB104_3 Depth=1
	s_or_b32 exec_lo, exec_lo, s43
	s_barrier_signal -1
	s_barrier_wait -1
	;; [unrolled: 19-line block ×3, first 2 shown]
	s_and_saveexec_b32 s43, vcc_hi
; %bb.134:                              ;   in Loop: Header=BB104_3 Depth=1
	ds_store_b32 v54, v24
; %bb.135:                              ;   in Loop: Header=BB104_3 Depth=1
	s_or_b32 exec_lo, exec_lo, s43
	s_wait_dscnt 0x0
	s_barrier_signal -1
	s_barrier_wait -1
	s_and_saveexec_b32 s43, s31
	s_cbranch_execz .LBB104_137
; %bb.136:                              ;   in Loop: Header=BB104_3 Depth=1
	ds_load_b32 v30, v51 offset:2848
	ds_load_b32 v31, v54
	s_wait_dscnt 0x0
	v_fmac_f32_e32 v24, v30, v31
.LBB104_137:                            ;   in Loop: Header=BB104_3 Depth=1
	s_or_b32 exec_lo, exec_lo, s43
	s_barrier_signal -1
	s_barrier_wait -1
	s_and_saveexec_b32 s43, s33
; %bb.138:                              ;   in Loop: Header=BB104_3 Depth=1
	ds_store_b32 v54, v24
; %bb.139:                              ;   in Loop: Header=BB104_3 Depth=1
	s_or_b32 exec_lo, exec_lo, s43
	s_wait_dscnt 0x0
	s_barrier_signal -1
	s_barrier_wait -1
	s_and_saveexec_b32 s43, s34
	s_cbranch_execz .LBB104_141
; %bb.140:                              ;   in Loop: Header=BB104_3 Depth=1
	ds_load_b32 v30, v51 offset:3104
	ds_load_b32 v31, v54
	s_wait_dscnt 0x0
	v_fmac_f32_e32 v24, v30, v31
.LBB104_141:                            ;   in Loop: Header=BB104_3 Depth=1
	s_or_b32 exec_lo, exec_lo, s43
	s_barrier_signal -1
	s_barrier_wait -1
	s_and_saveexec_b32 s43, s35
	;; [unrolled: 19-line block ×4, first 2 shown]
; %bb.150:                              ;   in Loop: Header=BB104_3 Depth=1
	ds_store_b32 v54, v24
; %bb.151:                              ;   in Loop: Header=BB104_3 Depth=1
	s_or_b32 exec_lo, exec_lo, s43
	s_wait_dscnt 0x0
	s_barrier_signal -1
	s_barrier_wait -1
	s_barrier_signal -1
	s_barrier_wait -1
	s_and_saveexec_b32 s43, s5
; %bb.152:                              ;   in Loop: Header=BB104_3 Depth=1
	v_xor_b32_e32 v24, 0x80000000, v24
	ds_store_b32 v55, v24 offset:32
; %bb.153:                              ;   in Loop: Header=BB104_3 Depth=1
	s_or_b32 exec_lo, exec_lo, s43
	s_wait_dscnt 0x0
	s_barrier_signal -1
	s_barrier_wait -1
	s_barrier_signal -1
	s_barrier_wait -1
	s_and_saveexec_b32 s43, s39
	s_cbranch_execz .LBB104_155
; %bb.154:                              ;   in Loop: Header=BB104_3 Depth=1
	ds_load_b32 v24, v42 offset:32
	s_wait_dscnt 0x0
	ds_store_b32 v46, v24 offset:2048
	ds_load_b32 v24, v42 offset:36
	s_wait_dscnt 0x0
	ds_store_b32 v46, v24 offset:2304
	;; [unrolled: 3-line block ×8, first 2 shown]
.LBB104_155:                            ;   in Loop: Header=BB104_3 Depth=1
	s_or_b32 exec_lo, exec_lo, s43
	s_wait_dscnt 0x0
	s_barrier_signal -1
	s_barrier_wait -1
	s_and_saveexec_b32 s43, s11
	s_cbranch_execz .LBB104_157
; %bb.156:                              ;   in Loop: Header=BB104_3 Depth=1
	ds_load_b32 v24, v7 offset:2084
	ds_store_b32 v7, v25 offset:2080
	s_wait_dscnt 0x1
	ds_store_b64 v7, v[24:25] offset:2336
.LBB104_157:                            ;   in Loop: Header=BB104_3 Depth=1
	s_or_b32 exec_lo, exec_lo, s43
	v_mov_b32_e32 v24, 0
	s_wait_dscnt 0x0
	s_barrier_signal -1
	s_barrier_wait -1
	s_and_saveexec_b32 s43, s2
	s_cbranch_execz .LBB104_161
; %bb.158:                              ;   in Loop: Header=BB104_3 Depth=1
	ds_load_b32 v24, v39 offset:2088
	ds_load_b32 v30, v40 offset:2080
	s_wait_dscnt 0x0
	v_fma_f32 v24, v24, v30, 0
	s_and_saveexec_b32 s44, s12
	s_cbranch_execz .LBB104_160
; %bb.159:                              ;   in Loop: Header=BB104_3 Depth=1
	ds_load_b32 v30, v46 offset:2344
	ds_load_b32 v31, v7 offset:2084
	s_wait_dscnt 0x0
	v_fmac_f32_e32 v24, v30, v31
.LBB104_160:                            ;   in Loop: Header=BB104_3 Depth=1
	s_or_b32 exec_lo, exec_lo, s44
	s_delay_alu instid0(VALU_DEP_1)
	v_xor_b32_e32 v24, 0x80000000, v24
.LBB104_161:                            ;   in Loop: Header=BB104_3 Depth=1
	s_or_b32 exec_lo, exec_lo, s43
	s_and_saveexec_b32 s43, s89
; %bb.162:                              ;   in Loop: Header=BB104_3 Depth=1
	ds_store_b32 v37, v24
; %bb.163:                              ;   in Loop: Header=BB104_3 Depth=1
	s_or_b32 exec_lo, exec_lo, s43
	s_wait_dscnt 0x0
	s_barrier_signal -1
	s_barrier_wait -1
	s_and_saveexec_b32 s43, s90
	s_cbranch_execz .LBB104_165
; %bb.164:                              ;   in Loop: Header=BB104_3 Depth=1
	ds_load_b32 v30, v7 offset:2604
	ds_load_b32 v31, v37
	s_wait_dscnt 0x0
	v_fmac_f32_e32 v24, v30, v31
.LBB104_165:                            ;   in Loop: Header=BB104_3 Depth=1
	s_or_b32 exec_lo, exec_lo, s43
	s_barrier_signal -1
	s_barrier_wait -1
	s_and_saveexec_b32 s43, s90
; %bb.166:                              ;   in Loop: Header=BB104_3 Depth=1
	ds_store_b32 v37, v24
; %bb.167:                              ;   in Loop: Header=BB104_3 Depth=1
	s_or_b32 exec_lo, exec_lo, s43
	s_wait_dscnt 0x0
	s_barrier_signal -1
	s_barrier_wait -1
	s_barrier_signal -1
	s_barrier_wait -1
	s_and_saveexec_b32 s43, s2
; %bb.168:                              ;   in Loop: Header=BB104_3 Depth=1
	v_xor_b32_e32 v24, 0x80000000, v24
	ds_store_b32 v39, v24 offset:2088
; %bb.169:                              ;   in Loop: Header=BB104_3 Depth=1
	s_or_b32 exec_lo, exec_lo, s43
	s_wait_dscnt 0x0
	s_barrier_signal -1
	s_barrier_wait -1
	s_barrier_signal -1
	s_barrier_wait -1
	s_and_saveexec_b32 s43, s91
	s_cbranch_execz .LBB104_171
; %bb.170:                              ;   in Loop: Header=BB104_3 Depth=1
	ds_load_b32 v24, v50 offset:2088
	s_wait_dscnt 0x0
	ds_store_b32 v46, v24 offset:2592
	ds_load_b32 v24, v50 offset:2092
	s_wait_dscnt 0x0
	ds_store_b32 v46, v24 offset:2848
.LBB104_171:                            ;   in Loop: Header=BB104_3 Depth=1
	s_or_b32 exec_lo, exec_lo, s43
	s_wait_dscnt 0x0
	s_barrier_signal -1
	s_barrier_wait -1
	s_and_saveexec_b32 s43, s11
	s_cbranch_execz .LBB104_173
; %bb.172:                              ;   in Loop: Header=BB104_3 Depth=1
	ds_load_b32 v24, v7 offset:2604
	ds_store_b32 v7, v25 offset:2600
	s_wait_dscnt 0x1
	ds_store_b64 v7, v[24:25] offset:2856
.LBB104_173:                            ;   in Loop: Header=BB104_3 Depth=1
	s_or_b32 exec_lo, exec_lo, s43
	v_mov_b32_e32 v24, 0
	s_wait_dscnt 0x0
	s_barrier_signal -1
	s_barrier_wait -1
	s_and_saveexec_b32 s43, s4
	s_cbranch_execz .LBB104_179
; %bb.174:                              ;   in Loop: Header=BB104_3 Depth=1
	ds_load_b32 v24, v48 offset:2096
	ds_load_b32 v30, v41 offset:2080
	s_wait_dscnt 0x0
	v_fma_f32 v24, v24, v30, 0
	s_and_saveexec_b32 s44, s13
	s_cbranch_execnz .LBB104_1183
; %bb.175:                              ;   in Loop: Header=BB104_3 Depth=1
	s_or_b32 exec_lo, exec_lo, s44
	s_and_saveexec_b32 s44, s14
	s_cbranch_execnz .LBB104_1184
.LBB104_176:                            ;   in Loop: Header=BB104_3 Depth=1
	s_or_b32 exec_lo, exec_lo, s44
	s_and_saveexec_b32 s44, s2
	s_cbranch_execz .LBB104_178
.LBB104_177:                            ;   in Loop: Header=BB104_3 Depth=1
	ds_load_b32 v30, v53 offset:2864
	ds_load_b32 v31, v7 offset:2092
	s_wait_dscnt 0x0
	v_fmac_f32_e32 v24, v30, v31
.LBB104_178:                            ;   in Loop: Header=BB104_3 Depth=1
	s_or_b32 exec_lo, exec_lo, s44
	s_delay_alu instid0(VALU_DEP_1)
	v_xor_b32_e32 v24, 0x80000000, v24
.LBB104_179:                            ;   in Loop: Header=BB104_3 Depth=1
	s_or_b32 exec_lo, exec_lo, s43
	s_and_saveexec_b32 s43, s92
; %bb.180:                              ;   in Loop: Header=BB104_3 Depth=1
	ds_store_b32 v47, v24
; %bb.181:                              ;   in Loop: Header=BB104_3 Depth=1
	s_or_b32 exec_lo, exec_lo, s43
	s_wait_dscnt 0x0
	s_barrier_signal -1
	s_barrier_wait -1
	s_and_saveexec_b32 s43, s93
	s_cbranch_execz .LBB104_183
; %bb.182:                              ;   in Loop: Header=BB104_3 Depth=1
	ds_load_b32 v30, v45 offset:3120
	ds_load_b32 v31, v47
	s_wait_dscnt 0x0
	v_fmac_f32_e32 v24, v30, v31
.LBB104_183:                            ;   in Loop: Header=BB104_3 Depth=1
	s_or_b32 exec_lo, exec_lo, s43
	s_barrier_signal -1
	s_barrier_wait -1
	s_and_saveexec_b32 s43, s94
; %bb.184:                              ;   in Loop: Header=BB104_3 Depth=1
	ds_store_b32 v47, v24
; %bb.185:                              ;   in Loop: Header=BB104_3 Depth=1
	s_or_b32 exec_lo, exec_lo, s43
	s_wait_dscnt 0x0
	s_barrier_signal -1
	s_barrier_wait -1
	s_and_saveexec_b32 s43, s95
	s_cbranch_execz .LBB104_187
; %bb.186:                              ;   in Loop: Header=BB104_3 Depth=1
	ds_load_b32 v30, v45 offset:3376
	ds_load_b32 v31, v47
	s_wait_dscnt 0x0
	v_fmac_f32_e32 v24, v30, v31
.LBB104_187:                            ;   in Loop: Header=BB104_3 Depth=1
	s_or_b32 exec_lo, exec_lo, s43
	s_barrier_signal -1
	s_barrier_wait -1
	;; [unrolled: 19-line block ×3, first 2 shown]
	s_and_saveexec_b32 s43, s97
; %bb.192:                              ;   in Loop: Header=BB104_3 Depth=1
	ds_store_b32 v47, v24
; %bb.193:                              ;   in Loop: Header=BB104_3 Depth=1
	s_or_b32 exec_lo, exec_lo, s43
	s_wait_dscnt 0x0
	s_barrier_signal -1
	s_barrier_wait -1
	s_barrier_signal -1
	s_barrier_wait -1
	s_and_saveexec_b32 s43, s4
; %bb.194:                              ;   in Loop: Header=BB104_3 Depth=1
	v_xor_b32_e32 v24, 0x80000000, v24
	ds_store_b32 v48, v24 offset:2096
; %bb.195:                              ;   in Loop: Header=BB104_3 Depth=1
	s_or_b32 exec_lo, exec_lo, s43
	s_wait_dscnt 0x0
	s_barrier_signal -1
	s_barrier_wait -1
	s_barrier_signal -1
	s_barrier_wait -1
	s_and_saveexec_b32 s43, s98
	s_cbranch_execz .LBB104_197
; %bb.196:                              ;   in Loop: Header=BB104_3 Depth=1
	ds_load_b32 v24, v56 offset:2096
	s_wait_dscnt 0x0
	ds_store_b32 v59, v24 offset:3104
	ds_load_b32 v24, v56 offset:2100
	s_wait_dscnt 0x0
	ds_store_b32 v59, v24 offset:3360
	;; [unrolled: 3-line block ×4, first 2 shown]
.LBB104_197:                            ;   in Loop: Header=BB104_3 Depth=1
	s_or_b32 exec_lo, exec_lo, s43
	s_wait_dscnt 0x0
	s_barrier_signal -1
	s_barrier_wait -1
	s_and_saveexec_b32 s43, s11
	s_cbranch_execz .LBB104_199
; %bb.198:                              ;   in Loop: Header=BB104_3 Depth=1
	ds_load_b32 v24, v7 offset:3124
	ds_store_b32 v7, v25 offset:3120
	s_wait_dscnt 0x1
	ds_store_b64 v7, v[24:25] offset:3376
.LBB104_199:                            ;   in Loop: Header=BB104_3 Depth=1
	s_or_b32 exec_lo, exec_lo, s43
	v_mov_b32_e32 v24, 0
	s_wait_dscnt 0x0
	s_barrier_signal -1
	s_barrier_wait -1
	s_and_saveexec_b32 s43, s2
	s_cbranch_execz .LBB104_203
; %bb.200:                              ;   in Loop: Header=BB104_3 Depth=1
	ds_load_b32 v24, v39 offset:3128
	ds_load_b32 v30, v40 offset:3120
	s_wait_dscnt 0x0
	v_fma_f32 v24, v24, v30, 0
	s_and_saveexec_b32 s44, s12
	s_cbranch_execz .LBB104_202
; %bb.201:                              ;   in Loop: Header=BB104_3 Depth=1
	ds_load_b32 v30, v59 offset:3384
	ds_load_b32 v31, v7 offset:3124
	s_wait_dscnt 0x0
	v_fmac_f32_e32 v24, v30, v31
.LBB104_202:                            ;   in Loop: Header=BB104_3 Depth=1
	s_or_b32 exec_lo, exec_lo, s44
	s_delay_alu instid0(VALU_DEP_1)
	v_xor_b32_e32 v24, 0x80000000, v24
.LBB104_203:                            ;   in Loop: Header=BB104_3 Depth=1
	s_or_b32 exec_lo, exec_lo, s43
	s_and_saveexec_b32 s43, s89
; %bb.204:                              ;   in Loop: Header=BB104_3 Depth=1
	ds_store_b32 v37, v24
; %bb.205:                              ;   in Loop: Header=BB104_3 Depth=1
	s_or_b32 exec_lo, exec_lo, s43
	s_wait_dscnt 0x0
	s_barrier_signal -1
	s_barrier_wait -1
	s_and_saveexec_b32 s43, s90
	s_cbranch_execz .LBB104_207
; %bb.206:                              ;   in Loop: Header=BB104_3 Depth=1
	ds_load_b32 v30, v7 offset:3644
	ds_load_b32 v31, v37
	s_wait_dscnt 0x0
	v_fmac_f32_e32 v24, v30, v31
.LBB104_207:                            ;   in Loop: Header=BB104_3 Depth=1
	s_or_b32 exec_lo, exec_lo, s43
	s_barrier_signal -1
	s_barrier_wait -1
	s_and_saveexec_b32 s43, s90
; %bb.208:                              ;   in Loop: Header=BB104_3 Depth=1
	ds_store_b32 v37, v24
; %bb.209:                              ;   in Loop: Header=BB104_3 Depth=1
	s_or_b32 exec_lo, exec_lo, s43
	s_wait_dscnt 0x0
	s_barrier_signal -1
	s_barrier_wait -1
	s_barrier_signal -1
	s_barrier_wait -1
	s_and_saveexec_b32 s43, s2
; %bb.210:                              ;   in Loop: Header=BB104_3 Depth=1
	v_xor_b32_e32 v24, 0x80000000, v24
	ds_store_b32 v39, v24 offset:3128
; %bb.211:                              ;   in Loop: Header=BB104_3 Depth=1
	s_or_b32 exec_lo, exec_lo, s43
	s_wait_dscnt 0x0
	s_barrier_signal -1
	s_barrier_wait -1
	s_barrier_signal -1
	s_barrier_wait -1
	s_and_saveexec_b32 s43, s91
	s_cbranch_execz .LBB104_213
; %bb.212:                              ;   in Loop: Header=BB104_3 Depth=1
	v_add_nc_u32_e32 v24, v59, v44
	ds_load_b32 v30, v24 offset:3128
	s_wait_dscnt 0x0
	ds_store_b32 v59, v30 offset:3632
	ds_load_b32 v24, v24 offset:3132
	s_wait_dscnt 0x0
	ds_store_b32 v59, v24 offset:3888
.LBB104_213:                            ;   in Loop: Header=BB104_3 Depth=1
	s_or_b32 exec_lo, exec_lo, s43
	s_wait_dscnt 0x0
	s_barrier_signal -1
	s_barrier_wait -1
	s_and_saveexec_b32 s43, s11
	s_cbranch_execz .LBB104_215
; %bb.214:                              ;   in Loop: Header=BB104_3 Depth=1
	ds_load_b32 v24, v7 offset:3644
	ds_store_b32 v7, v25 offset:3640
	s_wait_dscnt 0x1
	ds_store_b64 v7, v[24:25] offset:3896
.LBB104_215:                            ;   in Loop: Header=BB104_3 Depth=1
	s_or_b32 exec_lo, exec_lo, s43
	v_mov_b32_e32 v24, 0
	s_wait_dscnt 0x0
	s_barrier_signal -1
	s_barrier_wait -1
	s_and_saveexec_b32 s43, s6
	s_cbranch_execz .LBB104_243
; %bb.216:                              ;   in Loop: Header=BB104_3 Depth=1
	ds_load_b32 v24, v65 offset:64
	ds_load_b32 v30, v57
	s_wait_dscnt 0x0
	v_fma_f32 v24, v24, v30, 0
	s_mov_b32 s44, exec_lo
	v_readlane_b32 s45, v93, 18
	s_and_b32 s45, s44, s45
	s_delay_alu instid0(SALU_CYCLE_1)
	s_mov_b32 exec_lo, s45
	s_cbranch_execz .LBB104_218
; %bb.217:                              ;   in Loop: Header=BB104_3 Depth=1
	ds_load_b32 v30, v66 offset:320
	ds_load_b32 v31, v57 offset:4
	s_wait_dscnt 0x0
	v_fmac_f32_e32 v24, v30, v31
.LBB104_218:                            ;   in Loop: Header=BB104_3 Depth=1
	s_or_b32 exec_lo, exec_lo, s44
	s_delay_alu instid0(SALU_CYCLE_1) | instskip(SKIP_2) | instid1(SALU_CYCLE_1)
	s_mov_b32 s44, exec_lo
	v_readlane_b32 s45, v93, 19
	s_and_b32 s45, s44, s45
	s_mov_b32 exec_lo, s45
	s_cbranch_execz .LBB104_220
; %bb.219:                              ;   in Loop: Header=BB104_3 Depth=1
	ds_load_b32 v30, v66 offset:576
	ds_load_b32 v31, v57 offset:8
	s_wait_dscnt 0x0
	v_fmac_f32_e32 v24, v30, v31
.LBB104_220:                            ;   in Loop: Header=BB104_3 Depth=1
	s_or_b32 exec_lo, exec_lo, s44
	s_delay_alu instid0(SALU_CYCLE_1) | instskip(SKIP_2) | instid1(SALU_CYCLE_1)
	s_mov_b32 s44, exec_lo
	v_readlane_b32 s45, v93, 20
	s_and_b32 s45, s44, s45
	;; [unrolled: 13-line block ×10, first 2 shown]
	s_mov_b32 exec_lo, s45
	s_cbranch_execnz .LBB104_1185
; %bb.237:                              ;   in Loop: Header=BB104_3 Depth=1
	s_or_b32 exec_lo, exec_lo, s44
	s_and_saveexec_b32 s44, s5
	s_cbranch_execnz .LBB104_1186
.LBB104_238:                            ;   in Loop: Header=BB104_3 Depth=1
	s_or_b32 exec_lo, exec_lo, s44
	s_and_saveexec_b32 s44, s16
	s_cbranch_execnz .LBB104_1187
.LBB104_239:                            ;   in Loop: Header=BB104_3 Depth=1
	s_or_b32 exec_lo, exec_lo, s44
	s_and_saveexec_b32 s44, s18
	s_cbranch_execnz .LBB104_1188
.LBB104_240:                            ;   in Loop: Header=BB104_3 Depth=1
	s_or_b32 exec_lo, exec_lo, s44
	s_and_saveexec_b32 s44, s4
	s_cbranch_execz .LBB104_242
.LBB104_241:                            ;   in Loop: Header=BB104_3 Depth=1
	ds_load_b32 v30, v3 offset:3904
	ds_load_b32 v31, v7 offset:60
	s_wait_dscnt 0x0
	v_fmac_f32_e32 v24, v30, v31
.LBB104_242:                            ;   in Loop: Header=BB104_3 Depth=1
	s_or_b32 exec_lo, exec_lo, s44
	s_delay_alu instid0(VALU_DEP_1)
	v_xor_b32_e32 v24, 0x80000000, v24
.LBB104_243:                            ;   in Loop: Header=BB104_3 Depth=1
	s_or_b32 exec_lo, exec_lo, s43
	s_delay_alu instid0(SALU_CYCLE_1) | instskip(SKIP_2) | instid1(SALU_CYCLE_1)
	s_mov_b32 s43, exec_lo
	v_readlane_b32 s44, v95, 2
	s_and_b32 s44, s43, s44
	s_mov_b32 exec_lo, s44
; %bb.244:                              ;   in Loop: Header=BB104_3 Depth=1
	ds_store_b32 v64, v24
; %bb.245:                              ;   in Loop: Header=BB104_3 Depth=1
	s_or_b32 exec_lo, exec_lo, s43
	s_wait_dscnt 0x0
	s_barrier_signal -1
	s_barrier_wait -1
	s_mov_b32 s43, exec_lo
	v_readlane_b32 s44, v95, 3
	s_and_b32 s44, s43, s44
	s_delay_alu instid0(SALU_CYCLE_1)
	s_mov_b32 exec_lo, s44
	s_cbranch_execz .LBB104_247
; %bb.246:                              ;   in Loop: Header=BB104_3 Depth=1
	ds_load_b32 v30, v60 offset:4160
	ds_load_b32 v31, v64
	s_wait_dscnt 0x0
	v_fmac_f32_e32 v24, v30, v31
.LBB104_247:                            ;   in Loop: Header=BB104_3 Depth=1
	s_or_b32 exec_lo, exec_lo, s43
	s_barrier_signal -1
	s_barrier_wait -1
	s_mov_b32 s43, exec_lo
	v_readlane_b32 s44, v95, 4
	s_and_b32 s44, s43, s44
	s_delay_alu instid0(SALU_CYCLE_1)
	s_mov_b32 exec_lo, s44
; %bb.248:                              ;   in Loop: Header=BB104_3 Depth=1
	ds_store_b32 v64, v24
; %bb.249:                              ;   in Loop: Header=BB104_3 Depth=1
	s_or_b32 exec_lo, exec_lo, s43
	s_wait_dscnt 0x0
	s_barrier_signal -1
	s_barrier_wait -1
	s_mov_b32 s43, exec_lo
	v_readlane_b32 s44, v95, 5
	s_and_b32 s44, s43, s44
	s_delay_alu instid0(SALU_CYCLE_1)
	s_mov_b32 exec_lo, s44
	s_cbranch_execz .LBB104_251
; %bb.250:                              ;   in Loop: Header=BB104_3 Depth=1
	ds_load_b32 v30, v60 offset:4416
	ds_load_b32 v31, v64
	s_wait_dscnt 0x0
	v_fmac_f32_e32 v24, v30, v31
.LBB104_251:                            ;   in Loop: Header=BB104_3 Depth=1
	s_or_b32 exec_lo, exec_lo, s43
	s_barrier_signal -1
	s_barrier_wait -1
	s_mov_b32 s43, exec_lo
	v_readlane_b32 s44, v95, 6
	s_and_b32 s44, s43, s44
	s_delay_alu instid0(SALU_CYCLE_1)
	;; [unrolled: 27-line block ×3, first 2 shown]
	s_mov_b32 exec_lo, s44
; %bb.256:                              ;   in Loop: Header=BB104_3 Depth=1
	ds_store_b32 v64, v24
; %bb.257:                              ;   in Loop: Header=BB104_3 Depth=1
	s_or_b32 exec_lo, exec_lo, s43
	s_wait_dscnt 0x0
	s_barrier_signal -1
	s_barrier_wait -1
	s_mov_b32 s43, exec_lo
	v_readlane_b32 s44, v95, 9
	s_and_b32 s44, s43, s44
	s_delay_alu instid0(SALU_CYCLE_1)
	s_mov_b32 exec_lo, s44
	s_cbranch_execz .LBB104_259
; %bb.258:                              ;   in Loop: Header=BB104_3 Depth=1
	ds_load_b32 v30, v60 offset:4928
	ds_load_b32 v31, v64
	s_wait_dscnt 0x0
	v_fmac_f32_e32 v24, v30, v31
.LBB104_259:                            ;   in Loop: Header=BB104_3 Depth=1
	s_or_b32 exec_lo, exec_lo, s43
	s_barrier_signal -1
	s_barrier_wait -1
	s_and_saveexec_b32 s43, s48
; %bb.260:                              ;   in Loop: Header=BB104_3 Depth=1
	ds_store_b32 v64, v24
; %bb.261:                              ;   in Loop: Header=BB104_3 Depth=1
	s_or_b32 exec_lo, exec_lo, s43
	s_wait_dscnt 0x0
	s_barrier_signal -1
	s_barrier_wait -1
	s_and_saveexec_b32 s43, s49
	s_cbranch_execz .LBB104_263
; %bb.262:                              ;   in Loop: Header=BB104_3 Depth=1
	ds_load_b32 v30, v60 offset:5184
	ds_load_b32 v31, v64
	s_wait_dscnt 0x0
	v_fmac_f32_e32 v24, v30, v31
.LBB104_263:                            ;   in Loop: Header=BB104_3 Depth=1
	s_or_b32 exec_lo, exec_lo, s43
	s_barrier_signal -1
	s_barrier_wait -1
	s_and_saveexec_b32 s43, s50
; %bb.264:                              ;   in Loop: Header=BB104_3 Depth=1
	ds_store_b32 v64, v24
; %bb.265:                              ;   in Loop: Header=BB104_3 Depth=1
	s_or_b32 exec_lo, exec_lo, s43
	s_wait_dscnt 0x0
	s_barrier_signal -1
	s_barrier_wait -1
	s_and_saveexec_b32 s43, s51
	;; [unrolled: 19-line block ×11, first 2 shown]
	s_cbranch_execz .LBB104_303
; %bb.302:                              ;   in Loop: Header=BB104_3 Depth=1
	ds_load_b32 v30, v7 offset:7804
	ds_load_b32 v31, v64
	s_wait_dscnt 0x0
	v_fmac_f32_e32 v24, v30, v31
.LBB104_303:                            ;   in Loop: Header=BB104_3 Depth=1
	s_or_b32 exec_lo, exec_lo, s43
	s_barrier_signal -1
	s_barrier_wait -1
	s_and_saveexec_b32 s43, s29
; %bb.304:                              ;   in Loop: Header=BB104_3 Depth=1
	ds_store_b32 v64, v24
; %bb.305:                              ;   in Loop: Header=BB104_3 Depth=1
	s_or_b32 exec_lo, exec_lo, s43
	s_wait_dscnt 0x0
	s_barrier_signal -1
	s_barrier_wait -1
	s_barrier_signal -1
	s_barrier_wait -1
	s_and_saveexec_b32 s43, s6
; %bb.306:                              ;   in Loop: Header=BB104_3 Depth=1
	v_xor_b32_e32 v24, 0x80000000, v24
	ds_store_b32 v65, v24 offset:64
; %bb.307:                              ;   in Loop: Header=BB104_3 Depth=1
	s_or_b32 exec_lo, exec_lo, s43
	s_wait_dscnt 0x0
	s_barrier_signal -1
	s_barrier_wait -1
	s_barrier_signal -1
	s_barrier_wait -1
	s_and_saveexec_b32 s43, s61
	s_cbranch_execz .LBB104_309
; %bb.308:                              ;   in Loop: Header=BB104_3 Depth=1
	ds_load_b32 v24, v5 offset:64
	s_wait_dscnt 0x0
	ds_store_b32 v9, v24 offset:4096
	ds_load_b32 v24, v5 offset:68
	s_wait_dscnt 0x0
	ds_store_b32 v9, v24 offset:4352
	;; [unrolled: 3-line block ×16, first 2 shown]
.LBB104_309:                            ;   in Loop: Header=BB104_3 Depth=1
	s_or_b32 exec_lo, exec_lo, s43
	s_wait_dscnt 0x0
	s_barrier_signal -1
	s_barrier_wait -1
	s_and_saveexec_b32 s43, s11
	s_cbranch_execz .LBB104_311
; %bb.310:                              ;   in Loop: Header=BB104_3 Depth=1
	ds_load_b32 v24, v7 offset:4164
	ds_store_b32 v7, v25 offset:4160
	s_wait_dscnt 0x1
	ds_store_b64 v7, v[24:25] offset:4416
.LBB104_311:                            ;   in Loop: Header=BB104_3 Depth=1
	s_or_b32 exec_lo, exec_lo, s43
	v_mov_b32_e32 v24, 0
	s_wait_dscnt 0x0
	s_barrier_signal -1
	s_barrier_wait -1
	s_and_saveexec_b32 s43, s2
	s_cbranch_execz .LBB104_315
; %bb.312:                              ;   in Loop: Header=BB104_3 Depth=1
	ds_load_b32 v24, v39 offset:4168
	ds_load_b32 v30, v40 offset:4160
	s_wait_dscnt 0x0
	v_fma_f32 v24, v24, v30, 0
	s_and_saveexec_b32 s44, s12
	s_cbranch_execz .LBB104_314
; %bb.313:                              ;   in Loop: Header=BB104_3 Depth=1
	ds_load_b32 v30, v3 offset:4424
	ds_load_b32 v31, v7 offset:4164
	s_wait_dscnt 0x0
	v_fmac_f32_e32 v24, v30, v31
.LBB104_314:                            ;   in Loop: Header=BB104_3 Depth=1
	s_or_b32 exec_lo, exec_lo, s44
	s_delay_alu instid0(VALU_DEP_1)
	v_xor_b32_e32 v24, 0x80000000, v24
.LBB104_315:                            ;   in Loop: Header=BB104_3 Depth=1
	s_or_b32 exec_lo, exec_lo, s43
	s_and_saveexec_b32 s43, s89
; %bb.316:                              ;   in Loop: Header=BB104_3 Depth=1
	ds_store_b32 v37, v24
; %bb.317:                              ;   in Loop: Header=BB104_3 Depth=1
	s_or_b32 exec_lo, exec_lo, s43
	s_wait_dscnt 0x0
	s_barrier_signal -1
	s_barrier_wait -1
	s_and_saveexec_b32 s43, s90
	s_cbranch_execz .LBB104_319
; %bb.318:                              ;   in Loop: Header=BB104_3 Depth=1
	ds_load_b32 v30, v7 offset:4684
	ds_load_b32 v31, v37
	s_wait_dscnt 0x0
	v_fmac_f32_e32 v24, v30, v31
.LBB104_319:                            ;   in Loop: Header=BB104_3 Depth=1
	s_or_b32 exec_lo, exec_lo, s43
	s_barrier_signal -1
	s_barrier_wait -1
	s_and_saveexec_b32 s43, s90
; %bb.320:                              ;   in Loop: Header=BB104_3 Depth=1
	ds_store_b32 v37, v24
; %bb.321:                              ;   in Loop: Header=BB104_3 Depth=1
	s_or_b32 exec_lo, exec_lo, s43
	s_wait_dscnt 0x0
	s_barrier_signal -1
	s_barrier_wait -1
	s_barrier_signal -1
	s_barrier_wait -1
	s_and_saveexec_b32 s43, s2
; %bb.322:                              ;   in Loop: Header=BB104_3 Depth=1
	v_xor_b32_e32 v24, 0x80000000, v24
	ds_store_b32 v39, v24 offset:4168
; %bb.323:                              ;   in Loop: Header=BB104_3 Depth=1
	s_or_b32 exec_lo, exec_lo, s43
	s_wait_dscnt 0x0
	s_barrier_signal -1
	s_barrier_wait -1
	s_barrier_signal -1
	s_barrier_wait -1
	s_and_saveexec_b32 s43, s91
	s_cbranch_execz .LBB104_325
; %bb.324:                              ;   in Loop: Header=BB104_3 Depth=1
	ds_load_b32 v24, v5 offset:4168
	s_wait_dscnt 0x0
	ds_store_b32 v3, v24 offset:4672
	ds_load_b32 v24, v5 offset:4172
	s_wait_dscnt 0x0
	ds_store_b32 v3, v24 offset:4928
.LBB104_325:                            ;   in Loop: Header=BB104_3 Depth=1
	s_or_b32 exec_lo, exec_lo, s43
	s_wait_dscnt 0x0
	s_barrier_signal -1
	s_barrier_wait -1
	s_and_saveexec_b32 s43, s11
	s_cbranch_execz .LBB104_327
; %bb.326:                              ;   in Loop: Header=BB104_3 Depth=1
	ds_load_b32 v24, v7 offset:4684
	ds_store_b32 v7, v25 offset:4680
	s_wait_dscnt 0x1
	ds_store_b64 v7, v[24:25] offset:4936
.LBB104_327:                            ;   in Loop: Header=BB104_3 Depth=1
	s_or_b32 exec_lo, exec_lo, s43
	v_mov_b32_e32 v24, 0
	s_wait_dscnt 0x0
	s_barrier_signal -1
	s_barrier_wait -1
	s_and_saveexec_b32 s43, s4
	s_cbranch_execz .LBB104_333
; %bb.328:                              ;   in Loop: Header=BB104_3 Depth=1
	ds_load_b32 v24, v48 offset:4176
	ds_load_b32 v30, v41 offset:4160
	s_wait_dscnt 0x0
	v_fma_f32 v24, v24, v30, 0
	s_and_saveexec_b32 s44, s13
	s_cbranch_execnz .LBB104_1189
; %bb.329:                              ;   in Loop: Header=BB104_3 Depth=1
	s_or_b32 exec_lo, exec_lo, s44
	s_and_saveexec_b32 s44, s14
	s_cbranch_execnz .LBB104_1190
.LBB104_330:                            ;   in Loop: Header=BB104_3 Depth=1
	s_or_b32 exec_lo, exec_lo, s44
	s_and_saveexec_b32 s44, s2
	s_cbranch_execz .LBB104_332
.LBB104_331:                            ;   in Loop: Header=BB104_3 Depth=1
	ds_load_b32 v30, v9 offset:4944
	ds_load_b32 v31, v7 offset:4172
	s_wait_dscnt 0x0
	v_fmac_f32_e32 v24, v30, v31
.LBB104_332:                            ;   in Loop: Header=BB104_3 Depth=1
	s_or_b32 exec_lo, exec_lo, s44
	s_delay_alu instid0(VALU_DEP_1)
	v_xor_b32_e32 v24, 0x80000000, v24
.LBB104_333:                            ;   in Loop: Header=BB104_3 Depth=1
	s_or_b32 exec_lo, exec_lo, s43
	s_and_saveexec_b32 s43, s92
; %bb.334:                              ;   in Loop: Header=BB104_3 Depth=1
	ds_store_b32 v47, v24
; %bb.335:                              ;   in Loop: Header=BB104_3 Depth=1
	s_or_b32 exec_lo, exec_lo, s43
	s_wait_dscnt 0x0
	s_barrier_signal -1
	s_barrier_wait -1
	s_and_saveexec_b32 s43, s93
	s_cbranch_execz .LBB104_337
; %bb.336:                              ;   in Loop: Header=BB104_3 Depth=1
	ds_load_b32 v30, v45 offset:5200
	ds_load_b32 v31, v47
	s_wait_dscnt 0x0
	v_fmac_f32_e32 v24, v30, v31
.LBB104_337:                            ;   in Loop: Header=BB104_3 Depth=1
	s_or_b32 exec_lo, exec_lo, s43
	s_barrier_signal -1
	s_barrier_wait -1
	s_and_saveexec_b32 s43, s94
; %bb.338:                              ;   in Loop: Header=BB104_3 Depth=1
	ds_store_b32 v47, v24
; %bb.339:                              ;   in Loop: Header=BB104_3 Depth=1
	s_or_b32 exec_lo, exec_lo, s43
	s_wait_dscnt 0x0
	s_barrier_signal -1
	s_barrier_wait -1
	s_and_saveexec_b32 s43, s95
	s_cbranch_execz .LBB104_341
; %bb.340:                              ;   in Loop: Header=BB104_3 Depth=1
	ds_load_b32 v30, v45 offset:5456
	ds_load_b32 v31, v47
	s_wait_dscnt 0x0
	v_fmac_f32_e32 v24, v30, v31
.LBB104_341:                            ;   in Loop: Header=BB104_3 Depth=1
	s_or_b32 exec_lo, exec_lo, s43
	s_barrier_signal -1
	s_barrier_wait -1
	;; [unrolled: 19-line block ×3, first 2 shown]
	s_and_saveexec_b32 s43, s97
; %bb.346:                              ;   in Loop: Header=BB104_3 Depth=1
	ds_store_b32 v47, v24
; %bb.347:                              ;   in Loop: Header=BB104_3 Depth=1
	s_or_b32 exec_lo, exec_lo, s43
	s_wait_dscnt 0x0
	s_barrier_signal -1
	s_barrier_wait -1
	s_barrier_signal -1
	s_barrier_wait -1
	s_and_saveexec_b32 s43, s4
; %bb.348:                              ;   in Loop: Header=BB104_3 Depth=1
	v_xor_b32_e32 v24, 0x80000000, v24
	ds_store_b32 v48, v24 offset:4176
; %bb.349:                              ;   in Loop: Header=BB104_3 Depth=1
	s_or_b32 exec_lo, exec_lo, s43
	s_wait_dscnt 0x0
	s_barrier_signal -1
	s_barrier_wait -1
	s_barrier_signal -1
	s_barrier_wait -1
	s_and_saveexec_b32 s43, s98
	s_cbranch_execz .LBB104_351
; %bb.350:                              ;   in Loop: Header=BB104_3 Depth=1
	ds_load_b32 v24, v34 offset:4176
	s_wait_dscnt 0x0
	ds_store_b32 v35, v24 offset:5184
	ds_load_b32 v24, v34 offset:4180
	s_wait_dscnt 0x0
	ds_store_b32 v35, v24 offset:5440
	;; [unrolled: 3-line block ×4, first 2 shown]
.LBB104_351:                            ;   in Loop: Header=BB104_3 Depth=1
	s_or_b32 exec_lo, exec_lo, s43
	s_wait_dscnt 0x0
	s_barrier_signal -1
	s_barrier_wait -1
	s_and_saveexec_b32 s43, s11
	s_cbranch_execz .LBB104_353
; %bb.352:                              ;   in Loop: Header=BB104_3 Depth=1
	ds_load_b32 v24, v7 offset:5204
	ds_store_b32 v7, v25 offset:5200
	s_wait_dscnt 0x1
	ds_store_b64 v7, v[24:25] offset:5456
.LBB104_353:                            ;   in Loop: Header=BB104_3 Depth=1
	s_or_b32 exec_lo, exec_lo, s43
	v_mov_b32_e32 v24, 0
	s_wait_dscnt 0x0
	s_barrier_signal -1
	s_barrier_wait -1
	s_and_saveexec_b32 s43, s2
	s_cbranch_execz .LBB104_357
; %bb.354:                              ;   in Loop: Header=BB104_3 Depth=1
	ds_load_b32 v24, v39 offset:5208
	ds_load_b32 v30, v40 offset:5200
	s_wait_dscnt 0x0
	v_fma_f32 v24, v24, v30, 0
	s_and_saveexec_b32 s44, s12
	s_cbranch_execz .LBB104_356
; %bb.355:                              ;   in Loop: Header=BB104_3 Depth=1
	ds_load_b32 v30, v35 offset:5464
	ds_load_b32 v31, v7 offset:5204
	s_wait_dscnt 0x0
	v_fmac_f32_e32 v24, v30, v31
.LBB104_356:                            ;   in Loop: Header=BB104_3 Depth=1
	s_or_b32 exec_lo, exec_lo, s44
	s_delay_alu instid0(VALU_DEP_1)
	v_xor_b32_e32 v24, 0x80000000, v24
.LBB104_357:                            ;   in Loop: Header=BB104_3 Depth=1
	s_or_b32 exec_lo, exec_lo, s43
	s_and_saveexec_b32 s43, s89
; %bb.358:                              ;   in Loop: Header=BB104_3 Depth=1
	ds_store_b32 v37, v24
; %bb.359:                              ;   in Loop: Header=BB104_3 Depth=1
	s_or_b32 exec_lo, exec_lo, s43
	s_wait_dscnt 0x0
	s_barrier_signal -1
	s_barrier_wait -1
	s_and_saveexec_b32 s43, s90
	s_cbranch_execz .LBB104_361
; %bb.360:                              ;   in Loop: Header=BB104_3 Depth=1
	ds_load_b32 v30, v7 offset:5724
	ds_load_b32 v31, v37
	s_wait_dscnt 0x0
	v_fmac_f32_e32 v24, v30, v31
.LBB104_361:                            ;   in Loop: Header=BB104_3 Depth=1
	s_or_b32 exec_lo, exec_lo, s43
	s_barrier_signal -1
	s_barrier_wait -1
	s_and_saveexec_b32 s43, s90
; %bb.362:                              ;   in Loop: Header=BB104_3 Depth=1
	ds_store_b32 v37, v24
; %bb.363:                              ;   in Loop: Header=BB104_3 Depth=1
	s_or_b32 exec_lo, exec_lo, s43
	s_wait_dscnt 0x0
	s_barrier_signal -1
	s_barrier_wait -1
	s_barrier_signal -1
	s_barrier_wait -1
	s_and_saveexec_b32 s43, s2
; %bb.364:                              ;   in Loop: Header=BB104_3 Depth=1
	v_xor_b32_e32 v24, 0x80000000, v24
	ds_store_b32 v39, v24 offset:5208
; %bb.365:                              ;   in Loop: Header=BB104_3 Depth=1
	s_or_b32 exec_lo, exec_lo, s43
	s_wait_dscnt 0x0
	s_barrier_signal -1
	s_barrier_wait -1
	s_barrier_signal -1
	s_barrier_wait -1
	s_and_saveexec_b32 s43, s91
	s_cbranch_execz .LBB104_367
; %bb.366:                              ;   in Loop: Header=BB104_3 Depth=1
	ds_load_b32 v24, v36 offset:5208
	s_wait_dscnt 0x0
	ds_store_b32 v35, v24 offset:5712
	ds_load_b32 v24, v36 offset:5212
	s_wait_dscnt 0x0
	ds_store_b32 v35, v24 offset:5968
.LBB104_367:                            ;   in Loop: Header=BB104_3 Depth=1
	s_or_b32 exec_lo, exec_lo, s43
	s_wait_dscnt 0x0
	s_barrier_signal -1
	s_barrier_wait -1
	s_and_saveexec_b32 s43, s11
	s_cbranch_execz .LBB104_369
; %bb.368:                              ;   in Loop: Header=BB104_3 Depth=1
	ds_load_b32 v24, v7 offset:5724
	ds_store_b32 v7, v25 offset:5720
	s_wait_dscnt 0x1
	ds_store_b64 v7, v[24:25] offset:5976
.LBB104_369:                            ;   in Loop: Header=BB104_3 Depth=1
	s_or_b32 exec_lo, exec_lo, s43
	v_mov_b32_e32 v24, 0
	s_wait_dscnt 0x0
	s_barrier_signal -1
	s_barrier_wait -1
	s_and_saveexec_b32 s43, s5
	s_cbranch_execz .LBB104_379
; %bb.370:                              ;   in Loop: Header=BB104_3 Depth=1
	ds_load_b32 v24, v55 offset:4192
	ds_load_b32 v30, v52 offset:4160
	s_wait_dscnt 0x0
	v_fma_f32 v24, v24, v30, 0
	s_and_saveexec_b32 s44, s15
	s_cbranch_execnz .LBB104_1191
; %bb.371:                              ;   in Loop: Header=BB104_3 Depth=1
	s_or_b32 exec_lo, exec_lo, s44
	s_and_saveexec_b32 s44, s16
	s_cbranch_execnz .LBB104_1192
.LBB104_372:                            ;   in Loop: Header=BB104_3 Depth=1
	s_or_b32 exec_lo, exec_lo, s44
	s_and_saveexec_b32 s44, s17
	s_cbranch_execnz .LBB104_1193
.LBB104_373:                            ;   in Loop: Header=BB104_3 Depth=1
	s_or_b32 exec_lo, exec_lo, s44
	s_and_saveexec_b32 s44, s18
	s_cbranch_execnz .LBB104_1194
.LBB104_374:                            ;   in Loop: Header=BB104_3 Depth=1
	s_or_b32 exec_lo, exec_lo, s44
	s_and_saveexec_b32 s44, s19
	s_cbranch_execnz .LBB104_1195
.LBB104_375:                            ;   in Loop: Header=BB104_3 Depth=1
	s_or_b32 exec_lo, exec_lo, s44
	s_and_saveexec_b32 s44, s4
	s_cbranch_execnz .LBB104_1196
.LBB104_376:                            ;   in Loop: Header=BB104_3 Depth=1
	s_or_b32 exec_lo, exec_lo, s44
	s_and_saveexec_b32 s44, s14
	s_cbranch_execz .LBB104_378
.LBB104_377:                            ;   in Loop: Header=BB104_3 Depth=1
	ds_load_b32 v30, v38 offset:5984
	ds_load_b32 v31, v7 offset:4188
	s_wait_dscnt 0x0
	v_fmac_f32_e32 v24, v30, v31
.LBB104_378:                            ;   in Loop: Header=BB104_3 Depth=1
	s_or_b32 exec_lo, exec_lo, s44
	s_delay_alu instid0(VALU_DEP_1)
	v_xor_b32_e32 v24, 0x80000000, v24
.LBB104_379:                            ;   in Loop: Header=BB104_3 Depth=1
	s_or_b32 exec_lo, exec_lo, s43
	s_and_saveexec_b32 s43, s99
; %bb.380:                              ;   in Loop: Header=BB104_3 Depth=1
	ds_store_b32 v54, v24
; %bb.381:                              ;   in Loop: Header=BB104_3 Depth=1
	s_or_b32 exec_lo, exec_lo, s43
	s_wait_dscnt 0x0
	s_barrier_signal -1
	s_barrier_wait -1
	s_and_saveexec_b32 s43, s100
	s_cbranch_execz .LBB104_383
; %bb.382:                              ;   in Loop: Header=BB104_3 Depth=1
	ds_load_b32 v30, v51 offset:6240
	ds_load_b32 v31, v54
	s_wait_dscnt 0x0
	v_fmac_f32_e32 v24, v30, v31
.LBB104_383:                            ;   in Loop: Header=BB104_3 Depth=1
	s_or_b32 exec_lo, exec_lo, s43
	s_barrier_signal -1
	s_barrier_wait -1
	s_and_saveexec_b32 s43, s101
; %bb.384:                              ;   in Loop: Header=BB104_3 Depth=1
	ds_store_b32 v54, v24
; %bb.385:                              ;   in Loop: Header=BB104_3 Depth=1
	s_or_b32 exec_lo, exec_lo, s43
	s_wait_dscnt 0x0
	s_barrier_signal -1
	s_barrier_wait -1
	s_and_saveexec_b32 s43, s102
	s_cbranch_execz .LBB104_387
; %bb.386:                              ;   in Loop: Header=BB104_3 Depth=1
	ds_load_b32 v30, v51 offset:6496
	ds_load_b32 v31, v54
	s_wait_dscnt 0x0
	v_fmac_f32_e32 v24, v30, v31
.LBB104_387:                            ;   in Loop: Header=BB104_3 Depth=1
	s_or_b32 exec_lo, exec_lo, s43
	s_barrier_signal -1
	s_barrier_wait -1
	;; [unrolled: 19-line block ×3, first 2 shown]
	s_and_saveexec_b32 s43, vcc_hi
; %bb.392:                              ;   in Loop: Header=BB104_3 Depth=1
	ds_store_b32 v54, v24
; %bb.393:                              ;   in Loop: Header=BB104_3 Depth=1
	s_or_b32 exec_lo, exec_lo, s43
	s_wait_dscnt 0x0
	s_barrier_signal -1
	s_barrier_wait -1
	s_and_saveexec_b32 s43, s31
	s_cbranch_execz .LBB104_395
; %bb.394:                              ;   in Loop: Header=BB104_3 Depth=1
	ds_load_b32 v30, v51 offset:7008
	ds_load_b32 v31, v54
	s_wait_dscnt 0x0
	v_fmac_f32_e32 v24, v30, v31
.LBB104_395:                            ;   in Loop: Header=BB104_3 Depth=1
	s_or_b32 exec_lo, exec_lo, s43
	s_barrier_signal -1
	s_barrier_wait -1
	s_and_saveexec_b32 s43, s33
; %bb.396:                              ;   in Loop: Header=BB104_3 Depth=1
	ds_store_b32 v54, v24
; %bb.397:                              ;   in Loop: Header=BB104_3 Depth=1
	s_or_b32 exec_lo, exec_lo, s43
	s_wait_dscnt 0x0
	s_barrier_signal -1
	s_barrier_wait -1
	s_and_saveexec_b32 s43, s34
	s_cbranch_execz .LBB104_399
; %bb.398:                              ;   in Loop: Header=BB104_3 Depth=1
	ds_load_b32 v30, v51 offset:7264
	ds_load_b32 v31, v54
	s_wait_dscnt 0x0
	v_fmac_f32_e32 v24, v30, v31
.LBB104_399:                            ;   in Loop: Header=BB104_3 Depth=1
	s_or_b32 exec_lo, exec_lo, s43
	s_barrier_signal -1
	s_barrier_wait -1
	s_and_saveexec_b32 s43, s35
	;; [unrolled: 19-line block ×4, first 2 shown]
; %bb.408:                              ;   in Loop: Header=BB104_3 Depth=1
	ds_store_b32 v54, v24
; %bb.409:                              ;   in Loop: Header=BB104_3 Depth=1
	s_or_b32 exec_lo, exec_lo, s43
	s_wait_dscnt 0x0
	s_barrier_signal -1
	s_barrier_wait -1
	s_barrier_signal -1
	s_barrier_wait -1
	s_and_saveexec_b32 s43, s5
; %bb.410:                              ;   in Loop: Header=BB104_3 Depth=1
	v_xor_b32_e32 v24, 0x80000000, v24
	ds_store_b32 v55, v24 offset:4192
; %bb.411:                              ;   in Loop: Header=BB104_3 Depth=1
	s_or_b32 exec_lo, exec_lo, s43
	s_wait_dscnt 0x0
	s_barrier_signal -1
	s_barrier_wait -1
	s_barrier_signal -1
	s_barrier_wait -1
	s_and_saveexec_b32 s43, s39
	s_cbranch_execz .LBB104_413
; %bb.412:                              ;   in Loop: Header=BB104_3 Depth=1
	ds_load_b32 v24, v42 offset:4192
	s_wait_dscnt 0x0
	ds_store_b32 v46, v24 offset:6208
	ds_load_b32 v24, v42 offset:4196
	s_wait_dscnt 0x0
	ds_store_b32 v46, v24 offset:6464
	;; [unrolled: 3-line block ×8, first 2 shown]
.LBB104_413:                            ;   in Loop: Header=BB104_3 Depth=1
	s_or_b32 exec_lo, exec_lo, s43
	s_wait_dscnt 0x0
	s_barrier_signal -1
	s_barrier_wait -1
	s_and_saveexec_b32 s43, s11
	s_cbranch_execz .LBB104_415
; %bb.414:                              ;   in Loop: Header=BB104_3 Depth=1
	ds_load_b32 v24, v7 offset:6244
	ds_store_b32 v7, v25 offset:6240
	s_wait_dscnt 0x1
	ds_store_b64 v7, v[24:25] offset:6496
.LBB104_415:                            ;   in Loop: Header=BB104_3 Depth=1
	s_or_b32 exec_lo, exec_lo, s43
	v_mov_b32_e32 v24, 0
	s_wait_dscnt 0x0
	s_barrier_signal -1
	s_barrier_wait -1
	s_and_saveexec_b32 s43, s2
	s_cbranch_execz .LBB104_419
; %bb.416:                              ;   in Loop: Header=BB104_3 Depth=1
	ds_load_b32 v24, v39 offset:6248
	ds_load_b32 v30, v40 offset:6240
	s_wait_dscnt 0x0
	v_fma_f32 v24, v24, v30, 0
	s_and_saveexec_b32 s44, s12
	s_cbranch_execz .LBB104_418
; %bb.417:                              ;   in Loop: Header=BB104_3 Depth=1
	ds_load_b32 v30, v46 offset:6504
	ds_load_b32 v31, v7 offset:6244
	s_wait_dscnt 0x0
	v_fmac_f32_e32 v24, v30, v31
.LBB104_418:                            ;   in Loop: Header=BB104_3 Depth=1
	s_or_b32 exec_lo, exec_lo, s44
	s_delay_alu instid0(VALU_DEP_1)
	v_xor_b32_e32 v24, 0x80000000, v24
.LBB104_419:                            ;   in Loop: Header=BB104_3 Depth=1
	s_or_b32 exec_lo, exec_lo, s43
	s_and_saveexec_b32 s43, s89
; %bb.420:                              ;   in Loop: Header=BB104_3 Depth=1
	ds_store_b32 v37, v24
; %bb.421:                              ;   in Loop: Header=BB104_3 Depth=1
	s_or_b32 exec_lo, exec_lo, s43
	s_wait_dscnt 0x0
	s_barrier_signal -1
	s_barrier_wait -1
	s_and_saveexec_b32 s43, s90
	s_cbranch_execz .LBB104_423
; %bb.422:                              ;   in Loop: Header=BB104_3 Depth=1
	ds_load_b32 v30, v7 offset:6764
	ds_load_b32 v31, v37
	s_wait_dscnt 0x0
	v_fmac_f32_e32 v24, v30, v31
.LBB104_423:                            ;   in Loop: Header=BB104_3 Depth=1
	s_or_b32 exec_lo, exec_lo, s43
	s_barrier_signal -1
	s_barrier_wait -1
	s_and_saveexec_b32 s43, s90
; %bb.424:                              ;   in Loop: Header=BB104_3 Depth=1
	ds_store_b32 v37, v24
; %bb.425:                              ;   in Loop: Header=BB104_3 Depth=1
	s_or_b32 exec_lo, exec_lo, s43
	s_wait_dscnt 0x0
	s_barrier_signal -1
	s_barrier_wait -1
	s_barrier_signal -1
	s_barrier_wait -1
	s_and_saveexec_b32 s43, s2
; %bb.426:                              ;   in Loop: Header=BB104_3 Depth=1
	v_xor_b32_e32 v24, 0x80000000, v24
	ds_store_b32 v39, v24 offset:6248
; %bb.427:                              ;   in Loop: Header=BB104_3 Depth=1
	s_or_b32 exec_lo, exec_lo, s43
	s_wait_dscnt 0x0
	s_barrier_signal -1
	s_barrier_wait -1
	s_barrier_signal -1
	s_barrier_wait -1
	s_and_saveexec_b32 s43, s91
	s_cbranch_execz .LBB104_429
; %bb.428:                              ;   in Loop: Header=BB104_3 Depth=1
	ds_load_b32 v24, v50 offset:6248
	s_wait_dscnt 0x0
	ds_store_b32 v46, v24 offset:6752
	ds_load_b32 v24, v50 offset:6252
	s_wait_dscnt 0x0
	ds_store_b32 v46, v24 offset:7008
.LBB104_429:                            ;   in Loop: Header=BB104_3 Depth=1
	s_or_b32 exec_lo, exec_lo, s43
	s_wait_dscnt 0x0
	s_barrier_signal -1
	s_barrier_wait -1
	s_and_saveexec_b32 s43, s11
	s_cbranch_execz .LBB104_431
; %bb.430:                              ;   in Loop: Header=BB104_3 Depth=1
	ds_load_b32 v24, v7 offset:6764
	ds_store_b32 v7, v25 offset:6760
	s_wait_dscnt 0x1
	ds_store_b64 v7, v[24:25] offset:7016
.LBB104_431:                            ;   in Loop: Header=BB104_3 Depth=1
	s_or_b32 exec_lo, exec_lo, s43
	v_mov_b32_e32 v24, 0
	s_wait_dscnt 0x0
	s_barrier_signal -1
	s_barrier_wait -1
	s_and_saveexec_b32 s43, s4
	s_cbranch_execz .LBB104_437
; %bb.432:                              ;   in Loop: Header=BB104_3 Depth=1
	ds_load_b32 v24, v48 offset:6256
	ds_load_b32 v30, v41 offset:6240
	s_wait_dscnt 0x0
	v_fma_f32 v24, v24, v30, 0
	s_and_saveexec_b32 s44, s13
	s_cbranch_execnz .LBB104_1197
; %bb.433:                              ;   in Loop: Header=BB104_3 Depth=1
	s_or_b32 exec_lo, exec_lo, s44
	s_and_saveexec_b32 s44, s14
	s_cbranch_execnz .LBB104_1198
.LBB104_434:                            ;   in Loop: Header=BB104_3 Depth=1
	s_or_b32 exec_lo, exec_lo, s44
	s_and_saveexec_b32 s44, s2
	s_cbranch_execz .LBB104_436
.LBB104_435:                            ;   in Loop: Header=BB104_3 Depth=1
	ds_load_b32 v30, v53 offset:7024
	ds_load_b32 v31, v7 offset:6252
	s_wait_dscnt 0x0
	v_fmac_f32_e32 v24, v30, v31
.LBB104_436:                            ;   in Loop: Header=BB104_3 Depth=1
	s_or_b32 exec_lo, exec_lo, s44
	s_delay_alu instid0(VALU_DEP_1)
	v_xor_b32_e32 v24, 0x80000000, v24
.LBB104_437:                            ;   in Loop: Header=BB104_3 Depth=1
	s_or_b32 exec_lo, exec_lo, s43
	s_and_saveexec_b32 s43, s92
; %bb.438:                              ;   in Loop: Header=BB104_3 Depth=1
	ds_store_b32 v47, v24
; %bb.439:                              ;   in Loop: Header=BB104_3 Depth=1
	s_or_b32 exec_lo, exec_lo, s43
	s_wait_dscnt 0x0
	s_barrier_signal -1
	s_barrier_wait -1
	s_and_saveexec_b32 s43, s93
	s_cbranch_execz .LBB104_441
; %bb.440:                              ;   in Loop: Header=BB104_3 Depth=1
	ds_load_b32 v30, v45 offset:7280
	ds_load_b32 v31, v47
	s_wait_dscnt 0x0
	v_fmac_f32_e32 v24, v30, v31
.LBB104_441:                            ;   in Loop: Header=BB104_3 Depth=1
	s_or_b32 exec_lo, exec_lo, s43
	s_barrier_signal -1
	s_barrier_wait -1
	s_and_saveexec_b32 s43, s94
; %bb.442:                              ;   in Loop: Header=BB104_3 Depth=1
	ds_store_b32 v47, v24
; %bb.443:                              ;   in Loop: Header=BB104_3 Depth=1
	s_or_b32 exec_lo, exec_lo, s43
	s_wait_dscnt 0x0
	s_barrier_signal -1
	s_barrier_wait -1
	s_and_saveexec_b32 s43, s95
	s_cbranch_execz .LBB104_445
; %bb.444:                              ;   in Loop: Header=BB104_3 Depth=1
	ds_load_b32 v30, v45 offset:7536
	ds_load_b32 v31, v47
	s_wait_dscnt 0x0
	v_fmac_f32_e32 v24, v30, v31
.LBB104_445:                            ;   in Loop: Header=BB104_3 Depth=1
	s_or_b32 exec_lo, exec_lo, s43
	s_barrier_signal -1
	s_barrier_wait -1
	;; [unrolled: 19-line block ×3, first 2 shown]
	s_and_saveexec_b32 s43, s97
; %bb.450:                              ;   in Loop: Header=BB104_3 Depth=1
	ds_store_b32 v47, v24
; %bb.451:                              ;   in Loop: Header=BB104_3 Depth=1
	s_or_b32 exec_lo, exec_lo, s43
	s_wait_dscnt 0x0
	s_barrier_signal -1
	s_barrier_wait -1
	s_barrier_signal -1
	s_barrier_wait -1
	s_and_saveexec_b32 s43, s4
; %bb.452:                              ;   in Loop: Header=BB104_3 Depth=1
	v_xor_b32_e32 v24, 0x80000000, v24
	ds_store_b32 v48, v24 offset:6256
; %bb.453:                              ;   in Loop: Header=BB104_3 Depth=1
	s_or_b32 exec_lo, exec_lo, s43
	s_wait_dscnt 0x0
	s_barrier_signal -1
	s_barrier_wait -1
	s_barrier_signal -1
	s_barrier_wait -1
	s_and_saveexec_b32 s43, s98
	s_cbranch_execz .LBB104_455
; %bb.454:                              ;   in Loop: Header=BB104_3 Depth=1
	ds_load_b32 v24, v56 offset:6256
	s_wait_dscnt 0x0
	ds_store_b32 v59, v24 offset:7264
	ds_load_b32 v24, v56 offset:6260
	s_wait_dscnt 0x0
	ds_store_b32 v59, v24 offset:7520
	;; [unrolled: 3-line block ×4, first 2 shown]
.LBB104_455:                            ;   in Loop: Header=BB104_3 Depth=1
	s_or_b32 exec_lo, exec_lo, s43
	s_wait_dscnt 0x0
	s_barrier_signal -1
	s_barrier_wait -1
	s_and_saveexec_b32 s43, s11
	s_cbranch_execz .LBB104_457
; %bb.456:                              ;   in Loop: Header=BB104_3 Depth=1
	ds_load_b32 v24, v7 offset:7284
	ds_store_b32 v7, v25 offset:7280
	s_wait_dscnt 0x1
	ds_store_b64 v7, v[24:25] offset:7536
.LBB104_457:                            ;   in Loop: Header=BB104_3 Depth=1
	s_or_b32 exec_lo, exec_lo, s43
	v_mov_b32_e32 v24, 0
	s_wait_dscnt 0x0
	s_barrier_signal -1
	s_barrier_wait -1
	s_and_saveexec_b32 s43, s2
	s_cbranch_execz .LBB104_461
; %bb.458:                              ;   in Loop: Header=BB104_3 Depth=1
	ds_load_b32 v24, v39 offset:7288
	ds_load_b32 v30, v40 offset:7280
	s_wait_dscnt 0x0
	v_fma_f32 v24, v24, v30, 0
	s_and_saveexec_b32 s44, s12
	s_cbranch_execz .LBB104_460
; %bb.459:                              ;   in Loop: Header=BB104_3 Depth=1
	ds_load_b32 v30, v59 offset:7544
	ds_load_b32 v31, v7 offset:7284
	s_wait_dscnt 0x0
	v_fmac_f32_e32 v24, v30, v31
.LBB104_460:                            ;   in Loop: Header=BB104_3 Depth=1
	s_or_b32 exec_lo, exec_lo, s44
	s_delay_alu instid0(VALU_DEP_1)
	v_xor_b32_e32 v24, 0x80000000, v24
.LBB104_461:                            ;   in Loop: Header=BB104_3 Depth=1
	s_or_b32 exec_lo, exec_lo, s43
	s_and_saveexec_b32 s43, s89
; %bb.462:                              ;   in Loop: Header=BB104_3 Depth=1
	ds_store_b32 v37, v24
; %bb.463:                              ;   in Loop: Header=BB104_3 Depth=1
	s_or_b32 exec_lo, exec_lo, s43
	s_wait_dscnt 0x0
	s_barrier_signal -1
	s_barrier_wait -1
	s_and_saveexec_b32 s43, s90
	s_cbranch_execz .LBB104_465
; %bb.464:                              ;   in Loop: Header=BB104_3 Depth=1
	ds_load_b32 v30, v7 offset:7804
	ds_load_b32 v31, v37
	s_wait_dscnt 0x0
	v_fmac_f32_e32 v24, v30, v31
.LBB104_465:                            ;   in Loop: Header=BB104_3 Depth=1
	s_or_b32 exec_lo, exec_lo, s43
	s_barrier_signal -1
	s_barrier_wait -1
	s_and_saveexec_b32 s43, s90
; %bb.466:                              ;   in Loop: Header=BB104_3 Depth=1
	ds_store_b32 v37, v24
; %bb.467:                              ;   in Loop: Header=BB104_3 Depth=1
	s_or_b32 exec_lo, exec_lo, s43
	s_wait_dscnt 0x0
	s_barrier_signal -1
	s_barrier_wait -1
	s_barrier_signal -1
	s_barrier_wait -1
	s_and_saveexec_b32 s43, s2
; %bb.468:                              ;   in Loop: Header=BB104_3 Depth=1
	v_xor_b32_e32 v24, 0x80000000, v24
	ds_store_b32 v39, v24 offset:7288
; %bb.469:                              ;   in Loop: Header=BB104_3 Depth=1
	s_or_b32 exec_lo, exec_lo, s43
	s_wait_dscnt 0x0
	s_barrier_signal -1
	s_barrier_wait -1
	s_barrier_signal -1
	s_barrier_wait -1
	s_and_saveexec_b32 s43, s91
	s_cbranch_execz .LBB104_471
; %bb.470:                              ;   in Loop: Header=BB104_3 Depth=1
	v_add_nc_u32_e32 v24, v59, v44
	ds_load_b32 v30, v24 offset:7288
	s_wait_dscnt 0x0
	ds_store_b32 v59, v30 offset:7792
	ds_load_b32 v24, v24 offset:7292
	s_wait_dscnt 0x0
	ds_store_b32 v59, v24 offset:8048
.LBB104_471:                            ;   in Loop: Header=BB104_3 Depth=1
	s_or_b32 exec_lo, exec_lo, s43
	s_wait_dscnt 0x0
	s_barrier_signal -1
	s_barrier_wait -1
	s_and_saveexec_b32 s43, s11
	s_cbranch_execz .LBB104_473
; %bb.472:                              ;   in Loop: Header=BB104_3 Depth=1
	ds_load_b32 v24, v7 offset:7804
	ds_store_b32 v7, v25 offset:7800
	s_wait_dscnt 0x1
	ds_store_b64 v7, v[24:25] offset:8056
.LBB104_473:                            ;   in Loop: Header=BB104_3 Depth=1
	s_or_b32 exec_lo, exec_lo, s43
	v_mov_b32_e32 v24, 0
	s_wait_dscnt 0x0
	s_barrier_signal -1
	s_barrier_wait -1
	s_and_saveexec_b32 s82, s7
	s_cbranch_execz .LBB104_535
; %bb.474:                              ;   in Loop: Header=BB104_3 Depth=1
	v_add_nc_u32_e32 v30, v62, v61
	ds_load_b32 v24, v68 offset:128
	ds_load_b32 v31, v30
	s_wait_dscnt 0x0
	v_fma_f32 v24, v24, v31, 0
	s_mov_b32 s43, exec_lo
	v_readlane_b32 s44, v93, 29
	s_and_b32 s44, s43, s44
	s_delay_alu instid0(SALU_CYCLE_1)
	s_mov_b32 exec_lo, s44
	s_cbranch_execz .LBB104_476
; %bb.475:                              ;   in Loop: Header=BB104_3 Depth=1
	ds_load_b32 v31, v68 offset:384
	ds_load_b32 v32, v30 offset:4
	s_wait_dscnt 0x0
	v_fmac_f32_e32 v24, v31, v32
.LBB104_476:                            ;   in Loop: Header=BB104_3 Depth=1
	s_or_b32 exec_lo, exec_lo, s43
	s_delay_alu instid0(SALU_CYCLE_1) | instskip(SKIP_2) | instid1(SALU_CYCLE_1)
	s_mov_b32 s43, exec_lo
	v_readlane_b32 s44, v93, 30
	s_and_b32 s44, s43, s44
	s_mov_b32 exec_lo, s44
	s_cbranch_execz .LBB104_478
; %bb.477:                              ;   in Loop: Header=BB104_3 Depth=1
	ds_load_b32 v31, v68 offset:640
	ds_load_b32 v32, v30 offset:8
	s_wait_dscnt 0x0
	v_fmac_f32_e32 v24, v31, v32
.LBB104_478:                            ;   in Loop: Header=BB104_3 Depth=1
	s_or_b32 exec_lo, exec_lo, s43
	s_delay_alu instid0(SALU_CYCLE_1) | instskip(SKIP_2) | instid1(SALU_CYCLE_1)
	s_mov_b32 s43, exec_lo
	v_readlane_b32 s44, v93, 31
	s_and_b32 s44, s43, s44
	;; [unrolled: 13-line block ×22, first 2 shown]
	s_mov_b32 exec_lo, s44
	s_cbranch_execz .LBB104_520
; %bb.519:                              ;   in Loop: Header=BB104_3 Depth=1
	ds_load_b32 v31, v68 offset:6016
	ds_load_b32 v32, v30 offset:92
	s_wait_dscnt 0x0
	v_fmac_f32_e32 v24, v31, v32
.LBB104_520:                            ;   in Loop: Header=BB104_3 Depth=1
	s_or_b32 exec_lo, exec_lo, s43
	s_and_saveexec_b32 s43, s6
	s_cbranch_execz .LBB104_522
; %bb.521:                              ;   in Loop: Header=BB104_3 Depth=1
	ds_load_b32 v31, v68 offset:6272
	ds_load_b32 v32, v30 offset:96
	s_wait_dscnt 0x0
	v_fmac_f32_e32 v24, v31, v32
.LBB104_522:                            ;   in Loop: Header=BB104_3 Depth=1
	s_or_b32 exec_lo, exec_lo, s43
	s_delay_alu instid0(SALU_CYCLE_1) | instskip(SKIP_2) | instid1(SALU_CYCLE_1)
	s_mov_b32 s43, exec_lo
	v_readlane_b32 s44, v93, 19
	s_and_b32 s44, s43, s44
	s_mov_b32 exec_lo, s44
	s_cbranch_execz .LBB104_524
; %bb.523:                              ;   in Loop: Header=BB104_3 Depth=1
	ds_load_b32 v31, v68 offset:6528
	ds_load_b32 v32, v30 offset:100
	s_wait_dscnt 0x0
	v_fmac_f32_e32 v24, v31, v32
.LBB104_524:                            ;   in Loop: Header=BB104_3 Depth=1
	s_or_b32 exec_lo, exec_lo, s43
	s_delay_alu instid0(SALU_CYCLE_1) | instskip(SKIP_2) | instid1(SALU_CYCLE_1)
	s_mov_b32 s43, exec_lo
	v_readlane_b32 s44, v93, 21
	s_and_b32 s44, s43, s44
	s_mov_b32 exec_lo, s44
	;; [unrolled: 13-line block ×5, first 2 shown]
	s_cbranch_execnz .LBB104_1199
; %bb.531:                              ;   in Loop: Header=BB104_3 Depth=1
	s_or_b32 exec_lo, exec_lo, s43
	s_and_saveexec_b32 s43, s5
	s_cbranch_execnz .LBB104_1200
.LBB104_532:                            ;   in Loop: Header=BB104_3 Depth=1
	s_or_b32 exec_lo, exec_lo, s43
	s_and_saveexec_b32 s43, s18
	s_cbranch_execz .LBB104_534
.LBB104_533:                            ;   in Loop: Header=BB104_3 Depth=1
	ds_load_b32 v30, v3 offset:8064
	ds_load_b32 v31, v7 offset:124
	s_wait_dscnt 0x0
	v_fmac_f32_e32 v24, v30, v31
.LBB104_534:                            ;   in Loop: Header=BB104_3 Depth=1
	s_or_b32 exec_lo, exec_lo, s43
	s_delay_alu instid0(VALU_DEP_1)
	v_xor_b32_e32 v24, 0x80000000, v24
.LBB104_535:                            ;   in Loop: Header=BB104_3 Depth=1
	s_or_b32 exec_lo, exec_lo, s82
	s_delay_alu instid0(SALU_CYCLE_1) | instskip(SKIP_2) | instid1(SALU_CYCLE_1)
	s_mov_b32 s43, exec_lo
	v_readlane_b32 s44, v95, 10
	s_and_b32 s44, s43, s44
	s_mov_b32 exec_lo, s44
; %bb.536:                              ;   in Loop: Header=BB104_3 Depth=1
	ds_store_b32 v67, v24
; %bb.537:                              ;   in Loop: Header=BB104_3 Depth=1
	s_or_b32 exec_lo, exec_lo, s43
	s_wait_dscnt 0x0
	s_barrier_signal -1
	s_barrier_wait -1
	s_mov_b32 s43, exec_lo
	v_readlane_b32 s44, v95, 11
	s_and_b32 s44, s43, s44
	s_delay_alu instid0(SALU_CYCLE_1)
	s_mov_b32 exec_lo, s44
	s_cbranch_execz .LBB104_539
; %bb.538:                              ;   in Loop: Header=BB104_3 Depth=1
	ds_load_b32 v30, v63 offset:8320
	ds_load_b32 v31, v67
	s_wait_dscnt 0x0
	v_fmac_f32_e32 v24, v30, v31
.LBB104_539:                            ;   in Loop: Header=BB104_3 Depth=1
	s_or_b32 exec_lo, exec_lo, s43
	s_barrier_signal -1
	s_barrier_wait -1
	s_mov_b32 s43, exec_lo
	v_readlane_b32 s44, v95, 12
	s_and_b32 s44, s43, s44
	s_delay_alu instid0(SALU_CYCLE_1)
	s_mov_b32 exec_lo, s44
; %bb.540:                              ;   in Loop: Header=BB104_3 Depth=1
	ds_store_b32 v67, v24
; %bb.541:                              ;   in Loop: Header=BB104_3 Depth=1
	s_or_b32 exec_lo, exec_lo, s43
	s_wait_dscnt 0x0
	s_barrier_signal -1
	s_barrier_wait -1
	s_mov_b32 s43, exec_lo
	v_readlane_b32 s44, v95, 13
	s_and_b32 s44, s43, s44
	s_delay_alu instid0(SALU_CYCLE_1)
	s_mov_b32 exec_lo, s44
	s_cbranch_execz .LBB104_543
; %bb.542:                              ;   in Loop: Header=BB104_3 Depth=1
	ds_load_b32 v30, v63 offset:8576
	ds_load_b32 v31, v67
	s_wait_dscnt 0x0
	v_fmac_f32_e32 v24, v30, v31
.LBB104_543:                            ;   in Loop: Header=BB104_3 Depth=1
	s_or_b32 exec_lo, exec_lo, s43
	s_barrier_signal -1
	s_barrier_wait -1
	s_mov_b32 s43, exec_lo
	v_readlane_b32 s44, v95, 14
	s_and_b32 s44, s43, s44
	s_delay_alu instid0(SALU_CYCLE_1)
	;; [unrolled: 27-line block ×30, first 2 shown]
	s_mov_b32 exec_lo, s44
; %bb.656:                              ;   in Loop: Header=BB104_3 Depth=1
	ds_store_b32 v67, v24
; %bb.657:                              ;   in Loop: Header=BB104_3 Depth=1
	s_or_b32 exec_lo, exec_lo, s43
	s_wait_dscnt 0x0
	s_barrier_signal -1
	s_barrier_wait -1
	s_and_saveexec_b32 s43, s87
	s_cbranch_execz .LBB104_659
; %bb.658:                              ;   in Loop: Header=BB104_3 Depth=1
	ds_load_b32 v30, v7 offset:16124
	ds_load_b32 v31, v67
	s_wait_dscnt 0x0
	v_fmac_f32_e32 v24, v30, v31
.LBB104_659:                            ;   in Loop: Header=BB104_3 Depth=1
	s_or_b32 exec_lo, exec_lo, s43
	s_barrier_signal -1
	s_barrier_wait -1
	s_and_saveexec_b32 s43, s87
; %bb.660:                              ;   in Loop: Header=BB104_3 Depth=1
	ds_store_b32 v67, v24
; %bb.661:                              ;   in Loop: Header=BB104_3 Depth=1
	s_or_b32 exec_lo, exec_lo, s43
	s_wait_dscnt 0x0
	s_barrier_signal -1
	s_barrier_wait -1
	s_barrier_signal -1
	s_barrier_wait -1
	s_and_saveexec_b32 s43, s7
; %bb.662:                              ;   in Loop: Header=BB104_3 Depth=1
	v_xor_b32_e32 v24, 0x80000000, v24
	ds_store_b32 v68, v24 offset:128
; %bb.663:                              ;   in Loop: Header=BB104_3 Depth=1
	s_or_b32 exec_lo, exec_lo, s43
	s_wait_dscnt 0x0
	s_barrier_signal -1
	s_barrier_wait -1
	s_barrier_signal -1
	s_barrier_wait -1
	s_mov_b32 s43, exec_lo
	v_readlane_b32 s44, v93, 7
	s_and_b32 s44, s43, s44
	s_delay_alu instid0(SALU_CYCLE_1)
	s_mov_b32 exec_lo, s44
	s_cbranch_execz .LBB104_665
; %bb.664:                              ;   in Loop: Header=BB104_3 Depth=1
	ds_load_b32 v24, v43 offset:128
	s_wait_dscnt 0x0
	ds_store_b32 v69, v24 offset:8192
	ds_load_b32 v24, v43 offset:132
	s_wait_dscnt 0x0
	ds_store_b32 v69, v24 offset:8448
	;; [unrolled: 3-line block ×32, first 2 shown]
.LBB104_665:                            ;   in Loop: Header=BB104_3 Depth=1
	s_or_b32 exec_lo, exec_lo, s43
	s_wait_dscnt 0x0
	s_barrier_signal -1
	s_barrier_wait -1
	s_and_saveexec_b32 s43, s11
	s_cbranch_execz .LBB104_667
; %bb.666:                              ;   in Loop: Header=BB104_3 Depth=1
	ds_load_b32 v24, v7 offset:8324
	ds_store_b32 v7, v25 offset:8320
	s_wait_dscnt 0x1
	ds_store_b64 v7, v[24:25] offset:8576
.LBB104_667:                            ;   in Loop: Header=BB104_3 Depth=1
	s_or_b32 exec_lo, exec_lo, s43
	v_mov_b32_e32 v24, 0
	s_wait_dscnt 0x0
	s_barrier_signal -1
	s_barrier_wait -1
	s_and_saveexec_b32 s43, s2
	s_cbranch_execz .LBB104_671
; %bb.668:                              ;   in Loop: Header=BB104_3 Depth=1
	ds_load_b32 v24, v39 offset:8328
	ds_load_b32 v30, v40 offset:8320
	s_wait_dscnt 0x0
	v_fma_f32 v24, v24, v30, 0
	s_and_saveexec_b32 s44, s12
	s_cbranch_execz .LBB104_670
; %bb.669:                              ;   in Loop: Header=BB104_3 Depth=1
	ds_load_b32 v30, v3 offset:8584
	ds_load_b32 v31, v7 offset:8324
	s_wait_dscnt 0x0
	v_fmac_f32_e32 v24, v30, v31
.LBB104_670:                            ;   in Loop: Header=BB104_3 Depth=1
	s_or_b32 exec_lo, exec_lo, s44
	s_delay_alu instid0(VALU_DEP_1)
	v_xor_b32_e32 v24, 0x80000000, v24
.LBB104_671:                            ;   in Loop: Header=BB104_3 Depth=1
	s_or_b32 exec_lo, exec_lo, s43
	s_and_saveexec_b32 s43, s89
; %bb.672:                              ;   in Loop: Header=BB104_3 Depth=1
	ds_store_b32 v37, v24
; %bb.673:                              ;   in Loop: Header=BB104_3 Depth=1
	s_or_b32 exec_lo, exec_lo, s43
	s_wait_dscnt 0x0
	s_barrier_signal -1
	s_barrier_wait -1
	s_and_saveexec_b32 s43, s90
	s_cbranch_execz .LBB104_675
; %bb.674:                              ;   in Loop: Header=BB104_3 Depth=1
	ds_load_b32 v30, v7 offset:8844
	ds_load_b32 v31, v37
	s_wait_dscnt 0x0
	v_fmac_f32_e32 v24, v30, v31
.LBB104_675:                            ;   in Loop: Header=BB104_3 Depth=1
	s_or_b32 exec_lo, exec_lo, s43
	s_barrier_signal -1
	s_barrier_wait -1
	s_and_saveexec_b32 s43, s90
; %bb.676:                              ;   in Loop: Header=BB104_3 Depth=1
	ds_store_b32 v37, v24
; %bb.677:                              ;   in Loop: Header=BB104_3 Depth=1
	s_or_b32 exec_lo, exec_lo, s43
	s_wait_dscnt 0x0
	s_barrier_signal -1
	s_barrier_wait -1
	s_barrier_signal -1
	s_barrier_wait -1
	s_and_saveexec_b32 s43, s2
; %bb.678:                              ;   in Loop: Header=BB104_3 Depth=1
	v_xor_b32_e32 v24, 0x80000000, v24
	ds_store_b32 v39, v24 offset:8328
; %bb.679:                              ;   in Loop: Header=BB104_3 Depth=1
	s_or_b32 exec_lo, exec_lo, s43
	s_wait_dscnt 0x0
	s_barrier_signal -1
	s_barrier_wait -1
	s_barrier_signal -1
	s_barrier_wait -1
	s_and_saveexec_b32 s43, s91
	s_cbranch_execz .LBB104_681
; %bb.680:                              ;   in Loop: Header=BB104_3 Depth=1
	ds_load_b32 v24, v5 offset:8328
	s_wait_dscnt 0x0
	ds_store_b32 v3, v24 offset:8832
	ds_load_b32 v24, v5 offset:8332
	s_wait_dscnt 0x0
	ds_store_b32 v3, v24 offset:9088
.LBB104_681:                            ;   in Loop: Header=BB104_3 Depth=1
	s_or_b32 exec_lo, exec_lo, s43
	s_wait_dscnt 0x0
	s_barrier_signal -1
	s_barrier_wait -1
	s_and_saveexec_b32 s43, s11
	s_cbranch_execz .LBB104_683
; %bb.682:                              ;   in Loop: Header=BB104_3 Depth=1
	ds_load_b32 v24, v7 offset:8844
	ds_store_b32 v7, v25 offset:8840
	s_wait_dscnt 0x1
	ds_store_b64 v7, v[24:25] offset:9096
.LBB104_683:                            ;   in Loop: Header=BB104_3 Depth=1
	s_or_b32 exec_lo, exec_lo, s43
	v_mov_b32_e32 v24, 0
	s_wait_dscnt 0x0
	s_barrier_signal -1
	s_barrier_wait -1
	s_and_saveexec_b32 s43, s4
	s_cbranch_execz .LBB104_689
; %bb.684:                              ;   in Loop: Header=BB104_3 Depth=1
	ds_load_b32 v24, v48 offset:8336
	ds_load_b32 v30, v41 offset:8320
	s_wait_dscnt 0x0
	v_fma_f32 v24, v24, v30, 0
	s_and_saveexec_b32 s44, s13
	s_cbranch_execnz .LBB104_1201
; %bb.685:                              ;   in Loop: Header=BB104_3 Depth=1
	s_or_b32 exec_lo, exec_lo, s44
	s_and_saveexec_b32 s44, s14
	s_cbranch_execnz .LBB104_1202
.LBB104_686:                            ;   in Loop: Header=BB104_3 Depth=1
	s_or_b32 exec_lo, exec_lo, s44
	s_and_saveexec_b32 s44, s2
	s_cbranch_execz .LBB104_688
.LBB104_687:                            ;   in Loop: Header=BB104_3 Depth=1
	ds_load_b32 v30, v9 offset:9104
	ds_load_b32 v31, v7 offset:8332
	s_wait_dscnt 0x0
	v_fmac_f32_e32 v24, v30, v31
.LBB104_688:                            ;   in Loop: Header=BB104_3 Depth=1
	s_or_b32 exec_lo, exec_lo, s44
	s_delay_alu instid0(VALU_DEP_1)
	v_xor_b32_e32 v24, 0x80000000, v24
.LBB104_689:                            ;   in Loop: Header=BB104_3 Depth=1
	s_or_b32 exec_lo, exec_lo, s43
	s_and_saveexec_b32 s43, s92
; %bb.690:                              ;   in Loop: Header=BB104_3 Depth=1
	ds_store_b32 v47, v24
; %bb.691:                              ;   in Loop: Header=BB104_3 Depth=1
	s_or_b32 exec_lo, exec_lo, s43
	s_wait_dscnt 0x0
	s_barrier_signal -1
	s_barrier_wait -1
	s_and_saveexec_b32 s43, s93
	s_cbranch_execz .LBB104_693
; %bb.692:                              ;   in Loop: Header=BB104_3 Depth=1
	ds_load_b32 v30, v45 offset:9360
	ds_load_b32 v31, v47
	s_wait_dscnt 0x0
	v_fmac_f32_e32 v24, v30, v31
.LBB104_693:                            ;   in Loop: Header=BB104_3 Depth=1
	s_or_b32 exec_lo, exec_lo, s43
	s_barrier_signal -1
	s_barrier_wait -1
	s_and_saveexec_b32 s43, s94
; %bb.694:                              ;   in Loop: Header=BB104_3 Depth=1
	ds_store_b32 v47, v24
; %bb.695:                              ;   in Loop: Header=BB104_3 Depth=1
	s_or_b32 exec_lo, exec_lo, s43
	s_wait_dscnt 0x0
	s_barrier_signal -1
	s_barrier_wait -1
	s_and_saveexec_b32 s43, s95
	s_cbranch_execz .LBB104_697
; %bb.696:                              ;   in Loop: Header=BB104_3 Depth=1
	ds_load_b32 v30, v45 offset:9616
	ds_load_b32 v31, v47
	s_wait_dscnt 0x0
	v_fmac_f32_e32 v24, v30, v31
.LBB104_697:                            ;   in Loop: Header=BB104_3 Depth=1
	s_or_b32 exec_lo, exec_lo, s43
	s_barrier_signal -1
	s_barrier_wait -1
	s_and_saveexec_b32 s43, s96
; %bb.698:                              ;   in Loop: Header=BB104_3 Depth=1
	ds_store_b32 v47, v24
; %bb.699:                              ;   in Loop: Header=BB104_3 Depth=1
	s_or_b32 exec_lo, exec_lo, s43
	s_wait_dscnt 0x0
	s_barrier_signal -1
	s_barrier_wait -1
	s_and_saveexec_b32 s43, s97
	s_cbranch_execz .LBB104_701
; %bb.700:                              ;   in Loop: Header=BB104_3 Depth=1
	ds_load_b32 v30, v7 offset:9884
	ds_load_b32 v31, v47
	s_wait_dscnt 0x0
	v_fmac_f32_e32 v24, v30, v31
.LBB104_701:                            ;   in Loop: Header=BB104_3 Depth=1
	s_or_b32 exec_lo, exec_lo, s43
	s_barrier_signal -1
	s_barrier_wait -1
	s_and_saveexec_b32 s43, s97
; %bb.702:                              ;   in Loop: Header=BB104_3 Depth=1
	ds_store_b32 v47, v24
; %bb.703:                              ;   in Loop: Header=BB104_3 Depth=1
	s_or_b32 exec_lo, exec_lo, s43
	s_wait_dscnt 0x0
	s_barrier_signal -1
	s_barrier_wait -1
	s_barrier_signal -1
	s_barrier_wait -1
	s_and_saveexec_b32 s43, s4
; %bb.704:                              ;   in Loop: Header=BB104_3 Depth=1
	v_xor_b32_e32 v24, 0x80000000, v24
	ds_store_b32 v48, v24 offset:8336
; %bb.705:                              ;   in Loop: Header=BB104_3 Depth=1
	s_or_b32 exec_lo, exec_lo, s43
	s_wait_dscnt 0x0
	s_barrier_signal -1
	s_barrier_wait -1
	s_barrier_signal -1
	s_barrier_wait -1
	s_and_saveexec_b32 s43, s98
	s_cbranch_execz .LBB104_707
; %bb.706:                              ;   in Loop: Header=BB104_3 Depth=1
	ds_load_b32 v24, v34 offset:8336
	s_wait_dscnt 0x0
	ds_store_b32 v35, v24 offset:9344
	ds_load_b32 v24, v34 offset:8340
	s_wait_dscnt 0x0
	ds_store_b32 v35, v24 offset:9600
	;; [unrolled: 3-line block ×4, first 2 shown]
.LBB104_707:                            ;   in Loop: Header=BB104_3 Depth=1
	s_or_b32 exec_lo, exec_lo, s43
	s_wait_dscnt 0x0
	s_barrier_signal -1
	s_barrier_wait -1
	s_and_saveexec_b32 s43, s11
	s_cbranch_execz .LBB104_709
; %bb.708:                              ;   in Loop: Header=BB104_3 Depth=1
	ds_load_b32 v24, v7 offset:9364
	ds_store_b32 v7, v25 offset:9360
	s_wait_dscnt 0x1
	ds_store_b64 v7, v[24:25] offset:9616
.LBB104_709:                            ;   in Loop: Header=BB104_3 Depth=1
	s_or_b32 exec_lo, exec_lo, s43
	v_mov_b32_e32 v24, 0
	s_wait_dscnt 0x0
	s_barrier_signal -1
	s_barrier_wait -1
	s_and_saveexec_b32 s43, s2
	s_cbranch_execz .LBB104_713
; %bb.710:                              ;   in Loop: Header=BB104_3 Depth=1
	ds_load_b32 v24, v39 offset:9368
	ds_load_b32 v30, v40 offset:9360
	s_wait_dscnt 0x0
	v_fma_f32 v24, v24, v30, 0
	s_and_saveexec_b32 s44, s12
	s_cbranch_execz .LBB104_712
; %bb.711:                              ;   in Loop: Header=BB104_3 Depth=1
	ds_load_b32 v30, v35 offset:9624
	ds_load_b32 v31, v7 offset:9364
	s_wait_dscnt 0x0
	v_fmac_f32_e32 v24, v30, v31
.LBB104_712:                            ;   in Loop: Header=BB104_3 Depth=1
	s_or_b32 exec_lo, exec_lo, s44
	s_delay_alu instid0(VALU_DEP_1)
	v_xor_b32_e32 v24, 0x80000000, v24
.LBB104_713:                            ;   in Loop: Header=BB104_3 Depth=1
	s_or_b32 exec_lo, exec_lo, s43
	s_and_saveexec_b32 s43, s89
; %bb.714:                              ;   in Loop: Header=BB104_3 Depth=1
	ds_store_b32 v37, v24
; %bb.715:                              ;   in Loop: Header=BB104_3 Depth=1
	s_or_b32 exec_lo, exec_lo, s43
	s_wait_dscnt 0x0
	s_barrier_signal -1
	s_barrier_wait -1
	s_and_saveexec_b32 s43, s90
	s_cbranch_execz .LBB104_717
; %bb.716:                              ;   in Loop: Header=BB104_3 Depth=1
	ds_load_b32 v30, v7 offset:9884
	ds_load_b32 v31, v37
	s_wait_dscnt 0x0
	v_fmac_f32_e32 v24, v30, v31
.LBB104_717:                            ;   in Loop: Header=BB104_3 Depth=1
	s_or_b32 exec_lo, exec_lo, s43
	s_barrier_signal -1
	s_barrier_wait -1
	s_and_saveexec_b32 s43, s90
; %bb.718:                              ;   in Loop: Header=BB104_3 Depth=1
	ds_store_b32 v37, v24
; %bb.719:                              ;   in Loop: Header=BB104_3 Depth=1
	s_or_b32 exec_lo, exec_lo, s43
	s_wait_dscnt 0x0
	s_barrier_signal -1
	s_barrier_wait -1
	s_barrier_signal -1
	s_barrier_wait -1
	s_and_saveexec_b32 s43, s2
; %bb.720:                              ;   in Loop: Header=BB104_3 Depth=1
	v_xor_b32_e32 v24, 0x80000000, v24
	ds_store_b32 v39, v24 offset:9368
; %bb.721:                              ;   in Loop: Header=BB104_3 Depth=1
	s_or_b32 exec_lo, exec_lo, s43
	s_wait_dscnt 0x0
	s_barrier_signal -1
	s_barrier_wait -1
	s_barrier_signal -1
	s_barrier_wait -1
	s_and_saveexec_b32 s43, s91
	s_cbranch_execz .LBB104_723
; %bb.722:                              ;   in Loop: Header=BB104_3 Depth=1
	ds_load_b32 v24, v36 offset:9368
	s_wait_dscnt 0x0
	ds_store_b32 v35, v24 offset:9872
	ds_load_b32 v24, v36 offset:9372
	s_wait_dscnt 0x0
	ds_store_b32 v35, v24 offset:10128
.LBB104_723:                            ;   in Loop: Header=BB104_3 Depth=1
	s_or_b32 exec_lo, exec_lo, s43
	s_wait_dscnt 0x0
	s_barrier_signal -1
	s_barrier_wait -1
	s_and_saveexec_b32 s43, s11
	s_cbranch_execz .LBB104_725
; %bb.724:                              ;   in Loop: Header=BB104_3 Depth=1
	ds_load_b32 v24, v7 offset:9884
	ds_store_b32 v7, v25 offset:9880
	s_wait_dscnt 0x1
	ds_store_b64 v7, v[24:25] offset:10136
.LBB104_725:                            ;   in Loop: Header=BB104_3 Depth=1
	s_or_b32 exec_lo, exec_lo, s43
	v_mov_b32_e32 v24, 0
	s_wait_dscnt 0x0
	s_barrier_signal -1
	s_barrier_wait -1
	s_and_saveexec_b32 s43, s5
	s_cbranch_execz .LBB104_735
; %bb.726:                              ;   in Loop: Header=BB104_3 Depth=1
	ds_load_b32 v24, v55 offset:8352
	ds_load_b32 v30, v52 offset:8320
	s_wait_dscnt 0x0
	v_fma_f32 v24, v24, v30, 0
	s_and_saveexec_b32 s44, s15
	s_cbranch_execnz .LBB104_1203
; %bb.727:                              ;   in Loop: Header=BB104_3 Depth=1
	s_or_b32 exec_lo, exec_lo, s44
	s_and_saveexec_b32 s44, s16
	s_cbranch_execnz .LBB104_1204
.LBB104_728:                            ;   in Loop: Header=BB104_3 Depth=1
	s_or_b32 exec_lo, exec_lo, s44
	s_and_saveexec_b32 s44, s17
	s_cbranch_execnz .LBB104_1205
.LBB104_729:                            ;   in Loop: Header=BB104_3 Depth=1
	s_or_b32 exec_lo, exec_lo, s44
	s_and_saveexec_b32 s44, s18
	s_cbranch_execnz .LBB104_1206
.LBB104_730:                            ;   in Loop: Header=BB104_3 Depth=1
	s_or_b32 exec_lo, exec_lo, s44
	s_and_saveexec_b32 s44, s19
	s_cbranch_execnz .LBB104_1207
.LBB104_731:                            ;   in Loop: Header=BB104_3 Depth=1
	s_or_b32 exec_lo, exec_lo, s44
	s_and_saveexec_b32 s44, s4
	s_cbranch_execnz .LBB104_1208
.LBB104_732:                            ;   in Loop: Header=BB104_3 Depth=1
	s_or_b32 exec_lo, exec_lo, s44
	s_and_saveexec_b32 s44, s14
	s_cbranch_execz .LBB104_734
.LBB104_733:                            ;   in Loop: Header=BB104_3 Depth=1
	ds_load_b32 v30, v38 offset:10144
	ds_load_b32 v31, v7 offset:8348
	s_wait_dscnt 0x0
	v_fmac_f32_e32 v24, v30, v31
.LBB104_734:                            ;   in Loop: Header=BB104_3 Depth=1
	s_or_b32 exec_lo, exec_lo, s44
	s_delay_alu instid0(VALU_DEP_1)
	v_xor_b32_e32 v24, 0x80000000, v24
.LBB104_735:                            ;   in Loop: Header=BB104_3 Depth=1
	s_or_b32 exec_lo, exec_lo, s43
	s_and_saveexec_b32 s43, s99
; %bb.736:                              ;   in Loop: Header=BB104_3 Depth=1
	ds_store_b32 v54, v24
; %bb.737:                              ;   in Loop: Header=BB104_3 Depth=1
	s_or_b32 exec_lo, exec_lo, s43
	s_wait_dscnt 0x0
	s_barrier_signal -1
	s_barrier_wait -1
	s_and_saveexec_b32 s43, s100
	s_cbranch_execz .LBB104_739
; %bb.738:                              ;   in Loop: Header=BB104_3 Depth=1
	ds_load_b32 v30, v51 offset:10400
	ds_load_b32 v31, v54
	s_wait_dscnt 0x0
	v_fmac_f32_e32 v24, v30, v31
.LBB104_739:                            ;   in Loop: Header=BB104_3 Depth=1
	s_or_b32 exec_lo, exec_lo, s43
	s_barrier_signal -1
	s_barrier_wait -1
	s_and_saveexec_b32 s43, s101
; %bb.740:                              ;   in Loop: Header=BB104_3 Depth=1
	ds_store_b32 v54, v24
; %bb.741:                              ;   in Loop: Header=BB104_3 Depth=1
	s_or_b32 exec_lo, exec_lo, s43
	s_wait_dscnt 0x0
	s_barrier_signal -1
	s_barrier_wait -1
	s_and_saveexec_b32 s43, s102
	s_cbranch_execz .LBB104_743
; %bb.742:                              ;   in Loop: Header=BB104_3 Depth=1
	ds_load_b32 v30, v51 offset:10656
	ds_load_b32 v31, v54
	s_wait_dscnt 0x0
	v_fmac_f32_e32 v24, v30, v31
.LBB104_743:                            ;   in Loop: Header=BB104_3 Depth=1
	s_or_b32 exec_lo, exec_lo, s43
	s_barrier_signal -1
	s_barrier_wait -1
	;; [unrolled: 19-line block ×3, first 2 shown]
	s_and_saveexec_b32 s43, vcc_hi
; %bb.748:                              ;   in Loop: Header=BB104_3 Depth=1
	ds_store_b32 v54, v24
; %bb.749:                              ;   in Loop: Header=BB104_3 Depth=1
	s_or_b32 exec_lo, exec_lo, s43
	s_wait_dscnt 0x0
	s_barrier_signal -1
	s_barrier_wait -1
	s_and_saveexec_b32 s43, s31
	s_cbranch_execz .LBB104_751
; %bb.750:                              ;   in Loop: Header=BB104_3 Depth=1
	ds_load_b32 v30, v51 offset:11168
	ds_load_b32 v31, v54
	s_wait_dscnt 0x0
	v_fmac_f32_e32 v24, v30, v31
.LBB104_751:                            ;   in Loop: Header=BB104_3 Depth=1
	s_or_b32 exec_lo, exec_lo, s43
	s_barrier_signal -1
	s_barrier_wait -1
	s_and_saveexec_b32 s43, s33
; %bb.752:                              ;   in Loop: Header=BB104_3 Depth=1
	ds_store_b32 v54, v24
; %bb.753:                              ;   in Loop: Header=BB104_3 Depth=1
	s_or_b32 exec_lo, exec_lo, s43
	s_wait_dscnt 0x0
	s_barrier_signal -1
	s_barrier_wait -1
	s_and_saveexec_b32 s43, s34
	s_cbranch_execz .LBB104_755
; %bb.754:                              ;   in Loop: Header=BB104_3 Depth=1
	ds_load_b32 v30, v51 offset:11424
	ds_load_b32 v31, v54
	s_wait_dscnt 0x0
	v_fmac_f32_e32 v24, v30, v31
.LBB104_755:                            ;   in Loop: Header=BB104_3 Depth=1
	s_or_b32 exec_lo, exec_lo, s43
	s_barrier_signal -1
	s_barrier_wait -1
	s_and_saveexec_b32 s43, s35
	;; [unrolled: 19-line block ×4, first 2 shown]
; %bb.764:                              ;   in Loop: Header=BB104_3 Depth=1
	ds_store_b32 v54, v24
; %bb.765:                              ;   in Loop: Header=BB104_3 Depth=1
	s_or_b32 exec_lo, exec_lo, s43
	s_wait_dscnt 0x0
	s_barrier_signal -1
	s_barrier_wait -1
	s_barrier_signal -1
	s_barrier_wait -1
	s_and_saveexec_b32 s43, s5
; %bb.766:                              ;   in Loop: Header=BB104_3 Depth=1
	v_xor_b32_e32 v24, 0x80000000, v24
	ds_store_b32 v55, v24 offset:8352
; %bb.767:                              ;   in Loop: Header=BB104_3 Depth=1
	s_or_b32 exec_lo, exec_lo, s43
	s_wait_dscnt 0x0
	s_barrier_signal -1
	s_barrier_wait -1
	s_barrier_signal -1
	s_barrier_wait -1
	s_and_saveexec_b32 s43, s39
	s_cbranch_execz .LBB104_769
; %bb.768:                              ;   in Loop: Header=BB104_3 Depth=1
	ds_load_b32 v24, v42 offset:8352
	s_wait_dscnt 0x0
	ds_store_b32 v46, v24 offset:10368
	ds_load_b32 v24, v42 offset:8356
	s_wait_dscnt 0x0
	ds_store_b32 v46, v24 offset:10624
	;; [unrolled: 3-line block ×8, first 2 shown]
.LBB104_769:                            ;   in Loop: Header=BB104_3 Depth=1
	s_or_b32 exec_lo, exec_lo, s43
	s_wait_dscnt 0x0
	s_barrier_signal -1
	s_barrier_wait -1
	s_and_saveexec_b32 s43, s11
	s_cbranch_execz .LBB104_771
; %bb.770:                              ;   in Loop: Header=BB104_3 Depth=1
	ds_load_b32 v24, v7 offset:10404
	ds_store_b32 v7, v25 offset:10400
	s_wait_dscnt 0x1
	ds_store_b64 v7, v[24:25] offset:10656
.LBB104_771:                            ;   in Loop: Header=BB104_3 Depth=1
	s_or_b32 exec_lo, exec_lo, s43
	v_mov_b32_e32 v24, 0
	s_wait_dscnt 0x0
	s_barrier_signal -1
	s_barrier_wait -1
	s_and_saveexec_b32 s43, s2
	s_cbranch_execz .LBB104_775
; %bb.772:                              ;   in Loop: Header=BB104_3 Depth=1
	ds_load_b32 v24, v39 offset:10408
	ds_load_b32 v30, v40 offset:10400
	s_wait_dscnt 0x0
	v_fma_f32 v24, v24, v30, 0
	s_and_saveexec_b32 s44, s12
	s_cbranch_execz .LBB104_774
; %bb.773:                              ;   in Loop: Header=BB104_3 Depth=1
	ds_load_b32 v30, v46 offset:10664
	ds_load_b32 v31, v7 offset:10404
	s_wait_dscnt 0x0
	v_fmac_f32_e32 v24, v30, v31
.LBB104_774:                            ;   in Loop: Header=BB104_3 Depth=1
	s_or_b32 exec_lo, exec_lo, s44
	s_delay_alu instid0(VALU_DEP_1)
	v_xor_b32_e32 v24, 0x80000000, v24
.LBB104_775:                            ;   in Loop: Header=BB104_3 Depth=1
	s_or_b32 exec_lo, exec_lo, s43
	s_and_saveexec_b32 s43, s89
; %bb.776:                              ;   in Loop: Header=BB104_3 Depth=1
	ds_store_b32 v37, v24
; %bb.777:                              ;   in Loop: Header=BB104_3 Depth=1
	s_or_b32 exec_lo, exec_lo, s43
	s_wait_dscnt 0x0
	s_barrier_signal -1
	s_barrier_wait -1
	s_and_saveexec_b32 s43, s90
	s_cbranch_execz .LBB104_779
; %bb.778:                              ;   in Loop: Header=BB104_3 Depth=1
	ds_load_b32 v30, v7 offset:10924
	ds_load_b32 v31, v37
	s_wait_dscnt 0x0
	v_fmac_f32_e32 v24, v30, v31
.LBB104_779:                            ;   in Loop: Header=BB104_3 Depth=1
	s_or_b32 exec_lo, exec_lo, s43
	s_barrier_signal -1
	s_barrier_wait -1
	s_and_saveexec_b32 s43, s90
; %bb.780:                              ;   in Loop: Header=BB104_3 Depth=1
	ds_store_b32 v37, v24
; %bb.781:                              ;   in Loop: Header=BB104_3 Depth=1
	s_or_b32 exec_lo, exec_lo, s43
	s_wait_dscnt 0x0
	s_barrier_signal -1
	s_barrier_wait -1
	s_barrier_signal -1
	s_barrier_wait -1
	s_and_saveexec_b32 s43, s2
; %bb.782:                              ;   in Loop: Header=BB104_3 Depth=1
	v_xor_b32_e32 v24, 0x80000000, v24
	ds_store_b32 v39, v24 offset:10408
; %bb.783:                              ;   in Loop: Header=BB104_3 Depth=1
	s_or_b32 exec_lo, exec_lo, s43
	s_wait_dscnt 0x0
	s_barrier_signal -1
	s_barrier_wait -1
	s_barrier_signal -1
	s_barrier_wait -1
	s_and_saveexec_b32 s43, s91
	s_cbranch_execz .LBB104_785
; %bb.784:                              ;   in Loop: Header=BB104_3 Depth=1
	ds_load_b32 v24, v50 offset:10408
	s_wait_dscnt 0x0
	ds_store_b32 v46, v24 offset:10912
	ds_load_b32 v24, v50 offset:10412
	s_wait_dscnt 0x0
	ds_store_b32 v46, v24 offset:11168
.LBB104_785:                            ;   in Loop: Header=BB104_3 Depth=1
	s_or_b32 exec_lo, exec_lo, s43
	s_wait_dscnt 0x0
	s_barrier_signal -1
	s_barrier_wait -1
	s_and_saveexec_b32 s43, s11
	s_cbranch_execz .LBB104_787
; %bb.786:                              ;   in Loop: Header=BB104_3 Depth=1
	ds_load_b32 v24, v7 offset:10924
	ds_store_b32 v7, v25 offset:10920
	s_wait_dscnt 0x1
	ds_store_b64 v7, v[24:25] offset:11176
.LBB104_787:                            ;   in Loop: Header=BB104_3 Depth=1
	s_or_b32 exec_lo, exec_lo, s43
	v_mov_b32_e32 v24, 0
	s_wait_dscnt 0x0
	s_barrier_signal -1
	s_barrier_wait -1
	s_and_saveexec_b32 s43, s4
	s_cbranch_execz .LBB104_793
; %bb.788:                              ;   in Loop: Header=BB104_3 Depth=1
	ds_load_b32 v24, v48 offset:10416
	ds_load_b32 v30, v41 offset:10400
	s_wait_dscnt 0x0
	v_fma_f32 v24, v24, v30, 0
	s_and_saveexec_b32 s44, s13
	s_cbranch_execnz .LBB104_1209
; %bb.789:                              ;   in Loop: Header=BB104_3 Depth=1
	s_or_b32 exec_lo, exec_lo, s44
	s_and_saveexec_b32 s44, s14
	s_cbranch_execnz .LBB104_1210
.LBB104_790:                            ;   in Loop: Header=BB104_3 Depth=1
	s_or_b32 exec_lo, exec_lo, s44
	s_and_saveexec_b32 s44, s2
	s_cbranch_execz .LBB104_792
.LBB104_791:                            ;   in Loop: Header=BB104_3 Depth=1
	ds_load_b32 v30, v53 offset:11184
	ds_load_b32 v31, v7 offset:10412
	s_wait_dscnt 0x0
	v_fmac_f32_e32 v24, v30, v31
.LBB104_792:                            ;   in Loop: Header=BB104_3 Depth=1
	s_or_b32 exec_lo, exec_lo, s44
	s_delay_alu instid0(VALU_DEP_1)
	v_xor_b32_e32 v24, 0x80000000, v24
.LBB104_793:                            ;   in Loop: Header=BB104_3 Depth=1
	s_or_b32 exec_lo, exec_lo, s43
	s_and_saveexec_b32 s43, s92
; %bb.794:                              ;   in Loop: Header=BB104_3 Depth=1
	ds_store_b32 v47, v24
; %bb.795:                              ;   in Loop: Header=BB104_3 Depth=1
	s_or_b32 exec_lo, exec_lo, s43
	s_wait_dscnt 0x0
	s_barrier_signal -1
	s_barrier_wait -1
	s_and_saveexec_b32 s43, s93
	s_cbranch_execz .LBB104_797
; %bb.796:                              ;   in Loop: Header=BB104_3 Depth=1
	ds_load_b32 v30, v45 offset:11440
	ds_load_b32 v31, v47
	s_wait_dscnt 0x0
	v_fmac_f32_e32 v24, v30, v31
.LBB104_797:                            ;   in Loop: Header=BB104_3 Depth=1
	s_or_b32 exec_lo, exec_lo, s43
	s_barrier_signal -1
	s_barrier_wait -1
	s_and_saveexec_b32 s43, s94
; %bb.798:                              ;   in Loop: Header=BB104_3 Depth=1
	ds_store_b32 v47, v24
; %bb.799:                              ;   in Loop: Header=BB104_3 Depth=1
	s_or_b32 exec_lo, exec_lo, s43
	s_wait_dscnt 0x0
	s_barrier_signal -1
	s_barrier_wait -1
	s_and_saveexec_b32 s43, s95
	s_cbranch_execz .LBB104_801
; %bb.800:                              ;   in Loop: Header=BB104_3 Depth=1
	ds_load_b32 v30, v45 offset:11696
	ds_load_b32 v31, v47
	s_wait_dscnt 0x0
	v_fmac_f32_e32 v24, v30, v31
.LBB104_801:                            ;   in Loop: Header=BB104_3 Depth=1
	s_or_b32 exec_lo, exec_lo, s43
	s_barrier_signal -1
	s_barrier_wait -1
	;; [unrolled: 19-line block ×3, first 2 shown]
	s_and_saveexec_b32 s43, s97
; %bb.806:                              ;   in Loop: Header=BB104_3 Depth=1
	ds_store_b32 v47, v24
; %bb.807:                              ;   in Loop: Header=BB104_3 Depth=1
	s_or_b32 exec_lo, exec_lo, s43
	s_wait_dscnt 0x0
	s_barrier_signal -1
	s_barrier_wait -1
	s_barrier_signal -1
	s_barrier_wait -1
	s_and_saveexec_b32 s43, s4
; %bb.808:                              ;   in Loop: Header=BB104_3 Depth=1
	v_xor_b32_e32 v24, 0x80000000, v24
	ds_store_b32 v48, v24 offset:10416
; %bb.809:                              ;   in Loop: Header=BB104_3 Depth=1
	s_or_b32 exec_lo, exec_lo, s43
	s_wait_dscnt 0x0
	s_barrier_signal -1
	s_barrier_wait -1
	s_barrier_signal -1
	s_barrier_wait -1
	s_and_saveexec_b32 s43, s98
	s_cbranch_execz .LBB104_811
; %bb.810:                              ;   in Loop: Header=BB104_3 Depth=1
	ds_load_b32 v24, v56 offset:10416
	s_wait_dscnt 0x0
	ds_store_b32 v59, v24 offset:11424
	ds_load_b32 v24, v56 offset:10420
	s_wait_dscnt 0x0
	ds_store_b32 v59, v24 offset:11680
	;; [unrolled: 3-line block ×4, first 2 shown]
.LBB104_811:                            ;   in Loop: Header=BB104_3 Depth=1
	s_or_b32 exec_lo, exec_lo, s43
	s_wait_dscnt 0x0
	s_barrier_signal -1
	s_barrier_wait -1
	s_and_saveexec_b32 s43, s11
	s_cbranch_execz .LBB104_813
; %bb.812:                              ;   in Loop: Header=BB104_3 Depth=1
	ds_load_b32 v24, v7 offset:11444
	ds_store_b32 v7, v25 offset:11440
	s_wait_dscnt 0x1
	ds_store_b64 v7, v[24:25] offset:11696
.LBB104_813:                            ;   in Loop: Header=BB104_3 Depth=1
	s_or_b32 exec_lo, exec_lo, s43
	v_mov_b32_e32 v24, 0
	s_wait_dscnt 0x0
	s_barrier_signal -1
	s_barrier_wait -1
	s_and_saveexec_b32 s43, s2
	s_cbranch_execz .LBB104_817
; %bb.814:                              ;   in Loop: Header=BB104_3 Depth=1
	ds_load_b32 v24, v39 offset:11448
	ds_load_b32 v30, v40 offset:11440
	s_wait_dscnt 0x0
	v_fma_f32 v24, v24, v30, 0
	s_and_saveexec_b32 s44, s12
	s_cbranch_execz .LBB104_816
; %bb.815:                              ;   in Loop: Header=BB104_3 Depth=1
	ds_load_b32 v30, v59 offset:11704
	ds_load_b32 v31, v7 offset:11444
	s_wait_dscnt 0x0
	v_fmac_f32_e32 v24, v30, v31
.LBB104_816:                            ;   in Loop: Header=BB104_3 Depth=1
	s_or_b32 exec_lo, exec_lo, s44
	s_delay_alu instid0(VALU_DEP_1)
	v_xor_b32_e32 v24, 0x80000000, v24
.LBB104_817:                            ;   in Loop: Header=BB104_3 Depth=1
	s_or_b32 exec_lo, exec_lo, s43
	s_and_saveexec_b32 s43, s89
; %bb.818:                              ;   in Loop: Header=BB104_3 Depth=1
	ds_store_b32 v37, v24
; %bb.819:                              ;   in Loop: Header=BB104_3 Depth=1
	s_or_b32 exec_lo, exec_lo, s43
	s_wait_dscnt 0x0
	s_barrier_signal -1
	s_barrier_wait -1
	s_and_saveexec_b32 s43, s90
	s_cbranch_execz .LBB104_821
; %bb.820:                              ;   in Loop: Header=BB104_3 Depth=1
	ds_load_b32 v30, v7 offset:11964
	ds_load_b32 v31, v37
	s_wait_dscnt 0x0
	v_fmac_f32_e32 v24, v30, v31
.LBB104_821:                            ;   in Loop: Header=BB104_3 Depth=1
	s_or_b32 exec_lo, exec_lo, s43
	s_barrier_signal -1
	s_barrier_wait -1
	s_and_saveexec_b32 s43, s90
; %bb.822:                              ;   in Loop: Header=BB104_3 Depth=1
	ds_store_b32 v37, v24
; %bb.823:                              ;   in Loop: Header=BB104_3 Depth=1
	s_or_b32 exec_lo, exec_lo, s43
	s_wait_dscnt 0x0
	s_barrier_signal -1
	s_barrier_wait -1
	s_barrier_signal -1
	s_barrier_wait -1
	s_and_saveexec_b32 s43, s2
; %bb.824:                              ;   in Loop: Header=BB104_3 Depth=1
	v_xor_b32_e32 v24, 0x80000000, v24
	ds_store_b32 v39, v24 offset:11448
; %bb.825:                              ;   in Loop: Header=BB104_3 Depth=1
	s_or_b32 exec_lo, exec_lo, s43
	s_wait_dscnt 0x0
	s_barrier_signal -1
	s_barrier_wait -1
	s_barrier_signal -1
	s_barrier_wait -1
	s_and_saveexec_b32 s43, s91
	s_cbranch_execz .LBB104_827
; %bb.826:                              ;   in Loop: Header=BB104_3 Depth=1
	v_add_nc_u32_e32 v24, v59, v44
	ds_load_b32 v30, v24 offset:11448
	s_wait_dscnt 0x0
	ds_store_b32 v59, v30 offset:11952
	ds_load_b32 v24, v24 offset:11452
	s_wait_dscnt 0x0
	ds_store_b32 v59, v24 offset:12208
.LBB104_827:                            ;   in Loop: Header=BB104_3 Depth=1
	s_or_b32 exec_lo, exec_lo, s43
	s_wait_dscnt 0x0
	s_barrier_signal -1
	s_barrier_wait -1
	s_and_saveexec_b32 s43, s11
	s_cbranch_execz .LBB104_829
; %bb.828:                              ;   in Loop: Header=BB104_3 Depth=1
	ds_load_b32 v24, v7 offset:11964
	ds_store_b32 v7, v25 offset:11960
	s_wait_dscnt 0x1
	ds_store_b64 v7, v[24:25] offset:12216
.LBB104_829:                            ;   in Loop: Header=BB104_3 Depth=1
	s_or_b32 exec_lo, exec_lo, s43
	v_mov_b32_e32 v24, 0
	s_wait_dscnt 0x0
	s_barrier_signal -1
	s_barrier_wait -1
	s_and_saveexec_b32 s43, s6
	s_cbranch_execz .LBB104_857
; %bb.830:                              ;   in Loop: Header=BB104_3 Depth=1
	ds_load_b32 v24, v65 offset:8384
	ds_load_b32 v30, v57 offset:8320
	s_wait_dscnt 0x0
	v_fma_f32 v24, v24, v30, 0
	s_mov_b32 s44, exec_lo
	v_readlane_b32 s45, v93, 18
	s_and_b32 s45, s44, s45
	s_delay_alu instid0(SALU_CYCLE_1)
	s_mov_b32 exec_lo, s45
	s_cbranch_execz .LBB104_832
; %bb.831:                              ;   in Loop: Header=BB104_3 Depth=1
	ds_load_b32 v30, v66 offset:8640
	ds_load_b32 v31, v57 offset:8324
	s_wait_dscnt 0x0
	v_fmac_f32_e32 v24, v30, v31
.LBB104_832:                            ;   in Loop: Header=BB104_3 Depth=1
	s_or_b32 exec_lo, exec_lo, s44
	s_delay_alu instid0(SALU_CYCLE_1) | instskip(SKIP_2) | instid1(SALU_CYCLE_1)
	s_mov_b32 s44, exec_lo
	v_readlane_b32 s45, v93, 19
	s_and_b32 s45, s44, s45
	s_mov_b32 exec_lo, s45
	s_cbranch_execz .LBB104_834
; %bb.833:                              ;   in Loop: Header=BB104_3 Depth=1
	ds_load_b32 v30, v66 offset:8896
	ds_load_b32 v31, v57 offset:8328
	s_wait_dscnt 0x0
	v_fmac_f32_e32 v24, v30, v31
.LBB104_834:                            ;   in Loop: Header=BB104_3 Depth=1
	s_or_b32 exec_lo, exec_lo, s44
	s_delay_alu instid0(SALU_CYCLE_1) | instskip(SKIP_2) | instid1(SALU_CYCLE_1)
	s_mov_b32 s44, exec_lo
	v_readlane_b32 s45, v93, 20
	s_and_b32 s45, s44, s45
	;; [unrolled: 13-line block ×10, first 2 shown]
	s_mov_b32 exec_lo, s45
	s_cbranch_execnz .LBB104_1211
; %bb.851:                              ;   in Loop: Header=BB104_3 Depth=1
	s_or_b32 exec_lo, exec_lo, s44
	s_and_saveexec_b32 s44, s5
	s_cbranch_execnz .LBB104_1212
.LBB104_852:                            ;   in Loop: Header=BB104_3 Depth=1
	s_or_b32 exec_lo, exec_lo, s44
	s_and_saveexec_b32 s44, s16
	s_cbranch_execnz .LBB104_1213
.LBB104_853:                            ;   in Loop: Header=BB104_3 Depth=1
	s_or_b32 exec_lo, exec_lo, s44
	s_and_saveexec_b32 s44, s18
	s_cbranch_execnz .LBB104_1214
.LBB104_854:                            ;   in Loop: Header=BB104_3 Depth=1
	s_or_b32 exec_lo, exec_lo, s44
	s_and_saveexec_b32 s44, s4
	s_cbranch_execz .LBB104_856
.LBB104_855:                            ;   in Loop: Header=BB104_3 Depth=1
	ds_load_b32 v30, v3 offset:12224
	ds_load_b32 v31, v7 offset:8380
	s_wait_dscnt 0x0
	v_fmac_f32_e32 v24, v30, v31
.LBB104_856:                            ;   in Loop: Header=BB104_3 Depth=1
	s_or_b32 exec_lo, exec_lo, s44
	s_delay_alu instid0(VALU_DEP_1)
	v_xor_b32_e32 v24, 0x80000000, v24
.LBB104_857:                            ;   in Loop: Header=BB104_3 Depth=1
	s_or_b32 exec_lo, exec_lo, s43
	s_delay_alu instid0(SALU_CYCLE_1) | instskip(SKIP_2) | instid1(SALU_CYCLE_1)
	s_mov_b32 s43, exec_lo
	v_readlane_b32 s44, v95, 2
	s_and_b32 s44, s43, s44
	s_mov_b32 exec_lo, s44
; %bb.858:                              ;   in Loop: Header=BB104_3 Depth=1
	ds_store_b32 v64, v24
; %bb.859:                              ;   in Loop: Header=BB104_3 Depth=1
	s_or_b32 exec_lo, exec_lo, s43
	s_wait_dscnt 0x0
	s_barrier_signal -1
	s_barrier_wait -1
	s_mov_b32 s43, exec_lo
	v_readlane_b32 s44, v95, 3
	s_and_b32 s44, s43, s44
	s_delay_alu instid0(SALU_CYCLE_1)
	s_mov_b32 exec_lo, s44
	s_cbranch_execz .LBB104_861
; %bb.860:                              ;   in Loop: Header=BB104_3 Depth=1
	ds_load_b32 v30, v60 offset:12480
	ds_load_b32 v31, v64
	s_wait_dscnt 0x0
	v_fmac_f32_e32 v24, v30, v31
.LBB104_861:                            ;   in Loop: Header=BB104_3 Depth=1
	s_or_b32 exec_lo, exec_lo, s43
	s_barrier_signal -1
	s_barrier_wait -1
	s_mov_b32 s43, exec_lo
	v_readlane_b32 s44, v95, 4
	s_and_b32 s44, s43, s44
	s_delay_alu instid0(SALU_CYCLE_1)
	s_mov_b32 exec_lo, s44
; %bb.862:                              ;   in Loop: Header=BB104_3 Depth=1
	ds_store_b32 v64, v24
; %bb.863:                              ;   in Loop: Header=BB104_3 Depth=1
	s_or_b32 exec_lo, exec_lo, s43
	s_wait_dscnt 0x0
	s_barrier_signal -1
	s_barrier_wait -1
	s_mov_b32 s43, exec_lo
	v_readlane_b32 s44, v95, 5
	s_and_b32 s44, s43, s44
	s_delay_alu instid0(SALU_CYCLE_1)
	s_mov_b32 exec_lo, s44
	s_cbranch_execz .LBB104_865
; %bb.864:                              ;   in Loop: Header=BB104_3 Depth=1
	ds_load_b32 v30, v60 offset:12736
	ds_load_b32 v31, v64
	s_wait_dscnt 0x0
	v_fmac_f32_e32 v24, v30, v31
.LBB104_865:                            ;   in Loop: Header=BB104_3 Depth=1
	s_or_b32 exec_lo, exec_lo, s43
	s_barrier_signal -1
	s_barrier_wait -1
	s_mov_b32 s43, exec_lo
	v_readlane_b32 s44, v95, 6
	s_and_b32 s44, s43, s44
	s_delay_alu instid0(SALU_CYCLE_1)
	s_mov_b32 exec_lo, s44
; %bb.866:                              ;   in Loop: Header=BB104_3 Depth=1
	ds_store_b32 v64, v24
; %bb.867:                              ;   in Loop: Header=BB104_3 Depth=1
	s_or_b32 exec_lo, exec_lo, s43
	s_wait_dscnt 0x0
	s_barrier_signal -1
	s_barrier_wait -1
	s_mov_b32 s43, exec_lo
	v_readlane_b32 s44, v95, 7
	s_and_b32 s44, s43, s44
	s_delay_alu instid0(SALU_CYCLE_1)
	s_mov_b32 exec_lo, s44
	s_cbranch_execz .LBB104_869
; %bb.868:                              ;   in Loop: Header=BB104_3 Depth=1
	ds_load_b32 v30, v60 offset:12992
	ds_load_b32 v31, v64
	s_wait_dscnt 0x0
	v_fmac_f32_e32 v24, v30, v31
.LBB104_869:                            ;   in Loop: Header=BB104_3 Depth=1
	s_or_b32 exec_lo, exec_lo, s43
	s_barrier_signal -1
	s_barrier_wait -1
	s_mov_b32 s43, exec_lo
	v_readlane_b32 s44, v95, 8
	s_and_b32 s44, s43, s44
	s_delay_alu instid0(SALU_CYCLE_1)
	s_mov_b32 exec_lo, s44
; %bb.870:                              ;   in Loop: Header=BB104_3 Depth=1
	ds_store_b32 v64, v24
; %bb.871:                              ;   in Loop: Header=BB104_3 Depth=1
	s_or_b32 exec_lo, exec_lo, s43
	s_wait_dscnt 0x0
	s_barrier_signal -1
	s_barrier_wait -1
	s_mov_b32 s43, exec_lo
	v_readlane_b32 s44, v95, 9
	s_and_b32 s44, s43, s44
	s_delay_alu instid0(SALU_CYCLE_1)
	s_mov_b32 exec_lo, s44
	s_cbranch_execz .LBB104_873
; %bb.872:                              ;   in Loop: Header=BB104_3 Depth=1
	ds_load_b32 v30, v60 offset:13248
	ds_load_b32 v31, v64
	s_wait_dscnt 0x0
	v_fmac_f32_e32 v24, v30, v31
.LBB104_873:                            ;   in Loop: Header=BB104_3 Depth=1
	s_or_b32 exec_lo, exec_lo, s43
	s_barrier_signal -1
	s_barrier_wait -1
	s_and_saveexec_b32 s43, s48
; %bb.874:                              ;   in Loop: Header=BB104_3 Depth=1
	ds_store_b32 v64, v24
; %bb.875:                              ;   in Loop: Header=BB104_3 Depth=1
	s_or_b32 exec_lo, exec_lo, s43
	s_wait_dscnt 0x0
	s_barrier_signal -1
	s_barrier_wait -1
	s_and_saveexec_b32 s43, s49
	s_cbranch_execz .LBB104_877
; %bb.876:                              ;   in Loop: Header=BB104_3 Depth=1
	ds_load_b32 v30, v60 offset:13504
	ds_load_b32 v31, v64
	s_wait_dscnt 0x0
	v_fmac_f32_e32 v24, v30, v31
.LBB104_877:                            ;   in Loop: Header=BB104_3 Depth=1
	s_or_b32 exec_lo, exec_lo, s43
	s_barrier_signal -1
	s_barrier_wait -1
	s_and_saveexec_b32 s43, s50
; %bb.878:                              ;   in Loop: Header=BB104_3 Depth=1
	ds_store_b32 v64, v24
; %bb.879:                              ;   in Loop: Header=BB104_3 Depth=1
	s_or_b32 exec_lo, exec_lo, s43
	s_wait_dscnt 0x0
	s_barrier_signal -1
	s_barrier_wait -1
	s_and_saveexec_b32 s43, s51
	;; [unrolled: 19-line block ×11, first 2 shown]
	s_cbranch_execz .LBB104_917
; %bb.916:                              ;   in Loop: Header=BB104_3 Depth=1
	ds_load_b32 v30, v7 offset:16124
	ds_load_b32 v31, v64
	s_wait_dscnt 0x0
	v_fmac_f32_e32 v24, v30, v31
.LBB104_917:                            ;   in Loop: Header=BB104_3 Depth=1
	s_or_b32 exec_lo, exec_lo, s43
	s_barrier_signal -1
	s_barrier_wait -1
	s_and_saveexec_b32 s43, s29
; %bb.918:                              ;   in Loop: Header=BB104_3 Depth=1
	ds_store_b32 v64, v24
; %bb.919:                              ;   in Loop: Header=BB104_3 Depth=1
	s_or_b32 exec_lo, exec_lo, s43
	s_wait_dscnt 0x0
	s_barrier_signal -1
	s_barrier_wait -1
	s_barrier_signal -1
	s_barrier_wait -1
	s_and_saveexec_b32 s43, s6
; %bb.920:                              ;   in Loop: Header=BB104_3 Depth=1
	v_xor_b32_e32 v24, 0x80000000, v24
	ds_store_b32 v65, v24 offset:8384
; %bb.921:                              ;   in Loop: Header=BB104_3 Depth=1
	s_or_b32 exec_lo, exec_lo, s43
	s_wait_dscnt 0x0
	s_barrier_signal -1
	s_barrier_wait -1
	s_barrier_signal -1
	s_barrier_wait -1
	s_and_saveexec_b32 s43, s61
	s_cbranch_execz .LBB104_923
; %bb.922:                              ;   in Loop: Header=BB104_3 Depth=1
	ds_load_b32 v24, v5 offset:8384
	s_wait_dscnt 0x0
	ds_store_b32 v9, v24 offset:12416
	ds_load_b32 v24, v5 offset:8388
	s_wait_dscnt 0x0
	ds_store_b32 v9, v24 offset:12672
	;; [unrolled: 3-line block ×16, first 2 shown]
.LBB104_923:                            ;   in Loop: Header=BB104_3 Depth=1
	s_or_b32 exec_lo, exec_lo, s43
	s_wait_dscnt 0x0
	s_barrier_signal -1
	s_barrier_wait -1
	s_and_saveexec_b32 s43, s11
	s_cbranch_execz .LBB104_925
; %bb.924:                              ;   in Loop: Header=BB104_3 Depth=1
	ds_load_b32 v24, v7 offset:12484
	ds_store_b32 v7, v25 offset:12480
	s_wait_dscnt 0x1
	ds_store_b64 v7, v[24:25] offset:12736
.LBB104_925:                            ;   in Loop: Header=BB104_3 Depth=1
	s_or_b32 exec_lo, exec_lo, s43
	v_mov_b32_e32 v24, 0
	s_wait_dscnt 0x0
	s_barrier_signal -1
	s_barrier_wait -1
	s_and_saveexec_b32 s43, s2
	s_cbranch_execz .LBB104_929
; %bb.926:                              ;   in Loop: Header=BB104_3 Depth=1
	ds_load_b32 v24, v39 offset:12488
	ds_load_b32 v30, v40 offset:12480
	s_wait_dscnt 0x0
	v_fma_f32 v24, v24, v30, 0
	s_and_saveexec_b32 s44, s12
	s_cbranch_execz .LBB104_928
; %bb.927:                              ;   in Loop: Header=BB104_3 Depth=1
	ds_load_b32 v30, v3 offset:12744
	ds_load_b32 v31, v7 offset:12484
	s_wait_dscnt 0x0
	v_fmac_f32_e32 v24, v30, v31
.LBB104_928:                            ;   in Loop: Header=BB104_3 Depth=1
	s_or_b32 exec_lo, exec_lo, s44
	s_delay_alu instid0(VALU_DEP_1)
	v_xor_b32_e32 v24, 0x80000000, v24
.LBB104_929:                            ;   in Loop: Header=BB104_3 Depth=1
	s_or_b32 exec_lo, exec_lo, s43
	s_and_saveexec_b32 s43, s89
; %bb.930:                              ;   in Loop: Header=BB104_3 Depth=1
	ds_store_b32 v37, v24
; %bb.931:                              ;   in Loop: Header=BB104_3 Depth=1
	s_or_b32 exec_lo, exec_lo, s43
	s_wait_dscnt 0x0
	s_barrier_signal -1
	s_barrier_wait -1
	s_and_saveexec_b32 s43, s90
	s_cbranch_execz .LBB104_933
; %bb.932:                              ;   in Loop: Header=BB104_3 Depth=1
	ds_load_b32 v30, v7 offset:13004
	ds_load_b32 v31, v37
	s_wait_dscnt 0x0
	v_fmac_f32_e32 v24, v30, v31
.LBB104_933:                            ;   in Loop: Header=BB104_3 Depth=1
	s_or_b32 exec_lo, exec_lo, s43
	s_barrier_signal -1
	s_barrier_wait -1
	s_and_saveexec_b32 s43, s90
; %bb.934:                              ;   in Loop: Header=BB104_3 Depth=1
	ds_store_b32 v37, v24
; %bb.935:                              ;   in Loop: Header=BB104_3 Depth=1
	s_or_b32 exec_lo, exec_lo, s43
	s_wait_dscnt 0x0
	s_barrier_signal -1
	s_barrier_wait -1
	s_barrier_signal -1
	s_barrier_wait -1
	s_and_saveexec_b32 s43, s2
; %bb.936:                              ;   in Loop: Header=BB104_3 Depth=1
	v_xor_b32_e32 v24, 0x80000000, v24
	ds_store_b32 v39, v24 offset:12488
; %bb.937:                              ;   in Loop: Header=BB104_3 Depth=1
	s_or_b32 exec_lo, exec_lo, s43
	s_wait_dscnt 0x0
	s_barrier_signal -1
	s_barrier_wait -1
	s_barrier_signal -1
	s_barrier_wait -1
	s_and_saveexec_b32 s43, s91
	s_cbranch_execz .LBB104_939
; %bb.938:                              ;   in Loop: Header=BB104_3 Depth=1
	ds_load_b32 v24, v5 offset:12488
	s_wait_dscnt 0x0
	ds_store_b32 v3, v24 offset:12992
	ds_load_b32 v24, v5 offset:12492
	s_wait_dscnt 0x0
	ds_store_b32 v3, v24 offset:13248
.LBB104_939:                            ;   in Loop: Header=BB104_3 Depth=1
	s_or_b32 exec_lo, exec_lo, s43
	s_wait_dscnt 0x0
	s_barrier_signal -1
	s_barrier_wait -1
	s_and_saveexec_b32 s43, s11
	s_cbranch_execz .LBB104_941
; %bb.940:                              ;   in Loop: Header=BB104_3 Depth=1
	ds_load_b32 v24, v7 offset:13004
	ds_store_b32 v7, v25 offset:13000
	s_wait_dscnt 0x1
	ds_store_b64 v7, v[24:25] offset:13256
.LBB104_941:                            ;   in Loop: Header=BB104_3 Depth=1
	s_or_b32 exec_lo, exec_lo, s43
	v_mov_b32_e32 v24, 0
	s_wait_dscnt 0x0
	s_barrier_signal -1
	s_barrier_wait -1
	s_and_saveexec_b32 s43, s4
	s_cbranch_execz .LBB104_947
; %bb.942:                              ;   in Loop: Header=BB104_3 Depth=1
	ds_load_b32 v24, v48 offset:12496
	ds_load_b32 v30, v41 offset:12480
	s_wait_dscnt 0x0
	v_fma_f32 v24, v24, v30, 0
	s_and_saveexec_b32 s44, s13
	s_cbranch_execnz .LBB104_1215
; %bb.943:                              ;   in Loop: Header=BB104_3 Depth=1
	s_or_b32 exec_lo, exec_lo, s44
	s_and_saveexec_b32 s44, s14
	s_cbranch_execnz .LBB104_1216
.LBB104_944:                            ;   in Loop: Header=BB104_3 Depth=1
	s_or_b32 exec_lo, exec_lo, s44
	s_and_saveexec_b32 s44, s2
	s_cbranch_execz .LBB104_946
.LBB104_945:                            ;   in Loop: Header=BB104_3 Depth=1
	ds_load_b32 v30, v9 offset:13264
	ds_load_b32 v31, v7 offset:12492
	s_wait_dscnt 0x0
	v_fmac_f32_e32 v24, v30, v31
.LBB104_946:                            ;   in Loop: Header=BB104_3 Depth=1
	s_or_b32 exec_lo, exec_lo, s44
	s_delay_alu instid0(VALU_DEP_1)
	v_xor_b32_e32 v24, 0x80000000, v24
.LBB104_947:                            ;   in Loop: Header=BB104_3 Depth=1
	s_or_b32 exec_lo, exec_lo, s43
	s_and_saveexec_b32 s43, s92
; %bb.948:                              ;   in Loop: Header=BB104_3 Depth=1
	ds_store_b32 v47, v24
; %bb.949:                              ;   in Loop: Header=BB104_3 Depth=1
	s_or_b32 exec_lo, exec_lo, s43
	s_wait_dscnt 0x0
	s_barrier_signal -1
	s_barrier_wait -1
	s_and_saveexec_b32 s43, s93
	s_cbranch_execz .LBB104_951
; %bb.950:                              ;   in Loop: Header=BB104_3 Depth=1
	ds_load_b32 v30, v45 offset:13520
	ds_load_b32 v31, v47
	s_wait_dscnt 0x0
	v_fmac_f32_e32 v24, v30, v31
.LBB104_951:                            ;   in Loop: Header=BB104_3 Depth=1
	s_or_b32 exec_lo, exec_lo, s43
	s_barrier_signal -1
	s_barrier_wait -1
	s_and_saveexec_b32 s43, s94
; %bb.952:                              ;   in Loop: Header=BB104_3 Depth=1
	ds_store_b32 v47, v24
; %bb.953:                              ;   in Loop: Header=BB104_3 Depth=1
	s_or_b32 exec_lo, exec_lo, s43
	s_wait_dscnt 0x0
	s_barrier_signal -1
	s_barrier_wait -1
	s_and_saveexec_b32 s43, s95
	s_cbranch_execz .LBB104_955
; %bb.954:                              ;   in Loop: Header=BB104_3 Depth=1
	ds_load_b32 v30, v45 offset:13776
	ds_load_b32 v31, v47
	s_wait_dscnt 0x0
	v_fmac_f32_e32 v24, v30, v31
.LBB104_955:                            ;   in Loop: Header=BB104_3 Depth=1
	s_or_b32 exec_lo, exec_lo, s43
	s_barrier_signal -1
	s_barrier_wait -1
	;; [unrolled: 19-line block ×3, first 2 shown]
	s_and_saveexec_b32 s43, s97
; %bb.960:                              ;   in Loop: Header=BB104_3 Depth=1
	ds_store_b32 v47, v24
; %bb.961:                              ;   in Loop: Header=BB104_3 Depth=1
	s_or_b32 exec_lo, exec_lo, s43
	s_wait_dscnt 0x0
	s_barrier_signal -1
	s_barrier_wait -1
	s_barrier_signal -1
	s_barrier_wait -1
	s_and_saveexec_b32 s43, s4
; %bb.962:                              ;   in Loop: Header=BB104_3 Depth=1
	v_xor_b32_e32 v24, 0x80000000, v24
	ds_store_b32 v48, v24 offset:12496
; %bb.963:                              ;   in Loop: Header=BB104_3 Depth=1
	s_or_b32 exec_lo, exec_lo, s43
	s_wait_dscnt 0x0
	s_barrier_signal -1
	s_barrier_wait -1
	s_barrier_signal -1
	s_barrier_wait -1
	s_and_saveexec_b32 s43, s98
	s_cbranch_execz .LBB104_965
; %bb.964:                              ;   in Loop: Header=BB104_3 Depth=1
	ds_load_b32 v24, v34 offset:12496
	s_wait_dscnt 0x0
	ds_store_b32 v35, v24 offset:13504
	ds_load_b32 v24, v34 offset:12500
	s_wait_dscnt 0x0
	ds_store_b32 v35, v24 offset:13760
	;; [unrolled: 3-line block ×4, first 2 shown]
.LBB104_965:                            ;   in Loop: Header=BB104_3 Depth=1
	s_or_b32 exec_lo, exec_lo, s43
	s_wait_dscnt 0x0
	s_barrier_signal -1
	s_barrier_wait -1
	s_and_saveexec_b32 s43, s11
	s_cbranch_execz .LBB104_967
; %bb.966:                              ;   in Loop: Header=BB104_3 Depth=1
	ds_load_b32 v24, v7 offset:13524
	ds_store_b32 v7, v25 offset:13520
	s_wait_dscnt 0x1
	ds_store_b64 v7, v[24:25] offset:13776
.LBB104_967:                            ;   in Loop: Header=BB104_3 Depth=1
	s_or_b32 exec_lo, exec_lo, s43
	v_mov_b32_e32 v24, 0
	s_wait_dscnt 0x0
	s_barrier_signal -1
	s_barrier_wait -1
	s_and_saveexec_b32 s43, s2
	s_cbranch_execz .LBB104_971
; %bb.968:                              ;   in Loop: Header=BB104_3 Depth=1
	ds_load_b32 v24, v39 offset:13528
	ds_load_b32 v30, v40 offset:13520
	s_wait_dscnt 0x0
	v_fma_f32 v24, v24, v30, 0
	s_and_saveexec_b32 s44, s12
	s_cbranch_execz .LBB104_970
; %bb.969:                              ;   in Loop: Header=BB104_3 Depth=1
	ds_load_b32 v30, v35 offset:13784
	ds_load_b32 v31, v7 offset:13524
	s_wait_dscnt 0x0
	v_fmac_f32_e32 v24, v30, v31
.LBB104_970:                            ;   in Loop: Header=BB104_3 Depth=1
	s_or_b32 exec_lo, exec_lo, s44
	s_delay_alu instid0(VALU_DEP_1)
	v_xor_b32_e32 v24, 0x80000000, v24
.LBB104_971:                            ;   in Loop: Header=BB104_3 Depth=1
	s_or_b32 exec_lo, exec_lo, s43
	s_and_saveexec_b32 s43, s89
; %bb.972:                              ;   in Loop: Header=BB104_3 Depth=1
	ds_store_b32 v37, v24
; %bb.973:                              ;   in Loop: Header=BB104_3 Depth=1
	s_or_b32 exec_lo, exec_lo, s43
	s_wait_dscnt 0x0
	s_barrier_signal -1
	s_barrier_wait -1
	s_and_saveexec_b32 s43, s90
	s_cbranch_execz .LBB104_975
; %bb.974:                              ;   in Loop: Header=BB104_3 Depth=1
	ds_load_b32 v30, v7 offset:14044
	ds_load_b32 v31, v37
	s_wait_dscnt 0x0
	v_fmac_f32_e32 v24, v30, v31
.LBB104_975:                            ;   in Loop: Header=BB104_3 Depth=1
	s_or_b32 exec_lo, exec_lo, s43
	s_barrier_signal -1
	s_barrier_wait -1
	s_and_saveexec_b32 s43, s90
; %bb.976:                              ;   in Loop: Header=BB104_3 Depth=1
	ds_store_b32 v37, v24
; %bb.977:                              ;   in Loop: Header=BB104_3 Depth=1
	s_or_b32 exec_lo, exec_lo, s43
	s_wait_dscnt 0x0
	s_barrier_signal -1
	s_barrier_wait -1
	s_barrier_signal -1
	s_barrier_wait -1
	s_and_saveexec_b32 s43, s2
; %bb.978:                              ;   in Loop: Header=BB104_3 Depth=1
	v_xor_b32_e32 v24, 0x80000000, v24
	ds_store_b32 v39, v24 offset:13528
; %bb.979:                              ;   in Loop: Header=BB104_3 Depth=1
	s_or_b32 exec_lo, exec_lo, s43
	s_wait_dscnt 0x0
	s_barrier_signal -1
	s_barrier_wait -1
	s_barrier_signal -1
	s_barrier_wait -1
	s_and_saveexec_b32 s43, s91
	s_cbranch_execz .LBB104_981
; %bb.980:                              ;   in Loop: Header=BB104_3 Depth=1
	ds_load_b32 v24, v36 offset:13528
	s_wait_dscnt 0x0
	ds_store_b32 v35, v24 offset:14032
	ds_load_b32 v24, v36 offset:13532
	s_wait_dscnt 0x0
	ds_store_b32 v35, v24 offset:14288
.LBB104_981:                            ;   in Loop: Header=BB104_3 Depth=1
	s_or_b32 exec_lo, exec_lo, s43
	s_wait_dscnt 0x0
	s_barrier_signal -1
	s_barrier_wait -1
	s_and_saveexec_b32 s43, s11
	s_cbranch_execz .LBB104_983
; %bb.982:                              ;   in Loop: Header=BB104_3 Depth=1
	ds_load_b32 v24, v7 offset:14044
	ds_store_b32 v7, v25 offset:14040
	s_wait_dscnt 0x1
	ds_store_b64 v7, v[24:25] offset:14296
.LBB104_983:                            ;   in Loop: Header=BB104_3 Depth=1
	s_or_b32 exec_lo, exec_lo, s43
	v_mov_b32_e32 v24, 0
	s_wait_dscnt 0x0
	s_barrier_signal -1
	s_barrier_wait -1
	s_and_saveexec_b32 s43, s5
	s_cbranch_execz .LBB104_993
; %bb.984:                              ;   in Loop: Header=BB104_3 Depth=1
	ds_load_b32 v24, v55 offset:12512
	ds_load_b32 v30, v52 offset:12480
	s_wait_dscnt 0x0
	v_fma_f32 v24, v24, v30, 0
	s_and_saveexec_b32 s44, s15
	s_cbranch_execnz .LBB104_1217
; %bb.985:                              ;   in Loop: Header=BB104_3 Depth=1
	s_or_b32 exec_lo, exec_lo, s44
	s_and_saveexec_b32 s44, s16
	s_cbranch_execnz .LBB104_1218
.LBB104_986:                            ;   in Loop: Header=BB104_3 Depth=1
	s_or_b32 exec_lo, exec_lo, s44
	s_and_saveexec_b32 s44, s17
	s_cbranch_execnz .LBB104_1219
.LBB104_987:                            ;   in Loop: Header=BB104_3 Depth=1
	s_or_b32 exec_lo, exec_lo, s44
	s_and_saveexec_b32 s44, s18
	s_cbranch_execnz .LBB104_1220
.LBB104_988:                            ;   in Loop: Header=BB104_3 Depth=1
	s_or_b32 exec_lo, exec_lo, s44
	s_and_saveexec_b32 s44, s19
	s_cbranch_execnz .LBB104_1221
.LBB104_989:                            ;   in Loop: Header=BB104_3 Depth=1
	s_or_b32 exec_lo, exec_lo, s44
	s_and_saveexec_b32 s44, s4
	s_cbranch_execnz .LBB104_1222
.LBB104_990:                            ;   in Loop: Header=BB104_3 Depth=1
	s_or_b32 exec_lo, exec_lo, s44
	s_and_saveexec_b32 s44, s14
	s_cbranch_execz .LBB104_992
.LBB104_991:                            ;   in Loop: Header=BB104_3 Depth=1
	ds_load_b32 v30, v38 offset:14304
	ds_load_b32 v31, v7 offset:12508
	s_wait_dscnt 0x0
	v_fmac_f32_e32 v24, v30, v31
.LBB104_992:                            ;   in Loop: Header=BB104_3 Depth=1
	s_or_b32 exec_lo, exec_lo, s44
	s_delay_alu instid0(VALU_DEP_1)
	v_xor_b32_e32 v24, 0x80000000, v24
.LBB104_993:                            ;   in Loop: Header=BB104_3 Depth=1
	s_or_b32 exec_lo, exec_lo, s43
	s_and_saveexec_b32 s43, s99
; %bb.994:                              ;   in Loop: Header=BB104_3 Depth=1
	ds_store_b32 v54, v24
; %bb.995:                              ;   in Loop: Header=BB104_3 Depth=1
	s_or_b32 exec_lo, exec_lo, s43
	s_wait_dscnt 0x0
	s_barrier_signal -1
	s_barrier_wait -1
	s_and_saveexec_b32 s43, s100
	s_cbranch_execz .LBB104_997
; %bb.996:                              ;   in Loop: Header=BB104_3 Depth=1
	ds_load_b32 v30, v51 offset:14560
	ds_load_b32 v31, v54
	s_wait_dscnt 0x0
	v_fmac_f32_e32 v24, v30, v31
.LBB104_997:                            ;   in Loop: Header=BB104_3 Depth=1
	s_or_b32 exec_lo, exec_lo, s43
	s_barrier_signal -1
	s_barrier_wait -1
	s_and_saveexec_b32 s43, s101
; %bb.998:                              ;   in Loop: Header=BB104_3 Depth=1
	ds_store_b32 v54, v24
; %bb.999:                              ;   in Loop: Header=BB104_3 Depth=1
	s_or_b32 exec_lo, exec_lo, s43
	s_wait_dscnt 0x0
	s_barrier_signal -1
	s_barrier_wait -1
	s_and_saveexec_b32 s43, s102
	s_cbranch_execz .LBB104_1001
; %bb.1000:                             ;   in Loop: Header=BB104_3 Depth=1
	ds_load_b32 v30, v51 offset:14816
	ds_load_b32 v31, v54
	s_wait_dscnt 0x0
	v_fmac_f32_e32 v24, v30, v31
.LBB104_1001:                           ;   in Loop: Header=BB104_3 Depth=1
	s_or_b32 exec_lo, exec_lo, s43
	s_barrier_signal -1
	s_barrier_wait -1
	s_and_saveexec_b32 s43, s103
; %bb.1002:                             ;   in Loop: Header=BB104_3 Depth=1
	ds_store_b32 v54, v24
; %bb.1003:                             ;   in Loop: Header=BB104_3 Depth=1
	s_or_b32 exec_lo, exec_lo, s43
	s_wait_dscnt 0x0
	s_barrier_signal -1
	s_barrier_wait -1
	s_and_saveexec_b32 s43, s104
	s_cbranch_execz .LBB104_1005
; %bb.1004:                             ;   in Loop: Header=BB104_3 Depth=1
	ds_load_b32 v30, v51 offset:15072
	ds_load_b32 v31, v54
	s_wait_dscnt 0x0
	v_fmac_f32_e32 v24, v30, v31
.LBB104_1005:                           ;   in Loop: Header=BB104_3 Depth=1
	s_or_b32 exec_lo, exec_lo, s43
	s_barrier_signal -1
	s_barrier_wait -1
	s_and_saveexec_b32 s43, vcc_hi
; %bb.1006:                             ;   in Loop: Header=BB104_3 Depth=1
	ds_store_b32 v54, v24
; %bb.1007:                             ;   in Loop: Header=BB104_3 Depth=1
	s_or_b32 exec_lo, exec_lo, s43
	s_wait_dscnt 0x0
	s_barrier_signal -1
	s_barrier_wait -1
	s_and_saveexec_b32 s43, s31
	s_cbranch_execz .LBB104_1009
; %bb.1008:                             ;   in Loop: Header=BB104_3 Depth=1
	ds_load_b32 v30, v51 offset:15328
	ds_load_b32 v31, v54
	s_wait_dscnt 0x0
	v_fmac_f32_e32 v24, v30, v31
.LBB104_1009:                           ;   in Loop: Header=BB104_3 Depth=1
	s_or_b32 exec_lo, exec_lo, s43
	s_barrier_signal -1
	s_barrier_wait -1
	s_and_saveexec_b32 s43, s33
; %bb.1010:                             ;   in Loop: Header=BB104_3 Depth=1
	ds_store_b32 v54, v24
; %bb.1011:                             ;   in Loop: Header=BB104_3 Depth=1
	s_or_b32 exec_lo, exec_lo, s43
	s_wait_dscnt 0x0
	s_barrier_signal -1
	s_barrier_wait -1
	s_and_saveexec_b32 s43, s34
	s_cbranch_execz .LBB104_1013
; %bb.1012:                             ;   in Loop: Header=BB104_3 Depth=1
	ds_load_b32 v30, v51 offset:15584
	ds_load_b32 v31, v54
	s_wait_dscnt 0x0
	v_fmac_f32_e32 v24, v30, v31
.LBB104_1013:                           ;   in Loop: Header=BB104_3 Depth=1
	s_or_b32 exec_lo, exec_lo, s43
	s_barrier_signal -1
	s_barrier_wait -1
	s_and_saveexec_b32 s43, s35
	;; [unrolled: 19-line block ×4, first 2 shown]
; %bb.1022:                             ;   in Loop: Header=BB104_3 Depth=1
	ds_store_b32 v54, v24
; %bb.1023:                             ;   in Loop: Header=BB104_3 Depth=1
	s_or_b32 exec_lo, exec_lo, s43
	s_wait_dscnt 0x0
	s_barrier_signal -1
	s_barrier_wait -1
	s_barrier_signal -1
	s_barrier_wait -1
	s_and_saveexec_b32 s43, s5
; %bb.1024:                             ;   in Loop: Header=BB104_3 Depth=1
	v_xor_b32_e32 v24, 0x80000000, v24
	ds_store_b32 v55, v24 offset:12512
; %bb.1025:                             ;   in Loop: Header=BB104_3 Depth=1
	s_or_b32 exec_lo, exec_lo, s43
	s_wait_dscnt 0x0
	s_barrier_signal -1
	s_barrier_wait -1
	s_barrier_signal -1
	s_barrier_wait -1
	s_and_saveexec_b32 s43, s39
	s_cbranch_execz .LBB104_1027
; %bb.1026:                             ;   in Loop: Header=BB104_3 Depth=1
	ds_load_b32 v24, v42 offset:12512
	s_wait_dscnt 0x0
	ds_store_b32 v46, v24 offset:14528
	ds_load_b32 v24, v42 offset:12516
	s_wait_dscnt 0x0
	ds_store_b32 v46, v24 offset:14784
	;; [unrolled: 3-line block ×8, first 2 shown]
.LBB104_1027:                           ;   in Loop: Header=BB104_3 Depth=1
	s_or_b32 exec_lo, exec_lo, s43
	s_wait_dscnt 0x0
	s_barrier_signal -1
	s_barrier_wait -1
	s_and_saveexec_b32 s43, s11
	s_cbranch_execz .LBB104_1029
; %bb.1028:                             ;   in Loop: Header=BB104_3 Depth=1
	ds_load_b32 v24, v7 offset:14564
	ds_store_b32 v7, v25 offset:14560
	s_wait_dscnt 0x1
	ds_store_b64 v7, v[24:25] offset:14816
.LBB104_1029:                           ;   in Loop: Header=BB104_3 Depth=1
	s_or_b32 exec_lo, exec_lo, s43
	v_mov_b32_e32 v24, 0
	s_wait_dscnt 0x0
	s_barrier_signal -1
	s_barrier_wait -1
	s_and_saveexec_b32 s43, s2
	s_cbranch_execz .LBB104_1033
; %bb.1030:                             ;   in Loop: Header=BB104_3 Depth=1
	ds_load_b32 v24, v39 offset:14568
	ds_load_b32 v30, v40 offset:14560
	s_wait_dscnt 0x0
	v_fma_f32 v24, v24, v30, 0
	s_and_saveexec_b32 s44, s12
	s_cbranch_execz .LBB104_1032
; %bb.1031:                             ;   in Loop: Header=BB104_3 Depth=1
	ds_load_b32 v30, v46 offset:14824
	ds_load_b32 v31, v7 offset:14564
	s_wait_dscnt 0x0
	v_fmac_f32_e32 v24, v30, v31
.LBB104_1032:                           ;   in Loop: Header=BB104_3 Depth=1
	s_or_b32 exec_lo, exec_lo, s44
	s_delay_alu instid0(VALU_DEP_1)
	v_xor_b32_e32 v24, 0x80000000, v24
.LBB104_1033:                           ;   in Loop: Header=BB104_3 Depth=1
	s_or_b32 exec_lo, exec_lo, s43
	s_and_saveexec_b32 s43, s89
; %bb.1034:                             ;   in Loop: Header=BB104_3 Depth=1
	ds_store_b32 v37, v24
; %bb.1035:                             ;   in Loop: Header=BB104_3 Depth=1
	s_or_b32 exec_lo, exec_lo, s43
	s_wait_dscnt 0x0
	s_barrier_signal -1
	s_barrier_wait -1
	s_and_saveexec_b32 s43, s90
	s_cbranch_execz .LBB104_1037
; %bb.1036:                             ;   in Loop: Header=BB104_3 Depth=1
	ds_load_b32 v30, v7 offset:15084
	ds_load_b32 v31, v37
	s_wait_dscnt 0x0
	v_fmac_f32_e32 v24, v30, v31
.LBB104_1037:                           ;   in Loop: Header=BB104_3 Depth=1
	s_or_b32 exec_lo, exec_lo, s43
	s_barrier_signal -1
	s_barrier_wait -1
	s_and_saveexec_b32 s43, s90
; %bb.1038:                             ;   in Loop: Header=BB104_3 Depth=1
	ds_store_b32 v37, v24
; %bb.1039:                             ;   in Loop: Header=BB104_3 Depth=1
	s_or_b32 exec_lo, exec_lo, s43
	s_wait_dscnt 0x0
	s_barrier_signal -1
	s_barrier_wait -1
	s_barrier_signal -1
	s_barrier_wait -1
	s_and_saveexec_b32 s43, s2
; %bb.1040:                             ;   in Loop: Header=BB104_3 Depth=1
	v_xor_b32_e32 v24, 0x80000000, v24
	ds_store_b32 v39, v24 offset:14568
; %bb.1041:                             ;   in Loop: Header=BB104_3 Depth=1
	s_or_b32 exec_lo, exec_lo, s43
	s_wait_dscnt 0x0
	s_barrier_signal -1
	s_barrier_wait -1
	s_barrier_signal -1
	s_barrier_wait -1
	s_and_saveexec_b32 s43, s91
	s_cbranch_execz .LBB104_1043
; %bb.1042:                             ;   in Loop: Header=BB104_3 Depth=1
	ds_load_b32 v24, v50 offset:14568
	s_wait_dscnt 0x0
	ds_store_b32 v46, v24 offset:15072
	ds_load_b32 v24, v50 offset:14572
	s_wait_dscnt 0x0
	ds_store_b32 v46, v24 offset:15328
.LBB104_1043:                           ;   in Loop: Header=BB104_3 Depth=1
	s_or_b32 exec_lo, exec_lo, s43
	s_wait_dscnt 0x0
	s_barrier_signal -1
	s_barrier_wait -1
	s_and_saveexec_b32 s43, s11
	s_cbranch_execz .LBB104_1045
; %bb.1044:                             ;   in Loop: Header=BB104_3 Depth=1
	ds_load_b32 v24, v7 offset:15084
	ds_store_b32 v7, v25 offset:15080
	s_wait_dscnt 0x1
	ds_store_b64 v7, v[24:25] offset:15336
.LBB104_1045:                           ;   in Loop: Header=BB104_3 Depth=1
	s_or_b32 exec_lo, exec_lo, s43
	v_mov_b32_e32 v24, 0
	s_wait_dscnt 0x0
	s_barrier_signal -1
	s_barrier_wait -1
	s_and_saveexec_b32 s43, s4
	s_cbranch_execz .LBB104_1051
; %bb.1046:                             ;   in Loop: Header=BB104_3 Depth=1
	ds_load_b32 v24, v48 offset:14576
	ds_load_b32 v30, v41 offset:14560
	s_wait_dscnt 0x0
	v_fma_f32 v24, v24, v30, 0
	s_and_saveexec_b32 s44, s13
	s_cbranch_execnz .LBB104_1223
; %bb.1047:                             ;   in Loop: Header=BB104_3 Depth=1
	s_or_b32 exec_lo, exec_lo, s44
	s_and_saveexec_b32 s44, s14
	s_cbranch_execnz .LBB104_1224
.LBB104_1048:                           ;   in Loop: Header=BB104_3 Depth=1
	s_or_b32 exec_lo, exec_lo, s44
	s_and_saveexec_b32 s44, s2
	s_cbranch_execz .LBB104_1050
.LBB104_1049:                           ;   in Loop: Header=BB104_3 Depth=1
	ds_load_b32 v30, v53 offset:15344
	ds_load_b32 v31, v7 offset:14572
	s_wait_dscnt 0x0
	v_fmac_f32_e32 v24, v30, v31
.LBB104_1050:                           ;   in Loop: Header=BB104_3 Depth=1
	s_or_b32 exec_lo, exec_lo, s44
	s_delay_alu instid0(VALU_DEP_1)
	v_xor_b32_e32 v24, 0x80000000, v24
.LBB104_1051:                           ;   in Loop: Header=BB104_3 Depth=1
	s_or_b32 exec_lo, exec_lo, s43
	s_and_saveexec_b32 s43, s92
; %bb.1052:                             ;   in Loop: Header=BB104_3 Depth=1
	ds_store_b32 v47, v24
; %bb.1053:                             ;   in Loop: Header=BB104_3 Depth=1
	s_or_b32 exec_lo, exec_lo, s43
	s_wait_dscnt 0x0
	s_barrier_signal -1
	s_barrier_wait -1
	s_and_saveexec_b32 s43, s93
	s_cbranch_execz .LBB104_1055
; %bb.1054:                             ;   in Loop: Header=BB104_3 Depth=1
	ds_load_b32 v30, v45 offset:15600
	ds_load_b32 v31, v47
	s_wait_dscnt 0x0
	v_fmac_f32_e32 v24, v30, v31
.LBB104_1055:                           ;   in Loop: Header=BB104_3 Depth=1
	s_or_b32 exec_lo, exec_lo, s43
	s_barrier_signal -1
	s_barrier_wait -1
	s_and_saveexec_b32 s43, s94
; %bb.1056:                             ;   in Loop: Header=BB104_3 Depth=1
	ds_store_b32 v47, v24
; %bb.1057:                             ;   in Loop: Header=BB104_3 Depth=1
	s_or_b32 exec_lo, exec_lo, s43
	s_wait_dscnt 0x0
	s_barrier_signal -1
	s_barrier_wait -1
	s_and_saveexec_b32 s43, s95
	s_cbranch_execz .LBB104_1059
; %bb.1058:                             ;   in Loop: Header=BB104_3 Depth=1
	ds_load_b32 v30, v45 offset:15856
	ds_load_b32 v31, v47
	s_wait_dscnt 0x0
	v_fmac_f32_e32 v24, v30, v31
.LBB104_1059:                           ;   in Loop: Header=BB104_3 Depth=1
	s_or_b32 exec_lo, exec_lo, s43
	s_barrier_signal -1
	s_barrier_wait -1
	;; [unrolled: 19-line block ×3, first 2 shown]
	s_and_saveexec_b32 s43, s97
; %bb.1064:                             ;   in Loop: Header=BB104_3 Depth=1
	ds_store_b32 v47, v24
; %bb.1065:                             ;   in Loop: Header=BB104_3 Depth=1
	s_or_b32 exec_lo, exec_lo, s43
	s_wait_dscnt 0x0
	s_barrier_signal -1
	s_barrier_wait -1
	s_barrier_signal -1
	s_barrier_wait -1
	s_and_saveexec_b32 s43, s4
; %bb.1066:                             ;   in Loop: Header=BB104_3 Depth=1
	v_xor_b32_e32 v24, 0x80000000, v24
	ds_store_b32 v48, v24 offset:14576
; %bb.1067:                             ;   in Loop: Header=BB104_3 Depth=1
	s_or_b32 exec_lo, exec_lo, s43
	s_wait_dscnt 0x0
	s_barrier_signal -1
	s_barrier_wait -1
	s_barrier_signal -1
	s_barrier_wait -1
	s_and_saveexec_b32 s43, s98
	s_cbranch_execz .LBB104_1069
; %bb.1068:                             ;   in Loop: Header=BB104_3 Depth=1
	ds_load_b32 v24, v56 offset:14576
	s_wait_dscnt 0x0
	ds_store_b32 v59, v24 offset:15584
	ds_load_b32 v24, v56 offset:14580
	s_wait_dscnt 0x0
	ds_store_b32 v59, v24 offset:15840
	ds_load_b32 v24, v56 offset:14584
	s_wait_dscnt 0x0
	ds_store_b32 v59, v24 offset:16096
	ds_load_b32 v24, v56 offset:14588
	s_wait_dscnt 0x0
	ds_store_b32 v59, v24 offset:16352
.LBB104_1069:                           ;   in Loop: Header=BB104_3 Depth=1
	s_or_b32 exec_lo, exec_lo, s43
	s_wait_dscnt 0x0
	s_barrier_signal -1
	s_barrier_wait -1
	s_and_saveexec_b32 s43, s11
	s_cbranch_execz .LBB104_1071
; %bb.1070:                             ;   in Loop: Header=BB104_3 Depth=1
	ds_load_b32 v24, v7 offset:15604
	ds_store_b32 v7, v25 offset:15600
	s_wait_dscnt 0x1
	ds_store_b64 v7, v[24:25] offset:15856
.LBB104_1071:                           ;   in Loop: Header=BB104_3 Depth=1
	s_or_b32 exec_lo, exec_lo, s43
	v_mov_b32_e32 v24, 0
	s_wait_dscnt 0x0
	s_barrier_signal -1
	s_barrier_wait -1
	s_and_saveexec_b32 s43, s2
	s_cbranch_execz .LBB104_1075
; %bb.1072:                             ;   in Loop: Header=BB104_3 Depth=1
	ds_load_b32 v24, v39 offset:15608
	ds_load_b32 v30, v40 offset:15600
	s_wait_dscnt 0x0
	v_fma_f32 v24, v24, v30, 0
	s_and_saveexec_b32 s44, s12
	s_cbranch_execz .LBB104_1074
; %bb.1073:                             ;   in Loop: Header=BB104_3 Depth=1
	ds_load_b32 v30, v59 offset:15864
	ds_load_b32 v31, v7 offset:15604
	s_wait_dscnt 0x0
	v_fmac_f32_e32 v24, v30, v31
.LBB104_1074:                           ;   in Loop: Header=BB104_3 Depth=1
	s_or_b32 exec_lo, exec_lo, s44
	s_delay_alu instid0(VALU_DEP_1)
	v_xor_b32_e32 v24, 0x80000000, v24
.LBB104_1075:                           ;   in Loop: Header=BB104_3 Depth=1
	s_or_b32 exec_lo, exec_lo, s43
	s_and_saveexec_b32 s43, s89
; %bb.1076:                             ;   in Loop: Header=BB104_3 Depth=1
	ds_store_b32 v37, v24
; %bb.1077:                             ;   in Loop: Header=BB104_3 Depth=1
	s_or_b32 exec_lo, exec_lo, s43
	s_wait_dscnt 0x0
	s_barrier_signal -1
	s_barrier_wait -1
	s_and_saveexec_b32 s43, s90
	s_cbranch_execz .LBB104_1079
; %bb.1078:                             ;   in Loop: Header=BB104_3 Depth=1
	ds_load_b32 v30, v7 offset:16124
	ds_load_b32 v31, v37
	s_wait_dscnt 0x0
	v_fmac_f32_e32 v24, v30, v31
.LBB104_1079:                           ;   in Loop: Header=BB104_3 Depth=1
	s_or_b32 exec_lo, exec_lo, s43
	s_barrier_signal -1
	s_barrier_wait -1
	s_and_saveexec_b32 s43, s90
; %bb.1080:                             ;   in Loop: Header=BB104_3 Depth=1
	ds_store_b32 v37, v24
; %bb.1081:                             ;   in Loop: Header=BB104_3 Depth=1
	s_or_b32 exec_lo, exec_lo, s43
	s_wait_dscnt 0x0
	s_barrier_signal -1
	s_barrier_wait -1
	s_barrier_signal -1
	s_barrier_wait -1
	s_and_saveexec_b32 s43, s2
; %bb.1082:                             ;   in Loop: Header=BB104_3 Depth=1
	v_xor_b32_e32 v24, 0x80000000, v24
	ds_store_b32 v39, v24 offset:15608
; %bb.1083:                             ;   in Loop: Header=BB104_3 Depth=1
	s_or_b32 exec_lo, exec_lo, s43
	s_wait_dscnt 0x0
	s_barrier_signal -1
	s_barrier_wait -1
	s_barrier_signal -1
	s_barrier_wait -1
	s_and_saveexec_b32 s43, s91
	s_cbranch_execz .LBB104_1085
; %bb.1084:                             ;   in Loop: Header=BB104_3 Depth=1
	v_add_nc_u32_e32 v24, v59, v44
	ds_load_b32 v30, v24 offset:15608
	s_wait_dscnt 0x0
	ds_store_b32 v59, v30 offset:16112
	ds_load_b32 v24, v24 offset:15612
	s_wait_dscnt 0x0
	ds_store_b32 v59, v24 offset:16368
.LBB104_1085:                           ;   in Loop: Header=BB104_3 Depth=1
	s_or_b32 exec_lo, exec_lo, s43
	s_wait_dscnt 0x0
	s_barrier_signal -1
	s_barrier_wait -1
	s_and_saveexec_b32 s43, s11
	s_cbranch_execz .LBB104_1087
; %bb.1086:                             ;   in Loop: Header=BB104_3 Depth=1
	ds_load_b32 v24, v7 offset:16124
	ds_store_b32 v7, v25 offset:16120
	s_wait_dscnt 0x1
	ds_store_b64 v7, v[24:25] offset:16376
.LBB104_1087:                           ;   in Loop: Header=BB104_3 Depth=1
	s_or_b32 exec_lo, exec_lo, s43
.LBB104_1088:                           ;   in Loop: Header=BB104_3 Depth=1
	v_add_nc_u64_e32 v[28:29], s[68:69], v[28:29]
	s_wait_xcnt 0x1
	v_mov_b32_e32 v24, 0
	s_wait_dscnt 0x0
	s_barrier_signal -1
	s_barrier_wait -1
	s_wait_xcnt 0x0
	s_and_saveexec_b32 s43, s40
	s_cbranch_execz .LBB104_1090
; %bb.1089:                             ;   in Loop: Header=BB104_3 Depth=1
	v_lshl_add_u64 v[30:31], v[0:1], 2, v[28:29]
	flat_load_b32 v24, v[30:31]
	s_wait_loadcnt_dscnt 0x0
	v_mul_f32_e64 v24, v24, -v87
.LBB104_1090:                           ;   in Loop: Header=BB104_3 Depth=1
	s_or_b32 exec_lo, exec_lo, s43
	s_delay_alu instid0(SALU_CYCLE_1)
	s_and_not1_b32 vcc_lo, exec_lo, s41
	s_cbranch_vccnz .LBB104_1116
; %bb.1091:                             ;   in Loop: Header=BB104_3 Depth=1
	v_mov_b32_e32 v87, -1
	s_lshl_b64 s[44:45], s[62:63], 2
	s_mov_b32 s43, 0
	s_add_nc_u64 s[82:83], s[78:79], s[44:45]
	s_branch .LBB104_1094
.LBB104_1092:                           ;   in Loop: Header=BB104_1094 Depth=2
	s_wait_xcnt 0x0
	ds_load_b32 v30, v71 offset:192
	s_wait_loadcnt_dscnt 0x0
	v_fmac_f32_e32 v24, v32, v30
.LBB104_1093:                           ;   in Loop: Header=BB104_1094 Depth=2
	s_or_b32 exec_lo, exec_lo, s44
	s_add_co_i32 s43, s43, 1
	s_delay_alu instid0(SALU_CYCLE_1)
	s_cmp_eq_u32 s43, s84
	s_cbranch_scc1 .LBB104_1116
.LBB104_1094:                           ;   Parent Loop BB104_3 Depth=1
                                        ; =>  This Loop Header: Depth=2
                                        ;       Child Loop BB104_1096 Depth 3
	v_cmp_gt_i32_e32 vcc_lo, s43, v87
	s_and_b32 s45, s55, vcc_lo
	s_delay_alu instid0(SALU_CYCLE_1)
	s_and_saveexec_b32 s44, s45
	s_cbranch_execz .LBB104_1097
; %bb.1095:                             ;   in Loop: Header=BB104_1094 Depth=2
	global_load_b32 v87, v7, s[82:83]
	s_wait_loadcnt 0x0
	v_cmp_le_i32_e32 vcc_lo, s43, v87
	s_cbranch_vccnz .LBB104_1097
.LBB104_1096:                           ;   Parent Loop BB104_3 Depth=1
                                        ;     Parent Loop BB104_1094 Depth=2
                                        ; =>    This Inner Loop Header: Depth=3
	global_wb scope:SCOPE_DEV
	s_wait_storecnt 0x0
	global_inv scope:SCOPE_DEV
	global_load_b32 v87, v7, s[82:83]
	s_wait_loadcnt 0x0
	v_cmp_gt_i32_e32 vcc_lo, s43, v87
	s_cbranch_vccnz .LBB104_1096
.LBB104_1097:                           ;   in Loop: Header=BB104_1094 Depth=2
	s_or_b32 exec_lo, exec_lo, s44
	s_sub_co_i32 s44, s85, s43
	global_wb scope:SCOPE_DEV
	s_wait_storecnt 0x0
	global_inv scope:SCOPE_DEV
	s_lshl_b32 s45, s44, 6
	s_wait_loadcnt 0x0
	s_barrier_signal -1
	s_barrier_wait -1
	s_and_saveexec_b32 s46, s56
	s_cbranch_execz .LBB104_1101
; %bb.1098:                             ;   in Loop: Header=BB104_1094 Depth=2
	s_ashr_i32 s47, s45, 31
	s_delay_alu instid0(SALU_CYCLE_1) | instskip(SKIP_2) | instid1(VALU_DEP_1)
	v_dual_mov_b32 v32, 0 :: v_dual_mov_b32 v31, s47
	v_or_b32_e32 v30, s45, v8
	s_mov_b32 s47, exec_lo
	v_cmpx_gt_i64_e64 s[76:77], v[30:31]
	s_cbranch_execz .LBB104_1100
; %bb.1099:                             ;   in Loop: Header=BB104_1094 Depth=2
	v_mul_u64_e32 v[30:31], s[70:71], v[30:31]
	s_delay_alu instid0(VALU_DEP_1)
	v_lshl_add_u64 v[30:31], v[30:31], 2, v[28:29]
	flat_load_b32 v32, v[30:31]
.LBB104_1100:                           ;   in Loop: Header=BB104_1094 Depth=2
	s_wait_xcnt 0x0
	s_or_b32 exec_lo, exec_lo, s47
	s_wait_loadcnt_dscnt 0x0
	ds_store_b32 v70, v32
.LBB104_1101:                           ;   in Loop: Header=BB104_1094 Depth=2
	s_or_b32 exec_lo, exec_lo, s46
	v_add_nc_u32_e32 v32, s45, v2
	s_cmp_lg_u32 s44, s42
	s_wait_dscnt 0x0
	s_cselect_b32 s45, -1, 0
	s_barrier_signal -1
	v_ashrrev_i32_e32 v33, 31, v32
	v_cmp_gt_i32_e32 vcc_lo, s76, v32
	s_barrier_wait -1
	s_delay_alu instid0(VALU_DEP_2) | instskip(SKIP_2) | instid1(SALU_CYCLE_1)
	v_lshl_add_u64 v[30:31], v[32:33], 2, v[26:27]
	v_cndmask_b32_e64 v33, 0, 1, s45
	s_and_b32 s46, vcc_lo, s0
	s_and_saveexec_b32 s44, s46
	s_cbranch_execz .LBB104_1105
; %bb.1102:                             ;   in Loop: Header=BB104_1094 Depth=2
	v_mov_b32_e32 v88, v83
	s_and_not1_b32 vcc_lo, exec_lo, s45
	s_cbranch_vccnz .LBB104_1104
; %bb.1103:                             ;   in Loop: Header=BB104_1094 Depth=2
	flat_load_b32 v88, v[30:31]
.LBB104_1104:                           ;   in Loop: Header=BB104_1094 Depth=2
	ds_load_b32 v89, v71
	s_wait_loadcnt_dscnt 0x0
	v_fmac_f32_e32 v24, v88, v89
.LBB104_1105:                           ;   in Loop: Header=BB104_1094 Depth=2
	s_or_b32 exec_lo, exec_lo, s44
	v_add_nc_u32_e32 v88, 16, v32
	s_delay_alu instid0(VALU_DEP_1) | instskip(SKIP_1) | instid1(SALU_CYCLE_1)
	v_cmp_gt_i32_e32 vcc_lo, s76, v88
	s_and_b32 s45, vcc_lo, s0
	s_and_saveexec_b32 s44, s45
	s_cbranch_execz .LBB104_1109
; %bb.1106:                             ;   in Loop: Header=BB104_1094 Depth=2
	v_cmp_ne_u32_e32 vcc_lo, 1, v33
	v_mov_b32_e32 v88, v84
	s_cbranch_vccnz .LBB104_1108
; %bb.1107:                             ;   in Loop: Header=BB104_1094 Depth=2
	flat_load_b32 v88, v[30:31] offset:64
.LBB104_1108:                           ;   in Loop: Header=BB104_1094 Depth=2
	ds_load_b32 v89, v71 offset:64
	s_wait_loadcnt_dscnt 0x0
	v_fmac_f32_e32 v24, v88, v89
.LBB104_1109:                           ;   in Loop: Header=BB104_1094 Depth=2
	s_or_b32 exec_lo, exec_lo, s44
	v_add_nc_u32_e32 v88, 32, v32
	s_delay_alu instid0(VALU_DEP_1) | instskip(SKIP_1) | instid1(SALU_CYCLE_1)
	v_cmp_gt_i32_e32 vcc_lo, s76, v88
	s_and_b32 s45, vcc_lo, s0
	s_and_saveexec_b32 s44, s45
	s_cbranch_execz .LBB104_1113
; %bb.1110:                             ;   in Loop: Header=BB104_1094 Depth=2
	v_cmp_ne_u32_e32 vcc_lo, 1, v33
	v_mov_b32_e32 v88, v85
	s_cbranch_vccnz .LBB104_1112
; %bb.1111:                             ;   in Loop: Header=BB104_1094 Depth=2
	flat_load_b32 v88, v[30:31] offset:128
.LBB104_1112:                           ;   in Loop: Header=BB104_1094 Depth=2
	ds_load_b32 v89, v71 offset:128
	s_wait_loadcnt_dscnt 0x0
	v_fmac_f32_e32 v24, v88, v89
.LBB104_1113:                           ;   in Loop: Header=BB104_1094 Depth=2
	s_or_b32 exec_lo, exec_lo, s44
	v_add_nc_u32_e32 v32, 48, v32
	s_delay_alu instid0(VALU_DEP_1) | instskip(SKIP_1) | instid1(SALU_CYCLE_1)
	v_cmp_gt_i32_e32 vcc_lo, s76, v32
	s_and_b32 s45, vcc_lo, s0
	s_and_saveexec_b32 s44, s45
	s_cbranch_execz .LBB104_1093
; %bb.1114:                             ;   in Loop: Header=BB104_1094 Depth=2
	v_cmp_ne_u32_e32 vcc_lo, 1, v33
	v_mov_b32_e32 v32, v86
	s_cbranch_vccnz .LBB104_1092
; %bb.1115:                             ;   in Loop: Header=BB104_1094 Depth=2
	flat_load_b32 v32, v[30:31] offset:192
	s_branch .LBB104_1092
.LBB104_1116:                           ;   in Loop: Header=BB104_3 Depth=1
	ds_store_b32 v72, v24
	s_wait_dscnt 0x0
	s_barrier_signal -1
	s_barrier_wait -1
	s_and_saveexec_b32 s43, s3
	s_cbranch_execz .LBB104_1118
; %bb.1117:                             ;   in Loop: Header=BB104_3 Depth=1
	ds_load_2addr_stride64_b32 v[26:27], v73 offset0:1 offset1:2
	ds_load_2addr_stride64_b32 v[30:31], v73 offset0:3 offset1:4
	ds_load_2addr_stride64_b32 v[32:33], v73 offset0:5 offset1:6
	ds_load_2addr_stride64_b32 v[88:89], v73 offset0:7 offset1:8
	v_readlane_b32 s44, v93, 8
	s_wait_dscnt 0x3
	v_add_f32_e32 v24, v24, v26
	s_delay_alu instid0(VALU_DEP_1) | instskip(SKIP_3) | instid1(VALU_DEP_1)
	v_add_f32_e32 v24, v24, v27
	ds_load_2addr_stride64_b32 v[26:27], v73 offset0:9 offset1:10
	s_wait_dscnt 0x3
	v_add_f32_e32 v24, v24, v30
	v_add_f32_e32 v24, v24, v31
	ds_load_2addr_stride64_b32 v[30:31], v73 offset0:11 offset1:12
	s_wait_dscnt 0x3
	v_add_f32_e32 v24, v24, v32
	s_delay_alu instid0(VALU_DEP_1) | instskip(SKIP_4) | instid1(VALU_DEP_1)
	v_add_f32_e32 v24, v24, v33
	ds_load_2addr_stride64_b32 v[32:33], v73 offset0:13 offset1:14
	ds_load_b32 v87, v73 offset:3840
	s_wait_dscnt 0x4
	v_add_f32_e32 v24, v24, v88
	v_add_f32_e32 v24, v24, v89
	s_wait_dscnt 0x3
	s_delay_alu instid0(VALU_DEP_1) | instskip(NEXT) | instid1(VALU_DEP_1)
	v_add_f32_e32 v24, v24, v26
	v_add_f32_e32 v24, v24, v27
	s_wait_dscnt 0x2
	s_delay_alu instid0(VALU_DEP_1) | instskip(NEXT) | instid1(VALU_DEP_1)
	;; [unrolled: 4-line block ×4, first 2 shown]
	v_add_f32_e32 v24, v24, v87
	v_cndmask_b32_e64 v24, -v24, 0, s44
.LBB104_1118:                           ;   in Loop: Header=BB104_3 Depth=1
	s_or_b32 exec_lo, exec_lo, s43
	s_delay_alu instid0(SALU_CYCLE_1)
	s_and_not1_b32 vcc_lo, exec_lo, s88
	s_cbranch_vccnz .LBB104_1128
; %bb.1119:                             ;   in Loop: Header=BB104_3 Depth=1
	s_and_saveexec_b32 s43, s3
; %bb.1120:                             ;   in Loop: Header=BB104_3 Depth=1
	ds_store_b32 v75, v24
; %bb.1121:                             ;   in Loop: Header=BB104_3 Depth=1
	s_or_b32 exec_lo, exec_lo, s43
	v_mov_b32_e32 v26, 0
	s_wait_dscnt 0x0
	s_barrier_signal -1
	s_barrier_wait -1
	s_and_saveexec_b32 s43, s1
	s_cbranch_execnz .LBB104_1168
; %bb.1122:                             ;   in Loop: Header=BB104_3 Depth=1
	s_or_b32 exec_lo, exec_lo, s43
	s_and_saveexec_b32 s43, s8
	s_cbranch_execnz .LBB104_1169
.LBB104_1123:                           ;   in Loop: Header=BB104_3 Depth=1
	s_or_b32 exec_lo, exec_lo, s43
	s_and_saveexec_b32 s43, s9
	s_cbranch_execnz .LBB104_1170
.LBB104_1124:                           ;   in Loop: Header=BB104_3 Depth=1
	s_or_b32 exec_lo, exec_lo, s43
	s_and_saveexec_b32 s43, s10
	s_cbranch_execz .LBB104_1126
.LBB104_1125:                           ;   in Loop: Header=BB104_3 Depth=1
	ds_load_b32 v27, v74 offset:12288
	ds_load_b32 v30, v71 offset:192
	s_wait_dscnt 0x0
	v_fmac_f32_e32 v26, v27, v30
.LBB104_1126:                           ;   in Loop: Header=BB104_3 Depth=1
	s_or_b32 exec_lo, exec_lo, s43
	s_mov_b32 s43, 0
	s_mov_b32 s82, 0
	ds_store_b32 v72, v26
	s_wait_dscnt 0x0
	s_barrier_signal -1
	s_barrier_wait -1
                                        ; implicit-def: $vgpr27
	s_and_saveexec_b32 s83, s3
	s_cbranch_execz .LBB104_1171
; %bb.1127:                             ;   in Loop: Header=BB104_3 Depth=1
	ds_load_2addr_stride64_b32 v[30:31], v73 offset0:1 offset1:2
	ds_load_2addr_stride64_b32 v[32:33], v73 offset0:3 offset1:4
	;; [unrolled: 1-line block ×4, first 2 shown]
	s_mov_b32 s82, exec_lo
	s_wait_dscnt 0x3
	v_add_f32_e32 v26, v26, v30
	s_delay_alu instid0(VALU_DEP_1) | instskip(SKIP_1) | instid1(VALU_DEP_1)
	v_add_f32_e32 v26, v31, v26
	s_wait_dscnt 0x2
	v_add_f32_e32 v26, v32, v26
	s_delay_alu instid0(VALU_DEP_1) | instskip(SKIP_1) | instid1(VALU_DEP_1)
	v_add_f32_e32 v26, v33, v26
	s_wait_dscnt 0x1
	v_add_f32_e32 v30, v88, v26
	ds_load_2addr_stride64_b32 v[26:27], v73 offset0:9 offset1:10
	v_add_f32_e32 v30, v89, v30
	s_wait_dscnt 0x1
	s_delay_alu instid0(VALU_DEP_1)
	v_add_f32_e32 v32, v90, v30
	ds_load_2addr_stride64_b32 v[30:31], v73 offset0:11 offset1:12
	v_add_f32_e32 v87, v91, v32
	ds_load_2addr_stride64_b32 v[32:33], v73 offset0:13 offset1:14
	ds_load_b32 v88, v73 offset:3840
	s_wait_dscnt 0x3
	v_add_f32_e32 v26, v26, v87
	s_delay_alu instid0(VALU_DEP_1) | instskip(SKIP_1) | instid1(VALU_DEP_1)
	v_add_f32_e32 v26, v27, v26
	s_wait_dscnt 0x2
	v_add_f32_e32 v26, v30, v26
	s_delay_alu instid0(VALU_DEP_1) | instskip(SKIP_1) | instid1(VALU_DEP_1)
	v_add_f32_e32 v26, v31, v26
	;; [unrolled: 4-line block ×3, first 2 shown]
	s_wait_dscnt 0x0
	v_add_f32_e32 v27, v88, v26
	s_or_b32 exec_lo, exec_lo, s83
	s_delay_alu instid0(SALU_CYCLE_1)
	s_and_b32 vcc_lo, exec_lo, s43
	s_cbranch_vccnz .LBB104_1129
	s_branch .LBB104_1172
.LBB104_1128:                           ;   in Loop: Header=BB104_3 Depth=1
	s_mov_b32 s82, 0
                                        ; implicit-def: $vgpr27
	s_cbranch_execz .LBB104_1172
.LBB104_1129:                           ;   in Loop: Header=BB104_3 Depth=1
	v_dual_mov_b32 v26, v82 :: v_dual_mov_b32 v27, v81
	s_mov_b32 s43, 63
	s_branch .LBB104_1131
.LBB104_1130:                           ;   in Loop: Header=BB104_1131 Depth=2
	s_or_b32 exec_lo, exec_lo, s45
	v_add_nc_u32_e32 v27, 0xfffffc00, v27
	v_add_nc_u32_e32 v26, 4, v26
	s_add_co_i32 s43, s43, -4
	s_cmp_lg_u32 s44, 0
	s_barrier_signal -1
	s_barrier_wait -1
	s_cbranch_scc0 .LBB104_1147
.LBB104_1131:                           ;   Parent Loop BB104_3 Depth=1
                                        ; =>  This Inner Loop Header: Depth=2
	s_delay_alu instid0(VALU_DEP_1) | instskip(SKIP_1) | instid1(SALU_CYCLE_1)
	v_cmp_eq_u32_e32 vcc_lo, 0, v26
	s_and_b32 s45, s3, vcc_lo
	s_and_saveexec_b32 s44, s45
; %bb.1132:                             ;   in Loop: Header=BB104_1131 Depth=2
	ds_store_b32 v7, v24 offset:20736
; %bb.1133:                             ;   in Loop: Header=BB104_1131 Depth=2
	s_or_b32 exec_lo, exec_lo, s44
	v_cmp_gt_u32_e32 vcc_lo, s43, v4
	s_wait_dscnt 0x0
	s_barrier_signal -1
	s_barrier_wait -1
	s_and_b32 s45, s3, vcc_lo
	s_delay_alu instid0(SALU_CYCLE_1)
	s_and_saveexec_b32 s44, s45
	s_cbranch_execz .LBB104_1135
; %bb.1134:                             ;   in Loop: Header=BB104_1131 Depth=2
	ds_load_b32 v30, v27 offset:768
	ds_load_b32 v31, v7 offset:20736
	s_wait_dscnt 0x0
	v_fmac_f32_e32 v24, v30, v31
.LBB104_1135:                           ;   in Loop: Header=BB104_1131 Depth=2
	s_or_b32 exec_lo, exec_lo, s44
	s_add_co_i32 s44, s43, -1
	s_delay_alu instid0(SALU_CYCLE_1) | instskip(SKIP_3) | instid1(SALU_CYCLE_1)
	v_cmp_eq_u32_e32 vcc_lo, s44, v4
	s_barrier_signal -1
	s_barrier_wait -1
	s_and_b32 s46, s3, vcc_lo
	s_and_saveexec_b32 s45, s46
; %bb.1136:                             ;   in Loop: Header=BB104_1131 Depth=2
	ds_store_b32 v7, v24 offset:20736
; %bb.1137:                             ;   in Loop: Header=BB104_1131 Depth=2
	s_or_b32 exec_lo, exec_lo, s45
	v_cmp_gt_u32_e32 vcc_lo, s44, v4
	s_wait_dscnt 0x0
	s_barrier_signal -1
	s_barrier_wait -1
	s_and_b32 s45, s3, vcc_lo
	s_delay_alu instid0(SALU_CYCLE_1)
	s_and_saveexec_b32 s44, s45
	s_cbranch_execz .LBB104_1139
; %bb.1138:                             ;   in Loop: Header=BB104_1131 Depth=2
	ds_load_b32 v30, v27 offset:512
	ds_load_b32 v31, v7 offset:20736
	s_wait_dscnt 0x0
	v_fmac_f32_e32 v24, v30, v31
.LBB104_1139:                           ;   in Loop: Header=BB104_1131 Depth=2
	s_or_b32 exec_lo, exec_lo, s44
	s_add_co_i32 s44, s43, -2
	s_delay_alu instid0(SALU_CYCLE_1) | instskip(SKIP_3) | instid1(SALU_CYCLE_1)
	v_cmp_eq_u32_e32 vcc_lo, s44, v4
	s_barrier_signal -1
	s_barrier_wait -1
	;; [unrolled: 26-line block ×3, first 2 shown]
	s_and_b32 s46, s3, vcc_lo
	s_and_saveexec_b32 s45, s46
; %bb.1144:                             ;   in Loop: Header=BB104_1131 Depth=2
	ds_store_b32 v7, v24 offset:20736
; %bb.1145:                             ;   in Loop: Header=BB104_1131 Depth=2
	s_or_b32 exec_lo, exec_lo, s45
	v_cmp_gt_u32_e32 vcc_lo, s44, v4
	s_wait_dscnt 0x0
	s_barrier_signal -1
	s_barrier_wait -1
	s_and_b32 s46, s3, vcc_lo
	s_delay_alu instid0(SALU_CYCLE_1)
	s_and_saveexec_b32 s45, s46
	s_cbranch_execz .LBB104_1130
; %bb.1146:                             ;   in Loop: Header=BB104_1131 Depth=2
	ds_load_b32 v30, v27
	ds_load_b32 v31, v7 offset:20736
	s_wait_dscnt 0x0
	v_fmac_f32_e32 v24, v30, v31
	s_branch .LBB104_1130
.LBB104_1147:                           ;   in Loop: Header=BB104_3 Depth=1
	s_and_b32 vcc_lo, exec_lo, s86
	s_mov_b32 s43, -1
	s_cbranch_vccnz .LBB104_1173
; %bb.1148:                             ;   in Loop: Header=BB104_3 Depth=1
	s_and_not1_b32 vcc_lo, exec_lo, s43
	s_cbranch_vccz .LBB104_1174
.LBB104_1149:                           ;   in Loop: Header=BB104_3 Depth=1
	s_and_saveexec_b32 s43, s82
	s_cbranch_execz .LBB104_1151
.LBB104_1150:                           ;   in Loop: Header=BB104_3 Depth=1
	v_lshl_add_u64 v[26:27], v[22:23], 2, v[28:29]
	flat_store_b32 v[26:27], v24
.LBB104_1151:                           ;   in Loop: Header=BB104_3 Depth=1
	s_wait_xcnt 0x0
	s_or_b32 exec_lo, exec_lo, s43
	global_wb scope:SCOPE_DEV
	s_wait_storecnt_dscnt 0x0
	global_inv scope:SCOPE_DEV
	s_wait_loadcnt 0x0
	s_barrier_signal -1
	s_barrier_wait -1
	s_and_saveexec_b32 s43, s55
	s_cbranch_execz .LBB104_2
; %bb.1152:                             ;   in Loop: Header=BB104_3 Depth=1
	s_lshl_b64 s[44:45], s[62:63], 2
	s_delay_alu instid0(SALU_CYCLE_1)
	s_add_nc_u64 s[44:45], s[78:79], s[44:45]
	global_load_b32 v24, v7, s[44:45]
	s_wait_loadcnt 0x0
	v_add_nc_u32_e32 v24, 1, v24
	global_store_b32 v7, v24, s[44:45]
	s_branch .LBB104_2
.LBB104_1153:                           ;   in Loop: Header=BB104_3 Depth=1
	s_mov_b32 s44, exec_lo
	v_readlane_b32 s45, v92, 20
	s_and_b32 s45, s44, s45
	s_delay_alu instid0(SALU_CYCLE_1)
	s_mov_b32 exec_lo, s45
; %bb.1154:                             ;   in Loop: Header=BB104_3 Depth=1
	ds_store_b32 v76, v7
; %bb.1155:                             ;   in Loop: Header=BB104_3 Depth=1
	s_or_b32 exec_lo, exec_lo, s44
	s_and_not1_saveexec_b32 s43, s43
	s_cbranch_execz .LBB104_16
.LBB104_1156:                           ;   in Loop: Header=BB104_3 Depth=1
	v_lshl_add_u64 v[32:33], v[12:13], 2, v[30:31]
	flat_load_b32 v24, v[32:33]
	s_wait_loadcnt_dscnt 0x0
	v_xor_b32_e32 v24, 0x80000000, v24
	ds_store_b32 v76, v24
	s_or_b32 exec_lo, exec_lo, s43
	s_and_saveexec_b32 s43, s8
	s_delay_alu instid0(SALU_CYCLE_1)
	s_xor_b32 s43, exec_lo, s43
	s_cbranch_execz .LBB104_17
.LBB104_1157:                           ;   in Loop: Header=BB104_3 Depth=1
	s_mov_b32 s44, exec_lo
	v_readlane_b32 s45, v92, 21
	s_and_b32 s45, s44, s45
	s_delay_alu instid0(SALU_CYCLE_1)
	s_mov_b32 exec_lo, s45
; %bb.1158:                             ;   in Loop: Header=BB104_3 Depth=1
	ds_store_b32 v77, v7
; %bb.1159:                             ;   in Loop: Header=BB104_3 Depth=1
	s_or_b32 exec_lo, exec_lo, s44
	s_and_not1_saveexec_b32 s43, s43
	s_cbranch_execz .LBB104_18
.LBB104_1160:                           ;   in Loop: Header=BB104_3 Depth=1
	v_lshl_add_u64 v[32:33], v[14:15], 2, v[30:31]
	flat_load_b32 v24, v[32:33]
	s_wait_loadcnt_dscnt 0x0
	v_xor_b32_e32 v24, 0x80000000, v24
	ds_store_b32 v77, v24
	s_or_b32 exec_lo, exec_lo, s43
	s_and_saveexec_b32 s43, s9
	s_delay_alu instid0(SALU_CYCLE_1)
	s_xor_b32 s43, exec_lo, s43
	s_cbranch_execz .LBB104_19
.LBB104_1161:                           ;   in Loop: Header=BB104_3 Depth=1
	s_mov_b32 s44, exec_lo
	v_readlane_b32 s45, v92, 22
	s_and_b32 s45, s44, s45
	s_delay_alu instid0(SALU_CYCLE_1)
	s_mov_b32 exec_lo, s45
; %bb.1162:                             ;   in Loop: Header=BB104_3 Depth=1
	ds_store_b32 v78, v7
; %bb.1163:                             ;   in Loop: Header=BB104_3 Depth=1
	s_or_b32 exec_lo, exec_lo, s44
	s_and_not1_saveexec_b32 s43, s43
	s_cbranch_execz .LBB104_20
.LBB104_1164:                           ;   in Loop: Header=BB104_3 Depth=1
	v_lshl_add_u64 v[32:33], v[16:17], 2, v[30:31]
	flat_load_b32 v24, v[32:33]
	s_wait_loadcnt_dscnt 0x0
	v_xor_b32_e32 v24, 0x80000000, v24
	ds_store_b32 v78, v24
	s_or_b32 exec_lo, exec_lo, s43
	s_and_saveexec_b32 s43, s10
	s_delay_alu instid0(SALU_CYCLE_1)
	s_xor_b32 s43, exec_lo, s43
	s_cbranch_execz .LBB104_21
.LBB104_1165:                           ;   in Loop: Header=BB104_3 Depth=1
	s_mov_b32 s44, exec_lo
	v_readlane_b32 s45, v92, 23
	s_and_b32 s45, s44, s45
	s_delay_alu instid0(SALU_CYCLE_1)
	s_mov_b32 exec_lo, s45
; %bb.1166:                             ;   in Loop: Header=BB104_3 Depth=1
	ds_store_b32 v79, v7
; %bb.1167:                             ;   in Loop: Header=BB104_3 Depth=1
	s_or_b32 exec_lo, exec_lo, s44
	s_and_not1_saveexec_b32 s43, s43
	s_cbranch_execnz .LBB104_22
	s_branch .LBB104_23
.LBB104_1168:                           ;   in Loop: Header=BB104_3 Depth=1
	ds_load_b32 v26, v74
	ds_load_b32 v27, v71
	s_wait_dscnt 0x0
	v_fma_f32 v26, v26, v27, 0
	s_or_b32 exec_lo, exec_lo, s43
	s_and_saveexec_b32 s43, s8
	s_cbranch_execz .LBB104_1123
.LBB104_1169:                           ;   in Loop: Header=BB104_3 Depth=1
	ds_load_b32 v27, v74 offset:4096
	ds_load_b32 v30, v71 offset:64
	s_wait_dscnt 0x0
	v_fmac_f32_e32 v26, v27, v30
	s_or_b32 exec_lo, exec_lo, s43
	s_and_saveexec_b32 s43, s9
	s_cbranch_execz .LBB104_1124
.LBB104_1170:                           ;   in Loop: Header=BB104_3 Depth=1
	ds_load_b32 v27, v74 offset:8192
	ds_load_b32 v30, v71 offset:128
	s_wait_dscnt 0x0
	v_fmac_f32_e32 v26, v27, v30
	s_or_b32 exec_lo, exec_lo, s43
	s_and_saveexec_b32 s43, s10
	s_cbranch_execnz .LBB104_1125
	s_branch .LBB104_1126
.LBB104_1171:                           ;   in Loop: Header=BB104_3 Depth=1
	s_or_b32 exec_lo, exec_lo, s83
	s_delay_alu instid0(SALU_CYCLE_1)
	s_and_b32 vcc_lo, exec_lo, s43
	s_cbranch_vccnz .LBB104_1129
.LBB104_1172:                           ;   in Loop: Header=BB104_3 Depth=1
	v_mov_b32_e32 v24, v27
	s_and_saveexec_b32 s43, s82
	s_cbranch_execnz .LBB104_1150
	s_branch .LBB104_1151
.LBB104_1173:                           ;   in Loop: Header=BB104_3 Depth=1
	s_and_not1_b32 s44, s82, exec_lo
	s_and_b32 s45, s3, exec_lo
	s_delay_alu instid0(SALU_CYCLE_1)
	s_or_b32 s82, s44, s45
	s_cbranch_execnz .LBB104_1149
.LBB104_1174:                           ;   in Loop: Header=BB104_3 Depth=1
	v_readlane_b32 s44, v93, 9
	s_and_not1_b32 s43, s82, exec_lo
	s_and_b32 s44, s44, exec_lo
	s_delay_alu instid0(SALU_CYCLE_1) | instskip(NEXT) | instid1(SALU_CYCLE_1)
	s_or_b32 s82, s43, s44
	s_and_saveexec_b32 s43, s82
	s_cbranch_execnz .LBB104_1150
	s_branch .LBB104_1151
.LBB104_1175:                           ;   in Loop: Header=BB104_3 Depth=1
	ds_load_b32 v30, v49 offset:272
	ds_load_b32 v31, v41 offset:4
	s_wait_dscnt 0x0
	v_fmac_f32_e32 v24, v30, v31
	s_or_b32 exec_lo, exec_lo, s44
	s_and_saveexec_b32 s44, s14
	s_cbranch_execz .LBB104_72
.LBB104_1176:                           ;   in Loop: Header=BB104_3 Depth=1
	ds_load_b32 v30, v48 offset:528
	ds_load_b32 v31, v41 offset:8
	s_wait_dscnt 0x0
	v_fmac_f32_e32 v24, v30, v31
	s_or_b32 exec_lo, exec_lo, s44
	s_and_saveexec_b32 s44, s2
	s_cbranch_execnz .LBB104_73
	s_branch .LBB104_74
.LBB104_1177:                           ;   in Loop: Header=BB104_3 Depth=1
	ds_load_b32 v30, v58 offset:288
	ds_load_b32 v31, v52 offset:4
	s_wait_dscnt 0x0
	v_fmac_f32_e32 v24, v30, v31
	s_or_b32 exec_lo, exec_lo, s44
	s_and_saveexec_b32 s44, s16
	s_cbranch_execz .LBB104_114
.LBB104_1178:                           ;   in Loop: Header=BB104_3 Depth=1
	ds_load_b32 v30, v58 offset:544
	ds_load_b32 v31, v52 offset:8
	s_wait_dscnt 0x0
	v_fmac_f32_e32 v24, v30, v31
	s_or_b32 exec_lo, exec_lo, s44
	s_and_saveexec_b32 s44, s17
	s_cbranch_execz .LBB104_115
.LBB104_1179:                           ;   in Loop: Header=BB104_3 Depth=1
	ds_load_b32 v30, v58 offset:800
	ds_load_b32 v31, v52 offset:12
	s_wait_dscnt 0x0
	v_fmac_f32_e32 v24, v30, v31
	s_or_b32 exec_lo, exec_lo, s44
	s_and_saveexec_b32 s44, s18
	s_cbranch_execz .LBB104_116
.LBB104_1180:                           ;   in Loop: Header=BB104_3 Depth=1
	ds_load_b32 v30, v55 offset:1056
	ds_load_b32 v31, v52 offset:16
	s_wait_dscnt 0x0
	v_fmac_f32_e32 v24, v30, v31
	s_or_b32 exec_lo, exec_lo, s44
	s_and_saveexec_b32 s44, s19
	s_cbranch_execz .LBB104_117
.LBB104_1181:                           ;   in Loop: Header=BB104_3 Depth=1
	ds_load_b32 v30, v58 offset:1312
	ds_load_b32 v31, v52 offset:20
	s_wait_dscnt 0x0
	v_fmac_f32_e32 v24, v30, v31
	s_or_b32 exec_lo, exec_lo, s44
	s_and_saveexec_b32 s44, s4
	s_cbranch_execz .LBB104_118
.LBB104_1182:                           ;   in Loop: Header=BB104_3 Depth=1
	ds_load_b32 v30, v55 offset:1568
	ds_load_b32 v31, v52 offset:24
	s_wait_dscnt 0x0
	v_fmac_f32_e32 v24, v30, v31
	s_or_b32 exec_lo, exec_lo, s44
	s_and_saveexec_b32 s44, s14
	s_cbranch_execnz .LBB104_119
	s_branch .LBB104_120
.LBB104_1183:                           ;   in Loop: Header=BB104_3 Depth=1
	ds_load_b32 v30, v49 offset:2352
	ds_load_b32 v31, v41 offset:2084
	s_wait_dscnt 0x0
	v_fmac_f32_e32 v24, v30, v31
	s_or_b32 exec_lo, exec_lo, s44
	s_and_saveexec_b32 s44, s14
	s_cbranch_execz .LBB104_176
.LBB104_1184:                           ;   in Loop: Header=BB104_3 Depth=1
	ds_load_b32 v30, v48 offset:2608
	ds_load_b32 v31, v41 offset:2088
	s_wait_dscnt 0x0
	v_fmac_f32_e32 v24, v30, v31
	s_or_b32 exec_lo, exec_lo, s44
	s_and_saveexec_b32 s44, s2
	s_cbranch_execnz .LBB104_177
	s_branch .LBB104_178
.LBB104_1185:                           ;   in Loop: Header=BB104_3 Depth=1
	ds_load_b32 v30, v66 offset:2880
	ds_load_b32 v31, v57 offset:44
	s_wait_dscnt 0x0
	v_fmac_f32_e32 v24, v30, v31
	s_or_b32 exec_lo, exec_lo, s44
	s_and_saveexec_b32 s44, s5
	s_cbranch_execz .LBB104_238
.LBB104_1186:                           ;   in Loop: Header=BB104_3 Depth=1
	ds_load_b32 v30, v65 offset:3136
	ds_load_b32 v31, v57 offset:48
	s_wait_dscnt 0x0
	v_fmac_f32_e32 v24, v30, v31
	s_or_b32 exec_lo, exec_lo, s44
	s_and_saveexec_b32 s44, s16
	s_cbranch_execz .LBB104_239
.LBB104_1187:                           ;   in Loop: Header=BB104_3 Depth=1
	ds_load_b32 v30, v66 offset:3392
	ds_load_b32 v31, v57 offset:52
	s_wait_dscnt 0x0
	v_fmac_f32_e32 v24, v30, v31
	s_or_b32 exec_lo, exec_lo, s44
	s_and_saveexec_b32 s44, s18
	s_cbranch_execz .LBB104_240
.LBB104_1188:                           ;   in Loop: Header=BB104_3 Depth=1
	ds_load_b32 v30, v65 offset:3648
	ds_load_b32 v31, v57 offset:56
	s_wait_dscnt 0x0
	v_fmac_f32_e32 v24, v30, v31
	s_or_b32 exec_lo, exec_lo, s44
	s_and_saveexec_b32 s44, s4
	s_cbranch_execnz .LBB104_241
	s_branch .LBB104_242
.LBB104_1189:                           ;   in Loop: Header=BB104_3 Depth=1
	ds_load_b32 v30, v49 offset:4432
	ds_load_b32 v31, v41 offset:4164
	s_wait_dscnt 0x0
	v_fmac_f32_e32 v24, v30, v31
	s_or_b32 exec_lo, exec_lo, s44
	s_and_saveexec_b32 s44, s14
	s_cbranch_execz .LBB104_330
.LBB104_1190:                           ;   in Loop: Header=BB104_3 Depth=1
	ds_load_b32 v30, v48 offset:4688
	ds_load_b32 v31, v41 offset:4168
	s_wait_dscnt 0x0
	v_fmac_f32_e32 v24, v30, v31
	s_or_b32 exec_lo, exec_lo, s44
	s_and_saveexec_b32 s44, s2
	s_cbranch_execnz .LBB104_331
	s_branch .LBB104_332
.LBB104_1191:                           ;   in Loop: Header=BB104_3 Depth=1
	ds_load_b32 v30, v58 offset:4448
	ds_load_b32 v31, v52 offset:4164
	s_wait_dscnt 0x0
	v_fmac_f32_e32 v24, v30, v31
	s_or_b32 exec_lo, exec_lo, s44
	s_and_saveexec_b32 s44, s16
	s_cbranch_execz .LBB104_372
.LBB104_1192:                           ;   in Loop: Header=BB104_3 Depth=1
	ds_load_b32 v30, v58 offset:4704
	ds_load_b32 v31, v52 offset:4168
	s_wait_dscnt 0x0
	v_fmac_f32_e32 v24, v30, v31
	s_or_b32 exec_lo, exec_lo, s44
	s_and_saveexec_b32 s44, s17
	s_cbranch_execz .LBB104_373
.LBB104_1193:                           ;   in Loop: Header=BB104_3 Depth=1
	ds_load_b32 v30, v58 offset:4960
	ds_load_b32 v31, v52 offset:4172
	s_wait_dscnt 0x0
	v_fmac_f32_e32 v24, v30, v31
	s_or_b32 exec_lo, exec_lo, s44
	s_and_saveexec_b32 s44, s18
	s_cbranch_execz .LBB104_374
.LBB104_1194:                           ;   in Loop: Header=BB104_3 Depth=1
	ds_load_b32 v30, v55 offset:5216
	ds_load_b32 v31, v52 offset:4176
	s_wait_dscnt 0x0
	v_fmac_f32_e32 v24, v30, v31
	s_or_b32 exec_lo, exec_lo, s44
	s_and_saveexec_b32 s44, s19
	s_cbranch_execz .LBB104_375
.LBB104_1195:                           ;   in Loop: Header=BB104_3 Depth=1
	ds_load_b32 v30, v58 offset:5472
	ds_load_b32 v31, v52 offset:4180
	s_wait_dscnt 0x0
	v_fmac_f32_e32 v24, v30, v31
	s_or_b32 exec_lo, exec_lo, s44
	s_and_saveexec_b32 s44, s4
	s_cbranch_execz .LBB104_376
.LBB104_1196:                           ;   in Loop: Header=BB104_3 Depth=1
	ds_load_b32 v30, v55 offset:5728
	ds_load_b32 v31, v52 offset:4184
	s_wait_dscnt 0x0
	v_fmac_f32_e32 v24, v30, v31
	s_or_b32 exec_lo, exec_lo, s44
	s_and_saveexec_b32 s44, s14
	s_cbranch_execnz .LBB104_377
	s_branch .LBB104_378
.LBB104_1197:                           ;   in Loop: Header=BB104_3 Depth=1
	ds_load_b32 v30, v49 offset:6512
	ds_load_b32 v31, v41 offset:6244
	s_wait_dscnt 0x0
	v_fmac_f32_e32 v24, v30, v31
	s_or_b32 exec_lo, exec_lo, s44
	s_and_saveexec_b32 s44, s14
	s_cbranch_execz .LBB104_434
.LBB104_1198:                           ;   in Loop: Header=BB104_3 Depth=1
	ds_load_b32 v30, v48 offset:6768
	ds_load_b32 v31, v41 offset:6248
	s_wait_dscnt 0x0
	v_fmac_f32_e32 v24, v30, v31
	s_or_b32 exec_lo, exec_lo, s44
	s_and_saveexec_b32 s44, s2
	s_cbranch_execnz .LBB104_435
	s_branch .LBB104_436
.LBB104_1199:                           ;   in Loop: Header=BB104_3 Depth=1
	ds_load_b32 v31, v68 offset:7552
	ds_load_b32 v32, v30 offset:116
	s_wait_dscnt 0x0
	v_fmac_f32_e32 v24, v31, v32
	s_or_b32 exec_lo, exec_lo, s43
	s_and_saveexec_b32 s43, s5
	s_cbranch_execz .LBB104_532
.LBB104_1200:                           ;   in Loop: Header=BB104_3 Depth=1
	ds_load_b32 v31, v68 offset:7808
	ds_load_b32 v30, v30 offset:120
	s_wait_dscnt 0x0
	v_fmac_f32_e32 v24, v31, v30
	s_or_b32 exec_lo, exec_lo, s43
	s_and_saveexec_b32 s43, s18
	s_cbranch_execnz .LBB104_533
	s_branch .LBB104_534
.LBB104_1201:                           ;   in Loop: Header=BB104_3 Depth=1
	ds_load_b32 v30, v49 offset:8592
	ds_load_b32 v31, v41 offset:8324
	s_wait_dscnt 0x0
	v_fmac_f32_e32 v24, v30, v31
	s_or_b32 exec_lo, exec_lo, s44
	s_and_saveexec_b32 s44, s14
	s_cbranch_execz .LBB104_686
.LBB104_1202:                           ;   in Loop: Header=BB104_3 Depth=1
	ds_load_b32 v30, v48 offset:8848
	ds_load_b32 v31, v41 offset:8328
	s_wait_dscnt 0x0
	v_fmac_f32_e32 v24, v30, v31
	s_or_b32 exec_lo, exec_lo, s44
	s_and_saveexec_b32 s44, s2
	s_cbranch_execnz .LBB104_687
	s_branch .LBB104_688
.LBB104_1203:                           ;   in Loop: Header=BB104_3 Depth=1
	ds_load_b32 v30, v58 offset:8608
	ds_load_b32 v31, v52 offset:8324
	s_wait_dscnt 0x0
	v_fmac_f32_e32 v24, v30, v31
	s_or_b32 exec_lo, exec_lo, s44
	s_and_saveexec_b32 s44, s16
	s_cbranch_execz .LBB104_728
.LBB104_1204:                           ;   in Loop: Header=BB104_3 Depth=1
	ds_load_b32 v30, v58 offset:8864
	ds_load_b32 v31, v52 offset:8328
	s_wait_dscnt 0x0
	v_fmac_f32_e32 v24, v30, v31
	s_or_b32 exec_lo, exec_lo, s44
	s_and_saveexec_b32 s44, s17
	s_cbranch_execz .LBB104_729
.LBB104_1205:                           ;   in Loop: Header=BB104_3 Depth=1
	ds_load_b32 v30, v58 offset:9120
	ds_load_b32 v31, v52 offset:8332
	s_wait_dscnt 0x0
	v_fmac_f32_e32 v24, v30, v31
	s_or_b32 exec_lo, exec_lo, s44
	s_and_saveexec_b32 s44, s18
	s_cbranch_execz .LBB104_730
.LBB104_1206:                           ;   in Loop: Header=BB104_3 Depth=1
	ds_load_b32 v30, v55 offset:9376
	ds_load_b32 v31, v52 offset:8336
	s_wait_dscnt 0x0
	v_fmac_f32_e32 v24, v30, v31
	s_or_b32 exec_lo, exec_lo, s44
	s_and_saveexec_b32 s44, s19
	s_cbranch_execz .LBB104_731
.LBB104_1207:                           ;   in Loop: Header=BB104_3 Depth=1
	ds_load_b32 v30, v58 offset:9632
	ds_load_b32 v31, v52 offset:8340
	s_wait_dscnt 0x0
	v_fmac_f32_e32 v24, v30, v31
	s_or_b32 exec_lo, exec_lo, s44
	s_and_saveexec_b32 s44, s4
	s_cbranch_execz .LBB104_732
.LBB104_1208:                           ;   in Loop: Header=BB104_3 Depth=1
	ds_load_b32 v30, v55 offset:9888
	ds_load_b32 v31, v52 offset:8344
	s_wait_dscnt 0x0
	v_fmac_f32_e32 v24, v30, v31
	s_or_b32 exec_lo, exec_lo, s44
	s_and_saveexec_b32 s44, s14
	s_cbranch_execnz .LBB104_733
	s_branch .LBB104_734
.LBB104_1209:                           ;   in Loop: Header=BB104_3 Depth=1
	ds_load_b32 v30, v49 offset:10672
	ds_load_b32 v31, v41 offset:10404
	s_wait_dscnt 0x0
	v_fmac_f32_e32 v24, v30, v31
	s_or_b32 exec_lo, exec_lo, s44
	s_and_saveexec_b32 s44, s14
	s_cbranch_execz .LBB104_790
.LBB104_1210:                           ;   in Loop: Header=BB104_3 Depth=1
	ds_load_b32 v30, v48 offset:10928
	ds_load_b32 v31, v41 offset:10408
	s_wait_dscnt 0x0
	v_fmac_f32_e32 v24, v30, v31
	s_or_b32 exec_lo, exec_lo, s44
	s_and_saveexec_b32 s44, s2
	s_cbranch_execnz .LBB104_791
	s_branch .LBB104_792
.LBB104_1211:                           ;   in Loop: Header=BB104_3 Depth=1
	ds_load_b32 v30, v66 offset:11200
	ds_load_b32 v31, v57 offset:8364
	s_wait_dscnt 0x0
	v_fmac_f32_e32 v24, v30, v31
	s_or_b32 exec_lo, exec_lo, s44
	s_and_saveexec_b32 s44, s5
	s_cbranch_execz .LBB104_852
.LBB104_1212:                           ;   in Loop: Header=BB104_3 Depth=1
	ds_load_b32 v30, v65 offset:11456
	ds_load_b32 v31, v57 offset:8368
	s_wait_dscnt 0x0
	v_fmac_f32_e32 v24, v30, v31
	s_or_b32 exec_lo, exec_lo, s44
	s_and_saveexec_b32 s44, s16
	s_cbranch_execz .LBB104_853
.LBB104_1213:                           ;   in Loop: Header=BB104_3 Depth=1
	ds_load_b32 v30, v66 offset:11712
	ds_load_b32 v31, v57 offset:8372
	s_wait_dscnt 0x0
	v_fmac_f32_e32 v24, v30, v31
	s_or_b32 exec_lo, exec_lo, s44
	s_and_saveexec_b32 s44, s18
	s_cbranch_execz .LBB104_854
.LBB104_1214:                           ;   in Loop: Header=BB104_3 Depth=1
	ds_load_b32 v30, v65 offset:11968
	ds_load_b32 v31, v57 offset:8376
	s_wait_dscnt 0x0
	v_fmac_f32_e32 v24, v30, v31
	s_or_b32 exec_lo, exec_lo, s44
	s_and_saveexec_b32 s44, s4
	s_cbranch_execnz .LBB104_855
	s_branch .LBB104_856
.LBB104_1215:                           ;   in Loop: Header=BB104_3 Depth=1
	ds_load_b32 v30, v49 offset:12752
	ds_load_b32 v31, v41 offset:12484
	s_wait_dscnt 0x0
	v_fmac_f32_e32 v24, v30, v31
	s_or_b32 exec_lo, exec_lo, s44
	s_and_saveexec_b32 s44, s14
	s_cbranch_execz .LBB104_944
.LBB104_1216:                           ;   in Loop: Header=BB104_3 Depth=1
	ds_load_b32 v30, v48 offset:13008
	ds_load_b32 v31, v41 offset:12488
	s_wait_dscnt 0x0
	v_fmac_f32_e32 v24, v30, v31
	s_or_b32 exec_lo, exec_lo, s44
	s_and_saveexec_b32 s44, s2
	s_cbranch_execnz .LBB104_945
	s_branch .LBB104_946
.LBB104_1217:                           ;   in Loop: Header=BB104_3 Depth=1
	ds_load_b32 v30, v58 offset:12768
	ds_load_b32 v31, v52 offset:12484
	s_wait_dscnt 0x0
	v_fmac_f32_e32 v24, v30, v31
	s_or_b32 exec_lo, exec_lo, s44
	s_and_saveexec_b32 s44, s16
	s_cbranch_execz .LBB104_986
.LBB104_1218:                           ;   in Loop: Header=BB104_3 Depth=1
	ds_load_b32 v30, v58 offset:13024
	ds_load_b32 v31, v52 offset:12488
	s_wait_dscnt 0x0
	v_fmac_f32_e32 v24, v30, v31
	s_or_b32 exec_lo, exec_lo, s44
	s_and_saveexec_b32 s44, s17
	s_cbranch_execz .LBB104_987
.LBB104_1219:                           ;   in Loop: Header=BB104_3 Depth=1
	ds_load_b32 v30, v58 offset:13280
	ds_load_b32 v31, v52 offset:12492
	s_wait_dscnt 0x0
	v_fmac_f32_e32 v24, v30, v31
	s_or_b32 exec_lo, exec_lo, s44
	s_and_saveexec_b32 s44, s18
	s_cbranch_execz .LBB104_988
.LBB104_1220:                           ;   in Loop: Header=BB104_3 Depth=1
	ds_load_b32 v30, v55 offset:13536
	ds_load_b32 v31, v52 offset:12496
	s_wait_dscnt 0x0
	v_fmac_f32_e32 v24, v30, v31
	s_or_b32 exec_lo, exec_lo, s44
	s_and_saveexec_b32 s44, s19
	s_cbranch_execz .LBB104_989
.LBB104_1221:                           ;   in Loop: Header=BB104_3 Depth=1
	ds_load_b32 v30, v58 offset:13792
	ds_load_b32 v31, v52 offset:12500
	s_wait_dscnt 0x0
	v_fmac_f32_e32 v24, v30, v31
	s_or_b32 exec_lo, exec_lo, s44
	s_and_saveexec_b32 s44, s4
	s_cbranch_execz .LBB104_990
.LBB104_1222:                           ;   in Loop: Header=BB104_3 Depth=1
	ds_load_b32 v30, v55 offset:14048
	ds_load_b32 v31, v52 offset:12504
	s_wait_dscnt 0x0
	v_fmac_f32_e32 v24, v30, v31
	s_or_b32 exec_lo, exec_lo, s44
	s_and_saveexec_b32 s44, s14
	s_cbranch_execnz .LBB104_991
	s_branch .LBB104_992
.LBB104_1223:                           ;   in Loop: Header=BB104_3 Depth=1
	ds_load_b32 v30, v49 offset:14832
	ds_load_b32 v31, v41 offset:14564
	s_wait_dscnt 0x0
	v_fmac_f32_e32 v24, v30, v31
	s_or_b32 exec_lo, exec_lo, s44
	s_and_saveexec_b32 s44, s14
	s_cbranch_execz .LBB104_1048
.LBB104_1224:                           ;   in Loop: Header=BB104_3 Depth=1
	ds_load_b32 v30, v48 offset:15088
	ds_load_b32 v31, v41 offset:14568
	s_wait_dscnt 0x0
	v_fmac_f32_e32 v24, v30, v31
	s_or_b32 exec_lo, exec_lo, s44
	s_and_saveexec_b32 s44, s2
	s_cbranch_execnz .LBB104_1049
	s_branch .LBB104_1050
.LBB104_1225:
	s_endpgm
	.section	.rodata,"a",@progbits
	.p2align	6, 0x0
	.amdhsa_kernel _ZL19rocblas_trsv_deviceILi64ELi16ELb1ELb1ELb0ELb1EfPKfPKS1_PKPfEviT7_lllT6_T8_lllPii
		.amdhsa_group_segment_fixed_size 20740
		.amdhsa_private_segment_fixed_size 0
		.amdhsa_kernarg_size 352
		.amdhsa_user_sgpr_count 2
		.amdhsa_user_sgpr_dispatch_ptr 0
		.amdhsa_user_sgpr_queue_ptr 0
		.amdhsa_user_sgpr_kernarg_segment_ptr 1
		.amdhsa_user_sgpr_dispatch_id 0
		.amdhsa_user_sgpr_kernarg_preload_length 0
		.amdhsa_user_sgpr_kernarg_preload_offset 0
		.amdhsa_user_sgpr_private_segment_size 0
		.amdhsa_wavefront_size32 1
		.amdhsa_uses_dynamic_stack 0
		.amdhsa_enable_private_segment 0
		.amdhsa_system_sgpr_workgroup_id_x 1
		.amdhsa_system_sgpr_workgroup_id_y 0
		.amdhsa_system_sgpr_workgroup_id_z 1
		.amdhsa_system_sgpr_workgroup_info 0
		.amdhsa_system_vgpr_workitem_id 1
		.amdhsa_next_free_vgpr 96
		.amdhsa_next_free_sgpr 105
		.amdhsa_named_barrier_count 0
		.amdhsa_reserve_vcc 1
		.amdhsa_float_round_mode_32 0
		.amdhsa_float_round_mode_16_64 0
		.amdhsa_float_denorm_mode_32 3
		.amdhsa_float_denorm_mode_16_64 3
		.amdhsa_fp16_overflow 0
		.amdhsa_memory_ordered 1
		.amdhsa_forward_progress 1
		.amdhsa_inst_pref_size 255
		.amdhsa_round_robin_scheduling 0
		.amdhsa_exception_fp_ieee_invalid_op 0
		.amdhsa_exception_fp_denorm_src 0
		.amdhsa_exception_fp_ieee_div_zero 0
		.amdhsa_exception_fp_ieee_overflow 0
		.amdhsa_exception_fp_ieee_underflow 0
		.amdhsa_exception_fp_ieee_inexact 0
		.amdhsa_exception_int_div_zero 0
	.end_amdhsa_kernel
	.section	.text._ZL19rocblas_trsv_deviceILi64ELi16ELb1ELb1ELb0ELb1EfPKfPKS1_PKPfEviT7_lllT6_T8_lllPii,"axG",@progbits,_ZL19rocblas_trsv_deviceILi64ELi16ELb1ELb1ELb0ELb1EfPKfPKS1_PKPfEviT7_lllT6_T8_lllPii,comdat
.Lfunc_end104:
	.size	_ZL19rocblas_trsv_deviceILi64ELi16ELb1ELb1ELb0ELb1EfPKfPKS1_PKPfEviT7_lllT6_T8_lllPii, .Lfunc_end104-_ZL19rocblas_trsv_deviceILi64ELi16ELb1ELb1ELb0ELb1EfPKfPKS1_PKPfEviT7_lllT6_T8_lllPii
                                        ; -- End function
	.set _ZL19rocblas_trsv_deviceILi64ELi16ELb1ELb1ELb0ELb1EfPKfPKS1_PKPfEviT7_lllT6_T8_lllPii.num_vgpr, 96
	.set _ZL19rocblas_trsv_deviceILi64ELi16ELb1ELb1ELb0ELb1EfPKfPKS1_PKPfEviT7_lllT6_T8_lllPii.num_agpr, 0
	.set _ZL19rocblas_trsv_deviceILi64ELi16ELb1ELb1ELb0ELb1EfPKfPKS1_PKPfEviT7_lllT6_T8_lllPii.numbered_sgpr, 105
	.set _ZL19rocblas_trsv_deviceILi64ELi16ELb1ELb1ELb0ELb1EfPKfPKS1_PKPfEviT7_lllT6_T8_lllPii.num_named_barrier, 0
	.set _ZL19rocblas_trsv_deviceILi64ELi16ELb1ELb1ELb0ELb1EfPKfPKS1_PKPfEviT7_lllT6_T8_lllPii.private_seg_size, 0
	.set _ZL19rocblas_trsv_deviceILi64ELi16ELb1ELb1ELb0ELb1EfPKfPKS1_PKPfEviT7_lllT6_T8_lllPii.uses_vcc, 1
	.set _ZL19rocblas_trsv_deviceILi64ELi16ELb1ELb1ELb0ELb1EfPKfPKS1_PKPfEviT7_lllT6_T8_lllPii.uses_flat_scratch, 0
	.set _ZL19rocblas_trsv_deviceILi64ELi16ELb1ELb1ELb0ELb1EfPKfPKS1_PKPfEviT7_lllT6_T8_lllPii.has_dyn_sized_stack, 0
	.set _ZL19rocblas_trsv_deviceILi64ELi16ELb1ELb1ELb0ELb1EfPKfPKS1_PKPfEviT7_lllT6_T8_lllPii.has_recursion, 0
	.set _ZL19rocblas_trsv_deviceILi64ELi16ELb1ELb1ELb0ELb1EfPKfPKS1_PKPfEviT7_lllT6_T8_lllPii.has_indirect_call, 0
	.section	.AMDGPU.csdata,"",@progbits
; Kernel info:
; codeLenInByte = 34656
; TotalNumSgprs: 107
; NumVgprs: 96
; ScratchSize: 0
; MemoryBound: 0
; FloatMode: 240
; IeeeMode: 1
; LDSByteSize: 20740 bytes/workgroup (compile time only)
; SGPRBlocks: 0
; VGPRBlocks: 5
; NumSGPRsForWavesPerEU: 107
; NumVGPRsForWavesPerEU: 96
; NamedBarCnt: 0
; Occupancy: 10
; WaveLimiterHint : 1
; COMPUTE_PGM_RSRC2:SCRATCH_EN: 0
; COMPUTE_PGM_RSRC2:USER_SGPR: 2
; COMPUTE_PGM_RSRC2:TRAP_HANDLER: 0
; COMPUTE_PGM_RSRC2:TGID_X_EN: 1
; COMPUTE_PGM_RSRC2:TGID_Y_EN: 0
; COMPUTE_PGM_RSRC2:TGID_Z_EN: 1
; COMPUTE_PGM_RSRC2:TIDIG_COMP_CNT: 1
	.section	.text._ZL19rocblas_trsv_deviceILi64ELi16ELb1ELb1ELb1ELb1EfPKfPKS1_PKPfEviT7_lllT6_T8_lllPii,"axG",@progbits,_ZL19rocblas_trsv_deviceILi64ELi16ELb1ELb1ELb1ELb1EfPKfPKS1_PKPfEviT7_lllT6_T8_lllPii,comdat
	.globl	_ZL19rocblas_trsv_deviceILi64ELi16ELb1ELb1ELb1ELb1EfPKfPKS1_PKPfEviT7_lllT6_T8_lllPii ; -- Begin function _ZL19rocblas_trsv_deviceILi64ELi16ELb1ELb1ELb1ELb1EfPKfPKS1_PKPfEviT7_lllT6_T8_lllPii
	.p2align	8
	.type	_ZL19rocblas_trsv_deviceILi64ELi16ELb1ELb1ELb1ELb1EfPKfPKS1_PKPfEviT7_lllT6_T8_lllPii,@function
_ZL19rocblas_trsv_deviceILi64ELi16ELb1ELb1ELb1ELb1EfPKfPKS1_PKPfEviT7_lllT6_T8_lllPii: ; @_ZL19rocblas_trsv_deviceILi64ELi16ELb1ELb1ELb1ELb1EfPKfPKS1_PKPfEviT7_lllT6_T8_lllPii
; %bb.0:
	s_load_b32 s6, s[0:1], 0x58
	s_bfe_u32 s2, ttmp6, 0x40014
	s_lshr_b32 s3, ttmp7, 16
	s_add_co_i32 s2, s2, 1
	s_bfe_u32 s5, ttmp6, 0x40008
	s_mul_i32 s4, s3, s2
	s_getreg_b32 s2, hwreg(HW_REG_IB_STS2, 6, 4)
	s_add_co_i32 s5, s5, s4
	s_cmp_eq_u32 s2, 0
	s_mov_b32 s63, 0
	s_cselect_b32 s62, s3, s5
                                        ; implicit-def: $vgpr95 : SGPR spill to VGPR lane
	s_wait_kmcnt 0x0
	s_cmp_ge_u32 s62, s6
	v_writelane_b32 v95, s6, 0
	s_cbranch_scc1 .LBB105_1225
; %bb.1:
	s_clause 0x3
	s_load_b32 s3, s[0:1], 0x6c
	s_load_b32 s85, s[0:1], 0x60
	s_load_b32 s76, s[0:1], 0x0
	s_load_b64 s[14:15], s[0:1], 0x18
	s_bfe_u32 s5, ttmp6, 0x4000c
	s_and_b32 s4, ttmp6, 15
	s_add_co_i32 s5, s5, 1
	v_and_b32_e32 v4, 0x3ff, v0
	s_mul_i32 s5, ttmp9, s5
	v_dual_mov_b32 v7, 0 :: v_dual_bitop2_b32 v1, 1, v0 bitop3:0x40
	s_add_co_i32 s4, s4, s5
	s_cmp_eq_u32 s2, 0
	v_bfe_u32 v2, v0, 10, 10
	s_cselect_b32 s84, ttmp9, s4
	v_dual_mov_b32 v9, v7 :: v_dual_lshlrev_b32 v5, 6, v4
	v_cmp_eq_u32_e32 vcc_lo, 1, v1
	s_delay_alu instid0(VALU_DEP_3)
	v_lshl_add_u32 v30, v2, 6, v4
	v_and_b32_e32 v45, 3, v0
	s_wait_kmcnt 0x0
	s_and_b32 s2, s3, 0xffff
	s_add_co_i32 s85, s85, -1
	s_add_co_i32 s3, s76, -1
	s_ashr_i32 s77, s76, 31
	s_ashr_i32 s4, s3, 31
	s_lshr_b32 s5, s77, 26
	s_lshr_b32 s4, s4, 26
	s_add_co_i32 s5, s76, s5
	s_add_co_i32 s3, s3, s4
	s_and_not1_b32 s5, s5, 63
	s_sub_co_i32 s42, s85, s84
	s_ashr_i32 s3, s3, 6
	s_sub_co_i32 s13, s76, s5
	s_cmp_eq_u32 s3, s42
	v_mad_u32_u24 v8, v2, s2, v4
	s_cselect_b32 s3, -1, 0
	s_cmp_lg_u32 s13, 0
	v_dual_add_nc_u32 v28, 32, v2 :: v_dual_bitop2_b32 v51, 7, v0 bitop3:0x40
	s_cselect_b32 s4, -1, 0
	v_dual_add_nc_u32 v26, 48, v2 :: v_dual_bitop2_b32 v60, 15, v0 bitop3:0x40
	s_and_b32 s40, s4, s3
	s_add_nc_u64 s[4:5], s[14:15], 1
	s_xor_b32 s86, s40, -1
	s_cmp_lg_u32 s84, 0
	v_cmp_ne_u32_e64 s10, 0, v51
	s_cselect_b32 s3, -1, 0
	s_lshl_b32 s18, s42, 6
	s_delay_alu instid0(SALU_CYCLE_1) | instskip(SKIP_2) | instid1(VALU_DEP_2)
	v_dual_add_nc_u32 v6, 16, v2 :: v_dual_add_nc_u32 v24, s18, v4
	v_add_nc_u32_e32 v3, v2, v5
	s_cmp_lt_i32 s84, 5
	v_dual_add_nc_u32 v33, s18, v2 :: v_dual_add_nc_u32 v12, v6, v5
	s_cselect_b32 s2, -1, 0
	v_lshl_add_u32 v13, v6, 6, v4
	v_ashrrev_i32_e32 v25, 31, v24
	s_or_b32 s8, s2, s40
	v_cndmask_b32_e64 v31, v30, v3, s2
	v_cmp_gt_u32_e64 s2, 4, v30
	v_writelane_b32 v95, s3, 1
	s_ashr_i32 s19, s18, 31
	s_xor_b32 s3, vcc_lo, -1
	s_mul_u64 s[16:17], s[4:5], s[18:19]
	s_and_b32 s89, s3, s2
	s_and_b32 s90, vcc_lo, s2
	v_cmp_eq_u32_e64 s3, 0, v2
	v_cmp_gt_u32_e32 vcc_lo, 2, v4
	v_cmp_gt_u32_e64 s4, 16, v30
	v_mov_b32_e32 v3, v7
	v_cmp_eq_u32_e64 s5, 0, v45
	v_cmp_ne_u32_e64 s6, 0, v45
	v_cmp_eq_u32_e64 s7, 1, v45
	v_cmp_lt_u32_e64 s9, 1, v45
	s_and_b32 s91, s3, vcc_lo
	s_and_b32 s92, s5, s4
	s_and_b32 s93, s6, s4
	;; [unrolled: 1-line block ×3, first 2 shown]
	v_cmp_eq_u32_e32 vcc_lo, 2, v45
	v_cmp_eq_u32_e64 s6, 3, v45
	v_cmp_gt_u32_e64 s7, 4, v4
	v_cmp_gt_u32_e64 s5, 64, v30
	s_and_b32 s95, s9, s4
	v_cmp_eq_u32_e64 s9, 0, v51
	s_and_b32 s96, vcc_lo, s4
	s_and_b32 s97, s6, s4
	s_and_b32 s98, s3, s7
	;; [unrolled: 1-line block ×3, first 2 shown]
	v_cmp_eq_u32_e32 vcc_lo, 1, v51
	v_cmp_lt_u32_e64 s6, 1, v51
	v_cmp_eq_u32_e64 s7, 2, v51
	v_cmp_eq_u32_e64 s10, 3, v51
	s_and_b32 s99, s9, s5
	v_cmp_lt_u32_e64 s9, 2, v51
	s_and_b32 s101, vcc_lo, s5
	s_and_b32 s102, s6, s5
	s_and_b32 s103, s7, s5
	s_and_b32 vcc_hi, s10, s5
	v_cmp_lt_u32_e32 vcc_lo, 3, v51
	v_cmp_eq_u32_e64 s6, 4, v51
	v_cmp_lt_u32_e64 s7, 4, v51
	v_cmp_lt_u32_e64 s10, 5, v51
	s_and_b32 s104, s9, s5
	v_cmp_eq_u32_e64 s9, 5, v51
	s_and_b32 s31, vcc_lo, s5
	s_and_b32 s33, s6, s5
	s_and_b32 s34, s7, s5
	;; [unrolled: 1-line block ×3, first 2 shown]
	v_cmp_eq_u32_e32 vcc_lo, 6, v51
	v_cmp_eq_u32_e64 s7, 7, v51
	v_cmp_gt_u32_e64 s6, 0x100, v30
	v_cmp_eq_u32_e64 s10, 0, v60
	s_and_b32 s35, s9, s5
	v_cmp_gt_u32_e64 s9, 8, v4
	s_and_b32 s37, vcc_lo, s5
	v_cmp_ne_u32_e32 vcc_lo, 0, v60
	s_and_b32 s38, s7, s5
	s_and_b32 s7, s10, s6
	;; [unrolled: 1-line block ×3, first 2 shown]
	v_writelane_b32 v95, s7, 2
	v_cmp_eq_u32_e64 s7, 1, v60
	s_and_b32 s9, vcc_lo, s6
	v_cmp_lt_u32_e32 vcc_lo, 1, v60
	v_cmp_lt_u32_e64 s10, 2, v60
	v_writelane_b32 v95, s9, 3
	s_and_b32 s7, s7, s6
	v_cmp_eq_u32_e64 s9, 2, v60
	s_and_b32 s11, vcc_lo, s6
	v_cmp_lt_u32_e32 vcc_lo, 3, v60
	v_writelane_b32 v95, s7, 4
	v_cmp_eq_u32_e64 s7, 3, v60
	s_and_b32 s9, s9, s6
	v_dual_mov_b32 v29, v7 :: v_dual_bitop2_b32 v63, 31, v0 bitop3:0x40
	v_writelane_b32 v95, s11, 5
	s_and_b32 s7, s7, s6
	s_and_b32 s11, vcc_lo, s6
	v_cmp_lt_u32_e32 vcc_lo, 5, v60
	v_cmp_eq_u32_e64 s12, 2, v63
	v_writelane_b32 v95, s9, 6
	s_and_b32 s9, s10, s6
	v_cmp_eq_u32_e64 s10, 5, v60
	s_and_b32 s51, vcc_lo, s6
	v_cmp_lt_u32_e32 vcc_lo, 6, v60
	v_writelane_b32 v95, s9, 7
	v_cmp_lt_u32_e64 s9, 4, v60
	s_and_b32 s50, s10, s6
	v_cmp_lt_u32_e64 s10, 7, v60
	s_and_b32 s53, vcc_lo, s6
	v_writelane_b32 v95, s7, 8
	v_cmp_eq_u32_e64 s7, 4, v60
	v_cmp_lt_u32_e32 vcc_lo, 8, v60
	s_and_b32 s49, s9, s6
	v_cmp_eq_u32_e64 s9, 7, v60
	s_and_b32 s20, s10, s6
	s_and_b32 s48, s7, s6
	v_cmp_eq_u32_e64 s7, 6, v60
	s_and_b32 s24, vcc_lo, s6
	v_cmp_lt_u32_e32 vcc_lo, 10, v60
	s_and_b32 s54, s9, s6
	v_cmp_lt_u32_e64 s9, 9, v60
	s_and_b32 s52, s7, s6
	v_cmp_eq_u32_e64 s7, 8, v60
	s_and_b32 s57, vcc_lo, s6
	v_cmp_lt_u32_e32 vcc_lo, 11, v60
	v_cmp_eq_u32_e64 s10, 10, v60
	s_and_b32 s28, s9, s6
	s_and_b32 s22, s7, s6
	v_cmp_eq_u32_e64 s7, 9, v60
	v_cmp_eq_u32_e64 s9, 12, v60
	s_and_b32 s59, vcc_lo, s6
	v_cmp_lt_u32_e32 vcc_lo, 13, v60
	s_and_b32 s30, s10, s6
	s_and_b32 s26, s7, s6
	v_cmp_eq_u32_e64 s7, 11, v60
	v_cmp_lt_u32_e64 s10, 12, v60
	s_and_b32 s60, s9, s6
	v_cmp_eq_u32_e64 s9, 15, v60
	s_and_b32 s25, vcc_lo, s6
	s_and_b32 s58, s7, s6
	v_cmp_eq_u32_e64 s7, 13, v60
	v_cmp_eq_u32_e32 vcc_lo, 0, v63
	v_writelane_b32 v95, s11, 9
	s_and_b32 s21, s10, s6
	v_cmp_gt_u32_e64 s10, 16, v4
	s_and_b32 s23, s7, s6
	v_cmp_eq_u32_e64 s7, 14, v60
	s_and_b32 s29, s9, s6
	v_cmp_ne_u32_e64 s9, 0, v63
	s_and_b32 s61, s3, s10
	v_cmp_eq_u32_e64 s10, 1, v63
	s_and_b32 s27, s7, s6
	v_cmp_gt_u32_e64 s7, 0x400, v30
	v_cmp_lt_u32_e64 s11, 1, v63
	v_mov_b32_e32 v27, v7
	v_mul_u64_e32 v[10:11], s[14:15], v[24:25]
	v_cndmask_b32_e64 v32, v13, v12, s8
	s_and_b32 s41, vcc_lo, s7
	s_and_b32 s9, s9, s7
	v_writelane_b32 v95, s41, 10
	v_cmp_lt_u32_e32 vcc_lo, 2, v63
	v_mul_u64_e32 v[12:13], s[14:15], v[2:3]
	v_mul_u64_e32 v[14:15], s[14:15], v[6:7]
	;; [unrolled: 1-line block ×3, first 2 shown]
	v_writelane_b32 v95, s9, 11
	s_and_b32 s9, s10, s7
	s_and_b32 s41, vcc_lo, s7
	v_cmp_lt_u32_e64 s10, 3, v63
	v_cmp_eq_u32_e32 vcc_lo, 5, v63
	v_writelane_b32 v95, s9, 12
	s_and_b32 s9, s11, s7
	v_cmp_eq_u32_e64 s11, 4, v63
	v_add_nc_u32_e32 v3, v28, v5
	v_mul_u64_e32 v[18:19], s[14:15], v[26:27]
	v_writelane_b32 v95, s9, 13
	s_and_b32 s9, s12, s7
	v_cmp_lt_u32_e64 s12, 4, v63
	s_and_b32 s14, vcc_lo, s7
	v_add_nc_u64_e32 v[22:23], s[18:19], v[8:9]
	v_writelane_b32 v95, s9, 14
	v_cmp_eq_u32_e64 s9, 3, v63
	v_lshl_add_u32 v9, v28, 6, v4
	v_add_nc_u32_e32 v5, v26, v5
	v_lshl_add_u32 v20, v26, 6, v4
	v_writelane_b32 v95, s41, 15
	s_and_b32 s9, s9, s7
	v_cmp_lt_u32_e32 vcc_lo, 7, v63
	s_xor_b32 s88, s8, -1
	v_cndmask_b32_e64 v29, v9, v3, s8
	v_writelane_b32 v95, s9, 16
	s_and_b32 s9, s10, s7
	v_cmp_eq_u32_e64 s10, 6, v63
	v_dual_cndmask_b32 v27, v20, v5, s8 :: v_dual_lshlrev_b32 v3, 2, v4
	v_writelane_b32 v95, s9, 17
	s_and_b32 s9, s11, s7
	v_cmp_lt_u32_e64 s11, 6, v63
	v_cmp_eq_u32_e64 s8, 8, v63
                                        ; implicit-def: $vgpr94 : SGPR spill to VGPR lane
                                        ; implicit-def: $vgpr93 : SGPR spill to VGPR lane
	v_dual_add_nc_u32 v20, 64, v33 :: v_dual_lshrrev_b32 v37, 10, v0
	v_writelane_b32 v95, s9, 18
	s_and_b32 s9, s12, s7
	v_cmp_eq_u32_e64 s12, 7, v63
	s_and_b32 s8, s8, s7
	v_dual_ashrrev_i32 v21, 31, v20 :: v_dual_lshrrev_b32 v40, 1, v30
	v_writelane_b32 v95, s9, 19
	v_cmp_lt_u32_e64 s9, 5, v63
	v_lshlrev_b32_e32 v1, 2, v1
	v_bitop3_b32 v87, v0, v37, 0x3ff bitop3:0xa8
	v_lshrrev_b32_e32 v0, 2, v30
	v_writelane_b32 v95, s14, 20
	s_and_b32 s9, s9, s7
	v_lshl_or_b32 v39, v40, 8, v1
	v_dual_lshlrev_b32 v43, 8, v4 :: v_dual_bitop2_b32 v1, -4, v30 bitop3:0x40
	v_writelane_b32 v95, s9, 21
	s_and_b32 s9, s10, s7
	s_and_b32 s10, s11, s7
	v_mul_u32_u24_e32 v41, 0x104, v0
	v_lshlrev_b32_e32 v45, 2, v45
	v_writelane_b32 v95, s9, 22
	v_cmp_lt_u32_e64 s9, 8, v63
	v_add_nc_u32_e32 v47, 0x4000, v1
	v_dual_sub_nc_u32 v49, v41, v1 :: v_dual_lshrrev_b32 v1, 3, v30
	v_writelane_b32 v95, s10, 23
	s_and_b32 s10, s12, s7
	s_load_b256 s[64:71], s[0:1], 0x28
	v_lshl_or_b32 v48, v0, 8, v45
	v_lshlrev_b32_e32 v0, 2, v1
	v_writelane_b32 v95, s10, 24
	s_and_b32 s10, vcc_lo, s7
	v_cmp_eq_u32_e32 vcc_lo, 9, v63
	v_dual_add_nc_u32 v49, v49, v45 :: v_dual_lshlrev_b32 v51, 2, v51
	v_writelane_b32 v95, s10, 25
	v_mul_u32_u24_e32 v52, 0x104, v1
	v_lshrrev_b32_e32 v65, 4, v30
	v_add_nc_u32_e32 v54, 0x4000, v0
	v_lshl_or_b32 v55, v1, 8, v51
	v_writelane_b32 v95, s8, 26
	s_and_b32 s8, s9, s7
	v_dual_sub_nc_u32 v0, v52, v0 :: v_dual_lshlrev_b32 v1, 2, v65
	v_lshrrev_b32_e32 v62, 5, v30
	v_writelane_b32 v95, s8, 27
	s_and_b32 s8, vcc_lo, s7
	v_cmp_lt_u32_e32 vcc_lo, 9, v63
	v_mul_u32_u24_e32 v57, 0x104, v65
	v_dual_add_nc_u32 v58, v0, v51 :: v_dual_lshlrev_b32 v60, 2, v60
	v_writelane_b32 v95, s8, 28
	s_and_b32 s8, vcc_lo, s7
	v_cmp_eq_u32_e32 vcc_lo, 10, v63
	v_dual_sub_nc_u32 v0, v57, v1 :: v_dual_lshlrev_b32 v61, 2, v62
	v_writelane_b32 v95, s8, 29
	s_load_b64 s[78:79], s[0:1], 0x50
	s_and_b32 s8, vcc_lo, s7
	v_cmp_lt_u32_e32 vcc_lo, 10, v63
	s_load_b128 s[72:75], s[0:1], 0x8
	v_writelane_b32 v95, s8, 30
	v_lshlrev_b32_e32 v62, 8, v62
	v_add_nc_u32_e32 v64, 0x4000, v1
	s_and_b32 s8, vcc_lo, s7
	v_cmp_eq_u32_e32 vcc_lo, 11, v63
	v_writelane_b32 v95, s8, 31
	v_cmp_gt_u32_e64 s43, 0xf0, v30
                                        ; implicit-def: $vgpr92 : SGPR spill to VGPR lane
	v_mad_u32_u24 v5, 0xfc, v4, v3
	s_wait_kmcnt 0x0
	v_mul_u64_e32 v[22:23], s[70:71], v[22:23]
	s_and_b32 s8, vcc_lo, s7
	v_cmp_lt_u32_e32 vcc_lo, 11, v63
	v_writelane_b32 v94, s8, 0
	v_mad_i32_i24 v9, 0xffffff04, v4, v5
	v_mul_i32_i24_e32 v81, 0xffffff04, v4
	v_lshlrev_b32_e32 v76, 2, v31
	s_and_b32 s8, vcc_lo, s7
	v_cmp_eq_u32_e32 vcc_lo, 12, v63
	v_writelane_b32 v94, s8, 1
	v_mad_u32_u24 v34, 0xfc, v4, v9
	v_dual_lshlrev_b32 v80, 2, v2 :: v_dual_bitop2_b32 v31, v28, v4 bitop3:0x54
	v_lshlrev_b32_e32 v79, 2, v27
	s_and_b32 s8, vcc_lo, s7
	v_cmp_lt_u32_e32 vcc_lo, 12, v63
	v_writelane_b32 v94, s8, 2
	v_mad_i32_i24 v35, 0xffffff04, v4, v34
	v_mad_i32_i24 v69, 0xffffff04, v4, v43
	v_or_b32_e32 v71, 0x5000, v80
	s_and_b32 s8, vcc_lo, s7
	v_cmp_eq_u32_e32 vcc_lo, 13, v63
	v_writelane_b32 v94, s8, 3
	v_mad_u32_u24 v36, 0xfc, v4, v35
	v_dual_lshlrev_b32 v77, 2, v32 :: v_dual_lshlrev_b32 v78, 2, v29
	s_and_b32 s8, vcc_lo, s7
	v_cmp_lt_u32_e32 vcc_lo, 13, v63
	v_writelane_b32 v94, s8, 4
	v_mad_i32_i24 v38, 0xffffff04, v4, v36
	v_or_b32_e32 v29, v26, v4
	v_lshl_add_u32 v37, v40, 2, 0x4000
	s_and_b32 s8, vcc_lo, s7
	v_cmp_eq_u32_e32 vcc_lo, 14, v63
	v_writelane_b32 v94, s8, 5
	v_mad_u32_u24 v42, 0xfc, v4, v38
	v_mul_u32_u24_e32 v40, 0x104, v40
	v_mul_u32_u24_e32 v44, 0xfc, v4
	s_and_b32 s8, vcc_lo, s7
	v_cmp_lt_u32_e32 vcc_lo, 14, v63
	v_writelane_b32 v94, s8, 6
	v_mad_i32_i24 v46, 0xffffff04, v4, v42
	v_lshl_or_b32 v65, v65, 8, v60
	v_add_nc_u32_e32 v67, 0x4000, v61
	s_and_b32 s8, vcc_lo, s7
	v_cmp_eq_u32_e32 vcc_lo, 15, v63
	v_writelane_b32 v94, s8, 7
	v_mad_u32_u24 v50, 0xfc, v4, v46
	v_lshl_add_u32 v70, v8, 2, 0x5000
	v_lshl_add_u32 v72, v30, 2, 0x4000
	s_and_b32 s8, vcc_lo, s7
	v_cmp_lt_u32_e32 vcc_lo, 15, v63
	v_writelane_b32 v94, s8, 8
	v_mad_i32_i24 v53, 0xffffff04, v4, v50
	v_add_nc_u32_e32 v73, 0x4000, v3
	v_lshl_add_u32 v74, v2, 8, v69
	s_and_b32 s8, vcc_lo, s7
	v_cmp_eq_u32_e32 vcc_lo, 16, v63
	v_writelane_b32 v94, s8, 9
	v_mad_u32_u24 v56, 0xfc, v4, v53
	v_add_nc_u32_e32 v75, v71, v3
	v_add_nc_u32_e32 v80, v43, v80
	s_and_b32 s8, vcc_lo, s7
	v_cmp_lt_u32_e32 vcc_lo, 16, v63
	v_writelane_b32 v94, s8, 10
	v_mad_i32_i24 v59, 0xffffff04, v4, v56
	v_subrev_nc_u32_e32 v82, 63, v4
	v_cmp_gt_u32_e64 s14, 8, v30
	s_and_b32 s8, vcc_lo, s7
	v_cmp_eq_u32_e32 vcc_lo, 17, v63
	v_writelane_b32 v94, s8, 11
	v_cmp_gt_u32_e64 s15, 56, v30
	v_cmp_gt_u32_e64 s18, 32, v30
	;; [unrolled: 1-line block ×3, first 2 shown]
	s_and_b32 s8, vcc_lo, s7
	v_cmp_lt_u32_e32 vcc_lo, 17, v63
	v_writelane_b32 v94, s8, 12
	v_cmp_eq_u32_e64 s55, 0, v8
	v_cmp_gt_u32_e64 s56, 64, v8
                                        ; implicit-def: $vgpr83
                                        ; implicit-def: $vgpr84
                                        ; implicit-def: $vgpr85
                                        ; implicit-def: $vgpr86
	s_and_b32 s8, vcc_lo, s7
	v_cmp_eq_u32_e32 vcc_lo, 18, v63
	v_writelane_b32 v94, s8, 13
	s_and_b32 s8, vcc_lo, s7
	v_cmp_lt_u32_e32 vcc_lo, 18, v63
	v_writelane_b32 v94, s8, 14
	s_and_b32 s8, vcc_lo, s7
	v_cmp_eq_u32_e32 vcc_lo, 19, v63
	v_writelane_b32 v94, s8, 15
	s_and_b32 s8, vcc_lo, s7
	v_cmp_lt_u32_e32 vcc_lo, 19, v63
	v_writelane_b32 v94, s8, 16
	;; [unrolled: 6-line block ×12, first 2 shown]
	s_and_b32 s8, vcc_lo, s7
	v_cmp_eq_u32_e32 vcc_lo, 30, v63
	v_writelane_b32 v93, s8, 5
	s_and_b32 s8, vcc_lo, s7
	v_cmp_eq_u32_e32 vcc_lo, 31, v63
	v_writelane_b32 v93, s8, 6
	v_cmp_gt_u32_e64 s8, 32, v4
	v_dual_lshlrev_b32 v63, 2, v63 :: v_dual_add_nc_u32 v66, v0, v60
	s_and_b32 s87, vcc_lo, s7
	v_cmp_le_i32_e32 vcc_lo, s13, v4
	s_and_b32 s8, s3, s8
	v_mul_u64_e32 v[0:1], s[70:71], v[24:25]
	v_writelane_b32 v93, s8, 7
	v_add_nc_u32_e32 v25, 0x50, v33
	s_and_b32 s9, vcc_lo, s40
	v_or_b32_e32 v68, v62, v63
	s_xor_b32 s8, s9, -1
	v_writelane_b32 v93, s9, 8
	s_and_b32 s40, s3, s8
	v_cmp_le_i32_e64 s8, s13, v2
	s_cmp_gt_i32 s84, 0
	s_cselect_b32 s41, -1, 0
	s_lshl_b64 s[80:81], s[16:17], 2
	s_or_b32 s9, s8, vcc_lo
	v_cmp_le_i32_e64 s8, s13, v6
	v_cmp_gt_u32_e64 s16, 48, v30
	v_cmp_gt_u32_e64 s17, 40, v30
	s_add_co_i32 s42, s42, 1
	s_lshl_b64 s[74:75], s[74:75], 2
	s_or_b32 s10, s8, vcc_lo
	v_cmp_le_i32_e64 s8, s13, v28
	s_lshl_b64 s[68:69], s[68:69], 2
	s_or_b32 s11, s8, vcc_lo
	v_cmp_le_i32_e64 s8, s13, v26
	s_or_b32 s12, s8, vcc_lo
	v_cmp_gt_i32_e32 vcc_lo, s13, v4
	v_cmp_gt_u32_e64 s13, 12, v30
	s_and_b32 s0, s3, vcc_lo
	v_cmp_gt_i32_e32 vcc_lo, s76, v20
	v_writelane_b32 v93, s0, 9
	v_cmp_gt_i32_e64 s0, s76, v24
	v_add_nc_u32_e32 v24, 0x60, v33
	s_and_b32 s1, vcc_lo, s0
	v_cmp_gt_i32_e32 vcc_lo, s76, v25
	v_writelane_b32 v93, s1, 10
	v_add_nc_u32_e32 v25, 0x70, v33
	s_and_b32 s1, vcc_lo, s0
	v_cmp_gt_i32_e32 vcc_lo, s76, v24
	v_writelane_b32 v93, s1, 11
	v_or_b32_e32 v24, v6, v4
	s_and_b32 s1, vcc_lo, s0
	v_cmp_gt_i32_e32 vcc_lo, s76, v25
	v_writelane_b32 v93, s1, 12
	v_mad_u32_u24 v25, 0xfc, v4, v81
	s_and_b32 s1, vcc_lo, s0
	s_delay_alu instid0(SALU_CYCLE_1) | instskip(SKIP_2) | instid1(SALU_CYCLE_1)
	v_writelane_b32 v93, s1, 13
	v_cmp_le_u32_e64 s1, v4, v2
	s_or_b32 s8, s9, s1
	v_writelane_b32 v93, s8, 14
	v_cmp_le_u32_e64 s8, v4, v6
	v_mul_lo_u32 v6, v25, 7
	v_mov_b32_e32 v25, 1.0
	s_or_b32 s9, s10, s8
	s_delay_alu instid0(SALU_CYCLE_1) | instskip(SKIP_1) | instid1(VALU_DEP_4)
	v_writelane_b32 v93, s9, 15
	v_cmp_le_u32_e64 s9, v4, v28
	v_add3_u32 v81, v6, v3, 0x3c00
	s_or_b32 s10, s11, s9
	v_lshlrev_b32_e32 v6, 2, v4
	v_writelane_b32 v93, s10, 16
	v_cmp_le_u32_e64 s10, v4, v26
	s_or_b32 s11, s12, s10
	v_cmp_gt_u32_e64 s12, 2, v30
	v_writelane_b32 v93, s11, 17
	v_cmp_eq_u32_e64 s11, 0, v87
	v_writelane_b32 v93, s43, 18
	v_cmp_gt_u32_e64 s43, 0xe0, v30
	s_delay_alu instid0(VALU_DEP_1) | instskip(SKIP_1) | instid1(VALU_DEP_1)
	v_writelane_b32 v93, s43, 19
	v_cmp_gt_u32_e64 s43, 0xd0, v30
	v_writelane_b32 v93, s43, 20
	v_cmp_gt_u32_e64 s43, 0xc0, v30
	s_delay_alu instid0(VALU_DEP_1) | instskip(SKIP_1) | instid1(VALU_DEP_1)
	v_writelane_b32 v93, s43, 21
	v_cmp_gt_u32_e64 s43, 0xb0, v30
	;; [unrolled: 5-line block ×18, first 2 shown]
	v_writelane_b32 v92, s43, 22
	v_cmp_gt_u32_e64 s43, 64, v29
	s_delay_alu instid0(VALU_DEP_1)
	v_writelane_b32 v92, s43, 23
	s_branch .LBB105_3
.LBB105_2:                              ;   in Loop: Header=BB105_3 Depth=1
	s_wait_xcnt 0x0
	s_or_b32 exec_lo, exec_lo, s43
	v_readlane_b32 s43, v95, 0
	s_add_co_i32 s62, s62, 0x10000
	global_wb scope:SCOPE_DEV
	s_wait_storecnt 0x0
	global_inv scope:SCOPE_DEV
	s_cmp_lt_u32 s62, s43
	s_cbranch_scc0 .LBB105_1225
.LBB105_3:                              ; =>This Loop Header: Depth=1
                                        ;     Child Loop BB105_1094 Depth 2
                                        ;       Child Loop BB105_1096 Depth 3
                                        ;     Child Loop BB105_1131 Depth 2
	v_mov_b32_e32 v24, s62
	v_readlane_b32 s43, v95, 1
	s_clause 0x1
	global_load_b64 v[26:27], v24, s[72:73] scale_offset
	global_load_b64 v[28:29], v24, s[66:67] scale_offset
	global_load_b32 v87, v7, s[64:65]
	s_and_not1_b32 vcc_lo, exec_lo, s43
	s_wait_loadcnt 0x2
	v_add_nc_u64_e32 v[30:31], s[74:75], v[26:27]
	s_delay_alu instid0(VALU_DEP_1)
	v_lshl_add_u64 v[26:27], v[10:11], 2, v[30:31]
	s_cbranch_vccnz .LBB105_13
; %bb.4:                                ;   in Loop: Header=BB105_3 Depth=1
	s_delay_alu instid0(VALU_DEP_1)
	v_lshl_add_u64 v[32:33], v[20:21], 2, v[26:27]
	v_dual_mov_b32 v84, 0 :: v_dual_mov_b32 v83, 0
	s_wait_loadcnt 0x0
	s_barrier_signal -1
	s_barrier_wait -1
	s_wait_xcnt 0x0
	s_mov_b32 s43, exec_lo
	v_readlane_b32 s44, v93, 10
	s_and_b32 s44, s43, s44
	s_delay_alu instid0(SALU_CYCLE_1)
	s_mov_b32 exec_lo, s44
	s_cbranch_execz .LBB105_6
; %bb.5:                                ;   in Loop: Header=BB105_3 Depth=1
	flat_load_b32 v83, v[32:33]
.LBB105_6:                              ;   in Loop: Header=BB105_3 Depth=1
	s_wait_xcnt 0x0
	s_or_b32 exec_lo, exec_lo, s43
	s_wait_loadcnt_dscnt 0x0
	s_barrier_signal -1
	s_barrier_wait -1
	s_mov_b32 s43, exec_lo
	v_readlane_b32 s44, v93, 11
	s_and_b32 s44, s43, s44
	s_delay_alu instid0(SALU_CYCLE_1)
	s_mov_b32 exec_lo, s44
	s_cbranch_execz .LBB105_8
; %bb.7:                                ;   in Loop: Header=BB105_3 Depth=1
	flat_load_b32 v84, v[32:33] offset:64
.LBB105_8:                              ;   in Loop: Header=BB105_3 Depth=1
	s_wait_xcnt 0x0
	s_or_b32 exec_lo, exec_lo, s43
	v_dual_mov_b32 v86, 0 :: v_dual_mov_b32 v85, 0
	s_wait_loadcnt_dscnt 0x0
	s_barrier_signal -1
	s_barrier_wait -1
	s_mov_b32 s43, exec_lo
	v_readlane_b32 s44, v93, 12
	s_and_b32 s44, s43, s44
	s_delay_alu instid0(SALU_CYCLE_1)
	s_mov_b32 exec_lo, s44
	s_cbranch_execz .LBB105_10
; %bb.9:                                ;   in Loop: Header=BB105_3 Depth=1
	flat_load_b32 v85, v[32:33] offset:128
.LBB105_10:                             ;   in Loop: Header=BB105_3 Depth=1
	s_wait_xcnt 0x0
	s_or_b32 exec_lo, exec_lo, s43
	s_wait_loadcnt_dscnt 0x0
	s_barrier_signal -1
	s_barrier_wait -1
	s_mov_b32 s43, exec_lo
	v_readlane_b32 s44, v93, 13
	s_and_b32 s44, s43, s44
	s_delay_alu instid0(SALU_CYCLE_1)
	s_mov_b32 exec_lo, s44
	s_cbranch_execz .LBB105_12
; %bb.11:                               ;   in Loop: Header=BB105_3 Depth=1
	flat_load_b32 v86, v[32:33] offset:192
.LBB105_12:                             ;   in Loop: Header=BB105_3 Depth=1
	s_wait_xcnt 0x0
	s_or_b32 exec_lo, exec_lo, s43
.LBB105_13:                             ;   in Loop: Header=BB105_3 Depth=1
	v_add_nc_u64_e32 v[30:31], s[80:81], v[30:31]
	s_and_not1_b32 vcc_lo, exec_lo, s86
	s_mov_b32 s43, -1
	s_delay_alu instid0(VALU_DEP_1)
	v_add_nc_u64_e32 v[30:31], v[30:31], v[6:7]
	s_cbranch_vccnz .LBB105_24
; %bb.14:                               ;   in Loop: Header=BB105_3 Depth=1
	s_wait_xcnt 0x0
	s_and_saveexec_b32 s43, s1
	s_delay_alu instid0(SALU_CYCLE_1)
	s_xor_b32 s43, exec_lo, s43
	s_cbranch_execnz .LBB105_1153
; %bb.15:                               ;   in Loop: Header=BB105_3 Depth=1
	s_and_not1_saveexec_b32 s43, s43
	s_cbranch_execnz .LBB105_1156
.LBB105_16:                             ;   in Loop: Header=BB105_3 Depth=1
	s_or_b32 exec_lo, exec_lo, s43
	s_and_saveexec_b32 s43, s8
	s_delay_alu instid0(SALU_CYCLE_1)
	s_xor_b32 s43, exec_lo, s43
	s_cbranch_execnz .LBB105_1157
.LBB105_17:                             ;   in Loop: Header=BB105_3 Depth=1
	s_and_not1_saveexec_b32 s43, s43
	s_cbranch_execnz .LBB105_1160
.LBB105_18:                             ;   in Loop: Header=BB105_3 Depth=1
	s_or_b32 exec_lo, exec_lo, s43
	s_and_saveexec_b32 s43, s9
	s_delay_alu instid0(SALU_CYCLE_1)
	s_xor_b32 s43, exec_lo, s43
	s_cbranch_execnz .LBB105_1161
.LBB105_19:                             ;   in Loop: Header=BB105_3 Depth=1
	s_and_not1_saveexec_b32 s43, s43
	s_cbranch_execnz .LBB105_1164
.LBB105_20:                             ;   in Loop: Header=BB105_3 Depth=1
	s_or_b32 exec_lo, exec_lo, s43
	s_and_saveexec_b32 s43, s10
	s_delay_alu instid0(SALU_CYCLE_1)
	s_xor_b32 s43, exec_lo, s43
	s_cbranch_execnz .LBB105_1165
.LBB105_21:                             ;   in Loop: Header=BB105_3 Depth=1
	s_and_not1_saveexec_b32 s43, s43
	s_cbranch_execz .LBB105_23
.LBB105_22:                             ;   in Loop: Header=BB105_3 Depth=1
	v_lshl_add_u64 v[32:33], v[18:19], 2, v[30:31]
	flat_load_b32 v24, v[32:33]
	s_wait_loadcnt_dscnt 0x0
	v_xor_b32_e32 v24, 0x80000000, v24
	ds_store_b32 v79, v24
.LBB105_23:                             ;   in Loop: Header=BB105_3 Depth=1
	s_or_b32 exec_lo, exec_lo, s43
	s_mov_b32 s43, 0
.LBB105_24:                             ;   in Loop: Header=BB105_3 Depth=1
	s_delay_alu instid0(SALU_CYCLE_1)
	s_and_b32 vcc_lo, exec_lo, s43
	s_cbranch_vccz .LBB105_50
; %bb.25:                               ;   in Loop: Header=BB105_3 Depth=1
	s_wait_xcnt 0x0
	s_mov_b32 s43, exec_lo
	v_readlane_b32 s44, v93, 14
	s_and_b32 s44, s43, s44
	s_delay_alu instid0(SALU_CYCLE_1)
	s_xor_b32 s43, s44, s43
	s_mov_b32 exec_lo, s44
	s_cbranch_execz .LBB105_29
; %bb.26:                               ;   in Loop: Header=BB105_3 Depth=1
	s_mov_b32 s44, exec_lo
	v_readlane_b32 s45, v92, 20
	s_and_b32 s45, s44, s45
	s_delay_alu instid0(SALU_CYCLE_1)
	s_mov_b32 exec_lo, s45
; %bb.27:                               ;   in Loop: Header=BB105_3 Depth=1
	ds_store_b32 v80, v7
; %bb.28:                               ;   in Loop: Header=BB105_3 Depth=1
	s_or_b32 exec_lo, exec_lo, s44
.LBB105_29:                             ;   in Loop: Header=BB105_3 Depth=1
	s_and_not1_saveexec_b32 s43, s43
	s_cbranch_execz .LBB105_31
; %bb.30:                               ;   in Loop: Header=BB105_3 Depth=1
	v_lshl_add_u64 v[32:33], v[12:13], 2, v[30:31]
	flat_load_b32 v24, v[32:33]
	s_wait_loadcnt_dscnt 0x0
	v_xor_b32_e32 v24, 0x80000000, v24
	ds_store_b32 v80, v24
.LBB105_31:                             ;   in Loop: Header=BB105_3 Depth=1
	s_or_b32 exec_lo, exec_lo, s43
	s_delay_alu instid0(SALU_CYCLE_1) | instskip(SKIP_2) | instid1(SALU_CYCLE_1)
	s_mov_b32 s43, exec_lo
	v_readlane_b32 s44, v93, 15
	s_and_b32 s44, s43, s44
	s_xor_b32 s43, s44, s43
	s_mov_b32 exec_lo, s44
	s_cbranch_execz .LBB105_35
; %bb.32:                               ;   in Loop: Header=BB105_3 Depth=1
	s_mov_b32 s44, exec_lo
	v_readlane_b32 s45, v92, 21
	s_and_b32 s45, s44, s45
	s_delay_alu instid0(SALU_CYCLE_1)
	s_mov_b32 exec_lo, s45
; %bb.33:                               ;   in Loop: Header=BB105_3 Depth=1
	ds_store_b32 v77, v7
; %bb.34:                               ;   in Loop: Header=BB105_3 Depth=1
	s_or_b32 exec_lo, exec_lo, s44
.LBB105_35:                             ;   in Loop: Header=BB105_3 Depth=1
	s_and_not1_saveexec_b32 s43, s43
	s_cbranch_execz .LBB105_37
; %bb.36:                               ;   in Loop: Header=BB105_3 Depth=1
	v_lshl_add_u64 v[32:33], v[14:15], 2, v[30:31]
	flat_load_b32 v24, v[32:33]
	s_wait_loadcnt_dscnt 0x0
	v_xor_b32_e32 v24, 0x80000000, v24
	ds_store_b32 v77, v24
.LBB105_37:                             ;   in Loop: Header=BB105_3 Depth=1
	s_or_b32 exec_lo, exec_lo, s43
	s_delay_alu instid0(SALU_CYCLE_1) | instskip(SKIP_2) | instid1(SALU_CYCLE_1)
	s_mov_b32 s43, exec_lo
	v_readlane_b32 s44, v93, 16
	s_and_b32 s44, s43, s44
	;; [unrolled: 28-line block ×3, first 2 shown]
	s_xor_b32 s43, s44, s43
	s_mov_b32 exec_lo, s44
	s_cbranch_execz .LBB105_47
; %bb.44:                               ;   in Loop: Header=BB105_3 Depth=1
	s_mov_b32 s44, exec_lo
	v_readlane_b32 s45, v92, 23
	s_and_b32 s45, s44, s45
	s_delay_alu instid0(SALU_CYCLE_1)
	s_mov_b32 exec_lo, s45
; %bb.45:                               ;   in Loop: Header=BB105_3 Depth=1
	ds_store_b32 v79, v7
; %bb.46:                               ;   in Loop: Header=BB105_3 Depth=1
	s_or_b32 exec_lo, exec_lo, s44
                                        ; implicit-def: $vgpr30_vgpr31
.LBB105_47:                             ;   in Loop: Header=BB105_3 Depth=1
	s_and_not1_saveexec_b32 s43, s43
	s_cbranch_execz .LBB105_49
; %bb.48:                               ;   in Loop: Header=BB105_3 Depth=1
	v_lshl_add_u64 v[30:31], v[18:19], 2, v[30:31]
	flat_load_b32 v24, v[30:31]
	s_wait_loadcnt_dscnt 0x0
	v_xor_b32_e32 v24, 0x80000000, v24
	ds_store_b32 v79, v24
.LBB105_49:                             ;   in Loop: Header=BB105_3 Depth=1
	s_or_b32 exec_lo, exec_lo, s43
.LBB105_50:                             ;   in Loop: Header=BB105_3 Depth=1
	s_delay_alu instid0(SALU_CYCLE_1)
	s_and_not1_b32 vcc_lo, exec_lo, s88
	s_wait_loadcnt_dscnt 0x0
	s_barrier_signal -1
	s_barrier_wait -1
	s_cbranch_vccnz .LBB105_1088
; %bb.51:                               ;   in Loop: Header=BB105_3 Depth=1
	s_wait_xcnt 0x0
	s_and_saveexec_b32 s43, s11
	s_cbranch_execz .LBB105_53
; %bb.52:                               ;   in Loop: Header=BB105_3 Depth=1
	ds_load_b32 v24, v7 offset:4
	ds_store_b32 v7, v25
	s_wait_dscnt 0x1
	ds_store_b64 v7, v[24:25] offset:256
.LBB105_53:                             ;   in Loop: Header=BB105_3 Depth=1
	s_or_b32 exec_lo, exec_lo, s43
	v_mov_b32_e32 v24, 0
	s_wait_dscnt 0x0
	s_barrier_signal -1
	s_barrier_wait -1
	s_and_saveexec_b32 s43, s2
	s_cbranch_execz .LBB105_57
; %bb.54:                               ;   in Loop: Header=BB105_3 Depth=1
	ds_load_b32 v24, v39 offset:8
	ds_load_b32 v30, v40
	s_wait_dscnt 0x0
	v_fma_f32 v24, v24, v30, 0
	s_and_saveexec_b32 s44, s12
	s_cbranch_execz .LBB105_56
; %bb.55:                               ;   in Loop: Header=BB105_3 Depth=1
	ds_load_b32 v30, v3 offset:264
	ds_load_b32 v31, v7 offset:4
	s_wait_dscnt 0x0
	v_fmac_f32_e32 v24, v30, v31
.LBB105_56:                             ;   in Loop: Header=BB105_3 Depth=1
	s_or_b32 exec_lo, exec_lo, s44
	s_delay_alu instid0(VALU_DEP_1)
	v_xor_b32_e32 v24, 0x80000000, v24
.LBB105_57:                             ;   in Loop: Header=BB105_3 Depth=1
	s_or_b32 exec_lo, exec_lo, s43
	s_and_saveexec_b32 s43, s89
; %bb.58:                               ;   in Loop: Header=BB105_3 Depth=1
	ds_store_b32 v37, v24
; %bb.59:                               ;   in Loop: Header=BB105_3 Depth=1
	s_or_b32 exec_lo, exec_lo, s43
	s_wait_dscnt 0x0
	s_barrier_signal -1
	s_barrier_wait -1
	s_and_saveexec_b32 s43, s90
	s_cbranch_execz .LBB105_61
; %bb.60:                               ;   in Loop: Header=BB105_3 Depth=1
	ds_load_b32 v30, v7 offset:524
	ds_load_b32 v31, v37
	s_wait_dscnt 0x0
	v_fmac_f32_e32 v24, v30, v31
.LBB105_61:                             ;   in Loop: Header=BB105_3 Depth=1
	s_or_b32 exec_lo, exec_lo, s43
	s_barrier_signal -1
	s_barrier_wait -1
	s_and_saveexec_b32 s43, s90
; %bb.62:                               ;   in Loop: Header=BB105_3 Depth=1
	ds_store_b32 v37, v24
; %bb.63:                               ;   in Loop: Header=BB105_3 Depth=1
	s_or_b32 exec_lo, exec_lo, s43
	s_wait_dscnt 0x0
	s_barrier_signal -1
	s_barrier_wait -1
	s_barrier_signal -1
	s_barrier_wait -1
	s_and_saveexec_b32 s43, s2
; %bb.64:                               ;   in Loop: Header=BB105_3 Depth=1
	v_xor_b32_e32 v24, 0x80000000, v24
	ds_store_b32 v39, v24 offset:8
; %bb.65:                               ;   in Loop: Header=BB105_3 Depth=1
	s_or_b32 exec_lo, exec_lo, s43
	s_wait_dscnt 0x0
	s_barrier_signal -1
	s_barrier_wait -1
	s_barrier_signal -1
	s_barrier_wait -1
	s_and_saveexec_b32 s43, s91
	s_cbranch_execz .LBB105_67
; %bb.66:                               ;   in Loop: Header=BB105_3 Depth=1
	ds_load_b32 v24, v5 offset:8
	s_wait_dscnt 0x0
	ds_store_b32 v3, v24 offset:512
	ds_load_b32 v24, v5 offset:12
	s_wait_dscnt 0x0
	ds_store_b32 v3, v24 offset:768
.LBB105_67:                             ;   in Loop: Header=BB105_3 Depth=1
	s_or_b32 exec_lo, exec_lo, s43
	s_wait_dscnt 0x0
	s_barrier_signal -1
	s_barrier_wait -1
	s_and_saveexec_b32 s43, s11
	s_cbranch_execz .LBB105_69
; %bb.68:                               ;   in Loop: Header=BB105_3 Depth=1
	ds_load_b32 v24, v7 offset:524
	ds_store_b32 v7, v25 offset:520
	s_wait_dscnt 0x1
	ds_store_b64 v7, v[24:25] offset:776
.LBB105_69:                             ;   in Loop: Header=BB105_3 Depth=1
	s_or_b32 exec_lo, exec_lo, s43
	v_mov_b32_e32 v24, 0
	s_wait_dscnt 0x0
	s_barrier_signal -1
	s_barrier_wait -1
	s_and_saveexec_b32 s43, s4
	s_cbranch_execz .LBB105_75
; %bb.70:                               ;   in Loop: Header=BB105_3 Depth=1
	ds_load_b32 v24, v48 offset:16
	ds_load_b32 v30, v41
	s_wait_dscnt 0x0
	v_fma_f32 v24, v24, v30, 0
	s_and_saveexec_b32 s44, s13
	s_cbranch_execnz .LBB105_1175
; %bb.71:                               ;   in Loop: Header=BB105_3 Depth=1
	s_or_b32 exec_lo, exec_lo, s44
	s_and_saveexec_b32 s44, s14
	s_cbranch_execnz .LBB105_1176
.LBB105_72:                             ;   in Loop: Header=BB105_3 Depth=1
	s_or_b32 exec_lo, exec_lo, s44
	s_and_saveexec_b32 s44, s2
	s_cbranch_execz .LBB105_74
.LBB105_73:                             ;   in Loop: Header=BB105_3 Depth=1
	ds_load_b32 v30, v9 offset:784
	ds_load_b32 v31, v7 offset:12
	s_wait_dscnt 0x0
	v_fmac_f32_e32 v24, v30, v31
.LBB105_74:                             ;   in Loop: Header=BB105_3 Depth=1
	s_or_b32 exec_lo, exec_lo, s44
	s_delay_alu instid0(VALU_DEP_1)
	v_xor_b32_e32 v24, 0x80000000, v24
.LBB105_75:                             ;   in Loop: Header=BB105_3 Depth=1
	s_or_b32 exec_lo, exec_lo, s43
	s_and_saveexec_b32 s43, s92
; %bb.76:                               ;   in Loop: Header=BB105_3 Depth=1
	ds_store_b32 v47, v24
; %bb.77:                               ;   in Loop: Header=BB105_3 Depth=1
	s_or_b32 exec_lo, exec_lo, s43
	s_wait_dscnt 0x0
	s_barrier_signal -1
	s_barrier_wait -1
	s_and_saveexec_b32 s43, s93
	s_cbranch_execz .LBB105_79
; %bb.78:                               ;   in Loop: Header=BB105_3 Depth=1
	ds_load_b32 v30, v45 offset:1040
	ds_load_b32 v31, v47
	s_wait_dscnt 0x0
	v_fmac_f32_e32 v24, v30, v31
.LBB105_79:                             ;   in Loop: Header=BB105_3 Depth=1
	s_or_b32 exec_lo, exec_lo, s43
	s_barrier_signal -1
	s_barrier_wait -1
	s_and_saveexec_b32 s43, s94
; %bb.80:                               ;   in Loop: Header=BB105_3 Depth=1
	ds_store_b32 v47, v24
; %bb.81:                               ;   in Loop: Header=BB105_3 Depth=1
	s_or_b32 exec_lo, exec_lo, s43
	s_wait_dscnt 0x0
	s_barrier_signal -1
	s_barrier_wait -1
	s_and_saveexec_b32 s43, s95
	s_cbranch_execz .LBB105_83
; %bb.82:                               ;   in Loop: Header=BB105_3 Depth=1
	ds_load_b32 v30, v45 offset:1296
	ds_load_b32 v31, v47
	s_wait_dscnt 0x0
	v_fmac_f32_e32 v24, v30, v31
.LBB105_83:                             ;   in Loop: Header=BB105_3 Depth=1
	s_or_b32 exec_lo, exec_lo, s43
	s_barrier_signal -1
	s_barrier_wait -1
	;; [unrolled: 19-line block ×3, first 2 shown]
	s_and_saveexec_b32 s43, s97
; %bb.88:                               ;   in Loop: Header=BB105_3 Depth=1
	ds_store_b32 v47, v24
; %bb.89:                               ;   in Loop: Header=BB105_3 Depth=1
	s_or_b32 exec_lo, exec_lo, s43
	s_wait_dscnt 0x0
	s_barrier_signal -1
	s_barrier_wait -1
	s_barrier_signal -1
	s_barrier_wait -1
	s_and_saveexec_b32 s43, s4
; %bb.90:                               ;   in Loop: Header=BB105_3 Depth=1
	v_xor_b32_e32 v24, 0x80000000, v24
	ds_store_b32 v48, v24 offset:16
; %bb.91:                               ;   in Loop: Header=BB105_3 Depth=1
	s_or_b32 exec_lo, exec_lo, s43
	s_wait_dscnt 0x0
	s_barrier_signal -1
	s_barrier_wait -1
	s_barrier_signal -1
	s_barrier_wait -1
	s_and_saveexec_b32 s43, s98
	s_cbranch_execz .LBB105_93
; %bb.92:                               ;   in Loop: Header=BB105_3 Depth=1
	ds_load_b32 v24, v34 offset:16
	s_wait_dscnt 0x0
	ds_store_b32 v35, v24 offset:1024
	ds_load_b32 v24, v34 offset:20
	s_wait_dscnt 0x0
	ds_store_b32 v35, v24 offset:1280
	;; [unrolled: 3-line block ×4, first 2 shown]
.LBB105_93:                             ;   in Loop: Header=BB105_3 Depth=1
	s_or_b32 exec_lo, exec_lo, s43
	s_wait_dscnt 0x0
	s_barrier_signal -1
	s_barrier_wait -1
	s_and_saveexec_b32 s43, s11
	s_cbranch_execz .LBB105_95
; %bb.94:                               ;   in Loop: Header=BB105_3 Depth=1
	ds_load_b32 v24, v7 offset:1044
	ds_store_b32 v7, v25 offset:1040
	s_wait_dscnt 0x1
	ds_store_b64 v7, v[24:25] offset:1296
.LBB105_95:                             ;   in Loop: Header=BB105_3 Depth=1
	s_or_b32 exec_lo, exec_lo, s43
	v_mov_b32_e32 v24, 0
	s_wait_dscnt 0x0
	s_barrier_signal -1
	s_barrier_wait -1
	s_and_saveexec_b32 s43, s2
	s_cbranch_execz .LBB105_99
; %bb.96:                               ;   in Loop: Header=BB105_3 Depth=1
	ds_load_b32 v24, v39 offset:1048
	ds_load_b32 v30, v40 offset:1040
	s_wait_dscnt 0x0
	v_fma_f32 v24, v24, v30, 0
	s_and_saveexec_b32 s44, s12
	s_cbranch_execz .LBB105_98
; %bb.97:                               ;   in Loop: Header=BB105_3 Depth=1
	ds_load_b32 v30, v35 offset:1304
	ds_load_b32 v31, v7 offset:1044
	s_wait_dscnt 0x0
	v_fmac_f32_e32 v24, v30, v31
.LBB105_98:                             ;   in Loop: Header=BB105_3 Depth=1
	s_or_b32 exec_lo, exec_lo, s44
	s_delay_alu instid0(VALU_DEP_1)
	v_xor_b32_e32 v24, 0x80000000, v24
.LBB105_99:                             ;   in Loop: Header=BB105_3 Depth=1
	s_or_b32 exec_lo, exec_lo, s43
	s_and_saveexec_b32 s43, s89
; %bb.100:                              ;   in Loop: Header=BB105_3 Depth=1
	ds_store_b32 v37, v24
; %bb.101:                              ;   in Loop: Header=BB105_3 Depth=1
	s_or_b32 exec_lo, exec_lo, s43
	s_wait_dscnt 0x0
	s_barrier_signal -1
	s_barrier_wait -1
	s_and_saveexec_b32 s43, s90
	s_cbranch_execz .LBB105_103
; %bb.102:                              ;   in Loop: Header=BB105_3 Depth=1
	ds_load_b32 v30, v7 offset:1564
	ds_load_b32 v31, v37
	s_wait_dscnt 0x0
	v_fmac_f32_e32 v24, v30, v31
.LBB105_103:                            ;   in Loop: Header=BB105_3 Depth=1
	s_or_b32 exec_lo, exec_lo, s43
	s_barrier_signal -1
	s_barrier_wait -1
	s_and_saveexec_b32 s43, s90
; %bb.104:                              ;   in Loop: Header=BB105_3 Depth=1
	ds_store_b32 v37, v24
; %bb.105:                              ;   in Loop: Header=BB105_3 Depth=1
	s_or_b32 exec_lo, exec_lo, s43
	s_wait_dscnt 0x0
	s_barrier_signal -1
	s_barrier_wait -1
	s_barrier_signal -1
	s_barrier_wait -1
	s_and_saveexec_b32 s43, s2
; %bb.106:                              ;   in Loop: Header=BB105_3 Depth=1
	v_xor_b32_e32 v24, 0x80000000, v24
	ds_store_b32 v39, v24 offset:1048
; %bb.107:                              ;   in Loop: Header=BB105_3 Depth=1
	s_or_b32 exec_lo, exec_lo, s43
	s_wait_dscnt 0x0
	s_barrier_signal -1
	s_barrier_wait -1
	s_barrier_signal -1
	s_barrier_wait -1
	s_and_saveexec_b32 s43, s91
	s_cbranch_execz .LBB105_109
; %bb.108:                              ;   in Loop: Header=BB105_3 Depth=1
	ds_load_b32 v24, v36 offset:1048
	s_wait_dscnt 0x0
	ds_store_b32 v35, v24 offset:1552
	ds_load_b32 v24, v36 offset:1052
	s_wait_dscnt 0x0
	ds_store_b32 v35, v24 offset:1808
.LBB105_109:                            ;   in Loop: Header=BB105_3 Depth=1
	s_or_b32 exec_lo, exec_lo, s43
	s_wait_dscnt 0x0
	s_barrier_signal -1
	s_barrier_wait -1
	s_and_saveexec_b32 s43, s11
	s_cbranch_execz .LBB105_111
; %bb.110:                              ;   in Loop: Header=BB105_3 Depth=1
	ds_load_b32 v24, v7 offset:1564
	ds_store_b32 v7, v25 offset:1560
	s_wait_dscnt 0x1
	ds_store_b64 v7, v[24:25] offset:1816
.LBB105_111:                            ;   in Loop: Header=BB105_3 Depth=1
	s_or_b32 exec_lo, exec_lo, s43
	v_mov_b32_e32 v24, 0
	s_wait_dscnt 0x0
	s_barrier_signal -1
	s_barrier_wait -1
	s_and_saveexec_b32 s43, s5
	s_cbranch_execz .LBB105_121
; %bb.112:                              ;   in Loop: Header=BB105_3 Depth=1
	ds_load_b32 v24, v55 offset:32
	ds_load_b32 v30, v52
	s_wait_dscnt 0x0
	v_fma_f32 v24, v24, v30, 0
	s_and_saveexec_b32 s44, s15
	s_cbranch_execnz .LBB105_1177
; %bb.113:                              ;   in Loop: Header=BB105_3 Depth=1
	s_or_b32 exec_lo, exec_lo, s44
	s_and_saveexec_b32 s44, s16
	s_cbranch_execnz .LBB105_1178
.LBB105_114:                            ;   in Loop: Header=BB105_3 Depth=1
	s_or_b32 exec_lo, exec_lo, s44
	s_and_saveexec_b32 s44, s17
	s_cbranch_execnz .LBB105_1179
.LBB105_115:                            ;   in Loop: Header=BB105_3 Depth=1
	s_or_b32 exec_lo, exec_lo, s44
	s_and_saveexec_b32 s44, s18
	s_cbranch_execnz .LBB105_1180
.LBB105_116:                            ;   in Loop: Header=BB105_3 Depth=1
	s_or_b32 exec_lo, exec_lo, s44
	s_and_saveexec_b32 s44, s19
	s_cbranch_execnz .LBB105_1181
.LBB105_117:                            ;   in Loop: Header=BB105_3 Depth=1
	s_or_b32 exec_lo, exec_lo, s44
	s_and_saveexec_b32 s44, s4
	s_cbranch_execnz .LBB105_1182
.LBB105_118:                            ;   in Loop: Header=BB105_3 Depth=1
	s_or_b32 exec_lo, exec_lo, s44
	s_and_saveexec_b32 s44, s14
	s_cbranch_execz .LBB105_120
.LBB105_119:                            ;   in Loop: Header=BB105_3 Depth=1
	ds_load_b32 v30, v38 offset:1824
	ds_load_b32 v31, v7 offset:28
	s_wait_dscnt 0x0
	v_fmac_f32_e32 v24, v30, v31
.LBB105_120:                            ;   in Loop: Header=BB105_3 Depth=1
	s_or_b32 exec_lo, exec_lo, s44
	s_delay_alu instid0(VALU_DEP_1)
	v_xor_b32_e32 v24, 0x80000000, v24
.LBB105_121:                            ;   in Loop: Header=BB105_3 Depth=1
	s_or_b32 exec_lo, exec_lo, s43
	s_and_saveexec_b32 s43, s99
; %bb.122:                              ;   in Loop: Header=BB105_3 Depth=1
	ds_store_b32 v54, v24
; %bb.123:                              ;   in Loop: Header=BB105_3 Depth=1
	s_or_b32 exec_lo, exec_lo, s43
	s_wait_dscnt 0x0
	s_barrier_signal -1
	s_barrier_wait -1
	s_and_saveexec_b32 s43, s100
	s_cbranch_execz .LBB105_125
; %bb.124:                              ;   in Loop: Header=BB105_3 Depth=1
	ds_load_b32 v30, v51 offset:2080
	ds_load_b32 v31, v54
	s_wait_dscnt 0x0
	v_fmac_f32_e32 v24, v30, v31
.LBB105_125:                            ;   in Loop: Header=BB105_3 Depth=1
	s_or_b32 exec_lo, exec_lo, s43
	s_barrier_signal -1
	s_barrier_wait -1
	s_and_saveexec_b32 s43, s101
; %bb.126:                              ;   in Loop: Header=BB105_3 Depth=1
	ds_store_b32 v54, v24
; %bb.127:                              ;   in Loop: Header=BB105_3 Depth=1
	s_or_b32 exec_lo, exec_lo, s43
	s_wait_dscnt 0x0
	s_barrier_signal -1
	s_barrier_wait -1
	s_and_saveexec_b32 s43, s102
	s_cbranch_execz .LBB105_129
; %bb.128:                              ;   in Loop: Header=BB105_3 Depth=1
	ds_load_b32 v30, v51 offset:2336
	ds_load_b32 v31, v54
	s_wait_dscnt 0x0
	v_fmac_f32_e32 v24, v30, v31
.LBB105_129:                            ;   in Loop: Header=BB105_3 Depth=1
	s_or_b32 exec_lo, exec_lo, s43
	s_barrier_signal -1
	s_barrier_wait -1
	;; [unrolled: 19-line block ×3, first 2 shown]
	s_and_saveexec_b32 s43, vcc_hi
; %bb.134:                              ;   in Loop: Header=BB105_3 Depth=1
	ds_store_b32 v54, v24
; %bb.135:                              ;   in Loop: Header=BB105_3 Depth=1
	s_or_b32 exec_lo, exec_lo, s43
	s_wait_dscnt 0x0
	s_barrier_signal -1
	s_barrier_wait -1
	s_and_saveexec_b32 s43, s31
	s_cbranch_execz .LBB105_137
; %bb.136:                              ;   in Loop: Header=BB105_3 Depth=1
	ds_load_b32 v30, v51 offset:2848
	ds_load_b32 v31, v54
	s_wait_dscnt 0x0
	v_fmac_f32_e32 v24, v30, v31
.LBB105_137:                            ;   in Loop: Header=BB105_3 Depth=1
	s_or_b32 exec_lo, exec_lo, s43
	s_barrier_signal -1
	s_barrier_wait -1
	s_and_saveexec_b32 s43, s33
; %bb.138:                              ;   in Loop: Header=BB105_3 Depth=1
	ds_store_b32 v54, v24
; %bb.139:                              ;   in Loop: Header=BB105_3 Depth=1
	s_or_b32 exec_lo, exec_lo, s43
	s_wait_dscnt 0x0
	s_barrier_signal -1
	s_barrier_wait -1
	s_and_saveexec_b32 s43, s34
	s_cbranch_execz .LBB105_141
; %bb.140:                              ;   in Loop: Header=BB105_3 Depth=1
	ds_load_b32 v30, v51 offset:3104
	ds_load_b32 v31, v54
	s_wait_dscnt 0x0
	v_fmac_f32_e32 v24, v30, v31
.LBB105_141:                            ;   in Loop: Header=BB105_3 Depth=1
	s_or_b32 exec_lo, exec_lo, s43
	s_barrier_signal -1
	s_barrier_wait -1
	s_and_saveexec_b32 s43, s35
	;; [unrolled: 19-line block ×4, first 2 shown]
; %bb.150:                              ;   in Loop: Header=BB105_3 Depth=1
	ds_store_b32 v54, v24
; %bb.151:                              ;   in Loop: Header=BB105_3 Depth=1
	s_or_b32 exec_lo, exec_lo, s43
	s_wait_dscnt 0x0
	s_barrier_signal -1
	s_barrier_wait -1
	s_barrier_signal -1
	s_barrier_wait -1
	s_and_saveexec_b32 s43, s5
; %bb.152:                              ;   in Loop: Header=BB105_3 Depth=1
	v_xor_b32_e32 v24, 0x80000000, v24
	ds_store_b32 v55, v24 offset:32
; %bb.153:                              ;   in Loop: Header=BB105_3 Depth=1
	s_or_b32 exec_lo, exec_lo, s43
	s_wait_dscnt 0x0
	s_barrier_signal -1
	s_barrier_wait -1
	s_barrier_signal -1
	s_barrier_wait -1
	s_and_saveexec_b32 s43, s39
	s_cbranch_execz .LBB105_155
; %bb.154:                              ;   in Loop: Header=BB105_3 Depth=1
	ds_load_b32 v24, v42 offset:32
	s_wait_dscnt 0x0
	ds_store_b32 v46, v24 offset:2048
	ds_load_b32 v24, v42 offset:36
	s_wait_dscnt 0x0
	ds_store_b32 v46, v24 offset:2304
	;; [unrolled: 3-line block ×8, first 2 shown]
.LBB105_155:                            ;   in Loop: Header=BB105_3 Depth=1
	s_or_b32 exec_lo, exec_lo, s43
	s_wait_dscnt 0x0
	s_barrier_signal -1
	s_barrier_wait -1
	s_and_saveexec_b32 s43, s11
	s_cbranch_execz .LBB105_157
; %bb.156:                              ;   in Loop: Header=BB105_3 Depth=1
	ds_load_b32 v24, v7 offset:2084
	ds_store_b32 v7, v25 offset:2080
	s_wait_dscnt 0x1
	ds_store_b64 v7, v[24:25] offset:2336
.LBB105_157:                            ;   in Loop: Header=BB105_3 Depth=1
	s_or_b32 exec_lo, exec_lo, s43
	v_mov_b32_e32 v24, 0
	s_wait_dscnt 0x0
	s_barrier_signal -1
	s_barrier_wait -1
	s_and_saveexec_b32 s43, s2
	s_cbranch_execz .LBB105_161
; %bb.158:                              ;   in Loop: Header=BB105_3 Depth=1
	ds_load_b32 v24, v39 offset:2088
	ds_load_b32 v30, v40 offset:2080
	s_wait_dscnt 0x0
	v_fma_f32 v24, v24, v30, 0
	s_and_saveexec_b32 s44, s12
	s_cbranch_execz .LBB105_160
; %bb.159:                              ;   in Loop: Header=BB105_3 Depth=1
	ds_load_b32 v30, v46 offset:2344
	ds_load_b32 v31, v7 offset:2084
	s_wait_dscnt 0x0
	v_fmac_f32_e32 v24, v30, v31
.LBB105_160:                            ;   in Loop: Header=BB105_3 Depth=1
	s_or_b32 exec_lo, exec_lo, s44
	s_delay_alu instid0(VALU_DEP_1)
	v_xor_b32_e32 v24, 0x80000000, v24
.LBB105_161:                            ;   in Loop: Header=BB105_3 Depth=1
	s_or_b32 exec_lo, exec_lo, s43
	s_and_saveexec_b32 s43, s89
; %bb.162:                              ;   in Loop: Header=BB105_3 Depth=1
	ds_store_b32 v37, v24
; %bb.163:                              ;   in Loop: Header=BB105_3 Depth=1
	s_or_b32 exec_lo, exec_lo, s43
	s_wait_dscnt 0x0
	s_barrier_signal -1
	s_barrier_wait -1
	s_and_saveexec_b32 s43, s90
	s_cbranch_execz .LBB105_165
; %bb.164:                              ;   in Loop: Header=BB105_3 Depth=1
	ds_load_b32 v30, v7 offset:2604
	ds_load_b32 v31, v37
	s_wait_dscnt 0x0
	v_fmac_f32_e32 v24, v30, v31
.LBB105_165:                            ;   in Loop: Header=BB105_3 Depth=1
	s_or_b32 exec_lo, exec_lo, s43
	s_barrier_signal -1
	s_barrier_wait -1
	s_and_saveexec_b32 s43, s90
; %bb.166:                              ;   in Loop: Header=BB105_3 Depth=1
	ds_store_b32 v37, v24
; %bb.167:                              ;   in Loop: Header=BB105_3 Depth=1
	s_or_b32 exec_lo, exec_lo, s43
	s_wait_dscnt 0x0
	s_barrier_signal -1
	s_barrier_wait -1
	s_barrier_signal -1
	s_barrier_wait -1
	s_and_saveexec_b32 s43, s2
; %bb.168:                              ;   in Loop: Header=BB105_3 Depth=1
	v_xor_b32_e32 v24, 0x80000000, v24
	ds_store_b32 v39, v24 offset:2088
; %bb.169:                              ;   in Loop: Header=BB105_3 Depth=1
	s_or_b32 exec_lo, exec_lo, s43
	s_wait_dscnt 0x0
	s_barrier_signal -1
	s_barrier_wait -1
	s_barrier_signal -1
	s_barrier_wait -1
	s_and_saveexec_b32 s43, s91
	s_cbranch_execz .LBB105_171
; %bb.170:                              ;   in Loop: Header=BB105_3 Depth=1
	ds_load_b32 v24, v50 offset:2088
	s_wait_dscnt 0x0
	ds_store_b32 v46, v24 offset:2592
	ds_load_b32 v24, v50 offset:2092
	s_wait_dscnt 0x0
	ds_store_b32 v46, v24 offset:2848
.LBB105_171:                            ;   in Loop: Header=BB105_3 Depth=1
	s_or_b32 exec_lo, exec_lo, s43
	s_wait_dscnt 0x0
	s_barrier_signal -1
	s_barrier_wait -1
	s_and_saveexec_b32 s43, s11
	s_cbranch_execz .LBB105_173
; %bb.172:                              ;   in Loop: Header=BB105_3 Depth=1
	ds_load_b32 v24, v7 offset:2604
	ds_store_b32 v7, v25 offset:2600
	s_wait_dscnt 0x1
	ds_store_b64 v7, v[24:25] offset:2856
.LBB105_173:                            ;   in Loop: Header=BB105_3 Depth=1
	s_or_b32 exec_lo, exec_lo, s43
	v_mov_b32_e32 v24, 0
	s_wait_dscnt 0x0
	s_barrier_signal -1
	s_barrier_wait -1
	s_and_saveexec_b32 s43, s4
	s_cbranch_execz .LBB105_179
; %bb.174:                              ;   in Loop: Header=BB105_3 Depth=1
	ds_load_b32 v24, v48 offset:2096
	ds_load_b32 v30, v41 offset:2080
	s_wait_dscnt 0x0
	v_fma_f32 v24, v24, v30, 0
	s_and_saveexec_b32 s44, s13
	s_cbranch_execnz .LBB105_1183
; %bb.175:                              ;   in Loop: Header=BB105_3 Depth=1
	s_or_b32 exec_lo, exec_lo, s44
	s_and_saveexec_b32 s44, s14
	s_cbranch_execnz .LBB105_1184
.LBB105_176:                            ;   in Loop: Header=BB105_3 Depth=1
	s_or_b32 exec_lo, exec_lo, s44
	s_and_saveexec_b32 s44, s2
	s_cbranch_execz .LBB105_178
.LBB105_177:                            ;   in Loop: Header=BB105_3 Depth=1
	ds_load_b32 v30, v53 offset:2864
	ds_load_b32 v31, v7 offset:2092
	s_wait_dscnt 0x0
	v_fmac_f32_e32 v24, v30, v31
.LBB105_178:                            ;   in Loop: Header=BB105_3 Depth=1
	s_or_b32 exec_lo, exec_lo, s44
	s_delay_alu instid0(VALU_DEP_1)
	v_xor_b32_e32 v24, 0x80000000, v24
.LBB105_179:                            ;   in Loop: Header=BB105_3 Depth=1
	s_or_b32 exec_lo, exec_lo, s43
	s_and_saveexec_b32 s43, s92
; %bb.180:                              ;   in Loop: Header=BB105_3 Depth=1
	ds_store_b32 v47, v24
; %bb.181:                              ;   in Loop: Header=BB105_3 Depth=1
	s_or_b32 exec_lo, exec_lo, s43
	s_wait_dscnt 0x0
	s_barrier_signal -1
	s_barrier_wait -1
	s_and_saveexec_b32 s43, s93
	s_cbranch_execz .LBB105_183
; %bb.182:                              ;   in Loop: Header=BB105_3 Depth=1
	ds_load_b32 v30, v45 offset:3120
	ds_load_b32 v31, v47
	s_wait_dscnt 0x0
	v_fmac_f32_e32 v24, v30, v31
.LBB105_183:                            ;   in Loop: Header=BB105_3 Depth=1
	s_or_b32 exec_lo, exec_lo, s43
	s_barrier_signal -1
	s_barrier_wait -1
	s_and_saveexec_b32 s43, s94
; %bb.184:                              ;   in Loop: Header=BB105_3 Depth=1
	ds_store_b32 v47, v24
; %bb.185:                              ;   in Loop: Header=BB105_3 Depth=1
	s_or_b32 exec_lo, exec_lo, s43
	s_wait_dscnt 0x0
	s_barrier_signal -1
	s_barrier_wait -1
	s_and_saveexec_b32 s43, s95
	s_cbranch_execz .LBB105_187
; %bb.186:                              ;   in Loop: Header=BB105_3 Depth=1
	ds_load_b32 v30, v45 offset:3376
	ds_load_b32 v31, v47
	s_wait_dscnt 0x0
	v_fmac_f32_e32 v24, v30, v31
.LBB105_187:                            ;   in Loop: Header=BB105_3 Depth=1
	s_or_b32 exec_lo, exec_lo, s43
	s_barrier_signal -1
	s_barrier_wait -1
	;; [unrolled: 19-line block ×3, first 2 shown]
	s_and_saveexec_b32 s43, s97
; %bb.192:                              ;   in Loop: Header=BB105_3 Depth=1
	ds_store_b32 v47, v24
; %bb.193:                              ;   in Loop: Header=BB105_3 Depth=1
	s_or_b32 exec_lo, exec_lo, s43
	s_wait_dscnt 0x0
	s_barrier_signal -1
	s_barrier_wait -1
	s_barrier_signal -1
	s_barrier_wait -1
	s_and_saveexec_b32 s43, s4
; %bb.194:                              ;   in Loop: Header=BB105_3 Depth=1
	v_xor_b32_e32 v24, 0x80000000, v24
	ds_store_b32 v48, v24 offset:2096
; %bb.195:                              ;   in Loop: Header=BB105_3 Depth=1
	s_or_b32 exec_lo, exec_lo, s43
	s_wait_dscnt 0x0
	s_barrier_signal -1
	s_barrier_wait -1
	s_barrier_signal -1
	s_barrier_wait -1
	s_and_saveexec_b32 s43, s98
	s_cbranch_execz .LBB105_197
; %bb.196:                              ;   in Loop: Header=BB105_3 Depth=1
	ds_load_b32 v24, v56 offset:2096
	s_wait_dscnt 0x0
	ds_store_b32 v59, v24 offset:3104
	ds_load_b32 v24, v56 offset:2100
	s_wait_dscnt 0x0
	ds_store_b32 v59, v24 offset:3360
	ds_load_b32 v24, v56 offset:2104
	s_wait_dscnt 0x0
	ds_store_b32 v59, v24 offset:3616
	ds_load_b32 v24, v56 offset:2108
	s_wait_dscnt 0x0
	ds_store_b32 v59, v24 offset:3872
.LBB105_197:                            ;   in Loop: Header=BB105_3 Depth=1
	s_or_b32 exec_lo, exec_lo, s43
	s_wait_dscnt 0x0
	s_barrier_signal -1
	s_barrier_wait -1
	s_and_saveexec_b32 s43, s11
	s_cbranch_execz .LBB105_199
; %bb.198:                              ;   in Loop: Header=BB105_3 Depth=1
	ds_load_b32 v24, v7 offset:3124
	ds_store_b32 v7, v25 offset:3120
	s_wait_dscnt 0x1
	ds_store_b64 v7, v[24:25] offset:3376
.LBB105_199:                            ;   in Loop: Header=BB105_3 Depth=1
	s_or_b32 exec_lo, exec_lo, s43
	v_mov_b32_e32 v24, 0
	s_wait_dscnt 0x0
	s_barrier_signal -1
	s_barrier_wait -1
	s_and_saveexec_b32 s43, s2
	s_cbranch_execz .LBB105_203
; %bb.200:                              ;   in Loop: Header=BB105_3 Depth=1
	ds_load_b32 v24, v39 offset:3128
	ds_load_b32 v30, v40 offset:3120
	s_wait_dscnt 0x0
	v_fma_f32 v24, v24, v30, 0
	s_and_saveexec_b32 s44, s12
	s_cbranch_execz .LBB105_202
; %bb.201:                              ;   in Loop: Header=BB105_3 Depth=1
	ds_load_b32 v30, v59 offset:3384
	ds_load_b32 v31, v7 offset:3124
	s_wait_dscnt 0x0
	v_fmac_f32_e32 v24, v30, v31
.LBB105_202:                            ;   in Loop: Header=BB105_3 Depth=1
	s_or_b32 exec_lo, exec_lo, s44
	s_delay_alu instid0(VALU_DEP_1)
	v_xor_b32_e32 v24, 0x80000000, v24
.LBB105_203:                            ;   in Loop: Header=BB105_3 Depth=1
	s_or_b32 exec_lo, exec_lo, s43
	s_and_saveexec_b32 s43, s89
; %bb.204:                              ;   in Loop: Header=BB105_3 Depth=1
	ds_store_b32 v37, v24
; %bb.205:                              ;   in Loop: Header=BB105_3 Depth=1
	s_or_b32 exec_lo, exec_lo, s43
	s_wait_dscnt 0x0
	s_barrier_signal -1
	s_barrier_wait -1
	s_and_saveexec_b32 s43, s90
	s_cbranch_execz .LBB105_207
; %bb.206:                              ;   in Loop: Header=BB105_3 Depth=1
	ds_load_b32 v30, v7 offset:3644
	ds_load_b32 v31, v37
	s_wait_dscnt 0x0
	v_fmac_f32_e32 v24, v30, v31
.LBB105_207:                            ;   in Loop: Header=BB105_3 Depth=1
	s_or_b32 exec_lo, exec_lo, s43
	s_barrier_signal -1
	s_barrier_wait -1
	s_and_saveexec_b32 s43, s90
; %bb.208:                              ;   in Loop: Header=BB105_3 Depth=1
	ds_store_b32 v37, v24
; %bb.209:                              ;   in Loop: Header=BB105_3 Depth=1
	s_or_b32 exec_lo, exec_lo, s43
	s_wait_dscnt 0x0
	s_barrier_signal -1
	s_barrier_wait -1
	s_barrier_signal -1
	s_barrier_wait -1
	s_and_saveexec_b32 s43, s2
; %bb.210:                              ;   in Loop: Header=BB105_3 Depth=1
	v_xor_b32_e32 v24, 0x80000000, v24
	ds_store_b32 v39, v24 offset:3128
; %bb.211:                              ;   in Loop: Header=BB105_3 Depth=1
	s_or_b32 exec_lo, exec_lo, s43
	s_wait_dscnt 0x0
	s_barrier_signal -1
	s_barrier_wait -1
	s_barrier_signal -1
	s_barrier_wait -1
	s_and_saveexec_b32 s43, s91
	s_cbranch_execz .LBB105_213
; %bb.212:                              ;   in Loop: Header=BB105_3 Depth=1
	v_add_nc_u32_e32 v24, v59, v44
	ds_load_b32 v30, v24 offset:3128
	s_wait_dscnt 0x0
	ds_store_b32 v59, v30 offset:3632
	ds_load_b32 v24, v24 offset:3132
	s_wait_dscnt 0x0
	ds_store_b32 v59, v24 offset:3888
.LBB105_213:                            ;   in Loop: Header=BB105_3 Depth=1
	s_or_b32 exec_lo, exec_lo, s43
	s_wait_dscnt 0x0
	s_barrier_signal -1
	s_barrier_wait -1
	s_and_saveexec_b32 s43, s11
	s_cbranch_execz .LBB105_215
; %bb.214:                              ;   in Loop: Header=BB105_3 Depth=1
	ds_load_b32 v24, v7 offset:3644
	ds_store_b32 v7, v25 offset:3640
	s_wait_dscnt 0x1
	ds_store_b64 v7, v[24:25] offset:3896
.LBB105_215:                            ;   in Loop: Header=BB105_3 Depth=1
	s_or_b32 exec_lo, exec_lo, s43
	v_mov_b32_e32 v24, 0
	s_wait_dscnt 0x0
	s_barrier_signal -1
	s_barrier_wait -1
	s_and_saveexec_b32 s43, s6
	s_cbranch_execz .LBB105_243
; %bb.216:                              ;   in Loop: Header=BB105_3 Depth=1
	ds_load_b32 v24, v65 offset:64
	ds_load_b32 v30, v57
	s_wait_dscnt 0x0
	v_fma_f32 v24, v24, v30, 0
	s_mov_b32 s44, exec_lo
	v_readlane_b32 s45, v93, 18
	s_and_b32 s45, s44, s45
	s_delay_alu instid0(SALU_CYCLE_1)
	s_mov_b32 exec_lo, s45
	s_cbranch_execz .LBB105_218
; %bb.217:                              ;   in Loop: Header=BB105_3 Depth=1
	ds_load_b32 v30, v66 offset:320
	ds_load_b32 v31, v57 offset:4
	s_wait_dscnt 0x0
	v_fmac_f32_e32 v24, v30, v31
.LBB105_218:                            ;   in Loop: Header=BB105_3 Depth=1
	s_or_b32 exec_lo, exec_lo, s44
	s_delay_alu instid0(SALU_CYCLE_1) | instskip(SKIP_2) | instid1(SALU_CYCLE_1)
	s_mov_b32 s44, exec_lo
	v_readlane_b32 s45, v93, 19
	s_and_b32 s45, s44, s45
	s_mov_b32 exec_lo, s45
	s_cbranch_execz .LBB105_220
; %bb.219:                              ;   in Loop: Header=BB105_3 Depth=1
	ds_load_b32 v30, v66 offset:576
	ds_load_b32 v31, v57 offset:8
	s_wait_dscnt 0x0
	v_fmac_f32_e32 v24, v30, v31
.LBB105_220:                            ;   in Loop: Header=BB105_3 Depth=1
	s_or_b32 exec_lo, exec_lo, s44
	s_delay_alu instid0(SALU_CYCLE_1) | instskip(SKIP_2) | instid1(SALU_CYCLE_1)
	s_mov_b32 s44, exec_lo
	v_readlane_b32 s45, v93, 20
	s_and_b32 s45, s44, s45
	;; [unrolled: 13-line block ×10, first 2 shown]
	s_mov_b32 exec_lo, s45
	s_cbranch_execnz .LBB105_1185
; %bb.237:                              ;   in Loop: Header=BB105_3 Depth=1
	s_or_b32 exec_lo, exec_lo, s44
	s_and_saveexec_b32 s44, s5
	s_cbranch_execnz .LBB105_1186
.LBB105_238:                            ;   in Loop: Header=BB105_3 Depth=1
	s_or_b32 exec_lo, exec_lo, s44
	s_and_saveexec_b32 s44, s16
	s_cbranch_execnz .LBB105_1187
.LBB105_239:                            ;   in Loop: Header=BB105_3 Depth=1
	s_or_b32 exec_lo, exec_lo, s44
	s_and_saveexec_b32 s44, s18
	s_cbranch_execnz .LBB105_1188
.LBB105_240:                            ;   in Loop: Header=BB105_3 Depth=1
	s_or_b32 exec_lo, exec_lo, s44
	s_and_saveexec_b32 s44, s4
	s_cbranch_execz .LBB105_242
.LBB105_241:                            ;   in Loop: Header=BB105_3 Depth=1
	ds_load_b32 v30, v3 offset:3904
	ds_load_b32 v31, v7 offset:60
	s_wait_dscnt 0x0
	v_fmac_f32_e32 v24, v30, v31
.LBB105_242:                            ;   in Loop: Header=BB105_3 Depth=1
	s_or_b32 exec_lo, exec_lo, s44
	s_delay_alu instid0(VALU_DEP_1)
	v_xor_b32_e32 v24, 0x80000000, v24
.LBB105_243:                            ;   in Loop: Header=BB105_3 Depth=1
	s_or_b32 exec_lo, exec_lo, s43
	s_delay_alu instid0(SALU_CYCLE_1) | instskip(SKIP_2) | instid1(SALU_CYCLE_1)
	s_mov_b32 s43, exec_lo
	v_readlane_b32 s44, v95, 2
	s_and_b32 s44, s43, s44
	s_mov_b32 exec_lo, s44
; %bb.244:                              ;   in Loop: Header=BB105_3 Depth=1
	ds_store_b32 v64, v24
; %bb.245:                              ;   in Loop: Header=BB105_3 Depth=1
	s_or_b32 exec_lo, exec_lo, s43
	s_wait_dscnt 0x0
	s_barrier_signal -1
	s_barrier_wait -1
	s_mov_b32 s43, exec_lo
	v_readlane_b32 s44, v95, 3
	s_and_b32 s44, s43, s44
	s_delay_alu instid0(SALU_CYCLE_1)
	s_mov_b32 exec_lo, s44
	s_cbranch_execz .LBB105_247
; %bb.246:                              ;   in Loop: Header=BB105_3 Depth=1
	ds_load_b32 v30, v60 offset:4160
	ds_load_b32 v31, v64
	s_wait_dscnt 0x0
	v_fmac_f32_e32 v24, v30, v31
.LBB105_247:                            ;   in Loop: Header=BB105_3 Depth=1
	s_or_b32 exec_lo, exec_lo, s43
	s_barrier_signal -1
	s_barrier_wait -1
	s_mov_b32 s43, exec_lo
	v_readlane_b32 s44, v95, 4
	s_and_b32 s44, s43, s44
	s_delay_alu instid0(SALU_CYCLE_1)
	s_mov_b32 exec_lo, s44
; %bb.248:                              ;   in Loop: Header=BB105_3 Depth=1
	ds_store_b32 v64, v24
; %bb.249:                              ;   in Loop: Header=BB105_3 Depth=1
	s_or_b32 exec_lo, exec_lo, s43
	s_wait_dscnt 0x0
	s_barrier_signal -1
	s_barrier_wait -1
	s_mov_b32 s43, exec_lo
	v_readlane_b32 s44, v95, 5
	s_and_b32 s44, s43, s44
	s_delay_alu instid0(SALU_CYCLE_1)
	s_mov_b32 exec_lo, s44
	s_cbranch_execz .LBB105_251
; %bb.250:                              ;   in Loop: Header=BB105_3 Depth=1
	ds_load_b32 v30, v60 offset:4416
	ds_load_b32 v31, v64
	s_wait_dscnt 0x0
	v_fmac_f32_e32 v24, v30, v31
.LBB105_251:                            ;   in Loop: Header=BB105_3 Depth=1
	s_or_b32 exec_lo, exec_lo, s43
	s_barrier_signal -1
	s_barrier_wait -1
	s_mov_b32 s43, exec_lo
	v_readlane_b32 s44, v95, 6
	s_and_b32 s44, s43, s44
	s_delay_alu instid0(SALU_CYCLE_1)
	;; [unrolled: 27-line block ×3, first 2 shown]
	s_mov_b32 exec_lo, s44
; %bb.256:                              ;   in Loop: Header=BB105_3 Depth=1
	ds_store_b32 v64, v24
; %bb.257:                              ;   in Loop: Header=BB105_3 Depth=1
	s_or_b32 exec_lo, exec_lo, s43
	s_wait_dscnt 0x0
	s_barrier_signal -1
	s_barrier_wait -1
	s_mov_b32 s43, exec_lo
	v_readlane_b32 s44, v95, 9
	s_and_b32 s44, s43, s44
	s_delay_alu instid0(SALU_CYCLE_1)
	s_mov_b32 exec_lo, s44
	s_cbranch_execz .LBB105_259
; %bb.258:                              ;   in Loop: Header=BB105_3 Depth=1
	ds_load_b32 v30, v60 offset:4928
	ds_load_b32 v31, v64
	s_wait_dscnt 0x0
	v_fmac_f32_e32 v24, v30, v31
.LBB105_259:                            ;   in Loop: Header=BB105_3 Depth=1
	s_or_b32 exec_lo, exec_lo, s43
	s_barrier_signal -1
	s_barrier_wait -1
	s_and_saveexec_b32 s43, s48
; %bb.260:                              ;   in Loop: Header=BB105_3 Depth=1
	ds_store_b32 v64, v24
; %bb.261:                              ;   in Loop: Header=BB105_3 Depth=1
	s_or_b32 exec_lo, exec_lo, s43
	s_wait_dscnt 0x0
	s_barrier_signal -1
	s_barrier_wait -1
	s_and_saveexec_b32 s43, s49
	s_cbranch_execz .LBB105_263
; %bb.262:                              ;   in Loop: Header=BB105_3 Depth=1
	ds_load_b32 v30, v60 offset:5184
	ds_load_b32 v31, v64
	s_wait_dscnt 0x0
	v_fmac_f32_e32 v24, v30, v31
.LBB105_263:                            ;   in Loop: Header=BB105_3 Depth=1
	s_or_b32 exec_lo, exec_lo, s43
	s_barrier_signal -1
	s_barrier_wait -1
	s_and_saveexec_b32 s43, s50
; %bb.264:                              ;   in Loop: Header=BB105_3 Depth=1
	ds_store_b32 v64, v24
; %bb.265:                              ;   in Loop: Header=BB105_3 Depth=1
	s_or_b32 exec_lo, exec_lo, s43
	s_wait_dscnt 0x0
	s_barrier_signal -1
	s_barrier_wait -1
	s_and_saveexec_b32 s43, s51
	;; [unrolled: 19-line block ×11, first 2 shown]
	s_cbranch_execz .LBB105_303
; %bb.302:                              ;   in Loop: Header=BB105_3 Depth=1
	ds_load_b32 v30, v7 offset:7804
	ds_load_b32 v31, v64
	s_wait_dscnt 0x0
	v_fmac_f32_e32 v24, v30, v31
.LBB105_303:                            ;   in Loop: Header=BB105_3 Depth=1
	s_or_b32 exec_lo, exec_lo, s43
	s_barrier_signal -1
	s_barrier_wait -1
	s_and_saveexec_b32 s43, s29
; %bb.304:                              ;   in Loop: Header=BB105_3 Depth=1
	ds_store_b32 v64, v24
; %bb.305:                              ;   in Loop: Header=BB105_3 Depth=1
	s_or_b32 exec_lo, exec_lo, s43
	s_wait_dscnt 0x0
	s_barrier_signal -1
	s_barrier_wait -1
	s_barrier_signal -1
	s_barrier_wait -1
	s_and_saveexec_b32 s43, s6
; %bb.306:                              ;   in Loop: Header=BB105_3 Depth=1
	v_xor_b32_e32 v24, 0x80000000, v24
	ds_store_b32 v65, v24 offset:64
; %bb.307:                              ;   in Loop: Header=BB105_3 Depth=1
	s_or_b32 exec_lo, exec_lo, s43
	s_wait_dscnt 0x0
	s_barrier_signal -1
	s_barrier_wait -1
	s_barrier_signal -1
	s_barrier_wait -1
	s_and_saveexec_b32 s43, s61
	s_cbranch_execz .LBB105_309
; %bb.308:                              ;   in Loop: Header=BB105_3 Depth=1
	ds_load_b32 v24, v5 offset:64
	s_wait_dscnt 0x0
	ds_store_b32 v9, v24 offset:4096
	ds_load_b32 v24, v5 offset:68
	s_wait_dscnt 0x0
	ds_store_b32 v9, v24 offset:4352
	;; [unrolled: 3-line block ×16, first 2 shown]
.LBB105_309:                            ;   in Loop: Header=BB105_3 Depth=1
	s_or_b32 exec_lo, exec_lo, s43
	s_wait_dscnt 0x0
	s_barrier_signal -1
	s_barrier_wait -1
	s_and_saveexec_b32 s43, s11
	s_cbranch_execz .LBB105_311
; %bb.310:                              ;   in Loop: Header=BB105_3 Depth=1
	ds_load_b32 v24, v7 offset:4164
	ds_store_b32 v7, v25 offset:4160
	s_wait_dscnt 0x1
	ds_store_b64 v7, v[24:25] offset:4416
.LBB105_311:                            ;   in Loop: Header=BB105_3 Depth=1
	s_or_b32 exec_lo, exec_lo, s43
	v_mov_b32_e32 v24, 0
	s_wait_dscnt 0x0
	s_barrier_signal -1
	s_barrier_wait -1
	s_and_saveexec_b32 s43, s2
	s_cbranch_execz .LBB105_315
; %bb.312:                              ;   in Loop: Header=BB105_3 Depth=1
	ds_load_b32 v24, v39 offset:4168
	ds_load_b32 v30, v40 offset:4160
	s_wait_dscnt 0x0
	v_fma_f32 v24, v24, v30, 0
	s_and_saveexec_b32 s44, s12
	s_cbranch_execz .LBB105_314
; %bb.313:                              ;   in Loop: Header=BB105_3 Depth=1
	ds_load_b32 v30, v3 offset:4424
	ds_load_b32 v31, v7 offset:4164
	s_wait_dscnt 0x0
	v_fmac_f32_e32 v24, v30, v31
.LBB105_314:                            ;   in Loop: Header=BB105_3 Depth=1
	s_or_b32 exec_lo, exec_lo, s44
	s_delay_alu instid0(VALU_DEP_1)
	v_xor_b32_e32 v24, 0x80000000, v24
.LBB105_315:                            ;   in Loop: Header=BB105_3 Depth=1
	s_or_b32 exec_lo, exec_lo, s43
	s_and_saveexec_b32 s43, s89
; %bb.316:                              ;   in Loop: Header=BB105_3 Depth=1
	ds_store_b32 v37, v24
; %bb.317:                              ;   in Loop: Header=BB105_3 Depth=1
	s_or_b32 exec_lo, exec_lo, s43
	s_wait_dscnt 0x0
	s_barrier_signal -1
	s_barrier_wait -1
	s_and_saveexec_b32 s43, s90
	s_cbranch_execz .LBB105_319
; %bb.318:                              ;   in Loop: Header=BB105_3 Depth=1
	ds_load_b32 v30, v7 offset:4684
	ds_load_b32 v31, v37
	s_wait_dscnt 0x0
	v_fmac_f32_e32 v24, v30, v31
.LBB105_319:                            ;   in Loop: Header=BB105_3 Depth=1
	s_or_b32 exec_lo, exec_lo, s43
	s_barrier_signal -1
	s_barrier_wait -1
	s_and_saveexec_b32 s43, s90
; %bb.320:                              ;   in Loop: Header=BB105_3 Depth=1
	ds_store_b32 v37, v24
; %bb.321:                              ;   in Loop: Header=BB105_3 Depth=1
	s_or_b32 exec_lo, exec_lo, s43
	s_wait_dscnt 0x0
	s_barrier_signal -1
	s_barrier_wait -1
	s_barrier_signal -1
	s_barrier_wait -1
	s_and_saveexec_b32 s43, s2
; %bb.322:                              ;   in Loop: Header=BB105_3 Depth=1
	v_xor_b32_e32 v24, 0x80000000, v24
	ds_store_b32 v39, v24 offset:4168
; %bb.323:                              ;   in Loop: Header=BB105_3 Depth=1
	s_or_b32 exec_lo, exec_lo, s43
	s_wait_dscnt 0x0
	s_barrier_signal -1
	s_barrier_wait -1
	s_barrier_signal -1
	s_barrier_wait -1
	s_and_saveexec_b32 s43, s91
	s_cbranch_execz .LBB105_325
; %bb.324:                              ;   in Loop: Header=BB105_3 Depth=1
	ds_load_b32 v24, v5 offset:4168
	s_wait_dscnt 0x0
	ds_store_b32 v3, v24 offset:4672
	ds_load_b32 v24, v5 offset:4172
	s_wait_dscnt 0x0
	ds_store_b32 v3, v24 offset:4928
.LBB105_325:                            ;   in Loop: Header=BB105_3 Depth=1
	s_or_b32 exec_lo, exec_lo, s43
	s_wait_dscnt 0x0
	s_barrier_signal -1
	s_barrier_wait -1
	s_and_saveexec_b32 s43, s11
	s_cbranch_execz .LBB105_327
; %bb.326:                              ;   in Loop: Header=BB105_3 Depth=1
	ds_load_b32 v24, v7 offset:4684
	ds_store_b32 v7, v25 offset:4680
	s_wait_dscnt 0x1
	ds_store_b64 v7, v[24:25] offset:4936
.LBB105_327:                            ;   in Loop: Header=BB105_3 Depth=1
	s_or_b32 exec_lo, exec_lo, s43
	v_mov_b32_e32 v24, 0
	s_wait_dscnt 0x0
	s_barrier_signal -1
	s_barrier_wait -1
	s_and_saveexec_b32 s43, s4
	s_cbranch_execz .LBB105_333
; %bb.328:                              ;   in Loop: Header=BB105_3 Depth=1
	ds_load_b32 v24, v48 offset:4176
	ds_load_b32 v30, v41 offset:4160
	s_wait_dscnt 0x0
	v_fma_f32 v24, v24, v30, 0
	s_and_saveexec_b32 s44, s13
	s_cbranch_execnz .LBB105_1189
; %bb.329:                              ;   in Loop: Header=BB105_3 Depth=1
	s_or_b32 exec_lo, exec_lo, s44
	s_and_saveexec_b32 s44, s14
	s_cbranch_execnz .LBB105_1190
.LBB105_330:                            ;   in Loop: Header=BB105_3 Depth=1
	s_or_b32 exec_lo, exec_lo, s44
	s_and_saveexec_b32 s44, s2
	s_cbranch_execz .LBB105_332
.LBB105_331:                            ;   in Loop: Header=BB105_3 Depth=1
	ds_load_b32 v30, v9 offset:4944
	ds_load_b32 v31, v7 offset:4172
	s_wait_dscnt 0x0
	v_fmac_f32_e32 v24, v30, v31
.LBB105_332:                            ;   in Loop: Header=BB105_3 Depth=1
	s_or_b32 exec_lo, exec_lo, s44
	s_delay_alu instid0(VALU_DEP_1)
	v_xor_b32_e32 v24, 0x80000000, v24
.LBB105_333:                            ;   in Loop: Header=BB105_3 Depth=1
	s_or_b32 exec_lo, exec_lo, s43
	s_and_saveexec_b32 s43, s92
; %bb.334:                              ;   in Loop: Header=BB105_3 Depth=1
	ds_store_b32 v47, v24
; %bb.335:                              ;   in Loop: Header=BB105_3 Depth=1
	s_or_b32 exec_lo, exec_lo, s43
	s_wait_dscnt 0x0
	s_barrier_signal -1
	s_barrier_wait -1
	s_and_saveexec_b32 s43, s93
	s_cbranch_execz .LBB105_337
; %bb.336:                              ;   in Loop: Header=BB105_3 Depth=1
	ds_load_b32 v30, v45 offset:5200
	ds_load_b32 v31, v47
	s_wait_dscnt 0x0
	v_fmac_f32_e32 v24, v30, v31
.LBB105_337:                            ;   in Loop: Header=BB105_3 Depth=1
	s_or_b32 exec_lo, exec_lo, s43
	s_barrier_signal -1
	s_barrier_wait -1
	s_and_saveexec_b32 s43, s94
; %bb.338:                              ;   in Loop: Header=BB105_3 Depth=1
	ds_store_b32 v47, v24
; %bb.339:                              ;   in Loop: Header=BB105_3 Depth=1
	s_or_b32 exec_lo, exec_lo, s43
	s_wait_dscnt 0x0
	s_barrier_signal -1
	s_barrier_wait -1
	s_and_saveexec_b32 s43, s95
	s_cbranch_execz .LBB105_341
; %bb.340:                              ;   in Loop: Header=BB105_3 Depth=1
	ds_load_b32 v30, v45 offset:5456
	ds_load_b32 v31, v47
	s_wait_dscnt 0x0
	v_fmac_f32_e32 v24, v30, v31
.LBB105_341:                            ;   in Loop: Header=BB105_3 Depth=1
	s_or_b32 exec_lo, exec_lo, s43
	s_barrier_signal -1
	s_barrier_wait -1
	;; [unrolled: 19-line block ×3, first 2 shown]
	s_and_saveexec_b32 s43, s97
; %bb.346:                              ;   in Loop: Header=BB105_3 Depth=1
	ds_store_b32 v47, v24
; %bb.347:                              ;   in Loop: Header=BB105_3 Depth=1
	s_or_b32 exec_lo, exec_lo, s43
	s_wait_dscnt 0x0
	s_barrier_signal -1
	s_barrier_wait -1
	s_barrier_signal -1
	s_barrier_wait -1
	s_and_saveexec_b32 s43, s4
; %bb.348:                              ;   in Loop: Header=BB105_3 Depth=1
	v_xor_b32_e32 v24, 0x80000000, v24
	ds_store_b32 v48, v24 offset:4176
; %bb.349:                              ;   in Loop: Header=BB105_3 Depth=1
	s_or_b32 exec_lo, exec_lo, s43
	s_wait_dscnt 0x0
	s_barrier_signal -1
	s_barrier_wait -1
	s_barrier_signal -1
	s_barrier_wait -1
	s_and_saveexec_b32 s43, s98
	s_cbranch_execz .LBB105_351
; %bb.350:                              ;   in Loop: Header=BB105_3 Depth=1
	ds_load_b32 v24, v34 offset:4176
	s_wait_dscnt 0x0
	ds_store_b32 v35, v24 offset:5184
	ds_load_b32 v24, v34 offset:4180
	s_wait_dscnt 0x0
	ds_store_b32 v35, v24 offset:5440
	;; [unrolled: 3-line block ×4, first 2 shown]
.LBB105_351:                            ;   in Loop: Header=BB105_3 Depth=1
	s_or_b32 exec_lo, exec_lo, s43
	s_wait_dscnt 0x0
	s_barrier_signal -1
	s_barrier_wait -1
	s_and_saveexec_b32 s43, s11
	s_cbranch_execz .LBB105_353
; %bb.352:                              ;   in Loop: Header=BB105_3 Depth=1
	ds_load_b32 v24, v7 offset:5204
	ds_store_b32 v7, v25 offset:5200
	s_wait_dscnt 0x1
	ds_store_b64 v7, v[24:25] offset:5456
.LBB105_353:                            ;   in Loop: Header=BB105_3 Depth=1
	s_or_b32 exec_lo, exec_lo, s43
	v_mov_b32_e32 v24, 0
	s_wait_dscnt 0x0
	s_barrier_signal -1
	s_barrier_wait -1
	s_and_saveexec_b32 s43, s2
	s_cbranch_execz .LBB105_357
; %bb.354:                              ;   in Loop: Header=BB105_3 Depth=1
	ds_load_b32 v24, v39 offset:5208
	ds_load_b32 v30, v40 offset:5200
	s_wait_dscnt 0x0
	v_fma_f32 v24, v24, v30, 0
	s_and_saveexec_b32 s44, s12
	s_cbranch_execz .LBB105_356
; %bb.355:                              ;   in Loop: Header=BB105_3 Depth=1
	ds_load_b32 v30, v35 offset:5464
	ds_load_b32 v31, v7 offset:5204
	s_wait_dscnt 0x0
	v_fmac_f32_e32 v24, v30, v31
.LBB105_356:                            ;   in Loop: Header=BB105_3 Depth=1
	s_or_b32 exec_lo, exec_lo, s44
	s_delay_alu instid0(VALU_DEP_1)
	v_xor_b32_e32 v24, 0x80000000, v24
.LBB105_357:                            ;   in Loop: Header=BB105_3 Depth=1
	s_or_b32 exec_lo, exec_lo, s43
	s_and_saveexec_b32 s43, s89
; %bb.358:                              ;   in Loop: Header=BB105_3 Depth=1
	ds_store_b32 v37, v24
; %bb.359:                              ;   in Loop: Header=BB105_3 Depth=1
	s_or_b32 exec_lo, exec_lo, s43
	s_wait_dscnt 0x0
	s_barrier_signal -1
	s_barrier_wait -1
	s_and_saveexec_b32 s43, s90
	s_cbranch_execz .LBB105_361
; %bb.360:                              ;   in Loop: Header=BB105_3 Depth=1
	ds_load_b32 v30, v7 offset:5724
	ds_load_b32 v31, v37
	s_wait_dscnt 0x0
	v_fmac_f32_e32 v24, v30, v31
.LBB105_361:                            ;   in Loop: Header=BB105_3 Depth=1
	s_or_b32 exec_lo, exec_lo, s43
	s_barrier_signal -1
	s_barrier_wait -1
	s_and_saveexec_b32 s43, s90
; %bb.362:                              ;   in Loop: Header=BB105_3 Depth=1
	ds_store_b32 v37, v24
; %bb.363:                              ;   in Loop: Header=BB105_3 Depth=1
	s_or_b32 exec_lo, exec_lo, s43
	s_wait_dscnt 0x0
	s_barrier_signal -1
	s_barrier_wait -1
	s_barrier_signal -1
	s_barrier_wait -1
	s_and_saveexec_b32 s43, s2
; %bb.364:                              ;   in Loop: Header=BB105_3 Depth=1
	v_xor_b32_e32 v24, 0x80000000, v24
	ds_store_b32 v39, v24 offset:5208
; %bb.365:                              ;   in Loop: Header=BB105_3 Depth=1
	s_or_b32 exec_lo, exec_lo, s43
	s_wait_dscnt 0x0
	s_barrier_signal -1
	s_barrier_wait -1
	s_barrier_signal -1
	s_barrier_wait -1
	s_and_saveexec_b32 s43, s91
	s_cbranch_execz .LBB105_367
; %bb.366:                              ;   in Loop: Header=BB105_3 Depth=1
	ds_load_b32 v24, v36 offset:5208
	s_wait_dscnt 0x0
	ds_store_b32 v35, v24 offset:5712
	ds_load_b32 v24, v36 offset:5212
	s_wait_dscnt 0x0
	ds_store_b32 v35, v24 offset:5968
.LBB105_367:                            ;   in Loop: Header=BB105_3 Depth=1
	s_or_b32 exec_lo, exec_lo, s43
	s_wait_dscnt 0x0
	s_barrier_signal -1
	s_barrier_wait -1
	s_and_saveexec_b32 s43, s11
	s_cbranch_execz .LBB105_369
; %bb.368:                              ;   in Loop: Header=BB105_3 Depth=1
	ds_load_b32 v24, v7 offset:5724
	ds_store_b32 v7, v25 offset:5720
	s_wait_dscnt 0x1
	ds_store_b64 v7, v[24:25] offset:5976
.LBB105_369:                            ;   in Loop: Header=BB105_3 Depth=1
	s_or_b32 exec_lo, exec_lo, s43
	v_mov_b32_e32 v24, 0
	s_wait_dscnt 0x0
	s_barrier_signal -1
	s_barrier_wait -1
	s_and_saveexec_b32 s43, s5
	s_cbranch_execz .LBB105_379
; %bb.370:                              ;   in Loop: Header=BB105_3 Depth=1
	ds_load_b32 v24, v55 offset:4192
	ds_load_b32 v30, v52 offset:4160
	s_wait_dscnt 0x0
	v_fma_f32 v24, v24, v30, 0
	s_and_saveexec_b32 s44, s15
	s_cbranch_execnz .LBB105_1191
; %bb.371:                              ;   in Loop: Header=BB105_3 Depth=1
	s_or_b32 exec_lo, exec_lo, s44
	s_and_saveexec_b32 s44, s16
	s_cbranch_execnz .LBB105_1192
.LBB105_372:                            ;   in Loop: Header=BB105_3 Depth=1
	s_or_b32 exec_lo, exec_lo, s44
	s_and_saveexec_b32 s44, s17
	s_cbranch_execnz .LBB105_1193
.LBB105_373:                            ;   in Loop: Header=BB105_3 Depth=1
	s_or_b32 exec_lo, exec_lo, s44
	s_and_saveexec_b32 s44, s18
	s_cbranch_execnz .LBB105_1194
.LBB105_374:                            ;   in Loop: Header=BB105_3 Depth=1
	s_or_b32 exec_lo, exec_lo, s44
	s_and_saveexec_b32 s44, s19
	s_cbranch_execnz .LBB105_1195
.LBB105_375:                            ;   in Loop: Header=BB105_3 Depth=1
	s_or_b32 exec_lo, exec_lo, s44
	s_and_saveexec_b32 s44, s4
	s_cbranch_execnz .LBB105_1196
.LBB105_376:                            ;   in Loop: Header=BB105_3 Depth=1
	s_or_b32 exec_lo, exec_lo, s44
	s_and_saveexec_b32 s44, s14
	s_cbranch_execz .LBB105_378
.LBB105_377:                            ;   in Loop: Header=BB105_3 Depth=1
	ds_load_b32 v30, v38 offset:5984
	ds_load_b32 v31, v7 offset:4188
	s_wait_dscnt 0x0
	v_fmac_f32_e32 v24, v30, v31
.LBB105_378:                            ;   in Loop: Header=BB105_3 Depth=1
	s_or_b32 exec_lo, exec_lo, s44
	s_delay_alu instid0(VALU_DEP_1)
	v_xor_b32_e32 v24, 0x80000000, v24
.LBB105_379:                            ;   in Loop: Header=BB105_3 Depth=1
	s_or_b32 exec_lo, exec_lo, s43
	s_and_saveexec_b32 s43, s99
; %bb.380:                              ;   in Loop: Header=BB105_3 Depth=1
	ds_store_b32 v54, v24
; %bb.381:                              ;   in Loop: Header=BB105_3 Depth=1
	s_or_b32 exec_lo, exec_lo, s43
	s_wait_dscnt 0x0
	s_barrier_signal -1
	s_barrier_wait -1
	s_and_saveexec_b32 s43, s100
	s_cbranch_execz .LBB105_383
; %bb.382:                              ;   in Loop: Header=BB105_3 Depth=1
	ds_load_b32 v30, v51 offset:6240
	ds_load_b32 v31, v54
	s_wait_dscnt 0x0
	v_fmac_f32_e32 v24, v30, v31
.LBB105_383:                            ;   in Loop: Header=BB105_3 Depth=1
	s_or_b32 exec_lo, exec_lo, s43
	s_barrier_signal -1
	s_barrier_wait -1
	s_and_saveexec_b32 s43, s101
; %bb.384:                              ;   in Loop: Header=BB105_3 Depth=1
	ds_store_b32 v54, v24
; %bb.385:                              ;   in Loop: Header=BB105_3 Depth=1
	s_or_b32 exec_lo, exec_lo, s43
	s_wait_dscnt 0x0
	s_barrier_signal -1
	s_barrier_wait -1
	s_and_saveexec_b32 s43, s102
	s_cbranch_execz .LBB105_387
; %bb.386:                              ;   in Loop: Header=BB105_3 Depth=1
	ds_load_b32 v30, v51 offset:6496
	ds_load_b32 v31, v54
	s_wait_dscnt 0x0
	v_fmac_f32_e32 v24, v30, v31
.LBB105_387:                            ;   in Loop: Header=BB105_3 Depth=1
	s_or_b32 exec_lo, exec_lo, s43
	s_barrier_signal -1
	s_barrier_wait -1
	;; [unrolled: 19-line block ×3, first 2 shown]
	s_and_saveexec_b32 s43, vcc_hi
; %bb.392:                              ;   in Loop: Header=BB105_3 Depth=1
	ds_store_b32 v54, v24
; %bb.393:                              ;   in Loop: Header=BB105_3 Depth=1
	s_or_b32 exec_lo, exec_lo, s43
	s_wait_dscnt 0x0
	s_barrier_signal -1
	s_barrier_wait -1
	s_and_saveexec_b32 s43, s31
	s_cbranch_execz .LBB105_395
; %bb.394:                              ;   in Loop: Header=BB105_3 Depth=1
	ds_load_b32 v30, v51 offset:7008
	ds_load_b32 v31, v54
	s_wait_dscnt 0x0
	v_fmac_f32_e32 v24, v30, v31
.LBB105_395:                            ;   in Loop: Header=BB105_3 Depth=1
	s_or_b32 exec_lo, exec_lo, s43
	s_barrier_signal -1
	s_barrier_wait -1
	s_and_saveexec_b32 s43, s33
; %bb.396:                              ;   in Loop: Header=BB105_3 Depth=1
	ds_store_b32 v54, v24
; %bb.397:                              ;   in Loop: Header=BB105_3 Depth=1
	s_or_b32 exec_lo, exec_lo, s43
	s_wait_dscnt 0x0
	s_barrier_signal -1
	s_barrier_wait -1
	s_and_saveexec_b32 s43, s34
	s_cbranch_execz .LBB105_399
; %bb.398:                              ;   in Loop: Header=BB105_3 Depth=1
	ds_load_b32 v30, v51 offset:7264
	ds_load_b32 v31, v54
	s_wait_dscnt 0x0
	v_fmac_f32_e32 v24, v30, v31
.LBB105_399:                            ;   in Loop: Header=BB105_3 Depth=1
	s_or_b32 exec_lo, exec_lo, s43
	s_barrier_signal -1
	s_barrier_wait -1
	s_and_saveexec_b32 s43, s35
	;; [unrolled: 19-line block ×4, first 2 shown]
; %bb.408:                              ;   in Loop: Header=BB105_3 Depth=1
	ds_store_b32 v54, v24
; %bb.409:                              ;   in Loop: Header=BB105_3 Depth=1
	s_or_b32 exec_lo, exec_lo, s43
	s_wait_dscnt 0x0
	s_barrier_signal -1
	s_barrier_wait -1
	s_barrier_signal -1
	s_barrier_wait -1
	s_and_saveexec_b32 s43, s5
; %bb.410:                              ;   in Loop: Header=BB105_3 Depth=1
	v_xor_b32_e32 v24, 0x80000000, v24
	ds_store_b32 v55, v24 offset:4192
; %bb.411:                              ;   in Loop: Header=BB105_3 Depth=1
	s_or_b32 exec_lo, exec_lo, s43
	s_wait_dscnt 0x0
	s_barrier_signal -1
	s_barrier_wait -1
	s_barrier_signal -1
	s_barrier_wait -1
	s_and_saveexec_b32 s43, s39
	s_cbranch_execz .LBB105_413
; %bb.412:                              ;   in Loop: Header=BB105_3 Depth=1
	ds_load_b32 v24, v42 offset:4192
	s_wait_dscnt 0x0
	ds_store_b32 v46, v24 offset:6208
	ds_load_b32 v24, v42 offset:4196
	s_wait_dscnt 0x0
	ds_store_b32 v46, v24 offset:6464
	;; [unrolled: 3-line block ×8, first 2 shown]
.LBB105_413:                            ;   in Loop: Header=BB105_3 Depth=1
	s_or_b32 exec_lo, exec_lo, s43
	s_wait_dscnt 0x0
	s_barrier_signal -1
	s_barrier_wait -1
	s_and_saveexec_b32 s43, s11
	s_cbranch_execz .LBB105_415
; %bb.414:                              ;   in Loop: Header=BB105_3 Depth=1
	ds_load_b32 v24, v7 offset:6244
	ds_store_b32 v7, v25 offset:6240
	s_wait_dscnt 0x1
	ds_store_b64 v7, v[24:25] offset:6496
.LBB105_415:                            ;   in Loop: Header=BB105_3 Depth=1
	s_or_b32 exec_lo, exec_lo, s43
	v_mov_b32_e32 v24, 0
	s_wait_dscnt 0x0
	s_barrier_signal -1
	s_barrier_wait -1
	s_and_saveexec_b32 s43, s2
	s_cbranch_execz .LBB105_419
; %bb.416:                              ;   in Loop: Header=BB105_3 Depth=1
	ds_load_b32 v24, v39 offset:6248
	ds_load_b32 v30, v40 offset:6240
	s_wait_dscnt 0x0
	v_fma_f32 v24, v24, v30, 0
	s_and_saveexec_b32 s44, s12
	s_cbranch_execz .LBB105_418
; %bb.417:                              ;   in Loop: Header=BB105_3 Depth=1
	ds_load_b32 v30, v46 offset:6504
	ds_load_b32 v31, v7 offset:6244
	s_wait_dscnt 0x0
	v_fmac_f32_e32 v24, v30, v31
.LBB105_418:                            ;   in Loop: Header=BB105_3 Depth=1
	s_or_b32 exec_lo, exec_lo, s44
	s_delay_alu instid0(VALU_DEP_1)
	v_xor_b32_e32 v24, 0x80000000, v24
.LBB105_419:                            ;   in Loop: Header=BB105_3 Depth=1
	s_or_b32 exec_lo, exec_lo, s43
	s_and_saveexec_b32 s43, s89
; %bb.420:                              ;   in Loop: Header=BB105_3 Depth=1
	ds_store_b32 v37, v24
; %bb.421:                              ;   in Loop: Header=BB105_3 Depth=1
	s_or_b32 exec_lo, exec_lo, s43
	s_wait_dscnt 0x0
	s_barrier_signal -1
	s_barrier_wait -1
	s_and_saveexec_b32 s43, s90
	s_cbranch_execz .LBB105_423
; %bb.422:                              ;   in Loop: Header=BB105_3 Depth=1
	ds_load_b32 v30, v7 offset:6764
	ds_load_b32 v31, v37
	s_wait_dscnt 0x0
	v_fmac_f32_e32 v24, v30, v31
.LBB105_423:                            ;   in Loop: Header=BB105_3 Depth=1
	s_or_b32 exec_lo, exec_lo, s43
	s_barrier_signal -1
	s_barrier_wait -1
	s_and_saveexec_b32 s43, s90
; %bb.424:                              ;   in Loop: Header=BB105_3 Depth=1
	ds_store_b32 v37, v24
; %bb.425:                              ;   in Loop: Header=BB105_3 Depth=1
	s_or_b32 exec_lo, exec_lo, s43
	s_wait_dscnt 0x0
	s_barrier_signal -1
	s_barrier_wait -1
	s_barrier_signal -1
	s_barrier_wait -1
	s_and_saveexec_b32 s43, s2
; %bb.426:                              ;   in Loop: Header=BB105_3 Depth=1
	v_xor_b32_e32 v24, 0x80000000, v24
	ds_store_b32 v39, v24 offset:6248
; %bb.427:                              ;   in Loop: Header=BB105_3 Depth=1
	s_or_b32 exec_lo, exec_lo, s43
	s_wait_dscnt 0x0
	s_barrier_signal -1
	s_barrier_wait -1
	s_barrier_signal -1
	s_barrier_wait -1
	s_and_saveexec_b32 s43, s91
	s_cbranch_execz .LBB105_429
; %bb.428:                              ;   in Loop: Header=BB105_3 Depth=1
	ds_load_b32 v24, v50 offset:6248
	s_wait_dscnt 0x0
	ds_store_b32 v46, v24 offset:6752
	ds_load_b32 v24, v50 offset:6252
	s_wait_dscnt 0x0
	ds_store_b32 v46, v24 offset:7008
.LBB105_429:                            ;   in Loop: Header=BB105_3 Depth=1
	s_or_b32 exec_lo, exec_lo, s43
	s_wait_dscnt 0x0
	s_barrier_signal -1
	s_barrier_wait -1
	s_and_saveexec_b32 s43, s11
	s_cbranch_execz .LBB105_431
; %bb.430:                              ;   in Loop: Header=BB105_3 Depth=1
	ds_load_b32 v24, v7 offset:6764
	ds_store_b32 v7, v25 offset:6760
	s_wait_dscnt 0x1
	ds_store_b64 v7, v[24:25] offset:7016
.LBB105_431:                            ;   in Loop: Header=BB105_3 Depth=1
	s_or_b32 exec_lo, exec_lo, s43
	v_mov_b32_e32 v24, 0
	s_wait_dscnt 0x0
	s_barrier_signal -1
	s_barrier_wait -1
	s_and_saveexec_b32 s43, s4
	s_cbranch_execz .LBB105_437
; %bb.432:                              ;   in Loop: Header=BB105_3 Depth=1
	ds_load_b32 v24, v48 offset:6256
	ds_load_b32 v30, v41 offset:6240
	s_wait_dscnt 0x0
	v_fma_f32 v24, v24, v30, 0
	s_and_saveexec_b32 s44, s13
	s_cbranch_execnz .LBB105_1197
; %bb.433:                              ;   in Loop: Header=BB105_3 Depth=1
	s_or_b32 exec_lo, exec_lo, s44
	s_and_saveexec_b32 s44, s14
	s_cbranch_execnz .LBB105_1198
.LBB105_434:                            ;   in Loop: Header=BB105_3 Depth=1
	s_or_b32 exec_lo, exec_lo, s44
	s_and_saveexec_b32 s44, s2
	s_cbranch_execz .LBB105_436
.LBB105_435:                            ;   in Loop: Header=BB105_3 Depth=1
	ds_load_b32 v30, v53 offset:7024
	ds_load_b32 v31, v7 offset:6252
	s_wait_dscnt 0x0
	v_fmac_f32_e32 v24, v30, v31
.LBB105_436:                            ;   in Loop: Header=BB105_3 Depth=1
	s_or_b32 exec_lo, exec_lo, s44
	s_delay_alu instid0(VALU_DEP_1)
	v_xor_b32_e32 v24, 0x80000000, v24
.LBB105_437:                            ;   in Loop: Header=BB105_3 Depth=1
	s_or_b32 exec_lo, exec_lo, s43
	s_and_saveexec_b32 s43, s92
; %bb.438:                              ;   in Loop: Header=BB105_3 Depth=1
	ds_store_b32 v47, v24
; %bb.439:                              ;   in Loop: Header=BB105_3 Depth=1
	s_or_b32 exec_lo, exec_lo, s43
	s_wait_dscnt 0x0
	s_barrier_signal -1
	s_barrier_wait -1
	s_and_saveexec_b32 s43, s93
	s_cbranch_execz .LBB105_441
; %bb.440:                              ;   in Loop: Header=BB105_3 Depth=1
	ds_load_b32 v30, v45 offset:7280
	ds_load_b32 v31, v47
	s_wait_dscnt 0x0
	v_fmac_f32_e32 v24, v30, v31
.LBB105_441:                            ;   in Loop: Header=BB105_3 Depth=1
	s_or_b32 exec_lo, exec_lo, s43
	s_barrier_signal -1
	s_barrier_wait -1
	s_and_saveexec_b32 s43, s94
; %bb.442:                              ;   in Loop: Header=BB105_3 Depth=1
	ds_store_b32 v47, v24
; %bb.443:                              ;   in Loop: Header=BB105_3 Depth=1
	s_or_b32 exec_lo, exec_lo, s43
	s_wait_dscnt 0x0
	s_barrier_signal -1
	s_barrier_wait -1
	s_and_saveexec_b32 s43, s95
	s_cbranch_execz .LBB105_445
; %bb.444:                              ;   in Loop: Header=BB105_3 Depth=1
	ds_load_b32 v30, v45 offset:7536
	ds_load_b32 v31, v47
	s_wait_dscnt 0x0
	v_fmac_f32_e32 v24, v30, v31
.LBB105_445:                            ;   in Loop: Header=BB105_3 Depth=1
	s_or_b32 exec_lo, exec_lo, s43
	s_barrier_signal -1
	s_barrier_wait -1
	;; [unrolled: 19-line block ×3, first 2 shown]
	s_and_saveexec_b32 s43, s97
; %bb.450:                              ;   in Loop: Header=BB105_3 Depth=1
	ds_store_b32 v47, v24
; %bb.451:                              ;   in Loop: Header=BB105_3 Depth=1
	s_or_b32 exec_lo, exec_lo, s43
	s_wait_dscnt 0x0
	s_barrier_signal -1
	s_barrier_wait -1
	s_barrier_signal -1
	s_barrier_wait -1
	s_and_saveexec_b32 s43, s4
; %bb.452:                              ;   in Loop: Header=BB105_3 Depth=1
	v_xor_b32_e32 v24, 0x80000000, v24
	ds_store_b32 v48, v24 offset:6256
; %bb.453:                              ;   in Loop: Header=BB105_3 Depth=1
	s_or_b32 exec_lo, exec_lo, s43
	s_wait_dscnt 0x0
	s_barrier_signal -1
	s_barrier_wait -1
	s_barrier_signal -1
	s_barrier_wait -1
	s_and_saveexec_b32 s43, s98
	s_cbranch_execz .LBB105_455
; %bb.454:                              ;   in Loop: Header=BB105_3 Depth=1
	ds_load_b32 v24, v56 offset:6256
	s_wait_dscnt 0x0
	ds_store_b32 v59, v24 offset:7264
	ds_load_b32 v24, v56 offset:6260
	s_wait_dscnt 0x0
	ds_store_b32 v59, v24 offset:7520
	;; [unrolled: 3-line block ×4, first 2 shown]
.LBB105_455:                            ;   in Loop: Header=BB105_3 Depth=1
	s_or_b32 exec_lo, exec_lo, s43
	s_wait_dscnt 0x0
	s_barrier_signal -1
	s_barrier_wait -1
	s_and_saveexec_b32 s43, s11
	s_cbranch_execz .LBB105_457
; %bb.456:                              ;   in Loop: Header=BB105_3 Depth=1
	ds_load_b32 v24, v7 offset:7284
	ds_store_b32 v7, v25 offset:7280
	s_wait_dscnt 0x1
	ds_store_b64 v7, v[24:25] offset:7536
.LBB105_457:                            ;   in Loop: Header=BB105_3 Depth=1
	s_or_b32 exec_lo, exec_lo, s43
	v_mov_b32_e32 v24, 0
	s_wait_dscnt 0x0
	s_barrier_signal -1
	s_barrier_wait -1
	s_and_saveexec_b32 s43, s2
	s_cbranch_execz .LBB105_461
; %bb.458:                              ;   in Loop: Header=BB105_3 Depth=1
	ds_load_b32 v24, v39 offset:7288
	ds_load_b32 v30, v40 offset:7280
	s_wait_dscnt 0x0
	v_fma_f32 v24, v24, v30, 0
	s_and_saveexec_b32 s44, s12
	s_cbranch_execz .LBB105_460
; %bb.459:                              ;   in Loop: Header=BB105_3 Depth=1
	ds_load_b32 v30, v59 offset:7544
	ds_load_b32 v31, v7 offset:7284
	s_wait_dscnt 0x0
	v_fmac_f32_e32 v24, v30, v31
.LBB105_460:                            ;   in Loop: Header=BB105_3 Depth=1
	s_or_b32 exec_lo, exec_lo, s44
	s_delay_alu instid0(VALU_DEP_1)
	v_xor_b32_e32 v24, 0x80000000, v24
.LBB105_461:                            ;   in Loop: Header=BB105_3 Depth=1
	s_or_b32 exec_lo, exec_lo, s43
	s_and_saveexec_b32 s43, s89
; %bb.462:                              ;   in Loop: Header=BB105_3 Depth=1
	ds_store_b32 v37, v24
; %bb.463:                              ;   in Loop: Header=BB105_3 Depth=1
	s_or_b32 exec_lo, exec_lo, s43
	s_wait_dscnt 0x0
	s_barrier_signal -1
	s_barrier_wait -1
	s_and_saveexec_b32 s43, s90
	s_cbranch_execz .LBB105_465
; %bb.464:                              ;   in Loop: Header=BB105_3 Depth=1
	ds_load_b32 v30, v7 offset:7804
	ds_load_b32 v31, v37
	s_wait_dscnt 0x0
	v_fmac_f32_e32 v24, v30, v31
.LBB105_465:                            ;   in Loop: Header=BB105_3 Depth=1
	s_or_b32 exec_lo, exec_lo, s43
	s_barrier_signal -1
	s_barrier_wait -1
	s_and_saveexec_b32 s43, s90
; %bb.466:                              ;   in Loop: Header=BB105_3 Depth=1
	ds_store_b32 v37, v24
; %bb.467:                              ;   in Loop: Header=BB105_3 Depth=1
	s_or_b32 exec_lo, exec_lo, s43
	s_wait_dscnt 0x0
	s_barrier_signal -1
	s_barrier_wait -1
	s_barrier_signal -1
	s_barrier_wait -1
	s_and_saveexec_b32 s43, s2
; %bb.468:                              ;   in Loop: Header=BB105_3 Depth=1
	v_xor_b32_e32 v24, 0x80000000, v24
	ds_store_b32 v39, v24 offset:7288
; %bb.469:                              ;   in Loop: Header=BB105_3 Depth=1
	s_or_b32 exec_lo, exec_lo, s43
	s_wait_dscnt 0x0
	s_barrier_signal -1
	s_barrier_wait -1
	s_barrier_signal -1
	s_barrier_wait -1
	s_and_saveexec_b32 s43, s91
	s_cbranch_execz .LBB105_471
; %bb.470:                              ;   in Loop: Header=BB105_3 Depth=1
	v_add_nc_u32_e32 v24, v59, v44
	ds_load_b32 v30, v24 offset:7288
	s_wait_dscnt 0x0
	ds_store_b32 v59, v30 offset:7792
	ds_load_b32 v24, v24 offset:7292
	s_wait_dscnt 0x0
	ds_store_b32 v59, v24 offset:8048
.LBB105_471:                            ;   in Loop: Header=BB105_3 Depth=1
	s_or_b32 exec_lo, exec_lo, s43
	s_wait_dscnt 0x0
	s_barrier_signal -1
	s_barrier_wait -1
	s_and_saveexec_b32 s43, s11
	s_cbranch_execz .LBB105_473
; %bb.472:                              ;   in Loop: Header=BB105_3 Depth=1
	ds_load_b32 v24, v7 offset:7804
	ds_store_b32 v7, v25 offset:7800
	s_wait_dscnt 0x1
	ds_store_b64 v7, v[24:25] offset:8056
.LBB105_473:                            ;   in Loop: Header=BB105_3 Depth=1
	s_or_b32 exec_lo, exec_lo, s43
	v_mov_b32_e32 v24, 0
	s_wait_dscnt 0x0
	s_barrier_signal -1
	s_barrier_wait -1
	s_and_saveexec_b32 s82, s7
	s_cbranch_execz .LBB105_535
; %bb.474:                              ;   in Loop: Header=BB105_3 Depth=1
	v_add_nc_u32_e32 v30, v62, v61
	ds_load_b32 v24, v68 offset:128
	ds_load_b32 v31, v30
	s_wait_dscnt 0x0
	v_fma_f32 v24, v24, v31, 0
	s_mov_b32 s43, exec_lo
	v_readlane_b32 s44, v93, 29
	s_and_b32 s44, s43, s44
	s_delay_alu instid0(SALU_CYCLE_1)
	s_mov_b32 exec_lo, s44
	s_cbranch_execz .LBB105_476
; %bb.475:                              ;   in Loop: Header=BB105_3 Depth=1
	ds_load_b32 v31, v68 offset:384
	ds_load_b32 v32, v30 offset:4
	s_wait_dscnt 0x0
	v_fmac_f32_e32 v24, v31, v32
.LBB105_476:                            ;   in Loop: Header=BB105_3 Depth=1
	s_or_b32 exec_lo, exec_lo, s43
	s_delay_alu instid0(SALU_CYCLE_1) | instskip(SKIP_2) | instid1(SALU_CYCLE_1)
	s_mov_b32 s43, exec_lo
	v_readlane_b32 s44, v93, 30
	s_and_b32 s44, s43, s44
	s_mov_b32 exec_lo, s44
	s_cbranch_execz .LBB105_478
; %bb.477:                              ;   in Loop: Header=BB105_3 Depth=1
	ds_load_b32 v31, v68 offset:640
	ds_load_b32 v32, v30 offset:8
	s_wait_dscnt 0x0
	v_fmac_f32_e32 v24, v31, v32
.LBB105_478:                            ;   in Loop: Header=BB105_3 Depth=1
	s_or_b32 exec_lo, exec_lo, s43
	s_delay_alu instid0(SALU_CYCLE_1) | instskip(SKIP_2) | instid1(SALU_CYCLE_1)
	s_mov_b32 s43, exec_lo
	v_readlane_b32 s44, v93, 31
	s_and_b32 s44, s43, s44
	;; [unrolled: 13-line block ×22, first 2 shown]
	s_mov_b32 exec_lo, s44
	s_cbranch_execz .LBB105_520
; %bb.519:                              ;   in Loop: Header=BB105_3 Depth=1
	ds_load_b32 v31, v68 offset:6016
	ds_load_b32 v32, v30 offset:92
	s_wait_dscnt 0x0
	v_fmac_f32_e32 v24, v31, v32
.LBB105_520:                            ;   in Loop: Header=BB105_3 Depth=1
	s_or_b32 exec_lo, exec_lo, s43
	s_and_saveexec_b32 s43, s6
	s_cbranch_execz .LBB105_522
; %bb.521:                              ;   in Loop: Header=BB105_3 Depth=1
	ds_load_b32 v31, v68 offset:6272
	ds_load_b32 v32, v30 offset:96
	s_wait_dscnt 0x0
	v_fmac_f32_e32 v24, v31, v32
.LBB105_522:                            ;   in Loop: Header=BB105_3 Depth=1
	s_or_b32 exec_lo, exec_lo, s43
	s_delay_alu instid0(SALU_CYCLE_1) | instskip(SKIP_2) | instid1(SALU_CYCLE_1)
	s_mov_b32 s43, exec_lo
	v_readlane_b32 s44, v93, 19
	s_and_b32 s44, s43, s44
	s_mov_b32 exec_lo, s44
	s_cbranch_execz .LBB105_524
; %bb.523:                              ;   in Loop: Header=BB105_3 Depth=1
	ds_load_b32 v31, v68 offset:6528
	ds_load_b32 v32, v30 offset:100
	s_wait_dscnt 0x0
	v_fmac_f32_e32 v24, v31, v32
.LBB105_524:                            ;   in Loop: Header=BB105_3 Depth=1
	s_or_b32 exec_lo, exec_lo, s43
	s_delay_alu instid0(SALU_CYCLE_1) | instskip(SKIP_2) | instid1(SALU_CYCLE_1)
	s_mov_b32 s43, exec_lo
	v_readlane_b32 s44, v93, 21
	s_and_b32 s44, s43, s44
	s_mov_b32 exec_lo, s44
	s_cbranch_execz .LBB105_526
; %bb.525:                              ;   in Loop: Header=BB105_3 Depth=1
	ds_load_b32 v31, v68 offset:6784
	ds_load_b32 v32, v30 offset:104
	s_wait_dscnt 0x0
	v_fmac_f32_e32 v24, v31, v32
.LBB105_526:                            ;   in Loop: Header=BB105_3 Depth=1
	s_or_b32 exec_lo, exec_lo, s43
	s_delay_alu instid0(SALU_CYCLE_1) | instskip(SKIP_2) | instid1(SALU_CYCLE_1)
	s_mov_b32 s43, exec_lo
	v_readlane_b32 s44, v93, 23
	s_and_b32 s44, s43, s44
	s_mov_b32 exec_lo, s44
	s_cbranch_execz .LBB105_528
; %bb.527:                              ;   in Loop: Header=BB105_3 Depth=1
	ds_load_b32 v31, v68 offset:7040
	ds_load_b32 v32, v30 offset:108
	s_wait_dscnt 0x0
	v_fmac_f32_e32 v24, v31, v32
.LBB105_528:                            ;   in Loop: Header=BB105_3 Depth=1
	s_or_b32 exec_lo, exec_lo, s43
	s_delay_alu instid0(SALU_CYCLE_1) | instskip(SKIP_2) | instid1(SALU_CYCLE_1)
	s_mov_b32 s43, exec_lo
	v_readlane_b32 s44, v93, 25
	s_and_b32 s44, s43, s44
	s_mov_b32 exec_lo, s44
	s_cbranch_execz .LBB105_530
; %bb.529:                              ;   in Loop: Header=BB105_3 Depth=1
	ds_load_b32 v31, v68 offset:7296
	ds_load_b32 v32, v30 offset:112
	s_wait_dscnt 0x0
	v_fmac_f32_e32 v24, v31, v32
.LBB105_530:                            ;   in Loop: Header=BB105_3 Depth=1
	s_or_b32 exec_lo, exec_lo, s43
	s_delay_alu instid0(SALU_CYCLE_1) | instskip(SKIP_2) | instid1(SALU_CYCLE_1)
	s_mov_b32 s43, exec_lo
	v_readlane_b32 s44, v93, 27
	s_and_b32 s44, s43, s44
	s_mov_b32 exec_lo, s44
	s_cbranch_execnz .LBB105_1199
; %bb.531:                              ;   in Loop: Header=BB105_3 Depth=1
	s_or_b32 exec_lo, exec_lo, s43
	s_and_saveexec_b32 s43, s5
	s_cbranch_execnz .LBB105_1200
.LBB105_532:                            ;   in Loop: Header=BB105_3 Depth=1
	s_or_b32 exec_lo, exec_lo, s43
	s_and_saveexec_b32 s43, s18
	s_cbranch_execz .LBB105_534
.LBB105_533:                            ;   in Loop: Header=BB105_3 Depth=1
	ds_load_b32 v30, v3 offset:8064
	ds_load_b32 v31, v7 offset:124
	s_wait_dscnt 0x0
	v_fmac_f32_e32 v24, v30, v31
.LBB105_534:                            ;   in Loop: Header=BB105_3 Depth=1
	s_or_b32 exec_lo, exec_lo, s43
	s_delay_alu instid0(VALU_DEP_1)
	v_xor_b32_e32 v24, 0x80000000, v24
.LBB105_535:                            ;   in Loop: Header=BB105_3 Depth=1
	s_or_b32 exec_lo, exec_lo, s82
	s_delay_alu instid0(SALU_CYCLE_1) | instskip(SKIP_2) | instid1(SALU_CYCLE_1)
	s_mov_b32 s43, exec_lo
	v_readlane_b32 s44, v95, 10
	s_and_b32 s44, s43, s44
	s_mov_b32 exec_lo, s44
; %bb.536:                              ;   in Loop: Header=BB105_3 Depth=1
	ds_store_b32 v67, v24
; %bb.537:                              ;   in Loop: Header=BB105_3 Depth=1
	s_or_b32 exec_lo, exec_lo, s43
	s_wait_dscnt 0x0
	s_barrier_signal -1
	s_barrier_wait -1
	s_mov_b32 s43, exec_lo
	v_readlane_b32 s44, v95, 11
	s_and_b32 s44, s43, s44
	s_delay_alu instid0(SALU_CYCLE_1)
	s_mov_b32 exec_lo, s44
	s_cbranch_execz .LBB105_539
; %bb.538:                              ;   in Loop: Header=BB105_3 Depth=1
	ds_load_b32 v30, v63 offset:8320
	ds_load_b32 v31, v67
	s_wait_dscnt 0x0
	v_fmac_f32_e32 v24, v30, v31
.LBB105_539:                            ;   in Loop: Header=BB105_3 Depth=1
	s_or_b32 exec_lo, exec_lo, s43
	s_barrier_signal -1
	s_barrier_wait -1
	s_mov_b32 s43, exec_lo
	v_readlane_b32 s44, v95, 12
	s_and_b32 s44, s43, s44
	s_delay_alu instid0(SALU_CYCLE_1)
	s_mov_b32 exec_lo, s44
; %bb.540:                              ;   in Loop: Header=BB105_3 Depth=1
	ds_store_b32 v67, v24
; %bb.541:                              ;   in Loop: Header=BB105_3 Depth=1
	s_or_b32 exec_lo, exec_lo, s43
	s_wait_dscnt 0x0
	s_barrier_signal -1
	s_barrier_wait -1
	s_mov_b32 s43, exec_lo
	v_readlane_b32 s44, v95, 13
	s_and_b32 s44, s43, s44
	s_delay_alu instid0(SALU_CYCLE_1)
	s_mov_b32 exec_lo, s44
	s_cbranch_execz .LBB105_543
; %bb.542:                              ;   in Loop: Header=BB105_3 Depth=1
	ds_load_b32 v30, v63 offset:8576
	ds_load_b32 v31, v67
	s_wait_dscnt 0x0
	v_fmac_f32_e32 v24, v30, v31
.LBB105_543:                            ;   in Loop: Header=BB105_3 Depth=1
	s_or_b32 exec_lo, exec_lo, s43
	s_barrier_signal -1
	s_barrier_wait -1
	s_mov_b32 s43, exec_lo
	v_readlane_b32 s44, v95, 14
	s_and_b32 s44, s43, s44
	s_delay_alu instid0(SALU_CYCLE_1)
	;; [unrolled: 27-line block ×30, first 2 shown]
	s_mov_b32 exec_lo, s44
; %bb.656:                              ;   in Loop: Header=BB105_3 Depth=1
	ds_store_b32 v67, v24
; %bb.657:                              ;   in Loop: Header=BB105_3 Depth=1
	s_or_b32 exec_lo, exec_lo, s43
	s_wait_dscnt 0x0
	s_barrier_signal -1
	s_barrier_wait -1
	s_and_saveexec_b32 s43, s87
	s_cbranch_execz .LBB105_659
; %bb.658:                              ;   in Loop: Header=BB105_3 Depth=1
	ds_load_b32 v30, v7 offset:16124
	ds_load_b32 v31, v67
	s_wait_dscnt 0x0
	v_fmac_f32_e32 v24, v30, v31
.LBB105_659:                            ;   in Loop: Header=BB105_3 Depth=1
	s_or_b32 exec_lo, exec_lo, s43
	s_barrier_signal -1
	s_barrier_wait -1
	s_and_saveexec_b32 s43, s87
; %bb.660:                              ;   in Loop: Header=BB105_3 Depth=1
	ds_store_b32 v67, v24
; %bb.661:                              ;   in Loop: Header=BB105_3 Depth=1
	s_or_b32 exec_lo, exec_lo, s43
	s_wait_dscnt 0x0
	s_barrier_signal -1
	s_barrier_wait -1
	s_barrier_signal -1
	s_barrier_wait -1
	s_and_saveexec_b32 s43, s7
; %bb.662:                              ;   in Loop: Header=BB105_3 Depth=1
	v_xor_b32_e32 v24, 0x80000000, v24
	ds_store_b32 v68, v24 offset:128
; %bb.663:                              ;   in Loop: Header=BB105_3 Depth=1
	s_or_b32 exec_lo, exec_lo, s43
	s_wait_dscnt 0x0
	s_barrier_signal -1
	s_barrier_wait -1
	s_barrier_signal -1
	s_barrier_wait -1
	s_mov_b32 s43, exec_lo
	v_readlane_b32 s44, v93, 7
	s_and_b32 s44, s43, s44
	s_delay_alu instid0(SALU_CYCLE_1)
	s_mov_b32 exec_lo, s44
	s_cbranch_execz .LBB105_665
; %bb.664:                              ;   in Loop: Header=BB105_3 Depth=1
	ds_load_b32 v24, v43 offset:128
	s_wait_dscnt 0x0
	ds_store_b32 v69, v24 offset:8192
	ds_load_b32 v24, v43 offset:132
	s_wait_dscnt 0x0
	ds_store_b32 v69, v24 offset:8448
	;; [unrolled: 3-line block ×32, first 2 shown]
.LBB105_665:                            ;   in Loop: Header=BB105_3 Depth=1
	s_or_b32 exec_lo, exec_lo, s43
	s_wait_dscnt 0x0
	s_barrier_signal -1
	s_barrier_wait -1
	s_and_saveexec_b32 s43, s11
	s_cbranch_execz .LBB105_667
; %bb.666:                              ;   in Loop: Header=BB105_3 Depth=1
	ds_load_b32 v24, v7 offset:8324
	ds_store_b32 v7, v25 offset:8320
	s_wait_dscnt 0x1
	ds_store_b64 v7, v[24:25] offset:8576
.LBB105_667:                            ;   in Loop: Header=BB105_3 Depth=1
	s_or_b32 exec_lo, exec_lo, s43
	v_mov_b32_e32 v24, 0
	s_wait_dscnt 0x0
	s_barrier_signal -1
	s_barrier_wait -1
	s_and_saveexec_b32 s43, s2
	s_cbranch_execz .LBB105_671
; %bb.668:                              ;   in Loop: Header=BB105_3 Depth=1
	ds_load_b32 v24, v39 offset:8328
	ds_load_b32 v30, v40 offset:8320
	s_wait_dscnt 0x0
	v_fma_f32 v24, v24, v30, 0
	s_and_saveexec_b32 s44, s12
	s_cbranch_execz .LBB105_670
; %bb.669:                              ;   in Loop: Header=BB105_3 Depth=1
	ds_load_b32 v30, v3 offset:8584
	ds_load_b32 v31, v7 offset:8324
	s_wait_dscnt 0x0
	v_fmac_f32_e32 v24, v30, v31
.LBB105_670:                            ;   in Loop: Header=BB105_3 Depth=1
	s_or_b32 exec_lo, exec_lo, s44
	s_delay_alu instid0(VALU_DEP_1)
	v_xor_b32_e32 v24, 0x80000000, v24
.LBB105_671:                            ;   in Loop: Header=BB105_3 Depth=1
	s_or_b32 exec_lo, exec_lo, s43
	s_and_saveexec_b32 s43, s89
; %bb.672:                              ;   in Loop: Header=BB105_3 Depth=1
	ds_store_b32 v37, v24
; %bb.673:                              ;   in Loop: Header=BB105_3 Depth=1
	s_or_b32 exec_lo, exec_lo, s43
	s_wait_dscnt 0x0
	s_barrier_signal -1
	s_barrier_wait -1
	s_and_saveexec_b32 s43, s90
	s_cbranch_execz .LBB105_675
; %bb.674:                              ;   in Loop: Header=BB105_3 Depth=1
	ds_load_b32 v30, v7 offset:8844
	ds_load_b32 v31, v37
	s_wait_dscnt 0x0
	v_fmac_f32_e32 v24, v30, v31
.LBB105_675:                            ;   in Loop: Header=BB105_3 Depth=1
	s_or_b32 exec_lo, exec_lo, s43
	s_barrier_signal -1
	s_barrier_wait -1
	s_and_saveexec_b32 s43, s90
; %bb.676:                              ;   in Loop: Header=BB105_3 Depth=1
	ds_store_b32 v37, v24
; %bb.677:                              ;   in Loop: Header=BB105_3 Depth=1
	s_or_b32 exec_lo, exec_lo, s43
	s_wait_dscnt 0x0
	s_barrier_signal -1
	s_barrier_wait -1
	s_barrier_signal -1
	s_barrier_wait -1
	s_and_saveexec_b32 s43, s2
; %bb.678:                              ;   in Loop: Header=BB105_3 Depth=1
	v_xor_b32_e32 v24, 0x80000000, v24
	ds_store_b32 v39, v24 offset:8328
; %bb.679:                              ;   in Loop: Header=BB105_3 Depth=1
	s_or_b32 exec_lo, exec_lo, s43
	s_wait_dscnt 0x0
	s_barrier_signal -1
	s_barrier_wait -1
	s_barrier_signal -1
	s_barrier_wait -1
	s_and_saveexec_b32 s43, s91
	s_cbranch_execz .LBB105_681
; %bb.680:                              ;   in Loop: Header=BB105_3 Depth=1
	ds_load_b32 v24, v5 offset:8328
	s_wait_dscnt 0x0
	ds_store_b32 v3, v24 offset:8832
	ds_load_b32 v24, v5 offset:8332
	s_wait_dscnt 0x0
	ds_store_b32 v3, v24 offset:9088
.LBB105_681:                            ;   in Loop: Header=BB105_3 Depth=1
	s_or_b32 exec_lo, exec_lo, s43
	s_wait_dscnt 0x0
	s_barrier_signal -1
	s_barrier_wait -1
	s_and_saveexec_b32 s43, s11
	s_cbranch_execz .LBB105_683
; %bb.682:                              ;   in Loop: Header=BB105_3 Depth=1
	ds_load_b32 v24, v7 offset:8844
	ds_store_b32 v7, v25 offset:8840
	s_wait_dscnt 0x1
	ds_store_b64 v7, v[24:25] offset:9096
.LBB105_683:                            ;   in Loop: Header=BB105_3 Depth=1
	s_or_b32 exec_lo, exec_lo, s43
	v_mov_b32_e32 v24, 0
	s_wait_dscnt 0x0
	s_barrier_signal -1
	s_barrier_wait -1
	s_and_saveexec_b32 s43, s4
	s_cbranch_execz .LBB105_689
; %bb.684:                              ;   in Loop: Header=BB105_3 Depth=1
	ds_load_b32 v24, v48 offset:8336
	ds_load_b32 v30, v41 offset:8320
	s_wait_dscnt 0x0
	v_fma_f32 v24, v24, v30, 0
	s_and_saveexec_b32 s44, s13
	s_cbranch_execnz .LBB105_1201
; %bb.685:                              ;   in Loop: Header=BB105_3 Depth=1
	s_or_b32 exec_lo, exec_lo, s44
	s_and_saveexec_b32 s44, s14
	s_cbranch_execnz .LBB105_1202
.LBB105_686:                            ;   in Loop: Header=BB105_3 Depth=1
	s_or_b32 exec_lo, exec_lo, s44
	s_and_saveexec_b32 s44, s2
	s_cbranch_execz .LBB105_688
.LBB105_687:                            ;   in Loop: Header=BB105_3 Depth=1
	ds_load_b32 v30, v9 offset:9104
	ds_load_b32 v31, v7 offset:8332
	s_wait_dscnt 0x0
	v_fmac_f32_e32 v24, v30, v31
.LBB105_688:                            ;   in Loop: Header=BB105_3 Depth=1
	s_or_b32 exec_lo, exec_lo, s44
	s_delay_alu instid0(VALU_DEP_1)
	v_xor_b32_e32 v24, 0x80000000, v24
.LBB105_689:                            ;   in Loop: Header=BB105_3 Depth=1
	s_or_b32 exec_lo, exec_lo, s43
	s_and_saveexec_b32 s43, s92
; %bb.690:                              ;   in Loop: Header=BB105_3 Depth=1
	ds_store_b32 v47, v24
; %bb.691:                              ;   in Loop: Header=BB105_3 Depth=1
	s_or_b32 exec_lo, exec_lo, s43
	s_wait_dscnt 0x0
	s_barrier_signal -1
	s_barrier_wait -1
	s_and_saveexec_b32 s43, s93
	s_cbranch_execz .LBB105_693
; %bb.692:                              ;   in Loop: Header=BB105_3 Depth=1
	ds_load_b32 v30, v45 offset:9360
	ds_load_b32 v31, v47
	s_wait_dscnt 0x0
	v_fmac_f32_e32 v24, v30, v31
.LBB105_693:                            ;   in Loop: Header=BB105_3 Depth=1
	s_or_b32 exec_lo, exec_lo, s43
	s_barrier_signal -1
	s_barrier_wait -1
	s_and_saveexec_b32 s43, s94
; %bb.694:                              ;   in Loop: Header=BB105_3 Depth=1
	ds_store_b32 v47, v24
; %bb.695:                              ;   in Loop: Header=BB105_3 Depth=1
	s_or_b32 exec_lo, exec_lo, s43
	s_wait_dscnt 0x0
	s_barrier_signal -1
	s_barrier_wait -1
	s_and_saveexec_b32 s43, s95
	s_cbranch_execz .LBB105_697
; %bb.696:                              ;   in Loop: Header=BB105_3 Depth=1
	ds_load_b32 v30, v45 offset:9616
	ds_load_b32 v31, v47
	s_wait_dscnt 0x0
	v_fmac_f32_e32 v24, v30, v31
.LBB105_697:                            ;   in Loop: Header=BB105_3 Depth=1
	s_or_b32 exec_lo, exec_lo, s43
	s_barrier_signal -1
	s_barrier_wait -1
	;; [unrolled: 19-line block ×3, first 2 shown]
	s_and_saveexec_b32 s43, s97
; %bb.702:                              ;   in Loop: Header=BB105_3 Depth=1
	ds_store_b32 v47, v24
; %bb.703:                              ;   in Loop: Header=BB105_3 Depth=1
	s_or_b32 exec_lo, exec_lo, s43
	s_wait_dscnt 0x0
	s_barrier_signal -1
	s_barrier_wait -1
	s_barrier_signal -1
	s_barrier_wait -1
	s_and_saveexec_b32 s43, s4
; %bb.704:                              ;   in Loop: Header=BB105_3 Depth=1
	v_xor_b32_e32 v24, 0x80000000, v24
	ds_store_b32 v48, v24 offset:8336
; %bb.705:                              ;   in Loop: Header=BB105_3 Depth=1
	s_or_b32 exec_lo, exec_lo, s43
	s_wait_dscnt 0x0
	s_barrier_signal -1
	s_barrier_wait -1
	s_barrier_signal -1
	s_barrier_wait -1
	s_and_saveexec_b32 s43, s98
	s_cbranch_execz .LBB105_707
; %bb.706:                              ;   in Loop: Header=BB105_3 Depth=1
	ds_load_b32 v24, v34 offset:8336
	s_wait_dscnt 0x0
	ds_store_b32 v35, v24 offset:9344
	ds_load_b32 v24, v34 offset:8340
	s_wait_dscnt 0x0
	ds_store_b32 v35, v24 offset:9600
	ds_load_b32 v24, v34 offset:8344
	s_wait_dscnt 0x0
	ds_store_b32 v35, v24 offset:9856
	ds_load_b32 v24, v34 offset:8348
	s_wait_dscnt 0x0
	ds_store_b32 v35, v24 offset:10112
.LBB105_707:                            ;   in Loop: Header=BB105_3 Depth=1
	s_or_b32 exec_lo, exec_lo, s43
	s_wait_dscnt 0x0
	s_barrier_signal -1
	s_barrier_wait -1
	s_and_saveexec_b32 s43, s11
	s_cbranch_execz .LBB105_709
; %bb.708:                              ;   in Loop: Header=BB105_3 Depth=1
	ds_load_b32 v24, v7 offset:9364
	ds_store_b32 v7, v25 offset:9360
	s_wait_dscnt 0x1
	ds_store_b64 v7, v[24:25] offset:9616
.LBB105_709:                            ;   in Loop: Header=BB105_3 Depth=1
	s_or_b32 exec_lo, exec_lo, s43
	v_mov_b32_e32 v24, 0
	s_wait_dscnt 0x0
	s_barrier_signal -1
	s_barrier_wait -1
	s_and_saveexec_b32 s43, s2
	s_cbranch_execz .LBB105_713
; %bb.710:                              ;   in Loop: Header=BB105_3 Depth=1
	ds_load_b32 v24, v39 offset:9368
	ds_load_b32 v30, v40 offset:9360
	s_wait_dscnt 0x0
	v_fma_f32 v24, v24, v30, 0
	s_and_saveexec_b32 s44, s12
	s_cbranch_execz .LBB105_712
; %bb.711:                              ;   in Loop: Header=BB105_3 Depth=1
	ds_load_b32 v30, v35 offset:9624
	ds_load_b32 v31, v7 offset:9364
	s_wait_dscnt 0x0
	v_fmac_f32_e32 v24, v30, v31
.LBB105_712:                            ;   in Loop: Header=BB105_3 Depth=1
	s_or_b32 exec_lo, exec_lo, s44
	s_delay_alu instid0(VALU_DEP_1)
	v_xor_b32_e32 v24, 0x80000000, v24
.LBB105_713:                            ;   in Loop: Header=BB105_3 Depth=1
	s_or_b32 exec_lo, exec_lo, s43
	s_and_saveexec_b32 s43, s89
; %bb.714:                              ;   in Loop: Header=BB105_3 Depth=1
	ds_store_b32 v37, v24
; %bb.715:                              ;   in Loop: Header=BB105_3 Depth=1
	s_or_b32 exec_lo, exec_lo, s43
	s_wait_dscnt 0x0
	s_barrier_signal -1
	s_barrier_wait -1
	s_and_saveexec_b32 s43, s90
	s_cbranch_execz .LBB105_717
; %bb.716:                              ;   in Loop: Header=BB105_3 Depth=1
	ds_load_b32 v30, v7 offset:9884
	ds_load_b32 v31, v37
	s_wait_dscnt 0x0
	v_fmac_f32_e32 v24, v30, v31
.LBB105_717:                            ;   in Loop: Header=BB105_3 Depth=1
	s_or_b32 exec_lo, exec_lo, s43
	s_barrier_signal -1
	s_barrier_wait -1
	s_and_saveexec_b32 s43, s90
; %bb.718:                              ;   in Loop: Header=BB105_3 Depth=1
	ds_store_b32 v37, v24
; %bb.719:                              ;   in Loop: Header=BB105_3 Depth=1
	s_or_b32 exec_lo, exec_lo, s43
	s_wait_dscnt 0x0
	s_barrier_signal -1
	s_barrier_wait -1
	s_barrier_signal -1
	s_barrier_wait -1
	s_and_saveexec_b32 s43, s2
; %bb.720:                              ;   in Loop: Header=BB105_3 Depth=1
	v_xor_b32_e32 v24, 0x80000000, v24
	ds_store_b32 v39, v24 offset:9368
; %bb.721:                              ;   in Loop: Header=BB105_3 Depth=1
	s_or_b32 exec_lo, exec_lo, s43
	s_wait_dscnt 0x0
	s_barrier_signal -1
	s_barrier_wait -1
	s_barrier_signal -1
	s_barrier_wait -1
	s_and_saveexec_b32 s43, s91
	s_cbranch_execz .LBB105_723
; %bb.722:                              ;   in Loop: Header=BB105_3 Depth=1
	ds_load_b32 v24, v36 offset:9368
	s_wait_dscnt 0x0
	ds_store_b32 v35, v24 offset:9872
	ds_load_b32 v24, v36 offset:9372
	s_wait_dscnt 0x0
	ds_store_b32 v35, v24 offset:10128
.LBB105_723:                            ;   in Loop: Header=BB105_3 Depth=1
	s_or_b32 exec_lo, exec_lo, s43
	s_wait_dscnt 0x0
	s_barrier_signal -1
	s_barrier_wait -1
	s_and_saveexec_b32 s43, s11
	s_cbranch_execz .LBB105_725
; %bb.724:                              ;   in Loop: Header=BB105_3 Depth=1
	ds_load_b32 v24, v7 offset:9884
	ds_store_b32 v7, v25 offset:9880
	s_wait_dscnt 0x1
	ds_store_b64 v7, v[24:25] offset:10136
.LBB105_725:                            ;   in Loop: Header=BB105_3 Depth=1
	s_or_b32 exec_lo, exec_lo, s43
	v_mov_b32_e32 v24, 0
	s_wait_dscnt 0x0
	s_barrier_signal -1
	s_barrier_wait -1
	s_and_saveexec_b32 s43, s5
	s_cbranch_execz .LBB105_735
; %bb.726:                              ;   in Loop: Header=BB105_3 Depth=1
	ds_load_b32 v24, v55 offset:8352
	ds_load_b32 v30, v52 offset:8320
	s_wait_dscnt 0x0
	v_fma_f32 v24, v24, v30, 0
	s_and_saveexec_b32 s44, s15
	s_cbranch_execnz .LBB105_1203
; %bb.727:                              ;   in Loop: Header=BB105_3 Depth=1
	s_or_b32 exec_lo, exec_lo, s44
	s_and_saveexec_b32 s44, s16
	s_cbranch_execnz .LBB105_1204
.LBB105_728:                            ;   in Loop: Header=BB105_3 Depth=1
	s_or_b32 exec_lo, exec_lo, s44
	s_and_saveexec_b32 s44, s17
	s_cbranch_execnz .LBB105_1205
.LBB105_729:                            ;   in Loop: Header=BB105_3 Depth=1
	s_or_b32 exec_lo, exec_lo, s44
	s_and_saveexec_b32 s44, s18
	s_cbranch_execnz .LBB105_1206
.LBB105_730:                            ;   in Loop: Header=BB105_3 Depth=1
	s_or_b32 exec_lo, exec_lo, s44
	s_and_saveexec_b32 s44, s19
	s_cbranch_execnz .LBB105_1207
.LBB105_731:                            ;   in Loop: Header=BB105_3 Depth=1
	s_or_b32 exec_lo, exec_lo, s44
	s_and_saveexec_b32 s44, s4
	s_cbranch_execnz .LBB105_1208
.LBB105_732:                            ;   in Loop: Header=BB105_3 Depth=1
	s_or_b32 exec_lo, exec_lo, s44
	s_and_saveexec_b32 s44, s14
	s_cbranch_execz .LBB105_734
.LBB105_733:                            ;   in Loop: Header=BB105_3 Depth=1
	ds_load_b32 v30, v38 offset:10144
	ds_load_b32 v31, v7 offset:8348
	s_wait_dscnt 0x0
	v_fmac_f32_e32 v24, v30, v31
.LBB105_734:                            ;   in Loop: Header=BB105_3 Depth=1
	s_or_b32 exec_lo, exec_lo, s44
	s_delay_alu instid0(VALU_DEP_1)
	v_xor_b32_e32 v24, 0x80000000, v24
.LBB105_735:                            ;   in Loop: Header=BB105_3 Depth=1
	s_or_b32 exec_lo, exec_lo, s43
	s_and_saveexec_b32 s43, s99
; %bb.736:                              ;   in Loop: Header=BB105_3 Depth=1
	ds_store_b32 v54, v24
; %bb.737:                              ;   in Loop: Header=BB105_3 Depth=1
	s_or_b32 exec_lo, exec_lo, s43
	s_wait_dscnt 0x0
	s_barrier_signal -1
	s_barrier_wait -1
	s_and_saveexec_b32 s43, s100
	s_cbranch_execz .LBB105_739
; %bb.738:                              ;   in Loop: Header=BB105_3 Depth=1
	ds_load_b32 v30, v51 offset:10400
	ds_load_b32 v31, v54
	s_wait_dscnt 0x0
	v_fmac_f32_e32 v24, v30, v31
.LBB105_739:                            ;   in Loop: Header=BB105_3 Depth=1
	s_or_b32 exec_lo, exec_lo, s43
	s_barrier_signal -1
	s_barrier_wait -1
	s_and_saveexec_b32 s43, s101
; %bb.740:                              ;   in Loop: Header=BB105_3 Depth=1
	ds_store_b32 v54, v24
; %bb.741:                              ;   in Loop: Header=BB105_3 Depth=1
	s_or_b32 exec_lo, exec_lo, s43
	s_wait_dscnt 0x0
	s_barrier_signal -1
	s_barrier_wait -1
	s_and_saveexec_b32 s43, s102
	s_cbranch_execz .LBB105_743
; %bb.742:                              ;   in Loop: Header=BB105_3 Depth=1
	ds_load_b32 v30, v51 offset:10656
	ds_load_b32 v31, v54
	s_wait_dscnt 0x0
	v_fmac_f32_e32 v24, v30, v31
.LBB105_743:                            ;   in Loop: Header=BB105_3 Depth=1
	s_or_b32 exec_lo, exec_lo, s43
	s_barrier_signal -1
	s_barrier_wait -1
	;; [unrolled: 19-line block ×3, first 2 shown]
	s_and_saveexec_b32 s43, vcc_hi
; %bb.748:                              ;   in Loop: Header=BB105_3 Depth=1
	ds_store_b32 v54, v24
; %bb.749:                              ;   in Loop: Header=BB105_3 Depth=1
	s_or_b32 exec_lo, exec_lo, s43
	s_wait_dscnt 0x0
	s_barrier_signal -1
	s_barrier_wait -1
	s_and_saveexec_b32 s43, s31
	s_cbranch_execz .LBB105_751
; %bb.750:                              ;   in Loop: Header=BB105_3 Depth=1
	ds_load_b32 v30, v51 offset:11168
	ds_load_b32 v31, v54
	s_wait_dscnt 0x0
	v_fmac_f32_e32 v24, v30, v31
.LBB105_751:                            ;   in Loop: Header=BB105_3 Depth=1
	s_or_b32 exec_lo, exec_lo, s43
	s_barrier_signal -1
	s_barrier_wait -1
	s_and_saveexec_b32 s43, s33
; %bb.752:                              ;   in Loop: Header=BB105_3 Depth=1
	ds_store_b32 v54, v24
; %bb.753:                              ;   in Loop: Header=BB105_3 Depth=1
	s_or_b32 exec_lo, exec_lo, s43
	s_wait_dscnt 0x0
	s_barrier_signal -1
	s_barrier_wait -1
	s_and_saveexec_b32 s43, s34
	s_cbranch_execz .LBB105_755
; %bb.754:                              ;   in Loop: Header=BB105_3 Depth=1
	ds_load_b32 v30, v51 offset:11424
	ds_load_b32 v31, v54
	s_wait_dscnt 0x0
	v_fmac_f32_e32 v24, v30, v31
.LBB105_755:                            ;   in Loop: Header=BB105_3 Depth=1
	s_or_b32 exec_lo, exec_lo, s43
	s_barrier_signal -1
	s_barrier_wait -1
	s_and_saveexec_b32 s43, s35
	;; [unrolled: 19-line block ×4, first 2 shown]
; %bb.764:                              ;   in Loop: Header=BB105_3 Depth=1
	ds_store_b32 v54, v24
; %bb.765:                              ;   in Loop: Header=BB105_3 Depth=1
	s_or_b32 exec_lo, exec_lo, s43
	s_wait_dscnt 0x0
	s_barrier_signal -1
	s_barrier_wait -1
	s_barrier_signal -1
	s_barrier_wait -1
	s_and_saveexec_b32 s43, s5
; %bb.766:                              ;   in Loop: Header=BB105_3 Depth=1
	v_xor_b32_e32 v24, 0x80000000, v24
	ds_store_b32 v55, v24 offset:8352
; %bb.767:                              ;   in Loop: Header=BB105_3 Depth=1
	s_or_b32 exec_lo, exec_lo, s43
	s_wait_dscnt 0x0
	s_barrier_signal -1
	s_barrier_wait -1
	s_barrier_signal -1
	s_barrier_wait -1
	s_and_saveexec_b32 s43, s39
	s_cbranch_execz .LBB105_769
; %bb.768:                              ;   in Loop: Header=BB105_3 Depth=1
	ds_load_b32 v24, v42 offset:8352
	s_wait_dscnt 0x0
	ds_store_b32 v46, v24 offset:10368
	ds_load_b32 v24, v42 offset:8356
	s_wait_dscnt 0x0
	ds_store_b32 v46, v24 offset:10624
	;; [unrolled: 3-line block ×8, first 2 shown]
.LBB105_769:                            ;   in Loop: Header=BB105_3 Depth=1
	s_or_b32 exec_lo, exec_lo, s43
	s_wait_dscnt 0x0
	s_barrier_signal -1
	s_barrier_wait -1
	s_and_saveexec_b32 s43, s11
	s_cbranch_execz .LBB105_771
; %bb.770:                              ;   in Loop: Header=BB105_3 Depth=1
	ds_load_b32 v24, v7 offset:10404
	ds_store_b32 v7, v25 offset:10400
	s_wait_dscnt 0x1
	ds_store_b64 v7, v[24:25] offset:10656
.LBB105_771:                            ;   in Loop: Header=BB105_3 Depth=1
	s_or_b32 exec_lo, exec_lo, s43
	v_mov_b32_e32 v24, 0
	s_wait_dscnt 0x0
	s_barrier_signal -1
	s_barrier_wait -1
	s_and_saveexec_b32 s43, s2
	s_cbranch_execz .LBB105_775
; %bb.772:                              ;   in Loop: Header=BB105_3 Depth=1
	ds_load_b32 v24, v39 offset:10408
	ds_load_b32 v30, v40 offset:10400
	s_wait_dscnt 0x0
	v_fma_f32 v24, v24, v30, 0
	s_and_saveexec_b32 s44, s12
	s_cbranch_execz .LBB105_774
; %bb.773:                              ;   in Loop: Header=BB105_3 Depth=1
	ds_load_b32 v30, v46 offset:10664
	ds_load_b32 v31, v7 offset:10404
	s_wait_dscnt 0x0
	v_fmac_f32_e32 v24, v30, v31
.LBB105_774:                            ;   in Loop: Header=BB105_3 Depth=1
	s_or_b32 exec_lo, exec_lo, s44
	s_delay_alu instid0(VALU_DEP_1)
	v_xor_b32_e32 v24, 0x80000000, v24
.LBB105_775:                            ;   in Loop: Header=BB105_3 Depth=1
	s_or_b32 exec_lo, exec_lo, s43
	s_and_saveexec_b32 s43, s89
; %bb.776:                              ;   in Loop: Header=BB105_3 Depth=1
	ds_store_b32 v37, v24
; %bb.777:                              ;   in Loop: Header=BB105_3 Depth=1
	s_or_b32 exec_lo, exec_lo, s43
	s_wait_dscnt 0x0
	s_barrier_signal -1
	s_barrier_wait -1
	s_and_saveexec_b32 s43, s90
	s_cbranch_execz .LBB105_779
; %bb.778:                              ;   in Loop: Header=BB105_3 Depth=1
	ds_load_b32 v30, v7 offset:10924
	ds_load_b32 v31, v37
	s_wait_dscnt 0x0
	v_fmac_f32_e32 v24, v30, v31
.LBB105_779:                            ;   in Loop: Header=BB105_3 Depth=1
	s_or_b32 exec_lo, exec_lo, s43
	s_barrier_signal -1
	s_barrier_wait -1
	s_and_saveexec_b32 s43, s90
; %bb.780:                              ;   in Loop: Header=BB105_3 Depth=1
	ds_store_b32 v37, v24
; %bb.781:                              ;   in Loop: Header=BB105_3 Depth=1
	s_or_b32 exec_lo, exec_lo, s43
	s_wait_dscnt 0x0
	s_barrier_signal -1
	s_barrier_wait -1
	s_barrier_signal -1
	s_barrier_wait -1
	s_and_saveexec_b32 s43, s2
; %bb.782:                              ;   in Loop: Header=BB105_3 Depth=1
	v_xor_b32_e32 v24, 0x80000000, v24
	ds_store_b32 v39, v24 offset:10408
; %bb.783:                              ;   in Loop: Header=BB105_3 Depth=1
	s_or_b32 exec_lo, exec_lo, s43
	s_wait_dscnt 0x0
	s_barrier_signal -1
	s_barrier_wait -1
	s_barrier_signal -1
	s_barrier_wait -1
	s_and_saveexec_b32 s43, s91
	s_cbranch_execz .LBB105_785
; %bb.784:                              ;   in Loop: Header=BB105_3 Depth=1
	ds_load_b32 v24, v50 offset:10408
	s_wait_dscnt 0x0
	ds_store_b32 v46, v24 offset:10912
	ds_load_b32 v24, v50 offset:10412
	s_wait_dscnt 0x0
	ds_store_b32 v46, v24 offset:11168
.LBB105_785:                            ;   in Loop: Header=BB105_3 Depth=1
	s_or_b32 exec_lo, exec_lo, s43
	s_wait_dscnt 0x0
	s_barrier_signal -1
	s_barrier_wait -1
	s_and_saveexec_b32 s43, s11
	s_cbranch_execz .LBB105_787
; %bb.786:                              ;   in Loop: Header=BB105_3 Depth=1
	ds_load_b32 v24, v7 offset:10924
	ds_store_b32 v7, v25 offset:10920
	s_wait_dscnt 0x1
	ds_store_b64 v7, v[24:25] offset:11176
.LBB105_787:                            ;   in Loop: Header=BB105_3 Depth=1
	s_or_b32 exec_lo, exec_lo, s43
	v_mov_b32_e32 v24, 0
	s_wait_dscnt 0x0
	s_barrier_signal -1
	s_barrier_wait -1
	s_and_saveexec_b32 s43, s4
	s_cbranch_execz .LBB105_793
; %bb.788:                              ;   in Loop: Header=BB105_3 Depth=1
	ds_load_b32 v24, v48 offset:10416
	ds_load_b32 v30, v41 offset:10400
	s_wait_dscnt 0x0
	v_fma_f32 v24, v24, v30, 0
	s_and_saveexec_b32 s44, s13
	s_cbranch_execnz .LBB105_1209
; %bb.789:                              ;   in Loop: Header=BB105_3 Depth=1
	s_or_b32 exec_lo, exec_lo, s44
	s_and_saveexec_b32 s44, s14
	s_cbranch_execnz .LBB105_1210
.LBB105_790:                            ;   in Loop: Header=BB105_3 Depth=1
	s_or_b32 exec_lo, exec_lo, s44
	s_and_saveexec_b32 s44, s2
	s_cbranch_execz .LBB105_792
.LBB105_791:                            ;   in Loop: Header=BB105_3 Depth=1
	ds_load_b32 v30, v53 offset:11184
	ds_load_b32 v31, v7 offset:10412
	s_wait_dscnt 0x0
	v_fmac_f32_e32 v24, v30, v31
.LBB105_792:                            ;   in Loop: Header=BB105_3 Depth=1
	s_or_b32 exec_lo, exec_lo, s44
	s_delay_alu instid0(VALU_DEP_1)
	v_xor_b32_e32 v24, 0x80000000, v24
.LBB105_793:                            ;   in Loop: Header=BB105_3 Depth=1
	s_or_b32 exec_lo, exec_lo, s43
	s_and_saveexec_b32 s43, s92
; %bb.794:                              ;   in Loop: Header=BB105_3 Depth=1
	ds_store_b32 v47, v24
; %bb.795:                              ;   in Loop: Header=BB105_3 Depth=1
	s_or_b32 exec_lo, exec_lo, s43
	s_wait_dscnt 0x0
	s_barrier_signal -1
	s_barrier_wait -1
	s_and_saveexec_b32 s43, s93
	s_cbranch_execz .LBB105_797
; %bb.796:                              ;   in Loop: Header=BB105_3 Depth=1
	ds_load_b32 v30, v45 offset:11440
	ds_load_b32 v31, v47
	s_wait_dscnt 0x0
	v_fmac_f32_e32 v24, v30, v31
.LBB105_797:                            ;   in Loop: Header=BB105_3 Depth=1
	s_or_b32 exec_lo, exec_lo, s43
	s_barrier_signal -1
	s_barrier_wait -1
	s_and_saveexec_b32 s43, s94
; %bb.798:                              ;   in Loop: Header=BB105_3 Depth=1
	ds_store_b32 v47, v24
; %bb.799:                              ;   in Loop: Header=BB105_3 Depth=1
	s_or_b32 exec_lo, exec_lo, s43
	s_wait_dscnt 0x0
	s_barrier_signal -1
	s_barrier_wait -1
	s_and_saveexec_b32 s43, s95
	s_cbranch_execz .LBB105_801
; %bb.800:                              ;   in Loop: Header=BB105_3 Depth=1
	ds_load_b32 v30, v45 offset:11696
	ds_load_b32 v31, v47
	s_wait_dscnt 0x0
	v_fmac_f32_e32 v24, v30, v31
.LBB105_801:                            ;   in Loop: Header=BB105_3 Depth=1
	s_or_b32 exec_lo, exec_lo, s43
	s_barrier_signal -1
	s_barrier_wait -1
	;; [unrolled: 19-line block ×3, first 2 shown]
	s_and_saveexec_b32 s43, s97
; %bb.806:                              ;   in Loop: Header=BB105_3 Depth=1
	ds_store_b32 v47, v24
; %bb.807:                              ;   in Loop: Header=BB105_3 Depth=1
	s_or_b32 exec_lo, exec_lo, s43
	s_wait_dscnt 0x0
	s_barrier_signal -1
	s_barrier_wait -1
	s_barrier_signal -1
	s_barrier_wait -1
	s_and_saveexec_b32 s43, s4
; %bb.808:                              ;   in Loop: Header=BB105_3 Depth=1
	v_xor_b32_e32 v24, 0x80000000, v24
	ds_store_b32 v48, v24 offset:10416
; %bb.809:                              ;   in Loop: Header=BB105_3 Depth=1
	s_or_b32 exec_lo, exec_lo, s43
	s_wait_dscnt 0x0
	s_barrier_signal -1
	s_barrier_wait -1
	s_barrier_signal -1
	s_barrier_wait -1
	s_and_saveexec_b32 s43, s98
	s_cbranch_execz .LBB105_811
; %bb.810:                              ;   in Loop: Header=BB105_3 Depth=1
	ds_load_b32 v24, v56 offset:10416
	s_wait_dscnt 0x0
	ds_store_b32 v59, v24 offset:11424
	ds_load_b32 v24, v56 offset:10420
	s_wait_dscnt 0x0
	ds_store_b32 v59, v24 offset:11680
	;; [unrolled: 3-line block ×4, first 2 shown]
.LBB105_811:                            ;   in Loop: Header=BB105_3 Depth=1
	s_or_b32 exec_lo, exec_lo, s43
	s_wait_dscnt 0x0
	s_barrier_signal -1
	s_barrier_wait -1
	s_and_saveexec_b32 s43, s11
	s_cbranch_execz .LBB105_813
; %bb.812:                              ;   in Loop: Header=BB105_3 Depth=1
	ds_load_b32 v24, v7 offset:11444
	ds_store_b32 v7, v25 offset:11440
	s_wait_dscnt 0x1
	ds_store_b64 v7, v[24:25] offset:11696
.LBB105_813:                            ;   in Loop: Header=BB105_3 Depth=1
	s_or_b32 exec_lo, exec_lo, s43
	v_mov_b32_e32 v24, 0
	s_wait_dscnt 0x0
	s_barrier_signal -1
	s_barrier_wait -1
	s_and_saveexec_b32 s43, s2
	s_cbranch_execz .LBB105_817
; %bb.814:                              ;   in Loop: Header=BB105_3 Depth=1
	ds_load_b32 v24, v39 offset:11448
	ds_load_b32 v30, v40 offset:11440
	s_wait_dscnt 0x0
	v_fma_f32 v24, v24, v30, 0
	s_and_saveexec_b32 s44, s12
	s_cbranch_execz .LBB105_816
; %bb.815:                              ;   in Loop: Header=BB105_3 Depth=1
	ds_load_b32 v30, v59 offset:11704
	ds_load_b32 v31, v7 offset:11444
	s_wait_dscnt 0x0
	v_fmac_f32_e32 v24, v30, v31
.LBB105_816:                            ;   in Loop: Header=BB105_3 Depth=1
	s_or_b32 exec_lo, exec_lo, s44
	s_delay_alu instid0(VALU_DEP_1)
	v_xor_b32_e32 v24, 0x80000000, v24
.LBB105_817:                            ;   in Loop: Header=BB105_3 Depth=1
	s_or_b32 exec_lo, exec_lo, s43
	s_and_saveexec_b32 s43, s89
; %bb.818:                              ;   in Loop: Header=BB105_3 Depth=1
	ds_store_b32 v37, v24
; %bb.819:                              ;   in Loop: Header=BB105_3 Depth=1
	s_or_b32 exec_lo, exec_lo, s43
	s_wait_dscnt 0x0
	s_barrier_signal -1
	s_barrier_wait -1
	s_and_saveexec_b32 s43, s90
	s_cbranch_execz .LBB105_821
; %bb.820:                              ;   in Loop: Header=BB105_3 Depth=1
	ds_load_b32 v30, v7 offset:11964
	ds_load_b32 v31, v37
	s_wait_dscnt 0x0
	v_fmac_f32_e32 v24, v30, v31
.LBB105_821:                            ;   in Loop: Header=BB105_3 Depth=1
	s_or_b32 exec_lo, exec_lo, s43
	s_barrier_signal -1
	s_barrier_wait -1
	s_and_saveexec_b32 s43, s90
; %bb.822:                              ;   in Loop: Header=BB105_3 Depth=1
	ds_store_b32 v37, v24
; %bb.823:                              ;   in Loop: Header=BB105_3 Depth=1
	s_or_b32 exec_lo, exec_lo, s43
	s_wait_dscnt 0x0
	s_barrier_signal -1
	s_barrier_wait -1
	s_barrier_signal -1
	s_barrier_wait -1
	s_and_saveexec_b32 s43, s2
; %bb.824:                              ;   in Loop: Header=BB105_3 Depth=1
	v_xor_b32_e32 v24, 0x80000000, v24
	ds_store_b32 v39, v24 offset:11448
; %bb.825:                              ;   in Loop: Header=BB105_3 Depth=1
	s_or_b32 exec_lo, exec_lo, s43
	s_wait_dscnt 0x0
	s_barrier_signal -1
	s_barrier_wait -1
	s_barrier_signal -1
	s_barrier_wait -1
	s_and_saveexec_b32 s43, s91
	s_cbranch_execz .LBB105_827
; %bb.826:                              ;   in Loop: Header=BB105_3 Depth=1
	v_add_nc_u32_e32 v24, v59, v44
	ds_load_b32 v30, v24 offset:11448
	s_wait_dscnt 0x0
	ds_store_b32 v59, v30 offset:11952
	ds_load_b32 v24, v24 offset:11452
	s_wait_dscnt 0x0
	ds_store_b32 v59, v24 offset:12208
.LBB105_827:                            ;   in Loop: Header=BB105_3 Depth=1
	s_or_b32 exec_lo, exec_lo, s43
	s_wait_dscnt 0x0
	s_barrier_signal -1
	s_barrier_wait -1
	s_and_saveexec_b32 s43, s11
	s_cbranch_execz .LBB105_829
; %bb.828:                              ;   in Loop: Header=BB105_3 Depth=1
	ds_load_b32 v24, v7 offset:11964
	ds_store_b32 v7, v25 offset:11960
	s_wait_dscnt 0x1
	ds_store_b64 v7, v[24:25] offset:12216
.LBB105_829:                            ;   in Loop: Header=BB105_3 Depth=1
	s_or_b32 exec_lo, exec_lo, s43
	v_mov_b32_e32 v24, 0
	s_wait_dscnt 0x0
	s_barrier_signal -1
	s_barrier_wait -1
	s_and_saveexec_b32 s43, s6
	s_cbranch_execz .LBB105_857
; %bb.830:                              ;   in Loop: Header=BB105_3 Depth=1
	ds_load_b32 v24, v65 offset:8384
	ds_load_b32 v30, v57 offset:8320
	s_wait_dscnt 0x0
	v_fma_f32 v24, v24, v30, 0
	s_mov_b32 s44, exec_lo
	v_readlane_b32 s45, v93, 18
	s_and_b32 s45, s44, s45
	s_delay_alu instid0(SALU_CYCLE_1)
	s_mov_b32 exec_lo, s45
	s_cbranch_execz .LBB105_832
; %bb.831:                              ;   in Loop: Header=BB105_3 Depth=1
	ds_load_b32 v30, v66 offset:8640
	ds_load_b32 v31, v57 offset:8324
	s_wait_dscnt 0x0
	v_fmac_f32_e32 v24, v30, v31
.LBB105_832:                            ;   in Loop: Header=BB105_3 Depth=1
	s_or_b32 exec_lo, exec_lo, s44
	s_delay_alu instid0(SALU_CYCLE_1) | instskip(SKIP_2) | instid1(SALU_CYCLE_1)
	s_mov_b32 s44, exec_lo
	v_readlane_b32 s45, v93, 19
	s_and_b32 s45, s44, s45
	s_mov_b32 exec_lo, s45
	s_cbranch_execz .LBB105_834
; %bb.833:                              ;   in Loop: Header=BB105_3 Depth=1
	ds_load_b32 v30, v66 offset:8896
	ds_load_b32 v31, v57 offset:8328
	s_wait_dscnt 0x0
	v_fmac_f32_e32 v24, v30, v31
.LBB105_834:                            ;   in Loop: Header=BB105_3 Depth=1
	s_or_b32 exec_lo, exec_lo, s44
	s_delay_alu instid0(SALU_CYCLE_1) | instskip(SKIP_2) | instid1(SALU_CYCLE_1)
	s_mov_b32 s44, exec_lo
	v_readlane_b32 s45, v93, 20
	s_and_b32 s45, s44, s45
	;; [unrolled: 13-line block ×10, first 2 shown]
	s_mov_b32 exec_lo, s45
	s_cbranch_execnz .LBB105_1211
; %bb.851:                              ;   in Loop: Header=BB105_3 Depth=1
	s_or_b32 exec_lo, exec_lo, s44
	s_and_saveexec_b32 s44, s5
	s_cbranch_execnz .LBB105_1212
.LBB105_852:                            ;   in Loop: Header=BB105_3 Depth=1
	s_or_b32 exec_lo, exec_lo, s44
	s_and_saveexec_b32 s44, s16
	s_cbranch_execnz .LBB105_1213
.LBB105_853:                            ;   in Loop: Header=BB105_3 Depth=1
	s_or_b32 exec_lo, exec_lo, s44
	s_and_saveexec_b32 s44, s18
	s_cbranch_execnz .LBB105_1214
.LBB105_854:                            ;   in Loop: Header=BB105_3 Depth=1
	s_or_b32 exec_lo, exec_lo, s44
	s_and_saveexec_b32 s44, s4
	s_cbranch_execz .LBB105_856
.LBB105_855:                            ;   in Loop: Header=BB105_3 Depth=1
	ds_load_b32 v30, v3 offset:12224
	ds_load_b32 v31, v7 offset:8380
	s_wait_dscnt 0x0
	v_fmac_f32_e32 v24, v30, v31
.LBB105_856:                            ;   in Loop: Header=BB105_3 Depth=1
	s_or_b32 exec_lo, exec_lo, s44
	s_delay_alu instid0(VALU_DEP_1)
	v_xor_b32_e32 v24, 0x80000000, v24
.LBB105_857:                            ;   in Loop: Header=BB105_3 Depth=1
	s_or_b32 exec_lo, exec_lo, s43
	s_delay_alu instid0(SALU_CYCLE_1) | instskip(SKIP_2) | instid1(SALU_CYCLE_1)
	s_mov_b32 s43, exec_lo
	v_readlane_b32 s44, v95, 2
	s_and_b32 s44, s43, s44
	s_mov_b32 exec_lo, s44
; %bb.858:                              ;   in Loop: Header=BB105_3 Depth=1
	ds_store_b32 v64, v24
; %bb.859:                              ;   in Loop: Header=BB105_3 Depth=1
	s_or_b32 exec_lo, exec_lo, s43
	s_wait_dscnt 0x0
	s_barrier_signal -1
	s_barrier_wait -1
	s_mov_b32 s43, exec_lo
	v_readlane_b32 s44, v95, 3
	s_and_b32 s44, s43, s44
	s_delay_alu instid0(SALU_CYCLE_1)
	s_mov_b32 exec_lo, s44
	s_cbranch_execz .LBB105_861
; %bb.860:                              ;   in Loop: Header=BB105_3 Depth=1
	ds_load_b32 v30, v60 offset:12480
	ds_load_b32 v31, v64
	s_wait_dscnt 0x0
	v_fmac_f32_e32 v24, v30, v31
.LBB105_861:                            ;   in Loop: Header=BB105_3 Depth=1
	s_or_b32 exec_lo, exec_lo, s43
	s_barrier_signal -1
	s_barrier_wait -1
	s_mov_b32 s43, exec_lo
	v_readlane_b32 s44, v95, 4
	s_and_b32 s44, s43, s44
	s_delay_alu instid0(SALU_CYCLE_1)
	s_mov_b32 exec_lo, s44
; %bb.862:                              ;   in Loop: Header=BB105_3 Depth=1
	ds_store_b32 v64, v24
; %bb.863:                              ;   in Loop: Header=BB105_3 Depth=1
	s_or_b32 exec_lo, exec_lo, s43
	s_wait_dscnt 0x0
	s_barrier_signal -1
	s_barrier_wait -1
	s_mov_b32 s43, exec_lo
	v_readlane_b32 s44, v95, 5
	s_and_b32 s44, s43, s44
	s_delay_alu instid0(SALU_CYCLE_1)
	s_mov_b32 exec_lo, s44
	s_cbranch_execz .LBB105_865
; %bb.864:                              ;   in Loop: Header=BB105_3 Depth=1
	ds_load_b32 v30, v60 offset:12736
	ds_load_b32 v31, v64
	s_wait_dscnt 0x0
	v_fmac_f32_e32 v24, v30, v31
.LBB105_865:                            ;   in Loop: Header=BB105_3 Depth=1
	s_or_b32 exec_lo, exec_lo, s43
	s_barrier_signal -1
	s_barrier_wait -1
	s_mov_b32 s43, exec_lo
	v_readlane_b32 s44, v95, 6
	s_and_b32 s44, s43, s44
	s_delay_alu instid0(SALU_CYCLE_1)
	;; [unrolled: 27-line block ×3, first 2 shown]
	s_mov_b32 exec_lo, s44
; %bb.870:                              ;   in Loop: Header=BB105_3 Depth=1
	ds_store_b32 v64, v24
; %bb.871:                              ;   in Loop: Header=BB105_3 Depth=1
	s_or_b32 exec_lo, exec_lo, s43
	s_wait_dscnt 0x0
	s_barrier_signal -1
	s_barrier_wait -1
	s_mov_b32 s43, exec_lo
	v_readlane_b32 s44, v95, 9
	s_and_b32 s44, s43, s44
	s_delay_alu instid0(SALU_CYCLE_1)
	s_mov_b32 exec_lo, s44
	s_cbranch_execz .LBB105_873
; %bb.872:                              ;   in Loop: Header=BB105_3 Depth=1
	ds_load_b32 v30, v60 offset:13248
	ds_load_b32 v31, v64
	s_wait_dscnt 0x0
	v_fmac_f32_e32 v24, v30, v31
.LBB105_873:                            ;   in Loop: Header=BB105_3 Depth=1
	s_or_b32 exec_lo, exec_lo, s43
	s_barrier_signal -1
	s_barrier_wait -1
	s_and_saveexec_b32 s43, s48
; %bb.874:                              ;   in Loop: Header=BB105_3 Depth=1
	ds_store_b32 v64, v24
; %bb.875:                              ;   in Loop: Header=BB105_3 Depth=1
	s_or_b32 exec_lo, exec_lo, s43
	s_wait_dscnt 0x0
	s_barrier_signal -1
	s_barrier_wait -1
	s_and_saveexec_b32 s43, s49
	s_cbranch_execz .LBB105_877
; %bb.876:                              ;   in Loop: Header=BB105_3 Depth=1
	ds_load_b32 v30, v60 offset:13504
	ds_load_b32 v31, v64
	s_wait_dscnt 0x0
	v_fmac_f32_e32 v24, v30, v31
.LBB105_877:                            ;   in Loop: Header=BB105_3 Depth=1
	s_or_b32 exec_lo, exec_lo, s43
	s_barrier_signal -1
	s_barrier_wait -1
	s_and_saveexec_b32 s43, s50
; %bb.878:                              ;   in Loop: Header=BB105_3 Depth=1
	ds_store_b32 v64, v24
; %bb.879:                              ;   in Loop: Header=BB105_3 Depth=1
	s_or_b32 exec_lo, exec_lo, s43
	s_wait_dscnt 0x0
	s_barrier_signal -1
	s_barrier_wait -1
	s_and_saveexec_b32 s43, s51
	;; [unrolled: 19-line block ×11, first 2 shown]
	s_cbranch_execz .LBB105_917
; %bb.916:                              ;   in Loop: Header=BB105_3 Depth=1
	ds_load_b32 v30, v7 offset:16124
	ds_load_b32 v31, v64
	s_wait_dscnt 0x0
	v_fmac_f32_e32 v24, v30, v31
.LBB105_917:                            ;   in Loop: Header=BB105_3 Depth=1
	s_or_b32 exec_lo, exec_lo, s43
	s_barrier_signal -1
	s_barrier_wait -1
	s_and_saveexec_b32 s43, s29
; %bb.918:                              ;   in Loop: Header=BB105_3 Depth=1
	ds_store_b32 v64, v24
; %bb.919:                              ;   in Loop: Header=BB105_3 Depth=1
	s_or_b32 exec_lo, exec_lo, s43
	s_wait_dscnt 0x0
	s_barrier_signal -1
	s_barrier_wait -1
	s_barrier_signal -1
	s_barrier_wait -1
	s_and_saveexec_b32 s43, s6
; %bb.920:                              ;   in Loop: Header=BB105_3 Depth=1
	v_xor_b32_e32 v24, 0x80000000, v24
	ds_store_b32 v65, v24 offset:8384
; %bb.921:                              ;   in Loop: Header=BB105_3 Depth=1
	s_or_b32 exec_lo, exec_lo, s43
	s_wait_dscnt 0x0
	s_barrier_signal -1
	s_barrier_wait -1
	s_barrier_signal -1
	s_barrier_wait -1
	s_and_saveexec_b32 s43, s61
	s_cbranch_execz .LBB105_923
; %bb.922:                              ;   in Loop: Header=BB105_3 Depth=1
	ds_load_b32 v24, v5 offset:8384
	s_wait_dscnt 0x0
	ds_store_b32 v9, v24 offset:12416
	ds_load_b32 v24, v5 offset:8388
	s_wait_dscnt 0x0
	ds_store_b32 v9, v24 offset:12672
	;; [unrolled: 3-line block ×16, first 2 shown]
.LBB105_923:                            ;   in Loop: Header=BB105_3 Depth=1
	s_or_b32 exec_lo, exec_lo, s43
	s_wait_dscnt 0x0
	s_barrier_signal -1
	s_barrier_wait -1
	s_and_saveexec_b32 s43, s11
	s_cbranch_execz .LBB105_925
; %bb.924:                              ;   in Loop: Header=BB105_3 Depth=1
	ds_load_b32 v24, v7 offset:12484
	ds_store_b32 v7, v25 offset:12480
	s_wait_dscnt 0x1
	ds_store_b64 v7, v[24:25] offset:12736
.LBB105_925:                            ;   in Loop: Header=BB105_3 Depth=1
	s_or_b32 exec_lo, exec_lo, s43
	v_mov_b32_e32 v24, 0
	s_wait_dscnt 0x0
	s_barrier_signal -1
	s_barrier_wait -1
	s_and_saveexec_b32 s43, s2
	s_cbranch_execz .LBB105_929
; %bb.926:                              ;   in Loop: Header=BB105_3 Depth=1
	ds_load_b32 v24, v39 offset:12488
	ds_load_b32 v30, v40 offset:12480
	s_wait_dscnt 0x0
	v_fma_f32 v24, v24, v30, 0
	s_and_saveexec_b32 s44, s12
	s_cbranch_execz .LBB105_928
; %bb.927:                              ;   in Loop: Header=BB105_3 Depth=1
	ds_load_b32 v30, v3 offset:12744
	ds_load_b32 v31, v7 offset:12484
	s_wait_dscnt 0x0
	v_fmac_f32_e32 v24, v30, v31
.LBB105_928:                            ;   in Loop: Header=BB105_3 Depth=1
	s_or_b32 exec_lo, exec_lo, s44
	s_delay_alu instid0(VALU_DEP_1)
	v_xor_b32_e32 v24, 0x80000000, v24
.LBB105_929:                            ;   in Loop: Header=BB105_3 Depth=1
	s_or_b32 exec_lo, exec_lo, s43
	s_and_saveexec_b32 s43, s89
; %bb.930:                              ;   in Loop: Header=BB105_3 Depth=1
	ds_store_b32 v37, v24
; %bb.931:                              ;   in Loop: Header=BB105_3 Depth=1
	s_or_b32 exec_lo, exec_lo, s43
	s_wait_dscnt 0x0
	s_barrier_signal -1
	s_barrier_wait -1
	s_and_saveexec_b32 s43, s90
	s_cbranch_execz .LBB105_933
; %bb.932:                              ;   in Loop: Header=BB105_3 Depth=1
	ds_load_b32 v30, v7 offset:13004
	ds_load_b32 v31, v37
	s_wait_dscnt 0x0
	v_fmac_f32_e32 v24, v30, v31
.LBB105_933:                            ;   in Loop: Header=BB105_3 Depth=1
	s_or_b32 exec_lo, exec_lo, s43
	s_barrier_signal -1
	s_barrier_wait -1
	s_and_saveexec_b32 s43, s90
; %bb.934:                              ;   in Loop: Header=BB105_3 Depth=1
	ds_store_b32 v37, v24
; %bb.935:                              ;   in Loop: Header=BB105_3 Depth=1
	s_or_b32 exec_lo, exec_lo, s43
	s_wait_dscnt 0x0
	s_barrier_signal -1
	s_barrier_wait -1
	s_barrier_signal -1
	s_barrier_wait -1
	s_and_saveexec_b32 s43, s2
; %bb.936:                              ;   in Loop: Header=BB105_3 Depth=1
	v_xor_b32_e32 v24, 0x80000000, v24
	ds_store_b32 v39, v24 offset:12488
; %bb.937:                              ;   in Loop: Header=BB105_3 Depth=1
	s_or_b32 exec_lo, exec_lo, s43
	s_wait_dscnt 0x0
	s_barrier_signal -1
	s_barrier_wait -1
	s_barrier_signal -1
	s_barrier_wait -1
	s_and_saveexec_b32 s43, s91
	s_cbranch_execz .LBB105_939
; %bb.938:                              ;   in Loop: Header=BB105_3 Depth=1
	ds_load_b32 v24, v5 offset:12488
	s_wait_dscnt 0x0
	ds_store_b32 v3, v24 offset:12992
	ds_load_b32 v24, v5 offset:12492
	s_wait_dscnt 0x0
	ds_store_b32 v3, v24 offset:13248
.LBB105_939:                            ;   in Loop: Header=BB105_3 Depth=1
	s_or_b32 exec_lo, exec_lo, s43
	s_wait_dscnt 0x0
	s_barrier_signal -1
	s_barrier_wait -1
	s_and_saveexec_b32 s43, s11
	s_cbranch_execz .LBB105_941
; %bb.940:                              ;   in Loop: Header=BB105_3 Depth=1
	ds_load_b32 v24, v7 offset:13004
	ds_store_b32 v7, v25 offset:13000
	s_wait_dscnt 0x1
	ds_store_b64 v7, v[24:25] offset:13256
.LBB105_941:                            ;   in Loop: Header=BB105_3 Depth=1
	s_or_b32 exec_lo, exec_lo, s43
	v_mov_b32_e32 v24, 0
	s_wait_dscnt 0x0
	s_barrier_signal -1
	s_barrier_wait -1
	s_and_saveexec_b32 s43, s4
	s_cbranch_execz .LBB105_947
; %bb.942:                              ;   in Loop: Header=BB105_3 Depth=1
	ds_load_b32 v24, v48 offset:12496
	ds_load_b32 v30, v41 offset:12480
	s_wait_dscnt 0x0
	v_fma_f32 v24, v24, v30, 0
	s_and_saveexec_b32 s44, s13
	s_cbranch_execnz .LBB105_1215
; %bb.943:                              ;   in Loop: Header=BB105_3 Depth=1
	s_or_b32 exec_lo, exec_lo, s44
	s_and_saveexec_b32 s44, s14
	s_cbranch_execnz .LBB105_1216
.LBB105_944:                            ;   in Loop: Header=BB105_3 Depth=1
	s_or_b32 exec_lo, exec_lo, s44
	s_and_saveexec_b32 s44, s2
	s_cbranch_execz .LBB105_946
.LBB105_945:                            ;   in Loop: Header=BB105_3 Depth=1
	ds_load_b32 v30, v9 offset:13264
	ds_load_b32 v31, v7 offset:12492
	s_wait_dscnt 0x0
	v_fmac_f32_e32 v24, v30, v31
.LBB105_946:                            ;   in Loop: Header=BB105_3 Depth=1
	s_or_b32 exec_lo, exec_lo, s44
	s_delay_alu instid0(VALU_DEP_1)
	v_xor_b32_e32 v24, 0x80000000, v24
.LBB105_947:                            ;   in Loop: Header=BB105_3 Depth=1
	s_or_b32 exec_lo, exec_lo, s43
	s_and_saveexec_b32 s43, s92
; %bb.948:                              ;   in Loop: Header=BB105_3 Depth=1
	ds_store_b32 v47, v24
; %bb.949:                              ;   in Loop: Header=BB105_3 Depth=1
	s_or_b32 exec_lo, exec_lo, s43
	s_wait_dscnt 0x0
	s_barrier_signal -1
	s_barrier_wait -1
	s_and_saveexec_b32 s43, s93
	s_cbranch_execz .LBB105_951
; %bb.950:                              ;   in Loop: Header=BB105_3 Depth=1
	ds_load_b32 v30, v45 offset:13520
	ds_load_b32 v31, v47
	s_wait_dscnt 0x0
	v_fmac_f32_e32 v24, v30, v31
.LBB105_951:                            ;   in Loop: Header=BB105_3 Depth=1
	s_or_b32 exec_lo, exec_lo, s43
	s_barrier_signal -1
	s_barrier_wait -1
	s_and_saveexec_b32 s43, s94
; %bb.952:                              ;   in Loop: Header=BB105_3 Depth=1
	ds_store_b32 v47, v24
; %bb.953:                              ;   in Loop: Header=BB105_3 Depth=1
	s_or_b32 exec_lo, exec_lo, s43
	s_wait_dscnt 0x0
	s_barrier_signal -1
	s_barrier_wait -1
	s_and_saveexec_b32 s43, s95
	s_cbranch_execz .LBB105_955
; %bb.954:                              ;   in Loop: Header=BB105_3 Depth=1
	ds_load_b32 v30, v45 offset:13776
	ds_load_b32 v31, v47
	s_wait_dscnt 0x0
	v_fmac_f32_e32 v24, v30, v31
.LBB105_955:                            ;   in Loop: Header=BB105_3 Depth=1
	s_or_b32 exec_lo, exec_lo, s43
	s_barrier_signal -1
	s_barrier_wait -1
	;; [unrolled: 19-line block ×3, first 2 shown]
	s_and_saveexec_b32 s43, s97
; %bb.960:                              ;   in Loop: Header=BB105_3 Depth=1
	ds_store_b32 v47, v24
; %bb.961:                              ;   in Loop: Header=BB105_3 Depth=1
	s_or_b32 exec_lo, exec_lo, s43
	s_wait_dscnt 0x0
	s_barrier_signal -1
	s_barrier_wait -1
	s_barrier_signal -1
	s_barrier_wait -1
	s_and_saveexec_b32 s43, s4
; %bb.962:                              ;   in Loop: Header=BB105_3 Depth=1
	v_xor_b32_e32 v24, 0x80000000, v24
	ds_store_b32 v48, v24 offset:12496
; %bb.963:                              ;   in Loop: Header=BB105_3 Depth=1
	s_or_b32 exec_lo, exec_lo, s43
	s_wait_dscnt 0x0
	s_barrier_signal -1
	s_barrier_wait -1
	s_barrier_signal -1
	s_barrier_wait -1
	s_and_saveexec_b32 s43, s98
	s_cbranch_execz .LBB105_965
; %bb.964:                              ;   in Loop: Header=BB105_3 Depth=1
	ds_load_b32 v24, v34 offset:12496
	s_wait_dscnt 0x0
	ds_store_b32 v35, v24 offset:13504
	ds_load_b32 v24, v34 offset:12500
	s_wait_dscnt 0x0
	ds_store_b32 v35, v24 offset:13760
	ds_load_b32 v24, v34 offset:12504
	s_wait_dscnt 0x0
	ds_store_b32 v35, v24 offset:14016
	ds_load_b32 v24, v34 offset:12508
	s_wait_dscnt 0x0
	ds_store_b32 v35, v24 offset:14272
.LBB105_965:                            ;   in Loop: Header=BB105_3 Depth=1
	s_or_b32 exec_lo, exec_lo, s43
	s_wait_dscnt 0x0
	s_barrier_signal -1
	s_barrier_wait -1
	s_and_saveexec_b32 s43, s11
	s_cbranch_execz .LBB105_967
; %bb.966:                              ;   in Loop: Header=BB105_3 Depth=1
	ds_load_b32 v24, v7 offset:13524
	ds_store_b32 v7, v25 offset:13520
	s_wait_dscnt 0x1
	ds_store_b64 v7, v[24:25] offset:13776
.LBB105_967:                            ;   in Loop: Header=BB105_3 Depth=1
	s_or_b32 exec_lo, exec_lo, s43
	v_mov_b32_e32 v24, 0
	s_wait_dscnt 0x0
	s_barrier_signal -1
	s_barrier_wait -1
	s_and_saveexec_b32 s43, s2
	s_cbranch_execz .LBB105_971
; %bb.968:                              ;   in Loop: Header=BB105_3 Depth=1
	ds_load_b32 v24, v39 offset:13528
	ds_load_b32 v30, v40 offset:13520
	s_wait_dscnt 0x0
	v_fma_f32 v24, v24, v30, 0
	s_and_saveexec_b32 s44, s12
	s_cbranch_execz .LBB105_970
; %bb.969:                              ;   in Loop: Header=BB105_3 Depth=1
	ds_load_b32 v30, v35 offset:13784
	ds_load_b32 v31, v7 offset:13524
	s_wait_dscnt 0x0
	v_fmac_f32_e32 v24, v30, v31
.LBB105_970:                            ;   in Loop: Header=BB105_3 Depth=1
	s_or_b32 exec_lo, exec_lo, s44
	s_delay_alu instid0(VALU_DEP_1)
	v_xor_b32_e32 v24, 0x80000000, v24
.LBB105_971:                            ;   in Loop: Header=BB105_3 Depth=1
	s_or_b32 exec_lo, exec_lo, s43
	s_and_saveexec_b32 s43, s89
; %bb.972:                              ;   in Loop: Header=BB105_3 Depth=1
	ds_store_b32 v37, v24
; %bb.973:                              ;   in Loop: Header=BB105_3 Depth=1
	s_or_b32 exec_lo, exec_lo, s43
	s_wait_dscnt 0x0
	s_barrier_signal -1
	s_barrier_wait -1
	s_and_saveexec_b32 s43, s90
	s_cbranch_execz .LBB105_975
; %bb.974:                              ;   in Loop: Header=BB105_3 Depth=1
	ds_load_b32 v30, v7 offset:14044
	ds_load_b32 v31, v37
	s_wait_dscnt 0x0
	v_fmac_f32_e32 v24, v30, v31
.LBB105_975:                            ;   in Loop: Header=BB105_3 Depth=1
	s_or_b32 exec_lo, exec_lo, s43
	s_barrier_signal -1
	s_barrier_wait -1
	s_and_saveexec_b32 s43, s90
; %bb.976:                              ;   in Loop: Header=BB105_3 Depth=1
	ds_store_b32 v37, v24
; %bb.977:                              ;   in Loop: Header=BB105_3 Depth=1
	s_or_b32 exec_lo, exec_lo, s43
	s_wait_dscnt 0x0
	s_barrier_signal -1
	s_barrier_wait -1
	s_barrier_signal -1
	s_barrier_wait -1
	s_and_saveexec_b32 s43, s2
; %bb.978:                              ;   in Loop: Header=BB105_3 Depth=1
	v_xor_b32_e32 v24, 0x80000000, v24
	ds_store_b32 v39, v24 offset:13528
; %bb.979:                              ;   in Loop: Header=BB105_3 Depth=1
	s_or_b32 exec_lo, exec_lo, s43
	s_wait_dscnt 0x0
	s_barrier_signal -1
	s_barrier_wait -1
	s_barrier_signal -1
	s_barrier_wait -1
	s_and_saveexec_b32 s43, s91
	s_cbranch_execz .LBB105_981
; %bb.980:                              ;   in Loop: Header=BB105_3 Depth=1
	ds_load_b32 v24, v36 offset:13528
	s_wait_dscnt 0x0
	ds_store_b32 v35, v24 offset:14032
	ds_load_b32 v24, v36 offset:13532
	s_wait_dscnt 0x0
	ds_store_b32 v35, v24 offset:14288
.LBB105_981:                            ;   in Loop: Header=BB105_3 Depth=1
	s_or_b32 exec_lo, exec_lo, s43
	s_wait_dscnt 0x0
	s_barrier_signal -1
	s_barrier_wait -1
	s_and_saveexec_b32 s43, s11
	s_cbranch_execz .LBB105_983
; %bb.982:                              ;   in Loop: Header=BB105_3 Depth=1
	ds_load_b32 v24, v7 offset:14044
	ds_store_b32 v7, v25 offset:14040
	s_wait_dscnt 0x1
	ds_store_b64 v7, v[24:25] offset:14296
.LBB105_983:                            ;   in Loop: Header=BB105_3 Depth=1
	s_or_b32 exec_lo, exec_lo, s43
	v_mov_b32_e32 v24, 0
	s_wait_dscnt 0x0
	s_barrier_signal -1
	s_barrier_wait -1
	s_and_saveexec_b32 s43, s5
	s_cbranch_execz .LBB105_993
; %bb.984:                              ;   in Loop: Header=BB105_3 Depth=1
	ds_load_b32 v24, v55 offset:12512
	ds_load_b32 v30, v52 offset:12480
	s_wait_dscnt 0x0
	v_fma_f32 v24, v24, v30, 0
	s_and_saveexec_b32 s44, s15
	s_cbranch_execnz .LBB105_1217
; %bb.985:                              ;   in Loop: Header=BB105_3 Depth=1
	s_or_b32 exec_lo, exec_lo, s44
	s_and_saveexec_b32 s44, s16
	s_cbranch_execnz .LBB105_1218
.LBB105_986:                            ;   in Loop: Header=BB105_3 Depth=1
	s_or_b32 exec_lo, exec_lo, s44
	s_and_saveexec_b32 s44, s17
	s_cbranch_execnz .LBB105_1219
.LBB105_987:                            ;   in Loop: Header=BB105_3 Depth=1
	s_or_b32 exec_lo, exec_lo, s44
	s_and_saveexec_b32 s44, s18
	s_cbranch_execnz .LBB105_1220
.LBB105_988:                            ;   in Loop: Header=BB105_3 Depth=1
	s_or_b32 exec_lo, exec_lo, s44
	s_and_saveexec_b32 s44, s19
	s_cbranch_execnz .LBB105_1221
.LBB105_989:                            ;   in Loop: Header=BB105_3 Depth=1
	s_or_b32 exec_lo, exec_lo, s44
	s_and_saveexec_b32 s44, s4
	s_cbranch_execnz .LBB105_1222
.LBB105_990:                            ;   in Loop: Header=BB105_3 Depth=1
	s_or_b32 exec_lo, exec_lo, s44
	s_and_saveexec_b32 s44, s14
	s_cbranch_execz .LBB105_992
.LBB105_991:                            ;   in Loop: Header=BB105_3 Depth=1
	ds_load_b32 v30, v38 offset:14304
	ds_load_b32 v31, v7 offset:12508
	s_wait_dscnt 0x0
	v_fmac_f32_e32 v24, v30, v31
.LBB105_992:                            ;   in Loop: Header=BB105_3 Depth=1
	s_or_b32 exec_lo, exec_lo, s44
	s_delay_alu instid0(VALU_DEP_1)
	v_xor_b32_e32 v24, 0x80000000, v24
.LBB105_993:                            ;   in Loop: Header=BB105_3 Depth=1
	s_or_b32 exec_lo, exec_lo, s43
	s_and_saveexec_b32 s43, s99
; %bb.994:                              ;   in Loop: Header=BB105_3 Depth=1
	ds_store_b32 v54, v24
; %bb.995:                              ;   in Loop: Header=BB105_3 Depth=1
	s_or_b32 exec_lo, exec_lo, s43
	s_wait_dscnt 0x0
	s_barrier_signal -1
	s_barrier_wait -1
	s_and_saveexec_b32 s43, s100
	s_cbranch_execz .LBB105_997
; %bb.996:                              ;   in Loop: Header=BB105_3 Depth=1
	ds_load_b32 v30, v51 offset:14560
	ds_load_b32 v31, v54
	s_wait_dscnt 0x0
	v_fmac_f32_e32 v24, v30, v31
.LBB105_997:                            ;   in Loop: Header=BB105_3 Depth=1
	s_or_b32 exec_lo, exec_lo, s43
	s_barrier_signal -1
	s_barrier_wait -1
	s_and_saveexec_b32 s43, s101
; %bb.998:                              ;   in Loop: Header=BB105_3 Depth=1
	ds_store_b32 v54, v24
; %bb.999:                              ;   in Loop: Header=BB105_3 Depth=1
	s_or_b32 exec_lo, exec_lo, s43
	s_wait_dscnt 0x0
	s_barrier_signal -1
	s_barrier_wait -1
	s_and_saveexec_b32 s43, s102
	s_cbranch_execz .LBB105_1001
; %bb.1000:                             ;   in Loop: Header=BB105_3 Depth=1
	ds_load_b32 v30, v51 offset:14816
	ds_load_b32 v31, v54
	s_wait_dscnt 0x0
	v_fmac_f32_e32 v24, v30, v31
.LBB105_1001:                           ;   in Loop: Header=BB105_3 Depth=1
	s_or_b32 exec_lo, exec_lo, s43
	s_barrier_signal -1
	s_barrier_wait -1
	s_and_saveexec_b32 s43, s103
; %bb.1002:                             ;   in Loop: Header=BB105_3 Depth=1
	ds_store_b32 v54, v24
; %bb.1003:                             ;   in Loop: Header=BB105_3 Depth=1
	s_or_b32 exec_lo, exec_lo, s43
	s_wait_dscnt 0x0
	s_barrier_signal -1
	s_barrier_wait -1
	s_and_saveexec_b32 s43, s104
	s_cbranch_execz .LBB105_1005
; %bb.1004:                             ;   in Loop: Header=BB105_3 Depth=1
	ds_load_b32 v30, v51 offset:15072
	ds_load_b32 v31, v54
	s_wait_dscnt 0x0
	v_fmac_f32_e32 v24, v30, v31
.LBB105_1005:                           ;   in Loop: Header=BB105_3 Depth=1
	s_or_b32 exec_lo, exec_lo, s43
	s_barrier_signal -1
	s_barrier_wait -1
	s_and_saveexec_b32 s43, vcc_hi
; %bb.1006:                             ;   in Loop: Header=BB105_3 Depth=1
	ds_store_b32 v54, v24
; %bb.1007:                             ;   in Loop: Header=BB105_3 Depth=1
	s_or_b32 exec_lo, exec_lo, s43
	s_wait_dscnt 0x0
	s_barrier_signal -1
	s_barrier_wait -1
	s_and_saveexec_b32 s43, s31
	s_cbranch_execz .LBB105_1009
; %bb.1008:                             ;   in Loop: Header=BB105_3 Depth=1
	ds_load_b32 v30, v51 offset:15328
	ds_load_b32 v31, v54
	s_wait_dscnt 0x0
	v_fmac_f32_e32 v24, v30, v31
.LBB105_1009:                           ;   in Loop: Header=BB105_3 Depth=1
	s_or_b32 exec_lo, exec_lo, s43
	s_barrier_signal -1
	s_barrier_wait -1
	s_and_saveexec_b32 s43, s33
; %bb.1010:                             ;   in Loop: Header=BB105_3 Depth=1
	ds_store_b32 v54, v24
; %bb.1011:                             ;   in Loop: Header=BB105_3 Depth=1
	s_or_b32 exec_lo, exec_lo, s43
	s_wait_dscnt 0x0
	s_barrier_signal -1
	s_barrier_wait -1
	s_and_saveexec_b32 s43, s34
	s_cbranch_execz .LBB105_1013
; %bb.1012:                             ;   in Loop: Header=BB105_3 Depth=1
	ds_load_b32 v30, v51 offset:15584
	ds_load_b32 v31, v54
	s_wait_dscnt 0x0
	v_fmac_f32_e32 v24, v30, v31
.LBB105_1013:                           ;   in Loop: Header=BB105_3 Depth=1
	s_or_b32 exec_lo, exec_lo, s43
	s_barrier_signal -1
	s_barrier_wait -1
	s_and_saveexec_b32 s43, s35
	;; [unrolled: 19-line block ×4, first 2 shown]
; %bb.1022:                             ;   in Loop: Header=BB105_3 Depth=1
	ds_store_b32 v54, v24
; %bb.1023:                             ;   in Loop: Header=BB105_3 Depth=1
	s_or_b32 exec_lo, exec_lo, s43
	s_wait_dscnt 0x0
	s_barrier_signal -1
	s_barrier_wait -1
	s_barrier_signal -1
	s_barrier_wait -1
	s_and_saveexec_b32 s43, s5
; %bb.1024:                             ;   in Loop: Header=BB105_3 Depth=1
	v_xor_b32_e32 v24, 0x80000000, v24
	ds_store_b32 v55, v24 offset:12512
; %bb.1025:                             ;   in Loop: Header=BB105_3 Depth=1
	s_or_b32 exec_lo, exec_lo, s43
	s_wait_dscnt 0x0
	s_barrier_signal -1
	s_barrier_wait -1
	s_barrier_signal -1
	s_barrier_wait -1
	s_and_saveexec_b32 s43, s39
	s_cbranch_execz .LBB105_1027
; %bb.1026:                             ;   in Loop: Header=BB105_3 Depth=1
	ds_load_b32 v24, v42 offset:12512
	s_wait_dscnt 0x0
	ds_store_b32 v46, v24 offset:14528
	ds_load_b32 v24, v42 offset:12516
	s_wait_dscnt 0x0
	ds_store_b32 v46, v24 offset:14784
	;; [unrolled: 3-line block ×8, first 2 shown]
.LBB105_1027:                           ;   in Loop: Header=BB105_3 Depth=1
	s_or_b32 exec_lo, exec_lo, s43
	s_wait_dscnt 0x0
	s_barrier_signal -1
	s_barrier_wait -1
	s_and_saveexec_b32 s43, s11
	s_cbranch_execz .LBB105_1029
; %bb.1028:                             ;   in Loop: Header=BB105_3 Depth=1
	ds_load_b32 v24, v7 offset:14564
	ds_store_b32 v7, v25 offset:14560
	s_wait_dscnt 0x1
	ds_store_b64 v7, v[24:25] offset:14816
.LBB105_1029:                           ;   in Loop: Header=BB105_3 Depth=1
	s_or_b32 exec_lo, exec_lo, s43
	v_mov_b32_e32 v24, 0
	s_wait_dscnt 0x0
	s_barrier_signal -1
	s_barrier_wait -1
	s_and_saveexec_b32 s43, s2
	s_cbranch_execz .LBB105_1033
; %bb.1030:                             ;   in Loop: Header=BB105_3 Depth=1
	ds_load_b32 v24, v39 offset:14568
	ds_load_b32 v30, v40 offset:14560
	s_wait_dscnt 0x0
	v_fma_f32 v24, v24, v30, 0
	s_and_saveexec_b32 s44, s12
	s_cbranch_execz .LBB105_1032
; %bb.1031:                             ;   in Loop: Header=BB105_3 Depth=1
	ds_load_b32 v30, v46 offset:14824
	ds_load_b32 v31, v7 offset:14564
	s_wait_dscnt 0x0
	v_fmac_f32_e32 v24, v30, v31
.LBB105_1032:                           ;   in Loop: Header=BB105_3 Depth=1
	s_or_b32 exec_lo, exec_lo, s44
	s_delay_alu instid0(VALU_DEP_1)
	v_xor_b32_e32 v24, 0x80000000, v24
.LBB105_1033:                           ;   in Loop: Header=BB105_3 Depth=1
	s_or_b32 exec_lo, exec_lo, s43
	s_and_saveexec_b32 s43, s89
; %bb.1034:                             ;   in Loop: Header=BB105_3 Depth=1
	ds_store_b32 v37, v24
; %bb.1035:                             ;   in Loop: Header=BB105_3 Depth=1
	s_or_b32 exec_lo, exec_lo, s43
	s_wait_dscnt 0x0
	s_barrier_signal -1
	s_barrier_wait -1
	s_and_saveexec_b32 s43, s90
	s_cbranch_execz .LBB105_1037
; %bb.1036:                             ;   in Loop: Header=BB105_3 Depth=1
	ds_load_b32 v30, v7 offset:15084
	ds_load_b32 v31, v37
	s_wait_dscnt 0x0
	v_fmac_f32_e32 v24, v30, v31
.LBB105_1037:                           ;   in Loop: Header=BB105_3 Depth=1
	s_or_b32 exec_lo, exec_lo, s43
	s_barrier_signal -1
	s_barrier_wait -1
	s_and_saveexec_b32 s43, s90
; %bb.1038:                             ;   in Loop: Header=BB105_3 Depth=1
	ds_store_b32 v37, v24
; %bb.1039:                             ;   in Loop: Header=BB105_3 Depth=1
	s_or_b32 exec_lo, exec_lo, s43
	s_wait_dscnt 0x0
	s_barrier_signal -1
	s_barrier_wait -1
	s_barrier_signal -1
	s_barrier_wait -1
	s_and_saveexec_b32 s43, s2
; %bb.1040:                             ;   in Loop: Header=BB105_3 Depth=1
	v_xor_b32_e32 v24, 0x80000000, v24
	ds_store_b32 v39, v24 offset:14568
; %bb.1041:                             ;   in Loop: Header=BB105_3 Depth=1
	s_or_b32 exec_lo, exec_lo, s43
	s_wait_dscnt 0x0
	s_barrier_signal -1
	s_barrier_wait -1
	s_barrier_signal -1
	s_barrier_wait -1
	s_and_saveexec_b32 s43, s91
	s_cbranch_execz .LBB105_1043
; %bb.1042:                             ;   in Loop: Header=BB105_3 Depth=1
	ds_load_b32 v24, v50 offset:14568
	s_wait_dscnt 0x0
	ds_store_b32 v46, v24 offset:15072
	ds_load_b32 v24, v50 offset:14572
	s_wait_dscnt 0x0
	ds_store_b32 v46, v24 offset:15328
.LBB105_1043:                           ;   in Loop: Header=BB105_3 Depth=1
	s_or_b32 exec_lo, exec_lo, s43
	s_wait_dscnt 0x0
	s_barrier_signal -1
	s_barrier_wait -1
	s_and_saveexec_b32 s43, s11
	s_cbranch_execz .LBB105_1045
; %bb.1044:                             ;   in Loop: Header=BB105_3 Depth=1
	ds_load_b32 v24, v7 offset:15084
	ds_store_b32 v7, v25 offset:15080
	s_wait_dscnt 0x1
	ds_store_b64 v7, v[24:25] offset:15336
.LBB105_1045:                           ;   in Loop: Header=BB105_3 Depth=1
	s_or_b32 exec_lo, exec_lo, s43
	v_mov_b32_e32 v24, 0
	s_wait_dscnt 0x0
	s_barrier_signal -1
	s_barrier_wait -1
	s_and_saveexec_b32 s43, s4
	s_cbranch_execz .LBB105_1051
; %bb.1046:                             ;   in Loop: Header=BB105_3 Depth=1
	ds_load_b32 v24, v48 offset:14576
	ds_load_b32 v30, v41 offset:14560
	s_wait_dscnt 0x0
	v_fma_f32 v24, v24, v30, 0
	s_and_saveexec_b32 s44, s13
	s_cbranch_execnz .LBB105_1223
; %bb.1047:                             ;   in Loop: Header=BB105_3 Depth=1
	s_or_b32 exec_lo, exec_lo, s44
	s_and_saveexec_b32 s44, s14
	s_cbranch_execnz .LBB105_1224
.LBB105_1048:                           ;   in Loop: Header=BB105_3 Depth=1
	s_or_b32 exec_lo, exec_lo, s44
	s_and_saveexec_b32 s44, s2
	s_cbranch_execz .LBB105_1050
.LBB105_1049:                           ;   in Loop: Header=BB105_3 Depth=1
	ds_load_b32 v30, v53 offset:15344
	ds_load_b32 v31, v7 offset:14572
	s_wait_dscnt 0x0
	v_fmac_f32_e32 v24, v30, v31
.LBB105_1050:                           ;   in Loop: Header=BB105_3 Depth=1
	s_or_b32 exec_lo, exec_lo, s44
	s_delay_alu instid0(VALU_DEP_1)
	v_xor_b32_e32 v24, 0x80000000, v24
.LBB105_1051:                           ;   in Loop: Header=BB105_3 Depth=1
	s_or_b32 exec_lo, exec_lo, s43
	s_and_saveexec_b32 s43, s92
; %bb.1052:                             ;   in Loop: Header=BB105_3 Depth=1
	ds_store_b32 v47, v24
; %bb.1053:                             ;   in Loop: Header=BB105_3 Depth=1
	s_or_b32 exec_lo, exec_lo, s43
	s_wait_dscnt 0x0
	s_barrier_signal -1
	s_barrier_wait -1
	s_and_saveexec_b32 s43, s93
	s_cbranch_execz .LBB105_1055
; %bb.1054:                             ;   in Loop: Header=BB105_3 Depth=1
	ds_load_b32 v30, v45 offset:15600
	ds_load_b32 v31, v47
	s_wait_dscnt 0x0
	v_fmac_f32_e32 v24, v30, v31
.LBB105_1055:                           ;   in Loop: Header=BB105_3 Depth=1
	s_or_b32 exec_lo, exec_lo, s43
	s_barrier_signal -1
	s_barrier_wait -1
	s_and_saveexec_b32 s43, s94
; %bb.1056:                             ;   in Loop: Header=BB105_3 Depth=1
	ds_store_b32 v47, v24
; %bb.1057:                             ;   in Loop: Header=BB105_3 Depth=1
	s_or_b32 exec_lo, exec_lo, s43
	s_wait_dscnt 0x0
	s_barrier_signal -1
	s_barrier_wait -1
	s_and_saveexec_b32 s43, s95
	s_cbranch_execz .LBB105_1059
; %bb.1058:                             ;   in Loop: Header=BB105_3 Depth=1
	ds_load_b32 v30, v45 offset:15856
	ds_load_b32 v31, v47
	s_wait_dscnt 0x0
	v_fmac_f32_e32 v24, v30, v31
.LBB105_1059:                           ;   in Loop: Header=BB105_3 Depth=1
	s_or_b32 exec_lo, exec_lo, s43
	s_barrier_signal -1
	s_barrier_wait -1
	;; [unrolled: 19-line block ×3, first 2 shown]
	s_and_saveexec_b32 s43, s97
; %bb.1064:                             ;   in Loop: Header=BB105_3 Depth=1
	ds_store_b32 v47, v24
; %bb.1065:                             ;   in Loop: Header=BB105_3 Depth=1
	s_or_b32 exec_lo, exec_lo, s43
	s_wait_dscnt 0x0
	s_barrier_signal -1
	s_barrier_wait -1
	s_barrier_signal -1
	s_barrier_wait -1
	s_and_saveexec_b32 s43, s4
; %bb.1066:                             ;   in Loop: Header=BB105_3 Depth=1
	v_xor_b32_e32 v24, 0x80000000, v24
	ds_store_b32 v48, v24 offset:14576
; %bb.1067:                             ;   in Loop: Header=BB105_3 Depth=1
	s_or_b32 exec_lo, exec_lo, s43
	s_wait_dscnt 0x0
	s_barrier_signal -1
	s_barrier_wait -1
	s_barrier_signal -1
	s_barrier_wait -1
	s_and_saveexec_b32 s43, s98
	s_cbranch_execz .LBB105_1069
; %bb.1068:                             ;   in Loop: Header=BB105_3 Depth=1
	ds_load_b32 v24, v56 offset:14576
	s_wait_dscnt 0x0
	ds_store_b32 v59, v24 offset:15584
	ds_load_b32 v24, v56 offset:14580
	s_wait_dscnt 0x0
	ds_store_b32 v59, v24 offset:15840
	;; [unrolled: 3-line block ×4, first 2 shown]
.LBB105_1069:                           ;   in Loop: Header=BB105_3 Depth=1
	s_or_b32 exec_lo, exec_lo, s43
	s_wait_dscnt 0x0
	s_barrier_signal -1
	s_barrier_wait -1
	s_and_saveexec_b32 s43, s11
	s_cbranch_execz .LBB105_1071
; %bb.1070:                             ;   in Loop: Header=BB105_3 Depth=1
	ds_load_b32 v24, v7 offset:15604
	ds_store_b32 v7, v25 offset:15600
	s_wait_dscnt 0x1
	ds_store_b64 v7, v[24:25] offset:15856
.LBB105_1071:                           ;   in Loop: Header=BB105_3 Depth=1
	s_or_b32 exec_lo, exec_lo, s43
	v_mov_b32_e32 v24, 0
	s_wait_dscnt 0x0
	s_barrier_signal -1
	s_barrier_wait -1
	s_and_saveexec_b32 s43, s2
	s_cbranch_execz .LBB105_1075
; %bb.1072:                             ;   in Loop: Header=BB105_3 Depth=1
	ds_load_b32 v24, v39 offset:15608
	ds_load_b32 v30, v40 offset:15600
	s_wait_dscnt 0x0
	v_fma_f32 v24, v24, v30, 0
	s_and_saveexec_b32 s44, s12
	s_cbranch_execz .LBB105_1074
; %bb.1073:                             ;   in Loop: Header=BB105_3 Depth=1
	ds_load_b32 v30, v59 offset:15864
	ds_load_b32 v31, v7 offset:15604
	s_wait_dscnt 0x0
	v_fmac_f32_e32 v24, v30, v31
.LBB105_1074:                           ;   in Loop: Header=BB105_3 Depth=1
	s_or_b32 exec_lo, exec_lo, s44
	s_delay_alu instid0(VALU_DEP_1)
	v_xor_b32_e32 v24, 0x80000000, v24
.LBB105_1075:                           ;   in Loop: Header=BB105_3 Depth=1
	s_or_b32 exec_lo, exec_lo, s43
	s_and_saveexec_b32 s43, s89
; %bb.1076:                             ;   in Loop: Header=BB105_3 Depth=1
	ds_store_b32 v37, v24
; %bb.1077:                             ;   in Loop: Header=BB105_3 Depth=1
	s_or_b32 exec_lo, exec_lo, s43
	s_wait_dscnt 0x0
	s_barrier_signal -1
	s_barrier_wait -1
	s_and_saveexec_b32 s43, s90
	s_cbranch_execz .LBB105_1079
; %bb.1078:                             ;   in Loop: Header=BB105_3 Depth=1
	ds_load_b32 v30, v7 offset:16124
	ds_load_b32 v31, v37
	s_wait_dscnt 0x0
	v_fmac_f32_e32 v24, v30, v31
.LBB105_1079:                           ;   in Loop: Header=BB105_3 Depth=1
	s_or_b32 exec_lo, exec_lo, s43
	s_barrier_signal -1
	s_barrier_wait -1
	s_and_saveexec_b32 s43, s90
; %bb.1080:                             ;   in Loop: Header=BB105_3 Depth=1
	ds_store_b32 v37, v24
; %bb.1081:                             ;   in Loop: Header=BB105_3 Depth=1
	s_or_b32 exec_lo, exec_lo, s43
	s_wait_dscnt 0x0
	s_barrier_signal -1
	s_barrier_wait -1
	s_barrier_signal -1
	s_barrier_wait -1
	s_and_saveexec_b32 s43, s2
; %bb.1082:                             ;   in Loop: Header=BB105_3 Depth=1
	v_xor_b32_e32 v24, 0x80000000, v24
	ds_store_b32 v39, v24 offset:15608
; %bb.1083:                             ;   in Loop: Header=BB105_3 Depth=1
	s_or_b32 exec_lo, exec_lo, s43
	s_wait_dscnt 0x0
	s_barrier_signal -1
	s_barrier_wait -1
	s_barrier_signal -1
	s_barrier_wait -1
	s_and_saveexec_b32 s43, s91
	s_cbranch_execz .LBB105_1085
; %bb.1084:                             ;   in Loop: Header=BB105_3 Depth=1
	v_add_nc_u32_e32 v24, v59, v44
	ds_load_b32 v30, v24 offset:15608
	s_wait_dscnt 0x0
	ds_store_b32 v59, v30 offset:16112
	ds_load_b32 v24, v24 offset:15612
	s_wait_dscnt 0x0
	ds_store_b32 v59, v24 offset:16368
.LBB105_1085:                           ;   in Loop: Header=BB105_3 Depth=1
	s_or_b32 exec_lo, exec_lo, s43
	s_wait_dscnt 0x0
	s_barrier_signal -1
	s_barrier_wait -1
	s_and_saveexec_b32 s43, s11
	s_cbranch_execz .LBB105_1087
; %bb.1086:                             ;   in Loop: Header=BB105_3 Depth=1
	ds_load_b32 v24, v7 offset:16124
	ds_store_b32 v7, v25 offset:16120
	s_wait_dscnt 0x1
	ds_store_b64 v7, v[24:25] offset:16376
.LBB105_1087:                           ;   in Loop: Header=BB105_3 Depth=1
	s_or_b32 exec_lo, exec_lo, s43
.LBB105_1088:                           ;   in Loop: Header=BB105_3 Depth=1
	v_add_nc_u64_e32 v[28:29], s[68:69], v[28:29]
	s_wait_xcnt 0x1
	v_mov_b32_e32 v24, 0
	s_wait_dscnt 0x0
	s_barrier_signal -1
	s_barrier_wait -1
	s_wait_xcnt 0x0
	s_and_saveexec_b32 s43, s40
	s_cbranch_execz .LBB105_1090
; %bb.1089:                             ;   in Loop: Header=BB105_3 Depth=1
	v_lshl_add_u64 v[30:31], v[0:1], 2, v[28:29]
	flat_load_b32 v24, v[30:31]
	s_wait_loadcnt_dscnt 0x0
	v_mul_f32_e64 v24, v24, -v87
.LBB105_1090:                           ;   in Loop: Header=BB105_3 Depth=1
	s_or_b32 exec_lo, exec_lo, s43
	s_delay_alu instid0(SALU_CYCLE_1)
	s_and_not1_b32 vcc_lo, exec_lo, s41
	s_cbranch_vccnz .LBB105_1116
; %bb.1091:                             ;   in Loop: Header=BB105_3 Depth=1
	v_mov_b32_e32 v87, -1
	s_lshl_b64 s[44:45], s[62:63], 2
	s_mov_b32 s43, 0
	s_add_nc_u64 s[82:83], s[78:79], s[44:45]
	s_branch .LBB105_1094
.LBB105_1092:                           ;   in Loop: Header=BB105_1094 Depth=2
	s_wait_xcnt 0x0
	ds_load_b32 v30, v71 offset:192
	s_wait_loadcnt_dscnt 0x0
	v_fmac_f32_e32 v24, v32, v30
.LBB105_1093:                           ;   in Loop: Header=BB105_1094 Depth=2
	s_or_b32 exec_lo, exec_lo, s44
	s_add_co_i32 s43, s43, 1
	s_delay_alu instid0(SALU_CYCLE_1)
	s_cmp_eq_u32 s43, s84
	s_cbranch_scc1 .LBB105_1116
.LBB105_1094:                           ;   Parent Loop BB105_3 Depth=1
                                        ; =>  This Loop Header: Depth=2
                                        ;       Child Loop BB105_1096 Depth 3
	v_cmp_gt_i32_e32 vcc_lo, s43, v87
	s_and_b32 s45, s55, vcc_lo
	s_delay_alu instid0(SALU_CYCLE_1)
	s_and_saveexec_b32 s44, s45
	s_cbranch_execz .LBB105_1097
; %bb.1095:                             ;   in Loop: Header=BB105_1094 Depth=2
	global_load_b32 v87, v7, s[82:83]
	s_wait_loadcnt 0x0
	v_cmp_le_i32_e32 vcc_lo, s43, v87
	s_cbranch_vccnz .LBB105_1097
.LBB105_1096:                           ;   Parent Loop BB105_3 Depth=1
                                        ;     Parent Loop BB105_1094 Depth=2
                                        ; =>    This Inner Loop Header: Depth=3
	global_wb scope:SCOPE_DEV
	s_wait_storecnt 0x0
	global_inv scope:SCOPE_DEV
	global_load_b32 v87, v7, s[82:83]
	s_wait_loadcnt 0x0
	v_cmp_gt_i32_e32 vcc_lo, s43, v87
	s_cbranch_vccnz .LBB105_1096
.LBB105_1097:                           ;   in Loop: Header=BB105_1094 Depth=2
	s_or_b32 exec_lo, exec_lo, s44
	s_sub_co_i32 s44, s85, s43
	global_wb scope:SCOPE_DEV
	s_wait_storecnt 0x0
	global_inv scope:SCOPE_DEV
	s_lshl_b32 s45, s44, 6
	s_wait_loadcnt 0x0
	s_barrier_signal -1
	s_barrier_wait -1
	s_and_saveexec_b32 s46, s56
	s_cbranch_execz .LBB105_1101
; %bb.1098:                             ;   in Loop: Header=BB105_1094 Depth=2
	s_ashr_i32 s47, s45, 31
	s_delay_alu instid0(SALU_CYCLE_1) | instskip(SKIP_2) | instid1(VALU_DEP_1)
	v_dual_mov_b32 v32, 0 :: v_dual_mov_b32 v31, s47
	v_or_b32_e32 v30, s45, v8
	s_mov_b32 s47, exec_lo
	v_cmpx_gt_i64_e64 s[76:77], v[30:31]
	s_cbranch_execz .LBB105_1100
; %bb.1099:                             ;   in Loop: Header=BB105_1094 Depth=2
	v_mul_u64_e32 v[30:31], s[70:71], v[30:31]
	s_delay_alu instid0(VALU_DEP_1)
	v_lshl_add_u64 v[30:31], v[30:31], 2, v[28:29]
	flat_load_b32 v32, v[30:31]
.LBB105_1100:                           ;   in Loop: Header=BB105_1094 Depth=2
	s_wait_xcnt 0x0
	s_or_b32 exec_lo, exec_lo, s47
	s_wait_loadcnt_dscnt 0x0
	ds_store_b32 v70, v32
.LBB105_1101:                           ;   in Loop: Header=BB105_1094 Depth=2
	s_or_b32 exec_lo, exec_lo, s46
	v_add_nc_u32_e32 v32, s45, v2
	s_cmp_lg_u32 s44, s42
	s_wait_dscnt 0x0
	s_cselect_b32 s45, -1, 0
	s_barrier_signal -1
	v_ashrrev_i32_e32 v33, 31, v32
	v_cmp_gt_i32_e32 vcc_lo, s76, v32
	s_barrier_wait -1
	s_delay_alu instid0(VALU_DEP_2) | instskip(SKIP_2) | instid1(SALU_CYCLE_1)
	v_lshl_add_u64 v[30:31], v[32:33], 2, v[26:27]
	v_cndmask_b32_e64 v33, 0, 1, s45
	s_and_b32 s46, vcc_lo, s0
	s_and_saveexec_b32 s44, s46
	s_cbranch_execz .LBB105_1105
; %bb.1102:                             ;   in Loop: Header=BB105_1094 Depth=2
	v_mov_b32_e32 v88, v83
	s_and_not1_b32 vcc_lo, exec_lo, s45
	s_cbranch_vccnz .LBB105_1104
; %bb.1103:                             ;   in Loop: Header=BB105_1094 Depth=2
	flat_load_b32 v88, v[30:31]
.LBB105_1104:                           ;   in Loop: Header=BB105_1094 Depth=2
	ds_load_b32 v89, v71
	s_wait_loadcnt_dscnt 0x0
	v_fmac_f32_e32 v24, v88, v89
.LBB105_1105:                           ;   in Loop: Header=BB105_1094 Depth=2
	s_or_b32 exec_lo, exec_lo, s44
	v_add_nc_u32_e32 v88, 16, v32
	s_delay_alu instid0(VALU_DEP_1) | instskip(SKIP_1) | instid1(SALU_CYCLE_1)
	v_cmp_gt_i32_e32 vcc_lo, s76, v88
	s_and_b32 s45, vcc_lo, s0
	s_and_saveexec_b32 s44, s45
	s_cbranch_execz .LBB105_1109
; %bb.1106:                             ;   in Loop: Header=BB105_1094 Depth=2
	v_cmp_ne_u32_e32 vcc_lo, 1, v33
	v_mov_b32_e32 v88, v84
	s_cbranch_vccnz .LBB105_1108
; %bb.1107:                             ;   in Loop: Header=BB105_1094 Depth=2
	flat_load_b32 v88, v[30:31] offset:64
.LBB105_1108:                           ;   in Loop: Header=BB105_1094 Depth=2
	ds_load_b32 v89, v71 offset:64
	s_wait_loadcnt_dscnt 0x0
	v_fmac_f32_e32 v24, v88, v89
.LBB105_1109:                           ;   in Loop: Header=BB105_1094 Depth=2
	s_or_b32 exec_lo, exec_lo, s44
	v_add_nc_u32_e32 v88, 32, v32
	s_delay_alu instid0(VALU_DEP_1) | instskip(SKIP_1) | instid1(SALU_CYCLE_1)
	v_cmp_gt_i32_e32 vcc_lo, s76, v88
	s_and_b32 s45, vcc_lo, s0
	s_and_saveexec_b32 s44, s45
	s_cbranch_execz .LBB105_1113
; %bb.1110:                             ;   in Loop: Header=BB105_1094 Depth=2
	v_cmp_ne_u32_e32 vcc_lo, 1, v33
	v_mov_b32_e32 v88, v85
	s_cbranch_vccnz .LBB105_1112
; %bb.1111:                             ;   in Loop: Header=BB105_1094 Depth=2
	flat_load_b32 v88, v[30:31] offset:128
.LBB105_1112:                           ;   in Loop: Header=BB105_1094 Depth=2
	ds_load_b32 v89, v71 offset:128
	s_wait_loadcnt_dscnt 0x0
	v_fmac_f32_e32 v24, v88, v89
.LBB105_1113:                           ;   in Loop: Header=BB105_1094 Depth=2
	s_or_b32 exec_lo, exec_lo, s44
	v_add_nc_u32_e32 v32, 48, v32
	s_delay_alu instid0(VALU_DEP_1) | instskip(SKIP_1) | instid1(SALU_CYCLE_1)
	v_cmp_gt_i32_e32 vcc_lo, s76, v32
	s_and_b32 s45, vcc_lo, s0
	s_and_saveexec_b32 s44, s45
	s_cbranch_execz .LBB105_1093
; %bb.1114:                             ;   in Loop: Header=BB105_1094 Depth=2
	v_cmp_ne_u32_e32 vcc_lo, 1, v33
	v_mov_b32_e32 v32, v86
	s_cbranch_vccnz .LBB105_1092
; %bb.1115:                             ;   in Loop: Header=BB105_1094 Depth=2
	flat_load_b32 v32, v[30:31] offset:192
	s_branch .LBB105_1092
.LBB105_1116:                           ;   in Loop: Header=BB105_3 Depth=1
	ds_store_b32 v72, v24
	s_wait_dscnt 0x0
	s_barrier_signal -1
	s_barrier_wait -1
	s_and_saveexec_b32 s43, s3
	s_cbranch_execz .LBB105_1118
; %bb.1117:                             ;   in Loop: Header=BB105_3 Depth=1
	ds_load_2addr_stride64_b32 v[26:27], v73 offset0:1 offset1:2
	ds_load_2addr_stride64_b32 v[30:31], v73 offset0:3 offset1:4
	;; [unrolled: 1-line block ×4, first 2 shown]
	v_readlane_b32 s44, v93, 8
	s_wait_dscnt 0x3
	v_add_f32_e32 v24, v24, v26
	s_delay_alu instid0(VALU_DEP_1) | instskip(SKIP_3) | instid1(VALU_DEP_1)
	v_add_f32_e32 v24, v24, v27
	ds_load_2addr_stride64_b32 v[26:27], v73 offset0:9 offset1:10
	s_wait_dscnt 0x3
	v_add_f32_e32 v24, v24, v30
	v_add_f32_e32 v24, v24, v31
	ds_load_2addr_stride64_b32 v[30:31], v73 offset0:11 offset1:12
	s_wait_dscnt 0x3
	v_add_f32_e32 v24, v24, v32
	s_delay_alu instid0(VALU_DEP_1) | instskip(SKIP_4) | instid1(VALU_DEP_1)
	v_add_f32_e32 v24, v24, v33
	ds_load_2addr_stride64_b32 v[32:33], v73 offset0:13 offset1:14
	ds_load_b32 v87, v73 offset:3840
	s_wait_dscnt 0x4
	v_add_f32_e32 v24, v24, v88
	v_add_f32_e32 v24, v24, v89
	s_wait_dscnt 0x3
	s_delay_alu instid0(VALU_DEP_1) | instskip(NEXT) | instid1(VALU_DEP_1)
	v_add_f32_e32 v24, v24, v26
	v_add_f32_e32 v24, v24, v27
	s_wait_dscnt 0x2
	s_delay_alu instid0(VALU_DEP_1) | instskip(NEXT) | instid1(VALU_DEP_1)
	;; [unrolled: 4-line block ×4, first 2 shown]
	v_add_f32_e32 v24, v24, v87
	v_cndmask_b32_e64 v24, -v24, 0, s44
.LBB105_1118:                           ;   in Loop: Header=BB105_3 Depth=1
	s_or_b32 exec_lo, exec_lo, s43
	s_delay_alu instid0(SALU_CYCLE_1)
	s_and_not1_b32 vcc_lo, exec_lo, s88
	s_cbranch_vccnz .LBB105_1128
; %bb.1119:                             ;   in Loop: Header=BB105_3 Depth=1
	s_and_saveexec_b32 s43, s3
; %bb.1120:                             ;   in Loop: Header=BB105_3 Depth=1
	ds_store_b32 v75, v24
; %bb.1121:                             ;   in Loop: Header=BB105_3 Depth=1
	s_or_b32 exec_lo, exec_lo, s43
	v_mov_b32_e32 v26, 0
	s_wait_dscnt 0x0
	s_barrier_signal -1
	s_barrier_wait -1
	s_and_saveexec_b32 s43, s1
	s_cbranch_execnz .LBB105_1168
; %bb.1122:                             ;   in Loop: Header=BB105_3 Depth=1
	s_or_b32 exec_lo, exec_lo, s43
	s_and_saveexec_b32 s43, s8
	s_cbranch_execnz .LBB105_1169
.LBB105_1123:                           ;   in Loop: Header=BB105_3 Depth=1
	s_or_b32 exec_lo, exec_lo, s43
	s_and_saveexec_b32 s43, s9
	s_cbranch_execnz .LBB105_1170
.LBB105_1124:                           ;   in Loop: Header=BB105_3 Depth=1
	s_or_b32 exec_lo, exec_lo, s43
	s_and_saveexec_b32 s43, s10
	s_cbranch_execz .LBB105_1126
.LBB105_1125:                           ;   in Loop: Header=BB105_3 Depth=1
	ds_load_b32 v27, v74 offset:12288
	ds_load_b32 v30, v71 offset:192
	s_wait_dscnt 0x0
	v_fmac_f32_e32 v26, v27, v30
.LBB105_1126:                           ;   in Loop: Header=BB105_3 Depth=1
	s_or_b32 exec_lo, exec_lo, s43
	s_mov_b32 s43, 0
	s_mov_b32 s82, 0
	ds_store_b32 v72, v26
	s_wait_dscnt 0x0
	s_barrier_signal -1
	s_barrier_wait -1
                                        ; implicit-def: $vgpr27
	s_and_saveexec_b32 s83, s3
	s_cbranch_execz .LBB105_1171
; %bb.1127:                             ;   in Loop: Header=BB105_3 Depth=1
	ds_load_2addr_stride64_b32 v[30:31], v73 offset0:1 offset1:2
	ds_load_2addr_stride64_b32 v[32:33], v73 offset0:3 offset1:4
	;; [unrolled: 1-line block ×4, first 2 shown]
	s_mov_b32 s82, exec_lo
	s_wait_dscnt 0x3
	v_add_f32_e32 v26, v26, v30
	s_delay_alu instid0(VALU_DEP_1) | instskip(SKIP_1) | instid1(VALU_DEP_1)
	v_add_f32_e32 v26, v31, v26
	s_wait_dscnt 0x2
	v_add_f32_e32 v26, v32, v26
	s_delay_alu instid0(VALU_DEP_1) | instskip(SKIP_1) | instid1(VALU_DEP_1)
	v_add_f32_e32 v26, v33, v26
	s_wait_dscnt 0x1
	v_add_f32_e32 v30, v88, v26
	ds_load_2addr_stride64_b32 v[26:27], v73 offset0:9 offset1:10
	v_add_f32_e32 v30, v89, v30
	s_wait_dscnt 0x1
	s_delay_alu instid0(VALU_DEP_1)
	v_add_f32_e32 v32, v90, v30
	ds_load_2addr_stride64_b32 v[30:31], v73 offset0:11 offset1:12
	v_add_f32_e32 v87, v91, v32
	ds_load_2addr_stride64_b32 v[32:33], v73 offset0:13 offset1:14
	ds_load_b32 v88, v73 offset:3840
	s_wait_dscnt 0x3
	v_add_f32_e32 v26, v26, v87
	s_delay_alu instid0(VALU_DEP_1) | instskip(SKIP_1) | instid1(VALU_DEP_1)
	v_add_f32_e32 v26, v27, v26
	s_wait_dscnt 0x2
	v_add_f32_e32 v26, v30, v26
	s_delay_alu instid0(VALU_DEP_1) | instskip(SKIP_1) | instid1(VALU_DEP_1)
	v_add_f32_e32 v26, v31, v26
	;; [unrolled: 4-line block ×3, first 2 shown]
	s_wait_dscnt 0x0
	v_add_f32_e32 v27, v88, v26
	s_or_b32 exec_lo, exec_lo, s83
	s_delay_alu instid0(SALU_CYCLE_1)
	s_and_b32 vcc_lo, exec_lo, s43
	s_cbranch_vccnz .LBB105_1129
	s_branch .LBB105_1172
.LBB105_1128:                           ;   in Loop: Header=BB105_3 Depth=1
	s_mov_b32 s82, 0
                                        ; implicit-def: $vgpr27
	s_cbranch_execz .LBB105_1172
.LBB105_1129:                           ;   in Loop: Header=BB105_3 Depth=1
	v_dual_mov_b32 v26, v82 :: v_dual_mov_b32 v27, v81
	s_mov_b32 s43, 63
	s_branch .LBB105_1131
.LBB105_1130:                           ;   in Loop: Header=BB105_1131 Depth=2
	s_or_b32 exec_lo, exec_lo, s45
	v_add_nc_u32_e32 v27, 0xfffffc00, v27
	v_add_nc_u32_e32 v26, 4, v26
	s_add_co_i32 s43, s43, -4
	s_cmp_lg_u32 s44, 0
	s_barrier_signal -1
	s_barrier_wait -1
	s_cbranch_scc0 .LBB105_1147
.LBB105_1131:                           ;   Parent Loop BB105_3 Depth=1
                                        ; =>  This Inner Loop Header: Depth=2
	s_delay_alu instid0(VALU_DEP_1) | instskip(SKIP_1) | instid1(SALU_CYCLE_1)
	v_cmp_eq_u32_e32 vcc_lo, 0, v26
	s_and_b32 s45, s3, vcc_lo
	s_and_saveexec_b32 s44, s45
; %bb.1132:                             ;   in Loop: Header=BB105_1131 Depth=2
	ds_store_b32 v7, v24 offset:20736
; %bb.1133:                             ;   in Loop: Header=BB105_1131 Depth=2
	s_or_b32 exec_lo, exec_lo, s44
	v_cmp_gt_u32_e32 vcc_lo, s43, v4
	s_wait_dscnt 0x0
	s_barrier_signal -1
	s_barrier_wait -1
	s_and_b32 s45, s3, vcc_lo
	s_delay_alu instid0(SALU_CYCLE_1)
	s_and_saveexec_b32 s44, s45
	s_cbranch_execz .LBB105_1135
; %bb.1134:                             ;   in Loop: Header=BB105_1131 Depth=2
	ds_load_b32 v30, v27 offset:768
	ds_load_b32 v31, v7 offset:20736
	s_wait_dscnt 0x0
	v_fmac_f32_e32 v24, v30, v31
.LBB105_1135:                           ;   in Loop: Header=BB105_1131 Depth=2
	s_or_b32 exec_lo, exec_lo, s44
	s_add_co_i32 s44, s43, -1
	s_delay_alu instid0(SALU_CYCLE_1) | instskip(SKIP_3) | instid1(SALU_CYCLE_1)
	v_cmp_eq_u32_e32 vcc_lo, s44, v4
	s_barrier_signal -1
	s_barrier_wait -1
	s_and_b32 s46, s3, vcc_lo
	s_and_saveexec_b32 s45, s46
; %bb.1136:                             ;   in Loop: Header=BB105_1131 Depth=2
	ds_store_b32 v7, v24 offset:20736
; %bb.1137:                             ;   in Loop: Header=BB105_1131 Depth=2
	s_or_b32 exec_lo, exec_lo, s45
	v_cmp_gt_u32_e32 vcc_lo, s44, v4
	s_wait_dscnt 0x0
	s_barrier_signal -1
	s_barrier_wait -1
	s_and_b32 s45, s3, vcc_lo
	s_delay_alu instid0(SALU_CYCLE_1)
	s_and_saveexec_b32 s44, s45
	s_cbranch_execz .LBB105_1139
; %bb.1138:                             ;   in Loop: Header=BB105_1131 Depth=2
	ds_load_b32 v30, v27 offset:512
	ds_load_b32 v31, v7 offset:20736
	s_wait_dscnt 0x0
	v_fmac_f32_e32 v24, v30, v31
.LBB105_1139:                           ;   in Loop: Header=BB105_1131 Depth=2
	s_or_b32 exec_lo, exec_lo, s44
	s_add_co_i32 s44, s43, -2
	s_delay_alu instid0(SALU_CYCLE_1) | instskip(SKIP_3) | instid1(SALU_CYCLE_1)
	v_cmp_eq_u32_e32 vcc_lo, s44, v4
	s_barrier_signal -1
	s_barrier_wait -1
	;; [unrolled: 26-line block ×3, first 2 shown]
	s_and_b32 s46, s3, vcc_lo
	s_and_saveexec_b32 s45, s46
; %bb.1144:                             ;   in Loop: Header=BB105_1131 Depth=2
	ds_store_b32 v7, v24 offset:20736
; %bb.1145:                             ;   in Loop: Header=BB105_1131 Depth=2
	s_or_b32 exec_lo, exec_lo, s45
	v_cmp_gt_u32_e32 vcc_lo, s44, v4
	s_wait_dscnt 0x0
	s_barrier_signal -1
	s_barrier_wait -1
	s_and_b32 s46, s3, vcc_lo
	s_delay_alu instid0(SALU_CYCLE_1)
	s_and_saveexec_b32 s45, s46
	s_cbranch_execz .LBB105_1130
; %bb.1146:                             ;   in Loop: Header=BB105_1131 Depth=2
	ds_load_b32 v30, v27
	ds_load_b32 v31, v7 offset:20736
	s_wait_dscnt 0x0
	v_fmac_f32_e32 v24, v30, v31
	s_branch .LBB105_1130
.LBB105_1147:                           ;   in Loop: Header=BB105_3 Depth=1
	s_and_b32 vcc_lo, exec_lo, s86
	s_mov_b32 s43, -1
	s_cbranch_vccnz .LBB105_1173
; %bb.1148:                             ;   in Loop: Header=BB105_3 Depth=1
	s_and_not1_b32 vcc_lo, exec_lo, s43
	s_cbranch_vccz .LBB105_1174
.LBB105_1149:                           ;   in Loop: Header=BB105_3 Depth=1
	s_and_saveexec_b32 s43, s82
	s_cbranch_execz .LBB105_1151
.LBB105_1150:                           ;   in Loop: Header=BB105_3 Depth=1
	v_lshl_add_u64 v[26:27], v[22:23], 2, v[28:29]
	flat_store_b32 v[26:27], v24
.LBB105_1151:                           ;   in Loop: Header=BB105_3 Depth=1
	s_wait_xcnt 0x0
	s_or_b32 exec_lo, exec_lo, s43
	global_wb scope:SCOPE_DEV
	s_wait_storecnt_dscnt 0x0
	global_inv scope:SCOPE_DEV
	s_wait_loadcnt 0x0
	s_barrier_signal -1
	s_barrier_wait -1
	s_and_saveexec_b32 s43, s55
	s_cbranch_execz .LBB105_2
; %bb.1152:                             ;   in Loop: Header=BB105_3 Depth=1
	s_lshl_b64 s[44:45], s[62:63], 2
	s_delay_alu instid0(SALU_CYCLE_1)
	s_add_nc_u64 s[44:45], s[78:79], s[44:45]
	global_load_b32 v24, v7, s[44:45]
	s_wait_loadcnt 0x0
	v_add_nc_u32_e32 v24, 1, v24
	global_store_b32 v7, v24, s[44:45]
	s_branch .LBB105_2
.LBB105_1153:                           ;   in Loop: Header=BB105_3 Depth=1
	s_mov_b32 s44, exec_lo
	v_readlane_b32 s45, v92, 20
	s_and_b32 s45, s44, s45
	s_delay_alu instid0(SALU_CYCLE_1)
	s_mov_b32 exec_lo, s45
; %bb.1154:                             ;   in Loop: Header=BB105_3 Depth=1
	ds_store_b32 v76, v7
; %bb.1155:                             ;   in Loop: Header=BB105_3 Depth=1
	s_or_b32 exec_lo, exec_lo, s44
	s_and_not1_saveexec_b32 s43, s43
	s_cbranch_execz .LBB105_16
.LBB105_1156:                           ;   in Loop: Header=BB105_3 Depth=1
	v_lshl_add_u64 v[32:33], v[12:13], 2, v[30:31]
	flat_load_b32 v24, v[32:33]
	s_wait_loadcnt_dscnt 0x0
	v_xor_b32_e32 v24, 0x80000000, v24
	ds_store_b32 v76, v24
	s_or_b32 exec_lo, exec_lo, s43
	s_and_saveexec_b32 s43, s8
	s_delay_alu instid0(SALU_CYCLE_1)
	s_xor_b32 s43, exec_lo, s43
	s_cbranch_execz .LBB105_17
.LBB105_1157:                           ;   in Loop: Header=BB105_3 Depth=1
	s_mov_b32 s44, exec_lo
	v_readlane_b32 s45, v92, 21
	s_and_b32 s45, s44, s45
	s_delay_alu instid0(SALU_CYCLE_1)
	s_mov_b32 exec_lo, s45
; %bb.1158:                             ;   in Loop: Header=BB105_3 Depth=1
	ds_store_b32 v77, v7
; %bb.1159:                             ;   in Loop: Header=BB105_3 Depth=1
	s_or_b32 exec_lo, exec_lo, s44
	s_and_not1_saveexec_b32 s43, s43
	s_cbranch_execz .LBB105_18
.LBB105_1160:                           ;   in Loop: Header=BB105_3 Depth=1
	v_lshl_add_u64 v[32:33], v[14:15], 2, v[30:31]
	flat_load_b32 v24, v[32:33]
	s_wait_loadcnt_dscnt 0x0
	v_xor_b32_e32 v24, 0x80000000, v24
	ds_store_b32 v77, v24
	s_or_b32 exec_lo, exec_lo, s43
	s_and_saveexec_b32 s43, s9
	s_delay_alu instid0(SALU_CYCLE_1)
	s_xor_b32 s43, exec_lo, s43
	s_cbranch_execz .LBB105_19
.LBB105_1161:                           ;   in Loop: Header=BB105_3 Depth=1
	s_mov_b32 s44, exec_lo
	v_readlane_b32 s45, v92, 22
	s_and_b32 s45, s44, s45
	s_delay_alu instid0(SALU_CYCLE_1)
	s_mov_b32 exec_lo, s45
; %bb.1162:                             ;   in Loop: Header=BB105_3 Depth=1
	ds_store_b32 v78, v7
; %bb.1163:                             ;   in Loop: Header=BB105_3 Depth=1
	s_or_b32 exec_lo, exec_lo, s44
	s_and_not1_saveexec_b32 s43, s43
	s_cbranch_execz .LBB105_20
.LBB105_1164:                           ;   in Loop: Header=BB105_3 Depth=1
	v_lshl_add_u64 v[32:33], v[16:17], 2, v[30:31]
	flat_load_b32 v24, v[32:33]
	s_wait_loadcnt_dscnt 0x0
	v_xor_b32_e32 v24, 0x80000000, v24
	ds_store_b32 v78, v24
	s_or_b32 exec_lo, exec_lo, s43
	s_and_saveexec_b32 s43, s10
	s_delay_alu instid0(SALU_CYCLE_1)
	s_xor_b32 s43, exec_lo, s43
	s_cbranch_execz .LBB105_21
.LBB105_1165:                           ;   in Loop: Header=BB105_3 Depth=1
	s_mov_b32 s44, exec_lo
	v_readlane_b32 s45, v92, 23
	s_and_b32 s45, s44, s45
	s_delay_alu instid0(SALU_CYCLE_1)
	s_mov_b32 exec_lo, s45
; %bb.1166:                             ;   in Loop: Header=BB105_3 Depth=1
	ds_store_b32 v79, v7
; %bb.1167:                             ;   in Loop: Header=BB105_3 Depth=1
	s_or_b32 exec_lo, exec_lo, s44
	s_and_not1_saveexec_b32 s43, s43
	s_cbranch_execnz .LBB105_22
	s_branch .LBB105_23
.LBB105_1168:                           ;   in Loop: Header=BB105_3 Depth=1
	ds_load_b32 v26, v74
	ds_load_b32 v27, v71
	s_wait_dscnt 0x0
	v_fma_f32 v26, v26, v27, 0
	s_or_b32 exec_lo, exec_lo, s43
	s_and_saveexec_b32 s43, s8
	s_cbranch_execz .LBB105_1123
.LBB105_1169:                           ;   in Loop: Header=BB105_3 Depth=1
	ds_load_b32 v27, v74 offset:4096
	ds_load_b32 v30, v71 offset:64
	s_wait_dscnt 0x0
	v_fmac_f32_e32 v26, v27, v30
	s_or_b32 exec_lo, exec_lo, s43
	s_and_saveexec_b32 s43, s9
	s_cbranch_execz .LBB105_1124
.LBB105_1170:                           ;   in Loop: Header=BB105_3 Depth=1
	ds_load_b32 v27, v74 offset:8192
	ds_load_b32 v30, v71 offset:128
	s_wait_dscnt 0x0
	v_fmac_f32_e32 v26, v27, v30
	s_or_b32 exec_lo, exec_lo, s43
	s_and_saveexec_b32 s43, s10
	s_cbranch_execnz .LBB105_1125
	s_branch .LBB105_1126
.LBB105_1171:                           ;   in Loop: Header=BB105_3 Depth=1
	s_or_b32 exec_lo, exec_lo, s83
	s_delay_alu instid0(SALU_CYCLE_1)
	s_and_b32 vcc_lo, exec_lo, s43
	s_cbranch_vccnz .LBB105_1129
.LBB105_1172:                           ;   in Loop: Header=BB105_3 Depth=1
	v_mov_b32_e32 v24, v27
	s_and_saveexec_b32 s43, s82
	s_cbranch_execnz .LBB105_1150
	s_branch .LBB105_1151
.LBB105_1173:                           ;   in Loop: Header=BB105_3 Depth=1
	s_and_not1_b32 s44, s82, exec_lo
	s_and_b32 s45, s3, exec_lo
	s_delay_alu instid0(SALU_CYCLE_1)
	s_or_b32 s82, s44, s45
	s_cbranch_execnz .LBB105_1149
.LBB105_1174:                           ;   in Loop: Header=BB105_3 Depth=1
	v_readlane_b32 s44, v93, 9
	s_and_not1_b32 s43, s82, exec_lo
	s_and_b32 s44, s44, exec_lo
	s_delay_alu instid0(SALU_CYCLE_1) | instskip(NEXT) | instid1(SALU_CYCLE_1)
	s_or_b32 s82, s43, s44
	s_and_saveexec_b32 s43, s82
	s_cbranch_execnz .LBB105_1150
	s_branch .LBB105_1151
.LBB105_1175:                           ;   in Loop: Header=BB105_3 Depth=1
	ds_load_b32 v30, v49 offset:272
	ds_load_b32 v31, v41 offset:4
	s_wait_dscnt 0x0
	v_fmac_f32_e32 v24, v30, v31
	s_or_b32 exec_lo, exec_lo, s44
	s_and_saveexec_b32 s44, s14
	s_cbranch_execz .LBB105_72
.LBB105_1176:                           ;   in Loop: Header=BB105_3 Depth=1
	ds_load_b32 v30, v48 offset:528
	ds_load_b32 v31, v41 offset:8
	s_wait_dscnt 0x0
	v_fmac_f32_e32 v24, v30, v31
	s_or_b32 exec_lo, exec_lo, s44
	s_and_saveexec_b32 s44, s2
	s_cbranch_execnz .LBB105_73
	s_branch .LBB105_74
.LBB105_1177:                           ;   in Loop: Header=BB105_3 Depth=1
	ds_load_b32 v30, v58 offset:288
	ds_load_b32 v31, v52 offset:4
	s_wait_dscnt 0x0
	v_fmac_f32_e32 v24, v30, v31
	s_or_b32 exec_lo, exec_lo, s44
	s_and_saveexec_b32 s44, s16
	s_cbranch_execz .LBB105_114
.LBB105_1178:                           ;   in Loop: Header=BB105_3 Depth=1
	ds_load_b32 v30, v58 offset:544
	ds_load_b32 v31, v52 offset:8
	s_wait_dscnt 0x0
	v_fmac_f32_e32 v24, v30, v31
	s_or_b32 exec_lo, exec_lo, s44
	s_and_saveexec_b32 s44, s17
	s_cbranch_execz .LBB105_115
.LBB105_1179:                           ;   in Loop: Header=BB105_3 Depth=1
	ds_load_b32 v30, v58 offset:800
	ds_load_b32 v31, v52 offset:12
	s_wait_dscnt 0x0
	v_fmac_f32_e32 v24, v30, v31
	s_or_b32 exec_lo, exec_lo, s44
	s_and_saveexec_b32 s44, s18
	s_cbranch_execz .LBB105_116
.LBB105_1180:                           ;   in Loop: Header=BB105_3 Depth=1
	ds_load_b32 v30, v55 offset:1056
	ds_load_b32 v31, v52 offset:16
	s_wait_dscnt 0x0
	v_fmac_f32_e32 v24, v30, v31
	s_or_b32 exec_lo, exec_lo, s44
	s_and_saveexec_b32 s44, s19
	s_cbranch_execz .LBB105_117
.LBB105_1181:                           ;   in Loop: Header=BB105_3 Depth=1
	ds_load_b32 v30, v58 offset:1312
	ds_load_b32 v31, v52 offset:20
	s_wait_dscnt 0x0
	v_fmac_f32_e32 v24, v30, v31
	s_or_b32 exec_lo, exec_lo, s44
	s_and_saveexec_b32 s44, s4
	s_cbranch_execz .LBB105_118
.LBB105_1182:                           ;   in Loop: Header=BB105_3 Depth=1
	ds_load_b32 v30, v55 offset:1568
	ds_load_b32 v31, v52 offset:24
	s_wait_dscnt 0x0
	v_fmac_f32_e32 v24, v30, v31
	s_or_b32 exec_lo, exec_lo, s44
	s_and_saveexec_b32 s44, s14
	s_cbranch_execnz .LBB105_119
	s_branch .LBB105_120
.LBB105_1183:                           ;   in Loop: Header=BB105_3 Depth=1
	ds_load_b32 v30, v49 offset:2352
	ds_load_b32 v31, v41 offset:2084
	s_wait_dscnt 0x0
	v_fmac_f32_e32 v24, v30, v31
	s_or_b32 exec_lo, exec_lo, s44
	s_and_saveexec_b32 s44, s14
	s_cbranch_execz .LBB105_176
.LBB105_1184:                           ;   in Loop: Header=BB105_3 Depth=1
	ds_load_b32 v30, v48 offset:2608
	ds_load_b32 v31, v41 offset:2088
	s_wait_dscnt 0x0
	v_fmac_f32_e32 v24, v30, v31
	s_or_b32 exec_lo, exec_lo, s44
	s_and_saveexec_b32 s44, s2
	s_cbranch_execnz .LBB105_177
	s_branch .LBB105_178
.LBB105_1185:                           ;   in Loop: Header=BB105_3 Depth=1
	ds_load_b32 v30, v66 offset:2880
	ds_load_b32 v31, v57 offset:44
	s_wait_dscnt 0x0
	v_fmac_f32_e32 v24, v30, v31
	s_or_b32 exec_lo, exec_lo, s44
	s_and_saveexec_b32 s44, s5
	s_cbranch_execz .LBB105_238
.LBB105_1186:                           ;   in Loop: Header=BB105_3 Depth=1
	ds_load_b32 v30, v65 offset:3136
	ds_load_b32 v31, v57 offset:48
	s_wait_dscnt 0x0
	v_fmac_f32_e32 v24, v30, v31
	s_or_b32 exec_lo, exec_lo, s44
	s_and_saveexec_b32 s44, s16
	s_cbranch_execz .LBB105_239
.LBB105_1187:                           ;   in Loop: Header=BB105_3 Depth=1
	ds_load_b32 v30, v66 offset:3392
	ds_load_b32 v31, v57 offset:52
	s_wait_dscnt 0x0
	v_fmac_f32_e32 v24, v30, v31
	s_or_b32 exec_lo, exec_lo, s44
	s_and_saveexec_b32 s44, s18
	s_cbranch_execz .LBB105_240
.LBB105_1188:                           ;   in Loop: Header=BB105_3 Depth=1
	ds_load_b32 v30, v65 offset:3648
	ds_load_b32 v31, v57 offset:56
	s_wait_dscnt 0x0
	v_fmac_f32_e32 v24, v30, v31
	s_or_b32 exec_lo, exec_lo, s44
	s_and_saveexec_b32 s44, s4
	s_cbranch_execnz .LBB105_241
	s_branch .LBB105_242
.LBB105_1189:                           ;   in Loop: Header=BB105_3 Depth=1
	ds_load_b32 v30, v49 offset:4432
	ds_load_b32 v31, v41 offset:4164
	s_wait_dscnt 0x0
	v_fmac_f32_e32 v24, v30, v31
	s_or_b32 exec_lo, exec_lo, s44
	s_and_saveexec_b32 s44, s14
	s_cbranch_execz .LBB105_330
.LBB105_1190:                           ;   in Loop: Header=BB105_3 Depth=1
	ds_load_b32 v30, v48 offset:4688
	ds_load_b32 v31, v41 offset:4168
	s_wait_dscnt 0x0
	v_fmac_f32_e32 v24, v30, v31
	s_or_b32 exec_lo, exec_lo, s44
	s_and_saveexec_b32 s44, s2
	s_cbranch_execnz .LBB105_331
	s_branch .LBB105_332
.LBB105_1191:                           ;   in Loop: Header=BB105_3 Depth=1
	ds_load_b32 v30, v58 offset:4448
	ds_load_b32 v31, v52 offset:4164
	s_wait_dscnt 0x0
	v_fmac_f32_e32 v24, v30, v31
	s_or_b32 exec_lo, exec_lo, s44
	s_and_saveexec_b32 s44, s16
	s_cbranch_execz .LBB105_372
.LBB105_1192:                           ;   in Loop: Header=BB105_3 Depth=1
	ds_load_b32 v30, v58 offset:4704
	ds_load_b32 v31, v52 offset:4168
	s_wait_dscnt 0x0
	v_fmac_f32_e32 v24, v30, v31
	s_or_b32 exec_lo, exec_lo, s44
	s_and_saveexec_b32 s44, s17
	s_cbranch_execz .LBB105_373
.LBB105_1193:                           ;   in Loop: Header=BB105_3 Depth=1
	ds_load_b32 v30, v58 offset:4960
	ds_load_b32 v31, v52 offset:4172
	s_wait_dscnt 0x0
	v_fmac_f32_e32 v24, v30, v31
	s_or_b32 exec_lo, exec_lo, s44
	s_and_saveexec_b32 s44, s18
	s_cbranch_execz .LBB105_374
.LBB105_1194:                           ;   in Loop: Header=BB105_3 Depth=1
	ds_load_b32 v30, v55 offset:5216
	ds_load_b32 v31, v52 offset:4176
	s_wait_dscnt 0x0
	v_fmac_f32_e32 v24, v30, v31
	s_or_b32 exec_lo, exec_lo, s44
	s_and_saveexec_b32 s44, s19
	s_cbranch_execz .LBB105_375
.LBB105_1195:                           ;   in Loop: Header=BB105_3 Depth=1
	ds_load_b32 v30, v58 offset:5472
	ds_load_b32 v31, v52 offset:4180
	s_wait_dscnt 0x0
	v_fmac_f32_e32 v24, v30, v31
	s_or_b32 exec_lo, exec_lo, s44
	s_and_saveexec_b32 s44, s4
	s_cbranch_execz .LBB105_376
.LBB105_1196:                           ;   in Loop: Header=BB105_3 Depth=1
	ds_load_b32 v30, v55 offset:5728
	ds_load_b32 v31, v52 offset:4184
	s_wait_dscnt 0x0
	v_fmac_f32_e32 v24, v30, v31
	s_or_b32 exec_lo, exec_lo, s44
	s_and_saveexec_b32 s44, s14
	s_cbranch_execnz .LBB105_377
	s_branch .LBB105_378
.LBB105_1197:                           ;   in Loop: Header=BB105_3 Depth=1
	ds_load_b32 v30, v49 offset:6512
	ds_load_b32 v31, v41 offset:6244
	s_wait_dscnt 0x0
	v_fmac_f32_e32 v24, v30, v31
	s_or_b32 exec_lo, exec_lo, s44
	s_and_saveexec_b32 s44, s14
	s_cbranch_execz .LBB105_434
.LBB105_1198:                           ;   in Loop: Header=BB105_3 Depth=1
	ds_load_b32 v30, v48 offset:6768
	ds_load_b32 v31, v41 offset:6248
	s_wait_dscnt 0x0
	v_fmac_f32_e32 v24, v30, v31
	s_or_b32 exec_lo, exec_lo, s44
	s_and_saveexec_b32 s44, s2
	s_cbranch_execnz .LBB105_435
	s_branch .LBB105_436
.LBB105_1199:                           ;   in Loop: Header=BB105_3 Depth=1
	ds_load_b32 v31, v68 offset:7552
	ds_load_b32 v32, v30 offset:116
	s_wait_dscnt 0x0
	v_fmac_f32_e32 v24, v31, v32
	s_or_b32 exec_lo, exec_lo, s43
	s_and_saveexec_b32 s43, s5
	s_cbranch_execz .LBB105_532
.LBB105_1200:                           ;   in Loop: Header=BB105_3 Depth=1
	ds_load_b32 v31, v68 offset:7808
	ds_load_b32 v30, v30 offset:120
	s_wait_dscnt 0x0
	v_fmac_f32_e32 v24, v31, v30
	s_or_b32 exec_lo, exec_lo, s43
	s_and_saveexec_b32 s43, s18
	s_cbranch_execnz .LBB105_533
	s_branch .LBB105_534
.LBB105_1201:                           ;   in Loop: Header=BB105_3 Depth=1
	ds_load_b32 v30, v49 offset:8592
	ds_load_b32 v31, v41 offset:8324
	s_wait_dscnt 0x0
	v_fmac_f32_e32 v24, v30, v31
	s_or_b32 exec_lo, exec_lo, s44
	s_and_saveexec_b32 s44, s14
	s_cbranch_execz .LBB105_686
.LBB105_1202:                           ;   in Loop: Header=BB105_3 Depth=1
	ds_load_b32 v30, v48 offset:8848
	ds_load_b32 v31, v41 offset:8328
	s_wait_dscnt 0x0
	v_fmac_f32_e32 v24, v30, v31
	s_or_b32 exec_lo, exec_lo, s44
	s_and_saveexec_b32 s44, s2
	s_cbranch_execnz .LBB105_687
	s_branch .LBB105_688
.LBB105_1203:                           ;   in Loop: Header=BB105_3 Depth=1
	ds_load_b32 v30, v58 offset:8608
	ds_load_b32 v31, v52 offset:8324
	s_wait_dscnt 0x0
	v_fmac_f32_e32 v24, v30, v31
	s_or_b32 exec_lo, exec_lo, s44
	s_and_saveexec_b32 s44, s16
	s_cbranch_execz .LBB105_728
.LBB105_1204:                           ;   in Loop: Header=BB105_3 Depth=1
	ds_load_b32 v30, v58 offset:8864
	ds_load_b32 v31, v52 offset:8328
	s_wait_dscnt 0x0
	v_fmac_f32_e32 v24, v30, v31
	s_or_b32 exec_lo, exec_lo, s44
	s_and_saveexec_b32 s44, s17
	s_cbranch_execz .LBB105_729
.LBB105_1205:                           ;   in Loop: Header=BB105_3 Depth=1
	ds_load_b32 v30, v58 offset:9120
	ds_load_b32 v31, v52 offset:8332
	s_wait_dscnt 0x0
	v_fmac_f32_e32 v24, v30, v31
	s_or_b32 exec_lo, exec_lo, s44
	s_and_saveexec_b32 s44, s18
	s_cbranch_execz .LBB105_730
.LBB105_1206:                           ;   in Loop: Header=BB105_3 Depth=1
	ds_load_b32 v30, v55 offset:9376
	ds_load_b32 v31, v52 offset:8336
	s_wait_dscnt 0x0
	v_fmac_f32_e32 v24, v30, v31
	s_or_b32 exec_lo, exec_lo, s44
	s_and_saveexec_b32 s44, s19
	s_cbranch_execz .LBB105_731
.LBB105_1207:                           ;   in Loop: Header=BB105_3 Depth=1
	ds_load_b32 v30, v58 offset:9632
	ds_load_b32 v31, v52 offset:8340
	s_wait_dscnt 0x0
	v_fmac_f32_e32 v24, v30, v31
	s_or_b32 exec_lo, exec_lo, s44
	s_and_saveexec_b32 s44, s4
	s_cbranch_execz .LBB105_732
.LBB105_1208:                           ;   in Loop: Header=BB105_3 Depth=1
	ds_load_b32 v30, v55 offset:9888
	ds_load_b32 v31, v52 offset:8344
	s_wait_dscnt 0x0
	v_fmac_f32_e32 v24, v30, v31
	s_or_b32 exec_lo, exec_lo, s44
	s_and_saveexec_b32 s44, s14
	s_cbranch_execnz .LBB105_733
	s_branch .LBB105_734
.LBB105_1209:                           ;   in Loop: Header=BB105_3 Depth=1
	ds_load_b32 v30, v49 offset:10672
	ds_load_b32 v31, v41 offset:10404
	s_wait_dscnt 0x0
	v_fmac_f32_e32 v24, v30, v31
	s_or_b32 exec_lo, exec_lo, s44
	s_and_saveexec_b32 s44, s14
	s_cbranch_execz .LBB105_790
.LBB105_1210:                           ;   in Loop: Header=BB105_3 Depth=1
	ds_load_b32 v30, v48 offset:10928
	ds_load_b32 v31, v41 offset:10408
	s_wait_dscnt 0x0
	v_fmac_f32_e32 v24, v30, v31
	s_or_b32 exec_lo, exec_lo, s44
	s_and_saveexec_b32 s44, s2
	s_cbranch_execnz .LBB105_791
	s_branch .LBB105_792
.LBB105_1211:                           ;   in Loop: Header=BB105_3 Depth=1
	ds_load_b32 v30, v66 offset:11200
	ds_load_b32 v31, v57 offset:8364
	s_wait_dscnt 0x0
	v_fmac_f32_e32 v24, v30, v31
	s_or_b32 exec_lo, exec_lo, s44
	s_and_saveexec_b32 s44, s5
	s_cbranch_execz .LBB105_852
.LBB105_1212:                           ;   in Loop: Header=BB105_3 Depth=1
	ds_load_b32 v30, v65 offset:11456
	ds_load_b32 v31, v57 offset:8368
	s_wait_dscnt 0x0
	v_fmac_f32_e32 v24, v30, v31
	s_or_b32 exec_lo, exec_lo, s44
	s_and_saveexec_b32 s44, s16
	s_cbranch_execz .LBB105_853
.LBB105_1213:                           ;   in Loop: Header=BB105_3 Depth=1
	ds_load_b32 v30, v66 offset:11712
	ds_load_b32 v31, v57 offset:8372
	s_wait_dscnt 0x0
	v_fmac_f32_e32 v24, v30, v31
	s_or_b32 exec_lo, exec_lo, s44
	s_and_saveexec_b32 s44, s18
	s_cbranch_execz .LBB105_854
.LBB105_1214:                           ;   in Loop: Header=BB105_3 Depth=1
	ds_load_b32 v30, v65 offset:11968
	ds_load_b32 v31, v57 offset:8376
	s_wait_dscnt 0x0
	v_fmac_f32_e32 v24, v30, v31
	s_or_b32 exec_lo, exec_lo, s44
	s_and_saveexec_b32 s44, s4
	s_cbranch_execnz .LBB105_855
	s_branch .LBB105_856
.LBB105_1215:                           ;   in Loop: Header=BB105_3 Depth=1
	ds_load_b32 v30, v49 offset:12752
	ds_load_b32 v31, v41 offset:12484
	s_wait_dscnt 0x0
	v_fmac_f32_e32 v24, v30, v31
	s_or_b32 exec_lo, exec_lo, s44
	s_and_saveexec_b32 s44, s14
	s_cbranch_execz .LBB105_944
.LBB105_1216:                           ;   in Loop: Header=BB105_3 Depth=1
	ds_load_b32 v30, v48 offset:13008
	ds_load_b32 v31, v41 offset:12488
	s_wait_dscnt 0x0
	v_fmac_f32_e32 v24, v30, v31
	s_or_b32 exec_lo, exec_lo, s44
	s_and_saveexec_b32 s44, s2
	s_cbranch_execnz .LBB105_945
	s_branch .LBB105_946
.LBB105_1217:                           ;   in Loop: Header=BB105_3 Depth=1
	ds_load_b32 v30, v58 offset:12768
	ds_load_b32 v31, v52 offset:12484
	s_wait_dscnt 0x0
	v_fmac_f32_e32 v24, v30, v31
	s_or_b32 exec_lo, exec_lo, s44
	s_and_saveexec_b32 s44, s16
	s_cbranch_execz .LBB105_986
.LBB105_1218:                           ;   in Loop: Header=BB105_3 Depth=1
	ds_load_b32 v30, v58 offset:13024
	ds_load_b32 v31, v52 offset:12488
	s_wait_dscnt 0x0
	v_fmac_f32_e32 v24, v30, v31
	s_or_b32 exec_lo, exec_lo, s44
	s_and_saveexec_b32 s44, s17
	s_cbranch_execz .LBB105_987
.LBB105_1219:                           ;   in Loop: Header=BB105_3 Depth=1
	ds_load_b32 v30, v58 offset:13280
	ds_load_b32 v31, v52 offset:12492
	s_wait_dscnt 0x0
	v_fmac_f32_e32 v24, v30, v31
	s_or_b32 exec_lo, exec_lo, s44
	s_and_saveexec_b32 s44, s18
	s_cbranch_execz .LBB105_988
.LBB105_1220:                           ;   in Loop: Header=BB105_3 Depth=1
	ds_load_b32 v30, v55 offset:13536
	ds_load_b32 v31, v52 offset:12496
	s_wait_dscnt 0x0
	v_fmac_f32_e32 v24, v30, v31
	s_or_b32 exec_lo, exec_lo, s44
	s_and_saveexec_b32 s44, s19
	s_cbranch_execz .LBB105_989
.LBB105_1221:                           ;   in Loop: Header=BB105_3 Depth=1
	ds_load_b32 v30, v58 offset:13792
	ds_load_b32 v31, v52 offset:12500
	s_wait_dscnt 0x0
	v_fmac_f32_e32 v24, v30, v31
	s_or_b32 exec_lo, exec_lo, s44
	s_and_saveexec_b32 s44, s4
	s_cbranch_execz .LBB105_990
.LBB105_1222:                           ;   in Loop: Header=BB105_3 Depth=1
	ds_load_b32 v30, v55 offset:14048
	ds_load_b32 v31, v52 offset:12504
	s_wait_dscnt 0x0
	v_fmac_f32_e32 v24, v30, v31
	s_or_b32 exec_lo, exec_lo, s44
	s_and_saveexec_b32 s44, s14
	s_cbranch_execnz .LBB105_991
	s_branch .LBB105_992
.LBB105_1223:                           ;   in Loop: Header=BB105_3 Depth=1
	ds_load_b32 v30, v49 offset:14832
	ds_load_b32 v31, v41 offset:14564
	s_wait_dscnt 0x0
	v_fmac_f32_e32 v24, v30, v31
	s_or_b32 exec_lo, exec_lo, s44
	s_and_saveexec_b32 s44, s14
	s_cbranch_execz .LBB105_1048
.LBB105_1224:                           ;   in Loop: Header=BB105_3 Depth=1
	ds_load_b32 v30, v48 offset:15088
	ds_load_b32 v31, v41 offset:14568
	s_wait_dscnt 0x0
	v_fmac_f32_e32 v24, v30, v31
	s_or_b32 exec_lo, exec_lo, s44
	s_and_saveexec_b32 s44, s2
	s_cbranch_execnz .LBB105_1049
	s_branch .LBB105_1050
.LBB105_1225:
	s_endpgm
	.section	.rodata,"a",@progbits
	.p2align	6, 0x0
	.amdhsa_kernel _ZL19rocblas_trsv_deviceILi64ELi16ELb1ELb1ELb1ELb1EfPKfPKS1_PKPfEviT7_lllT6_T8_lllPii
		.amdhsa_group_segment_fixed_size 20740
		.amdhsa_private_segment_fixed_size 0
		.amdhsa_kernarg_size 352
		.amdhsa_user_sgpr_count 2
		.amdhsa_user_sgpr_dispatch_ptr 0
		.amdhsa_user_sgpr_queue_ptr 0
		.amdhsa_user_sgpr_kernarg_segment_ptr 1
		.amdhsa_user_sgpr_dispatch_id 0
		.amdhsa_user_sgpr_kernarg_preload_length 0
		.amdhsa_user_sgpr_kernarg_preload_offset 0
		.amdhsa_user_sgpr_private_segment_size 0
		.amdhsa_wavefront_size32 1
		.amdhsa_uses_dynamic_stack 0
		.amdhsa_enable_private_segment 0
		.amdhsa_system_sgpr_workgroup_id_x 1
		.amdhsa_system_sgpr_workgroup_id_y 0
		.amdhsa_system_sgpr_workgroup_id_z 1
		.amdhsa_system_sgpr_workgroup_info 0
		.amdhsa_system_vgpr_workitem_id 1
		.amdhsa_next_free_vgpr 96
		.amdhsa_next_free_sgpr 105
		.amdhsa_named_barrier_count 0
		.amdhsa_reserve_vcc 1
		.amdhsa_float_round_mode_32 0
		.amdhsa_float_round_mode_16_64 0
		.amdhsa_float_denorm_mode_32 3
		.amdhsa_float_denorm_mode_16_64 3
		.amdhsa_fp16_overflow 0
		.amdhsa_memory_ordered 1
		.amdhsa_forward_progress 1
		.amdhsa_inst_pref_size 255
		.amdhsa_round_robin_scheduling 0
		.amdhsa_exception_fp_ieee_invalid_op 0
		.amdhsa_exception_fp_denorm_src 0
		.amdhsa_exception_fp_ieee_div_zero 0
		.amdhsa_exception_fp_ieee_overflow 0
		.amdhsa_exception_fp_ieee_underflow 0
		.amdhsa_exception_fp_ieee_inexact 0
		.amdhsa_exception_int_div_zero 0
	.end_amdhsa_kernel
	.section	.text._ZL19rocblas_trsv_deviceILi64ELi16ELb1ELb1ELb1ELb1EfPKfPKS1_PKPfEviT7_lllT6_T8_lllPii,"axG",@progbits,_ZL19rocblas_trsv_deviceILi64ELi16ELb1ELb1ELb1ELb1EfPKfPKS1_PKPfEviT7_lllT6_T8_lllPii,comdat
.Lfunc_end105:
	.size	_ZL19rocblas_trsv_deviceILi64ELi16ELb1ELb1ELb1ELb1EfPKfPKS1_PKPfEviT7_lllT6_T8_lllPii, .Lfunc_end105-_ZL19rocblas_trsv_deviceILi64ELi16ELb1ELb1ELb1ELb1EfPKfPKS1_PKPfEviT7_lllT6_T8_lllPii
                                        ; -- End function
	.set _ZL19rocblas_trsv_deviceILi64ELi16ELb1ELb1ELb1ELb1EfPKfPKS1_PKPfEviT7_lllT6_T8_lllPii.num_vgpr, 96
	.set _ZL19rocblas_trsv_deviceILi64ELi16ELb1ELb1ELb1ELb1EfPKfPKS1_PKPfEviT7_lllT6_T8_lllPii.num_agpr, 0
	.set _ZL19rocblas_trsv_deviceILi64ELi16ELb1ELb1ELb1ELb1EfPKfPKS1_PKPfEviT7_lllT6_T8_lllPii.numbered_sgpr, 105
	.set _ZL19rocblas_trsv_deviceILi64ELi16ELb1ELb1ELb1ELb1EfPKfPKS1_PKPfEviT7_lllT6_T8_lllPii.num_named_barrier, 0
	.set _ZL19rocblas_trsv_deviceILi64ELi16ELb1ELb1ELb1ELb1EfPKfPKS1_PKPfEviT7_lllT6_T8_lllPii.private_seg_size, 0
	.set _ZL19rocblas_trsv_deviceILi64ELi16ELb1ELb1ELb1ELb1EfPKfPKS1_PKPfEviT7_lllT6_T8_lllPii.uses_vcc, 1
	.set _ZL19rocblas_trsv_deviceILi64ELi16ELb1ELb1ELb1ELb1EfPKfPKS1_PKPfEviT7_lllT6_T8_lllPii.uses_flat_scratch, 0
	.set _ZL19rocblas_trsv_deviceILi64ELi16ELb1ELb1ELb1ELb1EfPKfPKS1_PKPfEviT7_lllT6_T8_lllPii.has_dyn_sized_stack, 0
	.set _ZL19rocblas_trsv_deviceILi64ELi16ELb1ELb1ELb1ELb1EfPKfPKS1_PKPfEviT7_lllT6_T8_lllPii.has_recursion, 0
	.set _ZL19rocblas_trsv_deviceILi64ELi16ELb1ELb1ELb1ELb1EfPKfPKS1_PKPfEviT7_lllT6_T8_lllPii.has_indirect_call, 0
	.section	.AMDGPU.csdata,"",@progbits
; Kernel info:
; codeLenInByte = 34656
; TotalNumSgprs: 107
; NumVgprs: 96
; ScratchSize: 0
; MemoryBound: 0
; FloatMode: 240
; IeeeMode: 1
; LDSByteSize: 20740 bytes/workgroup (compile time only)
; SGPRBlocks: 0
; VGPRBlocks: 5
; NumSGPRsForWavesPerEU: 107
; NumVGPRsForWavesPerEU: 96
; NamedBarCnt: 0
; Occupancy: 10
; WaveLimiterHint : 1
; COMPUTE_PGM_RSRC2:SCRATCH_EN: 0
; COMPUTE_PGM_RSRC2:USER_SGPR: 2
; COMPUTE_PGM_RSRC2:TRAP_HANDLER: 0
; COMPUTE_PGM_RSRC2:TGID_X_EN: 1
; COMPUTE_PGM_RSRC2:TGID_Y_EN: 0
; COMPUTE_PGM_RSRC2:TGID_Z_EN: 1
; COMPUTE_PGM_RSRC2:TIDIG_COMP_CNT: 1
	.section	.text._ZL19rocblas_trsv_deviceILi64ELi16ELb1ELb0ELb0ELb0EfPKfPKS1_PKPfEviT7_lllT6_T8_lllPii,"axG",@progbits,_ZL19rocblas_trsv_deviceILi64ELi16ELb1ELb0ELb0ELb0EfPKfPKS1_PKPfEviT7_lllT6_T8_lllPii,comdat
	.globl	_ZL19rocblas_trsv_deviceILi64ELi16ELb1ELb0ELb0ELb0EfPKfPKS1_PKPfEviT7_lllT6_T8_lllPii ; -- Begin function _ZL19rocblas_trsv_deviceILi64ELi16ELb1ELb0ELb0ELb0EfPKfPKS1_PKPfEviT7_lllT6_T8_lllPii
	.p2align	8
	.type	_ZL19rocblas_trsv_deviceILi64ELi16ELb1ELb0ELb0ELb0EfPKfPKS1_PKPfEviT7_lllT6_T8_lllPii,@function
_ZL19rocblas_trsv_deviceILi64ELi16ELb1ELb0ELb0ELb0EfPKfPKS1_PKPfEviT7_lllT6_T8_lllPii: ; @_ZL19rocblas_trsv_deviceILi64ELi16ELb1ELb0ELb0ELb0EfPKfPKS1_PKPfEviT7_lllT6_T8_lllPii
; %bb.0:
	s_load_b32 s6, s[0:1], 0x58
	s_bfe_u32 s2, ttmp6, 0x40014
	s_lshr_b32 s3, ttmp7, 16
	s_add_co_i32 s2, s2, 1
	s_bfe_u32 s5, ttmp6, 0x40008
	s_mul_i32 s4, s3, s2
	s_getreg_b32 s2, hwreg(HW_REG_IB_STS2, 6, 4)
	s_add_co_i32 s5, s5, s4
	s_cmp_eq_u32 s2, 0
	s_mov_b32 s71, 0
	s_cselect_b32 s70, s3, s5
                                        ; implicit-def: $vgpr78 : SGPR spill to VGPR lane
	s_wait_kmcnt 0x0
	s_cmp_ge_u32 s70, s6
	v_writelane_b32 v78, s6, 0
	s_cbranch_scc1 .LBB106_1195
; %bb.1:
	s_clause 0x2
	s_load_b32 s3, s[0:1], 0x6c
	s_load_b32 s97, s[0:1], 0x0
	s_load_b64 s[84:85], s[0:1], 0x18
	s_bfe_u32 s5, ttmp6, 0x4000c
	s_and_b32 s4, ttmp6, 15
	s_add_co_i32 s5, s5, 1
	v_bfe_u32 v30, v0, 10, 10
	s_mul_i32 s5, ttmp9, s5
	v_mov_b32_e32 v1, 0
	s_add_co_i32 s4, s4, s5
	s_cmp_eq_u32 s2, 0
	v_and_b32_e32 v2, 0x3ff, v0
	s_cselect_b32 s98, ttmp9, s4
	v_dual_mov_b32 v5, v1 :: v_dual_lshlrev_b32 v10, 6, v30
	v_mov_b32_e32 v3, v1
	v_sub_co_u32 v31, s7, s98, 1
                                        ; implicit-def: $vgpr77 : SGPR spill to VGPR lane
                                        ; implicit-def: $vgpr76 : SGPR spill to VGPR lane
	s_clause 0x1
	s_load_b256 s[72:79], s[0:1], 0x28
	s_load_b64 s[86:87], s[0:1], 0x50
	s_wait_kmcnt 0x0
	s_and_b32 s4, s3, 0xffff
	s_add_co_i32 s2, s97, -1
	s_ashr_i32 s3, s97, 31
	s_ashr_i32 s5, s2, 31
	s_lshr_b32 s3, s3, 26
	s_lshr_b32 s5, s5, 26
	s_add_co_i32 s3, s97, s3
	s_add_co_i32 s2, s2, s5
	s_and_not1_b32 s3, s3, 63
	s_ashr_i32 s2, s2, 6
	s_sub_co_i32 s15, s97, s3
	s_cmp_eq_u32 s2, s98
	s_add_nc_u64 s[2:3], s[84:85], 1
	s_cselect_b32 s5, -1, 0
	s_cmp_lg_u32 s15, 0
	s_load_b128 s[80:83], s[0:1], 0x8
	s_cselect_b32 s6, -1, 0
	s_lshl_b32 s12, s98, 6
	s_delay_alu instid0(SALU_CYCLE_1)
	v_dual_add_nc_u32 v6, s12, v2 :: v_dual_bitop2_b32 v11, v10, v2 bitop3:0x40
	v_add_nc_u32_e32 v18, s12, v30
	v_mad_nc_u64_u32 v[22:23], s2, s12, v[2:3]
	v_lshrrev_b32_e32 v3, 10, v0
	s_and_b32 s16, s6, s5
	v_ashrrev_i32_e32 v7, 31, v6
	v_subrev_nc_u32_e32 v16, 64, v18
	v_xor_b32_e32 v4, v10, v2
	s_ashr_i32 s13, s12, 31
	s_xor_b32 s100, s16, -1
	v_bitop3_b32 v24, v0, v3, 0x3ff bitop3:0xa8
	v_ashrrev_i32_e32 v17, 31, v16
	v_lshrrev_b16 v12, 1, v4
	v_mad_u32_u24 v4, v30, s4, v2
	s_xor_b32 s4, s7, -1
	s_mul_i32 s3, s3, s12
	s_mul_i32 s2, s2, s13
	v_add_nc_u16 v11, v11, v12
	v_dual_add_nc_u32 v25, v10, v2 :: v_dual_bitop2_b32 v12, 1, v0 bitop3:0x40
	s_cmp_gt_i32 s98, 4
	v_add3_u32 v23, s2, s3, v23
	s_delay_alu instid0(VALU_DEP_3) | instskip(NEXT) | instid1(VALU_DEP_3)
	v_and_b32_e32 v10, 0xffff, v11
	v_lshlrev_b32_e32 v11, 2, v12
	s_cselect_b32 s2, -1, 0
	v_cmp_eq_u32_e32 vcc_lo, 1, v12
	s_and_b32 s101, s2, s100
	v_lshl_add_u32 v3, v10, 2, 0x4000
	v_lshl_or_b32 v32, v10, 8, v11
	v_mul_u32_u24_e32 v33, 0x104, v10
	v_dual_lshrrev_b32 v10, 2, v25 :: v_dual_lshlrev_b32 v34, 2, v2
	v_cmp_gt_u32_e64 s2, 4, v25
	v_and_b32_e32 v11, 0x1fffc, v25
	s_xor_b32 s3, vcc_lo, -1
	v_mul_u32_u24_e32 v35, 0x104, v10
	v_and_b32_e32 v12, 3, v0
	v_writelane_b32 v78, s4, 1
	s_and_b32 s102, s3, s2
	s_and_b32 s103, vcc_lo, s2
	v_cmp_gt_u32_e64 s3, 16, v25
	v_add_nc_u32_e32 v36, 0x4000, v11
	v_dual_sub_nc_u32 v11, v35, v11 :: v_dual_lshlrev_b32 v37, 2, v12
	v_cmp_eq_u32_e32 vcc_lo, 0, v12
	v_cmp_ne_u32_e64 s4, 0, v12
	v_cmp_eq_u32_e64 s5, 1, v12
	v_add_nc_u64_e32 v[14:15], s[12:13], v[4:5]
	v_lshl_or_b32 v38, v10, 8, v37
	s_and_b32 s104, vcc_lo, s3
	s_and_b32 vcc_hi, s4, s3
	v_lshrrev_b32_e32 v10, 3, v25
	v_dual_add_nc_u32 v39, v11, v37 :: v_dual_bitop2_b32 v11, 7, v0 bitop3:0x40
	v_cmp_lt_u32_e32 vcc_lo, 1, v12
	v_cmp_eq_u32_e64 s4, 2, v12
	s_and_b32 s36, s5, s3
	v_cmp_eq_u32_e64 s5, 3, v12
	v_dual_lshlrev_b32 v12, 2, v10 :: v_dual_lshlrev_b32 v41, 2, v11
	s_and_b32 s37, vcc_lo, s3
	s_and_b32 s38, s4, s3
	v_cmp_gt_u32_e64 s4, 64, v25
	v_cmp_eq_u32_e32 vcc_lo, 0, v11
	v_mul_u32_u24_e32 v40, 0x104, v10
	s_and_b32 s39, s5, s3
	v_cmp_ne_u32_e64 s5, 0, v11
	v_cmp_lt_u32_e64 s6, 1, v11
	s_and_b32 s40, vcc_lo, s4
	v_cmp_eq_u32_e32 vcc_lo, 1, v11
	v_sub_nc_u32_e32 v13, v40, v12
	v_cmp_eq_u32_e64 s7, 2, v11
	v_cmp_lt_u32_e64 s8, 2, v11
	s_and_b32 s41, s5, s4
	s_and_b32 s42, vcc_lo, s4
	s_and_b32 s43, s6, s4
	v_cmp_eq_u32_e32 vcc_lo, 3, v11
	v_cmp_lt_u32_e64 s5, 3, v11
	v_cmp_eq_u32_e64 s6, 4, v11
	v_lshl_or_b32 v43, v10, 8, v41
	s_and_b32 s44, s7, s4
	s_and_b32 s45, s8, s4
	v_cmp_lt_u32_e64 s7, 4, v11
	v_cmp_eq_u32_e64 s8, 5, v11
	s_and_b32 s46, vcc_lo, s4
	s_and_b32 s47, s5, s4
	s_and_b32 s48, s6, s4
	v_lshrrev_b32_e32 v10, 4, v25
	v_add_nc_u32_e32 v44, v13, v41
	v_cmp_lt_u32_e32 vcc_lo, 5, v11
	v_cmp_eq_u32_e64 s5, 6, v11
	v_cmp_eq_u32_e64 s6, 7, v11
	v_and_b32_e32 v11, 15, v0
	s_and_b32 s49, s7, s4
	s_and_b32 s51, vcc_lo, s4
	s_and_b32 s52, s5, s4
	v_cmp_gt_u32_e64 s5, 0x100, v25
	v_cmp_eq_u32_e32 vcc_lo, 0, v11
	s_and_b32 s53, s6, s4
	v_cmp_ne_u32_e64 s6, 0, v11
	s_and_b32 s50, s8, s4
	v_cmp_eq_u32_e64 s8, 2, v11
	s_and_b32 s7, vcc_lo, s5
	v_cmp_eq_u32_e32 vcc_lo, 1, v11
	v_writelane_b32 v78, s7, 2
	s_and_b32 s6, s6, s5
	v_cmp_lt_u32_e64 s7, 1, v11
	s_and_b32 s58, s8, s5
	s_and_b32 s9, vcc_lo, s5
	v_writelane_b32 v78, s6, 3
	v_cmp_lt_u32_e64 s6, 2, v11
	v_cmp_eq_u32_e32 vcc_lo, 3, v11
	s_and_b32 s57, s7, s5
	v_cmp_eq_u32_e64 s7, 4, v11
	v_cmp_lt_u32_e64 s8, 4, v11
	s_and_b32 s65, s6, s5
	v_cmp_lt_u32_e64 s6, 3, v11
	s_and_b32 s66, vcc_lo, s5
	v_cmp_eq_u32_e32 vcc_lo, 5, v11
	s_and_b32 s68, s7, s5
	v_cmp_lt_u32_e64 s7, 6, v11
	s_and_b32 s67, s6, s5
	v_cmp_lt_u32_e64 s6, 5, v11
	s_and_b32 s14, vcc_lo, s5
	v_cmp_eq_u32_e32 vcc_lo, 6, v11
	v_add_nc_u32_e32 v42, 0x4000, v12
	v_dual_lshlrev_b32 v12, 2, v10 :: v_dual_lshlrev_b32 v46, 2, v11
	s_and_b32 s24, s6, s5
	v_cmp_lt_u32_e64 s6, 7, v11
	s_and_b32 s26, vcc_lo, s5
	v_cmp_eq_u32_e32 vcc_lo, 8, v11
	v_mul_u32_u24_e32 v45, 0x104, v10
	s_and_b32 s11, s8, s5
	s_and_b32 s33, s6, s5
	v_cmp_lt_u32_e64 s6, 8, v11
	s_and_b32 s35, vcc_lo, s5
	v_cmp_eq_u32_e32 vcc_lo, 10, v11
	v_cmp_eq_u32_e64 s8, 7, v11
	s_and_b32 s28, s7, s5
	v_cmp_eq_u32_e64 s7, 9, v11
	s_and_b32 s61, s6, s5
	v_cmp_lt_u32_e64 s6, 10, v11
	s_and_b32 s64, vcc_lo, s5
	v_cmp_eq_u32_e32 vcc_lo, 11, v11
	v_sub_nc_u32_e32 v13, v45, v12
	s_and_b32 s30, s8, s5
	v_cmp_lt_u32_e64 s8, 9, v11
	s_and_b32 s62, s7, s5
	v_cmp_lt_u32_e64 s7, 11, v11
	;; [unrolled: 2-line block ×3, first 2 shown]
	s_and_b32 s27, vcc_lo, s5
	v_cmp_eq_u32_e32 vcc_lo, 13, v11
	v_lshl_or_b32 v48, v10, 8, v46
	s_and_b32 s63, s8, s5
	v_cmp_eq_u32_e64 s8, 12, v11
	s_and_b32 s29, s7, s5
	s_and_b32 s34, s6, s5
	v_cmp_lt_u32_e64 s6, 13, v11
	v_dual_lshrrev_b32 v10, 5, v25 :: v_dual_add_nc_u32 v49, v13, v46
	v_cmp_eq_u32_e64 s7, 14, v11
	s_and_b32 s96, vcc_lo, s5
	v_cmp_eq_u32_e32 vcc_lo, 15, v11
	v_and_b32_e32 v11, 31, v0
	s_and_b32 s99, s6, s5
	v_cmp_gt_u32_e64 s6, 0x400, v25
	v_writelane_b32 v78, s9, 4
	s_and_b32 s55, vcc_lo, s5
	v_cmp_eq_u32_e32 vcc_lo, 0, v11
	s_and_b32 s54, s7, s5
	v_cmp_ne_u32_e64 s7, 0, v11
	s_and_b32 s31, s8, s5
	v_cmp_eq_u32_e64 s8, 1, v11
	s_and_b32 s10, vcc_lo, s6
	v_cmp_lt_u32_e64 s9, 1, v11
	v_writelane_b32 v78, s10, 5
	s_and_b32 s7, s7, s6
	v_cmp_eq_u32_e32 vcc_lo, 2, v11
	v_cmp_eq_u32_e64 s10, 4, v11
	v_dual_lshlrev_b32 v53, 2, v11 :: v_dual_add_nc_u32 v0, s12, v4
	v_writelane_b32 v78, s7, 6
	s_and_b32 s7, s8, s6
	s_and_b32 s17, vcc_lo, s6
	v_cmp_eq_u32_e64 s8, 3, v11
	v_cmp_lt_u32_e32 vcc_lo, 4, v11
	v_writelane_b32 v78, s7, 7
	s_and_b32 s7, s9, s6
	v_cmp_lt_u32_e64 s9, 3, v11
	s_wait_xcnt 0x0
	v_cmp_gt_i32_e64 s0, s15, v2
	v_cmp_gt_i32_e64 s1, s97, v16
	v_writelane_b32 v78, s7, 8
	v_cmp_lt_u32_e64 s7, 2, v11
	v_add_nc_u32_e32 v47, 0x4000, v12
	v_mul_u64_e32 v[12:13], s[78:79], v[0:1]
	v_subrev_nc_u32_e32 v0, 48, v18
	v_writelane_b32 v78, s17, 9
	s_and_b32 s7, s7, s6
	s_and_b32 s17, vcc_lo, s6
	v_cmp_eq_u32_e32 vcc_lo, 7, v11
	v_subrev_nc_u32_e32 v20, 32, v18
	v_writelane_b32 v78, s7, 10
	s_and_b32 s7, s8, s6
	v_cmp_lt_u32_e64 s8, 5, v11
	v_dual_add_nc_u32 v26, 16, v30 :: v_dual_add_nc_u32 v27, 32, v30
	v_writelane_b32 v78, s7, 11
	s_and_b32 s7, s9, s6
	v_cmp_eq_u32_e64 s9, 6, v11
	v_add_nc_u32_e32 v28, 48, v30
                                        ; implicit-def: $vgpr75 : SGPR spill to VGPR lane
	v_mul_u64_e32 v[8:9], s[84:85], v[16:17]
	v_writelane_b32 v78, s7, 12
	s_and_b32 s7, s10, s6
	v_cmp_lt_u32_e64 s10, 6, v11
	v_dual_lshlrev_b32 v50, 2, v10 :: v_dual_lshlrev_b32 v52, 8, v10
	v_writelane_b32 v78, s7, 13
	v_cmp_eq_u32_e64 s7, 5, v11
	v_mul_u64_e32 v[14:15], s[78:79], v[14:15]
	v_mad_nc_u64_u32 v[16:17], s84, v30, v[22:23]
	v_or_b32_e32 v29, v27, v2
	v_writelane_b32 v78, s17, 14
	s_and_b32 s7, s7, s6
	s_and_b32 s17, vcc_lo, s6
	v_cmp_lt_u32_e32 vcc_lo, 9, v11
	v_lshl_add_u32 v5, v30, 2, 0x5000
	v_writelane_b32 v78, s7, 15
	s_and_b32 s7, s8, s6
	v_cmp_eq_u32_e64 s8, 8, v11
	s_and_b32 s12, vcc_lo, s6
	v_cmp_eq_u32_e32 vcc_lo, 12, v11
	v_writelane_b32 v78, s7, 16
	s_and_b32 s7, s9, s6
	v_cmp_lt_u32_e64 s9, 8, v11
	v_mad_u32 v17, s85, v30, v17
	v_or_b32_e32 v68, v28, v2
	v_writelane_b32 v78, s7, 17
	s_and_b32 s7, s10, s6
	v_cmp_eq_u32_e64 s10, 9, v11
	v_add_nc_u32_e32 v51, 0x4000, v50
	v_dual_add_nc_u32 v59, v5, v34 :: v_dual_bitop2_b32 v54, v52, v53 bitop3:0x54
	v_writelane_b32 v78, s7, 18
	v_cmp_lt_u32_e64 s7, 7, v11
	v_lshl_add_u32 v55, v4, 2, 0x5000
	v_lshl_add_u32 v56, v25, 2, 0x4000
	v_add_nc_u32_e32 v57, 0x4000, v34
	v_writelane_b32 v78, s17, 19
	s_and_b32 s7, s7, s6
	v_lshl_add_u32 v58, v30, 8, v34
	v_lshl_add_u32 v60, v2, 8, v34
	;; [unrolled: 1-line block ×3, first 2 shown]
	v_writelane_b32 v78, s7, 20
	s_and_b32 s7, s8, s6
	v_cmp_lt_u32_e64 s8, 10, v11
	v_lshl_add_u32 v62, v27, 8, v34
	v_lshl_add_u32 v63, v28, 8, v34
	v_writelane_b32 v78, s7, 21
	s_and_b32 s7, s9, s6
	v_cmp_eq_u32_e64 s9, 11, v11
	s_and_b32 s8, s8, s6
	v_cmp_gt_u32_e64 s17, 12, v25
	v_writelane_b32 v78, s7, 22
	s_and_b32 s7, s10, s6
	v_cmp_lt_u32_e64 s10, 11, v11
	s_and_b32 s9, s9, s6
	v_cmp_gt_u32_e64 s18, 8, v25
	v_writelane_b32 v78, s7, 23
	v_cmp_eq_u32_e64 s7, 10, v11
	v_cmp_gt_u32_e64 s19, 56, v25
	v_cmp_gt_u32_e64 s20, 48, v25
	v_cmp_gt_u32_e64 s21, 40, v25
	v_writelane_b32 v78, s12, 24
	s_and_b32 s7, s7, s6
	v_cmp_gt_u32_e64 s22, 32, v25
	v_cmp_gt_u32_e64 s23, 24, v25
	v_cmp_eq_u32_e64 s59, 0, v4
	v_writelane_b32 v78, s7, 25
	v_cmp_lt_u32_e64 s7, 12, v11
	v_cmp_gt_u32_e64 s60, 64, v4
	s_mul_u64 s[92:93], s[84:85], 0xc0
                                        ; implicit-def: $vgpr74 : SGPR spill to VGPR lane
                                        ; implicit-def: $vgpr64
                                        ; implicit-def: $vgpr65
                                        ; implicit-def: $vgpr66
                                        ; implicit-def: $vgpr67
	v_writelane_b32 v78, s8, 26
	v_cmp_eq_u32_e64 s8, 13, v11
	s_and_b32 s7, s7, s6
	v_writelane_b32 v78, s9, 27
	s_and_b32 s9, s10, s6
	v_cmp_le_i32_e64 s10, s15, v28
	v_writelane_b32 v78, s9, 28
	s_and_b32 s9, vcc_lo, s6
	v_cmp_lt_u32_e32 vcc_lo, 13, v11
	v_writelane_b32 v78, s9, 29
	v_cmp_le_i32_e64 s9, s15, v27
	v_writelane_b32 v78, s7, 30
	s_and_b32 s7, s8, s6
	s_delay_alu instid0(SALU_CYCLE_1)
	v_writelane_b32 v78, s7, 31
	s_and_b32 s7, vcc_lo, s6
	v_cmp_eq_u32_e32 vcc_lo, 14, v11
	v_writelane_b32 v77, s7, 0
	s_and_b32 s7, vcc_lo, s6
	v_cmp_lt_u32_e32 vcc_lo, 14, v11
	v_writelane_b32 v77, s7, 1
	s_and_b32 s7, vcc_lo, s6
	v_cmp_eq_u32_e32 vcc_lo, 15, v11
	v_writelane_b32 v77, s7, 2
	s_and_b32 s7, vcc_lo, s6
	v_cmp_lt_u32_e32 vcc_lo, 15, v11
	;; [unrolled: 6-line block ×16, first 2 shown]
	v_writelane_b32 v77, s7, 31
	s_and_b32 s7, vcc_lo, s6
	v_cmp_eq_u32_e32 vcc_lo, 30, v11
	v_writelane_b32 v76, s7, 0
	s_and_b32 s7, vcc_lo, s6
	v_cmp_eq_u32_e32 vcc_lo, 31, v11
	v_writelane_b32 v76, s7, 1
	v_cmp_eq_u32_e64 s7, 0, v30
	v_mul_u64_e32 v[10:11], s[78:79], v[6:7]
	s_and_b32 s13, vcc_lo, s6
	v_cmp_le_i32_e32 vcc_lo, s15, v2
	s_and_b32 s8, vcc_lo, s16
	v_cmp_gt_u32_e64 s16, 2, v25
	v_writelane_b32 v76, s8, 2
	s_xor_b32 s8, s8, -1
	s_delay_alu instid0(SALU_CYCLE_1)
	s_and_b32 s12, s7, s8
	s_cmp_gt_i32 s98, 0
	v_cmp_le_u32_e64 s8, v2, v30
	s_cselect_b32 s56, -1, 0
	s_and_b32 s0, s7, s0
	s_lshl_b64 s[88:89], s[84:85], 6
	v_writelane_b32 v76, s0, 3
	v_cmp_gt_i32_e64 s0, s97, v6
	s_lshl_b64 s[90:91], s[84:85], 7
	s_wait_kmcnt 0x0
	s_lshl_b64 s[82:83], s[82:83], 2
	s_lshl_b64 s[76:77], s[76:77], 2
	s_and_b32 s1, s0, s1
	s_delay_alu instid0(SALU_CYCLE_1) | instskip(SKIP_4) | instid1(SALU_CYCLE_1)
	v_writelane_b32 v76, s1, 4
	v_cmp_gt_i32_e64 s1, s97, v0
	v_add_nc_u32_e32 v0, -16, v18
	v_mad_nc_u64_u32 v[18:19], s84, v26, v[22:23]
	s_and_b32 s1, s0, s1
	v_writelane_b32 v76, s1, 5
	v_cmp_gt_i32_e64 s1, s97, v20
	v_mad_nc_u64_u32 v[20:21], s84, v27, v[22:23]
	v_mad_nc_u64_u32 v[22:23], s84, v28, v[22:23]
	s_and_b32 s1, s0, s1
	v_mad_u32 v19, s85, v26, v19
	v_writelane_b32 v76, s1, 6
	v_cmp_gt_i32_e64 s1, s97, v0
	v_or_b32_e32 v0, v26, v2
	v_mad_u32 v21, s85, v27, v21
	s_and_b32 s1, s0, s1
	v_mad_u32 v23, s85, v28, v23
	v_writelane_b32 v76, s1, 7
	v_cmp_le_i32_e64 s1, s15, v30
	v_writelane_b32 v76, s8, 8
	s_or_b32 s1, s1, vcc_lo
	s_delay_alu instid0(SALU_CYCLE_1)
	s_or_b32 s1, s1, s8
	v_cmp_le_i32_e64 s8, s15, v26
	v_writelane_b32 v76, s1, 9
	v_cmp_eq_u32_e64 s15, 0, v24
	s_or_b32 s1, s8, vcc_lo
	v_cmp_le_u32_e64 s8, v2, v26
	s_delay_alu instid0(VALU_DEP_1)
	v_writelane_b32 v76, s8, 10
	s_or_b32 s1, s1, s8
	v_cmp_le_u32_e64 s8, v2, v27
	v_writelane_b32 v76, s1, 11
	s_or_b32 s1, s9, vcc_lo
	v_cmp_ne_u32_e64 s9, v2, v27
	s_or_b32 s1, s1, s8
	v_writelane_b32 v76, s8, 12
	v_cmp_le_u32_e64 s8, v2, v28
	v_writelane_b32 v76, s1, 13
	s_or_b32 s1, s10, vcc_lo
	v_cmp_ne_u32_e64 s10, v2, v28
	s_or_b32 s1, s1, s8
	v_writelane_b32 v76, s8, 14
	v_cmp_ne_u32_e64 s8, v2, v26
	v_writelane_b32 v76, s1, 15
	v_cmp_ne_u32_e64 s1, v2, v30
	s_delay_alu instid0(VALU_DEP_1) | instskip(SKIP_1) | instid1(SALU_CYCLE_1)
	v_writelane_b32 v76, s1, 16
	s_or_b32 s1, vcc_lo, s1
	v_writelane_b32 v76, s1, 17
	s_or_b32 s1, vcc_lo, s8
	v_writelane_b32 v76, s8, 18
	v_writelane_b32 v76, s1, 19
	s_or_b32 s1, vcc_lo, s9
	v_writelane_b32 v76, s9, 20
	v_cmp_gt_u32_e64 s9, 0x60, v25
	v_writelane_b32 v76, s1, 21
	s_or_b32 s1, vcc_lo, s10
	v_writelane_b32 v76, s10, 22
	v_writelane_b32 v76, s1, 23
	v_cmp_gt_u32_e64 s1, 0xf0, v25
	s_delay_alu instid0(VALU_DEP_1) | instskip(SKIP_1) | instid1(VALU_DEP_1)
	v_writelane_b32 v76, s1, 24
	v_cmp_gt_u32_e64 s1, 0xe0, v25
	v_writelane_b32 v76, s1, 25
	v_cmp_gt_u32_e64 s1, 0xd0, v25
	s_delay_alu instid0(VALU_DEP_1) | instskip(SKIP_1) | instid1(VALU_DEP_1)
	v_writelane_b32 v76, s1, 26
	v_cmp_gt_u32_e64 s1, 0xc0, v25
	;; [unrolled: 5-line block ×16, first 2 shown]
	v_writelane_b32 v75, s1, 23
	v_cmp_gt_u32_e64 s1, 0x120, v25
	s_delay_alu instid0(VALU_DEP_1) | instskip(SKIP_1) | instid1(VALU_DEP_1)
	v_writelane_b32 v75, s1, 24
	v_cmp_ge_u32_e64 s1, v2, v30
	v_writelane_b32 v75, s1, 25
	v_cmp_ge_u32_e64 s1, v2, v26
	s_delay_alu instid0(VALU_DEP_1) | instskip(SKIP_1) | instid1(VALU_DEP_1)
	v_writelane_b32 v75, s1, 26
	v_cmp_ge_u32_e64 s1, v2, v27
	v_writelane_b32 v75, s1, 27
	v_cmp_ge_u32_e64 s1, v2, v28
	s_delay_alu instid0(VALU_DEP_1) | instskip(SKIP_1) | instid1(VALU_DEP_1)
	v_writelane_b32 v75, s1, 28
	v_cmp_gt_u32_e64 s1, 64, v24
	v_writelane_b32 v75, s1, 29
	v_cmp_gt_u32_e64 s1, 64, v0
	s_delay_alu instid0(VALU_DEP_1) | instskip(SKIP_1) | instid1(VALU_DEP_1)
	v_writelane_b32 v75, s1, 30
	v_cmp_gt_u32_e64 s1, 64, v29
	v_writelane_b32 v75, s1, 31
	v_cmp_gt_u32_e64 s1, 64, v68
	s_delay_alu instid0(VALU_DEP_1)
	v_writelane_b32 v74, s1, 0
	s_branch .LBB106_3
.LBB106_2:                              ;   in Loop: Header=BB106_3 Depth=1
	s_wait_xcnt 0x0
	s_or_b32 exec_lo, exec_lo, s1
	v_readlane_b32 s1, v78, 0
	s_add_co_i32 s70, s70, 0x10000
	global_wb scope:SCOPE_DEV
	s_wait_storecnt 0x0
	global_inv scope:SCOPE_DEV
	s_cmp_lt_u32 s70, s1
	s_cbranch_scc0 .LBB106_1195
.LBB106_3:                              ; =>This Loop Header: Depth=1
                                        ;     Child Loop BB106_1066 Depth 2
                                        ;       Child Loop BB106_1068 Depth 3
                                        ;     Child Loop BB106_1106 Depth 2
	v_mov_b32_e32 v0, s70
	v_readlane_b32 s1, v78, 1
	s_clause 0x1
	global_load_b64 v[24:25], v0, s[80:81] scale_offset
	global_load_b64 v[26:27], v0, s[74:75] scale_offset
	global_load_b32 v0, v1, s[72:73]
	s_and_not1_b32 vcc_lo, exec_lo, s1
	s_wait_loadcnt 0x2
	v_add_nc_u64_e32 v[24:25], s[82:83], v[24:25]
	s_cbranch_vccz .LBB106_6
; %bb.4:                                ;   in Loop: Header=BB106_3 Depth=1
	s_and_not1_b32 vcc_lo, exec_lo, s100
	s_mov_b32 s1, -1
	s_cbranch_vccz .LBB106_15
.LBB106_5:                              ;   in Loop: Header=BB106_3 Depth=1
	s_and_b32 vcc_lo, exec_lo, s1
	s_cbranch_vccnz .LBB106_50
	s_branch .LBB106_85
.LBB106_6:                              ;   in Loop: Header=BB106_3 Depth=1
	s_delay_alu instid0(VALU_DEP_1) | instskip(SKIP_3) | instid1(VALU_DEP_2)
	v_lshl_add_u64 v[28:29], v[8:9], 2, v[24:25]
	v_dual_mov_b32 v65, 0 :: v_dual_mov_b32 v64, 0
	s_wait_loadcnt 0x0
	s_barrier_signal -1
	v_lshl_add_u64 v[28:29], v[6:7], 2, v[28:29]
	s_barrier_wait -1
	s_wait_xcnt 0x0
	s_mov_b32 s1, exec_lo
	v_readlane_b32 s8, v76, 4
	s_and_b32 s8, s1, s8
	s_delay_alu instid0(SALU_CYCLE_1)
	s_mov_b32 exec_lo, s8
	s_cbranch_execz .LBB106_8
; %bb.7:                                ;   in Loop: Header=BB106_3 Depth=1
	flat_load_b32 v64, v[28:29]
.LBB106_8:                              ;   in Loop: Header=BB106_3 Depth=1
	s_wait_xcnt 0x0
	s_or_b32 exec_lo, exec_lo, s1
	s_wait_loadcnt_dscnt 0x0
	s_barrier_signal -1
	s_barrier_wait -1
	s_mov_b32 s1, exec_lo
	v_readlane_b32 s8, v76, 5
	s_and_b32 s8, s1, s8
	s_delay_alu instid0(SALU_CYCLE_1)
	s_mov_b32 exec_lo, s8
	s_cbranch_execz .LBB106_10
; %bb.9:                                ;   in Loop: Header=BB106_3 Depth=1
	v_add_nc_u64_e32 v[66:67], s[88:89], v[28:29]
	flat_load_b32 v65, v[66:67]
.LBB106_10:                             ;   in Loop: Header=BB106_3 Depth=1
	s_wait_xcnt 0x0
	s_or_b32 exec_lo, exec_lo, s1
	v_dual_mov_b32 v67, 0 :: v_dual_mov_b32 v66, 0
	s_wait_loadcnt_dscnt 0x0
	s_barrier_signal -1
	s_barrier_wait -1
	s_mov_b32 s1, exec_lo
	v_readlane_b32 s8, v76, 6
	s_and_b32 s8, s1, s8
	s_delay_alu instid0(SALU_CYCLE_1)
	s_mov_b32 exec_lo, s8
	s_cbranch_execz .LBB106_12
; %bb.11:                               ;   in Loop: Header=BB106_3 Depth=1
	v_add_nc_u64_e32 v[68:69], s[90:91], v[28:29]
	flat_load_b32 v66, v[68:69]
.LBB106_12:                             ;   in Loop: Header=BB106_3 Depth=1
	s_wait_xcnt 0x0
	s_or_b32 exec_lo, exec_lo, s1
	s_wait_loadcnt_dscnt 0x0
	s_barrier_signal -1
	s_barrier_wait -1
	s_mov_b32 s1, exec_lo
	v_readlane_b32 s8, v76, 7
	s_and_b32 s8, s1, s8
	s_delay_alu instid0(SALU_CYCLE_1)
	s_mov_b32 exec_lo, s8
	s_cbranch_execz .LBB106_14
; %bb.13:                               ;   in Loop: Header=BB106_3 Depth=1
	v_add_nc_u64_e32 v[28:29], s[92:93], v[28:29]
	flat_load_b32 v67, v[28:29]
.LBB106_14:                             ;   in Loop: Header=BB106_3 Depth=1
	s_wait_xcnt 0x0
	s_or_b32 exec_lo, exec_lo, s1
	s_delay_alu instid0(SALU_CYCLE_1)
	s_and_not1_b32 vcc_lo, exec_lo, s100
	s_mov_b32 s1, -1
	s_cbranch_vccnz .LBB106_5
.LBB106_15:                             ;   in Loop: Header=BB106_3 Depth=1
	s_mov_b32 s69, 0
                                        ; implicit-def: $vgpr28
	s_wait_xcnt 0x0
	s_mov_b32 s1, exec_lo
	v_readlane_b32 s8, v76, 8
	s_and_b32 s8, s1, s8
	s_delay_alu instid0(SALU_CYCLE_1)
	s_xor_b32 s10, s8, s1
	s_mov_b32 exec_lo, s8
	s_cbranch_execnz .LBB106_1127
; %bb.16:                               ;   in Loop: Header=BB106_3 Depth=1
	s_and_not1_saveexec_b32 s1, s10
	s_cbranch_execnz .LBB106_1132
.LBB106_17:                             ;   in Loop: Header=BB106_3 Depth=1
	s_or_b32 exec_lo, exec_lo, s1
	s_and_saveexec_b32 s1, s69
.LBB106_18:                             ;   in Loop: Header=BB106_3 Depth=1
	ds_store_b32 v58, v28
.LBB106_19:                             ;   in Loop: Header=BB106_3 Depth=1
	s_or_b32 exec_lo, exec_lo, s1
	s_delay_alu instid0(SALU_CYCLE_1) | instskip(SKIP_2) | instid1(SALU_CYCLE_1)
	s_mov_b32 s1, exec_lo
	v_readlane_b32 s8, v76, 10
	s_and_b32 s8, s1, s8
	s_xor_b32 s10, s8, s1
	s_mov_b32 exec_lo, s8
	s_cbranch_execz .LBB106_27
; %bb.20:                               ;   in Loop: Header=BB106_3 Depth=1
	s_mov_b32 s1, exec_lo
	v_readlane_b32 s8, v76, 18
	s_and_b32 s8, s1, s8
	s_delay_alu instid0(SALU_CYCLE_1)
	s_xor_b32 s1, s8, s1
	s_mov_b32 exec_lo, s8
	s_cbranch_execz .LBB106_24
; %bb.21:                               ;   in Loop: Header=BB106_3 Depth=1
	s_mov_b32 s8, exec_lo
	v_readlane_b32 s69, v75, 30
	s_and_b32 s69, s8, s69
	s_delay_alu instid0(SALU_CYCLE_1)
	s_mov_b32 exec_lo, s69
; %bb.22:                               ;   in Loop: Header=BB106_3 Depth=1
	ds_store_b32 v61, v1
; %bb.23:                               ;   in Loop: Header=BB106_3 Depth=1
	s_or_b32 exec_lo, exec_lo, s8
.LBB106_24:                             ;   in Loop: Header=BB106_3 Depth=1
	s_and_not1_saveexec_b32 s1, s1
	s_cbranch_execz .LBB106_26
; %bb.25:                               ;   in Loop: Header=BB106_3 Depth=1
	v_lshl_add_u64 v[28:29], v[18:19], 2, v[24:25]
	flat_load_b32 v28, v[28:29]
	s_wait_loadcnt_dscnt 0x0
	v_div_scale_f32 v29, null, v28, v28, 1.0
	s_delay_alu instid0(VALU_DEP_1) | instskip(SKIP_1) | instid1(TRANS32_DEP_1)
	v_rcp_f32_e32 v68, v29
	v_nop
	v_fma_f32 v69, -v29, v68, 1.0
	s_delay_alu instid0(VALU_DEP_1) | instskip(SKIP_1) | instid1(VALU_DEP_1)
	v_fmac_f32_e32 v68, v69, v68
	v_div_scale_f32 v69, vcc_lo, 1.0, v28, 1.0
	v_mul_f32_e32 v70, v69, v68
	s_delay_alu instid0(VALU_DEP_1) | instskip(NEXT) | instid1(VALU_DEP_1)
	v_fma_f32 v71, -v29, v70, v69
	v_fmac_f32_e32 v70, v71, v68
	s_delay_alu instid0(VALU_DEP_1) | instskip(NEXT) | instid1(VALU_DEP_1)
	v_fma_f32 v29, -v29, v70, v69
	v_div_fmas_f32 v29, v29, v68, v70
	s_delay_alu instid0(VALU_DEP_1)
	v_div_fixup_f32 v28, v29, v28, 1.0
	ds_store_b32 v61, v28
.LBB106_26:                             ;   in Loop: Header=BB106_3 Depth=1
	s_or_b32 exec_lo, exec_lo, s1
.LBB106_27:                             ;   in Loop: Header=BB106_3 Depth=1
	s_and_not1_saveexec_b32 s1, s10
	s_cbranch_execz .LBB106_29
; %bb.28:                               ;   in Loop: Header=BB106_3 Depth=1
	v_lshl_add_u64 v[28:29], v[18:19], 2, v[24:25]
	flat_load_b32 v28, v[28:29]
	s_wait_loadcnt_dscnt 0x0
	v_xor_b32_e32 v28, 0x80000000, v28
	ds_store_b32 v61, v28
.LBB106_29:                             ;   in Loop: Header=BB106_3 Depth=1
	s_or_b32 exec_lo, exec_lo, s1
	s_delay_alu instid0(SALU_CYCLE_1) | instskip(SKIP_2) | instid1(SALU_CYCLE_1)
	s_mov_b32 s1, exec_lo
	v_readlane_b32 s8, v76, 12
	s_and_b32 s8, s1, s8
	s_xor_b32 s10, s8, s1
	s_mov_b32 exec_lo, s8
	s_cbranch_execz .LBB106_37
; %bb.30:                               ;   in Loop: Header=BB106_3 Depth=1
	s_mov_b32 s1, exec_lo
	v_readlane_b32 s8, v76, 20
	s_and_b32 s8, s1, s8
	s_delay_alu instid0(SALU_CYCLE_1)
	s_xor_b32 s1, s8, s1
	s_mov_b32 exec_lo, s8
	s_cbranch_execz .LBB106_34
; %bb.31:                               ;   in Loop: Header=BB106_3 Depth=1
	s_mov_b32 s8, exec_lo
	v_readlane_b32 s69, v75, 31
	s_and_b32 s69, s8, s69
	s_delay_alu instid0(SALU_CYCLE_1)
	s_mov_b32 exec_lo, s69
; %bb.32:                               ;   in Loop: Header=BB106_3 Depth=1
	ds_store_b32 v62, v1
; %bb.33:                               ;   in Loop: Header=BB106_3 Depth=1
	s_or_b32 exec_lo, exec_lo, s8
.LBB106_34:                             ;   in Loop: Header=BB106_3 Depth=1
	s_and_not1_saveexec_b32 s1, s1
	s_cbranch_execz .LBB106_36
; %bb.35:                               ;   in Loop: Header=BB106_3 Depth=1
	v_lshl_add_u64 v[28:29], v[20:21], 2, v[24:25]
	flat_load_b32 v28, v[28:29]
	s_wait_loadcnt_dscnt 0x0
	v_div_scale_f32 v29, null, v28, v28, 1.0
	s_delay_alu instid0(VALU_DEP_1) | instskip(SKIP_1) | instid1(TRANS32_DEP_1)
	v_rcp_f32_e32 v68, v29
	v_nop
	v_fma_f32 v69, -v29, v68, 1.0
	s_delay_alu instid0(VALU_DEP_1) | instskip(SKIP_1) | instid1(VALU_DEP_1)
	v_fmac_f32_e32 v68, v69, v68
	v_div_scale_f32 v69, vcc_lo, 1.0, v28, 1.0
	v_mul_f32_e32 v70, v69, v68
	s_delay_alu instid0(VALU_DEP_1) | instskip(NEXT) | instid1(VALU_DEP_1)
	v_fma_f32 v71, -v29, v70, v69
	v_fmac_f32_e32 v70, v71, v68
	s_delay_alu instid0(VALU_DEP_1) | instskip(NEXT) | instid1(VALU_DEP_1)
	v_fma_f32 v29, -v29, v70, v69
	v_div_fmas_f32 v29, v29, v68, v70
	s_delay_alu instid0(VALU_DEP_1)
	v_div_fixup_f32 v28, v29, v28, 1.0
	ds_store_b32 v62, v28
.LBB106_36:                             ;   in Loop: Header=BB106_3 Depth=1
	s_or_b32 exec_lo, exec_lo, s1
.LBB106_37:                             ;   in Loop: Header=BB106_3 Depth=1
	s_and_not1_saveexec_b32 s1, s10
	s_cbranch_execz .LBB106_39
; %bb.38:                               ;   in Loop: Header=BB106_3 Depth=1
	v_lshl_add_u64 v[28:29], v[20:21], 2, v[24:25]
	flat_load_b32 v28, v[28:29]
	s_wait_loadcnt_dscnt 0x0
	v_xor_b32_e32 v28, 0x80000000, v28
	ds_store_b32 v62, v28
.LBB106_39:                             ;   in Loop: Header=BB106_3 Depth=1
	s_or_b32 exec_lo, exec_lo, s1
	s_delay_alu instid0(SALU_CYCLE_1) | instskip(SKIP_2) | instid1(SALU_CYCLE_1)
	s_mov_b32 s1, exec_lo
	v_readlane_b32 s8, v76, 14
	s_and_b32 s8, s1, s8
	s_xor_b32 s10, s8, s1
	s_mov_b32 exec_lo, s8
	s_cbranch_execz .LBB106_47
; %bb.40:                               ;   in Loop: Header=BB106_3 Depth=1
	s_mov_b32 s1, exec_lo
	v_readlane_b32 s8, v76, 22
	s_and_b32 s8, s1, s8
	s_delay_alu instid0(SALU_CYCLE_1)
	s_xor_b32 s1, s8, s1
	s_mov_b32 exec_lo, s8
	s_cbranch_execz .LBB106_44
; %bb.41:                               ;   in Loop: Header=BB106_3 Depth=1
	s_mov_b32 s8, exec_lo
	v_readlane_b32 s69, v74, 0
	s_and_b32 s69, s8, s69
	s_delay_alu instid0(SALU_CYCLE_1)
	s_mov_b32 exec_lo, s69
; %bb.42:                               ;   in Loop: Header=BB106_3 Depth=1
	ds_store_b32 v63, v1
; %bb.43:                               ;   in Loop: Header=BB106_3 Depth=1
	s_or_b32 exec_lo, exec_lo, s8
.LBB106_44:                             ;   in Loop: Header=BB106_3 Depth=1
	s_and_not1_saveexec_b32 s1, s1
	s_cbranch_execz .LBB106_46
; %bb.45:                               ;   in Loop: Header=BB106_3 Depth=1
	v_lshl_add_u64 v[28:29], v[22:23], 2, v[24:25]
	flat_load_b32 v28, v[28:29]
	s_wait_loadcnt_dscnt 0x0
	v_div_scale_f32 v29, null, v28, v28, 1.0
	s_delay_alu instid0(VALU_DEP_1) | instskip(SKIP_1) | instid1(TRANS32_DEP_1)
	v_rcp_f32_e32 v68, v29
	v_nop
	v_fma_f32 v69, -v29, v68, 1.0
	s_delay_alu instid0(VALU_DEP_1) | instskip(SKIP_1) | instid1(VALU_DEP_1)
	v_fmac_f32_e32 v68, v69, v68
	v_div_scale_f32 v69, vcc_lo, 1.0, v28, 1.0
	v_mul_f32_e32 v70, v69, v68
	s_delay_alu instid0(VALU_DEP_1) | instskip(NEXT) | instid1(VALU_DEP_1)
	v_fma_f32 v71, -v29, v70, v69
	v_fmac_f32_e32 v70, v71, v68
	s_delay_alu instid0(VALU_DEP_1) | instskip(NEXT) | instid1(VALU_DEP_1)
	v_fma_f32 v29, -v29, v70, v69
	v_div_fmas_f32 v29, v29, v68, v70
	s_delay_alu instid0(VALU_DEP_1)
	v_div_fixup_f32 v28, v29, v28, 1.0
	ds_store_b32 v63, v28
.LBB106_46:                             ;   in Loop: Header=BB106_3 Depth=1
	s_or_b32 exec_lo, exec_lo, s1
.LBB106_47:                             ;   in Loop: Header=BB106_3 Depth=1
	s_and_not1_saveexec_b32 s1, s10
	s_cbranch_execz .LBB106_49
; %bb.48:                               ;   in Loop: Header=BB106_3 Depth=1
	v_lshl_add_u64 v[28:29], v[22:23], 2, v[24:25]
	flat_load_b32 v28, v[28:29]
	s_wait_loadcnt_dscnt 0x0
	v_xor_b32_e32 v28, 0x80000000, v28
	ds_store_b32 v63, v28
.LBB106_49:                             ;   in Loop: Header=BB106_3 Depth=1
	s_or_b32 exec_lo, exec_lo, s1
	s_branch .LBB106_85
.LBB106_50:                             ;   in Loop: Header=BB106_3 Depth=1
	s_mov_b32 s69, 0
                                        ; implicit-def: $vgpr28
	s_wait_xcnt 0x0
	s_mov_b32 s1, exec_lo
	v_readlane_b32 s8, v76, 9
	s_and_b32 s8, s1, s8
	s_delay_alu instid0(SALU_CYCLE_1)
	s_xor_b32 s10, s8, s1
	s_mov_b32 exec_lo, s8
	s_cbranch_execnz .LBB106_1133
; %bb.51:                               ;   in Loop: Header=BB106_3 Depth=1
	s_and_not1_saveexec_b32 s1, s10
	s_cbranch_execnz .LBB106_1138
.LBB106_52:                             ;   in Loop: Header=BB106_3 Depth=1
	s_or_b32 exec_lo, exec_lo, s1
	s_and_saveexec_b32 s1, s69
.LBB106_53:                             ;   in Loop: Header=BB106_3 Depth=1
	ds_store_b32 v58, v28
.LBB106_54:                             ;   in Loop: Header=BB106_3 Depth=1
	s_or_b32 exec_lo, exec_lo, s1
	s_delay_alu instid0(SALU_CYCLE_1) | instskip(SKIP_2) | instid1(SALU_CYCLE_1)
	s_mov_b32 s1, exec_lo
	v_readlane_b32 s8, v76, 11
	s_and_b32 s8, s1, s8
	s_xor_b32 s10, s8, s1
	s_mov_b32 exec_lo, s8
	s_cbranch_execz .LBB106_62
; %bb.55:                               ;   in Loop: Header=BB106_3 Depth=1
	s_mov_b32 s1, exec_lo
	v_readlane_b32 s8, v76, 19
	s_and_b32 s8, s1, s8
	s_delay_alu instid0(SALU_CYCLE_1)
	s_xor_b32 s1, s8, s1
	s_mov_b32 exec_lo, s8
	s_cbranch_execz .LBB106_59
; %bb.56:                               ;   in Loop: Header=BB106_3 Depth=1
	s_mov_b32 s8, exec_lo
	v_readlane_b32 s69, v75, 30
	s_and_b32 s69, s8, s69
	s_delay_alu instid0(SALU_CYCLE_1)
	s_mov_b32 exec_lo, s69
; %bb.57:                               ;   in Loop: Header=BB106_3 Depth=1
	ds_store_b32 v61, v1
; %bb.58:                               ;   in Loop: Header=BB106_3 Depth=1
	s_or_b32 exec_lo, exec_lo, s8
.LBB106_59:                             ;   in Loop: Header=BB106_3 Depth=1
	s_and_not1_saveexec_b32 s1, s1
	s_cbranch_execz .LBB106_61
; %bb.60:                               ;   in Loop: Header=BB106_3 Depth=1
	v_lshl_add_u64 v[28:29], v[18:19], 2, v[24:25]
	flat_load_b32 v28, v[28:29]
	s_wait_loadcnt_dscnt 0x0
	v_div_scale_f32 v29, null, v28, v28, 1.0
	s_delay_alu instid0(VALU_DEP_1) | instskip(SKIP_1) | instid1(TRANS32_DEP_1)
	v_rcp_f32_e32 v68, v29
	v_nop
	v_fma_f32 v69, -v29, v68, 1.0
	s_delay_alu instid0(VALU_DEP_1) | instskip(SKIP_1) | instid1(VALU_DEP_1)
	v_fmac_f32_e32 v68, v69, v68
	v_div_scale_f32 v69, vcc_lo, 1.0, v28, 1.0
	v_mul_f32_e32 v70, v69, v68
	s_delay_alu instid0(VALU_DEP_1) | instskip(NEXT) | instid1(VALU_DEP_1)
	v_fma_f32 v71, -v29, v70, v69
	v_fmac_f32_e32 v70, v71, v68
	s_delay_alu instid0(VALU_DEP_1) | instskip(NEXT) | instid1(VALU_DEP_1)
	v_fma_f32 v29, -v29, v70, v69
	v_div_fmas_f32 v29, v29, v68, v70
	s_delay_alu instid0(VALU_DEP_1)
	v_div_fixup_f32 v28, v29, v28, 1.0
	ds_store_b32 v61, v28
.LBB106_61:                             ;   in Loop: Header=BB106_3 Depth=1
	s_or_b32 exec_lo, exec_lo, s1
.LBB106_62:                             ;   in Loop: Header=BB106_3 Depth=1
	s_and_not1_saveexec_b32 s1, s10
	s_cbranch_execz .LBB106_64
; %bb.63:                               ;   in Loop: Header=BB106_3 Depth=1
	v_lshl_add_u64 v[28:29], v[18:19], 2, v[24:25]
	flat_load_b32 v28, v[28:29]
	s_wait_loadcnt_dscnt 0x0
	v_xor_b32_e32 v28, 0x80000000, v28
	ds_store_b32 v61, v28
.LBB106_64:                             ;   in Loop: Header=BB106_3 Depth=1
	s_or_b32 exec_lo, exec_lo, s1
	s_delay_alu instid0(SALU_CYCLE_1) | instskip(SKIP_2) | instid1(SALU_CYCLE_1)
	s_mov_b32 s1, exec_lo
	v_readlane_b32 s8, v76, 13
	s_and_b32 s8, s1, s8
	s_xor_b32 s10, s8, s1
	s_mov_b32 exec_lo, s8
	s_cbranch_execz .LBB106_72
; %bb.65:                               ;   in Loop: Header=BB106_3 Depth=1
	s_mov_b32 s1, exec_lo
	v_readlane_b32 s8, v76, 21
	s_and_b32 s8, s1, s8
	s_delay_alu instid0(SALU_CYCLE_1)
	s_xor_b32 s1, s8, s1
	s_mov_b32 exec_lo, s8
	s_cbranch_execz .LBB106_69
; %bb.66:                               ;   in Loop: Header=BB106_3 Depth=1
	s_mov_b32 s8, exec_lo
	v_readlane_b32 s69, v75, 31
	s_and_b32 s69, s8, s69
	s_delay_alu instid0(SALU_CYCLE_1)
	s_mov_b32 exec_lo, s69
; %bb.67:                               ;   in Loop: Header=BB106_3 Depth=1
	ds_store_b32 v62, v1
; %bb.68:                               ;   in Loop: Header=BB106_3 Depth=1
	s_or_b32 exec_lo, exec_lo, s8
.LBB106_69:                             ;   in Loop: Header=BB106_3 Depth=1
	s_and_not1_saveexec_b32 s1, s1
	s_cbranch_execz .LBB106_71
; %bb.70:                               ;   in Loop: Header=BB106_3 Depth=1
	v_lshl_add_u64 v[28:29], v[20:21], 2, v[24:25]
	flat_load_b32 v28, v[28:29]
	s_wait_loadcnt_dscnt 0x0
	v_div_scale_f32 v29, null, v28, v28, 1.0
	s_delay_alu instid0(VALU_DEP_1) | instskip(SKIP_1) | instid1(TRANS32_DEP_1)
	v_rcp_f32_e32 v68, v29
	v_nop
	v_fma_f32 v69, -v29, v68, 1.0
	s_delay_alu instid0(VALU_DEP_1) | instskip(SKIP_1) | instid1(VALU_DEP_1)
	v_fmac_f32_e32 v68, v69, v68
	v_div_scale_f32 v69, vcc_lo, 1.0, v28, 1.0
	v_mul_f32_e32 v70, v69, v68
	s_delay_alu instid0(VALU_DEP_1) | instskip(NEXT) | instid1(VALU_DEP_1)
	v_fma_f32 v71, -v29, v70, v69
	v_fmac_f32_e32 v70, v71, v68
	s_delay_alu instid0(VALU_DEP_1) | instskip(NEXT) | instid1(VALU_DEP_1)
	v_fma_f32 v29, -v29, v70, v69
	v_div_fmas_f32 v29, v29, v68, v70
	s_delay_alu instid0(VALU_DEP_1)
	v_div_fixup_f32 v28, v29, v28, 1.0
	ds_store_b32 v62, v28
.LBB106_71:                             ;   in Loop: Header=BB106_3 Depth=1
	s_or_b32 exec_lo, exec_lo, s1
.LBB106_72:                             ;   in Loop: Header=BB106_3 Depth=1
	s_and_not1_saveexec_b32 s1, s10
	s_cbranch_execz .LBB106_74
; %bb.73:                               ;   in Loop: Header=BB106_3 Depth=1
	v_lshl_add_u64 v[28:29], v[20:21], 2, v[24:25]
	flat_load_b32 v28, v[28:29]
	s_wait_loadcnt_dscnt 0x0
	v_xor_b32_e32 v28, 0x80000000, v28
	ds_store_b32 v62, v28
.LBB106_74:                             ;   in Loop: Header=BB106_3 Depth=1
	;; [unrolled: 63-line block ×3, first 2 shown]
	s_or_b32 exec_lo, exec_lo, s1
.LBB106_85:                             ;   in Loop: Header=BB106_3 Depth=1
	s_delay_alu instid0(SALU_CYCLE_1)
	s_and_not1_b32 vcc_lo, exec_lo, s101
	s_wait_loadcnt_dscnt 0x0
	s_barrier_signal -1
	s_barrier_wait -1
	s_cbranch_vccnz .LBB106_1060
; %bb.86:                               ;   in Loop: Header=BB106_3 Depth=1
	s_and_saveexec_b32 s1, s15
	s_cbranch_execz .LBB106_88
; %bb.87:                               ;   in Loop: Header=BB106_3 Depth=1
	ds_load_b64 v[28:29], v1
	ds_load_b32 v68, v1 offset:260
	s_wait_dscnt 0x0
	v_mul_f32_e32 v28, v28, v68
	s_delay_alu instid0(VALU_DEP_1)
	v_mul_f32_e32 v28, v29, v28
	ds_store_b32 v1, v28 offset:4
.LBB106_88:                             ;   in Loop: Header=BB106_3 Depth=1
	s_or_b32 exec_lo, exec_lo, s1
	v_mov_b32_e32 v28, 0
	s_wait_dscnt 0x0
	s_barrier_signal -1
	s_barrier_wait -1
	s_and_saveexec_b32 s10, s2
	s_cbranch_execz .LBB106_92
; %bb.89:                               ;   in Loop: Header=BB106_3 Depth=1
	ds_load_b32 v28, v32 offset:8
	ds_load_b32 v29, v33
	s_wait_dscnt 0x0
	v_fma_f32 v28, v28, v29, 0
	s_and_saveexec_b32 s1, s16
	s_cbranch_execz .LBB106_91
; %bb.90:                               ;   in Loop: Header=BB106_3 Depth=1
	ds_load_b32 v29, v34 offset:264
	ds_load_b32 v68, v1 offset:4
	s_wait_dscnt 0x0
	v_fmac_f32_e32 v28, v29, v68
.LBB106_91:                             ;   in Loop: Header=BB106_3 Depth=1
	s_or_b32 exec_lo, exec_lo, s1
	s_delay_alu instid0(VALU_DEP_1)
	v_xor_b32_e32 v28, 0x80000000, v28
.LBB106_92:                             ;   in Loop: Header=BB106_3 Depth=1
	s_or_b32 exec_lo, exec_lo, s10
	s_and_saveexec_b32 s1, s102
	s_cbranch_execz .LBB106_94
; %bb.93:                               ;   in Loop: Header=BB106_3 Depth=1
	ds_load_b32 v29, v1 offset:520
	s_wait_dscnt 0x0
	v_mul_f32_e32 v28, v28, v29
	ds_store_b32 v3, v28
.LBB106_94:                             ;   in Loop: Header=BB106_3 Depth=1
	s_or_b32 exec_lo, exec_lo, s1
	s_wait_dscnt 0x0
	s_barrier_signal -1
	s_barrier_wait -1
	s_and_saveexec_b32 s1, s103
	s_cbranch_execz .LBB106_96
; %bb.95:                               ;   in Loop: Header=BB106_3 Depth=1
	ds_load_b32 v29, v1 offset:524
	ds_load_b32 v68, v3
	s_wait_dscnt 0x0
	v_fmac_f32_e32 v28, v29, v68
.LBB106_96:                             ;   in Loop: Header=BB106_3 Depth=1
	s_or_b32 exec_lo, exec_lo, s1
	s_barrier_signal -1
	s_barrier_wait -1
	s_and_saveexec_b32 s1, s103
	s_cbranch_execz .LBB106_98
; %bb.97:                               ;   in Loop: Header=BB106_3 Depth=1
	ds_load_b32 v29, v1 offset:780
	s_wait_dscnt 0x0
	v_mul_f32_e32 v28, v28, v29
	ds_store_b32 v3, v28
.LBB106_98:                             ;   in Loop: Header=BB106_3 Depth=1
	s_or_b32 exec_lo, exec_lo, s1
	s_wait_dscnt 0x0
	s_barrier_signal -1
	s_barrier_wait -1
	s_barrier_signal -1
	s_barrier_wait -1
	s_and_saveexec_b32 s1, s2
; %bb.99:                               ;   in Loop: Header=BB106_3 Depth=1
	v_xor_b32_e32 v28, 0x80000000, v28
	ds_store_b32 v32, v28 offset:8
; %bb.100:                              ;   in Loop: Header=BB106_3 Depth=1
	s_or_b32 exec_lo, exec_lo, s1
	s_wait_dscnt 0x0
	s_barrier_signal -1
	s_barrier_wait -1
	s_barrier_signal -1
	s_barrier_wait -1
	s_and_saveexec_b32 s1, s15
	s_cbranch_execz .LBB106_102
; %bb.101:                              ;   in Loop: Header=BB106_3 Depth=1
	ds_load_b64 v[28:29], v1 offset:520
	ds_load_b32 v68, v1 offset:780
	s_wait_dscnt 0x0
	v_mul_f32_e32 v28, v28, v68
	s_delay_alu instid0(VALU_DEP_1)
	v_mul_f32_e32 v28, v29, v28
	ds_store_b32 v1, v28 offset:524
.LBB106_102:                            ;   in Loop: Header=BB106_3 Depth=1
	s_or_b32 exec_lo, exec_lo, s1
	v_mov_b32_e32 v28, 0
	s_wait_dscnt 0x0
	s_barrier_signal -1
	s_barrier_wait -1
	s_and_saveexec_b32 s10, s3
	s_cbranch_execz .LBB106_108
; %bb.103:                              ;   in Loop: Header=BB106_3 Depth=1
	ds_load_b32 v28, v38 offset:16
	ds_load_b32 v29, v35
	s_wait_dscnt 0x0
	v_fma_f32 v28, v28, v29, 0
	s_and_saveexec_b32 s1, s17
	s_cbranch_execnz .LBB106_1144
; %bb.104:                              ;   in Loop: Header=BB106_3 Depth=1
	s_or_b32 exec_lo, exec_lo, s1
	s_and_saveexec_b32 s1, s18
	s_cbranch_execnz .LBB106_1145
.LBB106_105:                            ;   in Loop: Header=BB106_3 Depth=1
	s_or_b32 exec_lo, exec_lo, s1
	s_and_saveexec_b32 s1, s2
	s_cbranch_execz .LBB106_107
.LBB106_106:                            ;   in Loop: Header=BB106_3 Depth=1
	ds_load_b32 v29, v34 offset:784
	ds_load_b32 v68, v1 offset:12
	s_wait_dscnt 0x0
	v_fmac_f32_e32 v28, v29, v68
.LBB106_107:                            ;   in Loop: Header=BB106_3 Depth=1
	s_or_b32 exec_lo, exec_lo, s1
	s_delay_alu instid0(VALU_DEP_1)
	v_xor_b32_e32 v28, 0x80000000, v28
.LBB106_108:                            ;   in Loop: Header=BB106_3 Depth=1
	s_or_b32 exec_lo, exec_lo, s10
	s_and_saveexec_b32 s1, s104
	s_cbranch_execz .LBB106_110
; %bb.109:                              ;   in Loop: Header=BB106_3 Depth=1
	ds_load_b32 v29, v1 offset:1040
	s_wait_dscnt 0x0
	v_mul_f32_e32 v28, v28, v29
	ds_store_b32 v36, v28
.LBB106_110:                            ;   in Loop: Header=BB106_3 Depth=1
	s_or_b32 exec_lo, exec_lo, s1
	s_wait_dscnt 0x0
	s_barrier_signal -1
	s_barrier_wait -1
	s_and_saveexec_b32 s1, vcc_hi
	s_cbranch_execz .LBB106_112
; %bb.111:                              ;   in Loop: Header=BB106_3 Depth=1
	ds_load_b32 v29, v37 offset:1040
	ds_load_b32 v68, v36
	s_wait_dscnt 0x0
	v_fmac_f32_e32 v28, v29, v68
.LBB106_112:                            ;   in Loop: Header=BB106_3 Depth=1
	s_or_b32 exec_lo, exec_lo, s1
	s_barrier_signal -1
	s_barrier_wait -1
	s_and_saveexec_b32 s1, s36
	s_cbranch_execz .LBB106_114
; %bb.113:                              ;   in Loop: Header=BB106_3 Depth=1
	ds_load_b32 v29, v1 offset:1300
	s_wait_dscnt 0x0
	v_mul_f32_e32 v28, v28, v29
	ds_store_b32 v36, v28
.LBB106_114:                            ;   in Loop: Header=BB106_3 Depth=1
	s_or_b32 exec_lo, exec_lo, s1
	s_wait_dscnt 0x0
	s_barrier_signal -1
	s_barrier_wait -1
	s_and_saveexec_b32 s1, s37
	s_cbranch_execz .LBB106_116
; %bb.115:                              ;   in Loop: Header=BB106_3 Depth=1
	ds_load_b32 v29, v37 offset:1296
	ds_load_b32 v68, v36
	s_wait_dscnt 0x0
	v_fmac_f32_e32 v28, v29, v68
.LBB106_116:                            ;   in Loop: Header=BB106_3 Depth=1
	s_or_b32 exec_lo, exec_lo, s1
	s_barrier_signal -1
	s_barrier_wait -1
	s_and_saveexec_b32 s1, s38
	s_cbranch_execz .LBB106_118
; %bb.117:                              ;   in Loop: Header=BB106_3 Depth=1
	ds_load_b32 v29, v1 offset:1560
	s_wait_dscnt 0x0
	v_mul_f32_e32 v28, v28, v29
	ds_store_b32 v36, v28
.LBB106_118:                            ;   in Loop: Header=BB106_3 Depth=1
	s_or_b32 exec_lo, exec_lo, s1
	s_wait_dscnt 0x0
	s_barrier_signal -1
	s_barrier_wait -1
	s_and_saveexec_b32 s1, s39
	s_cbranch_execz .LBB106_120
; %bb.119:                              ;   in Loop: Header=BB106_3 Depth=1
	ds_load_b32 v29, v1 offset:1564
	ds_load_b32 v68, v36
	s_wait_dscnt 0x0
	v_fmac_f32_e32 v28, v29, v68
.LBB106_120:                            ;   in Loop: Header=BB106_3 Depth=1
	s_or_b32 exec_lo, exec_lo, s1
	s_barrier_signal -1
	s_barrier_wait -1
	s_and_saveexec_b32 s1, s39
	s_cbranch_execz .LBB106_122
; %bb.121:                              ;   in Loop: Header=BB106_3 Depth=1
	ds_load_b32 v29, v1 offset:1820
	s_wait_dscnt 0x0
	v_mul_f32_e32 v28, v28, v29
	ds_store_b32 v36, v28
.LBB106_122:                            ;   in Loop: Header=BB106_3 Depth=1
	s_or_b32 exec_lo, exec_lo, s1
	s_wait_dscnt 0x0
	s_barrier_signal -1
	s_barrier_wait -1
	s_barrier_signal -1
	s_barrier_wait -1
	s_and_saveexec_b32 s1, s3
; %bb.123:                              ;   in Loop: Header=BB106_3 Depth=1
	v_xor_b32_e32 v28, 0x80000000, v28
	ds_store_b32 v38, v28 offset:16
; %bb.124:                              ;   in Loop: Header=BB106_3 Depth=1
	s_or_b32 exec_lo, exec_lo, s1
	s_wait_dscnt 0x0
	s_barrier_signal -1
	s_barrier_wait -1
	s_barrier_signal -1
	s_barrier_wait -1
	s_and_saveexec_b32 s1, s15
	s_cbranch_execz .LBB106_126
; %bb.125:                              ;   in Loop: Header=BB106_3 Depth=1
	ds_load_b64 v[28:29], v1 offset:1040
	ds_load_b32 v68, v1 offset:1300
	s_wait_dscnt 0x0
	v_mul_f32_e32 v28, v28, v68
	s_delay_alu instid0(VALU_DEP_1)
	v_mul_f32_e32 v28, v29, v28
	ds_store_b32 v1, v28 offset:1044
.LBB106_126:                            ;   in Loop: Header=BB106_3 Depth=1
	s_or_b32 exec_lo, exec_lo, s1
	v_mov_b32_e32 v28, 0
	s_wait_dscnt 0x0
	s_barrier_signal -1
	s_barrier_wait -1
	s_and_saveexec_b32 s10, s2
	s_cbranch_execz .LBB106_130
; %bb.127:                              ;   in Loop: Header=BB106_3 Depth=1
	ds_load_b32 v28, v32 offset:1048
	ds_load_b32 v29, v33 offset:1040
	s_wait_dscnt 0x0
	v_fma_f32 v28, v28, v29, 0
	s_and_saveexec_b32 s1, s16
	s_cbranch_execz .LBB106_129
; %bb.128:                              ;   in Loop: Header=BB106_3 Depth=1
	ds_load_b32 v29, v34 offset:1304
	ds_load_b32 v68, v1 offset:1044
	s_wait_dscnt 0x0
	v_fmac_f32_e32 v28, v29, v68
.LBB106_129:                            ;   in Loop: Header=BB106_3 Depth=1
	s_or_b32 exec_lo, exec_lo, s1
	s_delay_alu instid0(VALU_DEP_1)
	v_xor_b32_e32 v28, 0x80000000, v28
.LBB106_130:                            ;   in Loop: Header=BB106_3 Depth=1
	s_or_b32 exec_lo, exec_lo, s10
	s_and_saveexec_b32 s1, s102
	s_cbranch_execz .LBB106_132
; %bb.131:                              ;   in Loop: Header=BB106_3 Depth=1
	ds_load_b32 v29, v1 offset:1560
	s_wait_dscnt 0x0
	v_mul_f32_e32 v28, v28, v29
	ds_store_b32 v3, v28
.LBB106_132:                            ;   in Loop: Header=BB106_3 Depth=1
	s_or_b32 exec_lo, exec_lo, s1
	s_wait_dscnt 0x0
	s_barrier_signal -1
	s_barrier_wait -1
	s_and_saveexec_b32 s1, s103
	s_cbranch_execz .LBB106_134
; %bb.133:                              ;   in Loop: Header=BB106_3 Depth=1
	ds_load_b32 v29, v1 offset:1564
	ds_load_b32 v68, v3
	s_wait_dscnt 0x0
	v_fmac_f32_e32 v28, v29, v68
.LBB106_134:                            ;   in Loop: Header=BB106_3 Depth=1
	s_or_b32 exec_lo, exec_lo, s1
	s_barrier_signal -1
	s_barrier_wait -1
	s_and_saveexec_b32 s1, s103
	s_cbranch_execz .LBB106_136
; %bb.135:                              ;   in Loop: Header=BB106_3 Depth=1
	ds_load_b32 v29, v1 offset:1820
	s_wait_dscnt 0x0
	v_mul_f32_e32 v28, v28, v29
	ds_store_b32 v3, v28
.LBB106_136:                            ;   in Loop: Header=BB106_3 Depth=1
	s_or_b32 exec_lo, exec_lo, s1
	s_wait_dscnt 0x0
	s_barrier_signal -1
	s_barrier_wait -1
	s_barrier_signal -1
	s_barrier_wait -1
	s_and_saveexec_b32 s1, s2
; %bb.137:                              ;   in Loop: Header=BB106_3 Depth=1
	v_xor_b32_e32 v28, 0x80000000, v28
	ds_store_b32 v32, v28 offset:1048
; %bb.138:                              ;   in Loop: Header=BB106_3 Depth=1
	s_or_b32 exec_lo, exec_lo, s1
	s_wait_dscnt 0x0
	s_barrier_signal -1
	s_barrier_wait -1
	s_barrier_signal -1
	s_barrier_wait -1
	s_and_saveexec_b32 s1, s15
	s_cbranch_execz .LBB106_140
; %bb.139:                              ;   in Loop: Header=BB106_3 Depth=1
	ds_load_b64 v[28:29], v1 offset:1560
	ds_load_b32 v68, v1 offset:1820
	s_wait_dscnt 0x0
	v_mul_f32_e32 v28, v28, v68
	s_delay_alu instid0(VALU_DEP_1)
	v_mul_f32_e32 v28, v29, v28
	ds_store_b32 v1, v28 offset:1564
.LBB106_140:                            ;   in Loop: Header=BB106_3 Depth=1
	s_or_b32 exec_lo, exec_lo, s1
	v_mov_b32_e32 v28, 0
	s_wait_dscnt 0x0
	s_barrier_signal -1
	s_barrier_wait -1
	s_and_saveexec_b32 s10, s4
	s_cbranch_execz .LBB106_150
; %bb.141:                              ;   in Loop: Header=BB106_3 Depth=1
	ds_load_b32 v28, v43 offset:32
	ds_load_b32 v29, v40
	s_wait_dscnt 0x0
	v_fma_f32 v28, v28, v29, 0
	s_and_saveexec_b32 s1, s19
	s_cbranch_execnz .LBB106_1146
; %bb.142:                              ;   in Loop: Header=BB106_3 Depth=1
	s_or_b32 exec_lo, exec_lo, s1
	s_and_saveexec_b32 s1, s20
	s_cbranch_execnz .LBB106_1147
.LBB106_143:                            ;   in Loop: Header=BB106_3 Depth=1
	s_or_b32 exec_lo, exec_lo, s1
	s_and_saveexec_b32 s1, s21
	s_cbranch_execnz .LBB106_1148
.LBB106_144:                            ;   in Loop: Header=BB106_3 Depth=1
	s_or_b32 exec_lo, exec_lo, s1
	s_and_saveexec_b32 s1, s22
	s_cbranch_execnz .LBB106_1149
.LBB106_145:                            ;   in Loop: Header=BB106_3 Depth=1
	s_or_b32 exec_lo, exec_lo, s1
	s_and_saveexec_b32 s1, s23
	s_cbranch_execnz .LBB106_1150
.LBB106_146:                            ;   in Loop: Header=BB106_3 Depth=1
	s_or_b32 exec_lo, exec_lo, s1
	s_and_saveexec_b32 s1, s3
	s_cbranch_execnz .LBB106_1151
.LBB106_147:                            ;   in Loop: Header=BB106_3 Depth=1
	s_or_b32 exec_lo, exec_lo, s1
	s_and_saveexec_b32 s1, s18
	s_cbranch_execz .LBB106_149
.LBB106_148:                            ;   in Loop: Header=BB106_3 Depth=1
	ds_load_b32 v29, v34 offset:1824
	ds_load_b32 v68, v1 offset:28
	s_wait_dscnt 0x0
	v_fmac_f32_e32 v28, v29, v68
.LBB106_149:                            ;   in Loop: Header=BB106_3 Depth=1
	s_or_b32 exec_lo, exec_lo, s1
	s_delay_alu instid0(VALU_DEP_1)
	v_xor_b32_e32 v28, 0x80000000, v28
.LBB106_150:                            ;   in Loop: Header=BB106_3 Depth=1
	s_or_b32 exec_lo, exec_lo, s10
	s_and_saveexec_b32 s1, s40
	s_cbranch_execz .LBB106_152
; %bb.151:                              ;   in Loop: Header=BB106_3 Depth=1
	ds_load_b32 v29, v1 offset:2080
	s_wait_dscnt 0x0
	v_mul_f32_e32 v28, v28, v29
	ds_store_b32 v42, v28
.LBB106_152:                            ;   in Loop: Header=BB106_3 Depth=1
	s_or_b32 exec_lo, exec_lo, s1
	s_wait_dscnt 0x0
	s_barrier_signal -1
	s_barrier_wait -1
	s_and_saveexec_b32 s1, s41
	s_cbranch_execz .LBB106_154
; %bb.153:                              ;   in Loop: Header=BB106_3 Depth=1
	ds_load_b32 v29, v41 offset:2080
	ds_load_b32 v68, v42
	s_wait_dscnt 0x0
	v_fmac_f32_e32 v28, v29, v68
.LBB106_154:                            ;   in Loop: Header=BB106_3 Depth=1
	s_or_b32 exec_lo, exec_lo, s1
	s_barrier_signal -1
	s_barrier_wait -1
	s_and_saveexec_b32 s1, s42
	s_cbranch_execz .LBB106_156
; %bb.155:                              ;   in Loop: Header=BB106_3 Depth=1
	ds_load_b32 v29, v1 offset:2340
	s_wait_dscnt 0x0
	v_mul_f32_e32 v28, v28, v29
	ds_store_b32 v42, v28
.LBB106_156:                            ;   in Loop: Header=BB106_3 Depth=1
	s_or_b32 exec_lo, exec_lo, s1
	s_wait_dscnt 0x0
	s_barrier_signal -1
	s_barrier_wait -1
	s_and_saveexec_b32 s1, s43
	s_cbranch_execz .LBB106_158
; %bb.157:                              ;   in Loop: Header=BB106_3 Depth=1
	ds_load_b32 v29, v41 offset:2336
	ds_load_b32 v68, v42
	s_wait_dscnt 0x0
	v_fmac_f32_e32 v28, v29, v68
.LBB106_158:                            ;   in Loop: Header=BB106_3 Depth=1
	s_or_b32 exec_lo, exec_lo, s1
	s_barrier_signal -1
	s_barrier_wait -1
	;; [unrolled: 23-line block ×7, first 2 shown]
	s_and_saveexec_b32 s1, s53
	s_cbranch_execz .LBB106_180
; %bb.179:                              ;   in Loop: Header=BB106_3 Depth=1
	ds_load_b32 v29, v1 offset:3900
	s_wait_dscnt 0x0
	v_mul_f32_e32 v28, v28, v29
	ds_store_b32 v42, v28
.LBB106_180:                            ;   in Loop: Header=BB106_3 Depth=1
	s_or_b32 exec_lo, exec_lo, s1
	s_wait_dscnt 0x0
	s_barrier_signal -1
	s_barrier_wait -1
	s_barrier_signal -1
	s_barrier_wait -1
	s_and_saveexec_b32 s1, s4
; %bb.181:                              ;   in Loop: Header=BB106_3 Depth=1
	v_xor_b32_e32 v28, 0x80000000, v28
	ds_store_b32 v43, v28 offset:32
; %bb.182:                              ;   in Loop: Header=BB106_3 Depth=1
	s_or_b32 exec_lo, exec_lo, s1
	s_wait_dscnt 0x0
	s_barrier_signal -1
	s_barrier_wait -1
	s_barrier_signal -1
	s_barrier_wait -1
	s_and_saveexec_b32 s1, s15
	s_cbranch_execz .LBB106_184
; %bb.183:                              ;   in Loop: Header=BB106_3 Depth=1
	ds_load_b64 v[28:29], v1 offset:2080
	ds_load_b32 v68, v1 offset:2340
	s_wait_dscnt 0x0
	v_mul_f32_e32 v28, v28, v68
	s_delay_alu instid0(VALU_DEP_1)
	v_mul_f32_e32 v28, v29, v28
	ds_store_b32 v1, v28 offset:2084
.LBB106_184:                            ;   in Loop: Header=BB106_3 Depth=1
	s_or_b32 exec_lo, exec_lo, s1
	v_mov_b32_e32 v28, 0
	s_wait_dscnt 0x0
	s_barrier_signal -1
	s_barrier_wait -1
	s_and_saveexec_b32 s10, s2
	s_cbranch_execz .LBB106_188
; %bb.185:                              ;   in Loop: Header=BB106_3 Depth=1
	ds_load_b32 v28, v32 offset:2088
	ds_load_b32 v29, v33 offset:2080
	s_wait_dscnt 0x0
	v_fma_f32 v28, v28, v29, 0
	s_and_saveexec_b32 s1, s16
	s_cbranch_execz .LBB106_187
; %bb.186:                              ;   in Loop: Header=BB106_3 Depth=1
	ds_load_b32 v29, v34 offset:2344
	ds_load_b32 v68, v1 offset:2084
	s_wait_dscnt 0x0
	v_fmac_f32_e32 v28, v29, v68
.LBB106_187:                            ;   in Loop: Header=BB106_3 Depth=1
	s_or_b32 exec_lo, exec_lo, s1
	s_delay_alu instid0(VALU_DEP_1)
	v_xor_b32_e32 v28, 0x80000000, v28
.LBB106_188:                            ;   in Loop: Header=BB106_3 Depth=1
	s_or_b32 exec_lo, exec_lo, s10
	s_and_saveexec_b32 s1, s102
	s_cbranch_execz .LBB106_190
; %bb.189:                              ;   in Loop: Header=BB106_3 Depth=1
	ds_load_b32 v29, v1 offset:2600
	s_wait_dscnt 0x0
	v_mul_f32_e32 v28, v28, v29
	ds_store_b32 v3, v28
.LBB106_190:                            ;   in Loop: Header=BB106_3 Depth=1
	s_or_b32 exec_lo, exec_lo, s1
	s_wait_dscnt 0x0
	s_barrier_signal -1
	s_barrier_wait -1
	s_and_saveexec_b32 s1, s103
	s_cbranch_execz .LBB106_192
; %bb.191:                              ;   in Loop: Header=BB106_3 Depth=1
	ds_load_b32 v29, v1 offset:2604
	ds_load_b32 v68, v3
	s_wait_dscnt 0x0
	v_fmac_f32_e32 v28, v29, v68
.LBB106_192:                            ;   in Loop: Header=BB106_3 Depth=1
	s_or_b32 exec_lo, exec_lo, s1
	s_barrier_signal -1
	s_barrier_wait -1
	s_and_saveexec_b32 s1, s103
	s_cbranch_execz .LBB106_194
; %bb.193:                              ;   in Loop: Header=BB106_3 Depth=1
	ds_load_b32 v29, v1 offset:2860
	s_wait_dscnt 0x0
	v_mul_f32_e32 v28, v28, v29
	ds_store_b32 v3, v28
.LBB106_194:                            ;   in Loop: Header=BB106_3 Depth=1
	s_or_b32 exec_lo, exec_lo, s1
	s_wait_dscnt 0x0
	s_barrier_signal -1
	s_barrier_wait -1
	s_barrier_signal -1
	s_barrier_wait -1
	s_and_saveexec_b32 s1, s2
; %bb.195:                              ;   in Loop: Header=BB106_3 Depth=1
	v_xor_b32_e32 v28, 0x80000000, v28
	ds_store_b32 v32, v28 offset:2088
; %bb.196:                              ;   in Loop: Header=BB106_3 Depth=1
	s_or_b32 exec_lo, exec_lo, s1
	s_wait_dscnt 0x0
	s_barrier_signal -1
	s_barrier_wait -1
	s_barrier_signal -1
	s_barrier_wait -1
	s_and_saveexec_b32 s1, s15
	s_cbranch_execz .LBB106_198
; %bb.197:                              ;   in Loop: Header=BB106_3 Depth=1
	ds_load_b64 v[28:29], v1 offset:2600
	ds_load_b32 v68, v1 offset:2860
	s_wait_dscnt 0x0
	v_mul_f32_e32 v28, v28, v68
	s_delay_alu instid0(VALU_DEP_1)
	v_mul_f32_e32 v28, v29, v28
	ds_store_b32 v1, v28 offset:2604
.LBB106_198:                            ;   in Loop: Header=BB106_3 Depth=1
	s_or_b32 exec_lo, exec_lo, s1
	v_mov_b32_e32 v28, 0
	s_wait_dscnt 0x0
	s_barrier_signal -1
	s_barrier_wait -1
	s_and_saveexec_b32 s10, s3
	s_cbranch_execz .LBB106_204
; %bb.199:                              ;   in Loop: Header=BB106_3 Depth=1
	ds_load_b32 v28, v38 offset:2096
	ds_load_b32 v29, v35 offset:2080
	s_wait_dscnt 0x0
	v_fma_f32 v28, v28, v29, 0
	s_and_saveexec_b32 s1, s17
	s_cbranch_execnz .LBB106_1152
; %bb.200:                              ;   in Loop: Header=BB106_3 Depth=1
	s_or_b32 exec_lo, exec_lo, s1
	s_and_saveexec_b32 s1, s18
	s_cbranch_execnz .LBB106_1153
.LBB106_201:                            ;   in Loop: Header=BB106_3 Depth=1
	s_or_b32 exec_lo, exec_lo, s1
	s_and_saveexec_b32 s1, s2
	s_cbranch_execz .LBB106_203
.LBB106_202:                            ;   in Loop: Header=BB106_3 Depth=1
	ds_load_b32 v29, v34 offset:2864
	ds_load_b32 v68, v1 offset:2092
	s_wait_dscnt 0x0
	v_fmac_f32_e32 v28, v29, v68
.LBB106_203:                            ;   in Loop: Header=BB106_3 Depth=1
	s_or_b32 exec_lo, exec_lo, s1
	s_delay_alu instid0(VALU_DEP_1)
	v_xor_b32_e32 v28, 0x80000000, v28
.LBB106_204:                            ;   in Loop: Header=BB106_3 Depth=1
	s_or_b32 exec_lo, exec_lo, s10
	s_and_saveexec_b32 s1, s104
	s_cbranch_execz .LBB106_206
; %bb.205:                              ;   in Loop: Header=BB106_3 Depth=1
	ds_load_b32 v29, v1 offset:3120
	s_wait_dscnt 0x0
	v_mul_f32_e32 v28, v28, v29
	ds_store_b32 v36, v28
.LBB106_206:                            ;   in Loop: Header=BB106_3 Depth=1
	s_or_b32 exec_lo, exec_lo, s1
	s_wait_dscnt 0x0
	s_barrier_signal -1
	s_barrier_wait -1
	s_and_saveexec_b32 s1, vcc_hi
	s_cbranch_execz .LBB106_208
; %bb.207:                              ;   in Loop: Header=BB106_3 Depth=1
	ds_load_b32 v29, v37 offset:3120
	ds_load_b32 v68, v36
	s_wait_dscnt 0x0
	v_fmac_f32_e32 v28, v29, v68
.LBB106_208:                            ;   in Loop: Header=BB106_3 Depth=1
	s_or_b32 exec_lo, exec_lo, s1
	s_barrier_signal -1
	s_barrier_wait -1
	s_and_saveexec_b32 s1, s36
	s_cbranch_execz .LBB106_210
; %bb.209:                              ;   in Loop: Header=BB106_3 Depth=1
	ds_load_b32 v29, v1 offset:3380
	s_wait_dscnt 0x0
	v_mul_f32_e32 v28, v28, v29
	ds_store_b32 v36, v28
.LBB106_210:                            ;   in Loop: Header=BB106_3 Depth=1
	s_or_b32 exec_lo, exec_lo, s1
	s_wait_dscnt 0x0
	s_barrier_signal -1
	s_barrier_wait -1
	s_and_saveexec_b32 s1, s37
	s_cbranch_execz .LBB106_212
; %bb.211:                              ;   in Loop: Header=BB106_3 Depth=1
	ds_load_b32 v29, v37 offset:3376
	ds_load_b32 v68, v36
	s_wait_dscnt 0x0
	v_fmac_f32_e32 v28, v29, v68
.LBB106_212:                            ;   in Loop: Header=BB106_3 Depth=1
	s_or_b32 exec_lo, exec_lo, s1
	s_barrier_signal -1
	s_barrier_wait -1
	s_and_saveexec_b32 s1, s38
	s_cbranch_execz .LBB106_214
; %bb.213:                              ;   in Loop: Header=BB106_3 Depth=1
	ds_load_b32 v29, v1 offset:3640
	s_wait_dscnt 0x0
	v_mul_f32_e32 v28, v28, v29
	ds_store_b32 v36, v28
.LBB106_214:                            ;   in Loop: Header=BB106_3 Depth=1
	s_or_b32 exec_lo, exec_lo, s1
	s_wait_dscnt 0x0
	s_barrier_signal -1
	s_barrier_wait -1
	s_and_saveexec_b32 s1, s39
	s_cbranch_execz .LBB106_216
; %bb.215:                              ;   in Loop: Header=BB106_3 Depth=1
	ds_load_b32 v29, v1 offset:3644
	ds_load_b32 v68, v36
	s_wait_dscnt 0x0
	v_fmac_f32_e32 v28, v29, v68
.LBB106_216:                            ;   in Loop: Header=BB106_3 Depth=1
	s_or_b32 exec_lo, exec_lo, s1
	s_barrier_signal -1
	s_barrier_wait -1
	s_and_saveexec_b32 s1, s39
	s_cbranch_execz .LBB106_218
; %bb.217:                              ;   in Loop: Header=BB106_3 Depth=1
	ds_load_b32 v29, v1 offset:3900
	s_wait_dscnt 0x0
	v_mul_f32_e32 v28, v28, v29
	ds_store_b32 v36, v28
.LBB106_218:                            ;   in Loop: Header=BB106_3 Depth=1
	s_or_b32 exec_lo, exec_lo, s1
	s_wait_dscnt 0x0
	s_barrier_signal -1
	s_barrier_wait -1
	s_barrier_signal -1
	s_barrier_wait -1
	s_and_saveexec_b32 s1, s3
; %bb.219:                              ;   in Loop: Header=BB106_3 Depth=1
	v_xor_b32_e32 v28, 0x80000000, v28
	ds_store_b32 v38, v28 offset:2096
; %bb.220:                              ;   in Loop: Header=BB106_3 Depth=1
	s_or_b32 exec_lo, exec_lo, s1
	s_wait_dscnt 0x0
	s_barrier_signal -1
	s_barrier_wait -1
	s_barrier_signal -1
	s_barrier_wait -1
	s_and_saveexec_b32 s1, s15
	s_cbranch_execz .LBB106_222
; %bb.221:                              ;   in Loop: Header=BB106_3 Depth=1
	ds_load_b64 v[28:29], v1 offset:3120
	ds_load_b32 v68, v1 offset:3380
	s_wait_dscnt 0x0
	v_mul_f32_e32 v28, v28, v68
	s_delay_alu instid0(VALU_DEP_1)
	v_mul_f32_e32 v28, v29, v28
	ds_store_b32 v1, v28 offset:3124
.LBB106_222:                            ;   in Loop: Header=BB106_3 Depth=1
	s_or_b32 exec_lo, exec_lo, s1
	v_mov_b32_e32 v28, 0
	s_wait_dscnt 0x0
	s_barrier_signal -1
	s_barrier_wait -1
	s_and_saveexec_b32 s10, s2
	s_cbranch_execz .LBB106_226
; %bb.223:                              ;   in Loop: Header=BB106_3 Depth=1
	ds_load_b32 v28, v32 offset:3128
	ds_load_b32 v29, v33 offset:3120
	s_wait_dscnt 0x0
	v_fma_f32 v28, v28, v29, 0
	s_and_saveexec_b32 s1, s16
	s_cbranch_execz .LBB106_225
; %bb.224:                              ;   in Loop: Header=BB106_3 Depth=1
	ds_load_b32 v29, v34 offset:3384
	ds_load_b32 v68, v1 offset:3124
	s_wait_dscnt 0x0
	v_fmac_f32_e32 v28, v29, v68
.LBB106_225:                            ;   in Loop: Header=BB106_3 Depth=1
	s_or_b32 exec_lo, exec_lo, s1
	s_delay_alu instid0(VALU_DEP_1)
	v_xor_b32_e32 v28, 0x80000000, v28
.LBB106_226:                            ;   in Loop: Header=BB106_3 Depth=1
	s_or_b32 exec_lo, exec_lo, s10
	s_and_saveexec_b32 s1, s102
	s_cbranch_execz .LBB106_228
; %bb.227:                              ;   in Loop: Header=BB106_3 Depth=1
	ds_load_b32 v29, v1 offset:3640
	s_wait_dscnt 0x0
	v_mul_f32_e32 v28, v28, v29
	ds_store_b32 v3, v28
.LBB106_228:                            ;   in Loop: Header=BB106_3 Depth=1
	s_or_b32 exec_lo, exec_lo, s1
	s_wait_dscnt 0x0
	s_barrier_signal -1
	s_barrier_wait -1
	s_and_saveexec_b32 s1, s103
	s_cbranch_execz .LBB106_230
; %bb.229:                              ;   in Loop: Header=BB106_3 Depth=1
	ds_load_b32 v29, v1 offset:3644
	ds_load_b32 v68, v3
	s_wait_dscnt 0x0
	v_fmac_f32_e32 v28, v29, v68
.LBB106_230:                            ;   in Loop: Header=BB106_3 Depth=1
	s_or_b32 exec_lo, exec_lo, s1
	s_barrier_signal -1
	s_barrier_wait -1
	s_and_saveexec_b32 s1, s103
	s_cbranch_execz .LBB106_232
; %bb.231:                              ;   in Loop: Header=BB106_3 Depth=1
	ds_load_b32 v29, v1 offset:3900
	s_wait_dscnt 0x0
	v_mul_f32_e32 v28, v28, v29
	ds_store_b32 v3, v28
.LBB106_232:                            ;   in Loop: Header=BB106_3 Depth=1
	s_or_b32 exec_lo, exec_lo, s1
	s_wait_dscnt 0x0
	s_barrier_signal -1
	s_barrier_wait -1
	s_barrier_signal -1
	s_barrier_wait -1
	s_and_saveexec_b32 s1, s2
; %bb.233:                              ;   in Loop: Header=BB106_3 Depth=1
	v_xor_b32_e32 v28, 0x80000000, v28
	ds_store_b32 v32, v28 offset:3128
; %bb.234:                              ;   in Loop: Header=BB106_3 Depth=1
	s_or_b32 exec_lo, exec_lo, s1
	s_wait_dscnt 0x0
	s_barrier_signal -1
	s_barrier_wait -1
	s_barrier_signal -1
	s_barrier_wait -1
	s_and_saveexec_b32 s1, s15
	s_cbranch_execz .LBB106_236
; %bb.235:                              ;   in Loop: Header=BB106_3 Depth=1
	ds_load_b64 v[28:29], v1 offset:3640
	ds_load_b32 v68, v1 offset:3900
	s_wait_dscnt 0x0
	v_mul_f32_e32 v28, v28, v68
	s_delay_alu instid0(VALU_DEP_1)
	v_mul_f32_e32 v28, v29, v28
	ds_store_b32 v1, v28 offset:3644
.LBB106_236:                            ;   in Loop: Header=BB106_3 Depth=1
	s_or_b32 exec_lo, exec_lo, s1
	v_mov_b32_e32 v28, 0
	s_wait_dscnt 0x0
	s_barrier_signal -1
	s_barrier_wait -1
	s_and_saveexec_b32 s69, s5
	s_cbranch_execz .LBB106_264
; %bb.237:                              ;   in Loop: Header=BB106_3 Depth=1
	ds_load_b32 v28, v48 offset:64
	ds_load_b32 v29, v45
	s_wait_dscnt 0x0
	v_fma_f32 v28, v28, v29, 0
	s_mov_b32 s1, exec_lo
	v_readlane_b32 s8, v76, 24
	s_and_b32 s8, s1, s8
	s_delay_alu instid0(SALU_CYCLE_1)
	s_mov_b32 exec_lo, s8
	s_cbranch_execz .LBB106_239
; %bb.238:                              ;   in Loop: Header=BB106_3 Depth=1
	ds_load_b32 v29, v49 offset:320
	ds_load_b32 v68, v45 offset:4
	s_wait_dscnt 0x0
	v_fmac_f32_e32 v28, v29, v68
.LBB106_239:                            ;   in Loop: Header=BB106_3 Depth=1
	s_or_b32 exec_lo, exec_lo, s1
	s_delay_alu instid0(SALU_CYCLE_1) | instskip(SKIP_2) | instid1(SALU_CYCLE_1)
	s_mov_b32 s1, exec_lo
	v_readlane_b32 s8, v76, 25
	s_and_b32 s8, s1, s8
	s_mov_b32 exec_lo, s8
	s_cbranch_execz .LBB106_241
; %bb.240:                              ;   in Loop: Header=BB106_3 Depth=1
	ds_load_b32 v29, v49 offset:576
	ds_load_b32 v68, v45 offset:8
	s_wait_dscnt 0x0
	v_fmac_f32_e32 v28, v29, v68
.LBB106_241:                            ;   in Loop: Header=BB106_3 Depth=1
	s_or_b32 exec_lo, exec_lo, s1
	s_delay_alu instid0(SALU_CYCLE_1) | instskip(SKIP_2) | instid1(SALU_CYCLE_1)
	s_mov_b32 s1, exec_lo
	v_readlane_b32 s8, v76, 26
	s_and_b32 s8, s1, s8
	;; [unrolled: 13-line block ×8, first 2 shown]
	s_mov_b32 exec_lo, s8
	s_cbranch_execz .LBB106_255
; %bb.254:                              ;   in Loop: Header=BB106_3 Depth=1
	ds_load_b32 v29, v49 offset:2368
	ds_load_b32 v68, v45 offset:36
	s_wait_dscnt 0x0
	v_fmac_f32_e32 v28, v29, v68
.LBB106_255:                            ;   in Loop: Header=BB106_3 Depth=1
	s_or_b32 exec_lo, exec_lo, s1
	s_and_saveexec_b32 s1, s9
	s_cbranch_execz .LBB106_257
; %bb.256:                              ;   in Loop: Header=BB106_3 Depth=1
	ds_load_b32 v29, v49 offset:2624
	ds_load_b32 v68, v45 offset:40
	s_wait_dscnt 0x0
	v_fmac_f32_e32 v28, v29, v68
.LBB106_257:                            ;   in Loop: Header=BB106_3 Depth=1
	s_or_b32 exec_lo, exec_lo, s1
	s_delay_alu instid0(SALU_CYCLE_1) | instskip(SKIP_2) | instid1(SALU_CYCLE_1)
	s_mov_b32 s1, exec_lo
	v_readlane_b32 s8, v75, 1
	s_and_b32 s8, s1, s8
	s_mov_b32 exec_lo, s8
	s_cbranch_execnz .LBB106_1154
; %bb.258:                              ;   in Loop: Header=BB106_3 Depth=1
	s_or_b32 exec_lo, exec_lo, s1
	s_and_saveexec_b32 s1, s4
	s_cbranch_execnz .LBB106_1155
.LBB106_259:                            ;   in Loop: Header=BB106_3 Depth=1
	s_or_b32 exec_lo, exec_lo, s1
	s_and_saveexec_b32 s1, s20
	s_cbranch_execnz .LBB106_1156
.LBB106_260:                            ;   in Loop: Header=BB106_3 Depth=1
	s_or_b32 exec_lo, exec_lo, s1
	s_and_saveexec_b32 s1, s22
	s_cbranch_execnz .LBB106_1157
.LBB106_261:                            ;   in Loop: Header=BB106_3 Depth=1
	s_or_b32 exec_lo, exec_lo, s1
	s_and_saveexec_b32 s1, s3
	s_cbranch_execz .LBB106_263
.LBB106_262:                            ;   in Loop: Header=BB106_3 Depth=1
	ds_load_b32 v29, v34 offset:3904
	ds_load_b32 v68, v1 offset:60
	s_wait_dscnt 0x0
	v_fmac_f32_e32 v28, v29, v68
.LBB106_263:                            ;   in Loop: Header=BB106_3 Depth=1
	s_or_b32 exec_lo, exec_lo, s1
	s_delay_alu instid0(VALU_DEP_1)
	v_xor_b32_e32 v28, 0x80000000, v28
.LBB106_264:                            ;   in Loop: Header=BB106_3 Depth=1
	s_or_b32 exec_lo, exec_lo, s69
	s_delay_alu instid0(SALU_CYCLE_1) | instskip(SKIP_2) | instid1(SALU_CYCLE_1)
	s_mov_b32 s1, exec_lo
	v_readlane_b32 s8, v78, 2
	s_and_b32 s8, s1, s8
	s_mov_b32 exec_lo, s8
	s_cbranch_execz .LBB106_266
; %bb.265:                              ;   in Loop: Header=BB106_3 Depth=1
	ds_load_b32 v29, v1 offset:4160
	s_wait_dscnt 0x0
	v_mul_f32_e32 v28, v28, v29
	ds_store_b32 v47, v28
.LBB106_266:                            ;   in Loop: Header=BB106_3 Depth=1
	s_or_b32 exec_lo, exec_lo, s1
	s_wait_dscnt 0x0
	s_barrier_signal -1
	s_barrier_wait -1
	s_mov_b32 s1, exec_lo
	v_readlane_b32 s8, v78, 3
	s_and_b32 s8, s1, s8
	s_delay_alu instid0(SALU_CYCLE_1)
	s_mov_b32 exec_lo, s8
	s_cbranch_execz .LBB106_268
; %bb.267:                              ;   in Loop: Header=BB106_3 Depth=1
	ds_load_b32 v29, v46 offset:4160
	ds_load_b32 v68, v47
	s_wait_dscnt 0x0
	v_fmac_f32_e32 v28, v29, v68
.LBB106_268:                            ;   in Loop: Header=BB106_3 Depth=1
	s_or_b32 exec_lo, exec_lo, s1
	s_barrier_signal -1
	s_barrier_wait -1
	s_mov_b32 s1, exec_lo
	v_readlane_b32 s8, v78, 4
	s_and_b32 s8, s1, s8
	s_delay_alu instid0(SALU_CYCLE_1)
	s_mov_b32 exec_lo, s8
	s_cbranch_execz .LBB106_270
; %bb.269:                              ;   in Loop: Header=BB106_3 Depth=1
	ds_load_b32 v29, v1 offset:4420
	s_wait_dscnt 0x0
	v_mul_f32_e32 v28, v28, v29
	ds_store_b32 v47, v28
.LBB106_270:                            ;   in Loop: Header=BB106_3 Depth=1
	s_or_b32 exec_lo, exec_lo, s1
	s_wait_dscnt 0x0
	s_barrier_signal -1
	s_barrier_wait -1
	s_and_saveexec_b32 s1, s57
	s_cbranch_execz .LBB106_272
; %bb.271:                              ;   in Loop: Header=BB106_3 Depth=1
	ds_load_b32 v29, v46 offset:4416
	ds_load_b32 v68, v47
	s_wait_dscnt 0x0
	v_fmac_f32_e32 v28, v29, v68
.LBB106_272:                            ;   in Loop: Header=BB106_3 Depth=1
	s_or_b32 exec_lo, exec_lo, s1
	s_barrier_signal -1
	s_barrier_wait -1
	s_and_saveexec_b32 s1, s58
	s_cbranch_execz .LBB106_274
; %bb.273:                              ;   in Loop: Header=BB106_3 Depth=1
	ds_load_b32 v29, v1 offset:4680
	s_wait_dscnt 0x0
	v_mul_f32_e32 v28, v28, v29
	ds_store_b32 v47, v28
.LBB106_274:                            ;   in Loop: Header=BB106_3 Depth=1
	s_or_b32 exec_lo, exec_lo, s1
	s_wait_dscnt 0x0
	s_barrier_signal -1
	s_barrier_wait -1
	s_and_saveexec_b32 s1, s65
	s_cbranch_execz .LBB106_276
; %bb.275:                              ;   in Loop: Header=BB106_3 Depth=1
	ds_load_b32 v29, v46 offset:4672
	ds_load_b32 v68, v47
	s_wait_dscnt 0x0
	v_fmac_f32_e32 v28, v29, v68
.LBB106_276:                            ;   in Loop: Header=BB106_3 Depth=1
	s_or_b32 exec_lo, exec_lo, s1
	s_barrier_signal -1
	s_barrier_wait -1
	s_and_saveexec_b32 s1, s66
	;; [unrolled: 23-line block ×14, first 2 shown]
	s_cbranch_execz .LBB106_326
; %bb.325:                              ;   in Loop: Header=BB106_3 Depth=1
	ds_load_b32 v29, v1 offset:8060
	s_wait_dscnt 0x0
	v_mul_f32_e32 v28, v28, v29
	ds_store_b32 v47, v28
.LBB106_326:                            ;   in Loop: Header=BB106_3 Depth=1
	s_or_b32 exec_lo, exec_lo, s1
	s_wait_dscnt 0x0
	s_barrier_signal -1
	s_barrier_wait -1
	s_barrier_signal -1
	s_barrier_wait -1
	s_and_saveexec_b32 s1, s5
; %bb.327:                              ;   in Loop: Header=BB106_3 Depth=1
	v_xor_b32_e32 v28, 0x80000000, v28
	ds_store_b32 v48, v28 offset:64
; %bb.328:                              ;   in Loop: Header=BB106_3 Depth=1
	s_or_b32 exec_lo, exec_lo, s1
	s_wait_dscnt 0x0
	s_barrier_signal -1
	s_barrier_wait -1
	s_barrier_signal -1
	s_barrier_wait -1
	s_and_saveexec_b32 s1, s15
	s_cbranch_execz .LBB106_330
; %bb.329:                              ;   in Loop: Header=BB106_3 Depth=1
	ds_load_b64 v[28:29], v1 offset:4160
	ds_load_b32 v68, v1 offset:4420
	s_wait_dscnt 0x0
	v_mul_f32_e32 v28, v28, v68
	s_delay_alu instid0(VALU_DEP_1)
	v_mul_f32_e32 v28, v29, v28
	ds_store_b32 v1, v28 offset:4164
.LBB106_330:                            ;   in Loop: Header=BB106_3 Depth=1
	s_or_b32 exec_lo, exec_lo, s1
	v_mov_b32_e32 v28, 0
	s_wait_dscnt 0x0
	s_barrier_signal -1
	s_barrier_wait -1
	s_and_saveexec_b32 s10, s2
	s_cbranch_execz .LBB106_334
; %bb.331:                              ;   in Loop: Header=BB106_3 Depth=1
	ds_load_b32 v28, v32 offset:4168
	ds_load_b32 v29, v33 offset:4160
	s_wait_dscnt 0x0
	v_fma_f32 v28, v28, v29, 0
	s_and_saveexec_b32 s1, s16
	s_cbranch_execz .LBB106_333
; %bb.332:                              ;   in Loop: Header=BB106_3 Depth=1
	ds_load_b32 v29, v34 offset:4424
	ds_load_b32 v68, v1 offset:4164
	s_wait_dscnt 0x0
	v_fmac_f32_e32 v28, v29, v68
.LBB106_333:                            ;   in Loop: Header=BB106_3 Depth=1
	s_or_b32 exec_lo, exec_lo, s1
	s_delay_alu instid0(VALU_DEP_1)
	v_xor_b32_e32 v28, 0x80000000, v28
.LBB106_334:                            ;   in Loop: Header=BB106_3 Depth=1
	s_or_b32 exec_lo, exec_lo, s10
	s_and_saveexec_b32 s1, s102
	s_cbranch_execz .LBB106_336
; %bb.335:                              ;   in Loop: Header=BB106_3 Depth=1
	ds_load_b32 v29, v1 offset:4680
	s_wait_dscnt 0x0
	v_mul_f32_e32 v28, v28, v29
	ds_store_b32 v3, v28
.LBB106_336:                            ;   in Loop: Header=BB106_3 Depth=1
	s_or_b32 exec_lo, exec_lo, s1
	s_wait_dscnt 0x0
	s_barrier_signal -1
	s_barrier_wait -1
	s_and_saveexec_b32 s1, s103
	s_cbranch_execz .LBB106_338
; %bb.337:                              ;   in Loop: Header=BB106_3 Depth=1
	ds_load_b32 v29, v1 offset:4684
	ds_load_b32 v68, v3
	s_wait_dscnt 0x0
	v_fmac_f32_e32 v28, v29, v68
.LBB106_338:                            ;   in Loop: Header=BB106_3 Depth=1
	s_or_b32 exec_lo, exec_lo, s1
	s_barrier_signal -1
	s_barrier_wait -1
	s_and_saveexec_b32 s1, s103
	s_cbranch_execz .LBB106_340
; %bb.339:                              ;   in Loop: Header=BB106_3 Depth=1
	ds_load_b32 v29, v1 offset:4940
	s_wait_dscnt 0x0
	v_mul_f32_e32 v28, v28, v29
	ds_store_b32 v3, v28
.LBB106_340:                            ;   in Loop: Header=BB106_3 Depth=1
	s_or_b32 exec_lo, exec_lo, s1
	s_wait_dscnt 0x0
	s_barrier_signal -1
	s_barrier_wait -1
	s_barrier_signal -1
	s_barrier_wait -1
	s_and_saveexec_b32 s1, s2
; %bb.341:                              ;   in Loop: Header=BB106_3 Depth=1
	v_xor_b32_e32 v28, 0x80000000, v28
	ds_store_b32 v32, v28 offset:4168
; %bb.342:                              ;   in Loop: Header=BB106_3 Depth=1
	s_or_b32 exec_lo, exec_lo, s1
	s_wait_dscnt 0x0
	s_barrier_signal -1
	s_barrier_wait -1
	s_barrier_signal -1
	s_barrier_wait -1
	s_and_saveexec_b32 s1, s15
	s_cbranch_execz .LBB106_344
; %bb.343:                              ;   in Loop: Header=BB106_3 Depth=1
	ds_load_b64 v[28:29], v1 offset:4680
	ds_load_b32 v68, v1 offset:4940
	s_wait_dscnt 0x0
	v_mul_f32_e32 v28, v28, v68
	s_delay_alu instid0(VALU_DEP_1)
	v_mul_f32_e32 v28, v29, v28
	ds_store_b32 v1, v28 offset:4684
.LBB106_344:                            ;   in Loop: Header=BB106_3 Depth=1
	s_or_b32 exec_lo, exec_lo, s1
	v_mov_b32_e32 v28, 0
	s_wait_dscnt 0x0
	s_barrier_signal -1
	s_barrier_wait -1
	s_and_saveexec_b32 s10, s3
	s_cbranch_execz .LBB106_350
; %bb.345:                              ;   in Loop: Header=BB106_3 Depth=1
	ds_load_b32 v28, v38 offset:4176
	ds_load_b32 v29, v35 offset:4160
	s_wait_dscnt 0x0
	v_fma_f32 v28, v28, v29, 0
	s_and_saveexec_b32 s1, s17
	s_cbranch_execnz .LBB106_1158
; %bb.346:                              ;   in Loop: Header=BB106_3 Depth=1
	s_or_b32 exec_lo, exec_lo, s1
	s_and_saveexec_b32 s1, s18
	s_cbranch_execnz .LBB106_1159
.LBB106_347:                            ;   in Loop: Header=BB106_3 Depth=1
	s_or_b32 exec_lo, exec_lo, s1
	s_and_saveexec_b32 s1, s2
	s_cbranch_execz .LBB106_349
.LBB106_348:                            ;   in Loop: Header=BB106_3 Depth=1
	ds_load_b32 v29, v34 offset:4944
	ds_load_b32 v68, v1 offset:4172
	s_wait_dscnt 0x0
	v_fmac_f32_e32 v28, v29, v68
.LBB106_349:                            ;   in Loop: Header=BB106_3 Depth=1
	s_or_b32 exec_lo, exec_lo, s1
	s_delay_alu instid0(VALU_DEP_1)
	v_xor_b32_e32 v28, 0x80000000, v28
.LBB106_350:                            ;   in Loop: Header=BB106_3 Depth=1
	s_or_b32 exec_lo, exec_lo, s10
	s_and_saveexec_b32 s1, s104
	s_cbranch_execz .LBB106_352
; %bb.351:                              ;   in Loop: Header=BB106_3 Depth=1
	ds_load_b32 v29, v1 offset:5200
	s_wait_dscnt 0x0
	v_mul_f32_e32 v28, v28, v29
	ds_store_b32 v36, v28
.LBB106_352:                            ;   in Loop: Header=BB106_3 Depth=1
	s_or_b32 exec_lo, exec_lo, s1
	s_wait_dscnt 0x0
	s_barrier_signal -1
	s_barrier_wait -1
	s_and_saveexec_b32 s1, vcc_hi
	s_cbranch_execz .LBB106_354
; %bb.353:                              ;   in Loop: Header=BB106_3 Depth=1
	ds_load_b32 v29, v37 offset:5200
	ds_load_b32 v68, v36
	s_wait_dscnt 0x0
	v_fmac_f32_e32 v28, v29, v68
.LBB106_354:                            ;   in Loop: Header=BB106_3 Depth=1
	s_or_b32 exec_lo, exec_lo, s1
	s_barrier_signal -1
	s_barrier_wait -1
	s_and_saveexec_b32 s1, s36
	s_cbranch_execz .LBB106_356
; %bb.355:                              ;   in Loop: Header=BB106_3 Depth=1
	ds_load_b32 v29, v1 offset:5460
	s_wait_dscnt 0x0
	v_mul_f32_e32 v28, v28, v29
	ds_store_b32 v36, v28
.LBB106_356:                            ;   in Loop: Header=BB106_3 Depth=1
	s_or_b32 exec_lo, exec_lo, s1
	s_wait_dscnt 0x0
	s_barrier_signal -1
	s_barrier_wait -1
	s_and_saveexec_b32 s1, s37
	s_cbranch_execz .LBB106_358
; %bb.357:                              ;   in Loop: Header=BB106_3 Depth=1
	ds_load_b32 v29, v37 offset:5456
	ds_load_b32 v68, v36
	s_wait_dscnt 0x0
	v_fmac_f32_e32 v28, v29, v68
.LBB106_358:                            ;   in Loop: Header=BB106_3 Depth=1
	s_or_b32 exec_lo, exec_lo, s1
	s_barrier_signal -1
	s_barrier_wait -1
	s_and_saveexec_b32 s1, s38
	s_cbranch_execz .LBB106_360
; %bb.359:                              ;   in Loop: Header=BB106_3 Depth=1
	ds_load_b32 v29, v1 offset:5720
	s_wait_dscnt 0x0
	v_mul_f32_e32 v28, v28, v29
	ds_store_b32 v36, v28
.LBB106_360:                            ;   in Loop: Header=BB106_3 Depth=1
	s_or_b32 exec_lo, exec_lo, s1
	s_wait_dscnt 0x0
	s_barrier_signal -1
	s_barrier_wait -1
	s_and_saveexec_b32 s1, s39
	s_cbranch_execz .LBB106_362
; %bb.361:                              ;   in Loop: Header=BB106_3 Depth=1
	ds_load_b32 v29, v1 offset:5724
	ds_load_b32 v68, v36
	s_wait_dscnt 0x0
	v_fmac_f32_e32 v28, v29, v68
.LBB106_362:                            ;   in Loop: Header=BB106_3 Depth=1
	s_or_b32 exec_lo, exec_lo, s1
	s_barrier_signal -1
	s_barrier_wait -1
	s_and_saveexec_b32 s1, s39
	s_cbranch_execz .LBB106_364
; %bb.363:                              ;   in Loop: Header=BB106_3 Depth=1
	ds_load_b32 v29, v1 offset:5980
	s_wait_dscnt 0x0
	v_mul_f32_e32 v28, v28, v29
	ds_store_b32 v36, v28
.LBB106_364:                            ;   in Loop: Header=BB106_3 Depth=1
	s_or_b32 exec_lo, exec_lo, s1
	s_wait_dscnt 0x0
	s_barrier_signal -1
	s_barrier_wait -1
	s_barrier_signal -1
	s_barrier_wait -1
	s_and_saveexec_b32 s1, s3
; %bb.365:                              ;   in Loop: Header=BB106_3 Depth=1
	v_xor_b32_e32 v28, 0x80000000, v28
	ds_store_b32 v38, v28 offset:4176
; %bb.366:                              ;   in Loop: Header=BB106_3 Depth=1
	s_or_b32 exec_lo, exec_lo, s1
	s_wait_dscnt 0x0
	s_barrier_signal -1
	s_barrier_wait -1
	s_barrier_signal -1
	s_barrier_wait -1
	s_and_saveexec_b32 s1, s15
	s_cbranch_execz .LBB106_368
; %bb.367:                              ;   in Loop: Header=BB106_3 Depth=1
	ds_load_b64 v[28:29], v1 offset:5200
	ds_load_b32 v68, v1 offset:5460
	s_wait_dscnt 0x0
	v_mul_f32_e32 v28, v28, v68
	s_delay_alu instid0(VALU_DEP_1)
	v_mul_f32_e32 v28, v29, v28
	ds_store_b32 v1, v28 offset:5204
.LBB106_368:                            ;   in Loop: Header=BB106_3 Depth=1
	s_or_b32 exec_lo, exec_lo, s1
	v_mov_b32_e32 v28, 0
	s_wait_dscnt 0x0
	s_barrier_signal -1
	s_barrier_wait -1
	s_and_saveexec_b32 s10, s2
	s_cbranch_execz .LBB106_372
; %bb.369:                              ;   in Loop: Header=BB106_3 Depth=1
	ds_load_b32 v28, v32 offset:5208
	ds_load_b32 v29, v33 offset:5200
	s_wait_dscnt 0x0
	v_fma_f32 v28, v28, v29, 0
	s_and_saveexec_b32 s1, s16
	s_cbranch_execz .LBB106_371
; %bb.370:                              ;   in Loop: Header=BB106_3 Depth=1
	ds_load_b32 v29, v34 offset:5464
	ds_load_b32 v68, v1 offset:5204
	s_wait_dscnt 0x0
	v_fmac_f32_e32 v28, v29, v68
.LBB106_371:                            ;   in Loop: Header=BB106_3 Depth=1
	s_or_b32 exec_lo, exec_lo, s1
	s_delay_alu instid0(VALU_DEP_1)
	v_xor_b32_e32 v28, 0x80000000, v28
.LBB106_372:                            ;   in Loop: Header=BB106_3 Depth=1
	s_or_b32 exec_lo, exec_lo, s10
	s_and_saveexec_b32 s1, s102
	s_cbranch_execz .LBB106_374
; %bb.373:                              ;   in Loop: Header=BB106_3 Depth=1
	ds_load_b32 v29, v1 offset:5720
	s_wait_dscnt 0x0
	v_mul_f32_e32 v28, v28, v29
	ds_store_b32 v3, v28
.LBB106_374:                            ;   in Loop: Header=BB106_3 Depth=1
	s_or_b32 exec_lo, exec_lo, s1
	s_wait_dscnt 0x0
	s_barrier_signal -1
	s_barrier_wait -1
	s_and_saveexec_b32 s1, s103
	s_cbranch_execz .LBB106_376
; %bb.375:                              ;   in Loop: Header=BB106_3 Depth=1
	ds_load_b32 v29, v1 offset:5724
	ds_load_b32 v68, v3
	s_wait_dscnt 0x0
	v_fmac_f32_e32 v28, v29, v68
.LBB106_376:                            ;   in Loop: Header=BB106_3 Depth=1
	s_or_b32 exec_lo, exec_lo, s1
	s_barrier_signal -1
	s_barrier_wait -1
	s_and_saveexec_b32 s1, s103
	s_cbranch_execz .LBB106_378
; %bb.377:                              ;   in Loop: Header=BB106_3 Depth=1
	ds_load_b32 v29, v1 offset:5980
	s_wait_dscnt 0x0
	v_mul_f32_e32 v28, v28, v29
	ds_store_b32 v3, v28
.LBB106_378:                            ;   in Loop: Header=BB106_3 Depth=1
	s_or_b32 exec_lo, exec_lo, s1
	s_wait_dscnt 0x0
	s_barrier_signal -1
	s_barrier_wait -1
	s_barrier_signal -1
	s_barrier_wait -1
	s_and_saveexec_b32 s1, s2
; %bb.379:                              ;   in Loop: Header=BB106_3 Depth=1
	v_xor_b32_e32 v28, 0x80000000, v28
	ds_store_b32 v32, v28 offset:5208
; %bb.380:                              ;   in Loop: Header=BB106_3 Depth=1
	s_or_b32 exec_lo, exec_lo, s1
	s_wait_dscnt 0x0
	s_barrier_signal -1
	s_barrier_wait -1
	s_barrier_signal -1
	s_barrier_wait -1
	s_and_saveexec_b32 s1, s15
	s_cbranch_execz .LBB106_382
; %bb.381:                              ;   in Loop: Header=BB106_3 Depth=1
	ds_load_b64 v[28:29], v1 offset:5720
	ds_load_b32 v68, v1 offset:5980
	s_wait_dscnt 0x0
	v_mul_f32_e32 v28, v28, v68
	s_delay_alu instid0(VALU_DEP_1)
	v_mul_f32_e32 v28, v29, v28
	ds_store_b32 v1, v28 offset:5724
.LBB106_382:                            ;   in Loop: Header=BB106_3 Depth=1
	s_or_b32 exec_lo, exec_lo, s1
	v_mov_b32_e32 v28, 0
	s_wait_dscnt 0x0
	s_barrier_signal -1
	s_barrier_wait -1
	s_and_saveexec_b32 s10, s4
	s_cbranch_execz .LBB106_392
; %bb.383:                              ;   in Loop: Header=BB106_3 Depth=1
	ds_load_b32 v28, v43 offset:4192
	ds_load_b32 v29, v40 offset:4160
	s_wait_dscnt 0x0
	v_fma_f32 v28, v28, v29, 0
	s_and_saveexec_b32 s1, s19
	s_cbranch_execnz .LBB106_1160
; %bb.384:                              ;   in Loop: Header=BB106_3 Depth=1
	s_or_b32 exec_lo, exec_lo, s1
	s_and_saveexec_b32 s1, s20
	s_cbranch_execnz .LBB106_1161
.LBB106_385:                            ;   in Loop: Header=BB106_3 Depth=1
	s_or_b32 exec_lo, exec_lo, s1
	s_and_saveexec_b32 s1, s21
	s_cbranch_execnz .LBB106_1162
.LBB106_386:                            ;   in Loop: Header=BB106_3 Depth=1
	s_or_b32 exec_lo, exec_lo, s1
	s_and_saveexec_b32 s1, s22
	s_cbranch_execnz .LBB106_1163
.LBB106_387:                            ;   in Loop: Header=BB106_3 Depth=1
	s_or_b32 exec_lo, exec_lo, s1
	s_and_saveexec_b32 s1, s23
	s_cbranch_execnz .LBB106_1164
.LBB106_388:                            ;   in Loop: Header=BB106_3 Depth=1
	s_or_b32 exec_lo, exec_lo, s1
	s_and_saveexec_b32 s1, s3
	s_cbranch_execnz .LBB106_1165
.LBB106_389:                            ;   in Loop: Header=BB106_3 Depth=1
	s_or_b32 exec_lo, exec_lo, s1
	s_and_saveexec_b32 s1, s18
	s_cbranch_execz .LBB106_391
.LBB106_390:                            ;   in Loop: Header=BB106_3 Depth=1
	ds_load_b32 v29, v34 offset:5984
	ds_load_b32 v68, v1 offset:4188
	s_wait_dscnt 0x0
	v_fmac_f32_e32 v28, v29, v68
.LBB106_391:                            ;   in Loop: Header=BB106_3 Depth=1
	s_or_b32 exec_lo, exec_lo, s1
	s_delay_alu instid0(VALU_DEP_1)
	v_xor_b32_e32 v28, 0x80000000, v28
.LBB106_392:                            ;   in Loop: Header=BB106_3 Depth=1
	s_or_b32 exec_lo, exec_lo, s10
	s_and_saveexec_b32 s1, s40
	s_cbranch_execz .LBB106_394
; %bb.393:                              ;   in Loop: Header=BB106_3 Depth=1
	ds_load_b32 v29, v1 offset:6240
	s_wait_dscnt 0x0
	v_mul_f32_e32 v28, v28, v29
	ds_store_b32 v42, v28
.LBB106_394:                            ;   in Loop: Header=BB106_3 Depth=1
	s_or_b32 exec_lo, exec_lo, s1
	s_wait_dscnt 0x0
	s_barrier_signal -1
	s_barrier_wait -1
	s_and_saveexec_b32 s1, s41
	s_cbranch_execz .LBB106_396
; %bb.395:                              ;   in Loop: Header=BB106_3 Depth=1
	ds_load_b32 v29, v41 offset:6240
	ds_load_b32 v68, v42
	s_wait_dscnt 0x0
	v_fmac_f32_e32 v28, v29, v68
.LBB106_396:                            ;   in Loop: Header=BB106_3 Depth=1
	s_or_b32 exec_lo, exec_lo, s1
	s_barrier_signal -1
	s_barrier_wait -1
	s_and_saveexec_b32 s1, s42
	s_cbranch_execz .LBB106_398
; %bb.397:                              ;   in Loop: Header=BB106_3 Depth=1
	ds_load_b32 v29, v1 offset:6500
	s_wait_dscnt 0x0
	v_mul_f32_e32 v28, v28, v29
	ds_store_b32 v42, v28
.LBB106_398:                            ;   in Loop: Header=BB106_3 Depth=1
	s_or_b32 exec_lo, exec_lo, s1
	s_wait_dscnt 0x0
	s_barrier_signal -1
	s_barrier_wait -1
	s_and_saveexec_b32 s1, s43
	s_cbranch_execz .LBB106_400
; %bb.399:                              ;   in Loop: Header=BB106_3 Depth=1
	ds_load_b32 v29, v41 offset:6496
	ds_load_b32 v68, v42
	s_wait_dscnt 0x0
	v_fmac_f32_e32 v28, v29, v68
.LBB106_400:                            ;   in Loop: Header=BB106_3 Depth=1
	s_or_b32 exec_lo, exec_lo, s1
	s_barrier_signal -1
	s_barrier_wait -1
	;; [unrolled: 23-line block ×7, first 2 shown]
	s_and_saveexec_b32 s1, s53
	s_cbranch_execz .LBB106_422
; %bb.421:                              ;   in Loop: Header=BB106_3 Depth=1
	ds_load_b32 v29, v1 offset:8060
	s_wait_dscnt 0x0
	v_mul_f32_e32 v28, v28, v29
	ds_store_b32 v42, v28
.LBB106_422:                            ;   in Loop: Header=BB106_3 Depth=1
	s_or_b32 exec_lo, exec_lo, s1
	s_wait_dscnt 0x0
	s_barrier_signal -1
	s_barrier_wait -1
	s_barrier_signal -1
	s_barrier_wait -1
	s_and_saveexec_b32 s1, s4
; %bb.423:                              ;   in Loop: Header=BB106_3 Depth=1
	v_xor_b32_e32 v28, 0x80000000, v28
	ds_store_b32 v43, v28 offset:4192
; %bb.424:                              ;   in Loop: Header=BB106_3 Depth=1
	s_or_b32 exec_lo, exec_lo, s1
	s_wait_dscnt 0x0
	s_barrier_signal -1
	s_barrier_wait -1
	s_barrier_signal -1
	s_barrier_wait -1
	s_and_saveexec_b32 s1, s15
	s_cbranch_execz .LBB106_426
; %bb.425:                              ;   in Loop: Header=BB106_3 Depth=1
	ds_load_b64 v[28:29], v1 offset:6240
	ds_load_b32 v68, v1 offset:6500
	s_wait_dscnt 0x0
	v_mul_f32_e32 v28, v28, v68
	s_delay_alu instid0(VALU_DEP_1)
	v_mul_f32_e32 v28, v29, v28
	ds_store_b32 v1, v28 offset:6244
.LBB106_426:                            ;   in Loop: Header=BB106_3 Depth=1
	s_or_b32 exec_lo, exec_lo, s1
	v_mov_b32_e32 v28, 0
	s_wait_dscnt 0x0
	s_barrier_signal -1
	s_barrier_wait -1
	s_and_saveexec_b32 s10, s2
	s_cbranch_execz .LBB106_430
; %bb.427:                              ;   in Loop: Header=BB106_3 Depth=1
	ds_load_b32 v28, v32 offset:6248
	ds_load_b32 v29, v33 offset:6240
	s_wait_dscnt 0x0
	v_fma_f32 v28, v28, v29, 0
	s_and_saveexec_b32 s1, s16
	s_cbranch_execz .LBB106_429
; %bb.428:                              ;   in Loop: Header=BB106_3 Depth=1
	ds_load_b32 v29, v34 offset:6504
	ds_load_b32 v68, v1 offset:6244
	s_wait_dscnt 0x0
	v_fmac_f32_e32 v28, v29, v68
.LBB106_429:                            ;   in Loop: Header=BB106_3 Depth=1
	s_or_b32 exec_lo, exec_lo, s1
	s_delay_alu instid0(VALU_DEP_1)
	v_xor_b32_e32 v28, 0x80000000, v28
.LBB106_430:                            ;   in Loop: Header=BB106_3 Depth=1
	s_or_b32 exec_lo, exec_lo, s10
	s_and_saveexec_b32 s1, s102
	s_cbranch_execz .LBB106_432
; %bb.431:                              ;   in Loop: Header=BB106_3 Depth=1
	ds_load_b32 v29, v1 offset:6760
	s_wait_dscnt 0x0
	v_mul_f32_e32 v28, v28, v29
	ds_store_b32 v3, v28
.LBB106_432:                            ;   in Loop: Header=BB106_3 Depth=1
	s_or_b32 exec_lo, exec_lo, s1
	s_wait_dscnt 0x0
	s_barrier_signal -1
	s_barrier_wait -1
	s_and_saveexec_b32 s1, s103
	s_cbranch_execz .LBB106_434
; %bb.433:                              ;   in Loop: Header=BB106_3 Depth=1
	ds_load_b32 v29, v1 offset:6764
	ds_load_b32 v68, v3
	s_wait_dscnt 0x0
	v_fmac_f32_e32 v28, v29, v68
.LBB106_434:                            ;   in Loop: Header=BB106_3 Depth=1
	s_or_b32 exec_lo, exec_lo, s1
	s_barrier_signal -1
	s_barrier_wait -1
	s_and_saveexec_b32 s1, s103
	s_cbranch_execz .LBB106_436
; %bb.435:                              ;   in Loop: Header=BB106_3 Depth=1
	ds_load_b32 v29, v1 offset:7020
	s_wait_dscnt 0x0
	v_mul_f32_e32 v28, v28, v29
	ds_store_b32 v3, v28
.LBB106_436:                            ;   in Loop: Header=BB106_3 Depth=1
	s_or_b32 exec_lo, exec_lo, s1
	s_wait_dscnt 0x0
	s_barrier_signal -1
	s_barrier_wait -1
	s_barrier_signal -1
	s_barrier_wait -1
	s_and_saveexec_b32 s1, s2
; %bb.437:                              ;   in Loop: Header=BB106_3 Depth=1
	v_xor_b32_e32 v28, 0x80000000, v28
	ds_store_b32 v32, v28 offset:6248
; %bb.438:                              ;   in Loop: Header=BB106_3 Depth=1
	s_or_b32 exec_lo, exec_lo, s1
	s_wait_dscnt 0x0
	s_barrier_signal -1
	s_barrier_wait -1
	s_barrier_signal -1
	s_barrier_wait -1
	s_and_saveexec_b32 s1, s15
	s_cbranch_execz .LBB106_440
; %bb.439:                              ;   in Loop: Header=BB106_3 Depth=1
	ds_load_b64 v[28:29], v1 offset:6760
	ds_load_b32 v68, v1 offset:7020
	s_wait_dscnt 0x0
	v_mul_f32_e32 v28, v28, v68
	s_delay_alu instid0(VALU_DEP_1)
	v_mul_f32_e32 v28, v29, v28
	ds_store_b32 v1, v28 offset:6764
.LBB106_440:                            ;   in Loop: Header=BB106_3 Depth=1
	s_or_b32 exec_lo, exec_lo, s1
	v_mov_b32_e32 v28, 0
	s_wait_dscnt 0x0
	s_barrier_signal -1
	s_barrier_wait -1
	s_and_saveexec_b32 s10, s3
	s_cbranch_execz .LBB106_446
; %bb.441:                              ;   in Loop: Header=BB106_3 Depth=1
	ds_load_b32 v28, v38 offset:6256
	ds_load_b32 v29, v35 offset:6240
	s_wait_dscnt 0x0
	v_fma_f32 v28, v28, v29, 0
	s_and_saveexec_b32 s1, s17
	s_cbranch_execnz .LBB106_1166
; %bb.442:                              ;   in Loop: Header=BB106_3 Depth=1
	s_or_b32 exec_lo, exec_lo, s1
	s_and_saveexec_b32 s1, s18
	s_cbranch_execnz .LBB106_1167
.LBB106_443:                            ;   in Loop: Header=BB106_3 Depth=1
	s_or_b32 exec_lo, exec_lo, s1
	s_and_saveexec_b32 s1, s2
	s_cbranch_execz .LBB106_445
.LBB106_444:                            ;   in Loop: Header=BB106_3 Depth=1
	ds_load_b32 v29, v34 offset:7024
	ds_load_b32 v68, v1 offset:6252
	s_wait_dscnt 0x0
	v_fmac_f32_e32 v28, v29, v68
.LBB106_445:                            ;   in Loop: Header=BB106_3 Depth=1
	s_or_b32 exec_lo, exec_lo, s1
	s_delay_alu instid0(VALU_DEP_1)
	v_xor_b32_e32 v28, 0x80000000, v28
.LBB106_446:                            ;   in Loop: Header=BB106_3 Depth=1
	s_or_b32 exec_lo, exec_lo, s10
	s_and_saveexec_b32 s1, s104
	s_cbranch_execz .LBB106_448
; %bb.447:                              ;   in Loop: Header=BB106_3 Depth=1
	ds_load_b32 v29, v1 offset:7280
	s_wait_dscnt 0x0
	v_mul_f32_e32 v28, v28, v29
	ds_store_b32 v36, v28
.LBB106_448:                            ;   in Loop: Header=BB106_3 Depth=1
	s_or_b32 exec_lo, exec_lo, s1
	s_wait_dscnt 0x0
	s_barrier_signal -1
	s_barrier_wait -1
	s_and_saveexec_b32 s1, vcc_hi
	s_cbranch_execz .LBB106_450
; %bb.449:                              ;   in Loop: Header=BB106_3 Depth=1
	ds_load_b32 v29, v37 offset:7280
	ds_load_b32 v68, v36
	s_wait_dscnt 0x0
	v_fmac_f32_e32 v28, v29, v68
.LBB106_450:                            ;   in Loop: Header=BB106_3 Depth=1
	s_or_b32 exec_lo, exec_lo, s1
	s_barrier_signal -1
	s_barrier_wait -1
	s_and_saveexec_b32 s1, s36
	s_cbranch_execz .LBB106_452
; %bb.451:                              ;   in Loop: Header=BB106_3 Depth=1
	ds_load_b32 v29, v1 offset:7540
	s_wait_dscnt 0x0
	v_mul_f32_e32 v28, v28, v29
	ds_store_b32 v36, v28
.LBB106_452:                            ;   in Loop: Header=BB106_3 Depth=1
	s_or_b32 exec_lo, exec_lo, s1
	s_wait_dscnt 0x0
	s_barrier_signal -1
	s_barrier_wait -1
	s_and_saveexec_b32 s1, s37
	s_cbranch_execz .LBB106_454
; %bb.453:                              ;   in Loop: Header=BB106_3 Depth=1
	ds_load_b32 v29, v37 offset:7536
	ds_load_b32 v68, v36
	s_wait_dscnt 0x0
	v_fmac_f32_e32 v28, v29, v68
.LBB106_454:                            ;   in Loop: Header=BB106_3 Depth=1
	s_or_b32 exec_lo, exec_lo, s1
	s_barrier_signal -1
	s_barrier_wait -1
	s_and_saveexec_b32 s1, s38
	s_cbranch_execz .LBB106_456
; %bb.455:                              ;   in Loop: Header=BB106_3 Depth=1
	ds_load_b32 v29, v1 offset:7800
	s_wait_dscnt 0x0
	v_mul_f32_e32 v28, v28, v29
	ds_store_b32 v36, v28
.LBB106_456:                            ;   in Loop: Header=BB106_3 Depth=1
	s_or_b32 exec_lo, exec_lo, s1
	s_wait_dscnt 0x0
	s_barrier_signal -1
	s_barrier_wait -1
	s_and_saveexec_b32 s1, s39
	s_cbranch_execz .LBB106_458
; %bb.457:                              ;   in Loop: Header=BB106_3 Depth=1
	ds_load_b32 v29, v1 offset:7804
	ds_load_b32 v68, v36
	s_wait_dscnt 0x0
	v_fmac_f32_e32 v28, v29, v68
.LBB106_458:                            ;   in Loop: Header=BB106_3 Depth=1
	s_or_b32 exec_lo, exec_lo, s1
	s_barrier_signal -1
	s_barrier_wait -1
	s_and_saveexec_b32 s1, s39
	s_cbranch_execz .LBB106_460
; %bb.459:                              ;   in Loop: Header=BB106_3 Depth=1
	ds_load_b32 v29, v1 offset:8060
	s_wait_dscnt 0x0
	v_mul_f32_e32 v28, v28, v29
	ds_store_b32 v36, v28
.LBB106_460:                            ;   in Loop: Header=BB106_3 Depth=1
	s_or_b32 exec_lo, exec_lo, s1
	s_wait_dscnt 0x0
	s_barrier_signal -1
	s_barrier_wait -1
	s_barrier_signal -1
	s_barrier_wait -1
	s_and_saveexec_b32 s1, s3
; %bb.461:                              ;   in Loop: Header=BB106_3 Depth=1
	v_xor_b32_e32 v28, 0x80000000, v28
	ds_store_b32 v38, v28 offset:6256
; %bb.462:                              ;   in Loop: Header=BB106_3 Depth=1
	s_or_b32 exec_lo, exec_lo, s1
	s_wait_dscnt 0x0
	s_barrier_signal -1
	s_barrier_wait -1
	s_barrier_signal -1
	s_barrier_wait -1
	s_and_saveexec_b32 s1, s15
	s_cbranch_execz .LBB106_464
; %bb.463:                              ;   in Loop: Header=BB106_3 Depth=1
	ds_load_b64 v[28:29], v1 offset:7280
	ds_load_b32 v68, v1 offset:7540
	s_wait_dscnt 0x0
	v_mul_f32_e32 v28, v28, v68
	s_delay_alu instid0(VALU_DEP_1)
	v_mul_f32_e32 v28, v29, v28
	ds_store_b32 v1, v28 offset:7284
.LBB106_464:                            ;   in Loop: Header=BB106_3 Depth=1
	s_or_b32 exec_lo, exec_lo, s1
	v_mov_b32_e32 v28, 0
	s_wait_dscnt 0x0
	s_barrier_signal -1
	s_barrier_wait -1
	s_and_saveexec_b32 s10, s2
	s_cbranch_execz .LBB106_468
; %bb.465:                              ;   in Loop: Header=BB106_3 Depth=1
	ds_load_b32 v28, v32 offset:7288
	ds_load_b32 v29, v33 offset:7280
	s_wait_dscnt 0x0
	v_fma_f32 v28, v28, v29, 0
	s_and_saveexec_b32 s1, s16
	s_cbranch_execz .LBB106_467
; %bb.466:                              ;   in Loop: Header=BB106_3 Depth=1
	ds_load_b32 v29, v34 offset:7544
	ds_load_b32 v68, v1 offset:7284
	s_wait_dscnt 0x0
	v_fmac_f32_e32 v28, v29, v68
.LBB106_467:                            ;   in Loop: Header=BB106_3 Depth=1
	s_or_b32 exec_lo, exec_lo, s1
	s_delay_alu instid0(VALU_DEP_1)
	v_xor_b32_e32 v28, 0x80000000, v28
.LBB106_468:                            ;   in Loop: Header=BB106_3 Depth=1
	s_or_b32 exec_lo, exec_lo, s10
	s_and_saveexec_b32 s1, s102
	s_cbranch_execz .LBB106_470
; %bb.469:                              ;   in Loop: Header=BB106_3 Depth=1
	ds_load_b32 v29, v1 offset:7800
	s_wait_dscnt 0x0
	v_mul_f32_e32 v28, v28, v29
	ds_store_b32 v3, v28
.LBB106_470:                            ;   in Loop: Header=BB106_3 Depth=1
	s_or_b32 exec_lo, exec_lo, s1
	s_wait_dscnt 0x0
	s_barrier_signal -1
	s_barrier_wait -1
	s_and_saveexec_b32 s1, s103
	s_cbranch_execz .LBB106_472
; %bb.471:                              ;   in Loop: Header=BB106_3 Depth=1
	ds_load_b32 v29, v1 offset:7804
	ds_load_b32 v68, v3
	s_wait_dscnt 0x0
	v_fmac_f32_e32 v28, v29, v68
.LBB106_472:                            ;   in Loop: Header=BB106_3 Depth=1
	s_or_b32 exec_lo, exec_lo, s1
	s_barrier_signal -1
	s_barrier_wait -1
	s_and_saveexec_b32 s1, s103
	s_cbranch_execz .LBB106_474
; %bb.473:                              ;   in Loop: Header=BB106_3 Depth=1
	ds_load_b32 v29, v1 offset:8060
	s_wait_dscnt 0x0
	v_mul_f32_e32 v28, v28, v29
	ds_store_b32 v3, v28
.LBB106_474:                            ;   in Loop: Header=BB106_3 Depth=1
	s_or_b32 exec_lo, exec_lo, s1
	s_wait_dscnt 0x0
	s_barrier_signal -1
	s_barrier_wait -1
	s_barrier_signal -1
	s_barrier_wait -1
	s_and_saveexec_b32 s1, s2
; %bb.475:                              ;   in Loop: Header=BB106_3 Depth=1
	v_xor_b32_e32 v28, 0x80000000, v28
	ds_store_b32 v32, v28 offset:7288
; %bb.476:                              ;   in Loop: Header=BB106_3 Depth=1
	s_or_b32 exec_lo, exec_lo, s1
	s_wait_dscnt 0x0
	s_barrier_signal -1
	s_barrier_wait -1
	s_barrier_signal -1
	s_barrier_wait -1
	s_and_saveexec_b32 s1, s15
	s_cbranch_execz .LBB106_478
; %bb.477:                              ;   in Loop: Header=BB106_3 Depth=1
	ds_load_b64 v[28:29], v1 offset:7800
	ds_load_b32 v68, v1 offset:8060
	s_wait_dscnt 0x0
	v_mul_f32_e32 v28, v28, v68
	s_delay_alu instid0(VALU_DEP_1)
	v_mul_f32_e32 v28, v29, v28
	ds_store_b32 v1, v28 offset:7804
.LBB106_478:                            ;   in Loop: Header=BB106_3 Depth=1
	s_or_b32 exec_lo, exec_lo, s1
	v_mov_b32_e32 v28, 0
	s_wait_dscnt 0x0
	s_barrier_signal -1
	s_barrier_wait -1
	s_and_saveexec_b32 s69, s6
	s_cbranch_execz .LBB106_539
; %bb.479:                              ;   in Loop: Header=BB106_3 Depth=1
	v_add_nc_u32_e32 v29, v52, v50
	ds_load_b32 v28, v54 offset:128
	ds_load_b32 v68, v29
	s_wait_dscnt 0x0
	v_fma_f32 v28, v28, v68, 0
	s_mov_b32 s1, exec_lo
	v_readlane_b32 s8, v75, 2
	s_and_b32 s8, s1, s8
	s_delay_alu instid0(SALU_CYCLE_1)
	s_mov_b32 exec_lo, s8
	s_cbranch_execz .LBB106_481
; %bb.480:                              ;   in Loop: Header=BB106_3 Depth=1
	ds_load_b32 v68, v54 offset:384
	ds_load_b32 v69, v29 offset:4
	s_wait_dscnt 0x0
	v_fmac_f32_e32 v28, v68, v69
.LBB106_481:                            ;   in Loop: Header=BB106_3 Depth=1
	s_or_b32 exec_lo, exec_lo, s1
	s_delay_alu instid0(SALU_CYCLE_1) | instskip(SKIP_2) | instid1(SALU_CYCLE_1)
	s_mov_b32 s1, exec_lo
	v_readlane_b32 s8, v75, 3
	s_and_b32 s8, s1, s8
	s_mov_b32 exec_lo, s8
	s_cbranch_execz .LBB106_483
; %bb.482:                              ;   in Loop: Header=BB106_3 Depth=1
	ds_load_b32 v68, v54 offset:640
	ds_load_b32 v69, v29 offset:8
	s_wait_dscnt 0x0
	v_fmac_f32_e32 v28, v68, v69
.LBB106_483:                            ;   in Loop: Header=BB106_3 Depth=1
	s_or_b32 exec_lo, exec_lo, s1
	s_delay_alu instid0(SALU_CYCLE_1) | instskip(SKIP_2) | instid1(SALU_CYCLE_1)
	s_mov_b32 s1, exec_lo
	v_readlane_b32 s8, v75, 4
	s_and_b32 s8, s1, s8
	;; [unrolled: 13-line block ×22, first 2 shown]
	s_mov_b32 exec_lo, s8
	s_cbranch_execz .LBB106_525
; %bb.524:                              ;   in Loop: Header=BB106_3 Depth=1
	ds_load_b32 v68, v54 offset:6016
	ds_load_b32 v69, v29 offset:92
	s_wait_dscnt 0x0
	v_fmac_f32_e32 v28, v68, v69
.LBB106_525:                            ;   in Loop: Header=BB106_3 Depth=1
	s_or_b32 exec_lo, exec_lo, s1
	s_and_saveexec_b32 s1, s5
	s_cbranch_execz .LBB106_527
; %bb.526:                              ;   in Loop: Header=BB106_3 Depth=1
	ds_load_b32 v68, v54 offset:6272
	ds_load_b32 v69, v29 offset:96
	s_wait_dscnt 0x0
	v_fmac_f32_e32 v28, v68, v69
.LBB106_527:                            ;   in Loop: Header=BB106_3 Depth=1
	s_or_b32 exec_lo, exec_lo, s1
	s_delay_alu instid0(SALU_CYCLE_1) | instskip(SKIP_2) | instid1(SALU_CYCLE_1)
	s_mov_b32 s1, exec_lo
	v_readlane_b32 s8, v76, 25
	s_and_b32 s8, s1, s8
	s_mov_b32 exec_lo, s8
	s_cbranch_execz .LBB106_529
; %bb.528:                              ;   in Loop: Header=BB106_3 Depth=1
	ds_load_b32 v68, v54 offset:6528
	ds_load_b32 v69, v29 offset:100
	s_wait_dscnt 0x0
	v_fmac_f32_e32 v28, v68, v69
.LBB106_529:                            ;   in Loop: Header=BB106_3 Depth=1
	s_or_b32 exec_lo, exec_lo, s1
	s_delay_alu instid0(SALU_CYCLE_1) | instskip(SKIP_2) | instid1(SALU_CYCLE_1)
	s_mov_b32 s1, exec_lo
	v_readlane_b32 s8, v76, 27
	s_and_b32 s8, s1, s8
	s_mov_b32 exec_lo, s8
	s_cbranch_execz .LBB106_531
; %bb.530:                              ;   in Loop: Header=BB106_3 Depth=1
	ds_load_b32 v68, v54 offset:6784
	ds_load_b32 v69, v29 offset:104
	s_wait_dscnt 0x0
	v_fmac_f32_e32 v28, v68, v69
.LBB106_531:                            ;   in Loop: Header=BB106_3 Depth=1
	s_or_b32 exec_lo, exec_lo, s1
	s_delay_alu instid0(SALU_CYCLE_1) | instskip(SKIP_2) | instid1(SALU_CYCLE_1)
	s_mov_b32 s1, exec_lo
	v_readlane_b32 s8, v76, 29
	s_and_b32 s8, s1, s8
	s_mov_b32 exec_lo, s8
	s_cbranch_execz .LBB106_533
; %bb.532:                              ;   in Loop: Header=BB106_3 Depth=1
	ds_load_b32 v68, v54 offset:7040
	ds_load_b32 v69, v29 offset:108
	s_wait_dscnt 0x0
	v_fmac_f32_e32 v28, v68, v69
.LBB106_533:                            ;   in Loop: Header=BB106_3 Depth=1
	s_or_b32 exec_lo, exec_lo, s1
	s_delay_alu instid0(SALU_CYCLE_1) | instskip(SKIP_2) | instid1(SALU_CYCLE_1)
	s_mov_b32 s1, exec_lo
	v_readlane_b32 s8, v76, 31
	s_and_b32 s8, s1, s8
	s_mov_b32 exec_lo, s8
	s_cbranch_execnz .LBB106_1168
; %bb.534:                              ;   in Loop: Header=BB106_3 Depth=1
	s_or_b32 exec_lo, exec_lo, s1
	s_and_saveexec_b32 s1, s9
	s_cbranch_execnz .LBB106_1169
.LBB106_535:                            ;   in Loop: Header=BB106_3 Depth=1
	s_or_b32 exec_lo, exec_lo, s1
	s_and_saveexec_b32 s1, s4
	s_cbranch_execnz .LBB106_1170
.LBB106_536:                            ;   in Loop: Header=BB106_3 Depth=1
	s_or_b32 exec_lo, exec_lo, s1
	s_and_saveexec_b32 s1, s22
	s_cbranch_execz .LBB106_538
.LBB106_537:                            ;   in Loop: Header=BB106_3 Depth=1
	ds_load_b32 v29, v34 offset:8064
	ds_load_b32 v68, v1 offset:124
	s_wait_dscnt 0x0
	v_fmac_f32_e32 v28, v29, v68
.LBB106_538:                            ;   in Loop: Header=BB106_3 Depth=1
	s_or_b32 exec_lo, exec_lo, s1
	s_delay_alu instid0(VALU_DEP_1)
	v_xor_b32_e32 v28, 0x80000000, v28
.LBB106_539:                            ;   in Loop: Header=BB106_3 Depth=1
	s_or_b32 exec_lo, exec_lo, s69
	s_delay_alu instid0(SALU_CYCLE_1) | instskip(SKIP_2) | instid1(SALU_CYCLE_1)
	s_mov_b32 s1, exec_lo
	v_readlane_b32 s8, v78, 5
	s_and_b32 s8, s1, s8
	s_mov_b32 exec_lo, s8
	s_cbranch_execz .LBB106_541
; %bb.540:                              ;   in Loop: Header=BB106_3 Depth=1
	ds_load_b32 v29, v1 offset:8320
	s_wait_dscnt 0x0
	v_mul_f32_e32 v28, v28, v29
	ds_store_b32 v51, v28
.LBB106_541:                            ;   in Loop: Header=BB106_3 Depth=1
	s_or_b32 exec_lo, exec_lo, s1
	s_wait_dscnt 0x0
	s_barrier_signal -1
	s_barrier_wait -1
	s_mov_b32 s1, exec_lo
	v_readlane_b32 s8, v78, 6
	s_and_b32 s8, s1, s8
	s_delay_alu instid0(SALU_CYCLE_1)
	s_mov_b32 exec_lo, s8
	s_cbranch_execz .LBB106_543
; %bb.542:                              ;   in Loop: Header=BB106_3 Depth=1
	ds_load_b32 v29, v53 offset:8320
	ds_load_b32 v68, v51
	s_wait_dscnt 0x0
	v_fmac_f32_e32 v28, v29, v68
.LBB106_543:                            ;   in Loop: Header=BB106_3 Depth=1
	s_or_b32 exec_lo, exec_lo, s1
	s_barrier_signal -1
	s_barrier_wait -1
	s_mov_b32 s1, exec_lo
	v_readlane_b32 s8, v78, 7
	s_and_b32 s8, s1, s8
	s_delay_alu instid0(SALU_CYCLE_1)
	s_mov_b32 exec_lo, s8
	s_cbranch_execz .LBB106_545
; %bb.544:                              ;   in Loop: Header=BB106_3 Depth=1
	ds_load_b32 v29, v1 offset:8580
	s_wait_dscnt 0x0
	v_mul_f32_e32 v28, v28, v29
	ds_store_b32 v51, v28
.LBB106_545:                            ;   in Loop: Header=BB106_3 Depth=1
	s_or_b32 exec_lo, exec_lo, s1
	s_wait_dscnt 0x0
	s_barrier_signal -1
	s_barrier_wait -1
	s_mov_b32 s1, exec_lo
	v_readlane_b32 s8, v78, 8
	s_and_b32 s8, s1, s8
	s_delay_alu instid0(SALU_CYCLE_1)
	s_mov_b32 exec_lo, s8
	s_cbranch_execz .LBB106_547
; %bb.546:                              ;   in Loop: Header=BB106_3 Depth=1
	ds_load_b32 v29, v53 offset:8576
	ds_load_b32 v68, v51
	s_wait_dscnt 0x0
	v_fmac_f32_e32 v28, v29, v68
.LBB106_547:                            ;   in Loop: Header=BB106_3 Depth=1
	s_or_b32 exec_lo, exec_lo, s1
	s_barrier_signal -1
	s_barrier_wait -1
	s_mov_b32 s1, exec_lo
	v_readlane_b32 s8, v78, 9
	s_and_b32 s8, s1, s8
	s_delay_alu instid0(SALU_CYCLE_1)
	;; [unrolled: 31-line block ×30, first 2 shown]
	s_mov_b32 exec_lo, s8
	s_cbranch_execz .LBB106_661
; %bb.660:                              ;   in Loop: Header=BB106_3 Depth=1
	ds_load_b32 v29, v1 offset:16120
	s_wait_dscnt 0x0
	v_mul_f32_e32 v28, v28, v29
	ds_store_b32 v51, v28
.LBB106_661:                            ;   in Loop: Header=BB106_3 Depth=1
	s_or_b32 exec_lo, exec_lo, s1
	s_wait_dscnt 0x0
	s_barrier_signal -1
	s_barrier_wait -1
	s_and_saveexec_b32 s1, s13
	s_cbranch_execz .LBB106_663
; %bb.662:                              ;   in Loop: Header=BB106_3 Depth=1
	ds_load_b32 v29, v1 offset:16124
	ds_load_b32 v68, v51
	s_wait_dscnt 0x0
	v_fmac_f32_e32 v28, v29, v68
.LBB106_663:                            ;   in Loop: Header=BB106_3 Depth=1
	s_or_b32 exec_lo, exec_lo, s1
	s_barrier_signal -1
	s_barrier_wait -1
	s_and_saveexec_b32 s1, s13
	s_cbranch_execz .LBB106_665
; %bb.664:                              ;   in Loop: Header=BB106_3 Depth=1
	ds_load_b32 v29, v1 offset:16380
	s_wait_dscnt 0x0
	v_mul_f32_e32 v28, v28, v29
	ds_store_b32 v51, v28
.LBB106_665:                            ;   in Loop: Header=BB106_3 Depth=1
	s_or_b32 exec_lo, exec_lo, s1
	s_wait_dscnt 0x0
	s_barrier_signal -1
	s_barrier_wait -1
	s_barrier_signal -1
	s_barrier_wait -1
	s_and_saveexec_b32 s1, s6
; %bb.666:                              ;   in Loop: Header=BB106_3 Depth=1
	v_xor_b32_e32 v28, 0x80000000, v28
	ds_store_b32 v54, v28 offset:128
; %bb.667:                              ;   in Loop: Header=BB106_3 Depth=1
	s_or_b32 exec_lo, exec_lo, s1
	s_wait_dscnt 0x0
	s_barrier_signal -1
	s_barrier_wait -1
	s_barrier_signal -1
	s_barrier_wait -1
	s_and_saveexec_b32 s1, s15
	s_cbranch_execz .LBB106_669
; %bb.668:                              ;   in Loop: Header=BB106_3 Depth=1
	ds_load_b64 v[28:29], v1 offset:8320
	ds_load_b32 v68, v1 offset:8580
	s_wait_dscnt 0x0
	v_mul_f32_e32 v28, v28, v68
	s_delay_alu instid0(VALU_DEP_1)
	v_mul_f32_e32 v28, v29, v28
	ds_store_b32 v1, v28 offset:8324
.LBB106_669:                            ;   in Loop: Header=BB106_3 Depth=1
	s_or_b32 exec_lo, exec_lo, s1
	v_mov_b32_e32 v28, 0
	s_wait_dscnt 0x0
	s_barrier_signal -1
	s_barrier_wait -1
	s_and_saveexec_b32 s10, s2
	s_cbranch_execz .LBB106_673
; %bb.670:                              ;   in Loop: Header=BB106_3 Depth=1
	ds_load_b32 v28, v32 offset:8328
	ds_load_b32 v29, v33 offset:8320
	s_wait_dscnt 0x0
	v_fma_f32 v28, v28, v29, 0
	s_and_saveexec_b32 s1, s16
	s_cbranch_execz .LBB106_672
; %bb.671:                              ;   in Loop: Header=BB106_3 Depth=1
	ds_load_b32 v29, v34 offset:8584
	ds_load_b32 v68, v1 offset:8324
	s_wait_dscnt 0x0
	v_fmac_f32_e32 v28, v29, v68
.LBB106_672:                            ;   in Loop: Header=BB106_3 Depth=1
	s_or_b32 exec_lo, exec_lo, s1
	s_delay_alu instid0(VALU_DEP_1)
	v_xor_b32_e32 v28, 0x80000000, v28
.LBB106_673:                            ;   in Loop: Header=BB106_3 Depth=1
	s_or_b32 exec_lo, exec_lo, s10
	s_and_saveexec_b32 s1, s102
	s_cbranch_execz .LBB106_675
; %bb.674:                              ;   in Loop: Header=BB106_3 Depth=1
	ds_load_b32 v29, v1 offset:8840
	s_wait_dscnt 0x0
	v_mul_f32_e32 v28, v28, v29
	ds_store_b32 v3, v28
.LBB106_675:                            ;   in Loop: Header=BB106_3 Depth=1
	s_or_b32 exec_lo, exec_lo, s1
	s_wait_dscnt 0x0
	s_barrier_signal -1
	s_barrier_wait -1
	s_and_saveexec_b32 s1, s103
	s_cbranch_execz .LBB106_677
; %bb.676:                              ;   in Loop: Header=BB106_3 Depth=1
	ds_load_b32 v29, v1 offset:8844
	ds_load_b32 v68, v3
	s_wait_dscnt 0x0
	v_fmac_f32_e32 v28, v29, v68
.LBB106_677:                            ;   in Loop: Header=BB106_3 Depth=1
	s_or_b32 exec_lo, exec_lo, s1
	s_barrier_signal -1
	s_barrier_wait -1
	s_and_saveexec_b32 s1, s103
	s_cbranch_execz .LBB106_679
; %bb.678:                              ;   in Loop: Header=BB106_3 Depth=1
	ds_load_b32 v29, v1 offset:9100
	s_wait_dscnt 0x0
	v_mul_f32_e32 v28, v28, v29
	ds_store_b32 v3, v28
.LBB106_679:                            ;   in Loop: Header=BB106_3 Depth=1
	s_or_b32 exec_lo, exec_lo, s1
	s_wait_dscnt 0x0
	s_barrier_signal -1
	s_barrier_wait -1
	s_barrier_signal -1
	s_barrier_wait -1
	s_and_saveexec_b32 s1, s2
; %bb.680:                              ;   in Loop: Header=BB106_3 Depth=1
	v_xor_b32_e32 v28, 0x80000000, v28
	ds_store_b32 v32, v28 offset:8328
; %bb.681:                              ;   in Loop: Header=BB106_3 Depth=1
	s_or_b32 exec_lo, exec_lo, s1
	s_wait_dscnt 0x0
	s_barrier_signal -1
	s_barrier_wait -1
	s_barrier_signal -1
	s_barrier_wait -1
	s_and_saveexec_b32 s1, s15
	s_cbranch_execz .LBB106_683
; %bb.682:                              ;   in Loop: Header=BB106_3 Depth=1
	ds_load_b64 v[28:29], v1 offset:8840
	ds_load_b32 v68, v1 offset:9100
	s_wait_dscnt 0x0
	v_mul_f32_e32 v28, v28, v68
	s_delay_alu instid0(VALU_DEP_1)
	v_mul_f32_e32 v28, v29, v28
	ds_store_b32 v1, v28 offset:8844
.LBB106_683:                            ;   in Loop: Header=BB106_3 Depth=1
	s_or_b32 exec_lo, exec_lo, s1
	v_mov_b32_e32 v28, 0
	s_wait_dscnt 0x0
	s_barrier_signal -1
	s_barrier_wait -1
	s_and_saveexec_b32 s10, s3
	s_cbranch_execz .LBB106_689
; %bb.684:                              ;   in Loop: Header=BB106_3 Depth=1
	ds_load_b32 v28, v38 offset:8336
	ds_load_b32 v29, v35 offset:8320
	s_wait_dscnt 0x0
	v_fma_f32 v28, v28, v29, 0
	s_and_saveexec_b32 s1, s17
	s_cbranch_execnz .LBB106_1171
; %bb.685:                              ;   in Loop: Header=BB106_3 Depth=1
	s_or_b32 exec_lo, exec_lo, s1
	s_and_saveexec_b32 s1, s18
	s_cbranch_execnz .LBB106_1172
.LBB106_686:                            ;   in Loop: Header=BB106_3 Depth=1
	s_or_b32 exec_lo, exec_lo, s1
	s_and_saveexec_b32 s1, s2
	s_cbranch_execz .LBB106_688
.LBB106_687:                            ;   in Loop: Header=BB106_3 Depth=1
	ds_load_b32 v29, v34 offset:9104
	ds_load_b32 v68, v1 offset:8332
	s_wait_dscnt 0x0
	v_fmac_f32_e32 v28, v29, v68
.LBB106_688:                            ;   in Loop: Header=BB106_3 Depth=1
	s_or_b32 exec_lo, exec_lo, s1
	s_delay_alu instid0(VALU_DEP_1)
	v_xor_b32_e32 v28, 0x80000000, v28
.LBB106_689:                            ;   in Loop: Header=BB106_3 Depth=1
	s_or_b32 exec_lo, exec_lo, s10
	s_and_saveexec_b32 s1, s104
	s_cbranch_execz .LBB106_691
; %bb.690:                              ;   in Loop: Header=BB106_3 Depth=1
	ds_load_b32 v29, v1 offset:9360
	s_wait_dscnt 0x0
	v_mul_f32_e32 v28, v28, v29
	ds_store_b32 v36, v28
.LBB106_691:                            ;   in Loop: Header=BB106_3 Depth=1
	s_or_b32 exec_lo, exec_lo, s1
	s_wait_dscnt 0x0
	s_barrier_signal -1
	s_barrier_wait -1
	s_and_saveexec_b32 s1, vcc_hi
	s_cbranch_execz .LBB106_693
; %bb.692:                              ;   in Loop: Header=BB106_3 Depth=1
	ds_load_b32 v29, v37 offset:9360
	ds_load_b32 v68, v36
	s_wait_dscnt 0x0
	v_fmac_f32_e32 v28, v29, v68
.LBB106_693:                            ;   in Loop: Header=BB106_3 Depth=1
	s_or_b32 exec_lo, exec_lo, s1
	s_barrier_signal -1
	s_barrier_wait -1
	s_and_saveexec_b32 s1, s36
	s_cbranch_execz .LBB106_695
; %bb.694:                              ;   in Loop: Header=BB106_3 Depth=1
	ds_load_b32 v29, v1 offset:9620
	s_wait_dscnt 0x0
	v_mul_f32_e32 v28, v28, v29
	ds_store_b32 v36, v28
.LBB106_695:                            ;   in Loop: Header=BB106_3 Depth=1
	s_or_b32 exec_lo, exec_lo, s1
	s_wait_dscnt 0x0
	s_barrier_signal -1
	s_barrier_wait -1
	s_and_saveexec_b32 s1, s37
	s_cbranch_execz .LBB106_697
; %bb.696:                              ;   in Loop: Header=BB106_3 Depth=1
	ds_load_b32 v29, v37 offset:9616
	ds_load_b32 v68, v36
	s_wait_dscnt 0x0
	v_fmac_f32_e32 v28, v29, v68
.LBB106_697:                            ;   in Loop: Header=BB106_3 Depth=1
	s_or_b32 exec_lo, exec_lo, s1
	s_barrier_signal -1
	s_barrier_wait -1
	s_and_saveexec_b32 s1, s38
	s_cbranch_execz .LBB106_699
; %bb.698:                              ;   in Loop: Header=BB106_3 Depth=1
	ds_load_b32 v29, v1 offset:9880
	s_wait_dscnt 0x0
	v_mul_f32_e32 v28, v28, v29
	ds_store_b32 v36, v28
.LBB106_699:                            ;   in Loop: Header=BB106_3 Depth=1
	s_or_b32 exec_lo, exec_lo, s1
	s_wait_dscnt 0x0
	s_barrier_signal -1
	s_barrier_wait -1
	s_and_saveexec_b32 s1, s39
	s_cbranch_execz .LBB106_701
; %bb.700:                              ;   in Loop: Header=BB106_3 Depth=1
	ds_load_b32 v29, v1 offset:9884
	ds_load_b32 v68, v36
	s_wait_dscnt 0x0
	v_fmac_f32_e32 v28, v29, v68
.LBB106_701:                            ;   in Loop: Header=BB106_3 Depth=1
	s_or_b32 exec_lo, exec_lo, s1
	s_barrier_signal -1
	s_barrier_wait -1
	s_and_saveexec_b32 s1, s39
	s_cbranch_execz .LBB106_703
; %bb.702:                              ;   in Loop: Header=BB106_3 Depth=1
	ds_load_b32 v29, v1 offset:10140
	s_wait_dscnt 0x0
	v_mul_f32_e32 v28, v28, v29
	ds_store_b32 v36, v28
.LBB106_703:                            ;   in Loop: Header=BB106_3 Depth=1
	s_or_b32 exec_lo, exec_lo, s1
	s_wait_dscnt 0x0
	s_barrier_signal -1
	s_barrier_wait -1
	s_barrier_signal -1
	s_barrier_wait -1
	s_and_saveexec_b32 s1, s3
; %bb.704:                              ;   in Loop: Header=BB106_3 Depth=1
	v_xor_b32_e32 v28, 0x80000000, v28
	ds_store_b32 v38, v28 offset:8336
; %bb.705:                              ;   in Loop: Header=BB106_3 Depth=1
	s_or_b32 exec_lo, exec_lo, s1
	s_wait_dscnt 0x0
	s_barrier_signal -1
	s_barrier_wait -1
	s_barrier_signal -1
	s_barrier_wait -1
	s_and_saveexec_b32 s1, s15
	s_cbranch_execz .LBB106_707
; %bb.706:                              ;   in Loop: Header=BB106_3 Depth=1
	ds_load_b64 v[28:29], v1 offset:9360
	ds_load_b32 v68, v1 offset:9620
	s_wait_dscnt 0x0
	v_mul_f32_e32 v28, v28, v68
	s_delay_alu instid0(VALU_DEP_1)
	v_mul_f32_e32 v28, v29, v28
	ds_store_b32 v1, v28 offset:9364
.LBB106_707:                            ;   in Loop: Header=BB106_3 Depth=1
	s_or_b32 exec_lo, exec_lo, s1
	v_mov_b32_e32 v28, 0
	s_wait_dscnt 0x0
	s_barrier_signal -1
	s_barrier_wait -1
	s_and_saveexec_b32 s10, s2
	s_cbranch_execz .LBB106_711
; %bb.708:                              ;   in Loop: Header=BB106_3 Depth=1
	ds_load_b32 v28, v32 offset:9368
	ds_load_b32 v29, v33 offset:9360
	s_wait_dscnt 0x0
	v_fma_f32 v28, v28, v29, 0
	s_and_saveexec_b32 s1, s16
	s_cbranch_execz .LBB106_710
; %bb.709:                              ;   in Loop: Header=BB106_3 Depth=1
	ds_load_b32 v29, v34 offset:9624
	ds_load_b32 v68, v1 offset:9364
	s_wait_dscnt 0x0
	v_fmac_f32_e32 v28, v29, v68
.LBB106_710:                            ;   in Loop: Header=BB106_3 Depth=1
	s_or_b32 exec_lo, exec_lo, s1
	s_delay_alu instid0(VALU_DEP_1)
	v_xor_b32_e32 v28, 0x80000000, v28
.LBB106_711:                            ;   in Loop: Header=BB106_3 Depth=1
	s_or_b32 exec_lo, exec_lo, s10
	s_and_saveexec_b32 s1, s102
	s_cbranch_execz .LBB106_713
; %bb.712:                              ;   in Loop: Header=BB106_3 Depth=1
	ds_load_b32 v29, v1 offset:9880
	s_wait_dscnt 0x0
	v_mul_f32_e32 v28, v28, v29
	ds_store_b32 v3, v28
.LBB106_713:                            ;   in Loop: Header=BB106_3 Depth=1
	s_or_b32 exec_lo, exec_lo, s1
	s_wait_dscnt 0x0
	s_barrier_signal -1
	s_barrier_wait -1
	s_and_saveexec_b32 s1, s103
	s_cbranch_execz .LBB106_715
; %bb.714:                              ;   in Loop: Header=BB106_3 Depth=1
	ds_load_b32 v29, v1 offset:9884
	ds_load_b32 v68, v3
	s_wait_dscnt 0x0
	v_fmac_f32_e32 v28, v29, v68
.LBB106_715:                            ;   in Loop: Header=BB106_3 Depth=1
	s_or_b32 exec_lo, exec_lo, s1
	s_barrier_signal -1
	s_barrier_wait -1
	s_and_saveexec_b32 s1, s103
	s_cbranch_execz .LBB106_717
; %bb.716:                              ;   in Loop: Header=BB106_3 Depth=1
	ds_load_b32 v29, v1 offset:10140
	s_wait_dscnt 0x0
	v_mul_f32_e32 v28, v28, v29
	ds_store_b32 v3, v28
.LBB106_717:                            ;   in Loop: Header=BB106_3 Depth=1
	s_or_b32 exec_lo, exec_lo, s1
	s_wait_dscnt 0x0
	s_barrier_signal -1
	s_barrier_wait -1
	s_barrier_signal -1
	s_barrier_wait -1
	s_and_saveexec_b32 s1, s2
; %bb.718:                              ;   in Loop: Header=BB106_3 Depth=1
	v_xor_b32_e32 v28, 0x80000000, v28
	ds_store_b32 v32, v28 offset:9368
; %bb.719:                              ;   in Loop: Header=BB106_3 Depth=1
	s_or_b32 exec_lo, exec_lo, s1
	s_wait_dscnt 0x0
	s_barrier_signal -1
	s_barrier_wait -1
	s_barrier_signal -1
	s_barrier_wait -1
	s_and_saveexec_b32 s1, s15
	s_cbranch_execz .LBB106_721
; %bb.720:                              ;   in Loop: Header=BB106_3 Depth=1
	ds_load_b64 v[28:29], v1 offset:9880
	ds_load_b32 v68, v1 offset:10140
	s_wait_dscnt 0x0
	v_mul_f32_e32 v28, v28, v68
	s_delay_alu instid0(VALU_DEP_1)
	v_mul_f32_e32 v28, v29, v28
	ds_store_b32 v1, v28 offset:9884
.LBB106_721:                            ;   in Loop: Header=BB106_3 Depth=1
	s_or_b32 exec_lo, exec_lo, s1
	v_mov_b32_e32 v28, 0
	s_wait_dscnt 0x0
	s_barrier_signal -1
	s_barrier_wait -1
	s_and_saveexec_b32 s10, s4
	s_cbranch_execz .LBB106_731
; %bb.722:                              ;   in Loop: Header=BB106_3 Depth=1
	ds_load_b32 v28, v43 offset:8352
	ds_load_b32 v29, v40 offset:8320
	s_wait_dscnt 0x0
	v_fma_f32 v28, v28, v29, 0
	s_and_saveexec_b32 s1, s19
	s_cbranch_execnz .LBB106_1173
; %bb.723:                              ;   in Loop: Header=BB106_3 Depth=1
	s_or_b32 exec_lo, exec_lo, s1
	s_and_saveexec_b32 s1, s20
	s_cbranch_execnz .LBB106_1174
.LBB106_724:                            ;   in Loop: Header=BB106_3 Depth=1
	s_or_b32 exec_lo, exec_lo, s1
	s_and_saveexec_b32 s1, s21
	s_cbranch_execnz .LBB106_1175
.LBB106_725:                            ;   in Loop: Header=BB106_3 Depth=1
	s_or_b32 exec_lo, exec_lo, s1
	s_and_saveexec_b32 s1, s22
	s_cbranch_execnz .LBB106_1176
.LBB106_726:                            ;   in Loop: Header=BB106_3 Depth=1
	s_or_b32 exec_lo, exec_lo, s1
	s_and_saveexec_b32 s1, s23
	s_cbranch_execnz .LBB106_1177
.LBB106_727:                            ;   in Loop: Header=BB106_3 Depth=1
	s_or_b32 exec_lo, exec_lo, s1
	s_and_saveexec_b32 s1, s3
	s_cbranch_execnz .LBB106_1178
.LBB106_728:                            ;   in Loop: Header=BB106_3 Depth=1
	s_or_b32 exec_lo, exec_lo, s1
	s_and_saveexec_b32 s1, s18
	s_cbranch_execz .LBB106_730
.LBB106_729:                            ;   in Loop: Header=BB106_3 Depth=1
	ds_load_b32 v29, v34 offset:10144
	ds_load_b32 v68, v1 offset:8348
	s_wait_dscnt 0x0
	v_fmac_f32_e32 v28, v29, v68
.LBB106_730:                            ;   in Loop: Header=BB106_3 Depth=1
	s_or_b32 exec_lo, exec_lo, s1
	s_delay_alu instid0(VALU_DEP_1)
	v_xor_b32_e32 v28, 0x80000000, v28
.LBB106_731:                            ;   in Loop: Header=BB106_3 Depth=1
	s_or_b32 exec_lo, exec_lo, s10
	s_and_saveexec_b32 s1, s40
	s_cbranch_execz .LBB106_733
; %bb.732:                              ;   in Loop: Header=BB106_3 Depth=1
	ds_load_b32 v29, v1 offset:10400
	s_wait_dscnt 0x0
	v_mul_f32_e32 v28, v28, v29
	ds_store_b32 v42, v28
.LBB106_733:                            ;   in Loop: Header=BB106_3 Depth=1
	s_or_b32 exec_lo, exec_lo, s1
	s_wait_dscnt 0x0
	s_barrier_signal -1
	s_barrier_wait -1
	s_and_saveexec_b32 s1, s41
	s_cbranch_execz .LBB106_735
; %bb.734:                              ;   in Loop: Header=BB106_3 Depth=1
	ds_load_b32 v29, v41 offset:10400
	ds_load_b32 v68, v42
	s_wait_dscnt 0x0
	v_fmac_f32_e32 v28, v29, v68
.LBB106_735:                            ;   in Loop: Header=BB106_3 Depth=1
	s_or_b32 exec_lo, exec_lo, s1
	s_barrier_signal -1
	s_barrier_wait -1
	s_and_saveexec_b32 s1, s42
	s_cbranch_execz .LBB106_737
; %bb.736:                              ;   in Loop: Header=BB106_3 Depth=1
	ds_load_b32 v29, v1 offset:10660
	s_wait_dscnt 0x0
	v_mul_f32_e32 v28, v28, v29
	ds_store_b32 v42, v28
.LBB106_737:                            ;   in Loop: Header=BB106_3 Depth=1
	s_or_b32 exec_lo, exec_lo, s1
	s_wait_dscnt 0x0
	s_barrier_signal -1
	s_barrier_wait -1
	s_and_saveexec_b32 s1, s43
	s_cbranch_execz .LBB106_739
; %bb.738:                              ;   in Loop: Header=BB106_3 Depth=1
	ds_load_b32 v29, v41 offset:10656
	ds_load_b32 v68, v42
	s_wait_dscnt 0x0
	v_fmac_f32_e32 v28, v29, v68
.LBB106_739:                            ;   in Loop: Header=BB106_3 Depth=1
	s_or_b32 exec_lo, exec_lo, s1
	s_barrier_signal -1
	s_barrier_wait -1
	;; [unrolled: 23-line block ×7, first 2 shown]
	s_and_saveexec_b32 s1, s53
	s_cbranch_execz .LBB106_761
; %bb.760:                              ;   in Loop: Header=BB106_3 Depth=1
	ds_load_b32 v29, v1 offset:12220
	s_wait_dscnt 0x0
	v_mul_f32_e32 v28, v28, v29
	ds_store_b32 v42, v28
.LBB106_761:                            ;   in Loop: Header=BB106_3 Depth=1
	s_or_b32 exec_lo, exec_lo, s1
	s_wait_dscnt 0x0
	s_barrier_signal -1
	s_barrier_wait -1
	s_barrier_signal -1
	s_barrier_wait -1
	s_and_saveexec_b32 s1, s4
; %bb.762:                              ;   in Loop: Header=BB106_3 Depth=1
	v_xor_b32_e32 v28, 0x80000000, v28
	ds_store_b32 v43, v28 offset:8352
; %bb.763:                              ;   in Loop: Header=BB106_3 Depth=1
	s_or_b32 exec_lo, exec_lo, s1
	s_wait_dscnt 0x0
	s_barrier_signal -1
	s_barrier_wait -1
	s_barrier_signal -1
	s_barrier_wait -1
	s_and_saveexec_b32 s1, s15
	s_cbranch_execz .LBB106_765
; %bb.764:                              ;   in Loop: Header=BB106_3 Depth=1
	ds_load_b64 v[28:29], v1 offset:10400
	ds_load_b32 v68, v1 offset:10660
	s_wait_dscnt 0x0
	v_mul_f32_e32 v28, v28, v68
	s_delay_alu instid0(VALU_DEP_1)
	v_mul_f32_e32 v28, v29, v28
	ds_store_b32 v1, v28 offset:10404
.LBB106_765:                            ;   in Loop: Header=BB106_3 Depth=1
	s_or_b32 exec_lo, exec_lo, s1
	v_mov_b32_e32 v28, 0
	s_wait_dscnt 0x0
	s_barrier_signal -1
	s_barrier_wait -1
	s_and_saveexec_b32 s10, s2
	s_cbranch_execz .LBB106_769
; %bb.766:                              ;   in Loop: Header=BB106_3 Depth=1
	ds_load_b32 v28, v32 offset:10408
	ds_load_b32 v29, v33 offset:10400
	s_wait_dscnt 0x0
	v_fma_f32 v28, v28, v29, 0
	s_and_saveexec_b32 s1, s16
	s_cbranch_execz .LBB106_768
; %bb.767:                              ;   in Loop: Header=BB106_3 Depth=1
	ds_load_b32 v29, v34 offset:10664
	ds_load_b32 v68, v1 offset:10404
	s_wait_dscnt 0x0
	v_fmac_f32_e32 v28, v29, v68
.LBB106_768:                            ;   in Loop: Header=BB106_3 Depth=1
	s_or_b32 exec_lo, exec_lo, s1
	s_delay_alu instid0(VALU_DEP_1)
	v_xor_b32_e32 v28, 0x80000000, v28
.LBB106_769:                            ;   in Loop: Header=BB106_3 Depth=1
	s_or_b32 exec_lo, exec_lo, s10
	s_and_saveexec_b32 s1, s102
	s_cbranch_execz .LBB106_771
; %bb.770:                              ;   in Loop: Header=BB106_3 Depth=1
	ds_load_b32 v29, v1 offset:10920
	s_wait_dscnt 0x0
	v_mul_f32_e32 v28, v28, v29
	ds_store_b32 v3, v28
.LBB106_771:                            ;   in Loop: Header=BB106_3 Depth=1
	s_or_b32 exec_lo, exec_lo, s1
	s_wait_dscnt 0x0
	s_barrier_signal -1
	s_barrier_wait -1
	s_and_saveexec_b32 s1, s103
	s_cbranch_execz .LBB106_773
; %bb.772:                              ;   in Loop: Header=BB106_3 Depth=1
	ds_load_b32 v29, v1 offset:10924
	ds_load_b32 v68, v3
	s_wait_dscnt 0x0
	v_fmac_f32_e32 v28, v29, v68
.LBB106_773:                            ;   in Loop: Header=BB106_3 Depth=1
	s_or_b32 exec_lo, exec_lo, s1
	s_barrier_signal -1
	s_barrier_wait -1
	s_and_saveexec_b32 s1, s103
	s_cbranch_execz .LBB106_775
; %bb.774:                              ;   in Loop: Header=BB106_3 Depth=1
	ds_load_b32 v29, v1 offset:11180
	s_wait_dscnt 0x0
	v_mul_f32_e32 v28, v28, v29
	ds_store_b32 v3, v28
.LBB106_775:                            ;   in Loop: Header=BB106_3 Depth=1
	s_or_b32 exec_lo, exec_lo, s1
	s_wait_dscnt 0x0
	s_barrier_signal -1
	s_barrier_wait -1
	s_barrier_signal -1
	s_barrier_wait -1
	s_and_saveexec_b32 s1, s2
; %bb.776:                              ;   in Loop: Header=BB106_3 Depth=1
	v_xor_b32_e32 v28, 0x80000000, v28
	ds_store_b32 v32, v28 offset:10408
; %bb.777:                              ;   in Loop: Header=BB106_3 Depth=1
	s_or_b32 exec_lo, exec_lo, s1
	s_wait_dscnt 0x0
	s_barrier_signal -1
	s_barrier_wait -1
	s_barrier_signal -1
	s_barrier_wait -1
	s_and_saveexec_b32 s1, s15
	s_cbranch_execz .LBB106_779
; %bb.778:                              ;   in Loop: Header=BB106_3 Depth=1
	ds_load_b64 v[28:29], v1 offset:10920
	ds_load_b32 v68, v1 offset:11180
	s_wait_dscnt 0x0
	v_mul_f32_e32 v28, v28, v68
	s_delay_alu instid0(VALU_DEP_1)
	v_mul_f32_e32 v28, v29, v28
	ds_store_b32 v1, v28 offset:10924
.LBB106_779:                            ;   in Loop: Header=BB106_3 Depth=1
	s_or_b32 exec_lo, exec_lo, s1
	v_mov_b32_e32 v28, 0
	s_wait_dscnt 0x0
	s_barrier_signal -1
	s_barrier_wait -1
	s_and_saveexec_b32 s10, s3
	s_cbranch_execz .LBB106_785
; %bb.780:                              ;   in Loop: Header=BB106_3 Depth=1
	ds_load_b32 v28, v38 offset:10416
	ds_load_b32 v29, v35 offset:10400
	s_wait_dscnt 0x0
	v_fma_f32 v28, v28, v29, 0
	s_and_saveexec_b32 s1, s17
	s_cbranch_execnz .LBB106_1179
; %bb.781:                              ;   in Loop: Header=BB106_3 Depth=1
	s_or_b32 exec_lo, exec_lo, s1
	s_and_saveexec_b32 s1, s18
	s_cbranch_execnz .LBB106_1180
.LBB106_782:                            ;   in Loop: Header=BB106_3 Depth=1
	s_or_b32 exec_lo, exec_lo, s1
	s_and_saveexec_b32 s1, s2
	s_cbranch_execz .LBB106_784
.LBB106_783:                            ;   in Loop: Header=BB106_3 Depth=1
	ds_load_b32 v29, v34 offset:11184
	ds_load_b32 v68, v1 offset:10412
	s_wait_dscnt 0x0
	v_fmac_f32_e32 v28, v29, v68
.LBB106_784:                            ;   in Loop: Header=BB106_3 Depth=1
	s_or_b32 exec_lo, exec_lo, s1
	s_delay_alu instid0(VALU_DEP_1)
	v_xor_b32_e32 v28, 0x80000000, v28
.LBB106_785:                            ;   in Loop: Header=BB106_3 Depth=1
	s_or_b32 exec_lo, exec_lo, s10
	s_and_saveexec_b32 s1, s104
	s_cbranch_execz .LBB106_787
; %bb.786:                              ;   in Loop: Header=BB106_3 Depth=1
	ds_load_b32 v29, v1 offset:11440
	s_wait_dscnt 0x0
	v_mul_f32_e32 v28, v28, v29
	ds_store_b32 v36, v28
.LBB106_787:                            ;   in Loop: Header=BB106_3 Depth=1
	s_or_b32 exec_lo, exec_lo, s1
	s_wait_dscnt 0x0
	s_barrier_signal -1
	s_barrier_wait -1
	s_and_saveexec_b32 s1, vcc_hi
	s_cbranch_execz .LBB106_789
; %bb.788:                              ;   in Loop: Header=BB106_3 Depth=1
	ds_load_b32 v29, v37 offset:11440
	ds_load_b32 v68, v36
	s_wait_dscnt 0x0
	v_fmac_f32_e32 v28, v29, v68
.LBB106_789:                            ;   in Loop: Header=BB106_3 Depth=1
	s_or_b32 exec_lo, exec_lo, s1
	s_barrier_signal -1
	s_barrier_wait -1
	s_and_saveexec_b32 s1, s36
	s_cbranch_execz .LBB106_791
; %bb.790:                              ;   in Loop: Header=BB106_3 Depth=1
	ds_load_b32 v29, v1 offset:11700
	s_wait_dscnt 0x0
	v_mul_f32_e32 v28, v28, v29
	ds_store_b32 v36, v28
.LBB106_791:                            ;   in Loop: Header=BB106_3 Depth=1
	s_or_b32 exec_lo, exec_lo, s1
	s_wait_dscnt 0x0
	s_barrier_signal -1
	s_barrier_wait -1
	s_and_saveexec_b32 s1, s37
	s_cbranch_execz .LBB106_793
; %bb.792:                              ;   in Loop: Header=BB106_3 Depth=1
	ds_load_b32 v29, v37 offset:11696
	ds_load_b32 v68, v36
	s_wait_dscnt 0x0
	v_fmac_f32_e32 v28, v29, v68
.LBB106_793:                            ;   in Loop: Header=BB106_3 Depth=1
	s_or_b32 exec_lo, exec_lo, s1
	s_barrier_signal -1
	s_barrier_wait -1
	s_and_saveexec_b32 s1, s38
	s_cbranch_execz .LBB106_795
; %bb.794:                              ;   in Loop: Header=BB106_3 Depth=1
	ds_load_b32 v29, v1 offset:11960
	s_wait_dscnt 0x0
	v_mul_f32_e32 v28, v28, v29
	ds_store_b32 v36, v28
.LBB106_795:                            ;   in Loop: Header=BB106_3 Depth=1
	s_or_b32 exec_lo, exec_lo, s1
	s_wait_dscnt 0x0
	s_barrier_signal -1
	s_barrier_wait -1
	s_and_saveexec_b32 s1, s39
	s_cbranch_execz .LBB106_797
; %bb.796:                              ;   in Loop: Header=BB106_3 Depth=1
	ds_load_b32 v29, v1 offset:11964
	ds_load_b32 v68, v36
	s_wait_dscnt 0x0
	v_fmac_f32_e32 v28, v29, v68
.LBB106_797:                            ;   in Loop: Header=BB106_3 Depth=1
	s_or_b32 exec_lo, exec_lo, s1
	s_barrier_signal -1
	s_barrier_wait -1
	s_and_saveexec_b32 s1, s39
	s_cbranch_execz .LBB106_799
; %bb.798:                              ;   in Loop: Header=BB106_3 Depth=1
	ds_load_b32 v29, v1 offset:12220
	s_wait_dscnt 0x0
	v_mul_f32_e32 v28, v28, v29
	ds_store_b32 v36, v28
.LBB106_799:                            ;   in Loop: Header=BB106_3 Depth=1
	s_or_b32 exec_lo, exec_lo, s1
	s_wait_dscnt 0x0
	s_barrier_signal -1
	s_barrier_wait -1
	s_barrier_signal -1
	s_barrier_wait -1
	s_and_saveexec_b32 s1, s3
; %bb.800:                              ;   in Loop: Header=BB106_3 Depth=1
	v_xor_b32_e32 v28, 0x80000000, v28
	ds_store_b32 v38, v28 offset:10416
; %bb.801:                              ;   in Loop: Header=BB106_3 Depth=1
	s_or_b32 exec_lo, exec_lo, s1
	s_wait_dscnt 0x0
	s_barrier_signal -1
	s_barrier_wait -1
	s_barrier_signal -1
	s_barrier_wait -1
	s_and_saveexec_b32 s1, s15
	s_cbranch_execz .LBB106_803
; %bb.802:                              ;   in Loop: Header=BB106_3 Depth=1
	ds_load_b64 v[28:29], v1 offset:11440
	ds_load_b32 v68, v1 offset:11700
	s_wait_dscnt 0x0
	v_mul_f32_e32 v28, v28, v68
	s_delay_alu instid0(VALU_DEP_1)
	v_mul_f32_e32 v28, v29, v28
	ds_store_b32 v1, v28 offset:11444
.LBB106_803:                            ;   in Loop: Header=BB106_3 Depth=1
	s_or_b32 exec_lo, exec_lo, s1
	v_mov_b32_e32 v28, 0
	s_wait_dscnt 0x0
	s_barrier_signal -1
	s_barrier_wait -1
	s_and_saveexec_b32 s10, s2
	s_cbranch_execz .LBB106_807
; %bb.804:                              ;   in Loop: Header=BB106_3 Depth=1
	ds_load_b32 v28, v32 offset:11448
	ds_load_b32 v29, v33 offset:11440
	s_wait_dscnt 0x0
	v_fma_f32 v28, v28, v29, 0
	s_and_saveexec_b32 s1, s16
	s_cbranch_execz .LBB106_806
; %bb.805:                              ;   in Loop: Header=BB106_3 Depth=1
	ds_load_b32 v29, v34 offset:11704
	ds_load_b32 v68, v1 offset:11444
	s_wait_dscnt 0x0
	v_fmac_f32_e32 v28, v29, v68
.LBB106_806:                            ;   in Loop: Header=BB106_3 Depth=1
	s_or_b32 exec_lo, exec_lo, s1
	s_delay_alu instid0(VALU_DEP_1)
	v_xor_b32_e32 v28, 0x80000000, v28
.LBB106_807:                            ;   in Loop: Header=BB106_3 Depth=1
	s_or_b32 exec_lo, exec_lo, s10
	s_and_saveexec_b32 s1, s102
	s_cbranch_execz .LBB106_809
; %bb.808:                              ;   in Loop: Header=BB106_3 Depth=1
	ds_load_b32 v29, v1 offset:11960
	s_wait_dscnt 0x0
	v_mul_f32_e32 v28, v28, v29
	ds_store_b32 v3, v28
.LBB106_809:                            ;   in Loop: Header=BB106_3 Depth=1
	s_or_b32 exec_lo, exec_lo, s1
	s_wait_dscnt 0x0
	s_barrier_signal -1
	s_barrier_wait -1
	s_and_saveexec_b32 s1, s103
	s_cbranch_execz .LBB106_811
; %bb.810:                              ;   in Loop: Header=BB106_3 Depth=1
	ds_load_b32 v29, v1 offset:11964
	ds_load_b32 v68, v3
	s_wait_dscnt 0x0
	v_fmac_f32_e32 v28, v29, v68
.LBB106_811:                            ;   in Loop: Header=BB106_3 Depth=1
	s_or_b32 exec_lo, exec_lo, s1
	s_barrier_signal -1
	s_barrier_wait -1
	s_and_saveexec_b32 s1, s103
	s_cbranch_execz .LBB106_813
; %bb.812:                              ;   in Loop: Header=BB106_3 Depth=1
	ds_load_b32 v29, v1 offset:12220
	s_wait_dscnt 0x0
	v_mul_f32_e32 v28, v28, v29
	ds_store_b32 v3, v28
.LBB106_813:                            ;   in Loop: Header=BB106_3 Depth=1
	s_or_b32 exec_lo, exec_lo, s1
	s_wait_dscnt 0x0
	s_barrier_signal -1
	s_barrier_wait -1
	s_barrier_signal -1
	s_barrier_wait -1
	s_and_saveexec_b32 s1, s2
; %bb.814:                              ;   in Loop: Header=BB106_3 Depth=1
	v_xor_b32_e32 v28, 0x80000000, v28
	ds_store_b32 v32, v28 offset:11448
; %bb.815:                              ;   in Loop: Header=BB106_3 Depth=1
	s_or_b32 exec_lo, exec_lo, s1
	s_wait_dscnt 0x0
	s_barrier_signal -1
	s_barrier_wait -1
	s_barrier_signal -1
	s_barrier_wait -1
	s_and_saveexec_b32 s1, s15
	s_cbranch_execz .LBB106_817
; %bb.816:                              ;   in Loop: Header=BB106_3 Depth=1
	ds_load_b64 v[28:29], v1 offset:11960
	ds_load_b32 v68, v1 offset:12220
	s_wait_dscnt 0x0
	v_mul_f32_e32 v28, v28, v68
	s_delay_alu instid0(VALU_DEP_1)
	v_mul_f32_e32 v28, v29, v28
	ds_store_b32 v1, v28 offset:11964
.LBB106_817:                            ;   in Loop: Header=BB106_3 Depth=1
	s_or_b32 exec_lo, exec_lo, s1
	v_mov_b32_e32 v28, 0
	s_wait_dscnt 0x0
	s_barrier_signal -1
	s_barrier_wait -1
	s_and_saveexec_b32 s69, s5
	s_cbranch_execz .LBB106_845
; %bb.818:                              ;   in Loop: Header=BB106_3 Depth=1
	ds_load_b32 v28, v48 offset:8384
	ds_load_b32 v29, v45 offset:8320
	s_wait_dscnt 0x0
	v_fma_f32 v28, v28, v29, 0
	s_mov_b32 s1, exec_lo
	v_readlane_b32 s8, v76, 24
	s_and_b32 s8, s1, s8
	s_delay_alu instid0(SALU_CYCLE_1)
	s_mov_b32 exec_lo, s8
	s_cbranch_execz .LBB106_820
; %bb.819:                              ;   in Loop: Header=BB106_3 Depth=1
	ds_load_b32 v29, v49 offset:8640
	ds_load_b32 v68, v45 offset:8324
	s_wait_dscnt 0x0
	v_fmac_f32_e32 v28, v29, v68
.LBB106_820:                            ;   in Loop: Header=BB106_3 Depth=1
	s_or_b32 exec_lo, exec_lo, s1
	s_delay_alu instid0(SALU_CYCLE_1) | instskip(SKIP_2) | instid1(SALU_CYCLE_1)
	s_mov_b32 s1, exec_lo
	v_readlane_b32 s8, v76, 25
	s_and_b32 s8, s1, s8
	s_mov_b32 exec_lo, s8
	s_cbranch_execz .LBB106_822
; %bb.821:                              ;   in Loop: Header=BB106_3 Depth=1
	ds_load_b32 v29, v49 offset:8896
	ds_load_b32 v68, v45 offset:8328
	s_wait_dscnt 0x0
	v_fmac_f32_e32 v28, v29, v68
.LBB106_822:                            ;   in Loop: Header=BB106_3 Depth=1
	s_or_b32 exec_lo, exec_lo, s1
	s_delay_alu instid0(SALU_CYCLE_1) | instskip(SKIP_2) | instid1(SALU_CYCLE_1)
	s_mov_b32 s1, exec_lo
	v_readlane_b32 s8, v76, 26
	s_and_b32 s8, s1, s8
	s_mov_b32 exec_lo, s8
	s_cbranch_execz .LBB106_824
; %bb.823:                              ;   in Loop: Header=BB106_3 Depth=1
	ds_load_b32 v29, v49 offset:9152
	ds_load_b32 v68, v45 offset:8332
	s_wait_dscnt 0x0
	v_fmac_f32_e32 v28, v29, v68
.LBB106_824:                            ;   in Loop: Header=BB106_3 Depth=1
	s_or_b32 exec_lo, exec_lo, s1
	s_delay_alu instid0(SALU_CYCLE_1) | instskip(SKIP_2) | instid1(SALU_CYCLE_1)
	s_mov_b32 s1, exec_lo
	v_readlane_b32 s8, v76, 27
	s_and_b32 s8, s1, s8
	s_mov_b32 exec_lo, s8
	s_cbranch_execz .LBB106_826
; %bb.825:                              ;   in Loop: Header=BB106_3 Depth=1
	ds_load_b32 v29, v49 offset:9408
	ds_load_b32 v68, v45 offset:8336
	s_wait_dscnt 0x0
	v_fmac_f32_e32 v28, v29, v68
.LBB106_826:                            ;   in Loop: Header=BB106_3 Depth=1
	s_or_b32 exec_lo, exec_lo, s1
	s_delay_alu instid0(SALU_CYCLE_1) | instskip(SKIP_2) | instid1(SALU_CYCLE_1)
	s_mov_b32 s1, exec_lo
	v_readlane_b32 s8, v76, 28
	s_and_b32 s8, s1, s8
	s_mov_b32 exec_lo, s8
	s_cbranch_execz .LBB106_828
; %bb.827:                              ;   in Loop: Header=BB106_3 Depth=1
	ds_load_b32 v29, v49 offset:9664
	ds_load_b32 v68, v45 offset:8340
	s_wait_dscnt 0x0
	v_fmac_f32_e32 v28, v29, v68
.LBB106_828:                            ;   in Loop: Header=BB106_3 Depth=1
	s_or_b32 exec_lo, exec_lo, s1
	s_delay_alu instid0(SALU_CYCLE_1) | instskip(SKIP_2) | instid1(SALU_CYCLE_1)
	s_mov_b32 s1, exec_lo
	v_readlane_b32 s8, v76, 29
	s_and_b32 s8, s1, s8
	s_mov_b32 exec_lo, s8
	s_cbranch_execz .LBB106_830
; %bb.829:                              ;   in Loop: Header=BB106_3 Depth=1
	ds_load_b32 v29, v49 offset:9920
	ds_load_b32 v68, v45 offset:8344
	s_wait_dscnt 0x0
	v_fmac_f32_e32 v28, v29, v68
.LBB106_830:                            ;   in Loop: Header=BB106_3 Depth=1
	s_or_b32 exec_lo, exec_lo, s1
	s_delay_alu instid0(SALU_CYCLE_1) | instskip(SKIP_2) | instid1(SALU_CYCLE_1)
	s_mov_b32 s1, exec_lo
	v_readlane_b32 s8, v76, 30
	s_and_b32 s8, s1, s8
	s_mov_b32 exec_lo, s8
	s_cbranch_execz .LBB106_832
; %bb.831:                              ;   in Loop: Header=BB106_3 Depth=1
	ds_load_b32 v29, v49 offset:10176
	ds_load_b32 v68, v45 offset:8348
	s_wait_dscnt 0x0
	v_fmac_f32_e32 v28, v29, v68
.LBB106_832:                            ;   in Loop: Header=BB106_3 Depth=1
	s_or_b32 exec_lo, exec_lo, s1
	s_delay_alu instid0(SALU_CYCLE_1) | instskip(SKIP_2) | instid1(SALU_CYCLE_1)
	s_mov_b32 s1, exec_lo
	v_readlane_b32 s8, v76, 31
	s_and_b32 s8, s1, s8
	s_mov_b32 exec_lo, s8
	s_cbranch_execz .LBB106_834
; %bb.833:                              ;   in Loop: Header=BB106_3 Depth=1
	ds_load_b32 v29, v48 offset:10432
	ds_load_b32 v68, v45 offset:8352
	s_wait_dscnt 0x0
	v_fmac_f32_e32 v28, v29, v68
.LBB106_834:                            ;   in Loop: Header=BB106_3 Depth=1
	s_or_b32 exec_lo, exec_lo, s1
	s_delay_alu instid0(SALU_CYCLE_1) | instskip(SKIP_2) | instid1(SALU_CYCLE_1)
	s_mov_b32 s1, exec_lo
	v_readlane_b32 s8, v75, 0
	s_and_b32 s8, s1, s8
	s_mov_b32 exec_lo, s8
	s_cbranch_execz .LBB106_836
; %bb.835:                              ;   in Loop: Header=BB106_3 Depth=1
	ds_load_b32 v29, v49 offset:10688
	ds_load_b32 v68, v45 offset:8356
	s_wait_dscnt 0x0
	v_fmac_f32_e32 v28, v29, v68
.LBB106_836:                            ;   in Loop: Header=BB106_3 Depth=1
	s_or_b32 exec_lo, exec_lo, s1
	s_and_saveexec_b32 s1, s9
	s_cbranch_execz .LBB106_838
; %bb.837:                              ;   in Loop: Header=BB106_3 Depth=1
	ds_load_b32 v29, v49 offset:10944
	ds_load_b32 v68, v45 offset:8360
	s_wait_dscnt 0x0
	v_fmac_f32_e32 v28, v29, v68
.LBB106_838:                            ;   in Loop: Header=BB106_3 Depth=1
	s_or_b32 exec_lo, exec_lo, s1
	s_delay_alu instid0(SALU_CYCLE_1) | instskip(SKIP_2) | instid1(SALU_CYCLE_1)
	s_mov_b32 s1, exec_lo
	v_readlane_b32 s8, v75, 1
	s_and_b32 s8, s1, s8
	s_mov_b32 exec_lo, s8
	s_cbranch_execnz .LBB106_1181
; %bb.839:                              ;   in Loop: Header=BB106_3 Depth=1
	s_or_b32 exec_lo, exec_lo, s1
	s_and_saveexec_b32 s1, s4
	s_cbranch_execnz .LBB106_1182
.LBB106_840:                            ;   in Loop: Header=BB106_3 Depth=1
	s_or_b32 exec_lo, exec_lo, s1
	s_and_saveexec_b32 s1, s20
	s_cbranch_execnz .LBB106_1183
.LBB106_841:                            ;   in Loop: Header=BB106_3 Depth=1
	s_or_b32 exec_lo, exec_lo, s1
	s_and_saveexec_b32 s1, s22
	s_cbranch_execnz .LBB106_1184
.LBB106_842:                            ;   in Loop: Header=BB106_3 Depth=1
	s_or_b32 exec_lo, exec_lo, s1
	s_and_saveexec_b32 s1, s3
	s_cbranch_execz .LBB106_844
.LBB106_843:                            ;   in Loop: Header=BB106_3 Depth=1
	ds_load_b32 v29, v34 offset:12224
	ds_load_b32 v68, v1 offset:8380
	s_wait_dscnt 0x0
	v_fmac_f32_e32 v28, v29, v68
.LBB106_844:                            ;   in Loop: Header=BB106_3 Depth=1
	s_or_b32 exec_lo, exec_lo, s1
	s_delay_alu instid0(VALU_DEP_1)
	v_xor_b32_e32 v28, 0x80000000, v28
.LBB106_845:                            ;   in Loop: Header=BB106_3 Depth=1
	s_or_b32 exec_lo, exec_lo, s69
	s_delay_alu instid0(SALU_CYCLE_1) | instskip(SKIP_2) | instid1(SALU_CYCLE_1)
	s_mov_b32 s1, exec_lo
	v_readlane_b32 s8, v78, 2
	s_and_b32 s8, s1, s8
	s_mov_b32 exec_lo, s8
	s_cbranch_execz .LBB106_847
; %bb.846:                              ;   in Loop: Header=BB106_3 Depth=1
	ds_load_b32 v29, v1 offset:12480
	s_wait_dscnt 0x0
	v_mul_f32_e32 v28, v28, v29
	ds_store_b32 v47, v28
.LBB106_847:                            ;   in Loop: Header=BB106_3 Depth=1
	s_or_b32 exec_lo, exec_lo, s1
	s_wait_dscnt 0x0
	s_barrier_signal -1
	s_barrier_wait -1
	s_mov_b32 s1, exec_lo
	v_readlane_b32 s8, v78, 3
	s_and_b32 s8, s1, s8
	s_delay_alu instid0(SALU_CYCLE_1)
	s_mov_b32 exec_lo, s8
	s_cbranch_execz .LBB106_849
; %bb.848:                              ;   in Loop: Header=BB106_3 Depth=1
	ds_load_b32 v29, v46 offset:12480
	ds_load_b32 v68, v47
	s_wait_dscnt 0x0
	v_fmac_f32_e32 v28, v29, v68
.LBB106_849:                            ;   in Loop: Header=BB106_3 Depth=1
	s_or_b32 exec_lo, exec_lo, s1
	s_barrier_signal -1
	s_barrier_wait -1
	s_mov_b32 s1, exec_lo
	v_readlane_b32 s8, v78, 4
	s_and_b32 s8, s1, s8
	s_delay_alu instid0(SALU_CYCLE_1)
	s_mov_b32 exec_lo, s8
	s_cbranch_execz .LBB106_851
; %bb.850:                              ;   in Loop: Header=BB106_3 Depth=1
	ds_load_b32 v29, v1 offset:12740
	s_wait_dscnt 0x0
	v_mul_f32_e32 v28, v28, v29
	ds_store_b32 v47, v28
.LBB106_851:                            ;   in Loop: Header=BB106_3 Depth=1
	s_or_b32 exec_lo, exec_lo, s1
	s_wait_dscnt 0x0
	s_barrier_signal -1
	s_barrier_wait -1
	s_and_saveexec_b32 s1, s57
	s_cbranch_execz .LBB106_853
; %bb.852:                              ;   in Loop: Header=BB106_3 Depth=1
	ds_load_b32 v29, v46 offset:12736
	ds_load_b32 v68, v47
	s_wait_dscnt 0x0
	v_fmac_f32_e32 v28, v29, v68
.LBB106_853:                            ;   in Loop: Header=BB106_3 Depth=1
	s_or_b32 exec_lo, exec_lo, s1
	s_barrier_signal -1
	s_barrier_wait -1
	s_and_saveexec_b32 s1, s58
	s_cbranch_execz .LBB106_855
; %bb.854:                              ;   in Loop: Header=BB106_3 Depth=1
	ds_load_b32 v29, v1 offset:13000
	s_wait_dscnt 0x0
	v_mul_f32_e32 v28, v28, v29
	ds_store_b32 v47, v28
.LBB106_855:                            ;   in Loop: Header=BB106_3 Depth=1
	s_or_b32 exec_lo, exec_lo, s1
	s_wait_dscnt 0x0
	s_barrier_signal -1
	s_barrier_wait -1
	s_and_saveexec_b32 s1, s65
	s_cbranch_execz .LBB106_857
; %bb.856:                              ;   in Loop: Header=BB106_3 Depth=1
	ds_load_b32 v29, v46 offset:12992
	ds_load_b32 v68, v47
	s_wait_dscnt 0x0
	v_fmac_f32_e32 v28, v29, v68
.LBB106_857:                            ;   in Loop: Header=BB106_3 Depth=1
	s_or_b32 exec_lo, exec_lo, s1
	s_barrier_signal -1
	s_barrier_wait -1
	s_and_saveexec_b32 s1, s66
	;; [unrolled: 23-line block ×14, first 2 shown]
	s_cbranch_execz .LBB106_907
; %bb.906:                              ;   in Loop: Header=BB106_3 Depth=1
	ds_load_b32 v29, v1 offset:16380
	s_wait_dscnt 0x0
	v_mul_f32_e32 v28, v28, v29
	ds_store_b32 v47, v28
.LBB106_907:                            ;   in Loop: Header=BB106_3 Depth=1
	s_or_b32 exec_lo, exec_lo, s1
	s_wait_dscnt 0x0
	s_barrier_signal -1
	s_barrier_wait -1
	s_barrier_signal -1
	s_barrier_wait -1
	s_and_saveexec_b32 s1, s5
; %bb.908:                              ;   in Loop: Header=BB106_3 Depth=1
	v_xor_b32_e32 v28, 0x80000000, v28
	ds_store_b32 v48, v28 offset:8384
; %bb.909:                              ;   in Loop: Header=BB106_3 Depth=1
	s_or_b32 exec_lo, exec_lo, s1
	s_wait_dscnt 0x0
	s_barrier_signal -1
	s_barrier_wait -1
	s_barrier_signal -1
	s_barrier_wait -1
	s_and_saveexec_b32 s1, s15
	s_cbranch_execz .LBB106_911
; %bb.910:                              ;   in Loop: Header=BB106_3 Depth=1
	ds_load_b64 v[28:29], v1 offset:12480
	ds_load_b32 v68, v1 offset:12740
	s_wait_dscnt 0x0
	v_mul_f32_e32 v28, v28, v68
	s_delay_alu instid0(VALU_DEP_1)
	v_mul_f32_e32 v28, v29, v28
	ds_store_b32 v1, v28 offset:12484
.LBB106_911:                            ;   in Loop: Header=BB106_3 Depth=1
	s_or_b32 exec_lo, exec_lo, s1
	v_mov_b32_e32 v28, 0
	s_wait_dscnt 0x0
	s_barrier_signal -1
	s_barrier_wait -1
	s_and_saveexec_b32 s10, s2
	s_cbranch_execz .LBB106_915
; %bb.912:                              ;   in Loop: Header=BB106_3 Depth=1
	ds_load_b32 v28, v32 offset:12488
	ds_load_b32 v29, v33 offset:12480
	s_wait_dscnt 0x0
	v_fma_f32 v28, v28, v29, 0
	s_and_saveexec_b32 s1, s16
	s_cbranch_execz .LBB106_914
; %bb.913:                              ;   in Loop: Header=BB106_3 Depth=1
	ds_load_b32 v29, v34 offset:12744
	ds_load_b32 v68, v1 offset:12484
	s_wait_dscnt 0x0
	v_fmac_f32_e32 v28, v29, v68
.LBB106_914:                            ;   in Loop: Header=BB106_3 Depth=1
	s_or_b32 exec_lo, exec_lo, s1
	s_delay_alu instid0(VALU_DEP_1)
	v_xor_b32_e32 v28, 0x80000000, v28
.LBB106_915:                            ;   in Loop: Header=BB106_3 Depth=1
	s_or_b32 exec_lo, exec_lo, s10
	s_and_saveexec_b32 s1, s102
	s_cbranch_execz .LBB106_917
; %bb.916:                              ;   in Loop: Header=BB106_3 Depth=1
	ds_load_b32 v29, v1 offset:13000
	s_wait_dscnt 0x0
	v_mul_f32_e32 v28, v28, v29
	ds_store_b32 v3, v28
.LBB106_917:                            ;   in Loop: Header=BB106_3 Depth=1
	s_or_b32 exec_lo, exec_lo, s1
	s_wait_dscnt 0x0
	s_barrier_signal -1
	s_barrier_wait -1
	s_and_saveexec_b32 s1, s103
	s_cbranch_execz .LBB106_919
; %bb.918:                              ;   in Loop: Header=BB106_3 Depth=1
	ds_load_b32 v29, v1 offset:13004
	ds_load_b32 v68, v3
	s_wait_dscnt 0x0
	v_fmac_f32_e32 v28, v29, v68
.LBB106_919:                            ;   in Loop: Header=BB106_3 Depth=1
	s_or_b32 exec_lo, exec_lo, s1
	s_barrier_signal -1
	s_barrier_wait -1
	s_and_saveexec_b32 s1, s103
	s_cbranch_execz .LBB106_921
; %bb.920:                              ;   in Loop: Header=BB106_3 Depth=1
	ds_load_b32 v29, v1 offset:13260
	s_wait_dscnt 0x0
	v_mul_f32_e32 v28, v28, v29
	ds_store_b32 v3, v28
.LBB106_921:                            ;   in Loop: Header=BB106_3 Depth=1
	s_or_b32 exec_lo, exec_lo, s1
	s_wait_dscnt 0x0
	s_barrier_signal -1
	s_barrier_wait -1
	s_barrier_signal -1
	s_barrier_wait -1
	s_and_saveexec_b32 s1, s2
; %bb.922:                              ;   in Loop: Header=BB106_3 Depth=1
	v_xor_b32_e32 v28, 0x80000000, v28
	ds_store_b32 v32, v28 offset:12488
; %bb.923:                              ;   in Loop: Header=BB106_3 Depth=1
	s_or_b32 exec_lo, exec_lo, s1
	s_wait_dscnt 0x0
	s_barrier_signal -1
	s_barrier_wait -1
	s_barrier_signal -1
	s_barrier_wait -1
	s_and_saveexec_b32 s1, s15
	s_cbranch_execz .LBB106_925
; %bb.924:                              ;   in Loop: Header=BB106_3 Depth=1
	ds_load_b64 v[28:29], v1 offset:13000
	ds_load_b32 v68, v1 offset:13260
	s_wait_dscnt 0x0
	v_mul_f32_e32 v28, v28, v68
	s_delay_alu instid0(VALU_DEP_1)
	v_mul_f32_e32 v28, v29, v28
	ds_store_b32 v1, v28 offset:13004
.LBB106_925:                            ;   in Loop: Header=BB106_3 Depth=1
	s_or_b32 exec_lo, exec_lo, s1
	v_mov_b32_e32 v28, 0
	s_wait_dscnt 0x0
	s_barrier_signal -1
	s_barrier_wait -1
	s_and_saveexec_b32 s10, s3
	s_cbranch_execz .LBB106_931
; %bb.926:                              ;   in Loop: Header=BB106_3 Depth=1
	ds_load_b32 v28, v38 offset:12496
	ds_load_b32 v29, v35 offset:12480
	s_wait_dscnt 0x0
	v_fma_f32 v28, v28, v29, 0
	s_and_saveexec_b32 s1, s17
	s_cbranch_execnz .LBB106_1185
; %bb.927:                              ;   in Loop: Header=BB106_3 Depth=1
	s_or_b32 exec_lo, exec_lo, s1
	s_and_saveexec_b32 s1, s18
	s_cbranch_execnz .LBB106_1186
.LBB106_928:                            ;   in Loop: Header=BB106_3 Depth=1
	s_or_b32 exec_lo, exec_lo, s1
	s_and_saveexec_b32 s1, s2
	s_cbranch_execz .LBB106_930
.LBB106_929:                            ;   in Loop: Header=BB106_3 Depth=1
	ds_load_b32 v29, v34 offset:13264
	ds_load_b32 v68, v1 offset:12492
	s_wait_dscnt 0x0
	v_fmac_f32_e32 v28, v29, v68
.LBB106_930:                            ;   in Loop: Header=BB106_3 Depth=1
	s_or_b32 exec_lo, exec_lo, s1
	s_delay_alu instid0(VALU_DEP_1)
	v_xor_b32_e32 v28, 0x80000000, v28
.LBB106_931:                            ;   in Loop: Header=BB106_3 Depth=1
	s_or_b32 exec_lo, exec_lo, s10
	s_and_saveexec_b32 s1, s104
	s_cbranch_execz .LBB106_933
; %bb.932:                              ;   in Loop: Header=BB106_3 Depth=1
	ds_load_b32 v29, v1 offset:13520
	s_wait_dscnt 0x0
	v_mul_f32_e32 v28, v28, v29
	ds_store_b32 v36, v28
.LBB106_933:                            ;   in Loop: Header=BB106_3 Depth=1
	s_or_b32 exec_lo, exec_lo, s1
	s_wait_dscnt 0x0
	s_barrier_signal -1
	s_barrier_wait -1
	s_and_saveexec_b32 s1, vcc_hi
	s_cbranch_execz .LBB106_935
; %bb.934:                              ;   in Loop: Header=BB106_3 Depth=1
	ds_load_b32 v29, v37 offset:13520
	ds_load_b32 v68, v36
	s_wait_dscnt 0x0
	v_fmac_f32_e32 v28, v29, v68
.LBB106_935:                            ;   in Loop: Header=BB106_3 Depth=1
	s_or_b32 exec_lo, exec_lo, s1
	s_barrier_signal -1
	s_barrier_wait -1
	s_and_saveexec_b32 s1, s36
	s_cbranch_execz .LBB106_937
; %bb.936:                              ;   in Loop: Header=BB106_3 Depth=1
	ds_load_b32 v29, v1 offset:13780
	s_wait_dscnt 0x0
	v_mul_f32_e32 v28, v28, v29
	ds_store_b32 v36, v28
.LBB106_937:                            ;   in Loop: Header=BB106_3 Depth=1
	s_or_b32 exec_lo, exec_lo, s1
	s_wait_dscnt 0x0
	s_barrier_signal -1
	s_barrier_wait -1
	s_and_saveexec_b32 s1, s37
	s_cbranch_execz .LBB106_939
; %bb.938:                              ;   in Loop: Header=BB106_3 Depth=1
	ds_load_b32 v29, v37 offset:13776
	ds_load_b32 v68, v36
	s_wait_dscnt 0x0
	v_fmac_f32_e32 v28, v29, v68
.LBB106_939:                            ;   in Loop: Header=BB106_3 Depth=1
	s_or_b32 exec_lo, exec_lo, s1
	s_barrier_signal -1
	s_barrier_wait -1
	s_and_saveexec_b32 s1, s38
	s_cbranch_execz .LBB106_941
; %bb.940:                              ;   in Loop: Header=BB106_3 Depth=1
	ds_load_b32 v29, v1 offset:14040
	s_wait_dscnt 0x0
	v_mul_f32_e32 v28, v28, v29
	ds_store_b32 v36, v28
.LBB106_941:                            ;   in Loop: Header=BB106_3 Depth=1
	s_or_b32 exec_lo, exec_lo, s1
	s_wait_dscnt 0x0
	s_barrier_signal -1
	s_barrier_wait -1
	s_and_saveexec_b32 s1, s39
	s_cbranch_execz .LBB106_943
; %bb.942:                              ;   in Loop: Header=BB106_3 Depth=1
	ds_load_b32 v29, v1 offset:14044
	ds_load_b32 v68, v36
	s_wait_dscnt 0x0
	v_fmac_f32_e32 v28, v29, v68
.LBB106_943:                            ;   in Loop: Header=BB106_3 Depth=1
	s_or_b32 exec_lo, exec_lo, s1
	s_barrier_signal -1
	s_barrier_wait -1
	s_and_saveexec_b32 s1, s39
	s_cbranch_execz .LBB106_945
; %bb.944:                              ;   in Loop: Header=BB106_3 Depth=1
	ds_load_b32 v29, v1 offset:14300
	s_wait_dscnt 0x0
	v_mul_f32_e32 v28, v28, v29
	ds_store_b32 v36, v28
.LBB106_945:                            ;   in Loop: Header=BB106_3 Depth=1
	s_or_b32 exec_lo, exec_lo, s1
	s_wait_dscnt 0x0
	s_barrier_signal -1
	s_barrier_wait -1
	s_barrier_signal -1
	s_barrier_wait -1
	s_and_saveexec_b32 s1, s3
; %bb.946:                              ;   in Loop: Header=BB106_3 Depth=1
	v_xor_b32_e32 v28, 0x80000000, v28
	ds_store_b32 v38, v28 offset:12496
; %bb.947:                              ;   in Loop: Header=BB106_3 Depth=1
	s_or_b32 exec_lo, exec_lo, s1
	s_wait_dscnt 0x0
	s_barrier_signal -1
	s_barrier_wait -1
	s_barrier_signal -1
	s_barrier_wait -1
	s_and_saveexec_b32 s1, s15
	s_cbranch_execz .LBB106_949
; %bb.948:                              ;   in Loop: Header=BB106_3 Depth=1
	ds_load_b64 v[28:29], v1 offset:13520
	ds_load_b32 v68, v1 offset:13780
	s_wait_dscnt 0x0
	v_mul_f32_e32 v28, v28, v68
	s_delay_alu instid0(VALU_DEP_1)
	v_mul_f32_e32 v28, v29, v28
	ds_store_b32 v1, v28 offset:13524
.LBB106_949:                            ;   in Loop: Header=BB106_3 Depth=1
	s_or_b32 exec_lo, exec_lo, s1
	v_mov_b32_e32 v28, 0
	s_wait_dscnt 0x0
	s_barrier_signal -1
	s_barrier_wait -1
	s_and_saveexec_b32 s10, s2
	s_cbranch_execz .LBB106_953
; %bb.950:                              ;   in Loop: Header=BB106_3 Depth=1
	ds_load_b32 v28, v32 offset:13528
	ds_load_b32 v29, v33 offset:13520
	s_wait_dscnt 0x0
	v_fma_f32 v28, v28, v29, 0
	s_and_saveexec_b32 s1, s16
	s_cbranch_execz .LBB106_952
; %bb.951:                              ;   in Loop: Header=BB106_3 Depth=1
	ds_load_b32 v29, v34 offset:13784
	ds_load_b32 v68, v1 offset:13524
	s_wait_dscnt 0x0
	v_fmac_f32_e32 v28, v29, v68
.LBB106_952:                            ;   in Loop: Header=BB106_3 Depth=1
	s_or_b32 exec_lo, exec_lo, s1
	s_delay_alu instid0(VALU_DEP_1)
	v_xor_b32_e32 v28, 0x80000000, v28
.LBB106_953:                            ;   in Loop: Header=BB106_3 Depth=1
	s_or_b32 exec_lo, exec_lo, s10
	s_and_saveexec_b32 s1, s102
	s_cbranch_execz .LBB106_955
; %bb.954:                              ;   in Loop: Header=BB106_3 Depth=1
	ds_load_b32 v29, v1 offset:14040
	s_wait_dscnt 0x0
	v_mul_f32_e32 v28, v28, v29
	ds_store_b32 v3, v28
.LBB106_955:                            ;   in Loop: Header=BB106_3 Depth=1
	s_or_b32 exec_lo, exec_lo, s1
	s_wait_dscnt 0x0
	s_barrier_signal -1
	s_barrier_wait -1
	s_and_saveexec_b32 s1, s103
	s_cbranch_execz .LBB106_957
; %bb.956:                              ;   in Loop: Header=BB106_3 Depth=1
	ds_load_b32 v29, v1 offset:14044
	ds_load_b32 v68, v3
	s_wait_dscnt 0x0
	v_fmac_f32_e32 v28, v29, v68
.LBB106_957:                            ;   in Loop: Header=BB106_3 Depth=1
	s_or_b32 exec_lo, exec_lo, s1
	s_barrier_signal -1
	s_barrier_wait -1
	s_and_saveexec_b32 s1, s103
	s_cbranch_execz .LBB106_959
; %bb.958:                              ;   in Loop: Header=BB106_3 Depth=1
	ds_load_b32 v29, v1 offset:14300
	s_wait_dscnt 0x0
	v_mul_f32_e32 v28, v28, v29
	ds_store_b32 v3, v28
.LBB106_959:                            ;   in Loop: Header=BB106_3 Depth=1
	s_or_b32 exec_lo, exec_lo, s1
	s_wait_dscnt 0x0
	s_barrier_signal -1
	s_barrier_wait -1
	s_barrier_signal -1
	s_barrier_wait -1
	s_and_saveexec_b32 s1, s2
; %bb.960:                              ;   in Loop: Header=BB106_3 Depth=1
	v_xor_b32_e32 v28, 0x80000000, v28
	ds_store_b32 v32, v28 offset:13528
; %bb.961:                              ;   in Loop: Header=BB106_3 Depth=1
	s_or_b32 exec_lo, exec_lo, s1
	s_wait_dscnt 0x0
	s_barrier_signal -1
	s_barrier_wait -1
	s_barrier_signal -1
	s_barrier_wait -1
	s_and_saveexec_b32 s1, s15
	s_cbranch_execz .LBB106_963
; %bb.962:                              ;   in Loop: Header=BB106_3 Depth=1
	ds_load_b64 v[28:29], v1 offset:14040
	ds_load_b32 v68, v1 offset:14300
	s_wait_dscnt 0x0
	v_mul_f32_e32 v28, v28, v68
	s_delay_alu instid0(VALU_DEP_1)
	v_mul_f32_e32 v28, v29, v28
	ds_store_b32 v1, v28 offset:14044
.LBB106_963:                            ;   in Loop: Header=BB106_3 Depth=1
	s_or_b32 exec_lo, exec_lo, s1
	v_mov_b32_e32 v28, 0
	s_wait_dscnt 0x0
	s_barrier_signal -1
	s_barrier_wait -1
	s_and_saveexec_b32 s10, s4
	s_cbranch_execz .LBB106_973
; %bb.964:                              ;   in Loop: Header=BB106_3 Depth=1
	ds_load_b32 v28, v43 offset:12512
	ds_load_b32 v29, v40 offset:12480
	s_wait_dscnt 0x0
	v_fma_f32 v28, v28, v29, 0
	s_and_saveexec_b32 s1, s19
	s_cbranch_execnz .LBB106_1187
; %bb.965:                              ;   in Loop: Header=BB106_3 Depth=1
	s_or_b32 exec_lo, exec_lo, s1
	s_and_saveexec_b32 s1, s20
	s_cbranch_execnz .LBB106_1188
.LBB106_966:                            ;   in Loop: Header=BB106_3 Depth=1
	s_or_b32 exec_lo, exec_lo, s1
	s_and_saveexec_b32 s1, s21
	s_cbranch_execnz .LBB106_1189
.LBB106_967:                            ;   in Loop: Header=BB106_3 Depth=1
	s_or_b32 exec_lo, exec_lo, s1
	s_and_saveexec_b32 s1, s22
	s_cbranch_execnz .LBB106_1190
.LBB106_968:                            ;   in Loop: Header=BB106_3 Depth=1
	s_or_b32 exec_lo, exec_lo, s1
	s_and_saveexec_b32 s1, s23
	s_cbranch_execnz .LBB106_1191
.LBB106_969:                            ;   in Loop: Header=BB106_3 Depth=1
	s_or_b32 exec_lo, exec_lo, s1
	s_and_saveexec_b32 s1, s3
	s_cbranch_execnz .LBB106_1192
.LBB106_970:                            ;   in Loop: Header=BB106_3 Depth=1
	s_or_b32 exec_lo, exec_lo, s1
	s_and_saveexec_b32 s1, s18
	s_cbranch_execz .LBB106_972
.LBB106_971:                            ;   in Loop: Header=BB106_3 Depth=1
	ds_load_b32 v29, v34 offset:14304
	ds_load_b32 v68, v1 offset:12508
	s_wait_dscnt 0x0
	v_fmac_f32_e32 v28, v29, v68
.LBB106_972:                            ;   in Loop: Header=BB106_3 Depth=1
	s_or_b32 exec_lo, exec_lo, s1
	s_delay_alu instid0(VALU_DEP_1)
	v_xor_b32_e32 v28, 0x80000000, v28
.LBB106_973:                            ;   in Loop: Header=BB106_3 Depth=1
	s_or_b32 exec_lo, exec_lo, s10
	s_and_saveexec_b32 s1, s40
	s_cbranch_execz .LBB106_975
; %bb.974:                              ;   in Loop: Header=BB106_3 Depth=1
	ds_load_b32 v29, v1 offset:14560
	s_wait_dscnt 0x0
	v_mul_f32_e32 v28, v28, v29
	ds_store_b32 v42, v28
.LBB106_975:                            ;   in Loop: Header=BB106_3 Depth=1
	s_or_b32 exec_lo, exec_lo, s1
	s_wait_dscnt 0x0
	s_barrier_signal -1
	s_barrier_wait -1
	s_and_saveexec_b32 s1, s41
	s_cbranch_execz .LBB106_977
; %bb.976:                              ;   in Loop: Header=BB106_3 Depth=1
	ds_load_b32 v29, v41 offset:14560
	ds_load_b32 v68, v42
	s_wait_dscnt 0x0
	v_fmac_f32_e32 v28, v29, v68
.LBB106_977:                            ;   in Loop: Header=BB106_3 Depth=1
	s_or_b32 exec_lo, exec_lo, s1
	s_barrier_signal -1
	s_barrier_wait -1
	s_and_saveexec_b32 s1, s42
	s_cbranch_execz .LBB106_979
; %bb.978:                              ;   in Loop: Header=BB106_3 Depth=1
	ds_load_b32 v29, v1 offset:14820
	s_wait_dscnt 0x0
	v_mul_f32_e32 v28, v28, v29
	ds_store_b32 v42, v28
.LBB106_979:                            ;   in Loop: Header=BB106_3 Depth=1
	s_or_b32 exec_lo, exec_lo, s1
	s_wait_dscnt 0x0
	s_barrier_signal -1
	s_barrier_wait -1
	s_and_saveexec_b32 s1, s43
	s_cbranch_execz .LBB106_981
; %bb.980:                              ;   in Loop: Header=BB106_3 Depth=1
	ds_load_b32 v29, v41 offset:14816
	ds_load_b32 v68, v42
	s_wait_dscnt 0x0
	v_fmac_f32_e32 v28, v29, v68
.LBB106_981:                            ;   in Loop: Header=BB106_3 Depth=1
	s_or_b32 exec_lo, exec_lo, s1
	s_barrier_signal -1
	s_barrier_wait -1
	;; [unrolled: 23-line block ×6, first 2 shown]
	s_and_saveexec_b32 s1, s52
	s_cbranch_execz .LBB106_999
; %bb.998:                              ;   in Loop: Header=BB106_3 Depth=1
	ds_load_b32 v29, v1 offset:16120
	s_wait_dscnt 0x0
	v_mul_f32_e32 v28, v28, v29
	ds_store_b32 v42, v28
.LBB106_999:                            ;   in Loop: Header=BB106_3 Depth=1
	s_or_b32 exec_lo, exec_lo, s1
	s_wait_dscnt 0x0
	s_barrier_signal -1
	s_barrier_wait -1
	s_and_saveexec_b32 s1, s53
	s_cbranch_execz .LBB106_1001
; %bb.1000:                             ;   in Loop: Header=BB106_3 Depth=1
	ds_load_b32 v29, v1 offset:16124
	ds_load_b32 v68, v42
	s_wait_dscnt 0x0
	v_fmac_f32_e32 v28, v29, v68
.LBB106_1001:                           ;   in Loop: Header=BB106_3 Depth=1
	s_or_b32 exec_lo, exec_lo, s1
	s_barrier_signal -1
	s_barrier_wait -1
	s_and_saveexec_b32 s1, s53
	s_cbranch_execz .LBB106_1003
; %bb.1002:                             ;   in Loop: Header=BB106_3 Depth=1
	ds_load_b32 v29, v1 offset:16380
	s_wait_dscnt 0x0
	v_mul_f32_e32 v28, v28, v29
	ds_store_b32 v42, v28
.LBB106_1003:                           ;   in Loop: Header=BB106_3 Depth=1
	s_or_b32 exec_lo, exec_lo, s1
	s_wait_dscnt 0x0
	s_barrier_signal -1
	s_barrier_wait -1
	s_barrier_signal -1
	s_barrier_wait -1
	s_and_saveexec_b32 s1, s4
; %bb.1004:                             ;   in Loop: Header=BB106_3 Depth=1
	v_xor_b32_e32 v28, 0x80000000, v28
	ds_store_b32 v43, v28 offset:12512
; %bb.1005:                             ;   in Loop: Header=BB106_3 Depth=1
	s_or_b32 exec_lo, exec_lo, s1
	s_wait_dscnt 0x0
	s_barrier_signal -1
	s_barrier_wait -1
	s_barrier_signal -1
	s_barrier_wait -1
	s_and_saveexec_b32 s1, s15
	s_cbranch_execz .LBB106_1007
; %bb.1006:                             ;   in Loop: Header=BB106_3 Depth=1
	ds_load_b64 v[28:29], v1 offset:14560
	ds_load_b32 v68, v1 offset:14820
	s_wait_dscnt 0x0
	v_mul_f32_e32 v28, v28, v68
	s_delay_alu instid0(VALU_DEP_1)
	v_mul_f32_e32 v28, v29, v28
	ds_store_b32 v1, v28 offset:14564
.LBB106_1007:                           ;   in Loop: Header=BB106_3 Depth=1
	s_or_b32 exec_lo, exec_lo, s1
	v_mov_b32_e32 v28, 0
	s_wait_dscnt 0x0
	s_barrier_signal -1
	s_barrier_wait -1
	s_and_saveexec_b32 s10, s2
	s_cbranch_execz .LBB106_1011
; %bb.1008:                             ;   in Loop: Header=BB106_3 Depth=1
	ds_load_b32 v28, v32 offset:14568
	ds_load_b32 v29, v33 offset:14560
	s_wait_dscnt 0x0
	v_fma_f32 v28, v28, v29, 0
	s_and_saveexec_b32 s1, s16
	s_cbranch_execz .LBB106_1010
; %bb.1009:                             ;   in Loop: Header=BB106_3 Depth=1
	ds_load_b32 v29, v34 offset:14824
	ds_load_b32 v68, v1 offset:14564
	s_wait_dscnt 0x0
	v_fmac_f32_e32 v28, v29, v68
.LBB106_1010:                           ;   in Loop: Header=BB106_3 Depth=1
	s_or_b32 exec_lo, exec_lo, s1
	s_delay_alu instid0(VALU_DEP_1)
	v_xor_b32_e32 v28, 0x80000000, v28
.LBB106_1011:                           ;   in Loop: Header=BB106_3 Depth=1
	s_or_b32 exec_lo, exec_lo, s10
	s_and_saveexec_b32 s1, s102
	s_cbranch_execz .LBB106_1013
; %bb.1012:                             ;   in Loop: Header=BB106_3 Depth=1
	ds_load_b32 v29, v1 offset:15080
	s_wait_dscnt 0x0
	v_mul_f32_e32 v28, v28, v29
	ds_store_b32 v3, v28
.LBB106_1013:                           ;   in Loop: Header=BB106_3 Depth=1
	s_or_b32 exec_lo, exec_lo, s1
	s_wait_dscnt 0x0
	s_barrier_signal -1
	s_barrier_wait -1
	s_and_saveexec_b32 s1, s103
	s_cbranch_execz .LBB106_1015
; %bb.1014:                             ;   in Loop: Header=BB106_3 Depth=1
	ds_load_b32 v29, v1 offset:15084
	ds_load_b32 v68, v3
	s_wait_dscnt 0x0
	v_fmac_f32_e32 v28, v29, v68
.LBB106_1015:                           ;   in Loop: Header=BB106_3 Depth=1
	s_or_b32 exec_lo, exec_lo, s1
	s_barrier_signal -1
	s_barrier_wait -1
	s_and_saveexec_b32 s1, s103
	s_cbranch_execz .LBB106_1017
; %bb.1016:                             ;   in Loop: Header=BB106_3 Depth=1
	ds_load_b32 v29, v1 offset:15340
	s_wait_dscnt 0x0
	v_mul_f32_e32 v28, v28, v29
	ds_store_b32 v3, v28
.LBB106_1017:                           ;   in Loop: Header=BB106_3 Depth=1
	s_or_b32 exec_lo, exec_lo, s1
	s_wait_dscnt 0x0
	s_barrier_signal -1
	s_barrier_wait -1
	s_barrier_signal -1
	s_barrier_wait -1
	s_and_saveexec_b32 s1, s2
; %bb.1018:                             ;   in Loop: Header=BB106_3 Depth=1
	v_xor_b32_e32 v28, 0x80000000, v28
	ds_store_b32 v32, v28 offset:14568
; %bb.1019:                             ;   in Loop: Header=BB106_3 Depth=1
	s_or_b32 exec_lo, exec_lo, s1
	s_wait_dscnt 0x0
	s_barrier_signal -1
	s_barrier_wait -1
	s_barrier_signal -1
	s_barrier_wait -1
	s_and_saveexec_b32 s1, s15
	s_cbranch_execz .LBB106_1021
; %bb.1020:                             ;   in Loop: Header=BB106_3 Depth=1
	ds_load_b64 v[28:29], v1 offset:15080
	ds_load_b32 v68, v1 offset:15340
	s_wait_dscnt 0x0
	v_mul_f32_e32 v28, v28, v68
	s_delay_alu instid0(VALU_DEP_1)
	v_mul_f32_e32 v28, v29, v28
	ds_store_b32 v1, v28 offset:15084
.LBB106_1021:                           ;   in Loop: Header=BB106_3 Depth=1
	s_or_b32 exec_lo, exec_lo, s1
	v_mov_b32_e32 v28, 0
	s_wait_dscnt 0x0
	s_barrier_signal -1
	s_barrier_wait -1
	s_and_saveexec_b32 s10, s3
	s_cbranch_execz .LBB106_1027
; %bb.1022:                             ;   in Loop: Header=BB106_3 Depth=1
	ds_load_b32 v28, v38 offset:14576
	ds_load_b32 v29, v35 offset:14560
	s_wait_dscnt 0x0
	v_fma_f32 v28, v28, v29, 0
	s_and_saveexec_b32 s1, s17
	s_cbranch_execnz .LBB106_1193
; %bb.1023:                             ;   in Loop: Header=BB106_3 Depth=1
	s_or_b32 exec_lo, exec_lo, s1
	s_and_saveexec_b32 s1, s18
	s_cbranch_execnz .LBB106_1194
.LBB106_1024:                           ;   in Loop: Header=BB106_3 Depth=1
	s_or_b32 exec_lo, exec_lo, s1
	s_and_saveexec_b32 s1, s2
	s_cbranch_execz .LBB106_1026
.LBB106_1025:                           ;   in Loop: Header=BB106_3 Depth=1
	ds_load_b32 v29, v34 offset:15344
	ds_load_b32 v68, v1 offset:14572
	s_wait_dscnt 0x0
	v_fmac_f32_e32 v28, v29, v68
.LBB106_1026:                           ;   in Loop: Header=BB106_3 Depth=1
	s_or_b32 exec_lo, exec_lo, s1
	s_delay_alu instid0(VALU_DEP_1)
	v_xor_b32_e32 v28, 0x80000000, v28
.LBB106_1027:                           ;   in Loop: Header=BB106_3 Depth=1
	s_or_b32 exec_lo, exec_lo, s10
	s_and_saveexec_b32 s1, s104
	s_cbranch_execz .LBB106_1029
; %bb.1028:                             ;   in Loop: Header=BB106_3 Depth=1
	ds_load_b32 v29, v1 offset:15600
	s_wait_dscnt 0x0
	v_mul_f32_e32 v28, v28, v29
	ds_store_b32 v36, v28
.LBB106_1029:                           ;   in Loop: Header=BB106_3 Depth=1
	s_or_b32 exec_lo, exec_lo, s1
	s_wait_dscnt 0x0
	s_barrier_signal -1
	s_barrier_wait -1
	s_and_saveexec_b32 s1, vcc_hi
	s_cbranch_execz .LBB106_1031
; %bb.1030:                             ;   in Loop: Header=BB106_3 Depth=1
	ds_load_b32 v29, v37 offset:15600
	ds_load_b32 v68, v36
	s_wait_dscnt 0x0
	v_fmac_f32_e32 v28, v29, v68
.LBB106_1031:                           ;   in Loop: Header=BB106_3 Depth=1
	s_or_b32 exec_lo, exec_lo, s1
	s_barrier_signal -1
	s_barrier_wait -1
	s_and_saveexec_b32 s1, s36
	s_cbranch_execz .LBB106_1033
; %bb.1032:                             ;   in Loop: Header=BB106_3 Depth=1
	ds_load_b32 v29, v1 offset:15860
	s_wait_dscnt 0x0
	v_mul_f32_e32 v28, v28, v29
	ds_store_b32 v36, v28
.LBB106_1033:                           ;   in Loop: Header=BB106_3 Depth=1
	s_or_b32 exec_lo, exec_lo, s1
	s_wait_dscnt 0x0
	s_barrier_signal -1
	s_barrier_wait -1
	s_and_saveexec_b32 s1, s37
	s_cbranch_execz .LBB106_1035
; %bb.1034:                             ;   in Loop: Header=BB106_3 Depth=1
	ds_load_b32 v29, v37 offset:15856
	ds_load_b32 v68, v36
	s_wait_dscnt 0x0
	v_fmac_f32_e32 v28, v29, v68
.LBB106_1035:                           ;   in Loop: Header=BB106_3 Depth=1
	s_or_b32 exec_lo, exec_lo, s1
	s_barrier_signal -1
	s_barrier_wait -1
	s_and_saveexec_b32 s1, s38
	s_cbranch_execz .LBB106_1037
; %bb.1036:                             ;   in Loop: Header=BB106_3 Depth=1
	ds_load_b32 v29, v1 offset:16120
	s_wait_dscnt 0x0
	v_mul_f32_e32 v28, v28, v29
	ds_store_b32 v36, v28
.LBB106_1037:                           ;   in Loop: Header=BB106_3 Depth=1
	s_or_b32 exec_lo, exec_lo, s1
	s_wait_dscnt 0x0
	s_barrier_signal -1
	s_barrier_wait -1
	s_and_saveexec_b32 s1, s39
	s_cbranch_execz .LBB106_1039
; %bb.1038:                             ;   in Loop: Header=BB106_3 Depth=1
	ds_load_b32 v29, v1 offset:16124
	ds_load_b32 v68, v36
	s_wait_dscnt 0x0
	v_fmac_f32_e32 v28, v29, v68
.LBB106_1039:                           ;   in Loop: Header=BB106_3 Depth=1
	s_or_b32 exec_lo, exec_lo, s1
	s_barrier_signal -1
	s_barrier_wait -1
	s_and_saveexec_b32 s1, s39
	s_cbranch_execz .LBB106_1041
; %bb.1040:                             ;   in Loop: Header=BB106_3 Depth=1
	ds_load_b32 v29, v1 offset:16380
	s_wait_dscnt 0x0
	v_mul_f32_e32 v28, v28, v29
	ds_store_b32 v36, v28
.LBB106_1041:                           ;   in Loop: Header=BB106_3 Depth=1
	s_or_b32 exec_lo, exec_lo, s1
	s_wait_dscnt 0x0
	s_barrier_signal -1
	s_barrier_wait -1
	s_barrier_signal -1
	s_barrier_wait -1
	s_and_saveexec_b32 s1, s3
; %bb.1042:                             ;   in Loop: Header=BB106_3 Depth=1
	v_xor_b32_e32 v28, 0x80000000, v28
	ds_store_b32 v38, v28 offset:14576
; %bb.1043:                             ;   in Loop: Header=BB106_3 Depth=1
	s_or_b32 exec_lo, exec_lo, s1
	s_wait_dscnt 0x0
	s_barrier_signal -1
	s_barrier_wait -1
	s_barrier_signal -1
	s_barrier_wait -1
	s_and_saveexec_b32 s1, s15
	s_cbranch_execz .LBB106_1045
; %bb.1044:                             ;   in Loop: Header=BB106_3 Depth=1
	ds_load_b64 v[28:29], v1 offset:15600
	ds_load_b32 v68, v1 offset:15860
	s_wait_dscnt 0x0
	v_mul_f32_e32 v28, v28, v68
	s_delay_alu instid0(VALU_DEP_1)
	v_mul_f32_e32 v28, v29, v28
	ds_store_b32 v1, v28 offset:15604
.LBB106_1045:                           ;   in Loop: Header=BB106_3 Depth=1
	s_or_b32 exec_lo, exec_lo, s1
	v_mov_b32_e32 v28, 0
	s_wait_dscnt 0x0
	s_barrier_signal -1
	s_barrier_wait -1
	s_and_saveexec_b32 s10, s2
	s_cbranch_execz .LBB106_1049
; %bb.1046:                             ;   in Loop: Header=BB106_3 Depth=1
	ds_load_b32 v28, v32 offset:15608
	ds_load_b32 v29, v33 offset:15600
	s_wait_dscnt 0x0
	v_fma_f32 v28, v28, v29, 0
	s_and_saveexec_b32 s1, s16
	s_cbranch_execz .LBB106_1048
; %bb.1047:                             ;   in Loop: Header=BB106_3 Depth=1
	ds_load_b32 v29, v34 offset:15864
	ds_load_b32 v68, v1 offset:15604
	s_wait_dscnt 0x0
	v_fmac_f32_e32 v28, v29, v68
.LBB106_1048:                           ;   in Loop: Header=BB106_3 Depth=1
	s_or_b32 exec_lo, exec_lo, s1
	s_delay_alu instid0(VALU_DEP_1)
	v_xor_b32_e32 v28, 0x80000000, v28
.LBB106_1049:                           ;   in Loop: Header=BB106_3 Depth=1
	s_or_b32 exec_lo, exec_lo, s10
	s_and_saveexec_b32 s1, s102
	s_cbranch_execz .LBB106_1051
; %bb.1050:                             ;   in Loop: Header=BB106_3 Depth=1
	ds_load_b32 v29, v1 offset:16120
	s_wait_dscnt 0x0
	v_mul_f32_e32 v28, v28, v29
	ds_store_b32 v3, v28
.LBB106_1051:                           ;   in Loop: Header=BB106_3 Depth=1
	s_or_b32 exec_lo, exec_lo, s1
	s_wait_dscnt 0x0
	s_barrier_signal -1
	s_barrier_wait -1
	s_and_saveexec_b32 s1, s103
	s_cbranch_execz .LBB106_1053
; %bb.1052:                             ;   in Loop: Header=BB106_3 Depth=1
	ds_load_b32 v29, v1 offset:16124
	ds_load_b32 v68, v3
	s_wait_dscnt 0x0
	v_fmac_f32_e32 v28, v29, v68
.LBB106_1053:                           ;   in Loop: Header=BB106_3 Depth=1
	s_or_b32 exec_lo, exec_lo, s1
	s_barrier_signal -1
	s_barrier_wait -1
	s_and_saveexec_b32 s1, s103
	s_cbranch_execz .LBB106_1055
; %bb.1054:                             ;   in Loop: Header=BB106_3 Depth=1
	ds_load_b32 v29, v1 offset:16380
	s_wait_dscnt 0x0
	v_mul_f32_e32 v28, v28, v29
	ds_store_b32 v3, v28
.LBB106_1055:                           ;   in Loop: Header=BB106_3 Depth=1
	s_or_b32 exec_lo, exec_lo, s1
	s_wait_dscnt 0x0
	s_barrier_signal -1
	s_barrier_wait -1
	s_barrier_signal -1
	s_barrier_wait -1
	s_and_saveexec_b32 s1, s2
; %bb.1056:                             ;   in Loop: Header=BB106_3 Depth=1
	v_xor_b32_e32 v28, 0x80000000, v28
	ds_store_b32 v32, v28 offset:15608
; %bb.1057:                             ;   in Loop: Header=BB106_3 Depth=1
	s_or_b32 exec_lo, exec_lo, s1
	s_wait_dscnt 0x0
	s_barrier_signal -1
	s_barrier_wait -1
	s_barrier_signal -1
	s_barrier_wait -1
	s_and_saveexec_b32 s1, s15
	s_cbranch_execz .LBB106_1059
; %bb.1058:                             ;   in Loop: Header=BB106_3 Depth=1
	ds_load_b64 v[28:29], v1 offset:16120
	ds_load_b32 v68, v1 offset:16380
	s_wait_dscnt 0x0
	v_mul_f32_e32 v28, v28, v68
	s_delay_alu instid0(VALU_DEP_1)
	v_mul_f32_e32 v28, v29, v28
	ds_store_b32 v1, v28 offset:16124
.LBB106_1059:                           ;   in Loop: Header=BB106_3 Depth=1
	s_or_b32 exec_lo, exec_lo, s1
.LBB106_1060:                           ;   in Loop: Header=BB106_3 Depth=1
	v_add_nc_u64_e32 v[26:27], s[76:77], v[26:27]
	v_mov_b32_e32 v68, 0
	s_wait_dscnt 0x0
	s_barrier_signal -1
	s_barrier_wait -1
	s_and_saveexec_b32 s1, s12
	s_cbranch_execz .LBB106_1062
; %bb.1061:                             ;   in Loop: Header=BB106_3 Depth=1
	v_lshl_add_u64 v[28:29], v[10:11], 2, v[26:27]
	flat_load_b32 v28, v[28:29]
	s_wait_loadcnt_dscnt 0x0
	v_mul_f32_e64 v68, v28, -v0
.LBB106_1062:                           ;   in Loop: Header=BB106_3 Depth=1
	s_or_b32 exec_lo, exec_lo, s1
	s_delay_alu instid0(SALU_CYCLE_1)
	s_and_not1_b32 vcc_lo, exec_lo, s56
	s_cbranch_vccnz .LBB106_1088
; %bb.1063:                             ;   in Loop: Header=BB106_3 Depth=1
	v_lshl_add_u64 v[24:25], v[6:7], 2, v[24:25]
	v_mov_b32_e32 v69, -1
	s_lshl_b64 s[94:95], s[70:71], 2
	s_mov_b32 s10, 0
	s_add_nc_u64 s[94:95], s[86:87], s[94:95]
	s_branch .LBB106_1066
.LBB106_1064:                           ;   in Loop: Header=BB106_1066 Depth=2
	s_wait_xcnt 0x0
	ds_load_b32 v28, v5 offset:192
	s_wait_loadcnt_dscnt 0x0
	v_fmac_f32_e32 v68, v0, v28
.LBB106_1065:                           ;   in Loop: Header=BB106_1066 Depth=2
	s_or_b32 exec_lo, exec_lo, s1
	s_add_co_i32 s10, s10, 1
	s_delay_alu instid0(SALU_CYCLE_1)
	s_cmp_eq_u32 s10, s98
	s_cbranch_scc1 .LBB106_1088
.LBB106_1066:                           ;   Parent Loop BB106_3 Depth=1
                                        ; =>  This Loop Header: Depth=2
                                        ;       Child Loop BB106_1068 Depth 3
	v_cmp_gt_i32_e32 vcc_lo, s10, v69
	s_and_b32 s8, s59, vcc_lo
	s_delay_alu instid0(SALU_CYCLE_1)
	s_and_saveexec_b32 s1, s8
	s_cbranch_execz .LBB106_1069
; %bb.1067:                             ;   in Loop: Header=BB106_1066 Depth=2
	global_load_b32 v69, v1, s[94:95]
	s_wait_loadcnt 0x0
	v_cmp_le_i32_e32 vcc_lo, s10, v69
	s_cbranch_vccnz .LBB106_1069
.LBB106_1068:                           ;   Parent Loop BB106_3 Depth=1
                                        ;     Parent Loop BB106_1066 Depth=2
                                        ; =>    This Inner Loop Header: Depth=3
	global_wb scope:SCOPE_DEV
	s_wait_storecnt 0x0
	global_inv scope:SCOPE_DEV
	global_load_b32 v69, v1, s[94:95]
	s_wait_loadcnt 0x0
	v_cmp_gt_i32_e32 vcc_lo, s10, v69
	s_cbranch_vccnz .LBB106_1068
.LBB106_1069:                           ;   in Loop: Header=BB106_1066 Depth=2
	s_or_b32 exec_lo, exec_lo, s1
	s_lshl_b32 s69, s10, 6
	global_wb scope:SCOPE_DEV
	s_wait_storecnt 0x0
	global_inv scope:SCOPE_DEV
	s_wait_loadcnt 0x0
	s_barrier_signal -1
	s_barrier_wait -1
	s_and_saveexec_b32 s1, s60
	s_cbranch_execz .LBB106_1073
; %bb.1070:                             ;   in Loop: Header=BB106_1066 Depth=2
	v_dual_mov_b32 v28, 0 :: v_dual_bitop2_b32 v0, s69, v4 bitop3:0x54
	s_mov_b32 s8, exec_lo
	s_delay_alu instid0(VALU_DEP_1)
	v_cmpx_gt_i32_e64 s97, v0
	s_cbranch_execz .LBB106_1072
; %bb.1071:                             ;   in Loop: Header=BB106_1066 Depth=2
	v_mul_u64_e32 v[28:29], s[78:79], v[0:1]
	s_delay_alu instid0(VALU_DEP_1)
	v_lshl_add_u64 v[28:29], v[28:29], 2, v[26:27]
	flat_load_b32 v28, v[28:29]
.LBB106_1072:                           ;   in Loop: Header=BB106_1066 Depth=2
	s_wait_xcnt 0x0
	s_or_b32 exec_lo, exec_lo, s8
	s_wait_loadcnt_dscnt 0x0
	ds_store_b32 v55, v28
.LBB106_1073:                           ;   in Loop: Header=BB106_1066 Depth=2
	s_or_b32 exec_lo, exec_lo, s1
	v_add_nc_u32_e32 v0, s69, v30
	v_cmp_ne_u32_e32 vcc_lo, s10, v31
	s_wait_dscnt 0x0
	s_barrier_signal -1
	s_barrier_wait -1
	v_mul_u64_e32 v[28:29], s[84:85], v[0:1]
	v_cmp_gt_i32_e64 s69, s97, v0
	v_cndmask_b32_e64 v70, 0, 1, vcc_lo
	s_and_b32 s8, s0, s69
	v_lshl_add_u64 v[28:29], v[28:29], 2, v[24:25]
	s_and_saveexec_b32 s1, s8
	s_cbranch_execz .LBB106_1077
; %bb.1074:                             ;   in Loop: Header=BB106_1066 Depth=2
	v_mov_b32_e32 v71, v64
	s_and_not1_b32 vcc_lo, exec_lo, vcc_lo
	s_cbranch_vccnz .LBB106_1076
; %bb.1075:                             ;   in Loop: Header=BB106_1066 Depth=2
	flat_load_b32 v71, v[28:29]
.LBB106_1076:                           ;   in Loop: Header=BB106_1066 Depth=2
	ds_load_b32 v72, v5
	s_wait_loadcnt_dscnt 0x0
	v_fmac_f32_e32 v68, v71, v72
.LBB106_1077:                           ;   in Loop: Header=BB106_1066 Depth=2
	s_or_b32 exec_lo, exec_lo, s1
	v_add_nc_u32_e32 v71, 16, v0
	s_delay_alu instid0(VALU_DEP_1) | instskip(SKIP_1) | instid1(SALU_CYCLE_1)
	v_cmp_gt_i32_e32 vcc_lo, s97, v71
	s_and_b32 s8, s0, vcc_lo
	s_and_saveexec_b32 s1, s8
	s_cbranch_execz .LBB106_1081
; %bb.1078:                             ;   in Loop: Header=BB106_1066 Depth=2
	v_cmp_ne_u32_e32 vcc_lo, 1, v70
	v_mov_b32_e32 v71, v65
	s_cbranch_vccnz .LBB106_1080
; %bb.1079:                             ;   in Loop: Header=BB106_1066 Depth=2
	v_add_nc_u64_e32 v[72:73], s[88:89], v[28:29]
	flat_load_b32 v71, v[72:73]
.LBB106_1080:                           ;   in Loop: Header=BB106_1066 Depth=2
	s_wait_xcnt 0x0
	ds_load_b32 v72, v5 offset:64
	s_wait_loadcnt_dscnt 0x0
	v_fmac_f32_e32 v68, v71, v72
.LBB106_1081:                           ;   in Loop: Header=BB106_1066 Depth=2
	s_or_b32 exec_lo, exec_lo, s1
	v_add_nc_u32_e32 v71, 32, v0
	s_delay_alu instid0(VALU_DEP_1) | instskip(SKIP_1) | instid1(SALU_CYCLE_1)
	v_cmp_gt_i32_e32 vcc_lo, s97, v71
	s_and_b32 s8, s0, vcc_lo
	s_and_saveexec_b32 s1, s8
	s_cbranch_execz .LBB106_1085
; %bb.1082:                             ;   in Loop: Header=BB106_1066 Depth=2
	v_cmp_ne_u32_e32 vcc_lo, 1, v70
	v_mov_b32_e32 v71, v66
	s_cbranch_vccnz .LBB106_1084
; %bb.1083:                             ;   in Loop: Header=BB106_1066 Depth=2
	v_add_nc_u64_e32 v[72:73], s[90:91], v[28:29]
	flat_load_b32 v71, v[72:73]
.LBB106_1084:                           ;   in Loop: Header=BB106_1066 Depth=2
	s_wait_xcnt 0x0
	ds_load_b32 v72, v5 offset:128
	s_wait_loadcnt_dscnt 0x0
	v_fmac_f32_e32 v68, v71, v72
.LBB106_1085:                           ;   in Loop: Header=BB106_1066 Depth=2
	s_or_b32 exec_lo, exec_lo, s1
	v_add_nc_u32_e32 v0, 48, v0
	s_delay_alu instid0(VALU_DEP_1) | instskip(SKIP_1) | instid1(SALU_CYCLE_1)
	v_cmp_gt_i32_e32 vcc_lo, s97, v0
	s_and_b32 s8, s0, vcc_lo
	s_and_saveexec_b32 s1, s8
	s_cbranch_execz .LBB106_1065
; %bb.1086:                             ;   in Loop: Header=BB106_1066 Depth=2
	v_cmp_ne_u32_e32 vcc_lo, 1, v70
	v_mov_b32_e32 v0, v67
	s_cbranch_vccnz .LBB106_1064
; %bb.1087:                             ;   in Loop: Header=BB106_1066 Depth=2
	v_add_nc_u64_e32 v[28:29], s[92:93], v[28:29]
	flat_load_b32 v0, v[28:29]
	s_branch .LBB106_1064
.LBB106_1088:                           ;   in Loop: Header=BB106_3 Depth=1
	ds_store_b32 v56, v68
	s_wait_dscnt 0x0
	s_barrier_signal -1
	s_barrier_wait -1
	s_and_saveexec_b32 s10, s7
	s_cbranch_execz .LBB106_1090
; %bb.1089:                             ;   in Loop: Header=BB106_3 Depth=1
	ds_load_2addr_stride64_b32 v[24:25], v57 offset0:1 offset1:2
	ds_load_2addr_stride64_b32 v[28:29], v57 offset0:3 offset1:4
	;; [unrolled: 1-line block ×4, first 2 shown]
	v_readlane_b32 s1, v76, 2
	s_wait_dscnt 0x3
	v_add_f32_e32 v0, v68, v24
	s_delay_alu instid0(VALU_DEP_1) | instskip(SKIP_3) | instid1(VALU_DEP_1)
	v_add_f32_e32 v0, v0, v25
	ds_load_2addr_stride64_b32 v[24:25], v57 offset0:9 offset1:10
	s_wait_dscnt 0x3
	v_add_f32_e32 v0, v0, v28
	v_add_f32_e32 v0, v0, v29
	ds_load_2addr_stride64_b32 v[28:29], v57 offset0:11 offset1:12
	s_wait_dscnt 0x3
	v_add_f32_e32 v0, v0, v70
	ds_load_2addr_stride64_b32 v[68:69], v57 offset0:13 offset1:14
	ds_load_b32 v70, v57 offset:3840
	v_add_f32_e32 v0, v0, v71
	s_wait_dscnt 0x4
	s_delay_alu instid0(VALU_DEP_1) | instskip(NEXT) | instid1(VALU_DEP_1)
	v_add_f32_e32 v0, v0, v72
	v_add_f32_e32 v0, v0, v73
	s_wait_dscnt 0x3
	s_delay_alu instid0(VALU_DEP_1) | instskip(NEXT) | instid1(VALU_DEP_1)
	v_add_f32_e32 v0, v0, v24
	;; [unrolled: 4-line block ×5, first 2 shown]
	v_cndmask_b32_e64 v68, -v0, 0, s1
.LBB106_1090:                           ;   in Loop: Header=BB106_3 Depth=1
	s_or_b32 exec_lo, exec_lo, s10
	s_delay_alu instid0(SALU_CYCLE_1)
	s_and_not1_b32 vcc_lo, exec_lo, s101
	s_cbranch_vccnz .LBB106_1103
; %bb.1091:                             ;   in Loop: Header=BB106_3 Depth=1
	s_and_saveexec_b32 s1, s7
; %bb.1092:                             ;   in Loop: Header=BB106_3 Depth=1
	ds_store_b32 v59, v68
; %bb.1093:                             ;   in Loop: Header=BB106_3 Depth=1
	s_or_b32 exec_lo, exec_lo, s1
	v_mov_b32_e32 v0, 0
	s_wait_dscnt 0x0
	s_barrier_signal -1
	s_barrier_wait -1
	s_mov_b32 s1, exec_lo
	v_readlane_b32 s8, v75, 25
	s_and_b32 s8, s1, s8
	s_delay_alu instid0(SALU_CYCLE_1)
	s_mov_b32 exec_lo, s8
	s_cbranch_execz .LBB106_1095
; %bb.1094:                             ;   in Loop: Header=BB106_3 Depth=1
	ds_load_b32 v0, v58
	ds_load_b32 v24, v5
	s_wait_dscnt 0x0
	v_fma_f32 v0, v0, v24, 0
.LBB106_1095:                           ;   in Loop: Header=BB106_3 Depth=1
	s_or_b32 exec_lo, exec_lo, s1
	s_delay_alu instid0(SALU_CYCLE_1) | instskip(SKIP_2) | instid1(SALU_CYCLE_1)
	s_mov_b32 s1, exec_lo
	v_readlane_b32 s8, v75, 26
	s_and_b32 s8, s1, s8
	s_mov_b32 exec_lo, s8
	s_cbranch_execz .LBB106_1097
; %bb.1096:                             ;   in Loop: Header=BB106_3 Depth=1
	ds_load_b32 v24, v58 offset:4096
	ds_load_b32 v25, v5 offset:64
	s_wait_dscnt 0x0
	v_fmac_f32_e32 v0, v24, v25
.LBB106_1097:                           ;   in Loop: Header=BB106_3 Depth=1
	s_or_b32 exec_lo, exec_lo, s1
	s_delay_alu instid0(SALU_CYCLE_1) | instskip(SKIP_2) | instid1(SALU_CYCLE_1)
	s_mov_b32 s1, exec_lo
	v_readlane_b32 s8, v75, 27
	s_and_b32 s8, s1, s8
	s_mov_b32 exec_lo, s8
	s_cbranch_execz .LBB106_1099
; %bb.1098:                             ;   in Loop: Header=BB106_3 Depth=1
	ds_load_b32 v24, v58 offset:8192
	ds_load_b32 v25, v5 offset:128
	s_wait_dscnt 0x0
	v_fmac_f32_e32 v0, v24, v25
.LBB106_1099:                           ;   in Loop: Header=BB106_3 Depth=1
	;; [unrolled: 13-line block ×3, first 2 shown]
	s_or_b32 exec_lo, exec_lo, s1
	s_mov_b32 s10, 0
	s_mov_b32 s69, 0
	ds_store_b32 v56, v0
	s_wait_dscnt 0x0
	s_barrier_signal -1
	s_barrier_wait -1
                                        ; implicit-def: $vgpr24
	s_and_saveexec_b32 s94, s7
	s_cbranch_execz .LBB106_1139
; %bb.1102:                             ;   in Loop: Header=BB106_3 Depth=1
	ds_load_2addr_stride64_b32 v[24:25], v57 offset0:1 offset1:2
	ds_load_2addr_stride64_b32 v[28:29], v57 offset0:3 offset1:4
	;; [unrolled: 1-line block ×4, first 2 shown]
	s_mov_b32 s69, exec_lo
	s_wait_dscnt 0x3
	v_add_f32_e32 v0, v0, v24
	s_delay_alu instid0(VALU_DEP_1) | instskip(SKIP_3) | instid1(VALU_DEP_1)
	v_add_f32_e32 v0, v25, v0
	ds_load_2addr_stride64_b32 v[24:25], v57 offset0:9 offset1:10
	s_wait_dscnt 0x3
	v_add_f32_e32 v0, v28, v0
	v_add_f32_e32 v0, v29, v0
	ds_load_2addr_stride64_b32 v[28:29], v57 offset0:11 offset1:12
	s_wait_dscnt 0x3
	v_add_f32_e32 v0, v70, v0
	s_delay_alu instid0(VALU_DEP_1) | instskip(SKIP_4) | instid1(VALU_DEP_1)
	v_add_f32_e32 v0, v71, v0
	ds_load_2addr_stride64_b32 v[70:71], v57 offset0:13 offset1:14
	ds_load_b32 v69, v57 offset:3840
	s_wait_dscnt 0x4
	v_add_f32_e32 v0, v72, v0
	v_add_f32_e32 v0, v73, v0
	s_wait_dscnt 0x3
	s_delay_alu instid0(VALU_DEP_1) | instskip(NEXT) | instid1(VALU_DEP_1)
	v_add_f32_e32 v0, v24, v0
	v_add_f32_e32 v0, v25, v0
	s_wait_dscnt 0x2
	s_delay_alu instid0(VALU_DEP_1) | instskip(NEXT) | instid1(VALU_DEP_1)
	;; [unrolled: 4-line block ×3, first 2 shown]
	v_add_f32_e32 v0, v70, v0
	v_add_f32_e32 v0, v71, v0
	s_wait_dscnt 0x0
	s_delay_alu instid0(VALU_DEP_1) | instskip(SKIP_1) | instid1(SALU_CYCLE_1)
	v_add_f32_e32 v24, v69, v0
	s_or_b32 exec_lo, exec_lo, s94
	s_and_b32 vcc_lo, exec_lo, s10
	s_cbranch_vccnz .LBB106_1104
	s_branch .LBB106_1140
.LBB106_1103:                           ;   in Loop: Header=BB106_3 Depth=1
	s_mov_b32 s69, 0
                                        ; implicit-def: $vgpr24
	s_cbranch_execz .LBB106_1140
.LBB106_1104:                           ;   in Loop: Header=BB106_3 Depth=1
	v_dual_mov_b32 v0, v2 :: v_dual_mov_b32 v24, v34
	s_mov_b32 s10, 0
	s_branch .LBB106_1106
.LBB106_1105:                           ;   in Loop: Header=BB106_1106 Depth=2
	s_or_b32 exec_lo, exec_lo, s1
	v_add_nc_u32_e32 v24, 0x400, v24
	v_add_nc_u32_e32 v0, -4, v0
	s_add_co_i32 s10, s10, 4
	s_delay_alu instid0(SALU_CYCLE_1)
	s_cmp_lg_u32 s10, 64
	s_barrier_signal -1
	s_barrier_wait -1
	s_cbranch_scc0 .LBB106_1122
.LBB106_1106:                           ;   Parent Loop BB106_3 Depth=1
                                        ; =>  This Inner Loop Header: Depth=2
	s_delay_alu instid0(VALU_DEP_1) | instskip(SKIP_1) | instid1(SALU_CYCLE_1)
	v_cmp_eq_u32_e32 vcc_lo, 0, v0
	s_and_b32 s8, s7, vcc_lo
	s_and_saveexec_b32 s1, s8
	s_cbranch_execz .LBB106_1108
; %bb.1107:                             ;   in Loop: Header=BB106_1106 Depth=2
	ds_load_b32 v25, v60
	s_wait_dscnt 0x0
	v_mul_f32_e32 v68, v68, v25
	ds_store_b32 v1, v68 offset:20736
.LBB106_1108:                           ;   in Loop: Header=BB106_1106 Depth=2
	s_or_b32 exec_lo, exec_lo, s1
	v_cmp_lt_u32_e32 vcc_lo, s10, v2
	s_wait_dscnt 0x0
	s_barrier_signal -1
	s_barrier_wait -1
	s_and_b32 s8, s7, vcc_lo
	s_delay_alu instid0(SALU_CYCLE_1)
	s_and_saveexec_b32 s1, s8
	s_cbranch_execz .LBB106_1110
; %bb.1109:                             ;   in Loop: Header=BB106_1106 Depth=2
	ds_load_b32 v25, v24
	ds_load_b32 v28, v1 offset:20736
	s_wait_dscnt 0x0
	v_fmac_f32_e32 v68, v25, v28
.LBB106_1110:                           ;   in Loop: Header=BB106_1106 Depth=2
	s_or_b32 exec_lo, exec_lo, s1
	s_or_b32 s1, s10, 1
	s_delay_alu instid0(SALU_CYCLE_1) | instskip(SKIP_3) | instid1(SALU_CYCLE_1)
	v_cmp_eq_u32_e32 vcc_lo, s1, v2
	s_barrier_signal -1
	s_barrier_wait -1
	s_and_b32 s94, s7, vcc_lo
	s_and_saveexec_b32 s8, s94
	s_cbranch_execz .LBB106_1112
; %bb.1111:                             ;   in Loop: Header=BB106_1106 Depth=2
	ds_load_b32 v25, v60
	s_wait_dscnt 0x0
	v_mul_f32_e32 v68, v68, v25
	ds_store_b32 v1, v68 offset:20736
.LBB106_1112:                           ;   in Loop: Header=BB106_1106 Depth=2
	s_or_b32 exec_lo, exec_lo, s8
	v_cmp_lt_u32_e32 vcc_lo, s1, v2
	s_wait_dscnt 0x0
	s_barrier_signal -1
	s_barrier_wait -1
	s_and_b32 s8, s7, vcc_lo
	s_delay_alu instid0(SALU_CYCLE_1)
	s_and_saveexec_b32 s1, s8
	s_cbranch_execz .LBB106_1114
; %bb.1113:                             ;   in Loop: Header=BB106_1106 Depth=2
	ds_load_b32 v25, v24 offset:256
	ds_load_b32 v28, v1 offset:20736
	s_wait_dscnt 0x0
	v_fmac_f32_e32 v68, v25, v28
.LBB106_1114:                           ;   in Loop: Header=BB106_1106 Depth=2
	s_or_b32 exec_lo, exec_lo, s1
	s_or_b32 s1, s10, 2
	s_delay_alu instid0(SALU_CYCLE_1) | instskip(SKIP_3) | instid1(SALU_CYCLE_1)
	v_cmp_eq_u32_e32 vcc_lo, s1, v2
	s_barrier_signal -1
	s_barrier_wait -1
	s_and_b32 s94, s7, vcc_lo
	s_and_saveexec_b32 s8, s94
	s_cbranch_execz .LBB106_1116
; %bb.1115:                             ;   in Loop: Header=BB106_1106 Depth=2
	ds_load_b32 v25, v60
	s_wait_dscnt 0x0
	v_mul_f32_e32 v68, v68, v25
	ds_store_b32 v1, v68 offset:20736
.LBB106_1116:                           ;   in Loop: Header=BB106_1106 Depth=2
	s_or_b32 exec_lo, exec_lo, s8
	v_cmp_lt_u32_e32 vcc_lo, s1, v2
	s_wait_dscnt 0x0
	s_barrier_signal -1
	s_barrier_wait -1
	s_and_b32 s8, s7, vcc_lo
	s_delay_alu instid0(SALU_CYCLE_1)
	s_and_saveexec_b32 s1, s8
	s_cbranch_execz .LBB106_1118
; %bb.1117:                             ;   in Loop: Header=BB106_1106 Depth=2
	ds_load_b32 v25, v24 offset:512
	ds_load_b32 v28, v1 offset:20736
	s_wait_dscnt 0x0
	v_fmac_f32_e32 v68, v25, v28
.LBB106_1118:                           ;   in Loop: Header=BB106_1106 Depth=2
	s_or_b32 exec_lo, exec_lo, s1
	s_or_b32 s1, s10, 3
	s_delay_alu instid0(SALU_CYCLE_1) | instskip(SKIP_3) | instid1(SALU_CYCLE_1)
	v_cmp_eq_u32_e32 vcc_lo, s1, v2
	s_barrier_signal -1
	s_barrier_wait -1
	s_and_b32 s94, s7, vcc_lo
	s_and_saveexec_b32 s8, s94
	s_cbranch_execz .LBB106_1120
; %bb.1119:                             ;   in Loop: Header=BB106_1106 Depth=2
	ds_load_b32 v25, v60
	s_wait_dscnt 0x0
	v_mul_f32_e32 v68, v68, v25
	ds_store_b32 v1, v68 offset:20736
.LBB106_1120:                           ;   in Loop: Header=BB106_1106 Depth=2
	s_or_b32 exec_lo, exec_lo, s8
	v_cmp_lt_u32_e32 vcc_lo, s1, v2
	s_wait_dscnt 0x0
	s_barrier_signal -1
	s_barrier_wait -1
	s_and_b32 s8, s7, vcc_lo
	s_delay_alu instid0(SALU_CYCLE_1)
	s_and_saveexec_b32 s1, s8
	s_cbranch_execz .LBB106_1105
; %bb.1121:                             ;   in Loop: Header=BB106_1106 Depth=2
	ds_load_b32 v25, v24 offset:768
	ds_load_b32 v28, v1 offset:20736
	s_wait_dscnt 0x0
	v_fmac_f32_e32 v68, v25, v28
	s_branch .LBB106_1105
.LBB106_1122:                           ;   in Loop: Header=BB106_3 Depth=1
	s_and_b32 vcc_lo, exec_lo, s100
	s_mov_b32 s1, -1
	s_cbranch_vccz .LBB106_1124
; %bb.1123:                             ;   in Loop: Header=BB106_3 Depth=1
	s_and_not1_b32 s8, s69, exec_lo
	s_and_b32 s10, s7, exec_lo
	s_mov_b32 s1, 0
	s_or_b32 s69, s8, s10
.LBB106_1124:                           ;   in Loop: Header=BB106_3 Depth=1
	s_and_not1_b32 vcc_lo, exec_lo, s1
	s_cbranch_vccnz .LBB106_1126
; %bb.1125:                             ;   in Loop: Header=BB106_3 Depth=1
	v_readlane_b32 s8, v76, 3
	s_and_not1_b32 s1, s69, exec_lo
	s_and_b32 s8, s8, exec_lo
	s_delay_alu instid0(SALU_CYCLE_1)
	s_or_b32 s69, s1, s8
.LBB106_1126:                           ;   in Loop: Header=BB106_3 Depth=1
	v_mov_b64_e32 v[24:25], v[14:15]
	s_and_saveexec_b32 s1, s69
	s_cbranch_execnz .LBB106_1141
	s_branch .LBB106_1142
.LBB106_1127:                           ;   in Loop: Header=BB106_3 Depth=1
	s_mov_b32 s1, exec_lo
	v_readlane_b32 s8, v76, 16
	s_and_b32 s8, s1, s8
	s_delay_alu instid0(SALU_CYCLE_1)
	s_xor_b32 s1, s8, s1
	s_mov_b32 exec_lo, s8
	s_cbranch_execz .LBB106_1129
; %bb.1128:                             ;   in Loop: Header=BB106_3 Depth=1
	v_readlane_b32 s8, v75, 29
	s_and_b32 s69, s8, exec_lo
.LBB106_1129:                           ;   in Loop: Header=BB106_3 Depth=1
	s_or_saveexec_b32 s94, s1
	v_mov_b32_e32 v28, 0
	s_xor_b32 exec_lo, exec_lo, s94
	s_cbranch_execz .LBB106_1131
; %bb.1130:                             ;   in Loop: Header=BB106_3 Depth=1
	v_lshl_add_u64 v[28:29], v[16:17], 2, v[24:25]
	s_or_b32 s69, s69, exec_lo
	flat_load_b32 v28, v[28:29]
	s_wait_loadcnt_dscnt 0x0
	v_div_scale_f32 v29, null, v28, v28, 1.0
	s_delay_alu instid0(VALU_DEP_1) | instskip(SKIP_1) | instid1(TRANS32_DEP_1)
	v_rcp_f32_e32 v68, v29
	v_nop
	v_fma_f32 v69, -v29, v68, 1.0
	s_delay_alu instid0(VALU_DEP_1) | instskip(SKIP_1) | instid1(VALU_DEP_1)
	v_fmac_f32_e32 v68, v69, v68
	v_div_scale_f32 v69, vcc_lo, 1.0, v28, 1.0
	v_mul_f32_e32 v70, v69, v68
	s_delay_alu instid0(VALU_DEP_1) | instskip(NEXT) | instid1(VALU_DEP_1)
	v_fma_f32 v71, -v29, v70, v69
	v_fmac_f32_e32 v70, v71, v68
	s_delay_alu instid0(VALU_DEP_1) | instskip(NEXT) | instid1(VALU_DEP_1)
	v_fma_f32 v29, -v29, v70, v69
	v_div_fmas_f32 v29, v29, v68, v70
	s_delay_alu instid0(VALU_DEP_1)
	v_div_fixup_f32 v28, v29, v28, 1.0
.LBB106_1131:                           ;   in Loop: Header=BB106_3 Depth=1
	s_or_b32 exec_lo, exec_lo, s94
	s_delay_alu instid0(SALU_CYCLE_1)
	s_and_b32 s69, s69, exec_lo
	s_and_not1_saveexec_b32 s1, s10
	s_cbranch_execz .LBB106_17
.LBB106_1132:                           ;   in Loop: Header=BB106_3 Depth=1
	v_lshl_add_u64 v[28:29], v[16:17], 2, v[24:25]
	s_or_b32 s69, s69, exec_lo
	flat_load_b32 v28, v[28:29]
	s_wait_loadcnt_dscnt 0x0
	v_xor_b32_e32 v28, 0x80000000, v28
	s_or_b32 exec_lo, exec_lo, s1
	s_and_saveexec_b32 s1, s69
	s_cbranch_execnz .LBB106_18
	s_branch .LBB106_19
.LBB106_1133:                           ;   in Loop: Header=BB106_3 Depth=1
	s_mov_b32 s1, exec_lo
	v_readlane_b32 s8, v76, 17
	s_and_b32 s8, s1, s8
	s_delay_alu instid0(SALU_CYCLE_1)
	s_xor_b32 s1, s8, s1
	s_mov_b32 exec_lo, s8
	s_cbranch_execz .LBB106_1135
; %bb.1134:                             ;   in Loop: Header=BB106_3 Depth=1
	v_readlane_b32 s8, v75, 29
	s_and_b32 s69, s8, exec_lo
.LBB106_1135:                           ;   in Loop: Header=BB106_3 Depth=1
	s_or_saveexec_b32 s94, s1
	v_mov_b32_e32 v28, 0
	s_xor_b32 exec_lo, exec_lo, s94
	s_cbranch_execz .LBB106_1137
; %bb.1136:                             ;   in Loop: Header=BB106_3 Depth=1
	v_lshl_add_u64 v[28:29], v[16:17], 2, v[24:25]
	s_or_b32 s69, s69, exec_lo
	flat_load_b32 v28, v[28:29]
	s_wait_loadcnt_dscnt 0x0
	v_div_scale_f32 v29, null, v28, v28, 1.0
	s_delay_alu instid0(VALU_DEP_1) | instskip(SKIP_1) | instid1(TRANS32_DEP_1)
	v_rcp_f32_e32 v68, v29
	v_nop
	v_fma_f32 v69, -v29, v68, 1.0
	s_delay_alu instid0(VALU_DEP_1) | instskip(SKIP_1) | instid1(VALU_DEP_1)
	v_fmac_f32_e32 v68, v69, v68
	v_div_scale_f32 v69, vcc_lo, 1.0, v28, 1.0
	v_mul_f32_e32 v70, v69, v68
	s_delay_alu instid0(VALU_DEP_1) | instskip(NEXT) | instid1(VALU_DEP_1)
	v_fma_f32 v71, -v29, v70, v69
	v_fmac_f32_e32 v70, v71, v68
	s_delay_alu instid0(VALU_DEP_1) | instskip(NEXT) | instid1(VALU_DEP_1)
	v_fma_f32 v29, -v29, v70, v69
	v_div_fmas_f32 v29, v29, v68, v70
	s_delay_alu instid0(VALU_DEP_1)
	v_div_fixup_f32 v28, v29, v28, 1.0
.LBB106_1137:                           ;   in Loop: Header=BB106_3 Depth=1
	s_or_b32 exec_lo, exec_lo, s94
	s_delay_alu instid0(SALU_CYCLE_1)
	s_and_b32 s69, s69, exec_lo
	s_and_not1_saveexec_b32 s1, s10
	s_cbranch_execz .LBB106_52
.LBB106_1138:                           ;   in Loop: Header=BB106_3 Depth=1
	v_lshl_add_u64 v[28:29], v[16:17], 2, v[24:25]
	s_or_b32 s69, s69, exec_lo
	flat_load_b32 v28, v[28:29]
	s_wait_loadcnt_dscnt 0x0
	v_xor_b32_e32 v28, 0x80000000, v28
	s_or_b32 exec_lo, exec_lo, s1
	s_and_saveexec_b32 s1, s69
	s_cbranch_execnz .LBB106_53
	s_branch .LBB106_54
.LBB106_1139:                           ;   in Loop: Header=BB106_3 Depth=1
	s_or_b32 exec_lo, exec_lo, s94
	s_delay_alu instid0(SALU_CYCLE_1)
	s_and_b32 vcc_lo, exec_lo, s10
	s_cbranch_vccnz .LBB106_1104
.LBB106_1140:                           ;   in Loop: Header=BB106_3 Depth=1
	v_mov_b32_e32 v68, v24
	v_mov_b64_e32 v[24:25], v[12:13]
	s_and_saveexec_b32 s1, s69
	s_cbranch_execz .LBB106_1142
.LBB106_1141:                           ;   in Loop: Header=BB106_3 Depth=1
	s_delay_alu instid0(VALU_DEP_1)
	v_lshl_add_u64 v[24:25], v[24:25], 2, v[26:27]
	flat_store_b32 v[24:25], v68
.LBB106_1142:                           ;   in Loop: Header=BB106_3 Depth=1
	s_wait_xcnt 0x0
	s_or_b32 exec_lo, exec_lo, s1
	global_wb scope:SCOPE_DEV
	s_wait_storecnt_dscnt 0x0
	global_inv scope:SCOPE_DEV
	s_wait_loadcnt 0x0
	s_barrier_signal -1
	s_barrier_wait -1
	s_and_saveexec_b32 s1, s59
	s_cbranch_execz .LBB106_2
; %bb.1143:                             ;   in Loop: Header=BB106_3 Depth=1
	s_lshl_b64 s[94:95], s[70:71], 2
	s_delay_alu instid0(SALU_CYCLE_1)
	s_add_nc_u64 s[94:95], s[86:87], s[94:95]
	global_load_b32 v0, v1, s[94:95]
	s_wait_loadcnt 0x0
	v_add_nc_u32_e32 v0, 1, v0
	global_store_b32 v1, v0, s[94:95]
	s_branch .LBB106_2
.LBB106_1144:                           ;   in Loop: Header=BB106_3 Depth=1
	ds_load_b32 v29, v39 offset:272
	ds_load_b32 v68, v35 offset:4
	s_wait_dscnt 0x0
	v_fmac_f32_e32 v28, v29, v68
	s_or_b32 exec_lo, exec_lo, s1
	s_and_saveexec_b32 s1, s18
	s_cbranch_execz .LBB106_105
.LBB106_1145:                           ;   in Loop: Header=BB106_3 Depth=1
	ds_load_b32 v29, v38 offset:528
	ds_load_b32 v68, v35 offset:8
	s_wait_dscnt 0x0
	v_fmac_f32_e32 v28, v29, v68
	s_or_b32 exec_lo, exec_lo, s1
	s_and_saveexec_b32 s1, s2
	s_cbranch_execnz .LBB106_106
	s_branch .LBB106_107
.LBB106_1146:                           ;   in Loop: Header=BB106_3 Depth=1
	ds_load_b32 v29, v44 offset:288
	ds_load_b32 v68, v40 offset:4
	s_wait_dscnt 0x0
	v_fmac_f32_e32 v28, v29, v68
	s_or_b32 exec_lo, exec_lo, s1
	s_and_saveexec_b32 s1, s20
	s_cbranch_execz .LBB106_143
.LBB106_1147:                           ;   in Loop: Header=BB106_3 Depth=1
	ds_load_b32 v29, v44 offset:544
	ds_load_b32 v68, v40 offset:8
	s_wait_dscnt 0x0
	v_fmac_f32_e32 v28, v29, v68
	s_or_b32 exec_lo, exec_lo, s1
	s_and_saveexec_b32 s1, s21
	s_cbranch_execz .LBB106_144
.LBB106_1148:                           ;   in Loop: Header=BB106_3 Depth=1
	ds_load_b32 v29, v44 offset:800
	ds_load_b32 v68, v40 offset:12
	s_wait_dscnt 0x0
	v_fmac_f32_e32 v28, v29, v68
	s_or_b32 exec_lo, exec_lo, s1
	s_and_saveexec_b32 s1, s22
	s_cbranch_execz .LBB106_145
.LBB106_1149:                           ;   in Loop: Header=BB106_3 Depth=1
	ds_load_b32 v29, v43 offset:1056
	ds_load_b32 v68, v40 offset:16
	s_wait_dscnt 0x0
	v_fmac_f32_e32 v28, v29, v68
	s_or_b32 exec_lo, exec_lo, s1
	s_and_saveexec_b32 s1, s23
	s_cbranch_execz .LBB106_146
.LBB106_1150:                           ;   in Loop: Header=BB106_3 Depth=1
	ds_load_b32 v29, v44 offset:1312
	ds_load_b32 v68, v40 offset:20
	s_wait_dscnt 0x0
	v_fmac_f32_e32 v28, v29, v68
	s_or_b32 exec_lo, exec_lo, s1
	s_and_saveexec_b32 s1, s3
	s_cbranch_execz .LBB106_147
.LBB106_1151:                           ;   in Loop: Header=BB106_3 Depth=1
	ds_load_b32 v29, v43 offset:1568
	ds_load_b32 v68, v40 offset:24
	s_wait_dscnt 0x0
	v_fmac_f32_e32 v28, v29, v68
	s_or_b32 exec_lo, exec_lo, s1
	s_and_saveexec_b32 s1, s18
	s_cbranch_execnz .LBB106_148
	s_branch .LBB106_149
.LBB106_1152:                           ;   in Loop: Header=BB106_3 Depth=1
	ds_load_b32 v29, v39 offset:2352
	ds_load_b32 v68, v35 offset:2084
	s_wait_dscnt 0x0
	v_fmac_f32_e32 v28, v29, v68
	s_or_b32 exec_lo, exec_lo, s1
	s_and_saveexec_b32 s1, s18
	s_cbranch_execz .LBB106_201
.LBB106_1153:                           ;   in Loop: Header=BB106_3 Depth=1
	ds_load_b32 v29, v38 offset:2608
	ds_load_b32 v68, v35 offset:2088
	s_wait_dscnt 0x0
	v_fmac_f32_e32 v28, v29, v68
	s_or_b32 exec_lo, exec_lo, s1
	s_and_saveexec_b32 s1, s2
	s_cbranch_execnz .LBB106_202
	s_branch .LBB106_203
.LBB106_1154:                           ;   in Loop: Header=BB106_3 Depth=1
	ds_load_b32 v29, v49 offset:2880
	ds_load_b32 v68, v45 offset:44
	s_wait_dscnt 0x0
	v_fmac_f32_e32 v28, v29, v68
	s_or_b32 exec_lo, exec_lo, s1
	s_and_saveexec_b32 s1, s4
	s_cbranch_execz .LBB106_259
.LBB106_1155:                           ;   in Loop: Header=BB106_3 Depth=1
	ds_load_b32 v29, v48 offset:3136
	ds_load_b32 v68, v45 offset:48
	s_wait_dscnt 0x0
	v_fmac_f32_e32 v28, v29, v68
	s_or_b32 exec_lo, exec_lo, s1
	s_and_saveexec_b32 s1, s20
	s_cbranch_execz .LBB106_260
.LBB106_1156:                           ;   in Loop: Header=BB106_3 Depth=1
	ds_load_b32 v29, v49 offset:3392
	ds_load_b32 v68, v45 offset:52
	s_wait_dscnt 0x0
	v_fmac_f32_e32 v28, v29, v68
	s_or_b32 exec_lo, exec_lo, s1
	s_and_saveexec_b32 s1, s22
	s_cbranch_execz .LBB106_261
.LBB106_1157:                           ;   in Loop: Header=BB106_3 Depth=1
	ds_load_b32 v29, v48 offset:3648
	ds_load_b32 v68, v45 offset:56
	s_wait_dscnt 0x0
	v_fmac_f32_e32 v28, v29, v68
	s_or_b32 exec_lo, exec_lo, s1
	s_and_saveexec_b32 s1, s3
	s_cbranch_execnz .LBB106_262
	s_branch .LBB106_263
.LBB106_1158:                           ;   in Loop: Header=BB106_3 Depth=1
	ds_load_b32 v29, v39 offset:4432
	ds_load_b32 v68, v35 offset:4164
	s_wait_dscnt 0x0
	v_fmac_f32_e32 v28, v29, v68
	s_or_b32 exec_lo, exec_lo, s1
	s_and_saveexec_b32 s1, s18
	s_cbranch_execz .LBB106_347
.LBB106_1159:                           ;   in Loop: Header=BB106_3 Depth=1
	ds_load_b32 v29, v38 offset:4688
	ds_load_b32 v68, v35 offset:4168
	s_wait_dscnt 0x0
	v_fmac_f32_e32 v28, v29, v68
	s_or_b32 exec_lo, exec_lo, s1
	s_and_saveexec_b32 s1, s2
	s_cbranch_execnz .LBB106_348
	s_branch .LBB106_349
.LBB106_1160:                           ;   in Loop: Header=BB106_3 Depth=1
	ds_load_b32 v29, v44 offset:4448
	ds_load_b32 v68, v40 offset:4164
	s_wait_dscnt 0x0
	v_fmac_f32_e32 v28, v29, v68
	s_or_b32 exec_lo, exec_lo, s1
	s_and_saveexec_b32 s1, s20
	s_cbranch_execz .LBB106_385
.LBB106_1161:                           ;   in Loop: Header=BB106_3 Depth=1
	ds_load_b32 v29, v44 offset:4704
	ds_load_b32 v68, v40 offset:4168
	s_wait_dscnt 0x0
	v_fmac_f32_e32 v28, v29, v68
	s_or_b32 exec_lo, exec_lo, s1
	s_and_saveexec_b32 s1, s21
	s_cbranch_execz .LBB106_386
.LBB106_1162:                           ;   in Loop: Header=BB106_3 Depth=1
	ds_load_b32 v29, v44 offset:4960
	ds_load_b32 v68, v40 offset:4172
	s_wait_dscnt 0x0
	v_fmac_f32_e32 v28, v29, v68
	s_or_b32 exec_lo, exec_lo, s1
	s_and_saveexec_b32 s1, s22
	s_cbranch_execz .LBB106_387
.LBB106_1163:                           ;   in Loop: Header=BB106_3 Depth=1
	ds_load_b32 v29, v43 offset:5216
	ds_load_b32 v68, v40 offset:4176
	s_wait_dscnt 0x0
	v_fmac_f32_e32 v28, v29, v68
	s_or_b32 exec_lo, exec_lo, s1
	s_and_saveexec_b32 s1, s23
	s_cbranch_execz .LBB106_388
.LBB106_1164:                           ;   in Loop: Header=BB106_3 Depth=1
	ds_load_b32 v29, v44 offset:5472
	ds_load_b32 v68, v40 offset:4180
	s_wait_dscnt 0x0
	v_fmac_f32_e32 v28, v29, v68
	s_or_b32 exec_lo, exec_lo, s1
	s_and_saveexec_b32 s1, s3
	s_cbranch_execz .LBB106_389
.LBB106_1165:                           ;   in Loop: Header=BB106_3 Depth=1
	ds_load_b32 v29, v43 offset:5728
	ds_load_b32 v68, v40 offset:4184
	s_wait_dscnt 0x0
	v_fmac_f32_e32 v28, v29, v68
	s_or_b32 exec_lo, exec_lo, s1
	s_and_saveexec_b32 s1, s18
	s_cbranch_execnz .LBB106_390
	s_branch .LBB106_391
.LBB106_1166:                           ;   in Loop: Header=BB106_3 Depth=1
	ds_load_b32 v29, v39 offset:6512
	ds_load_b32 v68, v35 offset:6244
	s_wait_dscnt 0x0
	v_fmac_f32_e32 v28, v29, v68
	s_or_b32 exec_lo, exec_lo, s1
	s_and_saveexec_b32 s1, s18
	s_cbranch_execz .LBB106_443
.LBB106_1167:                           ;   in Loop: Header=BB106_3 Depth=1
	ds_load_b32 v29, v38 offset:6768
	ds_load_b32 v68, v35 offset:6248
	s_wait_dscnt 0x0
	v_fmac_f32_e32 v28, v29, v68
	s_or_b32 exec_lo, exec_lo, s1
	s_and_saveexec_b32 s1, s2
	s_cbranch_execnz .LBB106_444
	s_branch .LBB106_445
.LBB106_1168:                           ;   in Loop: Header=BB106_3 Depth=1
	ds_load_b32 v68, v54 offset:7296
	ds_load_b32 v69, v29 offset:112
	s_wait_dscnt 0x0
	v_fmac_f32_e32 v28, v68, v69
	s_or_b32 exec_lo, exec_lo, s1
	s_and_saveexec_b32 s1, s9
	s_cbranch_execz .LBB106_535
.LBB106_1169:                           ;   in Loop: Header=BB106_3 Depth=1
	ds_load_b32 v68, v54 offset:7552
	ds_load_b32 v69, v29 offset:116
	s_wait_dscnt 0x0
	v_fmac_f32_e32 v28, v68, v69
	s_or_b32 exec_lo, exec_lo, s1
	s_and_saveexec_b32 s1, s4
	s_cbranch_execz .LBB106_536
.LBB106_1170:                           ;   in Loop: Header=BB106_3 Depth=1
	ds_load_b32 v68, v54 offset:7808
	ds_load_b32 v29, v29 offset:120
	s_wait_dscnt 0x0
	v_fmac_f32_e32 v28, v68, v29
	s_or_b32 exec_lo, exec_lo, s1
	s_and_saveexec_b32 s1, s22
	s_cbranch_execnz .LBB106_537
	s_branch .LBB106_538
.LBB106_1171:                           ;   in Loop: Header=BB106_3 Depth=1
	ds_load_b32 v29, v39 offset:8592
	ds_load_b32 v68, v35 offset:8324
	s_wait_dscnt 0x0
	v_fmac_f32_e32 v28, v29, v68
	s_or_b32 exec_lo, exec_lo, s1
	s_and_saveexec_b32 s1, s18
	s_cbranch_execz .LBB106_686
.LBB106_1172:                           ;   in Loop: Header=BB106_3 Depth=1
	ds_load_b32 v29, v38 offset:8848
	ds_load_b32 v68, v35 offset:8328
	s_wait_dscnt 0x0
	v_fmac_f32_e32 v28, v29, v68
	s_or_b32 exec_lo, exec_lo, s1
	s_and_saveexec_b32 s1, s2
	s_cbranch_execnz .LBB106_687
	s_branch .LBB106_688
.LBB106_1173:                           ;   in Loop: Header=BB106_3 Depth=1
	ds_load_b32 v29, v44 offset:8608
	ds_load_b32 v68, v40 offset:8324
	s_wait_dscnt 0x0
	v_fmac_f32_e32 v28, v29, v68
	s_or_b32 exec_lo, exec_lo, s1
	s_and_saveexec_b32 s1, s20
	s_cbranch_execz .LBB106_724
.LBB106_1174:                           ;   in Loop: Header=BB106_3 Depth=1
	ds_load_b32 v29, v44 offset:8864
	ds_load_b32 v68, v40 offset:8328
	s_wait_dscnt 0x0
	v_fmac_f32_e32 v28, v29, v68
	s_or_b32 exec_lo, exec_lo, s1
	s_and_saveexec_b32 s1, s21
	s_cbranch_execz .LBB106_725
.LBB106_1175:                           ;   in Loop: Header=BB106_3 Depth=1
	ds_load_b32 v29, v44 offset:9120
	ds_load_b32 v68, v40 offset:8332
	s_wait_dscnt 0x0
	v_fmac_f32_e32 v28, v29, v68
	s_or_b32 exec_lo, exec_lo, s1
	s_and_saveexec_b32 s1, s22
	s_cbranch_execz .LBB106_726
.LBB106_1176:                           ;   in Loop: Header=BB106_3 Depth=1
	ds_load_b32 v29, v43 offset:9376
	ds_load_b32 v68, v40 offset:8336
	s_wait_dscnt 0x0
	v_fmac_f32_e32 v28, v29, v68
	s_or_b32 exec_lo, exec_lo, s1
	s_and_saveexec_b32 s1, s23
	s_cbranch_execz .LBB106_727
.LBB106_1177:                           ;   in Loop: Header=BB106_3 Depth=1
	ds_load_b32 v29, v44 offset:9632
	ds_load_b32 v68, v40 offset:8340
	s_wait_dscnt 0x0
	v_fmac_f32_e32 v28, v29, v68
	s_or_b32 exec_lo, exec_lo, s1
	s_and_saveexec_b32 s1, s3
	s_cbranch_execz .LBB106_728
.LBB106_1178:                           ;   in Loop: Header=BB106_3 Depth=1
	ds_load_b32 v29, v43 offset:9888
	ds_load_b32 v68, v40 offset:8344
	s_wait_dscnt 0x0
	v_fmac_f32_e32 v28, v29, v68
	s_or_b32 exec_lo, exec_lo, s1
	s_and_saveexec_b32 s1, s18
	s_cbranch_execnz .LBB106_729
	s_branch .LBB106_730
.LBB106_1179:                           ;   in Loop: Header=BB106_3 Depth=1
	ds_load_b32 v29, v39 offset:10672
	ds_load_b32 v68, v35 offset:10404
	s_wait_dscnt 0x0
	v_fmac_f32_e32 v28, v29, v68
	s_or_b32 exec_lo, exec_lo, s1
	s_and_saveexec_b32 s1, s18
	s_cbranch_execz .LBB106_782
.LBB106_1180:                           ;   in Loop: Header=BB106_3 Depth=1
	ds_load_b32 v29, v38 offset:10928
	ds_load_b32 v68, v35 offset:10408
	s_wait_dscnt 0x0
	v_fmac_f32_e32 v28, v29, v68
	s_or_b32 exec_lo, exec_lo, s1
	s_and_saveexec_b32 s1, s2
	s_cbranch_execnz .LBB106_783
	s_branch .LBB106_784
.LBB106_1181:                           ;   in Loop: Header=BB106_3 Depth=1
	ds_load_b32 v29, v49 offset:11200
	ds_load_b32 v68, v45 offset:8364
	s_wait_dscnt 0x0
	v_fmac_f32_e32 v28, v29, v68
	s_or_b32 exec_lo, exec_lo, s1
	s_and_saveexec_b32 s1, s4
	s_cbranch_execz .LBB106_840
.LBB106_1182:                           ;   in Loop: Header=BB106_3 Depth=1
	ds_load_b32 v29, v48 offset:11456
	ds_load_b32 v68, v45 offset:8368
	s_wait_dscnt 0x0
	v_fmac_f32_e32 v28, v29, v68
	s_or_b32 exec_lo, exec_lo, s1
	s_and_saveexec_b32 s1, s20
	s_cbranch_execz .LBB106_841
.LBB106_1183:                           ;   in Loop: Header=BB106_3 Depth=1
	ds_load_b32 v29, v49 offset:11712
	ds_load_b32 v68, v45 offset:8372
	s_wait_dscnt 0x0
	v_fmac_f32_e32 v28, v29, v68
	s_or_b32 exec_lo, exec_lo, s1
	s_and_saveexec_b32 s1, s22
	s_cbranch_execz .LBB106_842
.LBB106_1184:                           ;   in Loop: Header=BB106_3 Depth=1
	ds_load_b32 v29, v48 offset:11968
	ds_load_b32 v68, v45 offset:8376
	s_wait_dscnt 0x0
	v_fmac_f32_e32 v28, v29, v68
	s_or_b32 exec_lo, exec_lo, s1
	s_and_saveexec_b32 s1, s3
	s_cbranch_execnz .LBB106_843
	s_branch .LBB106_844
.LBB106_1185:                           ;   in Loop: Header=BB106_3 Depth=1
	ds_load_b32 v29, v39 offset:12752
	ds_load_b32 v68, v35 offset:12484
	s_wait_dscnt 0x0
	v_fmac_f32_e32 v28, v29, v68
	s_or_b32 exec_lo, exec_lo, s1
	s_and_saveexec_b32 s1, s18
	s_cbranch_execz .LBB106_928
.LBB106_1186:                           ;   in Loop: Header=BB106_3 Depth=1
	ds_load_b32 v29, v38 offset:13008
	ds_load_b32 v68, v35 offset:12488
	s_wait_dscnt 0x0
	v_fmac_f32_e32 v28, v29, v68
	s_or_b32 exec_lo, exec_lo, s1
	s_and_saveexec_b32 s1, s2
	s_cbranch_execnz .LBB106_929
	s_branch .LBB106_930
.LBB106_1187:                           ;   in Loop: Header=BB106_3 Depth=1
	ds_load_b32 v29, v44 offset:12768
	ds_load_b32 v68, v40 offset:12484
	s_wait_dscnt 0x0
	v_fmac_f32_e32 v28, v29, v68
	s_or_b32 exec_lo, exec_lo, s1
	s_and_saveexec_b32 s1, s20
	s_cbranch_execz .LBB106_966
.LBB106_1188:                           ;   in Loop: Header=BB106_3 Depth=1
	ds_load_b32 v29, v44 offset:13024
	ds_load_b32 v68, v40 offset:12488
	s_wait_dscnt 0x0
	v_fmac_f32_e32 v28, v29, v68
	s_or_b32 exec_lo, exec_lo, s1
	s_and_saveexec_b32 s1, s21
	s_cbranch_execz .LBB106_967
.LBB106_1189:                           ;   in Loop: Header=BB106_3 Depth=1
	ds_load_b32 v29, v44 offset:13280
	ds_load_b32 v68, v40 offset:12492
	s_wait_dscnt 0x0
	v_fmac_f32_e32 v28, v29, v68
	s_or_b32 exec_lo, exec_lo, s1
	s_and_saveexec_b32 s1, s22
	s_cbranch_execz .LBB106_968
.LBB106_1190:                           ;   in Loop: Header=BB106_3 Depth=1
	ds_load_b32 v29, v43 offset:13536
	ds_load_b32 v68, v40 offset:12496
	s_wait_dscnt 0x0
	v_fmac_f32_e32 v28, v29, v68
	s_or_b32 exec_lo, exec_lo, s1
	s_and_saveexec_b32 s1, s23
	s_cbranch_execz .LBB106_969
.LBB106_1191:                           ;   in Loop: Header=BB106_3 Depth=1
	ds_load_b32 v29, v44 offset:13792
	ds_load_b32 v68, v40 offset:12500
	s_wait_dscnt 0x0
	v_fmac_f32_e32 v28, v29, v68
	s_or_b32 exec_lo, exec_lo, s1
	s_and_saveexec_b32 s1, s3
	s_cbranch_execz .LBB106_970
.LBB106_1192:                           ;   in Loop: Header=BB106_3 Depth=1
	ds_load_b32 v29, v43 offset:14048
	ds_load_b32 v68, v40 offset:12504
	s_wait_dscnt 0x0
	v_fmac_f32_e32 v28, v29, v68
	s_or_b32 exec_lo, exec_lo, s1
	s_and_saveexec_b32 s1, s18
	s_cbranch_execnz .LBB106_971
	s_branch .LBB106_972
.LBB106_1193:                           ;   in Loop: Header=BB106_3 Depth=1
	ds_load_b32 v29, v39 offset:14832
	ds_load_b32 v68, v35 offset:14564
	s_wait_dscnt 0x0
	v_fmac_f32_e32 v28, v29, v68
	s_or_b32 exec_lo, exec_lo, s1
	s_and_saveexec_b32 s1, s18
	s_cbranch_execz .LBB106_1024
.LBB106_1194:                           ;   in Loop: Header=BB106_3 Depth=1
	ds_load_b32 v29, v38 offset:15088
	ds_load_b32 v68, v35 offset:14568
	s_wait_dscnt 0x0
	v_fmac_f32_e32 v28, v29, v68
	s_or_b32 exec_lo, exec_lo, s1
	s_and_saveexec_b32 s1, s2
	s_cbranch_execnz .LBB106_1025
	s_branch .LBB106_1026
.LBB106_1195:
	s_endpgm
	.section	.rodata,"a",@progbits
	.p2align	6, 0x0
	.amdhsa_kernel _ZL19rocblas_trsv_deviceILi64ELi16ELb1ELb0ELb0ELb0EfPKfPKS1_PKPfEviT7_lllT6_T8_lllPii
		.amdhsa_group_segment_fixed_size 20740
		.amdhsa_private_segment_fixed_size 0
		.amdhsa_kernarg_size 352
		.amdhsa_user_sgpr_count 2
		.amdhsa_user_sgpr_dispatch_ptr 0
		.amdhsa_user_sgpr_queue_ptr 0
		.amdhsa_user_sgpr_kernarg_segment_ptr 1
		.amdhsa_user_sgpr_dispatch_id 0
		.amdhsa_user_sgpr_kernarg_preload_length 0
		.amdhsa_user_sgpr_kernarg_preload_offset 0
		.amdhsa_user_sgpr_private_segment_size 0
		.amdhsa_wavefront_size32 1
		.amdhsa_uses_dynamic_stack 0
		.amdhsa_enable_private_segment 0
		.amdhsa_system_sgpr_workgroup_id_x 1
		.amdhsa_system_sgpr_workgroup_id_y 0
		.amdhsa_system_sgpr_workgroup_id_z 1
		.amdhsa_system_sgpr_workgroup_info 0
		.amdhsa_system_vgpr_workitem_id 1
		.amdhsa_next_free_vgpr 79
		.amdhsa_next_free_sgpr 105
		.amdhsa_named_barrier_count 0
		.amdhsa_reserve_vcc 1
		.amdhsa_float_round_mode_32 0
		.amdhsa_float_round_mode_16_64 0
		.amdhsa_float_denorm_mode_32 3
		.amdhsa_float_denorm_mode_16_64 3
		.amdhsa_fp16_overflow 0
		.amdhsa_memory_ordered 1
		.amdhsa_forward_progress 1
		.amdhsa_inst_pref_size 255
		.amdhsa_round_robin_scheduling 0
		.amdhsa_exception_fp_ieee_invalid_op 0
		.amdhsa_exception_fp_denorm_src 0
		.amdhsa_exception_fp_ieee_div_zero 0
		.amdhsa_exception_fp_ieee_overflow 0
		.amdhsa_exception_fp_ieee_underflow 0
		.amdhsa_exception_fp_ieee_inexact 0
		.amdhsa_exception_int_div_zero 0
	.end_amdhsa_kernel
	.section	.text._ZL19rocblas_trsv_deviceILi64ELi16ELb1ELb0ELb0ELb0EfPKfPKS1_PKPfEviT7_lllT6_T8_lllPii,"axG",@progbits,_ZL19rocblas_trsv_deviceILi64ELi16ELb1ELb0ELb0ELb0EfPKfPKS1_PKPfEviT7_lllT6_T8_lllPii,comdat
.Lfunc_end106:
	.size	_ZL19rocblas_trsv_deviceILi64ELi16ELb1ELb0ELb0ELb0EfPKfPKS1_PKPfEviT7_lllT6_T8_lllPii, .Lfunc_end106-_ZL19rocblas_trsv_deviceILi64ELi16ELb1ELb0ELb0ELb0EfPKfPKS1_PKPfEviT7_lllT6_T8_lllPii
                                        ; -- End function
	.set _ZL19rocblas_trsv_deviceILi64ELi16ELb1ELb0ELb0ELb0EfPKfPKS1_PKPfEviT7_lllT6_T8_lllPii.num_vgpr, 79
	.set _ZL19rocblas_trsv_deviceILi64ELi16ELb1ELb0ELb0ELb0EfPKfPKS1_PKPfEviT7_lllT6_T8_lllPii.num_agpr, 0
	.set _ZL19rocblas_trsv_deviceILi64ELi16ELb1ELb0ELb0ELb0EfPKfPKS1_PKPfEviT7_lllT6_T8_lllPii.numbered_sgpr, 105
	.set _ZL19rocblas_trsv_deviceILi64ELi16ELb1ELb0ELb0ELb0EfPKfPKS1_PKPfEviT7_lllT6_T8_lllPii.num_named_barrier, 0
	.set _ZL19rocblas_trsv_deviceILi64ELi16ELb1ELb0ELb0ELb0EfPKfPKS1_PKPfEviT7_lllT6_T8_lllPii.private_seg_size, 0
	.set _ZL19rocblas_trsv_deviceILi64ELi16ELb1ELb0ELb0ELb0EfPKfPKS1_PKPfEviT7_lllT6_T8_lllPii.uses_vcc, 1
	.set _ZL19rocblas_trsv_deviceILi64ELi16ELb1ELb0ELb0ELb0EfPKfPKS1_PKPfEviT7_lllT6_T8_lllPii.uses_flat_scratch, 0
	.set _ZL19rocblas_trsv_deviceILi64ELi16ELb1ELb0ELb0ELb0EfPKfPKS1_PKPfEviT7_lllT6_T8_lllPii.has_dyn_sized_stack, 0
	.set _ZL19rocblas_trsv_deviceILi64ELi16ELb1ELb0ELb0ELb0EfPKfPKS1_PKPfEviT7_lllT6_T8_lllPii.has_recursion, 0
	.set _ZL19rocblas_trsv_deviceILi64ELi16ELb1ELb0ELb0ELb0EfPKfPKS1_PKPfEviT7_lllT6_T8_lllPii.has_indirect_call, 0
	.section	.AMDGPU.csdata,"",@progbits
; Kernel info:
; codeLenInByte = 35484
; TotalNumSgprs: 107
; NumVgprs: 79
; ScratchSize: 0
; MemoryBound: 0
; FloatMode: 240
; IeeeMode: 1
; LDSByteSize: 20740 bytes/workgroup (compile time only)
; SGPRBlocks: 0
; VGPRBlocks: 4
; NumSGPRsForWavesPerEU: 107
; NumVGPRsForWavesPerEU: 79
; NamedBarCnt: 0
; Occupancy: 12
; WaveLimiterHint : 1
; COMPUTE_PGM_RSRC2:SCRATCH_EN: 0
; COMPUTE_PGM_RSRC2:USER_SGPR: 2
; COMPUTE_PGM_RSRC2:TRAP_HANDLER: 0
; COMPUTE_PGM_RSRC2:TGID_X_EN: 1
; COMPUTE_PGM_RSRC2:TGID_Y_EN: 0
; COMPUTE_PGM_RSRC2:TGID_Z_EN: 1
; COMPUTE_PGM_RSRC2:TIDIG_COMP_CNT: 1
	.section	.text._ZL19rocblas_trsv_deviceILi64ELi16ELb1ELb1ELb0ELb0EfPKfPKS1_PKPfEviT7_lllT6_T8_lllPii,"axG",@progbits,_ZL19rocblas_trsv_deviceILi64ELi16ELb1ELb1ELb0ELb0EfPKfPKS1_PKPfEviT7_lllT6_T8_lllPii,comdat
	.globl	_ZL19rocblas_trsv_deviceILi64ELi16ELb1ELb1ELb0ELb0EfPKfPKS1_PKPfEviT7_lllT6_T8_lllPii ; -- Begin function _ZL19rocblas_trsv_deviceILi64ELi16ELb1ELb1ELb0ELb0EfPKfPKS1_PKPfEviT7_lllT6_T8_lllPii
	.p2align	8
	.type	_ZL19rocblas_trsv_deviceILi64ELi16ELb1ELb1ELb0ELb0EfPKfPKS1_PKPfEviT7_lllT6_T8_lllPii,@function
_ZL19rocblas_trsv_deviceILi64ELi16ELb1ELb1ELb0ELb0EfPKfPKS1_PKPfEviT7_lllT6_T8_lllPii: ; @_ZL19rocblas_trsv_deviceILi64ELi16ELb1ELb1ELb0ELb0EfPKfPKS1_PKPfEviT7_lllT6_T8_lllPii
; %bb.0:
	s_load_b32 s6, s[0:1], 0x58
	s_bfe_u32 s2, ttmp6, 0x40014
	s_lshr_b32 s3, ttmp7, 16
	s_add_co_i32 s2, s2, 1
	s_bfe_u32 s5, ttmp6, 0x40008
	s_mul_i32 s4, s3, s2
	s_getreg_b32 s2, hwreg(HW_REG_IB_STS2, 6, 4)
	s_add_co_i32 s5, s5, s4
	s_cmp_eq_u32 s2, 0
	s_mov_b32 s67, 0
	s_cselect_b32 s66, s3, s5
                                        ; implicit-def: $vgpr93 : SGPR spill to VGPR lane
	s_wait_kmcnt 0x0
	s_cmp_ge_u32 s66, s6
	v_writelane_b32 v93, s6, 0
	s_cbranch_scc1 .LBB107_1257
; %bb.1:
	s_clause 0x2
	s_load_b32 s3, s[0:1], 0x6c
	s_load_b32 s87, s[0:1], 0x60
	;; [unrolled: 1-line block ×3, first 2 shown]
	s_bfe_u32 s5, ttmp6, 0x4000c
	s_and_b32 s4, ttmp6, 15
	s_add_co_i32 s5, s5, 1
	s_clause 0x1
	s_load_b64 s[14:15], s[0:1], 0x18
	s_load_b128 s[76:79], s[0:1], 0x8
	s_mul_i32 s5, ttmp9, s5
	v_and_b32_e32 v2, 0x3ff, v0
	s_add_co_i32 s4, s4, s5
	s_cmp_eq_u32 s2, 0
	v_bfe_u32 v28, v0, 10, 10
	s_cselect_b32 s86, ttmp9, s4
	v_dual_mov_b32 v5, 0 :: v_dual_lshlrev_b32 v51, 6, v2
                                        ; implicit-def: $vgpr92 : SGPR spill to VGPR lane
                                        ; implicit-def: $vgpr91 : SGPR spill to VGPR lane
	s_load_b256 s[68:75], s[0:1], 0x28
	s_delay_alu instid0(VALU_DEP_2) | instskip(SKIP_1) | instid1(VALU_DEP_3)
	v_add_nc_u32_e32 v24, 16, v28
	v_lshl_add_u32 v22, v28, 6, v2
	v_mov_b32_e32 v3, v5
	s_wait_kmcnt 0x0
	s_and_b32 s4, s3, 0xffff
	s_add_co_i32 s87, s87, -1
	s_add_co_i32 s2, s80, -1
	s_ashr_i32 s81, s80, 31
	s_ashr_i32 s3, s2, 31
	s_lshr_b32 s5, s81, 26
	s_lshr_b32 s3, s3, 26
	s_add_co_i32 s5, s80, s5
	s_add_co_i32 s2, s2, s3
	s_and_not1_b32 s5, s5, 63
	s_sub_co_i32 s46, s87, s86
	s_ashr_i32 s2, s2, 6
	s_sub_co_i32 s18, s80, s5
	s_cmp_eq_u32 s2, s46
	v_lshl_add_u32 v11, v24, 6, v2
	s_cselect_b32 s2, -1, 0
	s_cmp_lg_u32 s18, 0
	v_mad_u32_u24 v4, v28, s4, v2
	s_cselect_b32 s3, -1, 0
	v_cmp_gt_u32_e64 s5, 2, v2
	s_and_b32 s19, s3, s2
	v_add_nc_u32_e32 v80, 32, v28
	s_xor_b32 s88, s19, -1
	s_cmp_lg_u32 s86, 0
	s_load_b64 s[82:83], s[0:1], 0x50
	s_cselect_b32 s2, -1, 0
	s_lshl_b32 s16, s46, 6
	s_delay_alu instid0(SALU_CYCLE_1) | instskip(SKIP_3) | instid1(VALU_DEP_3)
	v_dual_add_nc_u32 v1, v28, v51 :: v_dual_add_nc_u32 v25, s16, v28
	v_dual_add_nc_u32 v10, v24, v51 :: v_dual_add_nc_u32 v20, s16, v2
	v_writelane_b32 v93, s2, 1
	s_add_nc_u64 s[2:3], s[14:15], 1
	v_add_nc_u32_e32 v6, 64, v25
	s_cmp_lt_i32 s86, 5
	v_mad_nc_u64_u32 v[14:15], s2, s16, v[2:3]
	s_cselect_b32 vcc_lo, -1, 0
	s_delay_alu instid0(VALU_DEP_2)
	v_dual_ashrrev_i32 v21, 31, v20 :: v_dual_ashrrev_i32 v7, 31, v6
	v_cndmask_b32_e32 v26, v22, v1, vcc_lo
	s_or_b32 vcc_lo, vcc_lo, s19
	s_ashr_i32 s17, s16, 31
	v_dual_cndmask_b32 v27, v11, v10, vcc_lo :: v_dual_lshrrev_b32 v1, 10, v0
	v_dual_lshrrev_b32 v16, 1, v22 :: v_dual_bitop2_b32 v10, 1, v0 bitop3:0x40
	s_mul_i32 s2, s2, s17
	s_mul_i32 s3, s3, s16
	s_delay_alu instid0(VALU_DEP_2) | instskip(NEXT) | instid1(VALU_DEP_2)
	v_bitop3_b32 v23, v0, v1, 0x3ff bitop3:0xa8
	v_cmp_eq_u32_e64 s4, 1, v10
	v_add3_u32 v15, s2, s3, v15
	v_cmp_gt_u32_e64 s2, 4, v22
	v_dual_lshlrev_b32 v17, 2, v10 :: v_dual_bitop2_b32 v10, 3, v0 bitop3:0x40
	s_xor_b32 s3, s4, -1
	v_dual_lshrrev_b32 v1, 2, v22 :: v_dual_bitop2_b32 v11, -4, v22 bitop3:0x40
	s_and_b32 s91, s3, s2
	v_cmp_eq_u32_e64 s3, 0, v28
	s_and_b32 s92, s4, s2
	v_mul_u32_u24_e32 v31, 0x104, v1
	v_cmp_gt_u32_e64 s4, 16, v22
	v_lshlrev_b32_e32 v33, 2, v10
	s_and_b32 s93, s3, s5
	v_cmp_eq_u32_e64 s5, 0, v10
	v_sub_nc_u32_e32 v12, v31, v11
	v_cmp_ne_u32_e64 s6, 0, v10
	v_lshl_or_b32 v36, v1, 8, v33
	v_cmp_eq_u32_e64 s7, 1, v10
	s_and_b32 s94, s5, s4
	v_cmp_eq_u32_e64 s5, 2, v10
	v_dual_add_nc_u32 v37, v12, v33 :: v_dual_lshrrev_b32 v1, 3, v22
	v_cmp_lt_u32_e64 s8, 1, v10
	s_and_b32 s95, s6, s4
	s_and_b32 s98, s5, s4
	v_cmp_eq_u32_e64 s5, 3, v10
	v_cmp_gt_u32_e64 s6, 4, v2
	v_and_b32_e32 v10, 7, v0
	v_add_nc_u32_e32 v35, 0x4000, v11
	s_and_b32 s96, s7, s4
	v_lshlrev_b32_e32 v11, 2, v1
	s_and_b32 s99, s5, s4
	s_and_b32 s100, s3, s6
	v_cmp_gt_u32_e64 s5, 64, v22
	v_cmp_eq_u32_e64 s6, 0, v10
	v_cmp_ne_u32_e64 s7, 0, v10
	s_and_b32 s97, s8, s4
	v_mul_u32_u24_e32 v39, 0x104, v1
	v_cmp_eq_u32_e64 s8, 1, v10
	s_and_b32 s101, s6, s5
	s_and_b32 s102, s7, s5
	v_cmp_lt_u32_e64 s6, 1, v10
	v_cmp_eq_u32_e64 s7, 2, v10
	v_dual_lshlrev_b32 v40, 2, v10 :: v_dual_sub_nc_u32 v12, v39, v11
	s_and_b32 s103, s8, s5
	s_and_b32 s104, s6, s5
	s_and_b32 vcc_hi, s7, s5
	v_cmp_lt_u32_e64 s6, 3, v10
	v_cmp_eq_u32_e64 s7, 4, v10
	v_cmp_lt_u32_e64 s8, 2, v10
	v_cmp_eq_u32_e64 s9, 3, v10
	v_lshl_or_b32 v42, v1, 8, v40
	s_and_b32 s38, s6, s5
	v_cmp_eq_u32_e64 s6, 5, v10
	s_and_b32 s39, s7, s5
	v_cmp_eq_u32_e64 s7, 6, v10
	v_dual_add_nc_u32 v43, v12, v40 :: v_dual_lshrrev_b32 v1, 4, v22
	s_and_b32 s36, s8, s5
	s_and_b32 s37, s9, s5
	v_cmp_lt_u32_e64 s8, 4, v10
	v_cmp_lt_u32_e64 s9, 5, v10
	s_and_b32 s41, s6, s5
	v_cmp_eq_u32_e64 s6, 7, v10
	s_and_b32 s43, s7, s5
	v_and_b32_e32 v10, 15, v0
	v_cmp_gt_u32_e64 s7, 8, v2
	v_add_nc_u32_e32 v41, 0x4000, v11
	s_and_b32 s44, s6, s5
	v_lshlrev_b32_e32 v11, 2, v1
	v_cmp_gt_u32_e64 s6, 0x100, v22
	s_and_b32 s45, s3, s7
	v_cmp_eq_u32_e64 s7, 0, v10
	s_and_b32 s40, s8, s5
	v_cmp_ne_u32_e64 s8, 0, v10
	s_and_b32 s42, s9, s5
	v_cmp_eq_u32_e64 s9, 1, v10
	s_and_b32 s7, s7, s6
	v_cmp_lt_u32_e64 s10, 1, v10
	v_writelane_b32 v93, s7, 2
	s_and_b32 s7, s8, s6
	v_mul_u32_u24_e32 v44, 0x104, v1
	v_lshlrev_b32_e32 v45, 2, v10
	s_and_b32 s8, s10, s6
	v_writelane_b32 v93, s7, 3
	s_and_b32 s7, s9, s6
	v_cmp_eq_u32_e64 s9, 3, v10
	v_cmp_lt_u32_e64 s10, 3, v10
	v_add_nc_u32_e32 v52, v80, v51
	v_writelane_b32 v93, s7, 4
	v_cmp_eq_u32_e64 s7, 2, v10
	s_and_b32 s52, s9, s6
	v_cmp_lt_u32_e64 s9, 5, v10
	v_lshl_add_u32 v53, v80, 6, v2
	v_writelane_b32 v93, s8, 5
	v_cmp_lt_u32_e64 s8, 2, v10
	s_and_b32 s7, s7, s6
	s_and_b32 s57, s9, s6
	v_cmp_eq_u32_e64 s9, 8, v10
	v_writelane_b32 v93, s7, 6
	s_and_b32 s8, s8, s6
	v_cmp_eq_u32_e64 s7, 4, v10
	v_add_nc_u32_e32 v46, 0x4000, v11
	v_sub_nc_u32_e32 v11, v44, v11
	v_writelane_b32 v93, s8, 7
	v_cmp_lt_u32_e64 s8, 4, v10
	s_and_b32 s54, s7, s6
	v_cmp_eq_u32_e64 s7, 5, v10
	s_and_b32 s64, s9, s6
	v_cmp_lt_u32_e64 s9, 10, v10
	s_and_b32 s55, s8, s6
	v_cmp_lt_u32_e64 s8, 6, v10
	s_and_b32 s56, s7, s6
	v_cmp_eq_u32_e64 s7, 7, v10
	v_dual_add_nc_u32 v48, v11, v45 :: v_dual_bitop2_b32 v66, 31, v0 bitop3:0x40
	s_and_b32 s61, s8, s6
	v_cmp_lt_u32_e64 s8, 7, v10
	s_and_b32 s62, s7, s6
	v_cmp_eq_u32_e64 s7, 9, v10
	s_and_b32 s53, s10, s6
	v_cmp_eq_u32_e64 s10, 6, v10
	s_and_b32 s63, s8, s6
	v_cmp_lt_u32_e64 s8, 9, v10
	s_and_b32 s24, s7, s6
	v_cmp_eq_u32_e64 s7, 10, v10
	s_and_b32 s30, s9, s6
	v_cmp_eq_u32_e64 s9, 13, v10
	s_and_b32 s26, s8, s6
	v_cmp_lt_u32_e64 s8, 11, v10
	s_and_b32 s28, s7, s6
	v_cmp_eq_u32_e64 s7, 12, v10
	s_and_b32 s58, s10, s6
	v_cmp_lt_u32_e64 s10, 8, v10
	s_and_b32 s35, s8, s6
	v_cmp_lt_u32_e64 s8, 12, v10
	s_and_b32 s25, s7, s6
	v_cmp_eq_u32_e64 s7, 14, v10
	s_and_b32 s29, s9, s6
	v_cmp_gt_u32_e64 s9, 16, v2
	s_and_b32 s27, s8, s6
	v_cmp_eq_u32_e64 s8, 15, v10
	s_and_b32 s34, s7, s6
	v_cmp_gt_u32_e64 s7, 0x400, v22
	s_and_b32 s13, s10, s6
	v_cmp_eq_u32_e64 s10, 11, v10
	s_and_b32 s65, s8, s6
	v_cmp_eq_u32_e64 s8, 0, v66
	s_and_b32 s89, s3, s9
	v_cmp_ne_u32_e64 s9, 0, v66
	s_and_b32 s33, s10, s6
	v_cmp_lt_u32_e64 s10, 13, v10
	s_and_b32 s8, s8, s7
	v_cmp_eq_u32_e64 s11, 2, v66
	v_writelane_b32 v93, s8, 8
	v_cmp_eq_u32_e64 s8, 1, v66
	s_and_b32 s9, s9, s7
	s_and_b32 s31, s10, s6
	v_cmp_lt_u32_e64 s10, 1, v66
	v_writelane_b32 v93, s9, 9
	s_and_b32 s8, s8, s7
	v_cmp_lt_u32_e64 s12, 2, v66
	v_cmp_lt_u32_e64 s9, 3, v66
	v_dual_lshrrev_b32 v0, 5, v22 :: v_dual_add_nc_u32 v81, 48, v28
	v_writelane_b32 v93, s8, 10
	s_and_b32 s8, s10, s7
	v_cmp_eq_u32_e64 s10, 4, v66
	s_xor_b32 s90, vcc_lo, -1
	v_add_nc_u32_e32 v51, v81, v51
	v_writelane_b32 v93, s8, 11
	s_and_b32 s8, s11, s7
	v_cmp_lt_u32_e64 s11, 4, v66
	v_lshl_add_u32 v54, v81, 6, v2
	v_mul_u64_e32 v[8:9], s[14:15], v[20:21]
	v_writelane_b32 v93, s8, 12
	s_and_b32 s8, s12, s7
	v_cmp_eq_u32_e64 s12, 5, v66
	v_dual_cndmask_b32 v76, v54, v51 :: v_dual_cndmask_b32 v75, v53, v52
	v_writelane_b32 v93, s8, 13
	v_cmp_eq_u32_e64 s8, 3, v66
	v_cmp_eq_u32_e32 vcc_lo, 9, v66
	v_lshl_or_b32 v47, v1, 8, v45
	v_dual_lshlrev_b32 v49, 2, v0 :: v_dual_lshlrev_b32 v50, 8, v0
	s_and_b32 s8, s8, s7
	v_mad_nc_u64_u32 v[0:1], s14, v28, v[14:15]
	v_writelane_b32 v93, s8, 14
	s_and_b32 s8, s9, s7
	v_cmp_eq_u32_e64 s9, 6, v66
	v_mad_nc_u64_u32 v[10:11], s14, v24, v[14:15]
	v_mad_nc_u64_u32 v[12:13], s14, v80, v[14:15]
	v_writelane_b32 v93, s8, 15
	s_and_b32 s8, s10, s7
	v_cmp_lt_u32_e64 s10, 6, v66
	v_mad_nc_u64_u32 v[14:15], s14, v81, v[14:15]
	s_wait_xcnt 0x0
	v_cmp_gt_i32_e64 s0, s18, v2
	v_writelane_b32 v93, s8, 16
	s_and_b32 s8, s11, s7
	v_cmp_eq_u32_e64 s11, 7, v66
	v_cmp_gt_i32_e64 s1, s80, v6
	v_lshl_add_u32 v3, v16, 2, 0x4000
	v_writelane_b32 v93, s8, 17
	s_and_b32 s8, s12, s7
	v_cmp_lt_u32_e64 s12, 7, v66
	v_mul_u32_u24_e32 v29, 0x104, v16
	v_lshl_or_b32 v65, v16, 8, v17
	v_writelane_b32 v93, s8, 18
	v_cmp_lt_u32_e64 s8, 5, v66
	v_mul_u64_e32 v[16:17], s[74:75], v[20:21]
	v_add_nc_u32_e32 v21, 0x50, v25
	v_mad_u32 v1, s15, v28, v1
	v_mad_u32 v11, s15, v24, v11
	s_and_b32 s8, s8, s7
	v_mad_u32 v13, s15, v80, v13
	v_writelane_b32 v93, s8, 19
	s_and_b32 s8, s9, s7
	v_cmp_lt_u32_e64 s9, 8, v66
	v_mad_u32 v15, s15, v81, v15
	v_add_nc_u64_e32 v[18:19], s[16:17], v[4:5]
	v_writelane_b32 v93, s8, 20
	s_and_b32 s8, s10, s7
	v_cmp_lt_u32_e64 s10, 9, v66
	v_cmp_ne_u32_e64 s16, v2, v24
	v_cmp_ne_u32_e64 s17, v2, v80
	v_writelane_b32 v93, s8, 21
	s_and_b32 s8, s11, s7
	s_and_b32 s11, s12, s7
	v_cmp_gt_u32_e64 s47, 0xf0, v22
                                        ; implicit-def: $vgpr90 : SGPR spill to VGPR lane
	v_dual_lshlrev_b32 v30, 2, v2 :: v_dual_lshlrev_b32 v32, 8, v2
	v_writelane_b32 v93, s8, 22
	v_cmp_eq_u32_e64 s8, 8, v66
	v_mul_i32_i24_e32 v79, 0xffffff04, v2
	s_delay_alu instid0(VALU_DEP_4)
	v_mad_u32_u24 v34, 0xfc, v2, v30
	v_mul_u64_e32 v[18:19], s[74:75], v[18:19]
	v_writelane_b32 v93, s11, 23
	s_and_b32 s8, s8, s7
	v_cmp_eq_u32_e64 s11, 10, v66
	v_mad_i32_i24 v38, 0xffffff04, v2, v34
	v_dual_lshlrev_b32 v73, 2, v26 :: v_dual_lshlrev_b32 v74, 2, v27
	v_writelane_b32 v93, s8, 24
	s_and_b32 s8, s9, s7
	s_delay_alu instid0(VALU_DEP_3)
	v_mad_u32_u24 v51, 0xfc, v2, v38
	v_mul_lo_u32 v26, v79, 6
	v_mul_u32_u24_e32 v78, 0xfc, v2
	v_writelane_b32 v93, s8, 25
	s_and_b32 s8, vcc_lo, s7
	v_cmp_lt_u32_e32 vcc_lo, 10, v66
	v_mad_i32_i24 v52, 0xffffff04, v2, v51
	v_dual_lshlrev_b32 v63, 2, v66 :: v_dual_lshlrev_b32 v77, 2, v28
	v_writelane_b32 v93, s8, 26
	s_and_b32 s8, s10, s7
	v_cmp_le_i32_e64 s10, s18, v81
	v_mad_u32_u24 v53, 0xfc, v2, v52
	v_mad_u32 v26, v78, 7, v26
	v_writelane_b32 v93, s8, 27
	s_and_b32 s8, s11, s7
	v_mul_u32_u24_e32 v27, 0xf8, v2
	v_mad_i32_i24 v54, 0xffffff04, v2, v53
	v_or_b32_e32 v68, 0x5000, v77
	v_writelane_b32 v93, s8, 28
	s_and_b32 s8, vcc_lo, s7
	v_cmp_eq_u32_e32 vcc_lo, 11, v66
	v_mad_u32_u24 v55, 0xfc, v2, v54
	v_add_nc_u32_e32 v62, 0x4000, v49
	v_writelane_b32 v93, s8, 29
	v_sub_nc_u32_e32 v26, v26, v27
	s_and_b32 s8, vcc_lo, s7
	v_cmp_lt_u32_e32 vcc_lo, 11, v66
	v_mad_i32_i24 v56, 0xffffff04, v2, v55
	v_writelane_b32 v93, s8, 30
	v_dual_add_nc_u32 v72, v68, v30 :: v_dual_bitop2_b32 v64, v50, v63 bitop3:0x54
	s_and_b32 s8, vcc_lo, s7
	v_cmp_eq_u32_e32 vcc_lo, 12, v66
	v_writelane_b32 v93, s8, 31
	v_mad_u32_u24 v57, 0xfc, v2, v56
	v_lshl_add_u32 v67, v4, 2, 0x5000
	v_lshl_add_u32 v69, v22, 2, 0x4000
	s_and_b32 s8, vcc_lo, s7
	v_cmp_lt_u32_e32 vcc_lo, 12, v66
	v_writelane_b32 v92, s8, 0
	v_mad_i32_i24 v58, 0xffffff04, v2, v57
	v_add_nc_u32_e32 v70, 0x4000, v30
	v_add_nc_u32_e32 v78, 0x3c00, v26
	s_and_b32 s8, vcc_lo, s7
	v_cmp_eq_u32_e32 vcc_lo, 13, v66
	v_writelane_b32 v92, s8, 1
	v_mad_u32_u24 v59, 0xfc, v2, v58
	v_subrev_nc_u32_e32 v79, 63, v2
	v_cmp_gt_u32_e64 s20, 48, v22
	s_and_b32 s8, vcc_lo, s7
	v_cmp_lt_u32_e32 vcc_lo, 13, v66
	v_writelane_b32 v92, s8, 2
	v_mad_i32_i24 v60, 0xffffff04, v2, v59
	v_cmp_gt_u32_e64 s21, 40, v22
	v_cmp_gt_u32_e64 s22, 32, v22
	s_and_b32 s8, vcc_lo, s7
	v_cmp_eq_u32_e32 vcc_lo, 14, v66
	v_writelane_b32 v92, s8, 3
	v_mad_u32_u24 v61, 0xfc, v2, v60
	v_cmp_gt_u32_e64 s23, 24, v22
	v_cmp_eq_u32_e64 s59, 0, v4
	s_and_b32 s8, vcc_lo, s7
	v_cmp_lt_u32_e32 vcc_lo, 14, v66
	v_writelane_b32 v92, s8, 4
	v_cmp_gt_u32_e64 s60, 64, v4
                                        ; implicit-def: $vgpr82
                                        ; implicit-def: $vgpr83
	v_dual_add_nc_u32 v77, v32, v77 :: v_dual_lshlrev_b32 v75, 2, v75
	s_and_b32 s8, vcc_lo, s7
	v_cmp_eq_u32_e32 vcc_lo, 15, v66
	v_writelane_b32 v92, s8, 5
	v_lshlrev_b32_e32 v76, 2, v76
	s_and_b32 s8, vcc_lo, s7
	v_cmp_lt_u32_e32 vcc_lo, 15, v66
	v_writelane_b32 v92, s8, 6
	s_and_b32 s8, vcc_lo, s7
	v_cmp_eq_u32_e32 vcc_lo, 16, v66
	v_writelane_b32 v92, s8, 7
	s_and_b32 s8, vcc_lo, s7
	v_cmp_lt_u32_e32 vcc_lo, 16, v66
	v_writelane_b32 v92, s8, 8
	s_and_b32 s8, vcc_lo, s7
	v_cmp_eq_u32_e32 vcc_lo, 17, v66
	v_writelane_b32 v92, s8, 9
	;; [unrolled: 6-line block ×15, first 2 shown]
	s_and_b32 s8, vcc_lo, s7
	v_cmp_eq_u32_e32 vcc_lo, 31, v66
	v_writelane_b32 v91, s8, 4
	v_mad_i32_i24 v66, 0xffffff04, v2, v32
	s_and_b32 s14, vcc_lo, s7
	v_cmp_gt_u32_e32 vcc_lo, 32, v2
	s_delay_alu instid0(VALU_DEP_2)
	v_lshl_add_u32 v71, v28, 8, v66
	s_and_b32 s8, s3, vcc_lo
	v_cmp_le_i32_e32 vcc_lo, s18, v2
	v_writelane_b32 v91, s8, 5
	s_and_b32 s8, vcc_lo, s19
	v_cmp_gt_u32_e64 s19, 56, v22
	v_writelane_b32 v91, s8, 6
	s_xor_b32 s8, s8, -1
	s_delay_alu instid0(SALU_CYCLE_1)
	s_and_b32 s12, s3, s8
	s_cmp_gt_i32 s86, 0
	s_cselect_b32 s11, -1, 0
	s_and_b32 s0, s3, s0
	s_add_co_i32 s46, s46, 1
	v_writelane_b32 v91, s0, 7
	v_cmp_gt_i32_e64 s0, s80, v20
	v_add_nc_u32_e32 v20, 0x60, v25
	s_lshl_b64 s[78:79], s[78:79], 2
	s_lshl_b64 s[72:73], s[72:73], 2
	s_and_b32 s1, s1, s0
	s_delay_alu instid0(SALU_CYCLE_1) | instskip(SKIP_4) | instid1(SALU_CYCLE_1)
	v_writelane_b32 v91, s1, 8
	v_cmp_gt_i32_e64 s1, s80, v21
	v_add_nc_u32_e32 v21, 0x70, v25
	v_or_b32_e32 v25, v81, v2
	s_and_b32 s1, s1, s0
	v_writelane_b32 v91, s1, 9
	v_cmp_gt_i32_e64 s1, s80, v20
	v_or_b32_e32 v20, v24, v2
	s_and_b32 s1, s1, s0
	s_delay_alu instid0(SALU_CYCLE_1) | instskip(SKIP_3) | instid1(SALU_CYCLE_1)
	v_writelane_b32 v91, s1, 10
	v_cmp_gt_i32_e64 s1, s80, v21
	v_or_b32_e32 v21, v80, v2
	s_and_b32 s1, s1, s0
	v_writelane_b32 v91, s1, 11
	v_cmp_le_i32_e64 s1, s18, v28
	s_or_b32 s8, s1, vcc_lo
	v_cmp_le_u32_e64 s1, v2, v28
	s_or_b32 s8, s8, s1
	s_delay_alu instid0(SALU_CYCLE_1) | instskip(SKIP_4) | instid1(SALU_CYCLE_1)
	v_writelane_b32 v91, s8, 12
	v_cmp_le_i32_e64 s8, s18, v24
	s_or_b32 s9, s8, vcc_lo
	v_cmp_le_u32_e64 s8, v2, v24
	s_or_b32 s9, s9, s8
	v_writelane_b32 v91, s9, 13
	v_cmp_le_i32_e64 s9, s18, v80
	v_cmp_ne_u32_e64 s18, v2, v81
	s_or_b32 s15, s9, vcc_lo
	v_cmp_le_u32_e64 s9, v2, v80
                                        ; implicit-def: $vgpr80
	s_or_b32 s15, s15, s9
	s_delay_alu instid0(SALU_CYCLE_1) | instskip(SKIP_3) | instid1(SALU_CYCLE_1)
	v_writelane_b32 v91, s15, 14
	s_or_b32 s15, s10, vcc_lo
	v_cmp_le_u32_e64 s10, v2, v81
                                        ; implicit-def: $vgpr81
	s_or_b32 s15, s15, s10
	v_writelane_b32 v91, s15, 15
	v_cmp_ne_u32_e64 s15, v2, v28
	s_delay_alu instid0(VALU_DEP_1) | instskip(SKIP_1) | instid1(SALU_CYCLE_1)
	v_writelane_b32 v91, s15, 16
	s_or_b32 s15, vcc_lo, s15
	v_writelane_b32 v91, s15, 17
	s_or_b32 s15, vcc_lo, s16
	v_writelane_b32 v91, s16, 18
	v_cmp_gt_u32_e64 s16, 2, v22
	v_writelane_b32 v91, s15, 19
	s_or_b32 s15, vcc_lo, s17
	v_writelane_b32 v91, s17, 20
	v_cmp_gt_u32_e64 s17, 12, v22
	;; [unrolled: 4-line block ×3, first 2 shown]
	v_writelane_b32 v91, s15, 23
	v_cmp_eq_u32_e64 s15, 0, v23
	v_writelane_b32 v91, s47, 24
	v_cmp_gt_u32_e64 s47, 0xe0, v22
	s_delay_alu instid0(VALU_DEP_1) | instskip(SKIP_1) | instid1(VALU_DEP_1)
	v_writelane_b32 v91, s47, 25
	v_cmp_gt_u32_e64 s47, 0xd0, v22
	v_writelane_b32 v91, s47, 26
	v_cmp_gt_u32_e64 s47, 0xc0, v22
	s_delay_alu instid0(VALU_DEP_1) | instskip(SKIP_1) | instid1(VALU_DEP_1)
	v_writelane_b32 v91, s47, 27
	v_cmp_gt_u32_e64 s47, 0xb0, v22
	;; [unrolled: 5-line block ×18, first 2 shown]
	v_writelane_b32 v90, s47, 28
	v_cmp_gt_u32_e64 s47, 64, v25
	s_delay_alu instid0(VALU_DEP_1)
	v_writelane_b32 v90, s47, 29
	s_branch .LBB107_3
.LBB107_2:                              ;   in Loop: Header=BB107_3 Depth=1
	s_wait_xcnt 0x0
	s_or_b32 exec_lo, exec_lo, s47
	v_readlane_b32 s47, v93, 0
	s_add_co_i32 s66, s66, 0x10000
	global_wb scope:SCOPE_DEV
	s_wait_storecnt 0x0
	global_inv scope:SCOPE_DEV
	s_cmp_lt_u32 s66, s47
	s_cbranch_scc0 .LBB107_1257
.LBB107_3:                              ; =>This Loop Header: Depth=1
                                        ;     Child Loop BB107_1110 Depth 2
                                        ;       Child Loop BB107_1112 Depth 3
                                        ;     Child Loop BB107_1147 Depth 2
	v_mov_b32_e32 v22, s66
	v_readlane_b32 s47, v93, 1
	s_clause 0x1
	global_load_b64 v[20:21], v22, s[76:77] scale_offset
	global_load_b64 v[22:23], v22, s[70:71] scale_offset
	global_load_b32 v84, v5, s[68:69]
	s_and_not1_b32 vcc_lo, exec_lo, s47
	s_wait_loadcnt 0x2
	v_add_nc_u64_e32 v[24:25], s[78:79], v[20:21]
	s_delay_alu instid0(VALU_DEP_1)
	v_lshl_add_u64 v[20:21], v[8:9], 2, v[24:25]
	s_cbranch_vccnz .LBB107_13
; %bb.4:                                ;   in Loop: Header=BB107_3 Depth=1
	s_delay_alu instid0(VALU_DEP_1)
	v_lshl_add_u64 v[26:27], v[6:7], 2, v[20:21]
	v_dual_mov_b32 v81, 0 :: v_dual_mov_b32 v80, 0
	s_wait_loadcnt 0x0
	s_barrier_signal -1
	s_barrier_wait -1
	s_wait_xcnt 0x0
	s_mov_b32 s47, exec_lo
	v_readlane_b32 s48, v91, 8
	s_and_b32 s48, s47, s48
	s_delay_alu instid0(SALU_CYCLE_1)
	s_mov_b32 exec_lo, s48
	s_cbranch_execz .LBB107_6
; %bb.5:                                ;   in Loop: Header=BB107_3 Depth=1
	flat_load_b32 v80, v[26:27]
.LBB107_6:                              ;   in Loop: Header=BB107_3 Depth=1
	s_wait_xcnt 0x0
	s_or_b32 exec_lo, exec_lo, s47
	s_wait_loadcnt_dscnt 0x0
	s_barrier_signal -1
	s_barrier_wait -1
	s_mov_b32 s47, exec_lo
	v_readlane_b32 s48, v91, 9
	s_and_b32 s48, s47, s48
	s_delay_alu instid0(SALU_CYCLE_1)
	s_mov_b32 exec_lo, s48
	s_cbranch_execz .LBB107_8
; %bb.7:                                ;   in Loop: Header=BB107_3 Depth=1
	flat_load_b32 v81, v[26:27] offset:64
.LBB107_8:                              ;   in Loop: Header=BB107_3 Depth=1
	s_wait_xcnt 0x0
	s_or_b32 exec_lo, exec_lo, s47
	v_dual_mov_b32 v83, 0 :: v_dual_mov_b32 v82, 0
	s_wait_loadcnt_dscnt 0x0
	s_barrier_signal -1
	s_barrier_wait -1
	s_mov_b32 s47, exec_lo
	v_readlane_b32 s48, v91, 10
	s_and_b32 s48, s47, s48
	s_delay_alu instid0(SALU_CYCLE_1)
	s_mov_b32 exec_lo, s48
	s_cbranch_execz .LBB107_10
; %bb.9:                                ;   in Loop: Header=BB107_3 Depth=1
	flat_load_b32 v82, v[26:27] offset:128
.LBB107_10:                             ;   in Loop: Header=BB107_3 Depth=1
	s_wait_xcnt 0x0
	s_or_b32 exec_lo, exec_lo, s47
	s_wait_loadcnt_dscnt 0x0
	s_barrier_signal -1
	s_barrier_wait -1
	s_mov_b32 s47, exec_lo
	v_readlane_b32 s48, v91, 11
	s_and_b32 s48, s47, s48
	s_delay_alu instid0(SALU_CYCLE_1)
	s_mov_b32 exec_lo, s48
	s_cbranch_execz .LBB107_12
; %bb.11:                               ;   in Loop: Header=BB107_3 Depth=1
	flat_load_b32 v83, v[26:27] offset:192
.LBB107_12:                             ;   in Loop: Header=BB107_3 Depth=1
	s_wait_xcnt 0x0
	s_or_b32 exec_lo, exec_lo, s47
.LBB107_13:                             ;   in Loop: Header=BB107_3 Depth=1
	s_delay_alu instid0(SALU_CYCLE_1)
	s_and_not1_b32 vcc_lo, exec_lo, s88
	s_mov_b32 s47, -1
	s_cbranch_vccnz .LBB107_24
; %bb.14:                               ;   in Loop: Header=BB107_3 Depth=1
	s_wait_xcnt 0x0
	s_and_saveexec_b32 s47, s1
	s_delay_alu instid0(SALU_CYCLE_1)
	s_xor_b32 s47, exec_lo, s47
	s_cbranch_execnz .LBB107_1169
; %bb.15:                               ;   in Loop: Header=BB107_3 Depth=1
	s_and_not1_saveexec_b32 s47, s47
	s_cbranch_execnz .LBB107_1176
.LBB107_16:                             ;   in Loop: Header=BB107_3 Depth=1
	s_or_b32 exec_lo, exec_lo, s47
	s_and_saveexec_b32 s47, s8
	s_delay_alu instid0(SALU_CYCLE_1)
	s_xor_b32 s47, exec_lo, s47
	s_cbranch_execnz .LBB107_1177
.LBB107_17:                             ;   in Loop: Header=BB107_3 Depth=1
	s_and_not1_saveexec_b32 s47, s47
	s_cbranch_execnz .LBB107_1184
.LBB107_18:                             ;   in Loop: Header=BB107_3 Depth=1
	s_or_b32 exec_lo, exec_lo, s47
	s_and_saveexec_b32 s47, s9
	s_delay_alu instid0(SALU_CYCLE_1)
	s_xor_b32 s47, exec_lo, s47
	s_cbranch_execnz .LBB107_1185
.LBB107_19:                             ;   in Loop: Header=BB107_3 Depth=1
	s_and_not1_saveexec_b32 s47, s47
	s_cbranch_execnz .LBB107_1192
.LBB107_20:                             ;   in Loop: Header=BB107_3 Depth=1
	s_or_b32 exec_lo, exec_lo, s47
	s_and_saveexec_b32 s47, s10
	s_delay_alu instid0(SALU_CYCLE_1)
	s_xor_b32 s47, exec_lo, s47
	s_cbranch_execnz .LBB107_1193
.LBB107_21:                             ;   in Loop: Header=BB107_3 Depth=1
	s_and_not1_saveexec_b32 s47, s47
	s_cbranch_execz .LBB107_23
.LBB107_22:                             ;   in Loop: Header=BB107_3 Depth=1
	v_lshl_add_u64 v[26:27], v[14:15], 2, v[24:25]
	flat_load_b32 v26, v[26:27]
	s_wait_loadcnt_dscnt 0x0
	v_xor_b32_e32 v26, 0x80000000, v26
	ds_store_b32 v76, v26
.LBB107_23:                             ;   in Loop: Header=BB107_3 Depth=1
	s_or_b32 exec_lo, exec_lo, s47
	s_mov_b32 s47, 0
.LBB107_24:                             ;   in Loop: Header=BB107_3 Depth=1
	s_delay_alu instid0(SALU_CYCLE_1)
	s_and_b32 vcc_lo, exec_lo, s47
	s_cbranch_vccz .LBB107_66
; %bb.25:                               ;   in Loop: Header=BB107_3 Depth=1
	s_wait_xcnt 0x0
	s_mov_b32 s47, exec_lo
	v_readlane_b32 s48, v91, 12
	s_and_b32 s48, s47, s48
	s_delay_alu instid0(SALU_CYCLE_1)
	s_xor_b32 s47, s48, s47
	s_mov_b32 exec_lo, s48
	s_cbranch_execz .LBB107_33
; %bb.26:                               ;   in Loop: Header=BB107_3 Depth=1
	s_mov_b32 s48, exec_lo
	v_readlane_b32 s49, v91, 17
	s_and_b32 s49, s48, s49
	s_delay_alu instid0(SALU_CYCLE_1)
	s_xor_b32 s48, s49, s48
	s_mov_b32 exec_lo, s49
	s_cbranch_execz .LBB107_30
; %bb.27:                               ;   in Loop: Header=BB107_3 Depth=1
	s_mov_b32 s49, exec_lo
	v_readlane_b32 s50, v90, 26
	s_and_b32 s50, s49, s50
	s_delay_alu instid0(SALU_CYCLE_1)
	s_mov_b32 exec_lo, s50
; %bb.28:                               ;   in Loop: Header=BB107_3 Depth=1
	ds_store_b32 v77, v5
; %bb.29:                               ;   in Loop: Header=BB107_3 Depth=1
	s_or_b32 exec_lo, exec_lo, s49
.LBB107_30:                             ;   in Loop: Header=BB107_3 Depth=1
	s_and_not1_saveexec_b32 s48, s48
	s_cbranch_execz .LBB107_32
; %bb.31:                               ;   in Loop: Header=BB107_3 Depth=1
	v_lshl_add_u64 v[26:27], v[0:1], 2, v[24:25]
	flat_load_b32 v26, v[26:27]
	s_wait_loadcnt_dscnt 0x0
	v_div_scale_f32 v27, null, v26, v26, 1.0
	s_delay_alu instid0(VALU_DEP_1) | instskip(SKIP_1) | instid1(TRANS32_DEP_1)
	v_rcp_f32_e32 v85, v27
	v_nop
	v_fma_f32 v86, -v27, v85, 1.0
	s_delay_alu instid0(VALU_DEP_1) | instskip(SKIP_1) | instid1(VALU_DEP_1)
	v_fmac_f32_e32 v85, v86, v85
	v_div_scale_f32 v86, vcc_lo, 1.0, v26, 1.0
	v_mul_f32_e32 v87, v86, v85
	s_delay_alu instid0(VALU_DEP_1) | instskip(NEXT) | instid1(VALU_DEP_1)
	v_fma_f32 v88, -v27, v87, v86
	v_fmac_f32_e32 v87, v88, v85
	s_delay_alu instid0(VALU_DEP_1) | instskip(NEXT) | instid1(VALU_DEP_1)
	v_fma_f32 v27, -v27, v87, v86
	v_div_fmas_f32 v27, v27, v85, v87
	s_delay_alu instid0(VALU_DEP_1)
	v_div_fixup_f32 v26, v27, v26, 1.0
	ds_store_b32 v77, v26
.LBB107_32:                             ;   in Loop: Header=BB107_3 Depth=1
	s_or_b32 exec_lo, exec_lo, s48
.LBB107_33:                             ;   in Loop: Header=BB107_3 Depth=1
	s_and_not1_saveexec_b32 s47, s47
	s_cbranch_execz .LBB107_35
; %bb.34:                               ;   in Loop: Header=BB107_3 Depth=1
	v_lshl_add_u64 v[26:27], v[0:1], 2, v[24:25]
	flat_load_b32 v26, v[26:27]
	s_wait_loadcnt_dscnt 0x0
	v_xor_b32_e32 v26, 0x80000000, v26
	ds_store_b32 v77, v26
.LBB107_35:                             ;   in Loop: Header=BB107_3 Depth=1
	s_or_b32 exec_lo, exec_lo, s47
	s_delay_alu instid0(SALU_CYCLE_1) | instskip(SKIP_2) | instid1(SALU_CYCLE_1)
	s_mov_b32 s47, exec_lo
	v_readlane_b32 s48, v91, 13
	s_and_b32 s48, s47, s48
	s_xor_b32 s47, s48, s47
	s_mov_b32 exec_lo, s48
	s_cbranch_execz .LBB107_43
; %bb.36:                               ;   in Loop: Header=BB107_3 Depth=1
	s_mov_b32 s48, exec_lo
	v_readlane_b32 s49, v91, 19
	s_and_b32 s49, s48, s49
	s_delay_alu instid0(SALU_CYCLE_1)
	s_xor_b32 s48, s49, s48
	s_mov_b32 exec_lo, s49
	s_cbranch_execz .LBB107_40
; %bb.37:                               ;   in Loop: Header=BB107_3 Depth=1
	s_mov_b32 s49, exec_lo
	v_readlane_b32 s50, v90, 27
	s_and_b32 s50, s49, s50
	s_delay_alu instid0(SALU_CYCLE_1)
	s_mov_b32 exec_lo, s50
; %bb.38:                               ;   in Loop: Header=BB107_3 Depth=1
	ds_store_b32 v74, v5
; %bb.39:                               ;   in Loop: Header=BB107_3 Depth=1
	s_or_b32 exec_lo, exec_lo, s49
.LBB107_40:                             ;   in Loop: Header=BB107_3 Depth=1
	s_and_not1_saveexec_b32 s48, s48
	s_cbranch_execz .LBB107_42
; %bb.41:                               ;   in Loop: Header=BB107_3 Depth=1
	v_lshl_add_u64 v[26:27], v[10:11], 2, v[24:25]
	flat_load_b32 v26, v[26:27]
	s_wait_loadcnt_dscnt 0x0
	v_div_scale_f32 v27, null, v26, v26, 1.0
	s_delay_alu instid0(VALU_DEP_1) | instskip(SKIP_1) | instid1(TRANS32_DEP_1)
	v_rcp_f32_e32 v85, v27
	v_nop
	v_fma_f32 v86, -v27, v85, 1.0
	s_delay_alu instid0(VALU_DEP_1) | instskip(SKIP_1) | instid1(VALU_DEP_1)
	v_fmac_f32_e32 v85, v86, v85
	v_div_scale_f32 v86, vcc_lo, 1.0, v26, 1.0
	v_mul_f32_e32 v87, v86, v85
	s_delay_alu instid0(VALU_DEP_1) | instskip(NEXT) | instid1(VALU_DEP_1)
	v_fma_f32 v88, -v27, v87, v86
	v_fmac_f32_e32 v87, v88, v85
	s_delay_alu instid0(VALU_DEP_1) | instskip(NEXT) | instid1(VALU_DEP_1)
	v_fma_f32 v27, -v27, v87, v86
	v_div_fmas_f32 v27, v27, v85, v87
	s_delay_alu instid0(VALU_DEP_1)
	v_div_fixup_f32 v26, v27, v26, 1.0
	ds_store_b32 v74, v26
.LBB107_42:                             ;   in Loop: Header=BB107_3 Depth=1
	s_or_b32 exec_lo, exec_lo, s48
.LBB107_43:                             ;   in Loop: Header=BB107_3 Depth=1
	s_and_not1_saveexec_b32 s47, s47
	s_cbranch_execz .LBB107_45
; %bb.44:                               ;   in Loop: Header=BB107_3 Depth=1
	v_lshl_add_u64 v[26:27], v[10:11], 2, v[24:25]
	flat_load_b32 v26, v[26:27]
	s_wait_loadcnt_dscnt 0x0
	v_xor_b32_e32 v26, 0x80000000, v26
	ds_store_b32 v74, v26
.LBB107_45:                             ;   in Loop: Header=BB107_3 Depth=1
	s_or_b32 exec_lo, exec_lo, s47
	s_delay_alu instid0(SALU_CYCLE_1) | instskip(SKIP_2) | instid1(SALU_CYCLE_1)
	s_mov_b32 s47, exec_lo
	v_readlane_b32 s48, v91, 14
	s_and_b32 s48, s47, s48
	;; [unrolled: 63-line block ×3, first 2 shown]
	s_xor_b32 s47, s48, s47
	s_mov_b32 exec_lo, s48
	s_cbranch_execz .LBB107_63
; %bb.56:                               ;   in Loop: Header=BB107_3 Depth=1
	s_mov_b32 s48, exec_lo
	v_readlane_b32 s49, v91, 23
	s_and_b32 s49, s48, s49
	s_delay_alu instid0(SALU_CYCLE_1)
	s_xor_b32 s48, s49, s48
	s_mov_b32 exec_lo, s49
	s_cbranch_execz .LBB107_60
; %bb.57:                               ;   in Loop: Header=BB107_3 Depth=1
	s_mov_b32 s49, exec_lo
	v_readlane_b32 s50, v90, 29
	s_and_b32 s50, s49, s50
	s_delay_alu instid0(SALU_CYCLE_1)
	s_mov_b32 exec_lo, s50
; %bb.58:                               ;   in Loop: Header=BB107_3 Depth=1
	ds_store_b32 v76, v5
; %bb.59:                               ;   in Loop: Header=BB107_3 Depth=1
	s_or_b32 exec_lo, exec_lo, s49
                                        ; implicit-def: $vgpr24_vgpr25
.LBB107_60:                             ;   in Loop: Header=BB107_3 Depth=1
	s_and_not1_saveexec_b32 s48, s48
	s_cbranch_execz .LBB107_62
; %bb.61:                               ;   in Loop: Header=BB107_3 Depth=1
	v_lshl_add_u64 v[24:25], v[14:15], 2, v[24:25]
	flat_load_b32 v24, v[24:25]
	s_wait_loadcnt_dscnt 0x0
	v_div_scale_f32 v25, null, v24, v24, 1.0
	s_delay_alu instid0(VALU_DEP_1) | instskip(SKIP_1) | instid1(TRANS32_DEP_1)
	v_rcp_f32_e32 v26, v25
	v_nop
	v_fma_f32 v27, -v25, v26, 1.0
	s_delay_alu instid0(VALU_DEP_1) | instskip(SKIP_1) | instid1(VALU_DEP_1)
	v_fmac_f32_e32 v26, v27, v26
	v_div_scale_f32 v27, vcc_lo, 1.0, v24, 1.0
	v_mul_f32_e32 v85, v27, v26
	s_delay_alu instid0(VALU_DEP_1) | instskip(NEXT) | instid1(VALU_DEP_1)
	v_fma_f32 v86, -v25, v85, v27
	v_fmac_f32_e32 v85, v86, v26
	s_delay_alu instid0(VALU_DEP_1) | instskip(NEXT) | instid1(VALU_DEP_1)
	v_fma_f32 v25, -v25, v85, v27
	v_div_fmas_f32 v25, v25, v26, v85
	s_delay_alu instid0(VALU_DEP_1)
	v_div_fixup_f32 v24, v25, v24, 1.0
	ds_store_b32 v76, v24
.LBB107_62:                             ;   in Loop: Header=BB107_3 Depth=1
	s_or_b32 exec_lo, exec_lo, s48
                                        ; implicit-def: $vgpr24_vgpr25
.LBB107_63:                             ;   in Loop: Header=BB107_3 Depth=1
	s_and_not1_saveexec_b32 s47, s47
	s_cbranch_execz .LBB107_65
; %bb.64:                               ;   in Loop: Header=BB107_3 Depth=1
	v_lshl_add_u64 v[24:25], v[14:15], 2, v[24:25]
	flat_load_b32 v24, v[24:25]
	s_wait_loadcnt_dscnt 0x0
	v_xor_b32_e32 v24, 0x80000000, v24
	ds_store_b32 v76, v24
.LBB107_65:                             ;   in Loop: Header=BB107_3 Depth=1
	s_or_b32 exec_lo, exec_lo, s47
.LBB107_66:                             ;   in Loop: Header=BB107_3 Depth=1
	s_delay_alu instid0(SALU_CYCLE_1)
	s_and_not1_b32 vcc_lo, exec_lo, s90
	s_wait_loadcnt_dscnt 0x0
	s_barrier_signal -1
	s_barrier_wait -1
	s_cbranch_vccnz .LBB107_1104
; %bb.67:                               ;   in Loop: Header=BB107_3 Depth=1
	s_and_saveexec_b32 s47, s15
	s_cbranch_execz .LBB107_69
; %bb.68:                               ;   in Loop: Header=BB107_3 Depth=1
	ds_load_b64 v[24:25], v5
	ds_load_b32 v26, v5 offset:260
	s_wait_dscnt 0x0
	v_mul_f32_e32 v24, v24, v26
	s_delay_alu instid0(VALU_DEP_1)
	v_mul_f32_e32 v24, v25, v24
	ds_store_2addr_b32 v5, v24, v24 offset0:1 offset1:64
.LBB107_69:                             ;   in Loop: Header=BB107_3 Depth=1
	s_or_b32 exec_lo, exec_lo, s47
	v_mov_b32_e32 v24, 0
	s_wait_dscnt 0x0
	s_barrier_signal -1
	s_barrier_wait -1
	s_and_saveexec_b32 s47, s2
	s_cbranch_execz .LBB107_73
; %bb.70:                               ;   in Loop: Header=BB107_3 Depth=1
	ds_load_b32 v24, v65 offset:8
	ds_load_b32 v25, v29
	s_wait_dscnt 0x0
	v_fma_f32 v24, v24, v25, 0
	s_and_saveexec_b32 s48, s16
	s_cbranch_execz .LBB107_72
; %bb.71:                               ;   in Loop: Header=BB107_3 Depth=1
	ds_load_b32 v25, v30 offset:264
	ds_load_b32 v26, v5 offset:4
	s_wait_dscnt 0x0
	v_fmac_f32_e32 v24, v25, v26
.LBB107_72:                             ;   in Loop: Header=BB107_3 Depth=1
	s_or_b32 exec_lo, exec_lo, s48
	s_delay_alu instid0(VALU_DEP_1)
	v_xor_b32_e32 v24, 0x80000000, v24
.LBB107_73:                             ;   in Loop: Header=BB107_3 Depth=1
	s_or_b32 exec_lo, exec_lo, s47
	s_and_saveexec_b32 s47, s91
	s_cbranch_execz .LBB107_75
; %bb.74:                               ;   in Loop: Header=BB107_3 Depth=1
	ds_load_b32 v25, v5 offset:520
	s_wait_dscnt 0x0
	v_mul_f32_e32 v24, v24, v25
	ds_store_b32 v3, v24
.LBB107_75:                             ;   in Loop: Header=BB107_3 Depth=1
	s_or_b32 exec_lo, exec_lo, s47
	s_wait_dscnt 0x0
	s_barrier_signal -1
	s_barrier_wait -1
	s_and_saveexec_b32 s47, s92
	s_cbranch_execz .LBB107_77
; %bb.76:                               ;   in Loop: Header=BB107_3 Depth=1
	ds_load_b32 v25, v5 offset:524
	ds_load_b32 v26, v3
	s_wait_dscnt 0x0
	v_fmac_f32_e32 v24, v25, v26
.LBB107_77:                             ;   in Loop: Header=BB107_3 Depth=1
	s_or_b32 exec_lo, exec_lo, s47
	s_barrier_signal -1
	s_barrier_wait -1
	s_and_saveexec_b32 s47, s92
	s_cbranch_execz .LBB107_79
; %bb.78:                               ;   in Loop: Header=BB107_3 Depth=1
	ds_load_b32 v25, v5 offset:780
	s_wait_dscnt 0x0
	v_mul_f32_e32 v24, v24, v25
	ds_store_b32 v3, v24
.LBB107_79:                             ;   in Loop: Header=BB107_3 Depth=1
	s_or_b32 exec_lo, exec_lo, s47
	s_wait_dscnt 0x0
	s_barrier_signal -1
	s_barrier_wait -1
	s_barrier_signal -1
	s_barrier_wait -1
	s_and_saveexec_b32 s47, s2
; %bb.80:                               ;   in Loop: Header=BB107_3 Depth=1
	v_xor_b32_e32 v24, 0x80000000, v24
	ds_store_b32 v65, v24 offset:8
; %bb.81:                               ;   in Loop: Header=BB107_3 Depth=1
	s_or_b32 exec_lo, exec_lo, s47
	s_wait_dscnt 0x0
	s_barrier_signal -1
	s_barrier_wait -1
	s_barrier_signal -1
	s_barrier_wait -1
	s_and_saveexec_b32 s47, s93
	s_cbranch_execz .LBB107_83
; %bb.82:                               ;   in Loop: Header=BB107_3 Depth=1
	ds_load_b32 v24, v34 offset:8
	s_wait_dscnt 0x0
	ds_store_b32 v30, v24 offset:512
	ds_load_b32 v24, v34 offset:12
	s_wait_dscnt 0x0
	ds_store_b32 v30, v24 offset:768
.LBB107_83:                             ;   in Loop: Header=BB107_3 Depth=1
	s_or_b32 exec_lo, exec_lo, s47
	s_wait_dscnt 0x0
	s_barrier_signal -1
	s_barrier_wait -1
	s_and_saveexec_b32 s47, s15
	s_cbranch_execz .LBB107_85
; %bb.84:                               ;   in Loop: Header=BB107_3 Depth=1
	ds_load_b64 v[24:25], v5 offset:520
	ds_load_b32 v26, v5 offset:780
	s_wait_dscnt 0x0
	v_mul_f32_e32 v24, v24, v26
	s_delay_alu instid0(VALU_DEP_1)
	v_mul_f32_e32 v24, v25, v24
	ds_store_2addr_b32 v5, v24, v24 offset0:131 offset1:194
.LBB107_85:                             ;   in Loop: Header=BB107_3 Depth=1
	s_or_b32 exec_lo, exec_lo, s47
	v_mov_b32_e32 v24, 0
	s_wait_dscnt 0x0
	s_barrier_signal -1
	s_barrier_wait -1
	s_and_saveexec_b32 s47, s4
	s_cbranch_execz .LBB107_91
; %bb.86:                               ;   in Loop: Header=BB107_3 Depth=1
	ds_load_b32 v24, v36 offset:16
	ds_load_b32 v25, v31
	s_wait_dscnt 0x0
	v_fma_f32 v24, v24, v25, 0
	s_and_saveexec_b32 s48, s17
	s_cbranch_execnz .LBB107_1207
; %bb.87:                               ;   in Loop: Header=BB107_3 Depth=1
	s_or_b32 exec_lo, exec_lo, s48
	s_and_saveexec_b32 s48, s18
	s_cbranch_execnz .LBB107_1208
.LBB107_88:                             ;   in Loop: Header=BB107_3 Depth=1
	s_or_b32 exec_lo, exec_lo, s48
	s_and_saveexec_b32 s48, s2
	s_cbranch_execz .LBB107_90
.LBB107_89:                             ;   in Loop: Header=BB107_3 Depth=1
	ds_load_b32 v25, v38 offset:784
	ds_load_b32 v26, v5 offset:12
	s_wait_dscnt 0x0
	v_fmac_f32_e32 v24, v25, v26
.LBB107_90:                             ;   in Loop: Header=BB107_3 Depth=1
	s_or_b32 exec_lo, exec_lo, s48
	s_delay_alu instid0(VALU_DEP_1)
	v_xor_b32_e32 v24, 0x80000000, v24
.LBB107_91:                             ;   in Loop: Header=BB107_3 Depth=1
	s_or_b32 exec_lo, exec_lo, s47
	s_and_saveexec_b32 s47, s94
	s_cbranch_execz .LBB107_93
; %bb.92:                               ;   in Loop: Header=BB107_3 Depth=1
	ds_load_b32 v25, v5 offset:1040
	s_wait_dscnt 0x0
	v_mul_f32_e32 v24, v24, v25
	ds_store_b32 v35, v24
.LBB107_93:                             ;   in Loop: Header=BB107_3 Depth=1
	s_or_b32 exec_lo, exec_lo, s47
	s_wait_dscnt 0x0
	s_barrier_signal -1
	s_barrier_wait -1
	s_and_saveexec_b32 s47, s95
	s_cbranch_execz .LBB107_95
; %bb.94:                               ;   in Loop: Header=BB107_3 Depth=1
	ds_load_b32 v25, v33 offset:1040
	ds_load_b32 v26, v35
	s_wait_dscnt 0x0
	v_fmac_f32_e32 v24, v25, v26
.LBB107_95:                             ;   in Loop: Header=BB107_3 Depth=1
	s_or_b32 exec_lo, exec_lo, s47
	s_barrier_signal -1
	s_barrier_wait -1
	s_and_saveexec_b32 s47, s96
	s_cbranch_execz .LBB107_97
; %bb.96:                               ;   in Loop: Header=BB107_3 Depth=1
	ds_load_b32 v25, v5 offset:1300
	s_wait_dscnt 0x0
	v_mul_f32_e32 v24, v24, v25
	ds_store_b32 v35, v24
.LBB107_97:                             ;   in Loop: Header=BB107_3 Depth=1
	s_or_b32 exec_lo, exec_lo, s47
	s_wait_dscnt 0x0
	s_barrier_signal -1
	s_barrier_wait -1
	s_and_saveexec_b32 s47, s97
	s_cbranch_execz .LBB107_99
; %bb.98:                               ;   in Loop: Header=BB107_3 Depth=1
	ds_load_b32 v25, v33 offset:1296
	ds_load_b32 v26, v35
	s_wait_dscnt 0x0
	v_fmac_f32_e32 v24, v25, v26
.LBB107_99:                             ;   in Loop: Header=BB107_3 Depth=1
	s_or_b32 exec_lo, exec_lo, s47
	s_barrier_signal -1
	s_barrier_wait -1
	s_and_saveexec_b32 s47, s98
	s_cbranch_execz .LBB107_101
; %bb.100:                              ;   in Loop: Header=BB107_3 Depth=1
	ds_load_b32 v25, v5 offset:1560
	s_wait_dscnt 0x0
	v_mul_f32_e32 v24, v24, v25
	ds_store_b32 v35, v24
.LBB107_101:                            ;   in Loop: Header=BB107_3 Depth=1
	s_or_b32 exec_lo, exec_lo, s47
	s_wait_dscnt 0x0
	s_barrier_signal -1
	s_barrier_wait -1
	s_and_saveexec_b32 s47, s99
	s_cbranch_execz .LBB107_103
; %bb.102:                              ;   in Loop: Header=BB107_3 Depth=1
	ds_load_b32 v25, v5 offset:1564
	ds_load_b32 v26, v35
	s_wait_dscnt 0x0
	v_fmac_f32_e32 v24, v25, v26
.LBB107_103:                            ;   in Loop: Header=BB107_3 Depth=1
	s_or_b32 exec_lo, exec_lo, s47
	s_barrier_signal -1
	s_barrier_wait -1
	s_and_saveexec_b32 s47, s99
	s_cbranch_execz .LBB107_105
; %bb.104:                              ;   in Loop: Header=BB107_3 Depth=1
	ds_load_b32 v25, v5 offset:1820
	s_wait_dscnt 0x0
	v_mul_f32_e32 v24, v24, v25
	ds_store_b32 v35, v24
.LBB107_105:                            ;   in Loop: Header=BB107_3 Depth=1
	s_or_b32 exec_lo, exec_lo, s47
	s_wait_dscnt 0x0
	s_barrier_signal -1
	s_barrier_wait -1
	s_barrier_signal -1
	s_barrier_wait -1
	s_and_saveexec_b32 s47, s4
; %bb.106:                              ;   in Loop: Header=BB107_3 Depth=1
	v_xor_b32_e32 v24, 0x80000000, v24
	ds_store_b32 v36, v24 offset:16
; %bb.107:                              ;   in Loop: Header=BB107_3 Depth=1
	s_or_b32 exec_lo, exec_lo, s47
	s_wait_dscnt 0x0
	s_barrier_signal -1
	s_barrier_wait -1
	s_barrier_signal -1
	s_barrier_wait -1
	s_and_saveexec_b32 s47, s100
	s_cbranch_execz .LBB107_109
; %bb.108:                              ;   in Loop: Header=BB107_3 Depth=1
	ds_load_b32 v24, v51 offset:16
	s_wait_dscnt 0x0
	ds_store_b32 v52, v24 offset:1024
	ds_load_b32 v24, v51 offset:20
	s_wait_dscnt 0x0
	ds_store_b32 v52, v24 offset:1280
	;; [unrolled: 3-line block ×4, first 2 shown]
.LBB107_109:                            ;   in Loop: Header=BB107_3 Depth=1
	s_or_b32 exec_lo, exec_lo, s47
	s_wait_dscnt 0x0
	s_barrier_signal -1
	s_barrier_wait -1
	s_and_saveexec_b32 s47, s15
	s_cbranch_execz .LBB107_111
; %bb.110:                              ;   in Loop: Header=BB107_3 Depth=1
	ds_load_b64 v[24:25], v5 offset:1040
	ds_load_b32 v26, v5 offset:1300
	s_wait_dscnt 0x0
	v_mul_f32_e32 v24, v24, v26
	s_delay_alu instid0(VALU_DEP_1)
	v_mul_f32_e32 v24, v25, v24
	v_add_nc_u32_e64 v25, 0x400, 0
	ds_store_2addr_b32 v25, v24, v24 offset0:5 offset1:68
.LBB107_111:                            ;   in Loop: Header=BB107_3 Depth=1
	s_or_b32 exec_lo, exec_lo, s47
	v_mov_b32_e32 v24, 0
	s_wait_dscnt 0x0
	s_barrier_signal -1
	s_barrier_wait -1
	s_and_saveexec_b32 s47, s2
	s_cbranch_execz .LBB107_115
; %bb.112:                              ;   in Loop: Header=BB107_3 Depth=1
	ds_load_b32 v24, v65 offset:1048
	ds_load_b32 v25, v29 offset:1040
	s_wait_dscnt 0x0
	v_fma_f32 v24, v24, v25, 0
	s_and_saveexec_b32 s48, s16
	s_cbranch_execz .LBB107_114
; %bb.113:                              ;   in Loop: Header=BB107_3 Depth=1
	ds_load_b32 v25, v52 offset:1304
	ds_load_b32 v26, v5 offset:1044
	s_wait_dscnt 0x0
	v_fmac_f32_e32 v24, v25, v26
.LBB107_114:                            ;   in Loop: Header=BB107_3 Depth=1
	s_or_b32 exec_lo, exec_lo, s48
	s_delay_alu instid0(VALU_DEP_1)
	v_xor_b32_e32 v24, 0x80000000, v24
.LBB107_115:                            ;   in Loop: Header=BB107_3 Depth=1
	s_or_b32 exec_lo, exec_lo, s47
	s_and_saveexec_b32 s47, s91
	s_cbranch_execz .LBB107_117
; %bb.116:                              ;   in Loop: Header=BB107_3 Depth=1
	ds_load_b32 v25, v5 offset:1560
	s_wait_dscnt 0x0
	v_mul_f32_e32 v24, v24, v25
	ds_store_b32 v3, v24
.LBB107_117:                            ;   in Loop: Header=BB107_3 Depth=1
	s_or_b32 exec_lo, exec_lo, s47
	s_wait_dscnt 0x0
	s_barrier_signal -1
	s_barrier_wait -1
	s_and_saveexec_b32 s47, s92
	s_cbranch_execz .LBB107_119
; %bb.118:                              ;   in Loop: Header=BB107_3 Depth=1
	ds_load_b32 v25, v5 offset:1564
	ds_load_b32 v26, v3
	s_wait_dscnt 0x0
	v_fmac_f32_e32 v24, v25, v26
.LBB107_119:                            ;   in Loop: Header=BB107_3 Depth=1
	s_or_b32 exec_lo, exec_lo, s47
	s_barrier_signal -1
	s_barrier_wait -1
	s_and_saveexec_b32 s47, s92
	s_cbranch_execz .LBB107_121
; %bb.120:                              ;   in Loop: Header=BB107_3 Depth=1
	ds_load_b32 v25, v5 offset:1820
	s_wait_dscnt 0x0
	v_mul_f32_e32 v24, v24, v25
	ds_store_b32 v3, v24
.LBB107_121:                            ;   in Loop: Header=BB107_3 Depth=1
	s_or_b32 exec_lo, exec_lo, s47
	s_wait_dscnt 0x0
	s_barrier_signal -1
	s_barrier_wait -1
	s_barrier_signal -1
	s_barrier_wait -1
	s_and_saveexec_b32 s47, s2
; %bb.122:                              ;   in Loop: Header=BB107_3 Depth=1
	v_xor_b32_e32 v24, 0x80000000, v24
	ds_store_b32 v65, v24 offset:1048
; %bb.123:                              ;   in Loop: Header=BB107_3 Depth=1
	s_or_b32 exec_lo, exec_lo, s47
	s_wait_dscnt 0x0
	s_barrier_signal -1
	s_barrier_wait -1
	s_barrier_signal -1
	s_barrier_wait -1
	s_and_saveexec_b32 s47, s93
	s_cbranch_execz .LBB107_125
; %bb.124:                              ;   in Loop: Header=BB107_3 Depth=1
	ds_load_b32 v24, v53 offset:1048
	s_wait_dscnt 0x0
	ds_store_b32 v52, v24 offset:1552
	ds_load_b32 v24, v53 offset:1052
	s_wait_dscnt 0x0
	ds_store_b32 v52, v24 offset:1808
.LBB107_125:                            ;   in Loop: Header=BB107_3 Depth=1
	s_or_b32 exec_lo, exec_lo, s47
	s_wait_dscnt 0x0
	s_barrier_signal -1
	s_barrier_wait -1
	s_and_saveexec_b32 s47, s15
	s_cbranch_execz .LBB107_127
; %bb.126:                              ;   in Loop: Header=BB107_3 Depth=1
	ds_load_b64 v[24:25], v5 offset:1560
	ds_load_b32 v26, v5 offset:1820
	s_wait_dscnt 0x0
	v_mul_f32_e32 v24, v24, v26
	s_delay_alu instid0(VALU_DEP_1)
	v_mul_f32_e32 v24, v25, v24
	v_add_nc_u32_e64 v25, 0x400, 0
	ds_store_2addr_b32 v25, v24, v24 offset0:135 offset1:198
.LBB107_127:                            ;   in Loop: Header=BB107_3 Depth=1
	s_or_b32 exec_lo, exec_lo, s47
	v_mov_b32_e32 v24, 0
	s_wait_dscnt 0x0
	s_barrier_signal -1
	s_barrier_wait -1
	s_and_saveexec_b32 s47, s5
	s_cbranch_execz .LBB107_137
; %bb.128:                              ;   in Loop: Header=BB107_3 Depth=1
	ds_load_b32 v24, v42 offset:32
	ds_load_b32 v25, v39
	s_wait_dscnt 0x0
	v_fma_f32 v24, v24, v25, 0
	s_and_saveexec_b32 s48, s19
	s_cbranch_execnz .LBB107_1209
; %bb.129:                              ;   in Loop: Header=BB107_3 Depth=1
	s_or_b32 exec_lo, exec_lo, s48
	s_and_saveexec_b32 s48, s20
	s_cbranch_execnz .LBB107_1210
.LBB107_130:                            ;   in Loop: Header=BB107_3 Depth=1
	s_or_b32 exec_lo, exec_lo, s48
	s_and_saveexec_b32 s48, s21
	s_cbranch_execnz .LBB107_1211
.LBB107_131:                            ;   in Loop: Header=BB107_3 Depth=1
	s_or_b32 exec_lo, exec_lo, s48
	s_and_saveexec_b32 s48, s22
	s_cbranch_execnz .LBB107_1212
.LBB107_132:                            ;   in Loop: Header=BB107_3 Depth=1
	s_or_b32 exec_lo, exec_lo, s48
	s_and_saveexec_b32 s48, s23
	s_cbranch_execnz .LBB107_1213
.LBB107_133:                            ;   in Loop: Header=BB107_3 Depth=1
	s_or_b32 exec_lo, exec_lo, s48
	s_and_saveexec_b32 s48, s4
	s_cbranch_execnz .LBB107_1214
.LBB107_134:                            ;   in Loop: Header=BB107_3 Depth=1
	s_or_b32 exec_lo, exec_lo, s48
	s_and_saveexec_b32 s48, s18
	s_cbranch_execz .LBB107_136
.LBB107_135:                            ;   in Loop: Header=BB107_3 Depth=1
	ds_load_b32 v25, v54 offset:1824
	ds_load_b32 v26, v5 offset:28
	s_wait_dscnt 0x0
	v_fmac_f32_e32 v24, v25, v26
.LBB107_136:                            ;   in Loop: Header=BB107_3 Depth=1
	s_or_b32 exec_lo, exec_lo, s48
	s_delay_alu instid0(VALU_DEP_1)
	v_xor_b32_e32 v24, 0x80000000, v24
.LBB107_137:                            ;   in Loop: Header=BB107_3 Depth=1
	s_or_b32 exec_lo, exec_lo, s47
	s_and_saveexec_b32 s47, s101
	s_cbranch_execz .LBB107_139
; %bb.138:                              ;   in Loop: Header=BB107_3 Depth=1
	ds_load_b32 v25, v5 offset:2080
	s_wait_dscnt 0x0
	v_mul_f32_e32 v24, v24, v25
	ds_store_b32 v41, v24
.LBB107_139:                            ;   in Loop: Header=BB107_3 Depth=1
	s_or_b32 exec_lo, exec_lo, s47
	s_wait_dscnt 0x0
	s_barrier_signal -1
	s_barrier_wait -1
	s_and_saveexec_b32 s47, s102
	s_cbranch_execz .LBB107_141
; %bb.140:                              ;   in Loop: Header=BB107_3 Depth=1
	ds_load_b32 v25, v40 offset:2080
	ds_load_b32 v26, v41
	s_wait_dscnt 0x0
	v_fmac_f32_e32 v24, v25, v26
.LBB107_141:                            ;   in Loop: Header=BB107_3 Depth=1
	s_or_b32 exec_lo, exec_lo, s47
	s_barrier_signal -1
	s_barrier_wait -1
	s_and_saveexec_b32 s47, s103
	s_cbranch_execz .LBB107_143
; %bb.142:                              ;   in Loop: Header=BB107_3 Depth=1
	ds_load_b32 v25, v5 offset:2340
	s_wait_dscnt 0x0
	v_mul_f32_e32 v24, v24, v25
	ds_store_b32 v41, v24
.LBB107_143:                            ;   in Loop: Header=BB107_3 Depth=1
	s_or_b32 exec_lo, exec_lo, s47
	s_wait_dscnt 0x0
	s_barrier_signal -1
	s_barrier_wait -1
	s_and_saveexec_b32 s47, s104
	s_cbranch_execz .LBB107_145
; %bb.144:                              ;   in Loop: Header=BB107_3 Depth=1
	ds_load_b32 v25, v40 offset:2336
	ds_load_b32 v26, v41
	s_wait_dscnt 0x0
	v_fmac_f32_e32 v24, v25, v26
.LBB107_145:                            ;   in Loop: Header=BB107_3 Depth=1
	s_or_b32 exec_lo, exec_lo, s47
	s_barrier_signal -1
	s_barrier_wait -1
	s_and_saveexec_b32 s47, vcc_hi
	s_cbranch_execz .LBB107_147
; %bb.146:                              ;   in Loop: Header=BB107_3 Depth=1
	ds_load_b32 v25, v5 offset:2600
	s_wait_dscnt 0x0
	v_mul_f32_e32 v24, v24, v25
	ds_store_b32 v41, v24
.LBB107_147:                            ;   in Loop: Header=BB107_3 Depth=1
	s_or_b32 exec_lo, exec_lo, s47
	s_wait_dscnt 0x0
	s_barrier_signal -1
	s_barrier_wait -1
	s_and_saveexec_b32 s47, s36
	s_cbranch_execz .LBB107_149
; %bb.148:                              ;   in Loop: Header=BB107_3 Depth=1
	ds_load_b32 v25, v40 offset:2592
	ds_load_b32 v26, v41
	s_wait_dscnt 0x0
	v_fmac_f32_e32 v24, v25, v26
.LBB107_149:                            ;   in Loop: Header=BB107_3 Depth=1
	s_or_b32 exec_lo, exec_lo, s47
	s_barrier_signal -1
	s_barrier_wait -1
	s_and_saveexec_b32 s47, s37
	s_cbranch_execz .LBB107_151
; %bb.150:                              ;   in Loop: Header=BB107_3 Depth=1
	ds_load_b32 v25, v5 offset:2860
	s_wait_dscnt 0x0
	v_mul_f32_e32 v24, v24, v25
	ds_store_b32 v41, v24
.LBB107_151:                            ;   in Loop: Header=BB107_3 Depth=1
	s_or_b32 exec_lo, exec_lo, s47
	s_wait_dscnt 0x0
	s_barrier_signal -1
	s_barrier_wait -1
	s_and_saveexec_b32 s47, s38
	s_cbranch_execz .LBB107_153
; %bb.152:                              ;   in Loop: Header=BB107_3 Depth=1
	ds_load_b32 v25, v40 offset:2848
	ds_load_b32 v26, v41
	s_wait_dscnt 0x0
	v_fmac_f32_e32 v24, v25, v26
.LBB107_153:                            ;   in Loop: Header=BB107_3 Depth=1
	s_or_b32 exec_lo, exec_lo, s47
	s_barrier_signal -1
	s_barrier_wait -1
	s_and_saveexec_b32 s47, s39
	;; [unrolled: 23-line block ×5, first 2 shown]
	s_cbranch_execz .LBB107_167
; %bb.166:                              ;   in Loop: Header=BB107_3 Depth=1
	ds_load_b32 v25, v5 offset:3900
	s_wait_dscnt 0x0
	v_mul_f32_e32 v24, v24, v25
	ds_store_b32 v41, v24
.LBB107_167:                            ;   in Loop: Header=BB107_3 Depth=1
	s_or_b32 exec_lo, exec_lo, s47
	s_wait_dscnt 0x0
	s_barrier_signal -1
	s_barrier_wait -1
	s_barrier_signal -1
	s_barrier_wait -1
	s_and_saveexec_b32 s47, s5
; %bb.168:                              ;   in Loop: Header=BB107_3 Depth=1
	v_xor_b32_e32 v24, 0x80000000, v24
	ds_store_b32 v42, v24 offset:32
; %bb.169:                              ;   in Loop: Header=BB107_3 Depth=1
	s_or_b32 exec_lo, exec_lo, s47
	s_wait_dscnt 0x0
	s_barrier_signal -1
	s_barrier_wait -1
	s_barrier_signal -1
	s_barrier_wait -1
	s_and_saveexec_b32 s47, s45
	s_cbranch_execz .LBB107_171
; %bb.170:                              ;   in Loop: Header=BB107_3 Depth=1
	ds_load_b32 v24, v55 offset:32
	s_wait_dscnt 0x0
	ds_store_b32 v56, v24 offset:2048
	ds_load_b32 v24, v55 offset:36
	s_wait_dscnt 0x0
	ds_store_b32 v56, v24 offset:2304
	;; [unrolled: 3-line block ×8, first 2 shown]
.LBB107_171:                            ;   in Loop: Header=BB107_3 Depth=1
	s_or_b32 exec_lo, exec_lo, s47
	s_wait_dscnt 0x0
	s_barrier_signal -1
	s_barrier_wait -1
	s_and_saveexec_b32 s47, s15
	s_cbranch_execz .LBB107_173
; %bb.172:                              ;   in Loop: Header=BB107_3 Depth=1
	ds_load_b64 v[24:25], v5 offset:2080
	ds_load_b32 v26, v5 offset:2340
	s_wait_dscnt 0x0
	v_mul_f32_e32 v24, v24, v26
	s_delay_alu instid0(VALU_DEP_1)
	v_mul_f32_e32 v24, v25, v24
	v_add_nc_u32_e64 v25, 0x800, 0
	ds_store_2addr_b32 v25, v24, v24 offset0:9 offset1:72
.LBB107_173:                            ;   in Loop: Header=BB107_3 Depth=1
	s_or_b32 exec_lo, exec_lo, s47
	v_mov_b32_e32 v24, 0
	s_wait_dscnt 0x0
	s_barrier_signal -1
	s_barrier_wait -1
	s_and_saveexec_b32 s47, s2
	s_cbranch_execz .LBB107_177
; %bb.174:                              ;   in Loop: Header=BB107_3 Depth=1
	ds_load_b32 v24, v65 offset:2088
	ds_load_b32 v25, v29 offset:2080
	s_wait_dscnt 0x0
	v_fma_f32 v24, v24, v25, 0
	s_and_saveexec_b32 s48, s16
	s_cbranch_execz .LBB107_176
; %bb.175:                              ;   in Loop: Header=BB107_3 Depth=1
	ds_load_b32 v25, v56 offset:2344
	ds_load_b32 v26, v5 offset:2084
	s_wait_dscnt 0x0
	v_fmac_f32_e32 v24, v25, v26
.LBB107_176:                            ;   in Loop: Header=BB107_3 Depth=1
	s_or_b32 exec_lo, exec_lo, s48
	s_delay_alu instid0(VALU_DEP_1)
	v_xor_b32_e32 v24, 0x80000000, v24
.LBB107_177:                            ;   in Loop: Header=BB107_3 Depth=1
	s_or_b32 exec_lo, exec_lo, s47
	s_and_saveexec_b32 s47, s91
	s_cbranch_execz .LBB107_179
; %bb.178:                              ;   in Loop: Header=BB107_3 Depth=1
	ds_load_b32 v25, v5 offset:2600
	s_wait_dscnt 0x0
	v_mul_f32_e32 v24, v24, v25
	ds_store_b32 v3, v24
.LBB107_179:                            ;   in Loop: Header=BB107_3 Depth=1
	s_or_b32 exec_lo, exec_lo, s47
	s_wait_dscnt 0x0
	s_barrier_signal -1
	s_barrier_wait -1
	s_and_saveexec_b32 s47, s92
	s_cbranch_execz .LBB107_181
; %bb.180:                              ;   in Loop: Header=BB107_3 Depth=1
	ds_load_b32 v25, v5 offset:2604
	ds_load_b32 v26, v3
	s_wait_dscnt 0x0
	v_fmac_f32_e32 v24, v25, v26
.LBB107_181:                            ;   in Loop: Header=BB107_3 Depth=1
	s_or_b32 exec_lo, exec_lo, s47
	s_barrier_signal -1
	s_barrier_wait -1
	s_and_saveexec_b32 s47, s92
	s_cbranch_execz .LBB107_183
; %bb.182:                              ;   in Loop: Header=BB107_3 Depth=1
	ds_load_b32 v25, v5 offset:2860
	s_wait_dscnt 0x0
	v_mul_f32_e32 v24, v24, v25
	ds_store_b32 v3, v24
.LBB107_183:                            ;   in Loop: Header=BB107_3 Depth=1
	s_or_b32 exec_lo, exec_lo, s47
	s_wait_dscnt 0x0
	s_barrier_signal -1
	s_barrier_wait -1
	s_barrier_signal -1
	s_barrier_wait -1
	s_and_saveexec_b32 s47, s2
; %bb.184:                              ;   in Loop: Header=BB107_3 Depth=1
	v_xor_b32_e32 v24, 0x80000000, v24
	ds_store_b32 v65, v24 offset:2088
; %bb.185:                              ;   in Loop: Header=BB107_3 Depth=1
	s_or_b32 exec_lo, exec_lo, s47
	s_wait_dscnt 0x0
	s_barrier_signal -1
	s_barrier_wait -1
	s_barrier_signal -1
	s_barrier_wait -1
	s_and_saveexec_b32 s47, s93
	s_cbranch_execz .LBB107_187
; %bb.186:                              ;   in Loop: Header=BB107_3 Depth=1
	ds_load_b32 v24, v57 offset:2088
	s_wait_dscnt 0x0
	ds_store_b32 v56, v24 offset:2592
	ds_load_b32 v24, v57 offset:2092
	s_wait_dscnt 0x0
	ds_store_b32 v56, v24 offset:2848
.LBB107_187:                            ;   in Loop: Header=BB107_3 Depth=1
	s_or_b32 exec_lo, exec_lo, s47
	s_wait_dscnt 0x0
	s_barrier_signal -1
	s_barrier_wait -1
	s_and_saveexec_b32 s47, s15
	s_cbranch_execz .LBB107_189
; %bb.188:                              ;   in Loop: Header=BB107_3 Depth=1
	ds_load_b64 v[24:25], v5 offset:2600
	ds_load_b32 v26, v5 offset:2860
	s_wait_dscnt 0x0
	v_mul_f32_e32 v24, v24, v26
	s_delay_alu instid0(VALU_DEP_1)
	v_mul_f32_e32 v24, v25, v24
	v_add_nc_u32_e64 v25, 0x800, 0
	ds_store_2addr_b32 v25, v24, v24 offset0:139 offset1:202
.LBB107_189:                            ;   in Loop: Header=BB107_3 Depth=1
	s_or_b32 exec_lo, exec_lo, s47
	v_mov_b32_e32 v24, 0
	s_wait_dscnt 0x0
	s_barrier_signal -1
	s_barrier_wait -1
	s_and_saveexec_b32 s47, s4
	s_cbranch_execz .LBB107_195
; %bb.190:                              ;   in Loop: Header=BB107_3 Depth=1
	ds_load_b32 v24, v36 offset:2096
	ds_load_b32 v25, v31 offset:2080
	s_wait_dscnt 0x0
	v_fma_f32 v24, v24, v25, 0
	s_and_saveexec_b32 s48, s17
	s_cbranch_execnz .LBB107_1215
; %bb.191:                              ;   in Loop: Header=BB107_3 Depth=1
	s_or_b32 exec_lo, exec_lo, s48
	s_and_saveexec_b32 s48, s18
	s_cbranch_execnz .LBB107_1216
.LBB107_192:                            ;   in Loop: Header=BB107_3 Depth=1
	s_or_b32 exec_lo, exec_lo, s48
	s_and_saveexec_b32 s48, s2
	s_cbranch_execz .LBB107_194
.LBB107_193:                            ;   in Loop: Header=BB107_3 Depth=1
	ds_load_b32 v25, v58 offset:2864
	ds_load_b32 v26, v5 offset:2092
	s_wait_dscnt 0x0
	v_fmac_f32_e32 v24, v25, v26
.LBB107_194:                            ;   in Loop: Header=BB107_3 Depth=1
	s_or_b32 exec_lo, exec_lo, s48
	s_delay_alu instid0(VALU_DEP_1)
	v_xor_b32_e32 v24, 0x80000000, v24
.LBB107_195:                            ;   in Loop: Header=BB107_3 Depth=1
	s_or_b32 exec_lo, exec_lo, s47
	s_and_saveexec_b32 s47, s94
	s_cbranch_execz .LBB107_197
; %bb.196:                              ;   in Loop: Header=BB107_3 Depth=1
	ds_load_b32 v25, v5 offset:3120
	s_wait_dscnt 0x0
	v_mul_f32_e32 v24, v24, v25
	ds_store_b32 v35, v24
.LBB107_197:                            ;   in Loop: Header=BB107_3 Depth=1
	s_or_b32 exec_lo, exec_lo, s47
	s_wait_dscnt 0x0
	s_barrier_signal -1
	s_barrier_wait -1
	s_and_saveexec_b32 s47, s95
	s_cbranch_execz .LBB107_199
; %bb.198:                              ;   in Loop: Header=BB107_3 Depth=1
	ds_load_b32 v25, v33 offset:3120
	ds_load_b32 v26, v35
	s_wait_dscnt 0x0
	v_fmac_f32_e32 v24, v25, v26
.LBB107_199:                            ;   in Loop: Header=BB107_3 Depth=1
	s_or_b32 exec_lo, exec_lo, s47
	s_barrier_signal -1
	s_barrier_wait -1
	s_and_saveexec_b32 s47, s96
	s_cbranch_execz .LBB107_201
; %bb.200:                              ;   in Loop: Header=BB107_3 Depth=1
	ds_load_b32 v25, v5 offset:3380
	s_wait_dscnt 0x0
	v_mul_f32_e32 v24, v24, v25
	ds_store_b32 v35, v24
.LBB107_201:                            ;   in Loop: Header=BB107_3 Depth=1
	s_or_b32 exec_lo, exec_lo, s47
	s_wait_dscnt 0x0
	s_barrier_signal -1
	s_barrier_wait -1
	s_and_saveexec_b32 s47, s97
	s_cbranch_execz .LBB107_203
; %bb.202:                              ;   in Loop: Header=BB107_3 Depth=1
	ds_load_b32 v25, v33 offset:3376
	ds_load_b32 v26, v35
	s_wait_dscnt 0x0
	v_fmac_f32_e32 v24, v25, v26
.LBB107_203:                            ;   in Loop: Header=BB107_3 Depth=1
	s_or_b32 exec_lo, exec_lo, s47
	s_barrier_signal -1
	s_barrier_wait -1
	;; [unrolled: 23-line block ×3, first 2 shown]
	s_and_saveexec_b32 s47, s99
	s_cbranch_execz .LBB107_209
; %bb.208:                              ;   in Loop: Header=BB107_3 Depth=1
	ds_load_b32 v25, v5 offset:3900
	s_wait_dscnt 0x0
	v_mul_f32_e32 v24, v24, v25
	ds_store_b32 v35, v24
.LBB107_209:                            ;   in Loop: Header=BB107_3 Depth=1
	s_or_b32 exec_lo, exec_lo, s47
	s_wait_dscnt 0x0
	s_barrier_signal -1
	s_barrier_wait -1
	s_barrier_signal -1
	s_barrier_wait -1
	s_and_saveexec_b32 s47, s4
; %bb.210:                              ;   in Loop: Header=BB107_3 Depth=1
	v_xor_b32_e32 v24, 0x80000000, v24
	ds_store_b32 v36, v24 offset:2096
; %bb.211:                              ;   in Loop: Header=BB107_3 Depth=1
	s_or_b32 exec_lo, exec_lo, s47
	s_wait_dscnt 0x0
	s_barrier_signal -1
	s_barrier_wait -1
	s_barrier_signal -1
	s_barrier_wait -1
	s_and_saveexec_b32 s47, s100
	s_cbranch_execz .LBB107_213
; %bb.212:                              ;   in Loop: Header=BB107_3 Depth=1
	ds_load_b32 v24, v59 offset:2096
	s_wait_dscnt 0x0
	ds_store_b32 v60, v24 offset:3104
	ds_load_b32 v24, v59 offset:2100
	s_wait_dscnt 0x0
	ds_store_b32 v60, v24 offset:3360
	;; [unrolled: 3-line block ×4, first 2 shown]
.LBB107_213:                            ;   in Loop: Header=BB107_3 Depth=1
	s_or_b32 exec_lo, exec_lo, s47
	s_wait_dscnt 0x0
	s_barrier_signal -1
	s_barrier_wait -1
	s_and_saveexec_b32 s47, s15
	s_cbranch_execz .LBB107_215
; %bb.214:                              ;   in Loop: Header=BB107_3 Depth=1
	ds_load_b64 v[24:25], v5 offset:3120
	ds_load_b32 v26, v5 offset:3380
	s_wait_dscnt 0x0
	v_mul_f32_e32 v24, v24, v26
	s_delay_alu instid0(VALU_DEP_1)
	v_mul_f32_e32 v24, v25, v24
	v_add_nc_u32_e64 v25, 0xc00, 0
	ds_store_2addr_b32 v25, v24, v24 offset0:13 offset1:76
.LBB107_215:                            ;   in Loop: Header=BB107_3 Depth=1
	s_or_b32 exec_lo, exec_lo, s47
	v_mov_b32_e32 v24, 0
	s_wait_dscnt 0x0
	s_barrier_signal -1
	s_barrier_wait -1
	s_and_saveexec_b32 s47, s2
	s_cbranch_execz .LBB107_219
; %bb.216:                              ;   in Loop: Header=BB107_3 Depth=1
	ds_load_b32 v24, v65 offset:3128
	ds_load_b32 v25, v29 offset:3120
	s_wait_dscnt 0x0
	v_fma_f32 v24, v24, v25, 0
	s_and_saveexec_b32 s48, s16
	s_cbranch_execz .LBB107_218
; %bb.217:                              ;   in Loop: Header=BB107_3 Depth=1
	ds_load_b32 v25, v60 offset:3384
	ds_load_b32 v26, v5 offset:3124
	s_wait_dscnt 0x0
	v_fmac_f32_e32 v24, v25, v26
.LBB107_218:                            ;   in Loop: Header=BB107_3 Depth=1
	s_or_b32 exec_lo, exec_lo, s48
	s_delay_alu instid0(VALU_DEP_1)
	v_xor_b32_e32 v24, 0x80000000, v24
.LBB107_219:                            ;   in Loop: Header=BB107_3 Depth=1
	s_or_b32 exec_lo, exec_lo, s47
	s_and_saveexec_b32 s47, s91
	s_cbranch_execz .LBB107_221
; %bb.220:                              ;   in Loop: Header=BB107_3 Depth=1
	ds_load_b32 v25, v5 offset:3640
	s_wait_dscnt 0x0
	v_mul_f32_e32 v24, v24, v25
	ds_store_b32 v3, v24
.LBB107_221:                            ;   in Loop: Header=BB107_3 Depth=1
	s_or_b32 exec_lo, exec_lo, s47
	s_wait_dscnt 0x0
	s_barrier_signal -1
	s_barrier_wait -1
	s_and_saveexec_b32 s47, s92
	s_cbranch_execz .LBB107_223
; %bb.222:                              ;   in Loop: Header=BB107_3 Depth=1
	ds_load_b32 v25, v5 offset:3644
	ds_load_b32 v26, v3
	s_wait_dscnt 0x0
	v_fmac_f32_e32 v24, v25, v26
.LBB107_223:                            ;   in Loop: Header=BB107_3 Depth=1
	s_or_b32 exec_lo, exec_lo, s47
	s_barrier_signal -1
	s_barrier_wait -1
	s_and_saveexec_b32 s47, s92
	s_cbranch_execz .LBB107_225
; %bb.224:                              ;   in Loop: Header=BB107_3 Depth=1
	ds_load_b32 v25, v5 offset:3900
	s_wait_dscnt 0x0
	v_mul_f32_e32 v24, v24, v25
	ds_store_b32 v3, v24
.LBB107_225:                            ;   in Loop: Header=BB107_3 Depth=1
	s_or_b32 exec_lo, exec_lo, s47
	s_wait_dscnt 0x0
	s_barrier_signal -1
	s_barrier_wait -1
	s_barrier_signal -1
	s_barrier_wait -1
	s_and_saveexec_b32 s47, s2
; %bb.226:                              ;   in Loop: Header=BB107_3 Depth=1
	v_xor_b32_e32 v24, 0x80000000, v24
	ds_store_b32 v65, v24 offset:3128
; %bb.227:                              ;   in Loop: Header=BB107_3 Depth=1
	s_or_b32 exec_lo, exec_lo, s47
	s_wait_dscnt 0x0
	s_barrier_signal -1
	s_barrier_wait -1
	s_barrier_signal -1
	s_barrier_wait -1
	s_and_saveexec_b32 s47, s93
	s_cbranch_execz .LBB107_229
; %bb.228:                              ;   in Loop: Header=BB107_3 Depth=1
	ds_load_b32 v24, v61 offset:3128
	s_wait_dscnt 0x0
	ds_store_b32 v60, v24 offset:3632
	ds_load_b32 v24, v61 offset:3132
	s_wait_dscnt 0x0
	ds_store_b32 v60, v24 offset:3888
.LBB107_229:                            ;   in Loop: Header=BB107_3 Depth=1
	s_or_b32 exec_lo, exec_lo, s47
	s_wait_dscnt 0x0
	s_barrier_signal -1
	s_barrier_wait -1
	s_and_saveexec_b32 s47, s15
	s_cbranch_execz .LBB107_231
; %bb.230:                              ;   in Loop: Header=BB107_3 Depth=1
	ds_load_b64 v[24:25], v5 offset:3640
	ds_load_b32 v26, v5 offset:3900
	s_wait_dscnt 0x0
	v_mul_f32_e32 v24, v24, v26
	s_delay_alu instid0(VALU_DEP_1)
	v_mul_f32_e32 v24, v25, v24
	v_add_nc_u32_e64 v25, 0xc00, 0
	ds_store_2addr_b32 v25, v24, v24 offset0:143 offset1:206
.LBB107_231:                            ;   in Loop: Header=BB107_3 Depth=1
	s_or_b32 exec_lo, exec_lo, s47
	v_mov_b32_e32 v24, 0
	s_wait_dscnt 0x0
	s_barrier_signal -1
	s_barrier_wait -1
	s_and_saveexec_b32 s47, s6
	s_cbranch_execz .LBB107_259
; %bb.232:                              ;   in Loop: Header=BB107_3 Depth=1
	ds_load_b32 v24, v47 offset:64
	ds_load_b32 v25, v44
	s_wait_dscnt 0x0
	v_fma_f32 v24, v24, v25, 0
	s_mov_b32 s48, exec_lo
	v_readlane_b32 s49, v91, 24
	s_and_b32 s49, s48, s49
	s_delay_alu instid0(SALU_CYCLE_1)
	s_mov_b32 exec_lo, s49
	s_cbranch_execz .LBB107_234
; %bb.233:                              ;   in Loop: Header=BB107_3 Depth=1
	ds_load_b32 v25, v48 offset:320
	ds_load_b32 v26, v44 offset:4
	s_wait_dscnt 0x0
	v_fmac_f32_e32 v24, v25, v26
.LBB107_234:                            ;   in Loop: Header=BB107_3 Depth=1
	s_or_b32 exec_lo, exec_lo, s48
	s_delay_alu instid0(SALU_CYCLE_1) | instskip(SKIP_2) | instid1(SALU_CYCLE_1)
	s_mov_b32 s48, exec_lo
	v_readlane_b32 s49, v91, 25
	s_and_b32 s49, s48, s49
	s_mov_b32 exec_lo, s49
	s_cbranch_execz .LBB107_236
; %bb.235:                              ;   in Loop: Header=BB107_3 Depth=1
	ds_load_b32 v25, v48 offset:576
	ds_load_b32 v26, v44 offset:8
	s_wait_dscnt 0x0
	v_fmac_f32_e32 v24, v25, v26
.LBB107_236:                            ;   in Loop: Header=BB107_3 Depth=1
	s_or_b32 exec_lo, exec_lo, s48
	s_delay_alu instid0(SALU_CYCLE_1) | instskip(SKIP_2) | instid1(SALU_CYCLE_1)
	s_mov_b32 s48, exec_lo
	v_readlane_b32 s49, v91, 26
	s_and_b32 s49, s48, s49
	s_mov_b32 exec_lo, s49
	s_cbranch_execz .LBB107_238
; %bb.237:                              ;   in Loop: Header=BB107_3 Depth=1
	ds_load_b32 v25, v48 offset:832
	ds_load_b32 v26, v44 offset:12
	s_wait_dscnt 0x0
	v_fmac_f32_e32 v24, v25, v26
.LBB107_238:                            ;   in Loop: Header=BB107_3 Depth=1
	s_or_b32 exec_lo, exec_lo, s48
	s_delay_alu instid0(SALU_CYCLE_1) | instskip(SKIP_2) | instid1(SALU_CYCLE_1)
	s_mov_b32 s48, exec_lo
	v_readlane_b32 s49, v91, 27
	s_and_b32 s49, s48, s49
	s_mov_b32 exec_lo, s49
	s_cbranch_execz .LBB107_240
; %bb.239:                              ;   in Loop: Header=BB107_3 Depth=1
	ds_load_b32 v25, v48 offset:1088
	ds_load_b32 v26, v44 offset:16
	s_wait_dscnt 0x0
	v_fmac_f32_e32 v24, v25, v26
.LBB107_240:                            ;   in Loop: Header=BB107_3 Depth=1
	s_or_b32 exec_lo, exec_lo, s48
	s_delay_alu instid0(SALU_CYCLE_1) | instskip(SKIP_2) | instid1(SALU_CYCLE_1)
	s_mov_b32 s48, exec_lo
	v_readlane_b32 s49, v91, 28
	s_and_b32 s49, s48, s49
	s_mov_b32 exec_lo, s49
	s_cbranch_execz .LBB107_242
; %bb.241:                              ;   in Loop: Header=BB107_3 Depth=1
	ds_load_b32 v25, v48 offset:1344
	ds_load_b32 v26, v44 offset:20
	s_wait_dscnt 0x0
	v_fmac_f32_e32 v24, v25, v26
.LBB107_242:                            ;   in Loop: Header=BB107_3 Depth=1
	s_or_b32 exec_lo, exec_lo, s48
	s_delay_alu instid0(SALU_CYCLE_1) | instskip(SKIP_2) | instid1(SALU_CYCLE_1)
	s_mov_b32 s48, exec_lo
	v_readlane_b32 s49, v91, 29
	s_and_b32 s49, s48, s49
	s_mov_b32 exec_lo, s49
	s_cbranch_execz .LBB107_244
; %bb.243:                              ;   in Loop: Header=BB107_3 Depth=1
	ds_load_b32 v25, v48 offset:1600
	ds_load_b32 v26, v44 offset:24
	s_wait_dscnt 0x0
	v_fmac_f32_e32 v24, v25, v26
.LBB107_244:                            ;   in Loop: Header=BB107_3 Depth=1
	s_or_b32 exec_lo, exec_lo, s48
	s_delay_alu instid0(SALU_CYCLE_1) | instskip(SKIP_2) | instid1(SALU_CYCLE_1)
	s_mov_b32 s48, exec_lo
	v_readlane_b32 s49, v91, 30
	s_and_b32 s49, s48, s49
	s_mov_b32 exec_lo, s49
	s_cbranch_execz .LBB107_246
; %bb.245:                              ;   in Loop: Header=BB107_3 Depth=1
	ds_load_b32 v25, v48 offset:1856
	ds_load_b32 v26, v44 offset:28
	s_wait_dscnt 0x0
	v_fmac_f32_e32 v24, v25, v26
.LBB107_246:                            ;   in Loop: Header=BB107_3 Depth=1
	s_or_b32 exec_lo, exec_lo, s48
	s_delay_alu instid0(SALU_CYCLE_1) | instskip(SKIP_2) | instid1(SALU_CYCLE_1)
	s_mov_b32 s48, exec_lo
	v_readlane_b32 s49, v91, 31
	s_and_b32 s49, s48, s49
	s_mov_b32 exec_lo, s49
	s_cbranch_execz .LBB107_248
; %bb.247:                              ;   in Loop: Header=BB107_3 Depth=1
	ds_load_b32 v25, v47 offset:2112
	ds_load_b32 v26, v44 offset:32
	s_wait_dscnt 0x0
	v_fmac_f32_e32 v24, v25, v26
.LBB107_248:                            ;   in Loop: Header=BB107_3 Depth=1
	s_or_b32 exec_lo, exec_lo, s48
	s_delay_alu instid0(SALU_CYCLE_1) | instskip(SKIP_2) | instid1(SALU_CYCLE_1)
	s_mov_b32 s48, exec_lo
	v_readlane_b32 s49, v90, 0
	s_and_b32 s49, s48, s49
	s_mov_b32 exec_lo, s49
	s_cbranch_execz .LBB107_250
; %bb.249:                              ;   in Loop: Header=BB107_3 Depth=1
	ds_load_b32 v25, v48 offset:2368
	ds_load_b32 v26, v44 offset:36
	s_wait_dscnt 0x0
	v_fmac_f32_e32 v24, v25, v26
.LBB107_250:                            ;   in Loop: Header=BB107_3 Depth=1
	s_or_b32 exec_lo, exec_lo, s48
	s_delay_alu instid0(SALU_CYCLE_1) | instskip(SKIP_2) | instid1(SALU_CYCLE_1)
	s_mov_b32 s48, exec_lo
	v_readlane_b32 s49, v90, 1
	s_and_b32 s49, s48, s49
	s_mov_b32 exec_lo, s49
	s_cbranch_execz .LBB107_252
; %bb.251:                              ;   in Loop: Header=BB107_3 Depth=1
	ds_load_b32 v25, v48 offset:2624
	ds_load_b32 v26, v44 offset:40
	s_wait_dscnt 0x0
	v_fmac_f32_e32 v24, v25, v26
.LBB107_252:                            ;   in Loop: Header=BB107_3 Depth=1
	s_or_b32 exec_lo, exec_lo, s48
	s_delay_alu instid0(SALU_CYCLE_1) | instskip(SKIP_2) | instid1(SALU_CYCLE_1)
	s_mov_b32 s48, exec_lo
	v_readlane_b32 s49, v90, 2
	s_and_b32 s49, s48, s49
	s_mov_b32 exec_lo, s49
	s_cbranch_execnz .LBB107_1217
; %bb.253:                              ;   in Loop: Header=BB107_3 Depth=1
	s_or_b32 exec_lo, exec_lo, s48
	s_and_saveexec_b32 s48, s5
	s_cbranch_execnz .LBB107_1218
.LBB107_254:                            ;   in Loop: Header=BB107_3 Depth=1
	s_or_b32 exec_lo, exec_lo, s48
	s_and_saveexec_b32 s48, s20
	s_cbranch_execnz .LBB107_1219
.LBB107_255:                            ;   in Loop: Header=BB107_3 Depth=1
	s_or_b32 exec_lo, exec_lo, s48
	s_and_saveexec_b32 s48, s22
	s_cbranch_execnz .LBB107_1220
.LBB107_256:                            ;   in Loop: Header=BB107_3 Depth=1
	s_or_b32 exec_lo, exec_lo, s48
	s_and_saveexec_b32 s48, s4
	s_cbranch_execz .LBB107_258
.LBB107_257:                            ;   in Loop: Header=BB107_3 Depth=1
	ds_load_b32 v25, v30 offset:3904
	ds_load_b32 v26, v5 offset:60
	s_wait_dscnt 0x0
	v_fmac_f32_e32 v24, v25, v26
.LBB107_258:                            ;   in Loop: Header=BB107_3 Depth=1
	s_or_b32 exec_lo, exec_lo, s48
	s_delay_alu instid0(VALU_DEP_1)
	v_xor_b32_e32 v24, 0x80000000, v24
.LBB107_259:                            ;   in Loop: Header=BB107_3 Depth=1
	s_or_b32 exec_lo, exec_lo, s47
	s_delay_alu instid0(SALU_CYCLE_1) | instskip(SKIP_2) | instid1(SALU_CYCLE_1)
	s_mov_b32 s47, exec_lo
	v_readlane_b32 s48, v93, 2
	s_and_b32 s48, s47, s48
	s_mov_b32 exec_lo, s48
	s_cbranch_execz .LBB107_261
; %bb.260:                              ;   in Loop: Header=BB107_3 Depth=1
	ds_load_b32 v25, v5 offset:4160
	s_wait_dscnt 0x0
	v_mul_f32_e32 v24, v24, v25
	ds_store_b32 v46, v24
.LBB107_261:                            ;   in Loop: Header=BB107_3 Depth=1
	s_or_b32 exec_lo, exec_lo, s47
	s_wait_dscnt 0x0
	s_barrier_signal -1
	s_barrier_wait -1
	s_mov_b32 s47, exec_lo
	v_readlane_b32 s48, v93, 3
	s_and_b32 s48, s47, s48
	s_delay_alu instid0(SALU_CYCLE_1)
	s_mov_b32 exec_lo, s48
	s_cbranch_execz .LBB107_263
; %bb.262:                              ;   in Loop: Header=BB107_3 Depth=1
	ds_load_b32 v25, v45 offset:4160
	ds_load_b32 v26, v46
	s_wait_dscnt 0x0
	v_fmac_f32_e32 v24, v25, v26
.LBB107_263:                            ;   in Loop: Header=BB107_3 Depth=1
	s_or_b32 exec_lo, exec_lo, s47
	s_barrier_signal -1
	s_barrier_wait -1
	s_mov_b32 s47, exec_lo
	v_readlane_b32 s48, v93, 4
	s_and_b32 s48, s47, s48
	s_delay_alu instid0(SALU_CYCLE_1)
	s_mov_b32 exec_lo, s48
	s_cbranch_execz .LBB107_265
; %bb.264:                              ;   in Loop: Header=BB107_3 Depth=1
	ds_load_b32 v25, v5 offset:4420
	s_wait_dscnt 0x0
	v_mul_f32_e32 v24, v24, v25
	ds_store_b32 v46, v24
.LBB107_265:                            ;   in Loop: Header=BB107_3 Depth=1
	s_or_b32 exec_lo, exec_lo, s47
	s_wait_dscnt 0x0
	s_barrier_signal -1
	s_barrier_wait -1
	s_mov_b32 s47, exec_lo
	v_readlane_b32 s48, v93, 5
	s_and_b32 s48, s47, s48
	s_delay_alu instid0(SALU_CYCLE_1)
	s_mov_b32 exec_lo, s48
	s_cbranch_execz .LBB107_267
; %bb.266:                              ;   in Loop: Header=BB107_3 Depth=1
	ds_load_b32 v25, v45 offset:4416
	ds_load_b32 v26, v46
	s_wait_dscnt 0x0
	v_fmac_f32_e32 v24, v25, v26
.LBB107_267:                            ;   in Loop: Header=BB107_3 Depth=1
	s_or_b32 exec_lo, exec_lo, s47
	s_barrier_signal -1
	s_barrier_wait -1
	s_mov_b32 s47, exec_lo
	v_readlane_b32 s48, v93, 6
	s_and_b32 s48, s47, s48
	s_delay_alu instid0(SALU_CYCLE_1)
	s_mov_b32 exec_lo, s48
	s_cbranch_execz .LBB107_269
; %bb.268:                              ;   in Loop: Header=BB107_3 Depth=1
	ds_load_b32 v25, v5 offset:4680
	s_wait_dscnt 0x0
	v_mul_f32_e32 v24, v24, v25
	ds_store_b32 v46, v24
.LBB107_269:                            ;   in Loop: Header=BB107_3 Depth=1
	s_or_b32 exec_lo, exec_lo, s47
	s_wait_dscnt 0x0
	s_barrier_signal -1
	s_barrier_wait -1
	s_mov_b32 s47, exec_lo
	v_readlane_b32 s48, v93, 7
	s_and_b32 s48, s47, s48
	s_delay_alu instid0(SALU_CYCLE_1)
	s_mov_b32 exec_lo, s48
	s_cbranch_execz .LBB107_271
; %bb.270:                              ;   in Loop: Header=BB107_3 Depth=1
	ds_load_b32 v25, v45 offset:4672
	ds_load_b32 v26, v46
	s_wait_dscnt 0x0
	v_fmac_f32_e32 v24, v25, v26
.LBB107_271:                            ;   in Loop: Header=BB107_3 Depth=1
	s_or_b32 exec_lo, exec_lo, s47
	s_barrier_signal -1
	s_barrier_wait -1
	s_and_saveexec_b32 s47, s52
	s_cbranch_execz .LBB107_273
; %bb.272:                              ;   in Loop: Header=BB107_3 Depth=1
	ds_load_b32 v25, v5 offset:4940
	s_wait_dscnt 0x0
	v_mul_f32_e32 v24, v24, v25
	ds_store_b32 v46, v24
.LBB107_273:                            ;   in Loop: Header=BB107_3 Depth=1
	s_or_b32 exec_lo, exec_lo, s47
	s_wait_dscnt 0x0
	s_barrier_signal -1
	s_barrier_wait -1
	s_and_saveexec_b32 s47, s53
	s_cbranch_execz .LBB107_275
; %bb.274:                              ;   in Loop: Header=BB107_3 Depth=1
	ds_load_b32 v25, v45 offset:4928
	ds_load_b32 v26, v46
	s_wait_dscnt 0x0
	v_fmac_f32_e32 v24, v25, v26
.LBB107_275:                            ;   in Loop: Header=BB107_3 Depth=1
	s_or_b32 exec_lo, exec_lo, s47
	s_barrier_signal -1
	s_barrier_wait -1
	s_and_saveexec_b32 s47, s54
	s_cbranch_execz .LBB107_277
; %bb.276:                              ;   in Loop: Header=BB107_3 Depth=1
	ds_load_b32 v25, v5 offset:5200
	s_wait_dscnt 0x0
	v_mul_f32_e32 v24, v24, v25
	ds_store_b32 v46, v24
.LBB107_277:                            ;   in Loop: Header=BB107_3 Depth=1
	s_or_b32 exec_lo, exec_lo, s47
	s_wait_dscnt 0x0
	s_barrier_signal -1
	s_barrier_wait -1
	s_and_saveexec_b32 s47, s55
	;; [unrolled: 23-line block ×12, first 2 shown]
	s_cbranch_execz .LBB107_319
; %bb.318:                              ;   in Loop: Header=BB107_3 Depth=1
	ds_load_b32 v25, v5 offset:7804
	ds_load_b32 v26, v46
	s_wait_dscnt 0x0
	v_fmac_f32_e32 v24, v25, v26
.LBB107_319:                            ;   in Loop: Header=BB107_3 Depth=1
	s_or_b32 exec_lo, exec_lo, s47
	s_barrier_signal -1
	s_barrier_wait -1
	s_and_saveexec_b32 s47, s65
	s_cbranch_execz .LBB107_321
; %bb.320:                              ;   in Loop: Header=BB107_3 Depth=1
	ds_load_b32 v25, v5 offset:8060
	s_wait_dscnt 0x0
	v_mul_f32_e32 v24, v24, v25
	ds_store_b32 v46, v24
.LBB107_321:                            ;   in Loop: Header=BB107_3 Depth=1
	s_or_b32 exec_lo, exec_lo, s47
	s_wait_dscnt 0x0
	s_barrier_signal -1
	s_barrier_wait -1
	s_barrier_signal -1
	s_barrier_wait -1
	s_and_saveexec_b32 s47, s6
; %bb.322:                              ;   in Loop: Header=BB107_3 Depth=1
	v_xor_b32_e32 v24, 0x80000000, v24
	ds_store_b32 v47, v24 offset:64
; %bb.323:                              ;   in Loop: Header=BB107_3 Depth=1
	s_or_b32 exec_lo, exec_lo, s47
	s_wait_dscnt 0x0
	s_barrier_signal -1
	s_barrier_wait -1
	s_barrier_signal -1
	s_barrier_wait -1
	s_and_saveexec_b32 s47, s89
	s_cbranch_execz .LBB107_325
; %bb.324:                              ;   in Loop: Header=BB107_3 Depth=1
	ds_load_b32 v24, v34 offset:64
	s_wait_dscnt 0x0
	ds_store_b32 v38, v24 offset:4096
	ds_load_b32 v24, v34 offset:68
	s_wait_dscnt 0x0
	ds_store_b32 v38, v24 offset:4352
	;; [unrolled: 3-line block ×16, first 2 shown]
.LBB107_325:                            ;   in Loop: Header=BB107_3 Depth=1
	s_or_b32 exec_lo, exec_lo, s47
	s_wait_dscnt 0x0
	s_barrier_signal -1
	s_barrier_wait -1
	s_and_saveexec_b32 s47, s15
	s_cbranch_execz .LBB107_327
; %bb.326:                              ;   in Loop: Header=BB107_3 Depth=1
	ds_load_b64 v[24:25], v5 offset:4160
	ds_load_b32 v26, v5 offset:4420
	s_wait_dscnt 0x0
	v_mul_f32_e32 v24, v24, v26
	s_delay_alu instid0(VALU_DEP_1)
	v_mul_f32_e32 v24, v25, v24
	v_add_nc_u32_e64 v25, 0x1000, 0
	ds_store_2addr_b32 v25, v24, v24 offset0:17 offset1:80
.LBB107_327:                            ;   in Loop: Header=BB107_3 Depth=1
	s_or_b32 exec_lo, exec_lo, s47
	v_mov_b32_e32 v24, 0
	s_wait_dscnt 0x0
	s_barrier_signal -1
	s_barrier_wait -1
	s_and_saveexec_b32 s47, s2
	s_cbranch_execz .LBB107_331
; %bb.328:                              ;   in Loop: Header=BB107_3 Depth=1
	ds_load_b32 v24, v65 offset:4168
	ds_load_b32 v25, v29 offset:4160
	s_wait_dscnt 0x0
	v_fma_f32 v24, v24, v25, 0
	s_and_saveexec_b32 s48, s16
	s_cbranch_execz .LBB107_330
; %bb.329:                              ;   in Loop: Header=BB107_3 Depth=1
	ds_load_b32 v25, v30 offset:4424
	ds_load_b32 v26, v5 offset:4164
	s_wait_dscnt 0x0
	v_fmac_f32_e32 v24, v25, v26
.LBB107_330:                            ;   in Loop: Header=BB107_3 Depth=1
	s_or_b32 exec_lo, exec_lo, s48
	s_delay_alu instid0(VALU_DEP_1)
	v_xor_b32_e32 v24, 0x80000000, v24
.LBB107_331:                            ;   in Loop: Header=BB107_3 Depth=1
	s_or_b32 exec_lo, exec_lo, s47
	s_and_saveexec_b32 s47, s91
	s_cbranch_execz .LBB107_333
; %bb.332:                              ;   in Loop: Header=BB107_3 Depth=1
	ds_load_b32 v25, v5 offset:4680
	s_wait_dscnt 0x0
	v_mul_f32_e32 v24, v24, v25
	ds_store_b32 v3, v24
.LBB107_333:                            ;   in Loop: Header=BB107_3 Depth=1
	s_or_b32 exec_lo, exec_lo, s47
	s_wait_dscnt 0x0
	s_barrier_signal -1
	s_barrier_wait -1
	s_and_saveexec_b32 s47, s92
	s_cbranch_execz .LBB107_335
; %bb.334:                              ;   in Loop: Header=BB107_3 Depth=1
	ds_load_b32 v25, v5 offset:4684
	ds_load_b32 v26, v3
	s_wait_dscnt 0x0
	v_fmac_f32_e32 v24, v25, v26
.LBB107_335:                            ;   in Loop: Header=BB107_3 Depth=1
	s_or_b32 exec_lo, exec_lo, s47
	s_barrier_signal -1
	s_barrier_wait -1
	s_and_saveexec_b32 s47, s92
	s_cbranch_execz .LBB107_337
; %bb.336:                              ;   in Loop: Header=BB107_3 Depth=1
	ds_load_b32 v25, v5 offset:4940
	s_wait_dscnt 0x0
	v_mul_f32_e32 v24, v24, v25
	ds_store_b32 v3, v24
.LBB107_337:                            ;   in Loop: Header=BB107_3 Depth=1
	s_or_b32 exec_lo, exec_lo, s47
	s_wait_dscnt 0x0
	s_barrier_signal -1
	s_barrier_wait -1
	s_barrier_signal -1
	s_barrier_wait -1
	s_and_saveexec_b32 s47, s2
; %bb.338:                              ;   in Loop: Header=BB107_3 Depth=1
	v_xor_b32_e32 v24, 0x80000000, v24
	ds_store_b32 v65, v24 offset:4168
; %bb.339:                              ;   in Loop: Header=BB107_3 Depth=1
	s_or_b32 exec_lo, exec_lo, s47
	s_wait_dscnt 0x0
	s_barrier_signal -1
	s_barrier_wait -1
	s_barrier_signal -1
	s_barrier_wait -1
	s_and_saveexec_b32 s47, s93
	s_cbranch_execz .LBB107_341
; %bb.340:                              ;   in Loop: Header=BB107_3 Depth=1
	ds_load_b32 v24, v34 offset:4168
	s_wait_dscnt 0x0
	ds_store_b32 v30, v24 offset:4672
	ds_load_b32 v24, v34 offset:4172
	s_wait_dscnt 0x0
	ds_store_b32 v30, v24 offset:4928
.LBB107_341:                            ;   in Loop: Header=BB107_3 Depth=1
	s_or_b32 exec_lo, exec_lo, s47
	s_wait_dscnt 0x0
	s_barrier_signal -1
	s_barrier_wait -1
	s_and_saveexec_b32 s47, s15
	s_cbranch_execz .LBB107_343
; %bb.342:                              ;   in Loop: Header=BB107_3 Depth=1
	ds_load_b64 v[24:25], v5 offset:4680
	ds_load_b32 v26, v5 offset:4940
	s_wait_dscnt 0x0
	v_mul_f32_e32 v24, v24, v26
	s_delay_alu instid0(VALU_DEP_1)
	v_mul_f32_e32 v24, v25, v24
	v_add_nc_u32_e64 v25, 0x1000, 0
	ds_store_2addr_b32 v25, v24, v24 offset0:147 offset1:210
.LBB107_343:                            ;   in Loop: Header=BB107_3 Depth=1
	s_or_b32 exec_lo, exec_lo, s47
	v_mov_b32_e32 v24, 0
	s_wait_dscnt 0x0
	s_barrier_signal -1
	s_barrier_wait -1
	s_and_saveexec_b32 s47, s4
	s_cbranch_execz .LBB107_349
; %bb.344:                              ;   in Loop: Header=BB107_3 Depth=1
	ds_load_b32 v24, v36 offset:4176
	ds_load_b32 v25, v31 offset:4160
	s_wait_dscnt 0x0
	v_fma_f32 v24, v24, v25, 0
	s_and_saveexec_b32 s48, s17
	s_cbranch_execnz .LBB107_1221
; %bb.345:                              ;   in Loop: Header=BB107_3 Depth=1
	s_or_b32 exec_lo, exec_lo, s48
	s_and_saveexec_b32 s48, s18
	s_cbranch_execnz .LBB107_1222
.LBB107_346:                            ;   in Loop: Header=BB107_3 Depth=1
	s_or_b32 exec_lo, exec_lo, s48
	s_and_saveexec_b32 s48, s2
	s_cbranch_execz .LBB107_348
.LBB107_347:                            ;   in Loop: Header=BB107_3 Depth=1
	ds_load_b32 v25, v38 offset:4944
	ds_load_b32 v26, v5 offset:4172
	s_wait_dscnt 0x0
	v_fmac_f32_e32 v24, v25, v26
.LBB107_348:                            ;   in Loop: Header=BB107_3 Depth=1
	s_or_b32 exec_lo, exec_lo, s48
	s_delay_alu instid0(VALU_DEP_1)
	v_xor_b32_e32 v24, 0x80000000, v24
.LBB107_349:                            ;   in Loop: Header=BB107_3 Depth=1
	s_or_b32 exec_lo, exec_lo, s47
	s_and_saveexec_b32 s47, s94
	s_cbranch_execz .LBB107_351
; %bb.350:                              ;   in Loop: Header=BB107_3 Depth=1
	ds_load_b32 v25, v5 offset:5200
	s_wait_dscnt 0x0
	v_mul_f32_e32 v24, v24, v25
	ds_store_b32 v35, v24
.LBB107_351:                            ;   in Loop: Header=BB107_3 Depth=1
	s_or_b32 exec_lo, exec_lo, s47
	s_wait_dscnt 0x0
	s_barrier_signal -1
	s_barrier_wait -1
	s_and_saveexec_b32 s47, s95
	s_cbranch_execz .LBB107_353
; %bb.352:                              ;   in Loop: Header=BB107_3 Depth=1
	ds_load_b32 v25, v33 offset:5200
	ds_load_b32 v26, v35
	s_wait_dscnt 0x0
	v_fmac_f32_e32 v24, v25, v26
.LBB107_353:                            ;   in Loop: Header=BB107_3 Depth=1
	s_or_b32 exec_lo, exec_lo, s47
	s_barrier_signal -1
	s_barrier_wait -1
	s_and_saveexec_b32 s47, s96
	s_cbranch_execz .LBB107_355
; %bb.354:                              ;   in Loop: Header=BB107_3 Depth=1
	ds_load_b32 v25, v5 offset:5460
	s_wait_dscnt 0x0
	v_mul_f32_e32 v24, v24, v25
	ds_store_b32 v35, v24
.LBB107_355:                            ;   in Loop: Header=BB107_3 Depth=1
	s_or_b32 exec_lo, exec_lo, s47
	s_wait_dscnt 0x0
	s_barrier_signal -1
	s_barrier_wait -1
	s_and_saveexec_b32 s47, s97
	s_cbranch_execz .LBB107_357
; %bb.356:                              ;   in Loop: Header=BB107_3 Depth=1
	ds_load_b32 v25, v33 offset:5456
	ds_load_b32 v26, v35
	s_wait_dscnt 0x0
	v_fmac_f32_e32 v24, v25, v26
.LBB107_357:                            ;   in Loop: Header=BB107_3 Depth=1
	s_or_b32 exec_lo, exec_lo, s47
	s_barrier_signal -1
	s_barrier_wait -1
	;; [unrolled: 23-line block ×3, first 2 shown]
	s_and_saveexec_b32 s47, s99
	s_cbranch_execz .LBB107_363
; %bb.362:                              ;   in Loop: Header=BB107_3 Depth=1
	ds_load_b32 v25, v5 offset:5980
	s_wait_dscnt 0x0
	v_mul_f32_e32 v24, v24, v25
	ds_store_b32 v35, v24
.LBB107_363:                            ;   in Loop: Header=BB107_3 Depth=1
	s_or_b32 exec_lo, exec_lo, s47
	s_wait_dscnt 0x0
	s_barrier_signal -1
	s_barrier_wait -1
	s_barrier_signal -1
	s_barrier_wait -1
	s_and_saveexec_b32 s47, s4
; %bb.364:                              ;   in Loop: Header=BB107_3 Depth=1
	v_xor_b32_e32 v24, 0x80000000, v24
	ds_store_b32 v36, v24 offset:4176
; %bb.365:                              ;   in Loop: Header=BB107_3 Depth=1
	s_or_b32 exec_lo, exec_lo, s47
	s_wait_dscnt 0x0
	s_barrier_signal -1
	s_barrier_wait -1
	s_barrier_signal -1
	s_barrier_wait -1
	s_and_saveexec_b32 s47, s100
	s_cbranch_execz .LBB107_367
; %bb.366:                              ;   in Loop: Header=BB107_3 Depth=1
	ds_load_b32 v24, v51 offset:4176
	s_wait_dscnt 0x0
	ds_store_b32 v52, v24 offset:5184
	ds_load_b32 v24, v51 offset:4180
	s_wait_dscnt 0x0
	ds_store_b32 v52, v24 offset:5440
	;; [unrolled: 3-line block ×4, first 2 shown]
.LBB107_367:                            ;   in Loop: Header=BB107_3 Depth=1
	s_or_b32 exec_lo, exec_lo, s47
	s_wait_dscnt 0x0
	s_barrier_signal -1
	s_barrier_wait -1
	s_and_saveexec_b32 s47, s15
	s_cbranch_execz .LBB107_369
; %bb.368:                              ;   in Loop: Header=BB107_3 Depth=1
	ds_load_b64 v[24:25], v5 offset:5200
	ds_load_b32 v26, v5 offset:5460
	s_wait_dscnt 0x0
	v_mul_f32_e32 v24, v24, v26
	s_delay_alu instid0(VALU_DEP_1)
	v_mul_f32_e32 v24, v25, v24
	v_add_nc_u32_e64 v25, 0x1400, 0
	ds_store_2addr_b32 v25, v24, v24 offset0:21 offset1:84
.LBB107_369:                            ;   in Loop: Header=BB107_3 Depth=1
	s_or_b32 exec_lo, exec_lo, s47
	v_mov_b32_e32 v24, 0
	s_wait_dscnt 0x0
	s_barrier_signal -1
	s_barrier_wait -1
	s_and_saveexec_b32 s47, s2
	s_cbranch_execz .LBB107_373
; %bb.370:                              ;   in Loop: Header=BB107_3 Depth=1
	ds_load_b32 v24, v65 offset:5208
	ds_load_b32 v25, v29 offset:5200
	s_wait_dscnt 0x0
	v_fma_f32 v24, v24, v25, 0
	s_and_saveexec_b32 s48, s16
	s_cbranch_execz .LBB107_372
; %bb.371:                              ;   in Loop: Header=BB107_3 Depth=1
	ds_load_b32 v25, v52 offset:5464
	ds_load_b32 v26, v5 offset:5204
	s_wait_dscnt 0x0
	v_fmac_f32_e32 v24, v25, v26
.LBB107_372:                            ;   in Loop: Header=BB107_3 Depth=1
	s_or_b32 exec_lo, exec_lo, s48
	s_delay_alu instid0(VALU_DEP_1)
	v_xor_b32_e32 v24, 0x80000000, v24
.LBB107_373:                            ;   in Loop: Header=BB107_3 Depth=1
	s_or_b32 exec_lo, exec_lo, s47
	s_and_saveexec_b32 s47, s91
	s_cbranch_execz .LBB107_375
; %bb.374:                              ;   in Loop: Header=BB107_3 Depth=1
	ds_load_b32 v25, v5 offset:5720
	s_wait_dscnt 0x0
	v_mul_f32_e32 v24, v24, v25
	ds_store_b32 v3, v24
.LBB107_375:                            ;   in Loop: Header=BB107_3 Depth=1
	s_or_b32 exec_lo, exec_lo, s47
	s_wait_dscnt 0x0
	s_barrier_signal -1
	s_barrier_wait -1
	s_and_saveexec_b32 s47, s92
	s_cbranch_execz .LBB107_377
; %bb.376:                              ;   in Loop: Header=BB107_3 Depth=1
	ds_load_b32 v25, v5 offset:5724
	ds_load_b32 v26, v3
	s_wait_dscnt 0x0
	v_fmac_f32_e32 v24, v25, v26
.LBB107_377:                            ;   in Loop: Header=BB107_3 Depth=1
	s_or_b32 exec_lo, exec_lo, s47
	s_barrier_signal -1
	s_barrier_wait -1
	s_and_saveexec_b32 s47, s92
	s_cbranch_execz .LBB107_379
; %bb.378:                              ;   in Loop: Header=BB107_3 Depth=1
	ds_load_b32 v25, v5 offset:5980
	s_wait_dscnt 0x0
	v_mul_f32_e32 v24, v24, v25
	ds_store_b32 v3, v24
.LBB107_379:                            ;   in Loop: Header=BB107_3 Depth=1
	s_or_b32 exec_lo, exec_lo, s47
	s_wait_dscnt 0x0
	s_barrier_signal -1
	s_barrier_wait -1
	s_barrier_signal -1
	s_barrier_wait -1
	s_and_saveexec_b32 s47, s2
; %bb.380:                              ;   in Loop: Header=BB107_3 Depth=1
	v_xor_b32_e32 v24, 0x80000000, v24
	ds_store_b32 v65, v24 offset:5208
; %bb.381:                              ;   in Loop: Header=BB107_3 Depth=1
	s_or_b32 exec_lo, exec_lo, s47
	s_wait_dscnt 0x0
	s_barrier_signal -1
	s_barrier_wait -1
	s_barrier_signal -1
	s_barrier_wait -1
	s_and_saveexec_b32 s47, s93
	s_cbranch_execz .LBB107_383
; %bb.382:                              ;   in Loop: Header=BB107_3 Depth=1
	ds_load_b32 v24, v53 offset:5208
	s_wait_dscnt 0x0
	ds_store_b32 v52, v24 offset:5712
	ds_load_b32 v24, v53 offset:5212
	s_wait_dscnt 0x0
	ds_store_b32 v52, v24 offset:5968
.LBB107_383:                            ;   in Loop: Header=BB107_3 Depth=1
	s_or_b32 exec_lo, exec_lo, s47
	s_wait_dscnt 0x0
	s_barrier_signal -1
	s_barrier_wait -1
	s_and_saveexec_b32 s47, s15
	s_cbranch_execz .LBB107_385
; %bb.384:                              ;   in Loop: Header=BB107_3 Depth=1
	ds_load_b64 v[24:25], v5 offset:5720
	ds_load_b32 v26, v5 offset:5980
	s_wait_dscnt 0x0
	v_mul_f32_e32 v24, v24, v26
	s_delay_alu instid0(VALU_DEP_1)
	v_mul_f32_e32 v24, v25, v24
	v_add_nc_u32_e64 v25, 0x1400, 0
	ds_store_2addr_b32 v25, v24, v24 offset0:151 offset1:214
.LBB107_385:                            ;   in Loop: Header=BB107_3 Depth=1
	s_or_b32 exec_lo, exec_lo, s47
	v_mov_b32_e32 v24, 0
	s_wait_dscnt 0x0
	s_barrier_signal -1
	s_barrier_wait -1
	s_and_saveexec_b32 s47, s5
	s_cbranch_execz .LBB107_395
; %bb.386:                              ;   in Loop: Header=BB107_3 Depth=1
	ds_load_b32 v24, v42 offset:4192
	ds_load_b32 v25, v39 offset:4160
	s_wait_dscnt 0x0
	v_fma_f32 v24, v24, v25, 0
	s_and_saveexec_b32 s48, s19
	s_cbranch_execnz .LBB107_1223
; %bb.387:                              ;   in Loop: Header=BB107_3 Depth=1
	s_or_b32 exec_lo, exec_lo, s48
	s_and_saveexec_b32 s48, s20
	s_cbranch_execnz .LBB107_1224
.LBB107_388:                            ;   in Loop: Header=BB107_3 Depth=1
	s_or_b32 exec_lo, exec_lo, s48
	s_and_saveexec_b32 s48, s21
	s_cbranch_execnz .LBB107_1225
.LBB107_389:                            ;   in Loop: Header=BB107_3 Depth=1
	s_or_b32 exec_lo, exec_lo, s48
	s_and_saveexec_b32 s48, s22
	s_cbranch_execnz .LBB107_1226
.LBB107_390:                            ;   in Loop: Header=BB107_3 Depth=1
	s_or_b32 exec_lo, exec_lo, s48
	s_and_saveexec_b32 s48, s23
	s_cbranch_execnz .LBB107_1227
.LBB107_391:                            ;   in Loop: Header=BB107_3 Depth=1
	s_or_b32 exec_lo, exec_lo, s48
	s_and_saveexec_b32 s48, s4
	s_cbranch_execnz .LBB107_1228
.LBB107_392:                            ;   in Loop: Header=BB107_3 Depth=1
	s_or_b32 exec_lo, exec_lo, s48
	s_and_saveexec_b32 s48, s18
	s_cbranch_execz .LBB107_394
.LBB107_393:                            ;   in Loop: Header=BB107_3 Depth=1
	ds_load_b32 v25, v54 offset:5984
	ds_load_b32 v26, v5 offset:4188
	s_wait_dscnt 0x0
	v_fmac_f32_e32 v24, v25, v26
.LBB107_394:                            ;   in Loop: Header=BB107_3 Depth=1
	s_or_b32 exec_lo, exec_lo, s48
	s_delay_alu instid0(VALU_DEP_1)
	v_xor_b32_e32 v24, 0x80000000, v24
.LBB107_395:                            ;   in Loop: Header=BB107_3 Depth=1
	s_or_b32 exec_lo, exec_lo, s47
	s_and_saveexec_b32 s47, s101
	s_cbranch_execz .LBB107_397
; %bb.396:                              ;   in Loop: Header=BB107_3 Depth=1
	ds_load_b32 v25, v5 offset:6240
	s_wait_dscnt 0x0
	v_mul_f32_e32 v24, v24, v25
	ds_store_b32 v41, v24
.LBB107_397:                            ;   in Loop: Header=BB107_3 Depth=1
	s_or_b32 exec_lo, exec_lo, s47
	s_wait_dscnt 0x0
	s_barrier_signal -1
	s_barrier_wait -1
	s_and_saveexec_b32 s47, s102
	s_cbranch_execz .LBB107_399
; %bb.398:                              ;   in Loop: Header=BB107_3 Depth=1
	ds_load_b32 v25, v40 offset:6240
	ds_load_b32 v26, v41
	s_wait_dscnt 0x0
	v_fmac_f32_e32 v24, v25, v26
.LBB107_399:                            ;   in Loop: Header=BB107_3 Depth=1
	s_or_b32 exec_lo, exec_lo, s47
	s_barrier_signal -1
	s_barrier_wait -1
	s_and_saveexec_b32 s47, s103
	s_cbranch_execz .LBB107_401
; %bb.400:                              ;   in Loop: Header=BB107_3 Depth=1
	ds_load_b32 v25, v5 offset:6500
	s_wait_dscnt 0x0
	v_mul_f32_e32 v24, v24, v25
	ds_store_b32 v41, v24
.LBB107_401:                            ;   in Loop: Header=BB107_3 Depth=1
	s_or_b32 exec_lo, exec_lo, s47
	s_wait_dscnt 0x0
	s_barrier_signal -1
	s_barrier_wait -1
	s_and_saveexec_b32 s47, s104
	s_cbranch_execz .LBB107_403
; %bb.402:                              ;   in Loop: Header=BB107_3 Depth=1
	ds_load_b32 v25, v40 offset:6496
	ds_load_b32 v26, v41
	s_wait_dscnt 0x0
	v_fmac_f32_e32 v24, v25, v26
.LBB107_403:                            ;   in Loop: Header=BB107_3 Depth=1
	s_or_b32 exec_lo, exec_lo, s47
	s_barrier_signal -1
	s_barrier_wait -1
	s_and_saveexec_b32 s47, vcc_hi
	s_cbranch_execz .LBB107_405
; %bb.404:                              ;   in Loop: Header=BB107_3 Depth=1
	ds_load_b32 v25, v5 offset:6760
	s_wait_dscnt 0x0
	v_mul_f32_e32 v24, v24, v25
	ds_store_b32 v41, v24
.LBB107_405:                            ;   in Loop: Header=BB107_3 Depth=1
	s_or_b32 exec_lo, exec_lo, s47
	s_wait_dscnt 0x0
	s_barrier_signal -1
	s_barrier_wait -1
	s_and_saveexec_b32 s47, s36
	s_cbranch_execz .LBB107_407
; %bb.406:                              ;   in Loop: Header=BB107_3 Depth=1
	ds_load_b32 v25, v40 offset:6752
	ds_load_b32 v26, v41
	s_wait_dscnt 0x0
	v_fmac_f32_e32 v24, v25, v26
.LBB107_407:                            ;   in Loop: Header=BB107_3 Depth=1
	s_or_b32 exec_lo, exec_lo, s47
	s_barrier_signal -1
	s_barrier_wait -1
	s_and_saveexec_b32 s47, s37
	s_cbranch_execz .LBB107_409
; %bb.408:                              ;   in Loop: Header=BB107_3 Depth=1
	ds_load_b32 v25, v5 offset:7020
	s_wait_dscnt 0x0
	v_mul_f32_e32 v24, v24, v25
	ds_store_b32 v41, v24
.LBB107_409:                            ;   in Loop: Header=BB107_3 Depth=1
	s_or_b32 exec_lo, exec_lo, s47
	s_wait_dscnt 0x0
	s_barrier_signal -1
	s_barrier_wait -1
	s_and_saveexec_b32 s47, s38
	s_cbranch_execz .LBB107_411
; %bb.410:                              ;   in Loop: Header=BB107_3 Depth=1
	ds_load_b32 v25, v40 offset:7008
	ds_load_b32 v26, v41
	s_wait_dscnt 0x0
	v_fmac_f32_e32 v24, v25, v26
.LBB107_411:                            ;   in Loop: Header=BB107_3 Depth=1
	s_or_b32 exec_lo, exec_lo, s47
	s_barrier_signal -1
	s_barrier_wait -1
	s_and_saveexec_b32 s47, s39
	;; [unrolled: 23-line block ×5, first 2 shown]
	s_cbranch_execz .LBB107_425
; %bb.424:                              ;   in Loop: Header=BB107_3 Depth=1
	ds_load_b32 v25, v5 offset:8060
	s_wait_dscnt 0x0
	v_mul_f32_e32 v24, v24, v25
	ds_store_b32 v41, v24
.LBB107_425:                            ;   in Loop: Header=BB107_3 Depth=1
	s_or_b32 exec_lo, exec_lo, s47
	s_wait_dscnt 0x0
	s_barrier_signal -1
	s_barrier_wait -1
	s_barrier_signal -1
	s_barrier_wait -1
	s_and_saveexec_b32 s47, s5
; %bb.426:                              ;   in Loop: Header=BB107_3 Depth=1
	v_xor_b32_e32 v24, 0x80000000, v24
	ds_store_b32 v42, v24 offset:4192
; %bb.427:                              ;   in Loop: Header=BB107_3 Depth=1
	s_or_b32 exec_lo, exec_lo, s47
	s_wait_dscnt 0x0
	s_barrier_signal -1
	s_barrier_wait -1
	s_barrier_signal -1
	s_barrier_wait -1
	s_and_saveexec_b32 s47, s45
	s_cbranch_execz .LBB107_429
; %bb.428:                              ;   in Loop: Header=BB107_3 Depth=1
	ds_load_b32 v24, v55 offset:4192
	s_wait_dscnt 0x0
	ds_store_b32 v56, v24 offset:6208
	ds_load_b32 v24, v55 offset:4196
	s_wait_dscnt 0x0
	ds_store_b32 v56, v24 offset:6464
	;; [unrolled: 3-line block ×8, first 2 shown]
.LBB107_429:                            ;   in Loop: Header=BB107_3 Depth=1
	s_or_b32 exec_lo, exec_lo, s47
	s_wait_dscnt 0x0
	s_barrier_signal -1
	s_barrier_wait -1
	s_and_saveexec_b32 s47, s15
	s_cbranch_execz .LBB107_431
; %bb.430:                              ;   in Loop: Header=BB107_3 Depth=1
	ds_load_b64 v[24:25], v5 offset:6240
	ds_load_b32 v26, v5 offset:6500
	s_wait_dscnt 0x0
	v_mul_f32_e32 v24, v24, v26
	s_delay_alu instid0(VALU_DEP_1)
	v_mul_f32_e32 v24, v25, v24
	v_add_nc_u32_e64 v25, 0x1800, 0
	ds_store_2addr_b32 v25, v24, v24 offset0:25 offset1:88
.LBB107_431:                            ;   in Loop: Header=BB107_3 Depth=1
	s_or_b32 exec_lo, exec_lo, s47
	v_mov_b32_e32 v24, 0
	s_wait_dscnt 0x0
	s_barrier_signal -1
	s_barrier_wait -1
	s_and_saveexec_b32 s47, s2
	s_cbranch_execz .LBB107_435
; %bb.432:                              ;   in Loop: Header=BB107_3 Depth=1
	ds_load_b32 v24, v65 offset:6248
	ds_load_b32 v25, v29 offset:6240
	s_wait_dscnt 0x0
	v_fma_f32 v24, v24, v25, 0
	s_and_saveexec_b32 s48, s16
	s_cbranch_execz .LBB107_434
; %bb.433:                              ;   in Loop: Header=BB107_3 Depth=1
	ds_load_b32 v25, v56 offset:6504
	ds_load_b32 v26, v5 offset:6244
	s_wait_dscnt 0x0
	v_fmac_f32_e32 v24, v25, v26
.LBB107_434:                            ;   in Loop: Header=BB107_3 Depth=1
	s_or_b32 exec_lo, exec_lo, s48
	s_delay_alu instid0(VALU_DEP_1)
	v_xor_b32_e32 v24, 0x80000000, v24
.LBB107_435:                            ;   in Loop: Header=BB107_3 Depth=1
	s_or_b32 exec_lo, exec_lo, s47
	s_and_saveexec_b32 s47, s91
	s_cbranch_execz .LBB107_437
; %bb.436:                              ;   in Loop: Header=BB107_3 Depth=1
	ds_load_b32 v25, v5 offset:6760
	s_wait_dscnt 0x0
	v_mul_f32_e32 v24, v24, v25
	ds_store_b32 v3, v24
.LBB107_437:                            ;   in Loop: Header=BB107_3 Depth=1
	s_or_b32 exec_lo, exec_lo, s47
	s_wait_dscnt 0x0
	s_barrier_signal -1
	s_barrier_wait -1
	s_and_saveexec_b32 s47, s92
	s_cbranch_execz .LBB107_439
; %bb.438:                              ;   in Loop: Header=BB107_3 Depth=1
	ds_load_b32 v25, v5 offset:6764
	ds_load_b32 v26, v3
	s_wait_dscnt 0x0
	v_fmac_f32_e32 v24, v25, v26
.LBB107_439:                            ;   in Loop: Header=BB107_3 Depth=1
	s_or_b32 exec_lo, exec_lo, s47
	s_barrier_signal -1
	s_barrier_wait -1
	s_and_saveexec_b32 s47, s92
	s_cbranch_execz .LBB107_441
; %bb.440:                              ;   in Loop: Header=BB107_3 Depth=1
	ds_load_b32 v25, v5 offset:7020
	s_wait_dscnt 0x0
	v_mul_f32_e32 v24, v24, v25
	ds_store_b32 v3, v24
.LBB107_441:                            ;   in Loop: Header=BB107_3 Depth=1
	s_or_b32 exec_lo, exec_lo, s47
	s_wait_dscnt 0x0
	s_barrier_signal -1
	s_barrier_wait -1
	s_barrier_signal -1
	s_barrier_wait -1
	s_and_saveexec_b32 s47, s2
; %bb.442:                              ;   in Loop: Header=BB107_3 Depth=1
	v_xor_b32_e32 v24, 0x80000000, v24
	ds_store_b32 v65, v24 offset:6248
; %bb.443:                              ;   in Loop: Header=BB107_3 Depth=1
	s_or_b32 exec_lo, exec_lo, s47
	s_wait_dscnt 0x0
	s_barrier_signal -1
	s_barrier_wait -1
	s_barrier_signal -1
	s_barrier_wait -1
	s_and_saveexec_b32 s47, s93
	s_cbranch_execz .LBB107_445
; %bb.444:                              ;   in Loop: Header=BB107_3 Depth=1
	ds_load_b32 v24, v57 offset:6248
	s_wait_dscnt 0x0
	ds_store_b32 v56, v24 offset:6752
	ds_load_b32 v24, v57 offset:6252
	s_wait_dscnt 0x0
	ds_store_b32 v56, v24 offset:7008
.LBB107_445:                            ;   in Loop: Header=BB107_3 Depth=1
	s_or_b32 exec_lo, exec_lo, s47
	s_wait_dscnt 0x0
	s_barrier_signal -1
	s_barrier_wait -1
	s_and_saveexec_b32 s47, s15
	s_cbranch_execz .LBB107_447
; %bb.446:                              ;   in Loop: Header=BB107_3 Depth=1
	ds_load_b64 v[24:25], v5 offset:6760
	ds_load_b32 v26, v5 offset:7020
	s_wait_dscnt 0x0
	v_mul_f32_e32 v24, v24, v26
	s_delay_alu instid0(VALU_DEP_1)
	v_mul_f32_e32 v24, v25, v24
	v_add_nc_u32_e64 v25, 0x1800, 0
	ds_store_2addr_b32 v25, v24, v24 offset0:155 offset1:218
.LBB107_447:                            ;   in Loop: Header=BB107_3 Depth=1
	s_or_b32 exec_lo, exec_lo, s47
	v_mov_b32_e32 v24, 0
	s_wait_dscnt 0x0
	s_barrier_signal -1
	s_barrier_wait -1
	s_and_saveexec_b32 s47, s4
	s_cbranch_execz .LBB107_453
; %bb.448:                              ;   in Loop: Header=BB107_3 Depth=1
	ds_load_b32 v24, v36 offset:6256
	ds_load_b32 v25, v31 offset:6240
	s_wait_dscnt 0x0
	v_fma_f32 v24, v24, v25, 0
	s_and_saveexec_b32 s48, s17
	s_cbranch_execnz .LBB107_1229
; %bb.449:                              ;   in Loop: Header=BB107_3 Depth=1
	s_or_b32 exec_lo, exec_lo, s48
	s_and_saveexec_b32 s48, s18
	s_cbranch_execnz .LBB107_1230
.LBB107_450:                            ;   in Loop: Header=BB107_3 Depth=1
	s_or_b32 exec_lo, exec_lo, s48
	s_and_saveexec_b32 s48, s2
	s_cbranch_execz .LBB107_452
.LBB107_451:                            ;   in Loop: Header=BB107_3 Depth=1
	ds_load_b32 v25, v58 offset:7024
	ds_load_b32 v26, v5 offset:6252
	s_wait_dscnt 0x0
	v_fmac_f32_e32 v24, v25, v26
.LBB107_452:                            ;   in Loop: Header=BB107_3 Depth=1
	s_or_b32 exec_lo, exec_lo, s48
	s_delay_alu instid0(VALU_DEP_1)
	v_xor_b32_e32 v24, 0x80000000, v24
.LBB107_453:                            ;   in Loop: Header=BB107_3 Depth=1
	s_or_b32 exec_lo, exec_lo, s47
	s_and_saveexec_b32 s47, s94
	s_cbranch_execz .LBB107_455
; %bb.454:                              ;   in Loop: Header=BB107_3 Depth=1
	ds_load_b32 v25, v5 offset:7280
	s_wait_dscnt 0x0
	v_mul_f32_e32 v24, v24, v25
	ds_store_b32 v35, v24
.LBB107_455:                            ;   in Loop: Header=BB107_3 Depth=1
	s_or_b32 exec_lo, exec_lo, s47
	s_wait_dscnt 0x0
	s_barrier_signal -1
	s_barrier_wait -1
	s_and_saveexec_b32 s47, s95
	s_cbranch_execz .LBB107_457
; %bb.456:                              ;   in Loop: Header=BB107_3 Depth=1
	ds_load_b32 v25, v33 offset:7280
	ds_load_b32 v26, v35
	s_wait_dscnt 0x0
	v_fmac_f32_e32 v24, v25, v26
.LBB107_457:                            ;   in Loop: Header=BB107_3 Depth=1
	s_or_b32 exec_lo, exec_lo, s47
	s_barrier_signal -1
	s_barrier_wait -1
	s_and_saveexec_b32 s47, s96
	s_cbranch_execz .LBB107_459
; %bb.458:                              ;   in Loop: Header=BB107_3 Depth=1
	ds_load_b32 v25, v5 offset:7540
	s_wait_dscnt 0x0
	v_mul_f32_e32 v24, v24, v25
	ds_store_b32 v35, v24
.LBB107_459:                            ;   in Loop: Header=BB107_3 Depth=1
	s_or_b32 exec_lo, exec_lo, s47
	s_wait_dscnt 0x0
	s_barrier_signal -1
	s_barrier_wait -1
	s_and_saveexec_b32 s47, s97
	s_cbranch_execz .LBB107_461
; %bb.460:                              ;   in Loop: Header=BB107_3 Depth=1
	ds_load_b32 v25, v33 offset:7536
	ds_load_b32 v26, v35
	s_wait_dscnt 0x0
	v_fmac_f32_e32 v24, v25, v26
.LBB107_461:                            ;   in Loop: Header=BB107_3 Depth=1
	s_or_b32 exec_lo, exec_lo, s47
	s_barrier_signal -1
	s_barrier_wait -1
	;; [unrolled: 23-line block ×3, first 2 shown]
	s_and_saveexec_b32 s47, s99
	s_cbranch_execz .LBB107_467
; %bb.466:                              ;   in Loop: Header=BB107_3 Depth=1
	ds_load_b32 v25, v5 offset:8060
	s_wait_dscnt 0x0
	v_mul_f32_e32 v24, v24, v25
	ds_store_b32 v35, v24
.LBB107_467:                            ;   in Loop: Header=BB107_3 Depth=1
	s_or_b32 exec_lo, exec_lo, s47
	s_wait_dscnt 0x0
	s_barrier_signal -1
	s_barrier_wait -1
	s_barrier_signal -1
	s_barrier_wait -1
	s_and_saveexec_b32 s47, s4
; %bb.468:                              ;   in Loop: Header=BB107_3 Depth=1
	v_xor_b32_e32 v24, 0x80000000, v24
	ds_store_b32 v36, v24 offset:6256
; %bb.469:                              ;   in Loop: Header=BB107_3 Depth=1
	s_or_b32 exec_lo, exec_lo, s47
	s_wait_dscnt 0x0
	s_barrier_signal -1
	s_barrier_wait -1
	s_barrier_signal -1
	s_barrier_wait -1
	s_and_saveexec_b32 s47, s100
	s_cbranch_execz .LBB107_471
; %bb.470:                              ;   in Loop: Header=BB107_3 Depth=1
	ds_load_b32 v24, v59 offset:6256
	s_wait_dscnt 0x0
	ds_store_b32 v60, v24 offset:7264
	ds_load_b32 v24, v59 offset:6260
	s_wait_dscnt 0x0
	ds_store_b32 v60, v24 offset:7520
	;; [unrolled: 3-line block ×4, first 2 shown]
.LBB107_471:                            ;   in Loop: Header=BB107_3 Depth=1
	s_or_b32 exec_lo, exec_lo, s47
	s_wait_dscnt 0x0
	s_barrier_signal -1
	s_barrier_wait -1
	s_and_saveexec_b32 s47, s15
	s_cbranch_execz .LBB107_473
; %bb.472:                              ;   in Loop: Header=BB107_3 Depth=1
	ds_load_b64 v[24:25], v5 offset:7280
	ds_load_b32 v26, v5 offset:7540
	s_wait_dscnt 0x0
	v_mul_f32_e32 v24, v24, v26
	s_delay_alu instid0(VALU_DEP_1)
	v_mul_f32_e32 v24, v25, v24
	v_add_nc_u32_e64 v25, 0x1c00, 0
	ds_store_2addr_b32 v25, v24, v24 offset0:29 offset1:92
.LBB107_473:                            ;   in Loop: Header=BB107_3 Depth=1
	s_or_b32 exec_lo, exec_lo, s47
	v_mov_b32_e32 v24, 0
	s_wait_dscnt 0x0
	s_barrier_signal -1
	s_barrier_wait -1
	s_and_saveexec_b32 s47, s2
	s_cbranch_execz .LBB107_477
; %bb.474:                              ;   in Loop: Header=BB107_3 Depth=1
	ds_load_b32 v24, v65 offset:7288
	ds_load_b32 v25, v29 offset:7280
	s_wait_dscnt 0x0
	v_fma_f32 v24, v24, v25, 0
	s_and_saveexec_b32 s48, s16
	s_cbranch_execz .LBB107_476
; %bb.475:                              ;   in Loop: Header=BB107_3 Depth=1
	ds_load_b32 v25, v60 offset:7544
	ds_load_b32 v26, v5 offset:7284
	s_wait_dscnt 0x0
	v_fmac_f32_e32 v24, v25, v26
.LBB107_476:                            ;   in Loop: Header=BB107_3 Depth=1
	s_or_b32 exec_lo, exec_lo, s48
	s_delay_alu instid0(VALU_DEP_1)
	v_xor_b32_e32 v24, 0x80000000, v24
.LBB107_477:                            ;   in Loop: Header=BB107_3 Depth=1
	s_or_b32 exec_lo, exec_lo, s47
	s_and_saveexec_b32 s47, s91
	s_cbranch_execz .LBB107_479
; %bb.478:                              ;   in Loop: Header=BB107_3 Depth=1
	ds_load_b32 v25, v5 offset:7800
	s_wait_dscnt 0x0
	v_mul_f32_e32 v24, v24, v25
	ds_store_b32 v3, v24
.LBB107_479:                            ;   in Loop: Header=BB107_3 Depth=1
	s_or_b32 exec_lo, exec_lo, s47
	s_wait_dscnt 0x0
	s_barrier_signal -1
	s_barrier_wait -1
	s_and_saveexec_b32 s47, s92
	s_cbranch_execz .LBB107_481
; %bb.480:                              ;   in Loop: Header=BB107_3 Depth=1
	ds_load_b32 v25, v5 offset:7804
	ds_load_b32 v26, v3
	s_wait_dscnt 0x0
	v_fmac_f32_e32 v24, v25, v26
.LBB107_481:                            ;   in Loop: Header=BB107_3 Depth=1
	s_or_b32 exec_lo, exec_lo, s47
	s_barrier_signal -1
	s_barrier_wait -1
	s_and_saveexec_b32 s47, s92
	s_cbranch_execz .LBB107_483
; %bb.482:                              ;   in Loop: Header=BB107_3 Depth=1
	ds_load_b32 v25, v5 offset:8060
	s_wait_dscnt 0x0
	v_mul_f32_e32 v24, v24, v25
	ds_store_b32 v3, v24
.LBB107_483:                            ;   in Loop: Header=BB107_3 Depth=1
	s_or_b32 exec_lo, exec_lo, s47
	s_wait_dscnt 0x0
	s_barrier_signal -1
	s_barrier_wait -1
	s_barrier_signal -1
	s_barrier_wait -1
	s_and_saveexec_b32 s47, s2
; %bb.484:                              ;   in Loop: Header=BB107_3 Depth=1
	v_xor_b32_e32 v24, 0x80000000, v24
	ds_store_b32 v65, v24 offset:7288
; %bb.485:                              ;   in Loop: Header=BB107_3 Depth=1
	s_or_b32 exec_lo, exec_lo, s47
	s_wait_dscnt 0x0
	s_barrier_signal -1
	s_barrier_wait -1
	s_barrier_signal -1
	s_barrier_wait -1
	s_and_saveexec_b32 s47, s93
	s_cbranch_execz .LBB107_487
; %bb.486:                              ;   in Loop: Header=BB107_3 Depth=1
	ds_load_b32 v24, v61 offset:7288
	s_wait_dscnt 0x0
	ds_store_b32 v60, v24 offset:7792
	ds_load_b32 v24, v61 offset:7292
	s_wait_dscnt 0x0
	ds_store_b32 v60, v24 offset:8048
.LBB107_487:                            ;   in Loop: Header=BB107_3 Depth=1
	s_or_b32 exec_lo, exec_lo, s47
	s_wait_dscnt 0x0
	s_barrier_signal -1
	s_barrier_wait -1
	s_and_saveexec_b32 s47, s15
	s_cbranch_execz .LBB107_489
; %bb.488:                              ;   in Loop: Header=BB107_3 Depth=1
	ds_load_b64 v[24:25], v5 offset:7800
	ds_load_b32 v26, v5 offset:8060
	s_wait_dscnt 0x0
	v_mul_f32_e32 v24, v24, v26
	s_delay_alu instid0(VALU_DEP_1)
	v_mul_f32_e32 v24, v25, v24
	v_add_nc_u32_e64 v25, 0x1c00, 0
	ds_store_2addr_b32 v25, v24, v24 offset0:159 offset1:222
.LBB107_489:                            ;   in Loop: Header=BB107_3 Depth=1
	s_or_b32 exec_lo, exec_lo, s47
	v_mov_b32_e32 v24, 0
	s_wait_dscnt 0x0
	s_barrier_signal -1
	s_barrier_wait -1
	s_and_saveexec_b32 s84, s7
	s_cbranch_execz .LBB107_551
; %bb.490:                              ;   in Loop: Header=BB107_3 Depth=1
	v_add_nc_u32_e32 v25, v50, v49
	ds_load_b32 v24, v64 offset:128
	ds_load_b32 v26, v25
	s_wait_dscnt 0x0
	v_fma_f32 v24, v24, v26, 0
	s_mov_b32 s47, exec_lo
	v_readlane_b32 s48, v90, 3
	s_and_b32 s48, s47, s48
	s_delay_alu instid0(SALU_CYCLE_1)
	s_mov_b32 exec_lo, s48
	s_cbranch_execz .LBB107_492
; %bb.491:                              ;   in Loop: Header=BB107_3 Depth=1
	ds_load_b32 v26, v64 offset:384
	ds_load_b32 v27, v25 offset:4
	s_wait_dscnt 0x0
	v_fmac_f32_e32 v24, v26, v27
.LBB107_492:                            ;   in Loop: Header=BB107_3 Depth=1
	s_or_b32 exec_lo, exec_lo, s47
	s_delay_alu instid0(SALU_CYCLE_1) | instskip(SKIP_2) | instid1(SALU_CYCLE_1)
	s_mov_b32 s47, exec_lo
	v_readlane_b32 s48, v90, 4
	s_and_b32 s48, s47, s48
	s_mov_b32 exec_lo, s48
	s_cbranch_execz .LBB107_494
; %bb.493:                              ;   in Loop: Header=BB107_3 Depth=1
	ds_load_b32 v26, v64 offset:640
	ds_load_b32 v27, v25 offset:8
	s_wait_dscnt 0x0
	v_fmac_f32_e32 v24, v26, v27
.LBB107_494:                            ;   in Loop: Header=BB107_3 Depth=1
	s_or_b32 exec_lo, exec_lo, s47
	s_delay_alu instid0(SALU_CYCLE_1) | instskip(SKIP_2) | instid1(SALU_CYCLE_1)
	s_mov_b32 s47, exec_lo
	v_readlane_b32 s48, v90, 5
	s_and_b32 s48, s47, s48
	s_mov_b32 exec_lo, s48
	s_cbranch_execz .LBB107_496
; %bb.495:                              ;   in Loop: Header=BB107_3 Depth=1
	ds_load_b32 v26, v64 offset:896
	ds_load_b32 v27, v25 offset:12
	s_wait_dscnt 0x0
	v_fmac_f32_e32 v24, v26, v27
.LBB107_496:                            ;   in Loop: Header=BB107_3 Depth=1
	s_or_b32 exec_lo, exec_lo, s47
	s_delay_alu instid0(SALU_CYCLE_1) | instskip(SKIP_2) | instid1(SALU_CYCLE_1)
	s_mov_b32 s47, exec_lo
	v_readlane_b32 s48, v90, 6
	s_and_b32 s48, s47, s48
	s_mov_b32 exec_lo, s48
	s_cbranch_execz .LBB107_498
; %bb.497:                              ;   in Loop: Header=BB107_3 Depth=1
	ds_load_b32 v26, v64 offset:1152
	ds_load_b32 v27, v25 offset:16
	s_wait_dscnt 0x0
	v_fmac_f32_e32 v24, v26, v27
.LBB107_498:                            ;   in Loop: Header=BB107_3 Depth=1
	s_or_b32 exec_lo, exec_lo, s47
	s_delay_alu instid0(SALU_CYCLE_1) | instskip(SKIP_2) | instid1(SALU_CYCLE_1)
	s_mov_b32 s47, exec_lo
	v_readlane_b32 s48, v90, 7
	s_and_b32 s48, s47, s48
	s_mov_b32 exec_lo, s48
	s_cbranch_execz .LBB107_500
; %bb.499:                              ;   in Loop: Header=BB107_3 Depth=1
	ds_load_b32 v26, v64 offset:1408
	ds_load_b32 v27, v25 offset:20
	s_wait_dscnt 0x0
	v_fmac_f32_e32 v24, v26, v27
.LBB107_500:                            ;   in Loop: Header=BB107_3 Depth=1
	s_or_b32 exec_lo, exec_lo, s47
	s_delay_alu instid0(SALU_CYCLE_1) | instskip(SKIP_2) | instid1(SALU_CYCLE_1)
	s_mov_b32 s47, exec_lo
	v_readlane_b32 s48, v90, 8
	s_and_b32 s48, s47, s48
	s_mov_b32 exec_lo, s48
	s_cbranch_execz .LBB107_502
; %bb.501:                              ;   in Loop: Header=BB107_3 Depth=1
	ds_load_b32 v26, v64 offset:1664
	ds_load_b32 v27, v25 offset:24
	s_wait_dscnt 0x0
	v_fmac_f32_e32 v24, v26, v27
.LBB107_502:                            ;   in Loop: Header=BB107_3 Depth=1
	s_or_b32 exec_lo, exec_lo, s47
	s_delay_alu instid0(SALU_CYCLE_1) | instskip(SKIP_2) | instid1(SALU_CYCLE_1)
	s_mov_b32 s47, exec_lo
	v_readlane_b32 s48, v90, 9
	s_and_b32 s48, s47, s48
	s_mov_b32 exec_lo, s48
	s_cbranch_execz .LBB107_504
; %bb.503:                              ;   in Loop: Header=BB107_3 Depth=1
	ds_load_b32 v26, v64 offset:1920
	ds_load_b32 v27, v25 offset:28
	s_wait_dscnt 0x0
	v_fmac_f32_e32 v24, v26, v27
.LBB107_504:                            ;   in Loop: Header=BB107_3 Depth=1
	s_or_b32 exec_lo, exec_lo, s47
	s_delay_alu instid0(SALU_CYCLE_1) | instskip(SKIP_2) | instid1(SALU_CYCLE_1)
	s_mov_b32 s47, exec_lo
	v_readlane_b32 s48, v90, 10
	s_and_b32 s48, s47, s48
	s_mov_b32 exec_lo, s48
	s_cbranch_execz .LBB107_506
; %bb.505:                              ;   in Loop: Header=BB107_3 Depth=1
	ds_load_b32 v26, v64 offset:2176
	ds_load_b32 v27, v25 offset:32
	s_wait_dscnt 0x0
	v_fmac_f32_e32 v24, v26, v27
.LBB107_506:                            ;   in Loop: Header=BB107_3 Depth=1
	s_or_b32 exec_lo, exec_lo, s47
	s_delay_alu instid0(SALU_CYCLE_1) | instskip(SKIP_2) | instid1(SALU_CYCLE_1)
	s_mov_b32 s47, exec_lo
	v_readlane_b32 s48, v90, 11
	s_and_b32 s48, s47, s48
	s_mov_b32 exec_lo, s48
	s_cbranch_execz .LBB107_508
; %bb.507:                              ;   in Loop: Header=BB107_3 Depth=1
	ds_load_b32 v26, v64 offset:2432
	ds_load_b32 v27, v25 offset:36
	s_wait_dscnt 0x0
	v_fmac_f32_e32 v24, v26, v27
.LBB107_508:                            ;   in Loop: Header=BB107_3 Depth=1
	s_or_b32 exec_lo, exec_lo, s47
	s_delay_alu instid0(SALU_CYCLE_1) | instskip(SKIP_2) | instid1(SALU_CYCLE_1)
	s_mov_b32 s47, exec_lo
	v_readlane_b32 s48, v90, 12
	s_and_b32 s48, s47, s48
	s_mov_b32 exec_lo, s48
	s_cbranch_execz .LBB107_510
; %bb.509:                              ;   in Loop: Header=BB107_3 Depth=1
	ds_load_b32 v26, v64 offset:2688
	ds_load_b32 v27, v25 offset:40
	s_wait_dscnt 0x0
	v_fmac_f32_e32 v24, v26, v27
.LBB107_510:                            ;   in Loop: Header=BB107_3 Depth=1
	s_or_b32 exec_lo, exec_lo, s47
	s_delay_alu instid0(SALU_CYCLE_1) | instskip(SKIP_2) | instid1(SALU_CYCLE_1)
	s_mov_b32 s47, exec_lo
	v_readlane_b32 s48, v90, 13
	s_and_b32 s48, s47, s48
	s_mov_b32 exec_lo, s48
	s_cbranch_execz .LBB107_512
; %bb.511:                              ;   in Loop: Header=BB107_3 Depth=1
	ds_load_b32 v26, v64 offset:2944
	ds_load_b32 v27, v25 offset:44
	s_wait_dscnt 0x0
	v_fmac_f32_e32 v24, v26, v27
.LBB107_512:                            ;   in Loop: Header=BB107_3 Depth=1
	s_or_b32 exec_lo, exec_lo, s47
	s_delay_alu instid0(SALU_CYCLE_1) | instskip(SKIP_2) | instid1(SALU_CYCLE_1)
	s_mov_b32 s47, exec_lo
	v_readlane_b32 s48, v90, 14
	s_and_b32 s48, s47, s48
	s_mov_b32 exec_lo, s48
	s_cbranch_execz .LBB107_514
; %bb.513:                              ;   in Loop: Header=BB107_3 Depth=1
	ds_load_b32 v26, v64 offset:3200
	ds_load_b32 v27, v25 offset:48
	s_wait_dscnt 0x0
	v_fmac_f32_e32 v24, v26, v27
.LBB107_514:                            ;   in Loop: Header=BB107_3 Depth=1
	s_or_b32 exec_lo, exec_lo, s47
	s_delay_alu instid0(SALU_CYCLE_1) | instskip(SKIP_2) | instid1(SALU_CYCLE_1)
	s_mov_b32 s47, exec_lo
	v_readlane_b32 s48, v90, 15
	s_and_b32 s48, s47, s48
	s_mov_b32 exec_lo, s48
	s_cbranch_execz .LBB107_516
; %bb.515:                              ;   in Loop: Header=BB107_3 Depth=1
	ds_load_b32 v26, v64 offset:3456
	ds_load_b32 v27, v25 offset:52
	s_wait_dscnt 0x0
	v_fmac_f32_e32 v24, v26, v27
.LBB107_516:                            ;   in Loop: Header=BB107_3 Depth=1
	s_or_b32 exec_lo, exec_lo, s47
	s_delay_alu instid0(SALU_CYCLE_1) | instskip(SKIP_2) | instid1(SALU_CYCLE_1)
	s_mov_b32 s47, exec_lo
	v_readlane_b32 s48, v90, 16
	s_and_b32 s48, s47, s48
	s_mov_b32 exec_lo, s48
	s_cbranch_execz .LBB107_518
; %bb.517:                              ;   in Loop: Header=BB107_3 Depth=1
	ds_load_b32 v26, v64 offset:3712
	ds_load_b32 v27, v25 offset:56
	s_wait_dscnt 0x0
	v_fmac_f32_e32 v24, v26, v27
.LBB107_518:                            ;   in Loop: Header=BB107_3 Depth=1
	s_or_b32 exec_lo, exec_lo, s47
	s_delay_alu instid0(SALU_CYCLE_1) | instskip(SKIP_2) | instid1(SALU_CYCLE_1)
	s_mov_b32 s47, exec_lo
	v_readlane_b32 s48, v90, 17
	s_and_b32 s48, s47, s48
	s_mov_b32 exec_lo, s48
	s_cbranch_execz .LBB107_520
; %bb.519:                              ;   in Loop: Header=BB107_3 Depth=1
	ds_load_b32 v26, v64 offset:3968
	ds_load_b32 v27, v25 offset:60
	s_wait_dscnt 0x0
	v_fmac_f32_e32 v24, v26, v27
.LBB107_520:                            ;   in Loop: Header=BB107_3 Depth=1
	s_or_b32 exec_lo, exec_lo, s47
	s_delay_alu instid0(SALU_CYCLE_1) | instskip(SKIP_2) | instid1(SALU_CYCLE_1)
	s_mov_b32 s47, exec_lo
	v_readlane_b32 s48, v90, 18
	s_and_b32 s48, s47, s48
	s_mov_b32 exec_lo, s48
	s_cbranch_execz .LBB107_522
; %bb.521:                              ;   in Loop: Header=BB107_3 Depth=1
	ds_load_b32 v26, v64 offset:4224
	ds_load_b32 v27, v25 offset:64
	s_wait_dscnt 0x0
	v_fmac_f32_e32 v24, v26, v27
.LBB107_522:                            ;   in Loop: Header=BB107_3 Depth=1
	s_or_b32 exec_lo, exec_lo, s47
	s_delay_alu instid0(SALU_CYCLE_1) | instskip(SKIP_2) | instid1(SALU_CYCLE_1)
	s_mov_b32 s47, exec_lo
	v_readlane_b32 s48, v90, 19
	s_and_b32 s48, s47, s48
	s_mov_b32 exec_lo, s48
	s_cbranch_execz .LBB107_524
; %bb.523:                              ;   in Loop: Header=BB107_3 Depth=1
	ds_load_b32 v26, v64 offset:4480
	ds_load_b32 v27, v25 offset:68
	s_wait_dscnt 0x0
	v_fmac_f32_e32 v24, v26, v27
.LBB107_524:                            ;   in Loop: Header=BB107_3 Depth=1
	s_or_b32 exec_lo, exec_lo, s47
	s_delay_alu instid0(SALU_CYCLE_1) | instskip(SKIP_2) | instid1(SALU_CYCLE_1)
	s_mov_b32 s47, exec_lo
	v_readlane_b32 s48, v90, 20
	s_and_b32 s48, s47, s48
	s_mov_b32 exec_lo, s48
	s_cbranch_execz .LBB107_526
; %bb.525:                              ;   in Loop: Header=BB107_3 Depth=1
	ds_load_b32 v26, v64 offset:4736
	ds_load_b32 v27, v25 offset:72
	s_wait_dscnt 0x0
	v_fmac_f32_e32 v24, v26, v27
.LBB107_526:                            ;   in Loop: Header=BB107_3 Depth=1
	s_or_b32 exec_lo, exec_lo, s47
	s_delay_alu instid0(SALU_CYCLE_1) | instskip(SKIP_2) | instid1(SALU_CYCLE_1)
	s_mov_b32 s47, exec_lo
	v_readlane_b32 s48, v90, 21
	s_and_b32 s48, s47, s48
	s_mov_b32 exec_lo, s48
	s_cbranch_execz .LBB107_528
; %bb.527:                              ;   in Loop: Header=BB107_3 Depth=1
	ds_load_b32 v26, v64 offset:4992
	ds_load_b32 v27, v25 offset:76
	s_wait_dscnt 0x0
	v_fmac_f32_e32 v24, v26, v27
.LBB107_528:                            ;   in Loop: Header=BB107_3 Depth=1
	s_or_b32 exec_lo, exec_lo, s47
	s_delay_alu instid0(SALU_CYCLE_1) | instskip(SKIP_2) | instid1(SALU_CYCLE_1)
	s_mov_b32 s47, exec_lo
	v_readlane_b32 s48, v90, 22
	s_and_b32 s48, s47, s48
	s_mov_b32 exec_lo, s48
	s_cbranch_execz .LBB107_530
; %bb.529:                              ;   in Loop: Header=BB107_3 Depth=1
	ds_load_b32 v26, v64 offset:5248
	ds_load_b32 v27, v25 offset:80
	s_wait_dscnt 0x0
	v_fmac_f32_e32 v24, v26, v27
.LBB107_530:                            ;   in Loop: Header=BB107_3 Depth=1
	s_or_b32 exec_lo, exec_lo, s47
	s_delay_alu instid0(SALU_CYCLE_1) | instskip(SKIP_2) | instid1(SALU_CYCLE_1)
	s_mov_b32 s47, exec_lo
	v_readlane_b32 s48, v90, 23
	s_and_b32 s48, s47, s48
	s_mov_b32 exec_lo, s48
	s_cbranch_execz .LBB107_532
; %bb.531:                              ;   in Loop: Header=BB107_3 Depth=1
	ds_load_b32 v26, v64 offset:5504
	ds_load_b32 v27, v25 offset:84
	s_wait_dscnt 0x0
	v_fmac_f32_e32 v24, v26, v27
.LBB107_532:                            ;   in Loop: Header=BB107_3 Depth=1
	s_or_b32 exec_lo, exec_lo, s47
	s_delay_alu instid0(SALU_CYCLE_1) | instskip(SKIP_2) | instid1(SALU_CYCLE_1)
	s_mov_b32 s47, exec_lo
	v_readlane_b32 s48, v90, 24
	s_and_b32 s48, s47, s48
	s_mov_b32 exec_lo, s48
	s_cbranch_execz .LBB107_534
; %bb.533:                              ;   in Loop: Header=BB107_3 Depth=1
	ds_load_b32 v26, v64 offset:5760
	ds_load_b32 v27, v25 offset:88
	s_wait_dscnt 0x0
	v_fmac_f32_e32 v24, v26, v27
.LBB107_534:                            ;   in Loop: Header=BB107_3 Depth=1
	s_or_b32 exec_lo, exec_lo, s47
	s_delay_alu instid0(SALU_CYCLE_1) | instskip(SKIP_2) | instid1(SALU_CYCLE_1)
	s_mov_b32 s47, exec_lo
	v_readlane_b32 s48, v90, 25
	s_and_b32 s48, s47, s48
	s_mov_b32 exec_lo, s48
	s_cbranch_execz .LBB107_536
; %bb.535:                              ;   in Loop: Header=BB107_3 Depth=1
	ds_load_b32 v26, v64 offset:6016
	ds_load_b32 v27, v25 offset:92
	s_wait_dscnt 0x0
	v_fmac_f32_e32 v24, v26, v27
.LBB107_536:                            ;   in Loop: Header=BB107_3 Depth=1
	s_or_b32 exec_lo, exec_lo, s47
	s_and_saveexec_b32 s47, s6
	s_cbranch_execz .LBB107_538
; %bb.537:                              ;   in Loop: Header=BB107_3 Depth=1
	ds_load_b32 v26, v64 offset:6272
	ds_load_b32 v27, v25 offset:96
	s_wait_dscnt 0x0
	v_fmac_f32_e32 v24, v26, v27
.LBB107_538:                            ;   in Loop: Header=BB107_3 Depth=1
	s_or_b32 exec_lo, exec_lo, s47
	s_delay_alu instid0(SALU_CYCLE_1) | instskip(SKIP_2) | instid1(SALU_CYCLE_1)
	s_mov_b32 s47, exec_lo
	v_readlane_b32 s48, v91, 25
	s_and_b32 s48, s47, s48
	s_mov_b32 exec_lo, s48
	s_cbranch_execz .LBB107_540
; %bb.539:                              ;   in Loop: Header=BB107_3 Depth=1
	ds_load_b32 v26, v64 offset:6528
	ds_load_b32 v27, v25 offset:100
	s_wait_dscnt 0x0
	v_fmac_f32_e32 v24, v26, v27
.LBB107_540:                            ;   in Loop: Header=BB107_3 Depth=1
	s_or_b32 exec_lo, exec_lo, s47
	s_delay_alu instid0(SALU_CYCLE_1) | instskip(SKIP_2) | instid1(SALU_CYCLE_1)
	s_mov_b32 s47, exec_lo
	v_readlane_b32 s48, v91, 27
	s_and_b32 s48, s47, s48
	s_mov_b32 exec_lo, s48
	;; [unrolled: 13-line block ×5, first 2 shown]
	s_cbranch_execnz .LBB107_1231
; %bb.547:                              ;   in Loop: Header=BB107_3 Depth=1
	s_or_b32 exec_lo, exec_lo, s47
	s_and_saveexec_b32 s47, s5
	s_cbranch_execnz .LBB107_1232
.LBB107_548:                            ;   in Loop: Header=BB107_3 Depth=1
	s_or_b32 exec_lo, exec_lo, s47
	s_and_saveexec_b32 s47, s22
	s_cbranch_execz .LBB107_550
.LBB107_549:                            ;   in Loop: Header=BB107_3 Depth=1
	ds_load_b32 v25, v30 offset:8064
	ds_load_b32 v26, v5 offset:124
	s_wait_dscnt 0x0
	v_fmac_f32_e32 v24, v25, v26
.LBB107_550:                            ;   in Loop: Header=BB107_3 Depth=1
	s_or_b32 exec_lo, exec_lo, s47
	s_delay_alu instid0(VALU_DEP_1)
	v_xor_b32_e32 v24, 0x80000000, v24
.LBB107_551:                            ;   in Loop: Header=BB107_3 Depth=1
	s_or_b32 exec_lo, exec_lo, s84
	s_delay_alu instid0(SALU_CYCLE_1) | instskip(SKIP_2) | instid1(SALU_CYCLE_1)
	s_mov_b32 s47, exec_lo
	v_readlane_b32 s48, v93, 8
	s_and_b32 s48, s47, s48
	s_mov_b32 exec_lo, s48
	s_cbranch_execz .LBB107_553
; %bb.552:                              ;   in Loop: Header=BB107_3 Depth=1
	ds_load_b32 v25, v5 offset:8320
	s_wait_dscnt 0x0
	v_mul_f32_e32 v24, v24, v25
	ds_store_b32 v62, v24
.LBB107_553:                            ;   in Loop: Header=BB107_3 Depth=1
	s_or_b32 exec_lo, exec_lo, s47
	s_wait_dscnt 0x0
	s_barrier_signal -1
	s_barrier_wait -1
	s_mov_b32 s47, exec_lo
	v_readlane_b32 s48, v93, 9
	s_and_b32 s48, s47, s48
	s_delay_alu instid0(SALU_CYCLE_1)
	s_mov_b32 exec_lo, s48
	s_cbranch_execz .LBB107_555
; %bb.554:                              ;   in Loop: Header=BB107_3 Depth=1
	ds_load_b32 v25, v63 offset:8320
	ds_load_b32 v26, v62
	s_wait_dscnt 0x0
	v_fmac_f32_e32 v24, v25, v26
.LBB107_555:                            ;   in Loop: Header=BB107_3 Depth=1
	s_or_b32 exec_lo, exec_lo, s47
	s_barrier_signal -1
	s_barrier_wait -1
	s_mov_b32 s47, exec_lo
	v_readlane_b32 s48, v93, 10
	s_and_b32 s48, s47, s48
	s_delay_alu instid0(SALU_CYCLE_1)
	s_mov_b32 exec_lo, s48
	s_cbranch_execz .LBB107_557
; %bb.556:                              ;   in Loop: Header=BB107_3 Depth=1
	ds_load_b32 v25, v5 offset:8580
	s_wait_dscnt 0x0
	v_mul_f32_e32 v24, v24, v25
	ds_store_b32 v62, v24
.LBB107_557:                            ;   in Loop: Header=BB107_3 Depth=1
	s_or_b32 exec_lo, exec_lo, s47
	s_wait_dscnt 0x0
	s_barrier_signal -1
	s_barrier_wait -1
	s_mov_b32 s47, exec_lo
	v_readlane_b32 s48, v93, 11
	s_and_b32 s48, s47, s48
	s_delay_alu instid0(SALU_CYCLE_1)
	s_mov_b32 exec_lo, s48
	s_cbranch_execz .LBB107_559
; %bb.558:                              ;   in Loop: Header=BB107_3 Depth=1
	ds_load_b32 v25, v63 offset:8576
	ds_load_b32 v26, v62
	s_wait_dscnt 0x0
	v_fmac_f32_e32 v24, v25, v26
.LBB107_559:                            ;   in Loop: Header=BB107_3 Depth=1
	s_or_b32 exec_lo, exec_lo, s47
	s_barrier_signal -1
	s_barrier_wait -1
	s_mov_b32 s47, exec_lo
	v_readlane_b32 s48, v93, 12
	s_and_b32 s48, s47, s48
	s_delay_alu instid0(SALU_CYCLE_1)
	;; [unrolled: 31-line block ×30, first 2 shown]
	s_mov_b32 exec_lo, s48
	s_cbranch_execz .LBB107_673
; %bb.672:                              ;   in Loop: Header=BB107_3 Depth=1
	ds_load_b32 v25, v5 offset:16120
	s_wait_dscnt 0x0
	v_mul_f32_e32 v24, v24, v25
	ds_store_b32 v62, v24
.LBB107_673:                            ;   in Loop: Header=BB107_3 Depth=1
	s_or_b32 exec_lo, exec_lo, s47
	s_wait_dscnt 0x0
	s_barrier_signal -1
	s_barrier_wait -1
	s_and_saveexec_b32 s47, s14
	s_cbranch_execz .LBB107_675
; %bb.674:                              ;   in Loop: Header=BB107_3 Depth=1
	ds_load_b32 v25, v5 offset:16124
	ds_load_b32 v26, v62
	s_wait_dscnt 0x0
	v_fmac_f32_e32 v24, v25, v26
.LBB107_675:                            ;   in Loop: Header=BB107_3 Depth=1
	s_or_b32 exec_lo, exec_lo, s47
	s_barrier_signal -1
	s_barrier_wait -1
	s_and_saveexec_b32 s47, s14
	s_cbranch_execz .LBB107_677
; %bb.676:                              ;   in Loop: Header=BB107_3 Depth=1
	ds_load_b32 v25, v5 offset:16380
	s_wait_dscnt 0x0
	v_mul_f32_e32 v24, v24, v25
	ds_store_b32 v62, v24
.LBB107_677:                            ;   in Loop: Header=BB107_3 Depth=1
	s_or_b32 exec_lo, exec_lo, s47
	s_wait_dscnt 0x0
	s_barrier_signal -1
	s_barrier_wait -1
	s_barrier_signal -1
	s_barrier_wait -1
	s_and_saveexec_b32 s47, s7
; %bb.678:                              ;   in Loop: Header=BB107_3 Depth=1
	v_xor_b32_e32 v24, 0x80000000, v24
	ds_store_b32 v64, v24 offset:128
; %bb.679:                              ;   in Loop: Header=BB107_3 Depth=1
	s_or_b32 exec_lo, exec_lo, s47
	s_wait_dscnt 0x0
	s_barrier_signal -1
	s_barrier_wait -1
	s_barrier_signal -1
	s_barrier_wait -1
	s_mov_b32 s47, exec_lo
	v_readlane_b32 s48, v91, 5
	s_and_b32 s48, s47, s48
	s_delay_alu instid0(SALU_CYCLE_1)
	s_mov_b32 exec_lo, s48
	s_cbranch_execz .LBB107_681
; %bb.680:                              ;   in Loop: Header=BB107_3 Depth=1
	ds_load_b32 v24, v32 offset:128
	s_wait_dscnt 0x0
	ds_store_b32 v66, v24 offset:8192
	ds_load_b32 v24, v32 offset:132
	s_wait_dscnt 0x0
	ds_store_b32 v66, v24 offset:8448
	;; [unrolled: 3-line block ×32, first 2 shown]
.LBB107_681:                            ;   in Loop: Header=BB107_3 Depth=1
	s_or_b32 exec_lo, exec_lo, s47
	s_wait_dscnt 0x0
	s_barrier_signal -1
	s_barrier_wait -1
	s_and_saveexec_b32 s47, s15
	s_cbranch_execz .LBB107_683
; %bb.682:                              ;   in Loop: Header=BB107_3 Depth=1
	ds_load_b64 v[24:25], v5 offset:8320
	ds_load_b32 v26, v5 offset:8580
	s_wait_dscnt 0x0
	v_mul_f32_e32 v24, v24, v26
	s_delay_alu instid0(VALU_DEP_1)
	v_mul_f32_e32 v24, v25, v24
	v_add_nc_u32_e64 v25, 0x2000, 0
	ds_store_2addr_b32 v25, v24, v24 offset0:33 offset1:96
.LBB107_683:                            ;   in Loop: Header=BB107_3 Depth=1
	s_or_b32 exec_lo, exec_lo, s47
	v_mov_b32_e32 v24, 0
	s_wait_dscnt 0x0
	s_barrier_signal -1
	s_barrier_wait -1
	s_and_saveexec_b32 s47, s2
	s_cbranch_execz .LBB107_687
; %bb.684:                              ;   in Loop: Header=BB107_3 Depth=1
	ds_load_b32 v24, v65 offset:8328
	ds_load_b32 v25, v29 offset:8320
	s_wait_dscnt 0x0
	v_fma_f32 v24, v24, v25, 0
	s_and_saveexec_b32 s48, s16
	s_cbranch_execz .LBB107_686
; %bb.685:                              ;   in Loop: Header=BB107_3 Depth=1
	ds_load_b32 v25, v30 offset:8584
	ds_load_b32 v26, v5 offset:8324
	s_wait_dscnt 0x0
	v_fmac_f32_e32 v24, v25, v26
.LBB107_686:                            ;   in Loop: Header=BB107_3 Depth=1
	s_or_b32 exec_lo, exec_lo, s48
	s_delay_alu instid0(VALU_DEP_1)
	v_xor_b32_e32 v24, 0x80000000, v24
.LBB107_687:                            ;   in Loop: Header=BB107_3 Depth=1
	s_or_b32 exec_lo, exec_lo, s47
	s_and_saveexec_b32 s47, s91
	s_cbranch_execz .LBB107_689
; %bb.688:                              ;   in Loop: Header=BB107_3 Depth=1
	ds_load_b32 v25, v5 offset:8840
	s_wait_dscnt 0x0
	v_mul_f32_e32 v24, v24, v25
	ds_store_b32 v3, v24
.LBB107_689:                            ;   in Loop: Header=BB107_3 Depth=1
	s_or_b32 exec_lo, exec_lo, s47
	s_wait_dscnt 0x0
	s_barrier_signal -1
	s_barrier_wait -1
	s_and_saveexec_b32 s47, s92
	s_cbranch_execz .LBB107_691
; %bb.690:                              ;   in Loop: Header=BB107_3 Depth=1
	ds_load_b32 v25, v5 offset:8844
	ds_load_b32 v26, v3
	s_wait_dscnt 0x0
	v_fmac_f32_e32 v24, v25, v26
.LBB107_691:                            ;   in Loop: Header=BB107_3 Depth=1
	s_or_b32 exec_lo, exec_lo, s47
	s_barrier_signal -1
	s_barrier_wait -1
	s_and_saveexec_b32 s47, s92
	s_cbranch_execz .LBB107_693
; %bb.692:                              ;   in Loop: Header=BB107_3 Depth=1
	ds_load_b32 v25, v5 offset:9100
	s_wait_dscnt 0x0
	v_mul_f32_e32 v24, v24, v25
	ds_store_b32 v3, v24
.LBB107_693:                            ;   in Loop: Header=BB107_3 Depth=1
	s_or_b32 exec_lo, exec_lo, s47
	s_wait_dscnt 0x0
	s_barrier_signal -1
	s_barrier_wait -1
	s_barrier_signal -1
	s_barrier_wait -1
	s_and_saveexec_b32 s47, s2
; %bb.694:                              ;   in Loop: Header=BB107_3 Depth=1
	v_xor_b32_e32 v24, 0x80000000, v24
	ds_store_b32 v65, v24 offset:8328
; %bb.695:                              ;   in Loop: Header=BB107_3 Depth=1
	s_or_b32 exec_lo, exec_lo, s47
	s_wait_dscnt 0x0
	s_barrier_signal -1
	s_barrier_wait -1
	s_barrier_signal -1
	s_barrier_wait -1
	s_and_saveexec_b32 s47, s93
	s_cbranch_execz .LBB107_697
; %bb.696:                              ;   in Loop: Header=BB107_3 Depth=1
	ds_load_b32 v24, v34 offset:8328
	s_wait_dscnt 0x0
	ds_store_b32 v30, v24 offset:8832
	ds_load_b32 v24, v34 offset:8332
	s_wait_dscnt 0x0
	ds_store_b32 v30, v24 offset:9088
.LBB107_697:                            ;   in Loop: Header=BB107_3 Depth=1
	s_or_b32 exec_lo, exec_lo, s47
	s_wait_dscnt 0x0
	s_barrier_signal -1
	s_barrier_wait -1
	s_and_saveexec_b32 s47, s15
	s_cbranch_execz .LBB107_699
; %bb.698:                              ;   in Loop: Header=BB107_3 Depth=1
	ds_load_b64 v[24:25], v5 offset:8840
	ds_load_b32 v26, v5 offset:9100
	s_wait_dscnt 0x0
	v_mul_f32_e32 v24, v24, v26
	s_delay_alu instid0(VALU_DEP_1)
	v_mul_f32_e32 v24, v25, v24
	v_add_nc_u32_e64 v25, 0x2000, 0
	ds_store_2addr_b32 v25, v24, v24 offset0:163 offset1:226
.LBB107_699:                            ;   in Loop: Header=BB107_3 Depth=1
	s_or_b32 exec_lo, exec_lo, s47
	v_mov_b32_e32 v24, 0
	s_wait_dscnt 0x0
	s_barrier_signal -1
	s_barrier_wait -1
	s_and_saveexec_b32 s47, s4
	s_cbranch_execz .LBB107_705
; %bb.700:                              ;   in Loop: Header=BB107_3 Depth=1
	ds_load_b32 v24, v36 offset:8336
	ds_load_b32 v25, v31 offset:8320
	s_wait_dscnt 0x0
	v_fma_f32 v24, v24, v25, 0
	s_and_saveexec_b32 s48, s17
	s_cbranch_execnz .LBB107_1233
; %bb.701:                              ;   in Loop: Header=BB107_3 Depth=1
	s_or_b32 exec_lo, exec_lo, s48
	s_and_saveexec_b32 s48, s18
	s_cbranch_execnz .LBB107_1234
.LBB107_702:                            ;   in Loop: Header=BB107_3 Depth=1
	s_or_b32 exec_lo, exec_lo, s48
	s_and_saveexec_b32 s48, s2
	s_cbranch_execz .LBB107_704
.LBB107_703:                            ;   in Loop: Header=BB107_3 Depth=1
	ds_load_b32 v25, v38 offset:9104
	ds_load_b32 v26, v5 offset:8332
	s_wait_dscnt 0x0
	v_fmac_f32_e32 v24, v25, v26
.LBB107_704:                            ;   in Loop: Header=BB107_3 Depth=1
	s_or_b32 exec_lo, exec_lo, s48
	s_delay_alu instid0(VALU_DEP_1)
	v_xor_b32_e32 v24, 0x80000000, v24
.LBB107_705:                            ;   in Loop: Header=BB107_3 Depth=1
	s_or_b32 exec_lo, exec_lo, s47
	s_and_saveexec_b32 s47, s94
	s_cbranch_execz .LBB107_707
; %bb.706:                              ;   in Loop: Header=BB107_3 Depth=1
	ds_load_b32 v25, v5 offset:9360
	s_wait_dscnt 0x0
	v_mul_f32_e32 v24, v24, v25
	ds_store_b32 v35, v24
.LBB107_707:                            ;   in Loop: Header=BB107_3 Depth=1
	s_or_b32 exec_lo, exec_lo, s47
	s_wait_dscnt 0x0
	s_barrier_signal -1
	s_barrier_wait -1
	s_and_saveexec_b32 s47, s95
	s_cbranch_execz .LBB107_709
; %bb.708:                              ;   in Loop: Header=BB107_3 Depth=1
	ds_load_b32 v25, v33 offset:9360
	ds_load_b32 v26, v35
	s_wait_dscnt 0x0
	v_fmac_f32_e32 v24, v25, v26
.LBB107_709:                            ;   in Loop: Header=BB107_3 Depth=1
	s_or_b32 exec_lo, exec_lo, s47
	s_barrier_signal -1
	s_barrier_wait -1
	s_and_saveexec_b32 s47, s96
	s_cbranch_execz .LBB107_711
; %bb.710:                              ;   in Loop: Header=BB107_3 Depth=1
	ds_load_b32 v25, v5 offset:9620
	s_wait_dscnt 0x0
	v_mul_f32_e32 v24, v24, v25
	ds_store_b32 v35, v24
.LBB107_711:                            ;   in Loop: Header=BB107_3 Depth=1
	s_or_b32 exec_lo, exec_lo, s47
	s_wait_dscnt 0x0
	s_barrier_signal -1
	s_barrier_wait -1
	s_and_saveexec_b32 s47, s97
	s_cbranch_execz .LBB107_713
; %bb.712:                              ;   in Loop: Header=BB107_3 Depth=1
	ds_load_b32 v25, v33 offset:9616
	ds_load_b32 v26, v35
	s_wait_dscnt 0x0
	v_fmac_f32_e32 v24, v25, v26
.LBB107_713:                            ;   in Loop: Header=BB107_3 Depth=1
	s_or_b32 exec_lo, exec_lo, s47
	s_barrier_signal -1
	s_barrier_wait -1
	;; [unrolled: 23-line block ×3, first 2 shown]
	s_and_saveexec_b32 s47, s99
	s_cbranch_execz .LBB107_719
; %bb.718:                              ;   in Loop: Header=BB107_3 Depth=1
	ds_load_b32 v25, v5 offset:10140
	s_wait_dscnt 0x0
	v_mul_f32_e32 v24, v24, v25
	ds_store_b32 v35, v24
.LBB107_719:                            ;   in Loop: Header=BB107_3 Depth=1
	s_or_b32 exec_lo, exec_lo, s47
	s_wait_dscnt 0x0
	s_barrier_signal -1
	s_barrier_wait -1
	s_barrier_signal -1
	s_barrier_wait -1
	s_and_saveexec_b32 s47, s4
; %bb.720:                              ;   in Loop: Header=BB107_3 Depth=1
	v_xor_b32_e32 v24, 0x80000000, v24
	ds_store_b32 v36, v24 offset:8336
; %bb.721:                              ;   in Loop: Header=BB107_3 Depth=1
	s_or_b32 exec_lo, exec_lo, s47
	s_wait_dscnt 0x0
	s_barrier_signal -1
	s_barrier_wait -1
	s_barrier_signal -1
	s_barrier_wait -1
	s_and_saveexec_b32 s47, s100
	s_cbranch_execz .LBB107_723
; %bb.722:                              ;   in Loop: Header=BB107_3 Depth=1
	ds_load_b32 v24, v51 offset:8336
	s_wait_dscnt 0x0
	ds_store_b32 v52, v24 offset:9344
	ds_load_b32 v24, v51 offset:8340
	s_wait_dscnt 0x0
	ds_store_b32 v52, v24 offset:9600
	;; [unrolled: 3-line block ×4, first 2 shown]
.LBB107_723:                            ;   in Loop: Header=BB107_3 Depth=1
	s_or_b32 exec_lo, exec_lo, s47
	s_wait_dscnt 0x0
	s_barrier_signal -1
	s_barrier_wait -1
	s_and_saveexec_b32 s47, s15
	s_cbranch_execz .LBB107_725
; %bb.724:                              ;   in Loop: Header=BB107_3 Depth=1
	ds_load_b64 v[24:25], v5 offset:9360
	ds_load_b32 v26, v5 offset:9620
	s_wait_dscnt 0x0
	v_mul_f32_e32 v24, v24, v26
	s_delay_alu instid0(VALU_DEP_1)
	v_mul_f32_e32 v24, v25, v24
	v_add_nc_u32_e64 v25, 0x2400, 0
	ds_store_2addr_b32 v25, v24, v24 offset0:37 offset1:100
.LBB107_725:                            ;   in Loop: Header=BB107_3 Depth=1
	s_or_b32 exec_lo, exec_lo, s47
	v_mov_b32_e32 v24, 0
	s_wait_dscnt 0x0
	s_barrier_signal -1
	s_barrier_wait -1
	s_and_saveexec_b32 s47, s2
	s_cbranch_execz .LBB107_729
; %bb.726:                              ;   in Loop: Header=BB107_3 Depth=1
	ds_load_b32 v24, v65 offset:9368
	ds_load_b32 v25, v29 offset:9360
	s_wait_dscnt 0x0
	v_fma_f32 v24, v24, v25, 0
	s_and_saveexec_b32 s48, s16
	s_cbranch_execz .LBB107_728
; %bb.727:                              ;   in Loop: Header=BB107_3 Depth=1
	ds_load_b32 v25, v52 offset:9624
	ds_load_b32 v26, v5 offset:9364
	s_wait_dscnt 0x0
	v_fmac_f32_e32 v24, v25, v26
.LBB107_728:                            ;   in Loop: Header=BB107_3 Depth=1
	s_or_b32 exec_lo, exec_lo, s48
	s_delay_alu instid0(VALU_DEP_1)
	v_xor_b32_e32 v24, 0x80000000, v24
.LBB107_729:                            ;   in Loop: Header=BB107_3 Depth=1
	s_or_b32 exec_lo, exec_lo, s47
	s_and_saveexec_b32 s47, s91
	s_cbranch_execz .LBB107_731
; %bb.730:                              ;   in Loop: Header=BB107_3 Depth=1
	ds_load_b32 v25, v5 offset:9880
	s_wait_dscnt 0x0
	v_mul_f32_e32 v24, v24, v25
	ds_store_b32 v3, v24
.LBB107_731:                            ;   in Loop: Header=BB107_3 Depth=1
	s_or_b32 exec_lo, exec_lo, s47
	s_wait_dscnt 0x0
	s_barrier_signal -1
	s_barrier_wait -1
	s_and_saveexec_b32 s47, s92
	s_cbranch_execz .LBB107_733
; %bb.732:                              ;   in Loop: Header=BB107_3 Depth=1
	ds_load_b32 v25, v5 offset:9884
	ds_load_b32 v26, v3
	s_wait_dscnt 0x0
	v_fmac_f32_e32 v24, v25, v26
.LBB107_733:                            ;   in Loop: Header=BB107_3 Depth=1
	s_or_b32 exec_lo, exec_lo, s47
	s_barrier_signal -1
	s_barrier_wait -1
	s_and_saveexec_b32 s47, s92
	s_cbranch_execz .LBB107_735
; %bb.734:                              ;   in Loop: Header=BB107_3 Depth=1
	ds_load_b32 v25, v5 offset:10140
	s_wait_dscnt 0x0
	v_mul_f32_e32 v24, v24, v25
	ds_store_b32 v3, v24
.LBB107_735:                            ;   in Loop: Header=BB107_3 Depth=1
	s_or_b32 exec_lo, exec_lo, s47
	s_wait_dscnt 0x0
	s_barrier_signal -1
	s_barrier_wait -1
	s_barrier_signal -1
	s_barrier_wait -1
	s_and_saveexec_b32 s47, s2
; %bb.736:                              ;   in Loop: Header=BB107_3 Depth=1
	v_xor_b32_e32 v24, 0x80000000, v24
	ds_store_b32 v65, v24 offset:9368
; %bb.737:                              ;   in Loop: Header=BB107_3 Depth=1
	s_or_b32 exec_lo, exec_lo, s47
	s_wait_dscnt 0x0
	s_barrier_signal -1
	s_barrier_wait -1
	s_barrier_signal -1
	s_barrier_wait -1
	s_and_saveexec_b32 s47, s93
	s_cbranch_execz .LBB107_739
; %bb.738:                              ;   in Loop: Header=BB107_3 Depth=1
	ds_load_b32 v24, v53 offset:9368
	s_wait_dscnt 0x0
	ds_store_b32 v52, v24 offset:9872
	ds_load_b32 v24, v53 offset:9372
	s_wait_dscnt 0x0
	ds_store_b32 v52, v24 offset:10128
.LBB107_739:                            ;   in Loop: Header=BB107_3 Depth=1
	s_or_b32 exec_lo, exec_lo, s47
	s_wait_dscnt 0x0
	s_barrier_signal -1
	s_barrier_wait -1
	s_and_saveexec_b32 s47, s15
	s_cbranch_execz .LBB107_741
; %bb.740:                              ;   in Loop: Header=BB107_3 Depth=1
	ds_load_b64 v[24:25], v5 offset:9880
	ds_load_b32 v26, v5 offset:10140
	s_wait_dscnt 0x0
	v_mul_f32_e32 v24, v24, v26
	s_delay_alu instid0(VALU_DEP_1)
	v_mul_f32_e32 v24, v25, v24
	v_add_nc_u32_e64 v25, 0x2400, 0
	ds_store_2addr_b32 v25, v24, v24 offset0:167 offset1:230
.LBB107_741:                            ;   in Loop: Header=BB107_3 Depth=1
	s_or_b32 exec_lo, exec_lo, s47
	v_mov_b32_e32 v24, 0
	s_wait_dscnt 0x0
	s_barrier_signal -1
	s_barrier_wait -1
	s_and_saveexec_b32 s47, s5
	s_cbranch_execz .LBB107_751
; %bb.742:                              ;   in Loop: Header=BB107_3 Depth=1
	ds_load_b32 v24, v42 offset:8352
	ds_load_b32 v25, v39 offset:8320
	s_wait_dscnt 0x0
	v_fma_f32 v24, v24, v25, 0
	s_and_saveexec_b32 s48, s19
	s_cbranch_execnz .LBB107_1235
; %bb.743:                              ;   in Loop: Header=BB107_3 Depth=1
	s_or_b32 exec_lo, exec_lo, s48
	s_and_saveexec_b32 s48, s20
	s_cbranch_execnz .LBB107_1236
.LBB107_744:                            ;   in Loop: Header=BB107_3 Depth=1
	s_or_b32 exec_lo, exec_lo, s48
	s_and_saveexec_b32 s48, s21
	s_cbranch_execnz .LBB107_1237
.LBB107_745:                            ;   in Loop: Header=BB107_3 Depth=1
	s_or_b32 exec_lo, exec_lo, s48
	s_and_saveexec_b32 s48, s22
	s_cbranch_execnz .LBB107_1238
.LBB107_746:                            ;   in Loop: Header=BB107_3 Depth=1
	s_or_b32 exec_lo, exec_lo, s48
	s_and_saveexec_b32 s48, s23
	s_cbranch_execnz .LBB107_1239
.LBB107_747:                            ;   in Loop: Header=BB107_3 Depth=1
	s_or_b32 exec_lo, exec_lo, s48
	s_and_saveexec_b32 s48, s4
	s_cbranch_execnz .LBB107_1240
.LBB107_748:                            ;   in Loop: Header=BB107_3 Depth=1
	s_or_b32 exec_lo, exec_lo, s48
	s_and_saveexec_b32 s48, s18
	s_cbranch_execz .LBB107_750
.LBB107_749:                            ;   in Loop: Header=BB107_3 Depth=1
	ds_load_b32 v25, v54 offset:10144
	ds_load_b32 v26, v5 offset:8348
	s_wait_dscnt 0x0
	v_fmac_f32_e32 v24, v25, v26
.LBB107_750:                            ;   in Loop: Header=BB107_3 Depth=1
	s_or_b32 exec_lo, exec_lo, s48
	s_delay_alu instid0(VALU_DEP_1)
	v_xor_b32_e32 v24, 0x80000000, v24
.LBB107_751:                            ;   in Loop: Header=BB107_3 Depth=1
	s_or_b32 exec_lo, exec_lo, s47
	s_and_saveexec_b32 s47, s101
	s_cbranch_execz .LBB107_753
; %bb.752:                              ;   in Loop: Header=BB107_3 Depth=1
	ds_load_b32 v25, v5 offset:10400
	s_wait_dscnt 0x0
	v_mul_f32_e32 v24, v24, v25
	ds_store_b32 v41, v24
.LBB107_753:                            ;   in Loop: Header=BB107_3 Depth=1
	s_or_b32 exec_lo, exec_lo, s47
	s_wait_dscnt 0x0
	s_barrier_signal -1
	s_barrier_wait -1
	s_and_saveexec_b32 s47, s102
	s_cbranch_execz .LBB107_755
; %bb.754:                              ;   in Loop: Header=BB107_3 Depth=1
	ds_load_b32 v25, v40 offset:10400
	ds_load_b32 v26, v41
	s_wait_dscnt 0x0
	v_fmac_f32_e32 v24, v25, v26
.LBB107_755:                            ;   in Loop: Header=BB107_3 Depth=1
	s_or_b32 exec_lo, exec_lo, s47
	s_barrier_signal -1
	s_barrier_wait -1
	s_and_saveexec_b32 s47, s103
	s_cbranch_execz .LBB107_757
; %bb.756:                              ;   in Loop: Header=BB107_3 Depth=1
	ds_load_b32 v25, v5 offset:10660
	s_wait_dscnt 0x0
	v_mul_f32_e32 v24, v24, v25
	ds_store_b32 v41, v24
.LBB107_757:                            ;   in Loop: Header=BB107_3 Depth=1
	s_or_b32 exec_lo, exec_lo, s47
	s_wait_dscnt 0x0
	s_barrier_signal -1
	s_barrier_wait -1
	s_and_saveexec_b32 s47, s104
	s_cbranch_execz .LBB107_759
; %bb.758:                              ;   in Loop: Header=BB107_3 Depth=1
	ds_load_b32 v25, v40 offset:10656
	ds_load_b32 v26, v41
	s_wait_dscnt 0x0
	v_fmac_f32_e32 v24, v25, v26
.LBB107_759:                            ;   in Loop: Header=BB107_3 Depth=1
	s_or_b32 exec_lo, exec_lo, s47
	s_barrier_signal -1
	s_barrier_wait -1
	s_and_saveexec_b32 s47, vcc_hi
	s_cbranch_execz .LBB107_761
; %bb.760:                              ;   in Loop: Header=BB107_3 Depth=1
	ds_load_b32 v25, v5 offset:10920
	s_wait_dscnt 0x0
	v_mul_f32_e32 v24, v24, v25
	ds_store_b32 v41, v24
.LBB107_761:                            ;   in Loop: Header=BB107_3 Depth=1
	s_or_b32 exec_lo, exec_lo, s47
	s_wait_dscnt 0x0
	s_barrier_signal -1
	s_barrier_wait -1
	s_and_saveexec_b32 s47, s36
	s_cbranch_execz .LBB107_763
; %bb.762:                              ;   in Loop: Header=BB107_3 Depth=1
	ds_load_b32 v25, v40 offset:10912
	ds_load_b32 v26, v41
	s_wait_dscnt 0x0
	v_fmac_f32_e32 v24, v25, v26
.LBB107_763:                            ;   in Loop: Header=BB107_3 Depth=1
	s_or_b32 exec_lo, exec_lo, s47
	s_barrier_signal -1
	s_barrier_wait -1
	s_and_saveexec_b32 s47, s37
	s_cbranch_execz .LBB107_765
; %bb.764:                              ;   in Loop: Header=BB107_3 Depth=1
	ds_load_b32 v25, v5 offset:11180
	s_wait_dscnt 0x0
	v_mul_f32_e32 v24, v24, v25
	ds_store_b32 v41, v24
.LBB107_765:                            ;   in Loop: Header=BB107_3 Depth=1
	s_or_b32 exec_lo, exec_lo, s47
	s_wait_dscnt 0x0
	s_barrier_signal -1
	s_barrier_wait -1
	s_and_saveexec_b32 s47, s38
	s_cbranch_execz .LBB107_767
; %bb.766:                              ;   in Loop: Header=BB107_3 Depth=1
	ds_load_b32 v25, v40 offset:11168
	ds_load_b32 v26, v41
	s_wait_dscnt 0x0
	v_fmac_f32_e32 v24, v25, v26
.LBB107_767:                            ;   in Loop: Header=BB107_3 Depth=1
	s_or_b32 exec_lo, exec_lo, s47
	s_barrier_signal -1
	s_barrier_wait -1
	s_and_saveexec_b32 s47, s39
	;; [unrolled: 23-line block ×5, first 2 shown]
	s_cbranch_execz .LBB107_781
; %bb.780:                              ;   in Loop: Header=BB107_3 Depth=1
	ds_load_b32 v25, v5 offset:12220
	s_wait_dscnt 0x0
	v_mul_f32_e32 v24, v24, v25
	ds_store_b32 v41, v24
.LBB107_781:                            ;   in Loop: Header=BB107_3 Depth=1
	s_or_b32 exec_lo, exec_lo, s47
	s_wait_dscnt 0x0
	s_barrier_signal -1
	s_barrier_wait -1
	s_barrier_signal -1
	s_barrier_wait -1
	s_and_saveexec_b32 s47, s5
; %bb.782:                              ;   in Loop: Header=BB107_3 Depth=1
	v_xor_b32_e32 v24, 0x80000000, v24
	ds_store_b32 v42, v24 offset:8352
; %bb.783:                              ;   in Loop: Header=BB107_3 Depth=1
	s_or_b32 exec_lo, exec_lo, s47
	s_wait_dscnt 0x0
	s_barrier_signal -1
	s_barrier_wait -1
	s_barrier_signal -1
	s_barrier_wait -1
	s_and_saveexec_b32 s47, s45
	s_cbranch_execz .LBB107_785
; %bb.784:                              ;   in Loop: Header=BB107_3 Depth=1
	ds_load_b32 v24, v55 offset:8352
	s_wait_dscnt 0x0
	ds_store_b32 v56, v24 offset:10368
	ds_load_b32 v24, v55 offset:8356
	s_wait_dscnt 0x0
	ds_store_b32 v56, v24 offset:10624
	;; [unrolled: 3-line block ×8, first 2 shown]
.LBB107_785:                            ;   in Loop: Header=BB107_3 Depth=1
	s_or_b32 exec_lo, exec_lo, s47
	s_wait_dscnt 0x0
	s_barrier_signal -1
	s_barrier_wait -1
	s_and_saveexec_b32 s47, s15
	s_cbranch_execz .LBB107_787
; %bb.786:                              ;   in Loop: Header=BB107_3 Depth=1
	ds_load_b64 v[24:25], v5 offset:10400
	ds_load_b32 v26, v5 offset:10660
	s_wait_dscnt 0x0
	v_mul_f32_e32 v24, v24, v26
	s_delay_alu instid0(VALU_DEP_1)
	v_mul_f32_e32 v24, v25, v24
	v_add_nc_u32_e64 v25, 0x2800, 0
	ds_store_2addr_b32 v25, v24, v24 offset0:41 offset1:104
.LBB107_787:                            ;   in Loop: Header=BB107_3 Depth=1
	s_or_b32 exec_lo, exec_lo, s47
	v_mov_b32_e32 v24, 0
	s_wait_dscnt 0x0
	s_barrier_signal -1
	s_barrier_wait -1
	s_and_saveexec_b32 s47, s2
	s_cbranch_execz .LBB107_791
; %bb.788:                              ;   in Loop: Header=BB107_3 Depth=1
	ds_load_b32 v24, v65 offset:10408
	ds_load_b32 v25, v29 offset:10400
	s_wait_dscnt 0x0
	v_fma_f32 v24, v24, v25, 0
	s_and_saveexec_b32 s48, s16
	s_cbranch_execz .LBB107_790
; %bb.789:                              ;   in Loop: Header=BB107_3 Depth=1
	ds_load_b32 v25, v56 offset:10664
	ds_load_b32 v26, v5 offset:10404
	s_wait_dscnt 0x0
	v_fmac_f32_e32 v24, v25, v26
.LBB107_790:                            ;   in Loop: Header=BB107_3 Depth=1
	s_or_b32 exec_lo, exec_lo, s48
	s_delay_alu instid0(VALU_DEP_1)
	v_xor_b32_e32 v24, 0x80000000, v24
.LBB107_791:                            ;   in Loop: Header=BB107_3 Depth=1
	s_or_b32 exec_lo, exec_lo, s47
	s_and_saveexec_b32 s47, s91
	s_cbranch_execz .LBB107_793
; %bb.792:                              ;   in Loop: Header=BB107_3 Depth=1
	ds_load_b32 v25, v5 offset:10920
	s_wait_dscnt 0x0
	v_mul_f32_e32 v24, v24, v25
	ds_store_b32 v3, v24
.LBB107_793:                            ;   in Loop: Header=BB107_3 Depth=1
	s_or_b32 exec_lo, exec_lo, s47
	s_wait_dscnt 0x0
	s_barrier_signal -1
	s_barrier_wait -1
	s_and_saveexec_b32 s47, s92
	s_cbranch_execz .LBB107_795
; %bb.794:                              ;   in Loop: Header=BB107_3 Depth=1
	ds_load_b32 v25, v5 offset:10924
	ds_load_b32 v26, v3
	s_wait_dscnt 0x0
	v_fmac_f32_e32 v24, v25, v26
.LBB107_795:                            ;   in Loop: Header=BB107_3 Depth=1
	s_or_b32 exec_lo, exec_lo, s47
	s_barrier_signal -1
	s_barrier_wait -1
	s_and_saveexec_b32 s47, s92
	s_cbranch_execz .LBB107_797
; %bb.796:                              ;   in Loop: Header=BB107_3 Depth=1
	ds_load_b32 v25, v5 offset:11180
	s_wait_dscnt 0x0
	v_mul_f32_e32 v24, v24, v25
	ds_store_b32 v3, v24
.LBB107_797:                            ;   in Loop: Header=BB107_3 Depth=1
	s_or_b32 exec_lo, exec_lo, s47
	s_wait_dscnt 0x0
	s_barrier_signal -1
	s_barrier_wait -1
	s_barrier_signal -1
	s_barrier_wait -1
	s_and_saveexec_b32 s47, s2
; %bb.798:                              ;   in Loop: Header=BB107_3 Depth=1
	v_xor_b32_e32 v24, 0x80000000, v24
	ds_store_b32 v65, v24 offset:10408
; %bb.799:                              ;   in Loop: Header=BB107_3 Depth=1
	s_or_b32 exec_lo, exec_lo, s47
	s_wait_dscnt 0x0
	s_barrier_signal -1
	s_barrier_wait -1
	s_barrier_signal -1
	s_barrier_wait -1
	s_and_saveexec_b32 s47, s93
	s_cbranch_execz .LBB107_801
; %bb.800:                              ;   in Loop: Header=BB107_3 Depth=1
	ds_load_b32 v24, v57 offset:10408
	s_wait_dscnt 0x0
	ds_store_b32 v56, v24 offset:10912
	ds_load_b32 v24, v57 offset:10412
	s_wait_dscnt 0x0
	ds_store_b32 v56, v24 offset:11168
.LBB107_801:                            ;   in Loop: Header=BB107_3 Depth=1
	s_or_b32 exec_lo, exec_lo, s47
	s_wait_dscnt 0x0
	s_barrier_signal -1
	s_barrier_wait -1
	s_and_saveexec_b32 s47, s15
	s_cbranch_execz .LBB107_803
; %bb.802:                              ;   in Loop: Header=BB107_3 Depth=1
	ds_load_b64 v[24:25], v5 offset:10920
	ds_load_b32 v26, v5 offset:11180
	s_wait_dscnt 0x0
	v_mul_f32_e32 v24, v24, v26
	s_delay_alu instid0(VALU_DEP_1)
	v_mul_f32_e32 v24, v25, v24
	v_add_nc_u32_e64 v25, 0x2800, 0
	ds_store_2addr_b32 v25, v24, v24 offset0:171 offset1:234
.LBB107_803:                            ;   in Loop: Header=BB107_3 Depth=1
	s_or_b32 exec_lo, exec_lo, s47
	v_mov_b32_e32 v24, 0
	s_wait_dscnt 0x0
	s_barrier_signal -1
	s_barrier_wait -1
	s_and_saveexec_b32 s47, s4
	s_cbranch_execz .LBB107_809
; %bb.804:                              ;   in Loop: Header=BB107_3 Depth=1
	ds_load_b32 v24, v36 offset:10416
	ds_load_b32 v25, v31 offset:10400
	s_wait_dscnt 0x0
	v_fma_f32 v24, v24, v25, 0
	s_and_saveexec_b32 s48, s17
	s_cbranch_execnz .LBB107_1241
; %bb.805:                              ;   in Loop: Header=BB107_3 Depth=1
	s_or_b32 exec_lo, exec_lo, s48
	s_and_saveexec_b32 s48, s18
	s_cbranch_execnz .LBB107_1242
.LBB107_806:                            ;   in Loop: Header=BB107_3 Depth=1
	s_or_b32 exec_lo, exec_lo, s48
	s_and_saveexec_b32 s48, s2
	s_cbranch_execz .LBB107_808
.LBB107_807:                            ;   in Loop: Header=BB107_3 Depth=1
	ds_load_b32 v25, v58 offset:11184
	ds_load_b32 v26, v5 offset:10412
	s_wait_dscnt 0x0
	v_fmac_f32_e32 v24, v25, v26
.LBB107_808:                            ;   in Loop: Header=BB107_3 Depth=1
	s_or_b32 exec_lo, exec_lo, s48
	s_delay_alu instid0(VALU_DEP_1)
	v_xor_b32_e32 v24, 0x80000000, v24
.LBB107_809:                            ;   in Loop: Header=BB107_3 Depth=1
	s_or_b32 exec_lo, exec_lo, s47
	s_and_saveexec_b32 s47, s94
	s_cbranch_execz .LBB107_811
; %bb.810:                              ;   in Loop: Header=BB107_3 Depth=1
	ds_load_b32 v25, v5 offset:11440
	s_wait_dscnt 0x0
	v_mul_f32_e32 v24, v24, v25
	ds_store_b32 v35, v24
.LBB107_811:                            ;   in Loop: Header=BB107_3 Depth=1
	s_or_b32 exec_lo, exec_lo, s47
	s_wait_dscnt 0x0
	s_barrier_signal -1
	s_barrier_wait -1
	s_and_saveexec_b32 s47, s95
	s_cbranch_execz .LBB107_813
; %bb.812:                              ;   in Loop: Header=BB107_3 Depth=1
	ds_load_b32 v25, v33 offset:11440
	ds_load_b32 v26, v35
	s_wait_dscnt 0x0
	v_fmac_f32_e32 v24, v25, v26
.LBB107_813:                            ;   in Loop: Header=BB107_3 Depth=1
	s_or_b32 exec_lo, exec_lo, s47
	s_barrier_signal -1
	s_barrier_wait -1
	s_and_saveexec_b32 s47, s96
	s_cbranch_execz .LBB107_815
; %bb.814:                              ;   in Loop: Header=BB107_3 Depth=1
	ds_load_b32 v25, v5 offset:11700
	s_wait_dscnt 0x0
	v_mul_f32_e32 v24, v24, v25
	ds_store_b32 v35, v24
.LBB107_815:                            ;   in Loop: Header=BB107_3 Depth=1
	s_or_b32 exec_lo, exec_lo, s47
	s_wait_dscnt 0x0
	s_barrier_signal -1
	s_barrier_wait -1
	s_and_saveexec_b32 s47, s97
	s_cbranch_execz .LBB107_817
; %bb.816:                              ;   in Loop: Header=BB107_3 Depth=1
	ds_load_b32 v25, v33 offset:11696
	ds_load_b32 v26, v35
	s_wait_dscnt 0x0
	v_fmac_f32_e32 v24, v25, v26
.LBB107_817:                            ;   in Loop: Header=BB107_3 Depth=1
	s_or_b32 exec_lo, exec_lo, s47
	s_barrier_signal -1
	s_barrier_wait -1
	;; [unrolled: 23-line block ×3, first 2 shown]
	s_and_saveexec_b32 s47, s99
	s_cbranch_execz .LBB107_823
; %bb.822:                              ;   in Loop: Header=BB107_3 Depth=1
	ds_load_b32 v25, v5 offset:12220
	s_wait_dscnt 0x0
	v_mul_f32_e32 v24, v24, v25
	ds_store_b32 v35, v24
.LBB107_823:                            ;   in Loop: Header=BB107_3 Depth=1
	s_or_b32 exec_lo, exec_lo, s47
	s_wait_dscnt 0x0
	s_barrier_signal -1
	s_barrier_wait -1
	s_barrier_signal -1
	s_barrier_wait -1
	s_and_saveexec_b32 s47, s4
; %bb.824:                              ;   in Loop: Header=BB107_3 Depth=1
	v_xor_b32_e32 v24, 0x80000000, v24
	ds_store_b32 v36, v24 offset:10416
; %bb.825:                              ;   in Loop: Header=BB107_3 Depth=1
	s_or_b32 exec_lo, exec_lo, s47
	s_wait_dscnt 0x0
	s_barrier_signal -1
	s_barrier_wait -1
	s_barrier_signal -1
	s_barrier_wait -1
	s_and_saveexec_b32 s47, s100
	s_cbranch_execz .LBB107_827
; %bb.826:                              ;   in Loop: Header=BB107_3 Depth=1
	ds_load_b32 v24, v59 offset:10416
	s_wait_dscnt 0x0
	ds_store_b32 v60, v24 offset:11424
	ds_load_b32 v24, v59 offset:10420
	s_wait_dscnt 0x0
	ds_store_b32 v60, v24 offset:11680
	;; [unrolled: 3-line block ×4, first 2 shown]
.LBB107_827:                            ;   in Loop: Header=BB107_3 Depth=1
	s_or_b32 exec_lo, exec_lo, s47
	s_wait_dscnt 0x0
	s_barrier_signal -1
	s_barrier_wait -1
	s_and_saveexec_b32 s47, s15
	s_cbranch_execz .LBB107_829
; %bb.828:                              ;   in Loop: Header=BB107_3 Depth=1
	ds_load_b64 v[24:25], v5 offset:11440
	ds_load_b32 v26, v5 offset:11700
	s_wait_dscnt 0x0
	v_mul_f32_e32 v24, v24, v26
	s_delay_alu instid0(VALU_DEP_1)
	v_mul_f32_e32 v24, v25, v24
	v_add_nc_u32_e64 v25, 0x2c00, 0
	ds_store_2addr_b32 v25, v24, v24 offset0:45 offset1:108
.LBB107_829:                            ;   in Loop: Header=BB107_3 Depth=1
	s_or_b32 exec_lo, exec_lo, s47
	v_mov_b32_e32 v24, 0
	s_wait_dscnt 0x0
	s_barrier_signal -1
	s_barrier_wait -1
	s_and_saveexec_b32 s47, s2
	s_cbranch_execz .LBB107_833
; %bb.830:                              ;   in Loop: Header=BB107_3 Depth=1
	ds_load_b32 v24, v65 offset:11448
	ds_load_b32 v25, v29 offset:11440
	s_wait_dscnt 0x0
	v_fma_f32 v24, v24, v25, 0
	s_and_saveexec_b32 s48, s16
	s_cbranch_execz .LBB107_832
; %bb.831:                              ;   in Loop: Header=BB107_3 Depth=1
	ds_load_b32 v25, v60 offset:11704
	ds_load_b32 v26, v5 offset:11444
	s_wait_dscnt 0x0
	v_fmac_f32_e32 v24, v25, v26
.LBB107_832:                            ;   in Loop: Header=BB107_3 Depth=1
	s_or_b32 exec_lo, exec_lo, s48
	s_delay_alu instid0(VALU_DEP_1)
	v_xor_b32_e32 v24, 0x80000000, v24
.LBB107_833:                            ;   in Loop: Header=BB107_3 Depth=1
	s_or_b32 exec_lo, exec_lo, s47
	s_and_saveexec_b32 s47, s91
	s_cbranch_execz .LBB107_835
; %bb.834:                              ;   in Loop: Header=BB107_3 Depth=1
	ds_load_b32 v25, v5 offset:11960
	s_wait_dscnt 0x0
	v_mul_f32_e32 v24, v24, v25
	ds_store_b32 v3, v24
.LBB107_835:                            ;   in Loop: Header=BB107_3 Depth=1
	s_or_b32 exec_lo, exec_lo, s47
	s_wait_dscnt 0x0
	s_barrier_signal -1
	s_barrier_wait -1
	s_and_saveexec_b32 s47, s92
	s_cbranch_execz .LBB107_837
; %bb.836:                              ;   in Loop: Header=BB107_3 Depth=1
	ds_load_b32 v25, v5 offset:11964
	ds_load_b32 v26, v3
	s_wait_dscnt 0x0
	v_fmac_f32_e32 v24, v25, v26
.LBB107_837:                            ;   in Loop: Header=BB107_3 Depth=1
	s_or_b32 exec_lo, exec_lo, s47
	s_barrier_signal -1
	s_barrier_wait -1
	s_and_saveexec_b32 s47, s92
	s_cbranch_execz .LBB107_839
; %bb.838:                              ;   in Loop: Header=BB107_3 Depth=1
	ds_load_b32 v25, v5 offset:12220
	s_wait_dscnt 0x0
	v_mul_f32_e32 v24, v24, v25
	ds_store_b32 v3, v24
.LBB107_839:                            ;   in Loop: Header=BB107_3 Depth=1
	s_or_b32 exec_lo, exec_lo, s47
	s_wait_dscnt 0x0
	s_barrier_signal -1
	s_barrier_wait -1
	s_barrier_signal -1
	s_barrier_wait -1
	s_and_saveexec_b32 s47, s2
; %bb.840:                              ;   in Loop: Header=BB107_3 Depth=1
	v_xor_b32_e32 v24, 0x80000000, v24
	ds_store_b32 v65, v24 offset:11448
; %bb.841:                              ;   in Loop: Header=BB107_3 Depth=1
	s_or_b32 exec_lo, exec_lo, s47
	s_wait_dscnt 0x0
	s_barrier_signal -1
	s_barrier_wait -1
	s_barrier_signal -1
	s_barrier_wait -1
	s_and_saveexec_b32 s47, s93
	s_cbranch_execz .LBB107_843
; %bb.842:                              ;   in Loop: Header=BB107_3 Depth=1
	ds_load_b32 v24, v61 offset:11448
	s_wait_dscnt 0x0
	ds_store_b32 v60, v24 offset:11952
	ds_load_b32 v24, v61 offset:11452
	s_wait_dscnt 0x0
	ds_store_b32 v60, v24 offset:12208
.LBB107_843:                            ;   in Loop: Header=BB107_3 Depth=1
	s_or_b32 exec_lo, exec_lo, s47
	s_wait_dscnt 0x0
	s_barrier_signal -1
	s_barrier_wait -1
	s_and_saveexec_b32 s47, s15
	s_cbranch_execz .LBB107_845
; %bb.844:                              ;   in Loop: Header=BB107_3 Depth=1
	ds_load_b64 v[24:25], v5 offset:11960
	ds_load_b32 v26, v5 offset:12220
	s_wait_dscnt 0x0
	v_mul_f32_e32 v24, v24, v26
	s_delay_alu instid0(VALU_DEP_1)
	v_mul_f32_e32 v24, v25, v24
	v_add_nc_u32_e64 v25, 0x2c00, 0
	ds_store_2addr_b32 v25, v24, v24 offset0:175 offset1:238
.LBB107_845:                            ;   in Loop: Header=BB107_3 Depth=1
	s_or_b32 exec_lo, exec_lo, s47
	v_mov_b32_e32 v24, 0
	s_wait_dscnt 0x0
	s_barrier_signal -1
	s_barrier_wait -1
	s_and_saveexec_b32 s47, s6
	s_cbranch_execz .LBB107_873
; %bb.846:                              ;   in Loop: Header=BB107_3 Depth=1
	ds_load_b32 v24, v47 offset:8384
	ds_load_b32 v25, v44 offset:8320
	s_wait_dscnt 0x0
	v_fma_f32 v24, v24, v25, 0
	s_mov_b32 s48, exec_lo
	v_readlane_b32 s49, v91, 24
	s_and_b32 s49, s48, s49
	s_delay_alu instid0(SALU_CYCLE_1)
	s_mov_b32 exec_lo, s49
	s_cbranch_execz .LBB107_848
; %bb.847:                              ;   in Loop: Header=BB107_3 Depth=1
	ds_load_b32 v25, v48 offset:8640
	ds_load_b32 v26, v44 offset:8324
	s_wait_dscnt 0x0
	v_fmac_f32_e32 v24, v25, v26
.LBB107_848:                            ;   in Loop: Header=BB107_3 Depth=1
	s_or_b32 exec_lo, exec_lo, s48
	s_delay_alu instid0(SALU_CYCLE_1) | instskip(SKIP_2) | instid1(SALU_CYCLE_1)
	s_mov_b32 s48, exec_lo
	v_readlane_b32 s49, v91, 25
	s_and_b32 s49, s48, s49
	s_mov_b32 exec_lo, s49
	s_cbranch_execz .LBB107_850
; %bb.849:                              ;   in Loop: Header=BB107_3 Depth=1
	ds_load_b32 v25, v48 offset:8896
	ds_load_b32 v26, v44 offset:8328
	s_wait_dscnt 0x0
	v_fmac_f32_e32 v24, v25, v26
.LBB107_850:                            ;   in Loop: Header=BB107_3 Depth=1
	s_or_b32 exec_lo, exec_lo, s48
	s_delay_alu instid0(SALU_CYCLE_1) | instskip(SKIP_2) | instid1(SALU_CYCLE_1)
	s_mov_b32 s48, exec_lo
	v_readlane_b32 s49, v91, 26
	s_and_b32 s49, s48, s49
	;; [unrolled: 13-line block ×10, first 2 shown]
	s_mov_b32 exec_lo, s49
	s_cbranch_execnz .LBB107_1243
; %bb.867:                              ;   in Loop: Header=BB107_3 Depth=1
	s_or_b32 exec_lo, exec_lo, s48
	s_and_saveexec_b32 s48, s5
	s_cbranch_execnz .LBB107_1244
.LBB107_868:                            ;   in Loop: Header=BB107_3 Depth=1
	s_or_b32 exec_lo, exec_lo, s48
	s_and_saveexec_b32 s48, s20
	s_cbranch_execnz .LBB107_1245
.LBB107_869:                            ;   in Loop: Header=BB107_3 Depth=1
	s_or_b32 exec_lo, exec_lo, s48
	s_and_saveexec_b32 s48, s22
	s_cbranch_execnz .LBB107_1246
.LBB107_870:                            ;   in Loop: Header=BB107_3 Depth=1
	s_or_b32 exec_lo, exec_lo, s48
	s_and_saveexec_b32 s48, s4
	s_cbranch_execz .LBB107_872
.LBB107_871:                            ;   in Loop: Header=BB107_3 Depth=1
	ds_load_b32 v25, v30 offset:12224
	ds_load_b32 v26, v5 offset:8380
	s_wait_dscnt 0x0
	v_fmac_f32_e32 v24, v25, v26
.LBB107_872:                            ;   in Loop: Header=BB107_3 Depth=1
	s_or_b32 exec_lo, exec_lo, s48
	s_delay_alu instid0(VALU_DEP_1)
	v_xor_b32_e32 v24, 0x80000000, v24
.LBB107_873:                            ;   in Loop: Header=BB107_3 Depth=1
	s_or_b32 exec_lo, exec_lo, s47
	s_delay_alu instid0(SALU_CYCLE_1) | instskip(SKIP_2) | instid1(SALU_CYCLE_1)
	s_mov_b32 s47, exec_lo
	v_readlane_b32 s48, v93, 2
	s_and_b32 s48, s47, s48
	s_mov_b32 exec_lo, s48
	s_cbranch_execz .LBB107_875
; %bb.874:                              ;   in Loop: Header=BB107_3 Depth=1
	ds_load_b32 v25, v5 offset:12480
	s_wait_dscnt 0x0
	v_mul_f32_e32 v24, v24, v25
	ds_store_b32 v46, v24
.LBB107_875:                            ;   in Loop: Header=BB107_3 Depth=1
	s_or_b32 exec_lo, exec_lo, s47
	s_wait_dscnt 0x0
	s_barrier_signal -1
	s_barrier_wait -1
	s_mov_b32 s47, exec_lo
	v_readlane_b32 s48, v93, 3
	s_and_b32 s48, s47, s48
	s_delay_alu instid0(SALU_CYCLE_1)
	s_mov_b32 exec_lo, s48
	s_cbranch_execz .LBB107_877
; %bb.876:                              ;   in Loop: Header=BB107_3 Depth=1
	ds_load_b32 v25, v45 offset:12480
	ds_load_b32 v26, v46
	s_wait_dscnt 0x0
	v_fmac_f32_e32 v24, v25, v26
.LBB107_877:                            ;   in Loop: Header=BB107_3 Depth=1
	s_or_b32 exec_lo, exec_lo, s47
	s_barrier_signal -1
	s_barrier_wait -1
	s_mov_b32 s47, exec_lo
	v_readlane_b32 s48, v93, 4
	s_and_b32 s48, s47, s48
	s_delay_alu instid0(SALU_CYCLE_1)
	s_mov_b32 exec_lo, s48
	s_cbranch_execz .LBB107_879
; %bb.878:                              ;   in Loop: Header=BB107_3 Depth=1
	ds_load_b32 v25, v5 offset:12740
	s_wait_dscnt 0x0
	v_mul_f32_e32 v24, v24, v25
	ds_store_b32 v46, v24
.LBB107_879:                            ;   in Loop: Header=BB107_3 Depth=1
	s_or_b32 exec_lo, exec_lo, s47
	s_wait_dscnt 0x0
	s_barrier_signal -1
	s_barrier_wait -1
	s_mov_b32 s47, exec_lo
	v_readlane_b32 s48, v93, 5
	s_and_b32 s48, s47, s48
	s_delay_alu instid0(SALU_CYCLE_1)
	s_mov_b32 exec_lo, s48
	s_cbranch_execz .LBB107_881
; %bb.880:                              ;   in Loop: Header=BB107_3 Depth=1
	ds_load_b32 v25, v45 offset:12736
	ds_load_b32 v26, v46
	s_wait_dscnt 0x0
	v_fmac_f32_e32 v24, v25, v26
.LBB107_881:                            ;   in Loop: Header=BB107_3 Depth=1
	s_or_b32 exec_lo, exec_lo, s47
	s_barrier_signal -1
	s_barrier_wait -1
	s_mov_b32 s47, exec_lo
	v_readlane_b32 s48, v93, 6
	s_and_b32 s48, s47, s48
	s_delay_alu instid0(SALU_CYCLE_1)
	s_mov_b32 exec_lo, s48
	s_cbranch_execz .LBB107_883
; %bb.882:                              ;   in Loop: Header=BB107_3 Depth=1
	ds_load_b32 v25, v5 offset:13000
	s_wait_dscnt 0x0
	v_mul_f32_e32 v24, v24, v25
	ds_store_b32 v46, v24
.LBB107_883:                            ;   in Loop: Header=BB107_3 Depth=1
	s_or_b32 exec_lo, exec_lo, s47
	s_wait_dscnt 0x0
	s_barrier_signal -1
	s_barrier_wait -1
	s_mov_b32 s47, exec_lo
	v_readlane_b32 s48, v93, 7
	s_and_b32 s48, s47, s48
	s_delay_alu instid0(SALU_CYCLE_1)
	s_mov_b32 exec_lo, s48
	s_cbranch_execz .LBB107_885
; %bb.884:                              ;   in Loop: Header=BB107_3 Depth=1
	ds_load_b32 v25, v45 offset:12992
	ds_load_b32 v26, v46
	s_wait_dscnt 0x0
	v_fmac_f32_e32 v24, v25, v26
.LBB107_885:                            ;   in Loop: Header=BB107_3 Depth=1
	s_or_b32 exec_lo, exec_lo, s47
	s_barrier_signal -1
	s_barrier_wait -1
	s_and_saveexec_b32 s47, s52
	s_cbranch_execz .LBB107_887
; %bb.886:                              ;   in Loop: Header=BB107_3 Depth=1
	ds_load_b32 v25, v5 offset:13260
	s_wait_dscnt 0x0
	v_mul_f32_e32 v24, v24, v25
	ds_store_b32 v46, v24
.LBB107_887:                            ;   in Loop: Header=BB107_3 Depth=1
	s_or_b32 exec_lo, exec_lo, s47
	s_wait_dscnt 0x0
	s_barrier_signal -1
	s_barrier_wait -1
	s_and_saveexec_b32 s47, s53
	s_cbranch_execz .LBB107_889
; %bb.888:                              ;   in Loop: Header=BB107_3 Depth=1
	ds_load_b32 v25, v45 offset:13248
	ds_load_b32 v26, v46
	s_wait_dscnt 0x0
	v_fmac_f32_e32 v24, v25, v26
.LBB107_889:                            ;   in Loop: Header=BB107_3 Depth=1
	s_or_b32 exec_lo, exec_lo, s47
	s_barrier_signal -1
	s_barrier_wait -1
	s_and_saveexec_b32 s47, s54
	s_cbranch_execz .LBB107_891
; %bb.890:                              ;   in Loop: Header=BB107_3 Depth=1
	ds_load_b32 v25, v5 offset:13520
	s_wait_dscnt 0x0
	v_mul_f32_e32 v24, v24, v25
	ds_store_b32 v46, v24
.LBB107_891:                            ;   in Loop: Header=BB107_3 Depth=1
	s_or_b32 exec_lo, exec_lo, s47
	s_wait_dscnt 0x0
	s_barrier_signal -1
	s_barrier_wait -1
	s_and_saveexec_b32 s47, s55
	;; [unrolled: 23-line block ×12, first 2 shown]
	s_cbranch_execz .LBB107_933
; %bb.932:                              ;   in Loop: Header=BB107_3 Depth=1
	ds_load_b32 v25, v5 offset:16124
	ds_load_b32 v26, v46
	s_wait_dscnt 0x0
	v_fmac_f32_e32 v24, v25, v26
.LBB107_933:                            ;   in Loop: Header=BB107_3 Depth=1
	s_or_b32 exec_lo, exec_lo, s47
	s_barrier_signal -1
	s_barrier_wait -1
	s_and_saveexec_b32 s47, s65
	s_cbranch_execz .LBB107_935
; %bb.934:                              ;   in Loop: Header=BB107_3 Depth=1
	ds_load_b32 v25, v5 offset:16380
	s_wait_dscnt 0x0
	v_mul_f32_e32 v24, v24, v25
	ds_store_b32 v46, v24
.LBB107_935:                            ;   in Loop: Header=BB107_3 Depth=1
	s_or_b32 exec_lo, exec_lo, s47
	s_wait_dscnt 0x0
	s_barrier_signal -1
	s_barrier_wait -1
	s_barrier_signal -1
	s_barrier_wait -1
	s_and_saveexec_b32 s47, s6
; %bb.936:                              ;   in Loop: Header=BB107_3 Depth=1
	v_xor_b32_e32 v24, 0x80000000, v24
	ds_store_b32 v47, v24 offset:8384
; %bb.937:                              ;   in Loop: Header=BB107_3 Depth=1
	s_or_b32 exec_lo, exec_lo, s47
	s_wait_dscnt 0x0
	s_barrier_signal -1
	s_barrier_wait -1
	s_barrier_signal -1
	s_barrier_wait -1
	s_and_saveexec_b32 s47, s89
	s_cbranch_execz .LBB107_939
; %bb.938:                              ;   in Loop: Header=BB107_3 Depth=1
	ds_load_b32 v24, v34 offset:8384
	s_wait_dscnt 0x0
	ds_store_b32 v38, v24 offset:12416
	ds_load_b32 v24, v34 offset:8388
	s_wait_dscnt 0x0
	ds_store_b32 v38, v24 offset:12672
	;; [unrolled: 3-line block ×16, first 2 shown]
.LBB107_939:                            ;   in Loop: Header=BB107_3 Depth=1
	s_or_b32 exec_lo, exec_lo, s47
	s_wait_dscnt 0x0
	s_barrier_signal -1
	s_barrier_wait -1
	s_and_saveexec_b32 s47, s15
	s_cbranch_execz .LBB107_941
; %bb.940:                              ;   in Loop: Header=BB107_3 Depth=1
	ds_load_b64 v[24:25], v5 offset:12480
	ds_load_b32 v26, v5 offset:12740
	s_wait_dscnt 0x0
	v_mul_f32_e32 v24, v24, v26
	s_delay_alu instid0(VALU_DEP_1)
	v_mul_f32_e32 v24, v25, v24
	v_add_nc_u32_e64 v25, 0x3000, 0
	ds_store_2addr_b32 v25, v24, v24 offset0:49 offset1:112
.LBB107_941:                            ;   in Loop: Header=BB107_3 Depth=1
	s_or_b32 exec_lo, exec_lo, s47
	v_mov_b32_e32 v24, 0
	s_wait_dscnt 0x0
	s_barrier_signal -1
	s_barrier_wait -1
	s_and_saveexec_b32 s47, s2
	s_cbranch_execz .LBB107_945
; %bb.942:                              ;   in Loop: Header=BB107_3 Depth=1
	ds_load_b32 v24, v65 offset:12488
	ds_load_b32 v25, v29 offset:12480
	s_wait_dscnt 0x0
	v_fma_f32 v24, v24, v25, 0
	s_and_saveexec_b32 s48, s16
	s_cbranch_execz .LBB107_944
; %bb.943:                              ;   in Loop: Header=BB107_3 Depth=1
	ds_load_b32 v25, v30 offset:12744
	ds_load_b32 v26, v5 offset:12484
	s_wait_dscnt 0x0
	v_fmac_f32_e32 v24, v25, v26
.LBB107_944:                            ;   in Loop: Header=BB107_3 Depth=1
	s_or_b32 exec_lo, exec_lo, s48
	s_delay_alu instid0(VALU_DEP_1)
	v_xor_b32_e32 v24, 0x80000000, v24
.LBB107_945:                            ;   in Loop: Header=BB107_3 Depth=1
	s_or_b32 exec_lo, exec_lo, s47
	s_and_saveexec_b32 s47, s91
	s_cbranch_execz .LBB107_947
; %bb.946:                              ;   in Loop: Header=BB107_3 Depth=1
	ds_load_b32 v25, v5 offset:13000
	s_wait_dscnt 0x0
	v_mul_f32_e32 v24, v24, v25
	ds_store_b32 v3, v24
.LBB107_947:                            ;   in Loop: Header=BB107_3 Depth=1
	s_or_b32 exec_lo, exec_lo, s47
	s_wait_dscnt 0x0
	s_barrier_signal -1
	s_barrier_wait -1
	s_and_saveexec_b32 s47, s92
	s_cbranch_execz .LBB107_949
; %bb.948:                              ;   in Loop: Header=BB107_3 Depth=1
	ds_load_b32 v25, v5 offset:13004
	ds_load_b32 v26, v3
	s_wait_dscnt 0x0
	v_fmac_f32_e32 v24, v25, v26
.LBB107_949:                            ;   in Loop: Header=BB107_3 Depth=1
	s_or_b32 exec_lo, exec_lo, s47
	s_barrier_signal -1
	s_barrier_wait -1
	s_and_saveexec_b32 s47, s92
	s_cbranch_execz .LBB107_951
; %bb.950:                              ;   in Loop: Header=BB107_3 Depth=1
	ds_load_b32 v25, v5 offset:13260
	s_wait_dscnt 0x0
	v_mul_f32_e32 v24, v24, v25
	ds_store_b32 v3, v24
.LBB107_951:                            ;   in Loop: Header=BB107_3 Depth=1
	s_or_b32 exec_lo, exec_lo, s47
	s_wait_dscnt 0x0
	s_barrier_signal -1
	s_barrier_wait -1
	s_barrier_signal -1
	s_barrier_wait -1
	s_and_saveexec_b32 s47, s2
; %bb.952:                              ;   in Loop: Header=BB107_3 Depth=1
	v_xor_b32_e32 v24, 0x80000000, v24
	ds_store_b32 v65, v24 offset:12488
; %bb.953:                              ;   in Loop: Header=BB107_3 Depth=1
	s_or_b32 exec_lo, exec_lo, s47
	s_wait_dscnt 0x0
	s_barrier_signal -1
	s_barrier_wait -1
	s_barrier_signal -1
	s_barrier_wait -1
	s_and_saveexec_b32 s47, s93
	s_cbranch_execz .LBB107_955
; %bb.954:                              ;   in Loop: Header=BB107_3 Depth=1
	ds_load_b32 v24, v34 offset:12488
	s_wait_dscnt 0x0
	ds_store_b32 v30, v24 offset:12992
	ds_load_b32 v24, v34 offset:12492
	s_wait_dscnt 0x0
	ds_store_b32 v30, v24 offset:13248
.LBB107_955:                            ;   in Loop: Header=BB107_3 Depth=1
	s_or_b32 exec_lo, exec_lo, s47
	s_wait_dscnt 0x0
	s_barrier_signal -1
	s_barrier_wait -1
	s_and_saveexec_b32 s47, s15
	s_cbranch_execz .LBB107_957
; %bb.956:                              ;   in Loop: Header=BB107_3 Depth=1
	ds_load_b64 v[24:25], v5 offset:13000
	ds_load_b32 v26, v5 offset:13260
	s_wait_dscnt 0x0
	v_mul_f32_e32 v24, v24, v26
	s_delay_alu instid0(VALU_DEP_1)
	v_mul_f32_e32 v24, v25, v24
	v_add_nc_u32_e64 v25, 0x3000, 0
	ds_store_2addr_b32 v25, v24, v24 offset0:179 offset1:242
.LBB107_957:                            ;   in Loop: Header=BB107_3 Depth=1
	s_or_b32 exec_lo, exec_lo, s47
	v_mov_b32_e32 v24, 0
	s_wait_dscnt 0x0
	s_barrier_signal -1
	s_barrier_wait -1
	s_and_saveexec_b32 s47, s4
	s_cbranch_execz .LBB107_963
; %bb.958:                              ;   in Loop: Header=BB107_3 Depth=1
	ds_load_b32 v24, v36 offset:12496
	ds_load_b32 v25, v31 offset:12480
	s_wait_dscnt 0x0
	v_fma_f32 v24, v24, v25, 0
	s_and_saveexec_b32 s48, s17
	s_cbranch_execnz .LBB107_1247
; %bb.959:                              ;   in Loop: Header=BB107_3 Depth=1
	s_or_b32 exec_lo, exec_lo, s48
	s_and_saveexec_b32 s48, s18
	s_cbranch_execnz .LBB107_1248
.LBB107_960:                            ;   in Loop: Header=BB107_3 Depth=1
	s_or_b32 exec_lo, exec_lo, s48
	s_and_saveexec_b32 s48, s2
	s_cbranch_execz .LBB107_962
.LBB107_961:                            ;   in Loop: Header=BB107_3 Depth=1
	ds_load_b32 v25, v38 offset:13264
	ds_load_b32 v26, v5 offset:12492
	s_wait_dscnt 0x0
	v_fmac_f32_e32 v24, v25, v26
.LBB107_962:                            ;   in Loop: Header=BB107_3 Depth=1
	s_or_b32 exec_lo, exec_lo, s48
	s_delay_alu instid0(VALU_DEP_1)
	v_xor_b32_e32 v24, 0x80000000, v24
.LBB107_963:                            ;   in Loop: Header=BB107_3 Depth=1
	s_or_b32 exec_lo, exec_lo, s47
	s_and_saveexec_b32 s47, s94
	s_cbranch_execz .LBB107_965
; %bb.964:                              ;   in Loop: Header=BB107_3 Depth=1
	ds_load_b32 v25, v5 offset:13520
	s_wait_dscnt 0x0
	v_mul_f32_e32 v24, v24, v25
	ds_store_b32 v35, v24
.LBB107_965:                            ;   in Loop: Header=BB107_3 Depth=1
	s_or_b32 exec_lo, exec_lo, s47
	s_wait_dscnt 0x0
	s_barrier_signal -1
	s_barrier_wait -1
	s_and_saveexec_b32 s47, s95
	s_cbranch_execz .LBB107_967
; %bb.966:                              ;   in Loop: Header=BB107_3 Depth=1
	ds_load_b32 v25, v33 offset:13520
	ds_load_b32 v26, v35
	s_wait_dscnt 0x0
	v_fmac_f32_e32 v24, v25, v26
.LBB107_967:                            ;   in Loop: Header=BB107_3 Depth=1
	s_or_b32 exec_lo, exec_lo, s47
	s_barrier_signal -1
	s_barrier_wait -1
	s_and_saveexec_b32 s47, s96
	s_cbranch_execz .LBB107_969
; %bb.968:                              ;   in Loop: Header=BB107_3 Depth=1
	ds_load_b32 v25, v5 offset:13780
	s_wait_dscnt 0x0
	v_mul_f32_e32 v24, v24, v25
	ds_store_b32 v35, v24
.LBB107_969:                            ;   in Loop: Header=BB107_3 Depth=1
	s_or_b32 exec_lo, exec_lo, s47
	s_wait_dscnt 0x0
	s_barrier_signal -1
	s_barrier_wait -1
	s_and_saveexec_b32 s47, s97
	s_cbranch_execz .LBB107_971
; %bb.970:                              ;   in Loop: Header=BB107_3 Depth=1
	ds_load_b32 v25, v33 offset:13776
	ds_load_b32 v26, v35
	s_wait_dscnt 0x0
	v_fmac_f32_e32 v24, v25, v26
.LBB107_971:                            ;   in Loop: Header=BB107_3 Depth=1
	s_or_b32 exec_lo, exec_lo, s47
	s_barrier_signal -1
	s_barrier_wait -1
	;; [unrolled: 23-line block ×3, first 2 shown]
	s_and_saveexec_b32 s47, s99
	s_cbranch_execz .LBB107_977
; %bb.976:                              ;   in Loop: Header=BB107_3 Depth=1
	ds_load_b32 v25, v5 offset:14300
	s_wait_dscnt 0x0
	v_mul_f32_e32 v24, v24, v25
	ds_store_b32 v35, v24
.LBB107_977:                            ;   in Loop: Header=BB107_3 Depth=1
	s_or_b32 exec_lo, exec_lo, s47
	s_wait_dscnt 0x0
	s_barrier_signal -1
	s_barrier_wait -1
	s_barrier_signal -1
	s_barrier_wait -1
	s_and_saveexec_b32 s47, s4
; %bb.978:                              ;   in Loop: Header=BB107_3 Depth=1
	v_xor_b32_e32 v24, 0x80000000, v24
	ds_store_b32 v36, v24 offset:12496
; %bb.979:                              ;   in Loop: Header=BB107_3 Depth=1
	s_or_b32 exec_lo, exec_lo, s47
	s_wait_dscnt 0x0
	s_barrier_signal -1
	s_barrier_wait -1
	s_barrier_signal -1
	s_barrier_wait -1
	s_and_saveexec_b32 s47, s100
	s_cbranch_execz .LBB107_981
; %bb.980:                              ;   in Loop: Header=BB107_3 Depth=1
	ds_load_b32 v24, v51 offset:12496
	s_wait_dscnt 0x0
	ds_store_b32 v52, v24 offset:13504
	ds_load_b32 v24, v51 offset:12500
	s_wait_dscnt 0x0
	ds_store_b32 v52, v24 offset:13760
	;; [unrolled: 3-line block ×4, first 2 shown]
.LBB107_981:                            ;   in Loop: Header=BB107_3 Depth=1
	s_or_b32 exec_lo, exec_lo, s47
	s_wait_dscnt 0x0
	s_barrier_signal -1
	s_barrier_wait -1
	s_and_saveexec_b32 s47, s15
	s_cbranch_execz .LBB107_983
; %bb.982:                              ;   in Loop: Header=BB107_3 Depth=1
	ds_load_b64 v[24:25], v5 offset:13520
	ds_load_b32 v26, v5 offset:13780
	s_wait_dscnt 0x0
	v_mul_f32_e32 v24, v24, v26
	s_delay_alu instid0(VALU_DEP_1)
	v_mul_f32_e32 v24, v25, v24
	v_add_nc_u32_e64 v25, 0x3400, 0
	ds_store_2addr_b32 v25, v24, v24 offset0:53 offset1:116
.LBB107_983:                            ;   in Loop: Header=BB107_3 Depth=1
	s_or_b32 exec_lo, exec_lo, s47
	v_mov_b32_e32 v24, 0
	s_wait_dscnt 0x0
	s_barrier_signal -1
	s_barrier_wait -1
	s_and_saveexec_b32 s47, s2
	s_cbranch_execz .LBB107_987
; %bb.984:                              ;   in Loop: Header=BB107_3 Depth=1
	ds_load_b32 v24, v65 offset:13528
	ds_load_b32 v25, v29 offset:13520
	s_wait_dscnt 0x0
	v_fma_f32 v24, v24, v25, 0
	s_and_saveexec_b32 s48, s16
	s_cbranch_execz .LBB107_986
; %bb.985:                              ;   in Loop: Header=BB107_3 Depth=1
	ds_load_b32 v25, v52 offset:13784
	ds_load_b32 v26, v5 offset:13524
	s_wait_dscnt 0x0
	v_fmac_f32_e32 v24, v25, v26
.LBB107_986:                            ;   in Loop: Header=BB107_3 Depth=1
	s_or_b32 exec_lo, exec_lo, s48
	s_delay_alu instid0(VALU_DEP_1)
	v_xor_b32_e32 v24, 0x80000000, v24
.LBB107_987:                            ;   in Loop: Header=BB107_3 Depth=1
	s_or_b32 exec_lo, exec_lo, s47
	s_and_saveexec_b32 s47, s91
	s_cbranch_execz .LBB107_989
; %bb.988:                              ;   in Loop: Header=BB107_3 Depth=1
	ds_load_b32 v25, v5 offset:14040
	s_wait_dscnt 0x0
	v_mul_f32_e32 v24, v24, v25
	ds_store_b32 v3, v24
.LBB107_989:                            ;   in Loop: Header=BB107_3 Depth=1
	s_or_b32 exec_lo, exec_lo, s47
	s_wait_dscnt 0x0
	s_barrier_signal -1
	s_barrier_wait -1
	s_and_saveexec_b32 s47, s92
	s_cbranch_execz .LBB107_991
; %bb.990:                              ;   in Loop: Header=BB107_3 Depth=1
	ds_load_b32 v25, v5 offset:14044
	ds_load_b32 v26, v3
	s_wait_dscnt 0x0
	v_fmac_f32_e32 v24, v25, v26
.LBB107_991:                            ;   in Loop: Header=BB107_3 Depth=1
	s_or_b32 exec_lo, exec_lo, s47
	s_barrier_signal -1
	s_barrier_wait -1
	s_and_saveexec_b32 s47, s92
	s_cbranch_execz .LBB107_993
; %bb.992:                              ;   in Loop: Header=BB107_3 Depth=1
	ds_load_b32 v25, v5 offset:14300
	s_wait_dscnt 0x0
	v_mul_f32_e32 v24, v24, v25
	ds_store_b32 v3, v24
.LBB107_993:                            ;   in Loop: Header=BB107_3 Depth=1
	s_or_b32 exec_lo, exec_lo, s47
	s_wait_dscnt 0x0
	s_barrier_signal -1
	s_barrier_wait -1
	s_barrier_signal -1
	s_barrier_wait -1
	s_and_saveexec_b32 s47, s2
; %bb.994:                              ;   in Loop: Header=BB107_3 Depth=1
	v_xor_b32_e32 v24, 0x80000000, v24
	ds_store_b32 v65, v24 offset:13528
; %bb.995:                              ;   in Loop: Header=BB107_3 Depth=1
	s_or_b32 exec_lo, exec_lo, s47
	s_wait_dscnt 0x0
	s_barrier_signal -1
	s_barrier_wait -1
	s_barrier_signal -1
	s_barrier_wait -1
	s_and_saveexec_b32 s47, s93
	s_cbranch_execz .LBB107_997
; %bb.996:                              ;   in Loop: Header=BB107_3 Depth=1
	ds_load_b32 v24, v53 offset:13528
	s_wait_dscnt 0x0
	ds_store_b32 v52, v24 offset:14032
	ds_load_b32 v24, v53 offset:13532
	s_wait_dscnt 0x0
	ds_store_b32 v52, v24 offset:14288
.LBB107_997:                            ;   in Loop: Header=BB107_3 Depth=1
	s_or_b32 exec_lo, exec_lo, s47
	s_wait_dscnt 0x0
	s_barrier_signal -1
	s_barrier_wait -1
	s_and_saveexec_b32 s47, s15
	s_cbranch_execz .LBB107_999
; %bb.998:                              ;   in Loop: Header=BB107_3 Depth=1
	ds_load_b64 v[24:25], v5 offset:14040
	ds_load_b32 v26, v5 offset:14300
	s_wait_dscnt 0x0
	v_mul_f32_e32 v24, v24, v26
	s_delay_alu instid0(VALU_DEP_1)
	v_mul_f32_e32 v24, v25, v24
	v_add_nc_u32_e64 v25, 0x3400, 0
	ds_store_2addr_b32 v25, v24, v24 offset0:183 offset1:246
.LBB107_999:                            ;   in Loop: Header=BB107_3 Depth=1
	s_or_b32 exec_lo, exec_lo, s47
	v_mov_b32_e32 v24, 0
	s_wait_dscnt 0x0
	s_barrier_signal -1
	s_barrier_wait -1
	s_and_saveexec_b32 s47, s5
	s_cbranch_execz .LBB107_1009
; %bb.1000:                             ;   in Loop: Header=BB107_3 Depth=1
	ds_load_b32 v24, v42 offset:12512
	ds_load_b32 v25, v39 offset:12480
	s_wait_dscnt 0x0
	v_fma_f32 v24, v24, v25, 0
	s_and_saveexec_b32 s48, s19
	s_cbranch_execnz .LBB107_1249
; %bb.1001:                             ;   in Loop: Header=BB107_3 Depth=1
	s_or_b32 exec_lo, exec_lo, s48
	s_and_saveexec_b32 s48, s20
	s_cbranch_execnz .LBB107_1250
.LBB107_1002:                           ;   in Loop: Header=BB107_3 Depth=1
	s_or_b32 exec_lo, exec_lo, s48
	s_and_saveexec_b32 s48, s21
	s_cbranch_execnz .LBB107_1251
.LBB107_1003:                           ;   in Loop: Header=BB107_3 Depth=1
	s_or_b32 exec_lo, exec_lo, s48
	s_and_saveexec_b32 s48, s22
	s_cbranch_execnz .LBB107_1252
.LBB107_1004:                           ;   in Loop: Header=BB107_3 Depth=1
	s_or_b32 exec_lo, exec_lo, s48
	s_and_saveexec_b32 s48, s23
	s_cbranch_execnz .LBB107_1253
.LBB107_1005:                           ;   in Loop: Header=BB107_3 Depth=1
	s_or_b32 exec_lo, exec_lo, s48
	s_and_saveexec_b32 s48, s4
	s_cbranch_execnz .LBB107_1254
.LBB107_1006:                           ;   in Loop: Header=BB107_3 Depth=1
	s_or_b32 exec_lo, exec_lo, s48
	s_and_saveexec_b32 s48, s18
	s_cbranch_execz .LBB107_1008
.LBB107_1007:                           ;   in Loop: Header=BB107_3 Depth=1
	ds_load_b32 v25, v54 offset:14304
	ds_load_b32 v26, v5 offset:12508
	s_wait_dscnt 0x0
	v_fmac_f32_e32 v24, v25, v26
.LBB107_1008:                           ;   in Loop: Header=BB107_3 Depth=1
	s_or_b32 exec_lo, exec_lo, s48
	s_delay_alu instid0(VALU_DEP_1)
	v_xor_b32_e32 v24, 0x80000000, v24
.LBB107_1009:                           ;   in Loop: Header=BB107_3 Depth=1
	s_or_b32 exec_lo, exec_lo, s47
	s_and_saveexec_b32 s47, s101
	s_cbranch_execz .LBB107_1011
; %bb.1010:                             ;   in Loop: Header=BB107_3 Depth=1
	ds_load_b32 v25, v5 offset:14560
	s_wait_dscnt 0x0
	v_mul_f32_e32 v24, v24, v25
	ds_store_b32 v41, v24
.LBB107_1011:                           ;   in Loop: Header=BB107_3 Depth=1
	s_or_b32 exec_lo, exec_lo, s47
	s_wait_dscnt 0x0
	s_barrier_signal -1
	s_barrier_wait -1
	s_and_saveexec_b32 s47, s102
	s_cbranch_execz .LBB107_1013
; %bb.1012:                             ;   in Loop: Header=BB107_3 Depth=1
	ds_load_b32 v25, v40 offset:14560
	ds_load_b32 v26, v41
	s_wait_dscnt 0x0
	v_fmac_f32_e32 v24, v25, v26
.LBB107_1013:                           ;   in Loop: Header=BB107_3 Depth=1
	s_or_b32 exec_lo, exec_lo, s47
	s_barrier_signal -1
	s_barrier_wait -1
	s_and_saveexec_b32 s47, s103
	s_cbranch_execz .LBB107_1015
; %bb.1014:                             ;   in Loop: Header=BB107_3 Depth=1
	ds_load_b32 v25, v5 offset:14820
	s_wait_dscnt 0x0
	v_mul_f32_e32 v24, v24, v25
	ds_store_b32 v41, v24
.LBB107_1015:                           ;   in Loop: Header=BB107_3 Depth=1
	s_or_b32 exec_lo, exec_lo, s47
	s_wait_dscnt 0x0
	s_barrier_signal -1
	s_barrier_wait -1
	s_and_saveexec_b32 s47, s104
	s_cbranch_execz .LBB107_1017
; %bb.1016:                             ;   in Loop: Header=BB107_3 Depth=1
	ds_load_b32 v25, v40 offset:14816
	ds_load_b32 v26, v41
	s_wait_dscnt 0x0
	v_fmac_f32_e32 v24, v25, v26
.LBB107_1017:                           ;   in Loop: Header=BB107_3 Depth=1
	s_or_b32 exec_lo, exec_lo, s47
	s_barrier_signal -1
	s_barrier_wait -1
	s_and_saveexec_b32 s47, vcc_hi
	s_cbranch_execz .LBB107_1019
; %bb.1018:                             ;   in Loop: Header=BB107_3 Depth=1
	ds_load_b32 v25, v5 offset:15080
	s_wait_dscnt 0x0
	v_mul_f32_e32 v24, v24, v25
	ds_store_b32 v41, v24
.LBB107_1019:                           ;   in Loop: Header=BB107_3 Depth=1
	s_or_b32 exec_lo, exec_lo, s47
	s_wait_dscnt 0x0
	s_barrier_signal -1
	s_barrier_wait -1
	s_and_saveexec_b32 s47, s36
	s_cbranch_execz .LBB107_1021
; %bb.1020:                             ;   in Loop: Header=BB107_3 Depth=1
	ds_load_b32 v25, v40 offset:15072
	ds_load_b32 v26, v41
	s_wait_dscnt 0x0
	v_fmac_f32_e32 v24, v25, v26
.LBB107_1021:                           ;   in Loop: Header=BB107_3 Depth=1
	s_or_b32 exec_lo, exec_lo, s47
	s_barrier_signal -1
	s_barrier_wait -1
	s_and_saveexec_b32 s47, s37
	s_cbranch_execz .LBB107_1023
; %bb.1022:                             ;   in Loop: Header=BB107_3 Depth=1
	ds_load_b32 v25, v5 offset:15340
	s_wait_dscnt 0x0
	v_mul_f32_e32 v24, v24, v25
	ds_store_b32 v41, v24
.LBB107_1023:                           ;   in Loop: Header=BB107_3 Depth=1
	s_or_b32 exec_lo, exec_lo, s47
	s_wait_dscnt 0x0
	s_barrier_signal -1
	s_barrier_wait -1
	s_and_saveexec_b32 s47, s38
	s_cbranch_execz .LBB107_1025
; %bb.1024:                             ;   in Loop: Header=BB107_3 Depth=1
	ds_load_b32 v25, v40 offset:15328
	ds_load_b32 v26, v41
	s_wait_dscnt 0x0
	v_fmac_f32_e32 v24, v25, v26
.LBB107_1025:                           ;   in Loop: Header=BB107_3 Depth=1
	s_or_b32 exec_lo, exec_lo, s47
	s_barrier_signal -1
	s_barrier_wait -1
	s_and_saveexec_b32 s47, s39
	;; [unrolled: 23-line block ×5, first 2 shown]
	s_cbranch_execz .LBB107_1039
; %bb.1038:                             ;   in Loop: Header=BB107_3 Depth=1
	ds_load_b32 v25, v5 offset:16380
	s_wait_dscnt 0x0
	v_mul_f32_e32 v24, v24, v25
	ds_store_b32 v41, v24
.LBB107_1039:                           ;   in Loop: Header=BB107_3 Depth=1
	s_or_b32 exec_lo, exec_lo, s47
	s_wait_dscnt 0x0
	s_barrier_signal -1
	s_barrier_wait -1
	s_barrier_signal -1
	s_barrier_wait -1
	s_and_saveexec_b32 s47, s5
; %bb.1040:                             ;   in Loop: Header=BB107_3 Depth=1
	v_xor_b32_e32 v24, 0x80000000, v24
	ds_store_b32 v42, v24 offset:12512
; %bb.1041:                             ;   in Loop: Header=BB107_3 Depth=1
	s_or_b32 exec_lo, exec_lo, s47
	s_wait_dscnt 0x0
	s_barrier_signal -1
	s_barrier_wait -1
	s_barrier_signal -1
	s_barrier_wait -1
	s_and_saveexec_b32 s47, s45
	s_cbranch_execz .LBB107_1043
; %bb.1042:                             ;   in Loop: Header=BB107_3 Depth=1
	ds_load_b32 v24, v55 offset:12512
	s_wait_dscnt 0x0
	ds_store_b32 v56, v24 offset:14528
	ds_load_b32 v24, v55 offset:12516
	s_wait_dscnt 0x0
	ds_store_b32 v56, v24 offset:14784
	;; [unrolled: 3-line block ×8, first 2 shown]
.LBB107_1043:                           ;   in Loop: Header=BB107_3 Depth=1
	s_or_b32 exec_lo, exec_lo, s47
	s_wait_dscnt 0x0
	s_barrier_signal -1
	s_barrier_wait -1
	s_and_saveexec_b32 s47, s15
	s_cbranch_execz .LBB107_1045
; %bb.1044:                             ;   in Loop: Header=BB107_3 Depth=1
	ds_load_b64 v[24:25], v5 offset:14560
	ds_load_b32 v26, v5 offset:14820
	s_wait_dscnt 0x0
	v_mul_f32_e32 v24, v24, v26
	s_delay_alu instid0(VALU_DEP_1)
	v_mul_f32_e32 v24, v25, v24
	v_add_nc_u32_e64 v25, 0x3800, 0
	ds_store_2addr_b32 v25, v24, v24 offset0:57 offset1:120
.LBB107_1045:                           ;   in Loop: Header=BB107_3 Depth=1
	s_or_b32 exec_lo, exec_lo, s47
	v_mov_b32_e32 v24, 0
	s_wait_dscnt 0x0
	s_barrier_signal -1
	s_barrier_wait -1
	s_and_saveexec_b32 s47, s2
	s_cbranch_execz .LBB107_1049
; %bb.1046:                             ;   in Loop: Header=BB107_3 Depth=1
	ds_load_b32 v24, v65 offset:14568
	ds_load_b32 v25, v29 offset:14560
	s_wait_dscnt 0x0
	v_fma_f32 v24, v24, v25, 0
	s_and_saveexec_b32 s48, s16
	s_cbranch_execz .LBB107_1048
; %bb.1047:                             ;   in Loop: Header=BB107_3 Depth=1
	ds_load_b32 v25, v56 offset:14824
	ds_load_b32 v26, v5 offset:14564
	s_wait_dscnt 0x0
	v_fmac_f32_e32 v24, v25, v26
.LBB107_1048:                           ;   in Loop: Header=BB107_3 Depth=1
	s_or_b32 exec_lo, exec_lo, s48
	s_delay_alu instid0(VALU_DEP_1)
	v_xor_b32_e32 v24, 0x80000000, v24
.LBB107_1049:                           ;   in Loop: Header=BB107_3 Depth=1
	s_or_b32 exec_lo, exec_lo, s47
	s_and_saveexec_b32 s47, s91
	s_cbranch_execz .LBB107_1051
; %bb.1050:                             ;   in Loop: Header=BB107_3 Depth=1
	ds_load_b32 v25, v5 offset:15080
	s_wait_dscnt 0x0
	v_mul_f32_e32 v24, v24, v25
	ds_store_b32 v3, v24
.LBB107_1051:                           ;   in Loop: Header=BB107_3 Depth=1
	s_or_b32 exec_lo, exec_lo, s47
	s_wait_dscnt 0x0
	s_barrier_signal -1
	s_barrier_wait -1
	s_and_saveexec_b32 s47, s92
	s_cbranch_execz .LBB107_1053
; %bb.1052:                             ;   in Loop: Header=BB107_3 Depth=1
	ds_load_b32 v25, v5 offset:15084
	ds_load_b32 v26, v3
	s_wait_dscnt 0x0
	v_fmac_f32_e32 v24, v25, v26
.LBB107_1053:                           ;   in Loop: Header=BB107_3 Depth=1
	s_or_b32 exec_lo, exec_lo, s47
	s_barrier_signal -1
	s_barrier_wait -1
	s_and_saveexec_b32 s47, s92
	s_cbranch_execz .LBB107_1055
; %bb.1054:                             ;   in Loop: Header=BB107_3 Depth=1
	ds_load_b32 v25, v5 offset:15340
	s_wait_dscnt 0x0
	v_mul_f32_e32 v24, v24, v25
	ds_store_b32 v3, v24
.LBB107_1055:                           ;   in Loop: Header=BB107_3 Depth=1
	s_or_b32 exec_lo, exec_lo, s47
	s_wait_dscnt 0x0
	s_barrier_signal -1
	s_barrier_wait -1
	s_barrier_signal -1
	s_barrier_wait -1
	s_and_saveexec_b32 s47, s2
; %bb.1056:                             ;   in Loop: Header=BB107_3 Depth=1
	v_xor_b32_e32 v24, 0x80000000, v24
	ds_store_b32 v65, v24 offset:14568
; %bb.1057:                             ;   in Loop: Header=BB107_3 Depth=1
	s_or_b32 exec_lo, exec_lo, s47
	s_wait_dscnt 0x0
	s_barrier_signal -1
	s_barrier_wait -1
	s_barrier_signal -1
	s_barrier_wait -1
	s_and_saveexec_b32 s47, s93
	s_cbranch_execz .LBB107_1059
; %bb.1058:                             ;   in Loop: Header=BB107_3 Depth=1
	ds_load_b32 v24, v57 offset:14568
	s_wait_dscnt 0x0
	ds_store_b32 v56, v24 offset:15072
	ds_load_b32 v24, v57 offset:14572
	s_wait_dscnt 0x0
	ds_store_b32 v56, v24 offset:15328
.LBB107_1059:                           ;   in Loop: Header=BB107_3 Depth=1
	s_or_b32 exec_lo, exec_lo, s47
	s_wait_dscnt 0x0
	s_barrier_signal -1
	s_barrier_wait -1
	s_and_saveexec_b32 s47, s15
	s_cbranch_execz .LBB107_1061
; %bb.1060:                             ;   in Loop: Header=BB107_3 Depth=1
	ds_load_b64 v[24:25], v5 offset:15080
	ds_load_b32 v26, v5 offset:15340
	s_wait_dscnt 0x0
	v_mul_f32_e32 v24, v24, v26
	s_delay_alu instid0(VALU_DEP_1)
	v_mul_f32_e32 v24, v25, v24
	v_add_nc_u32_e64 v25, 0x3800, 0
	ds_store_2addr_b32 v25, v24, v24 offset0:187 offset1:250
.LBB107_1061:                           ;   in Loop: Header=BB107_3 Depth=1
	s_or_b32 exec_lo, exec_lo, s47
	v_mov_b32_e32 v24, 0
	s_wait_dscnt 0x0
	s_barrier_signal -1
	s_barrier_wait -1
	s_and_saveexec_b32 s47, s4
	s_cbranch_execz .LBB107_1067
; %bb.1062:                             ;   in Loop: Header=BB107_3 Depth=1
	ds_load_b32 v24, v36 offset:14576
	ds_load_b32 v25, v31 offset:14560
	s_wait_dscnt 0x0
	v_fma_f32 v24, v24, v25, 0
	s_and_saveexec_b32 s48, s17
	s_cbranch_execnz .LBB107_1255
; %bb.1063:                             ;   in Loop: Header=BB107_3 Depth=1
	s_or_b32 exec_lo, exec_lo, s48
	s_and_saveexec_b32 s48, s18
	s_cbranch_execnz .LBB107_1256
.LBB107_1064:                           ;   in Loop: Header=BB107_3 Depth=1
	s_or_b32 exec_lo, exec_lo, s48
	s_and_saveexec_b32 s48, s2
	s_cbranch_execz .LBB107_1066
.LBB107_1065:                           ;   in Loop: Header=BB107_3 Depth=1
	ds_load_b32 v25, v58 offset:15344
	ds_load_b32 v26, v5 offset:14572
	s_wait_dscnt 0x0
	v_fmac_f32_e32 v24, v25, v26
.LBB107_1066:                           ;   in Loop: Header=BB107_3 Depth=1
	s_or_b32 exec_lo, exec_lo, s48
	s_delay_alu instid0(VALU_DEP_1)
	v_xor_b32_e32 v24, 0x80000000, v24
.LBB107_1067:                           ;   in Loop: Header=BB107_3 Depth=1
	s_or_b32 exec_lo, exec_lo, s47
	s_and_saveexec_b32 s47, s94
	s_cbranch_execz .LBB107_1069
; %bb.1068:                             ;   in Loop: Header=BB107_3 Depth=1
	ds_load_b32 v25, v5 offset:15600
	s_wait_dscnt 0x0
	v_mul_f32_e32 v24, v24, v25
	ds_store_b32 v35, v24
.LBB107_1069:                           ;   in Loop: Header=BB107_3 Depth=1
	s_or_b32 exec_lo, exec_lo, s47
	s_wait_dscnt 0x0
	s_barrier_signal -1
	s_barrier_wait -1
	s_and_saveexec_b32 s47, s95
	s_cbranch_execz .LBB107_1071
; %bb.1070:                             ;   in Loop: Header=BB107_3 Depth=1
	ds_load_b32 v25, v33 offset:15600
	ds_load_b32 v26, v35
	s_wait_dscnt 0x0
	v_fmac_f32_e32 v24, v25, v26
.LBB107_1071:                           ;   in Loop: Header=BB107_3 Depth=1
	s_or_b32 exec_lo, exec_lo, s47
	s_barrier_signal -1
	s_barrier_wait -1
	s_and_saveexec_b32 s47, s96
	s_cbranch_execz .LBB107_1073
; %bb.1072:                             ;   in Loop: Header=BB107_3 Depth=1
	ds_load_b32 v25, v5 offset:15860
	s_wait_dscnt 0x0
	v_mul_f32_e32 v24, v24, v25
	ds_store_b32 v35, v24
.LBB107_1073:                           ;   in Loop: Header=BB107_3 Depth=1
	s_or_b32 exec_lo, exec_lo, s47
	s_wait_dscnt 0x0
	s_barrier_signal -1
	s_barrier_wait -1
	s_and_saveexec_b32 s47, s97
	s_cbranch_execz .LBB107_1075
; %bb.1074:                             ;   in Loop: Header=BB107_3 Depth=1
	ds_load_b32 v25, v33 offset:15856
	ds_load_b32 v26, v35
	s_wait_dscnt 0x0
	v_fmac_f32_e32 v24, v25, v26
.LBB107_1075:                           ;   in Loop: Header=BB107_3 Depth=1
	s_or_b32 exec_lo, exec_lo, s47
	s_barrier_signal -1
	s_barrier_wait -1
	;; [unrolled: 23-line block ×3, first 2 shown]
	s_and_saveexec_b32 s47, s99
	s_cbranch_execz .LBB107_1081
; %bb.1080:                             ;   in Loop: Header=BB107_3 Depth=1
	ds_load_b32 v25, v5 offset:16380
	s_wait_dscnt 0x0
	v_mul_f32_e32 v24, v24, v25
	ds_store_b32 v35, v24
.LBB107_1081:                           ;   in Loop: Header=BB107_3 Depth=1
	s_or_b32 exec_lo, exec_lo, s47
	s_wait_dscnt 0x0
	s_barrier_signal -1
	s_barrier_wait -1
	s_barrier_signal -1
	s_barrier_wait -1
	s_and_saveexec_b32 s47, s4
; %bb.1082:                             ;   in Loop: Header=BB107_3 Depth=1
	v_xor_b32_e32 v24, 0x80000000, v24
	ds_store_b32 v36, v24 offset:14576
; %bb.1083:                             ;   in Loop: Header=BB107_3 Depth=1
	s_or_b32 exec_lo, exec_lo, s47
	s_wait_dscnt 0x0
	s_barrier_signal -1
	s_barrier_wait -1
	s_barrier_signal -1
	s_barrier_wait -1
	s_and_saveexec_b32 s47, s100
	s_cbranch_execz .LBB107_1085
; %bb.1084:                             ;   in Loop: Header=BB107_3 Depth=1
	ds_load_b32 v24, v59 offset:14576
	s_wait_dscnt 0x0
	ds_store_b32 v60, v24 offset:15584
	ds_load_b32 v24, v59 offset:14580
	s_wait_dscnt 0x0
	ds_store_b32 v60, v24 offset:15840
	;; [unrolled: 3-line block ×4, first 2 shown]
.LBB107_1085:                           ;   in Loop: Header=BB107_3 Depth=1
	s_or_b32 exec_lo, exec_lo, s47
	s_wait_dscnt 0x0
	s_barrier_signal -1
	s_barrier_wait -1
	s_and_saveexec_b32 s47, s15
	s_cbranch_execz .LBB107_1087
; %bb.1086:                             ;   in Loop: Header=BB107_3 Depth=1
	ds_load_b64 v[24:25], v5 offset:15600
	ds_load_b32 v26, v5 offset:15860
	s_wait_dscnt 0x0
	v_mul_f32_e32 v24, v24, v26
	s_delay_alu instid0(VALU_DEP_1)
	v_mul_f32_e32 v24, v25, v24
	v_add_nc_u32_e64 v25, 0x3c00, 0
	ds_store_2addr_b32 v25, v24, v24 offset0:61 offset1:124
.LBB107_1087:                           ;   in Loop: Header=BB107_3 Depth=1
	s_or_b32 exec_lo, exec_lo, s47
	v_mov_b32_e32 v24, 0
	s_wait_dscnt 0x0
	s_barrier_signal -1
	s_barrier_wait -1
	s_and_saveexec_b32 s47, s2
	s_cbranch_execz .LBB107_1091
; %bb.1088:                             ;   in Loop: Header=BB107_3 Depth=1
	ds_load_b32 v24, v65 offset:15608
	ds_load_b32 v25, v29 offset:15600
	s_wait_dscnt 0x0
	v_fma_f32 v24, v24, v25, 0
	s_and_saveexec_b32 s48, s16
	s_cbranch_execz .LBB107_1090
; %bb.1089:                             ;   in Loop: Header=BB107_3 Depth=1
	ds_load_b32 v25, v60 offset:15864
	ds_load_b32 v26, v5 offset:15604
	s_wait_dscnt 0x0
	v_fmac_f32_e32 v24, v25, v26
.LBB107_1090:                           ;   in Loop: Header=BB107_3 Depth=1
	s_or_b32 exec_lo, exec_lo, s48
	s_delay_alu instid0(VALU_DEP_1)
	v_xor_b32_e32 v24, 0x80000000, v24
.LBB107_1091:                           ;   in Loop: Header=BB107_3 Depth=1
	s_or_b32 exec_lo, exec_lo, s47
	s_and_saveexec_b32 s47, s91
	s_cbranch_execz .LBB107_1093
; %bb.1092:                             ;   in Loop: Header=BB107_3 Depth=1
	ds_load_b32 v25, v5 offset:16120
	s_wait_dscnt 0x0
	v_mul_f32_e32 v24, v24, v25
	ds_store_b32 v3, v24
.LBB107_1093:                           ;   in Loop: Header=BB107_3 Depth=1
	s_or_b32 exec_lo, exec_lo, s47
	s_wait_dscnt 0x0
	s_barrier_signal -1
	s_barrier_wait -1
	s_and_saveexec_b32 s47, s92
	s_cbranch_execz .LBB107_1095
; %bb.1094:                             ;   in Loop: Header=BB107_3 Depth=1
	ds_load_b32 v25, v5 offset:16124
	ds_load_b32 v26, v3
	s_wait_dscnt 0x0
	v_fmac_f32_e32 v24, v25, v26
.LBB107_1095:                           ;   in Loop: Header=BB107_3 Depth=1
	s_or_b32 exec_lo, exec_lo, s47
	s_barrier_signal -1
	s_barrier_wait -1
	s_and_saveexec_b32 s47, s92
	s_cbranch_execz .LBB107_1097
; %bb.1096:                             ;   in Loop: Header=BB107_3 Depth=1
	ds_load_b32 v25, v5 offset:16380
	s_wait_dscnt 0x0
	v_mul_f32_e32 v24, v24, v25
	ds_store_b32 v3, v24
.LBB107_1097:                           ;   in Loop: Header=BB107_3 Depth=1
	s_or_b32 exec_lo, exec_lo, s47
	s_wait_dscnt 0x0
	s_barrier_signal -1
	s_barrier_wait -1
	s_barrier_signal -1
	s_barrier_wait -1
	s_and_saveexec_b32 s47, s2
; %bb.1098:                             ;   in Loop: Header=BB107_3 Depth=1
	v_xor_b32_e32 v24, 0x80000000, v24
	ds_store_b32 v65, v24 offset:15608
; %bb.1099:                             ;   in Loop: Header=BB107_3 Depth=1
	s_or_b32 exec_lo, exec_lo, s47
	s_wait_dscnt 0x0
	s_barrier_signal -1
	s_barrier_wait -1
	s_barrier_signal -1
	s_barrier_wait -1
	s_and_saveexec_b32 s47, s93
	s_cbranch_execz .LBB107_1101
; %bb.1100:                             ;   in Loop: Header=BB107_3 Depth=1
	ds_load_b32 v24, v61 offset:15608
	s_wait_dscnt 0x0
	ds_store_b32 v60, v24 offset:16112
	ds_load_b32 v24, v61 offset:15612
	s_wait_dscnt 0x0
	ds_store_b32 v60, v24 offset:16368
.LBB107_1101:                           ;   in Loop: Header=BB107_3 Depth=1
	s_or_b32 exec_lo, exec_lo, s47
	s_wait_dscnt 0x0
	s_barrier_signal -1
	s_barrier_wait -1
	s_and_saveexec_b32 s47, s15
	s_cbranch_execz .LBB107_1103
; %bb.1102:                             ;   in Loop: Header=BB107_3 Depth=1
	ds_load_b64 v[24:25], v5 offset:16120
	ds_load_b32 v26, v5 offset:16380
	s_wait_dscnt 0x0
	v_mul_f32_e32 v24, v24, v26
	s_delay_alu instid0(VALU_DEP_1)
	v_mul_f32_e32 v24, v25, v24
	v_add_nc_u32_e64 v25, 0x3c00, 0
	ds_store_2addr_b32 v25, v24, v24 offset0:191 offset1:254
.LBB107_1103:                           ;   in Loop: Header=BB107_3 Depth=1
	s_or_b32 exec_lo, exec_lo, s47
.LBB107_1104:                           ;   in Loop: Header=BB107_3 Depth=1
	v_add_nc_u64_e32 v[22:23], s[72:73], v[22:23]
	v_mov_b32_e32 v85, 0
	s_wait_dscnt 0x0
	s_barrier_signal -1
	s_barrier_wait -1
	s_and_saveexec_b32 s47, s12
	s_cbranch_execz .LBB107_1106
; %bb.1105:                             ;   in Loop: Header=BB107_3 Depth=1
	v_lshl_add_u64 v[24:25], v[16:17], 2, v[22:23]
	flat_load_b32 v24, v[24:25]
	s_wait_loadcnt_dscnt 0x0
	v_mul_f32_e64 v85, v24, -v84
.LBB107_1106:                           ;   in Loop: Header=BB107_3 Depth=1
	s_or_b32 exec_lo, exec_lo, s47
	s_delay_alu instid0(SALU_CYCLE_1)
	s_and_not1_b32 vcc_lo, exec_lo, s11
	s_cbranch_vccnz .LBB107_1132
; %bb.1107:                             ;   in Loop: Header=BB107_3 Depth=1
	v_mov_b32_e32 v84, -1
	s_lshl_b64 s[48:49], s[66:67], 2
	s_mov_b32 s47, 0
	s_wait_kmcnt 0x0
	s_add_nc_u64 s[84:85], s[82:83], s[48:49]
	s_branch .LBB107_1110
.LBB107_1108:                           ;   in Loop: Header=BB107_1110 Depth=2
	s_wait_xcnt 0x0
	ds_load_b32 v24, v68 offset:192
	s_wait_loadcnt_dscnt 0x0
	v_fmac_f32_e32 v85, v26, v24
.LBB107_1109:                           ;   in Loop: Header=BB107_1110 Depth=2
	s_or_b32 exec_lo, exec_lo, s48
	s_add_co_i32 s47, s47, 1
	s_delay_alu instid0(SALU_CYCLE_1)
	s_cmp_eq_u32 s47, s86
	s_cbranch_scc1 .LBB107_1132
.LBB107_1110:                           ;   Parent Loop BB107_3 Depth=1
                                        ; =>  This Loop Header: Depth=2
                                        ;       Child Loop BB107_1112 Depth 3
	v_cmp_gt_i32_e32 vcc_lo, s47, v84
	s_and_b32 s49, s59, vcc_lo
	s_delay_alu instid0(SALU_CYCLE_1)
	s_and_saveexec_b32 s48, s49
	s_cbranch_execz .LBB107_1113
; %bb.1111:                             ;   in Loop: Header=BB107_1110 Depth=2
	global_load_b32 v84, v5, s[84:85]
	s_wait_loadcnt 0x0
	v_cmp_le_i32_e32 vcc_lo, s47, v84
	s_cbranch_vccnz .LBB107_1113
.LBB107_1112:                           ;   Parent Loop BB107_3 Depth=1
                                        ;     Parent Loop BB107_1110 Depth=2
                                        ; =>    This Inner Loop Header: Depth=3
	global_wb scope:SCOPE_DEV
	s_wait_storecnt 0x0
	global_inv scope:SCOPE_DEV
	global_load_b32 v84, v5, s[84:85]
	s_wait_loadcnt 0x0
	v_cmp_gt_i32_e32 vcc_lo, s47, v84
	s_cbranch_vccnz .LBB107_1112
.LBB107_1113:                           ;   in Loop: Header=BB107_1110 Depth=2
	s_or_b32 exec_lo, exec_lo, s48
	s_sub_co_i32 s48, s87, s47
	global_wb scope:SCOPE_DEV
	s_wait_storecnt 0x0
	global_inv scope:SCOPE_DEV
	s_lshl_b32 s49, s48, 6
	s_wait_loadcnt 0x0
	s_barrier_signal -1
	s_barrier_wait -1
	s_and_saveexec_b32 s50, s60
	s_cbranch_execz .LBB107_1117
; %bb.1114:                             ;   in Loop: Header=BB107_1110 Depth=2
	s_ashr_i32 s51, s49, 31
	s_delay_alu instid0(SALU_CYCLE_1) | instskip(SKIP_2) | instid1(VALU_DEP_1)
	v_dual_mov_b32 v26, 0 :: v_dual_mov_b32 v25, s51
	v_or_b32_e32 v24, s49, v4
	s_mov_b32 s51, exec_lo
	v_cmpx_gt_i64_e64 s[80:81], v[24:25]
	s_cbranch_execz .LBB107_1116
; %bb.1115:                             ;   in Loop: Header=BB107_1110 Depth=2
	v_mul_u64_e32 v[24:25], s[74:75], v[24:25]
	s_delay_alu instid0(VALU_DEP_1)
	v_lshl_add_u64 v[24:25], v[24:25], 2, v[22:23]
	flat_load_b32 v26, v[24:25]
.LBB107_1116:                           ;   in Loop: Header=BB107_1110 Depth=2
	s_wait_xcnt 0x0
	s_or_b32 exec_lo, exec_lo, s51
	s_wait_loadcnt_dscnt 0x0
	ds_store_b32 v67, v26
.LBB107_1117:                           ;   in Loop: Header=BB107_1110 Depth=2
	s_or_b32 exec_lo, exec_lo, s50
	v_add_nc_u32_e32 v26, s49, v28
	s_cmp_lg_u32 s48, s46
	s_wait_dscnt 0x0
	s_cselect_b32 s49, -1, 0
	s_barrier_signal -1
	v_ashrrev_i32_e32 v27, 31, v26
	v_cmp_gt_i32_e32 vcc_lo, s80, v26
	s_barrier_wait -1
	s_delay_alu instid0(VALU_DEP_2) | instskip(SKIP_2) | instid1(SALU_CYCLE_1)
	v_lshl_add_u64 v[24:25], v[26:27], 2, v[20:21]
	v_cndmask_b32_e64 v27, 0, 1, s49
	s_and_b32 s50, vcc_lo, s0
	s_and_saveexec_b32 s48, s50
	s_cbranch_execz .LBB107_1121
; %bb.1118:                             ;   in Loop: Header=BB107_1110 Depth=2
	v_mov_b32_e32 v86, v80
	s_and_not1_b32 vcc_lo, exec_lo, s49
	s_cbranch_vccnz .LBB107_1120
; %bb.1119:                             ;   in Loop: Header=BB107_1110 Depth=2
	flat_load_b32 v86, v[24:25]
.LBB107_1120:                           ;   in Loop: Header=BB107_1110 Depth=2
	ds_load_b32 v87, v68
	s_wait_loadcnt_dscnt 0x0
	v_fmac_f32_e32 v85, v86, v87
.LBB107_1121:                           ;   in Loop: Header=BB107_1110 Depth=2
	s_or_b32 exec_lo, exec_lo, s48
	v_add_nc_u32_e32 v86, 16, v26
	s_delay_alu instid0(VALU_DEP_1) | instskip(SKIP_1) | instid1(SALU_CYCLE_1)
	v_cmp_gt_i32_e32 vcc_lo, s80, v86
	s_and_b32 s49, vcc_lo, s0
	s_and_saveexec_b32 s48, s49
	s_cbranch_execz .LBB107_1125
; %bb.1122:                             ;   in Loop: Header=BB107_1110 Depth=2
	v_cmp_ne_u32_e32 vcc_lo, 1, v27
	v_mov_b32_e32 v86, v81
	s_cbranch_vccnz .LBB107_1124
; %bb.1123:                             ;   in Loop: Header=BB107_1110 Depth=2
	flat_load_b32 v86, v[24:25] offset:64
.LBB107_1124:                           ;   in Loop: Header=BB107_1110 Depth=2
	ds_load_b32 v87, v68 offset:64
	s_wait_loadcnt_dscnt 0x0
	v_fmac_f32_e32 v85, v86, v87
.LBB107_1125:                           ;   in Loop: Header=BB107_1110 Depth=2
	s_or_b32 exec_lo, exec_lo, s48
	v_add_nc_u32_e32 v86, 32, v26
	s_delay_alu instid0(VALU_DEP_1) | instskip(SKIP_1) | instid1(SALU_CYCLE_1)
	v_cmp_gt_i32_e32 vcc_lo, s80, v86
	s_and_b32 s49, vcc_lo, s0
	s_and_saveexec_b32 s48, s49
	s_cbranch_execz .LBB107_1129
; %bb.1126:                             ;   in Loop: Header=BB107_1110 Depth=2
	v_cmp_ne_u32_e32 vcc_lo, 1, v27
	v_mov_b32_e32 v86, v82
	s_cbranch_vccnz .LBB107_1128
; %bb.1127:                             ;   in Loop: Header=BB107_1110 Depth=2
	flat_load_b32 v86, v[24:25] offset:128
.LBB107_1128:                           ;   in Loop: Header=BB107_1110 Depth=2
	ds_load_b32 v87, v68 offset:128
	s_wait_loadcnt_dscnt 0x0
	v_fmac_f32_e32 v85, v86, v87
.LBB107_1129:                           ;   in Loop: Header=BB107_1110 Depth=2
	s_or_b32 exec_lo, exec_lo, s48
	v_add_nc_u32_e32 v26, 48, v26
	s_delay_alu instid0(VALU_DEP_1) | instskip(SKIP_1) | instid1(SALU_CYCLE_1)
	v_cmp_gt_i32_e32 vcc_lo, s80, v26
	s_and_b32 s49, vcc_lo, s0
	s_and_saveexec_b32 s48, s49
	s_cbranch_execz .LBB107_1109
; %bb.1130:                             ;   in Loop: Header=BB107_1110 Depth=2
	v_cmp_ne_u32_e32 vcc_lo, 1, v27
	v_mov_b32_e32 v26, v83
	s_cbranch_vccnz .LBB107_1108
; %bb.1131:                             ;   in Loop: Header=BB107_1110 Depth=2
	flat_load_b32 v26, v[24:25] offset:192
	s_branch .LBB107_1108
.LBB107_1132:                           ;   in Loop: Header=BB107_3 Depth=1
	ds_store_b32 v69, v85
	s_wait_dscnt 0x0
	s_barrier_signal -1
	s_barrier_wait -1
	s_and_saveexec_b32 s47, s3
	s_cbranch_execz .LBB107_1134
; %bb.1133:                             ;   in Loop: Header=BB107_3 Depth=1
	ds_load_2addr_stride64_b32 v[20:21], v70 offset0:1 offset1:2
	ds_load_2addr_stride64_b32 v[24:25], v70 offset0:3 offset1:4
	;; [unrolled: 1-line block ×4, first 2 shown]
	v_readlane_b32 s48, v91, 6
	s_wait_dscnt 0x3
	v_add_f32_e32 v20, v85, v20
	s_delay_alu instid0(VALU_DEP_1) | instskip(SKIP_1) | instid1(VALU_DEP_1)
	v_add_f32_e32 v20, v20, v21
	s_wait_dscnt 0x2
	v_add_f32_e32 v20, v20, v24
	s_delay_alu instid0(VALU_DEP_1) | instskip(SKIP_1) | instid1(VALU_DEP_1)
	v_add_f32_e32 v20, v20, v25
	s_wait_dscnt 0x1
	v_add_f32_e32 v24, v20, v26
	ds_load_2addr_stride64_b32 v[20:21], v70 offset0:9 offset1:10
	v_add_f32_e32 v24, v24, v27
	s_wait_dscnt 0x1
	s_delay_alu instid0(VALU_DEP_1)
	v_add_f32_e32 v26, v24, v86
	ds_load_2addr_stride64_b32 v[24:25], v70 offset0:11 offset1:12
	v_add_f32_e32 v84, v26, v87
	ds_load_2addr_stride64_b32 v[26:27], v70 offset0:13 offset1:14
	ds_load_b32 v85, v70 offset:3840
	s_wait_dscnt 0x3
	v_add_f32_e32 v20, v84, v20
	s_delay_alu instid0(VALU_DEP_1) | instskip(SKIP_1) | instid1(VALU_DEP_1)
	v_add_f32_e32 v20, v20, v21
	s_wait_dscnt 0x2
	v_add_f32_e32 v20, v20, v24
	s_delay_alu instid0(VALU_DEP_1) | instskip(SKIP_1) | instid1(VALU_DEP_1)
	v_add_f32_e32 v20, v20, v25
	;; [unrolled: 4-line block ×3, first 2 shown]
	s_wait_dscnt 0x0
	v_add_f32_e32 v20, v20, v85
	s_delay_alu instid0(VALU_DEP_1)
	v_cndmask_b32_e64 v85, -v20, 0, s48
.LBB107_1134:                           ;   in Loop: Header=BB107_3 Depth=1
	s_or_b32 exec_lo, exec_lo, s47
	s_delay_alu instid0(SALU_CYCLE_1)
	s_and_not1_b32 vcc_lo, exec_lo, s90
	s_cbranch_vccnz .LBB107_1144
; %bb.1135:                             ;   in Loop: Header=BB107_3 Depth=1
	s_and_saveexec_b32 s47, s3
; %bb.1136:                             ;   in Loop: Header=BB107_3 Depth=1
	ds_store_b32 v72, v85
; %bb.1137:                             ;   in Loop: Header=BB107_3 Depth=1
	s_or_b32 exec_lo, exec_lo, s47
	v_mov_b32_e32 v20, 0
	s_wait_dscnt 0x0
	s_barrier_signal -1
	s_barrier_wait -1
	s_and_saveexec_b32 s47, s1
	s_cbranch_execnz .LBB107_1200
; %bb.1138:                             ;   in Loop: Header=BB107_3 Depth=1
	s_or_b32 exec_lo, exec_lo, s47
	s_and_saveexec_b32 s47, s8
	s_cbranch_execnz .LBB107_1201
.LBB107_1139:                           ;   in Loop: Header=BB107_3 Depth=1
	s_or_b32 exec_lo, exec_lo, s47
	s_and_saveexec_b32 s47, s9
	s_cbranch_execnz .LBB107_1202
.LBB107_1140:                           ;   in Loop: Header=BB107_3 Depth=1
	s_or_b32 exec_lo, exec_lo, s47
	s_and_saveexec_b32 s47, s10
	s_cbranch_execz .LBB107_1142
.LBB107_1141:                           ;   in Loop: Header=BB107_3 Depth=1
	ds_load_b32 v21, v71 offset:12288
	ds_load_b32 v24, v68 offset:192
	s_wait_dscnt 0x0
	v_fmac_f32_e32 v20, v21, v24
.LBB107_1142:                           ;   in Loop: Header=BB107_3 Depth=1
	s_or_b32 exec_lo, exec_lo, s47
	s_mov_b32 s47, 0
	s_mov_b32 s84, 0
	ds_store_b32 v69, v20
	s_wait_dscnt 0x0
	s_barrier_signal -1
	s_barrier_wait -1
                                        ; implicit-def: $vgpr21
	s_and_saveexec_b32 s85, s3
	s_cbranch_execz .LBB107_1203
; %bb.1143:                             ;   in Loop: Header=BB107_3 Depth=1
	ds_load_2addr_stride64_b32 v[24:25], v70 offset0:1 offset1:2
	ds_load_2addr_stride64_b32 v[26:27], v70 offset0:3 offset1:4
	;; [unrolled: 1-line block ×4, first 2 shown]
	s_mov_b32 s84, exec_lo
	s_wait_dscnt 0x3
	v_add_f32_e32 v20, v20, v24
	s_delay_alu instid0(VALU_DEP_1) | instskip(SKIP_1) | instid1(VALU_DEP_1)
	v_add_f32_e32 v20, v25, v20
	s_wait_dscnt 0x2
	v_add_f32_e32 v20, v26, v20
	s_delay_alu instid0(VALU_DEP_1) | instskip(SKIP_1) | instid1(VALU_DEP_1)
	v_add_f32_e32 v20, v27, v20
	s_wait_dscnt 0x1
	v_add_f32_e32 v24, v86, v20
	ds_load_2addr_stride64_b32 v[20:21], v70 offset0:9 offset1:10
	v_add_f32_e32 v24, v87, v24
	s_wait_dscnt 0x1
	s_delay_alu instid0(VALU_DEP_1)
	v_add_f32_e32 v26, v88, v24
	ds_load_2addr_stride64_b32 v[24:25], v70 offset0:11 offset1:12
	v_add_f32_e32 v84, v89, v26
	ds_load_2addr_stride64_b32 v[26:27], v70 offset0:13 offset1:14
	ds_load_b32 v86, v70 offset:3840
	s_wait_dscnt 0x3
	v_add_f32_e32 v20, v20, v84
	s_delay_alu instid0(VALU_DEP_1) | instskip(SKIP_1) | instid1(VALU_DEP_1)
	v_add_f32_e32 v20, v21, v20
	s_wait_dscnt 0x2
	v_add_f32_e32 v20, v24, v20
	s_delay_alu instid0(VALU_DEP_1) | instskip(SKIP_1) | instid1(VALU_DEP_1)
	v_add_f32_e32 v20, v25, v20
	;; [unrolled: 4-line block ×3, first 2 shown]
	s_wait_dscnt 0x0
	v_add_f32_e32 v21, v86, v20
	s_or_b32 exec_lo, exec_lo, s85
	s_delay_alu instid0(SALU_CYCLE_1)
	s_and_b32 vcc_lo, exec_lo, s47
	s_cbranch_vccnz .LBB107_1145
	s_branch .LBB107_1204
.LBB107_1144:                           ;   in Loop: Header=BB107_3 Depth=1
	s_mov_b32 s84, 0
                                        ; implicit-def: $vgpr21
	s_cbranch_execz .LBB107_1204
.LBB107_1145:                           ;   in Loop: Header=BB107_3 Depth=1
	v_dual_mov_b32 v20, v79 :: v_dual_mov_b32 v21, v78
	s_mov_b32 s47, 63
	s_branch .LBB107_1147
.LBB107_1146:                           ;   in Loop: Header=BB107_1147 Depth=2
	s_or_b32 exec_lo, exec_lo, s48
	v_add_nc_u32_e32 v21, 0xfffffc00, v21
	v_add_nc_u32_e32 v20, 4, v20
	s_add_co_i32 s47, s47, -4
	s_cmp_lg_u32 s85, 0
	s_barrier_signal -1
	s_barrier_wait -1
	s_cbranch_scc0 .LBB107_1163
.LBB107_1147:                           ;   Parent Loop BB107_3 Depth=1
                                        ; =>  This Inner Loop Header: Depth=2
	s_delay_alu instid0(VALU_DEP_1) | instskip(SKIP_2) | instid1(SALU_CYCLE_1)
	v_cmp_eq_u32_e32 vcc_lo, 0, v20
	v_add_nc_u32_e32 v24, v61, v30
	s_and_b32 s49, s3, vcc_lo
	s_and_saveexec_b32 s48, s49
	s_cbranch_execz .LBB107_1149
; %bb.1148:                             ;   in Loop: Header=BB107_1147 Depth=2
	ds_load_b32 v25, v24
	s_wait_dscnt 0x0
	v_mul_f32_e32 v85, v85, v25
	ds_store_b32 v5, v85 offset:20736
.LBB107_1149:                           ;   in Loop: Header=BB107_1147 Depth=2
	s_or_b32 exec_lo, exec_lo, s48
	v_cmp_gt_u32_e32 vcc_lo, s47, v2
	s_wait_dscnt 0x0
	s_barrier_signal -1
	s_barrier_wait -1
	s_and_b32 s49, s3, vcc_lo
	s_delay_alu instid0(SALU_CYCLE_1)
	s_and_saveexec_b32 s48, s49
	s_cbranch_execz .LBB107_1151
; %bb.1150:                             ;   in Loop: Header=BB107_1147 Depth=2
	ds_load_b32 v25, v21 offset:768
	ds_load_b32 v26, v5 offset:20736
	s_wait_dscnt 0x0
	v_fmac_f32_e32 v85, v25, v26
.LBB107_1151:                           ;   in Loop: Header=BB107_1147 Depth=2
	s_or_b32 exec_lo, exec_lo, s48
	s_add_co_i32 s48, s47, -1
	s_delay_alu instid0(SALU_CYCLE_1) | instskip(SKIP_3) | instid1(SALU_CYCLE_1)
	v_cmp_eq_u32_e32 vcc_lo, s48, v2
	s_barrier_signal -1
	s_barrier_wait -1
	s_and_b32 s50, s3, vcc_lo
	s_and_saveexec_b32 s49, s50
	s_cbranch_execz .LBB107_1153
; %bb.1152:                             ;   in Loop: Header=BB107_1147 Depth=2
	ds_load_b32 v25, v24
	s_wait_dscnt 0x0
	v_mul_f32_e32 v85, v85, v25
	ds_store_b32 v5, v85 offset:20736
.LBB107_1153:                           ;   in Loop: Header=BB107_1147 Depth=2
	s_or_b32 exec_lo, exec_lo, s49
	v_cmp_gt_u32_e32 vcc_lo, s48, v2
	s_wait_dscnt 0x0
	s_barrier_signal -1
	s_barrier_wait -1
	s_and_b32 s49, s3, vcc_lo
	s_delay_alu instid0(SALU_CYCLE_1)
	s_and_saveexec_b32 s48, s49
	s_cbranch_execz .LBB107_1155
; %bb.1154:                             ;   in Loop: Header=BB107_1147 Depth=2
	ds_load_b32 v25, v21 offset:512
	ds_load_b32 v26, v5 offset:20736
	s_wait_dscnt 0x0
	v_fmac_f32_e32 v85, v25, v26
.LBB107_1155:                           ;   in Loop: Header=BB107_1147 Depth=2
	s_or_b32 exec_lo, exec_lo, s48
	s_add_co_i32 s48, s47, -2
	s_delay_alu instid0(SALU_CYCLE_1) | instskip(SKIP_3) | instid1(SALU_CYCLE_1)
	v_cmp_eq_u32_e32 vcc_lo, s48, v2
	s_barrier_signal -1
	s_barrier_wait -1
	;; [unrolled: 30-line block ×3, first 2 shown]
	s_and_b32 s49, s3, vcc_lo
	s_and_saveexec_b32 s48, s49
	s_cbranch_execz .LBB107_1161
; %bb.1160:                             ;   in Loop: Header=BB107_1147 Depth=2
	ds_load_b32 v24, v24
	s_wait_dscnt 0x0
	v_mul_f32_e32 v85, v85, v24
	ds_store_b32 v5, v85 offset:20736
.LBB107_1161:                           ;   in Loop: Header=BB107_1147 Depth=2
	s_or_b32 exec_lo, exec_lo, s48
	v_cmp_gt_u32_e32 vcc_lo, s85, v2
	s_wait_dscnt 0x0
	s_barrier_signal -1
	s_barrier_wait -1
	s_and_b32 s49, s3, vcc_lo
	s_delay_alu instid0(SALU_CYCLE_1)
	s_and_saveexec_b32 s48, s49
	s_cbranch_execz .LBB107_1146
; %bb.1162:                             ;   in Loop: Header=BB107_1147 Depth=2
	ds_load_b32 v24, v21
	ds_load_b32 v25, v5 offset:20736
	s_wait_dscnt 0x0
	v_fmac_f32_e32 v85, v24, v25
	s_branch .LBB107_1146
.LBB107_1163:                           ;   in Loop: Header=BB107_3 Depth=1
	s_and_b32 vcc_lo, exec_lo, s88
	s_mov_b32 s47, -1
	s_cbranch_vccnz .LBB107_1205
; %bb.1164:                             ;   in Loop: Header=BB107_3 Depth=1
	s_and_not1_b32 vcc_lo, exec_lo, s47
	s_cbranch_vccz .LBB107_1206
.LBB107_1165:                           ;   in Loop: Header=BB107_3 Depth=1
	s_and_saveexec_b32 s47, s84
	s_cbranch_execz .LBB107_1167
.LBB107_1166:                           ;   in Loop: Header=BB107_3 Depth=1
	v_lshl_add_u64 v[20:21], v[18:19], 2, v[22:23]
	flat_store_b32 v[20:21], v85
.LBB107_1167:                           ;   in Loop: Header=BB107_3 Depth=1
	s_wait_xcnt 0x0
	s_or_b32 exec_lo, exec_lo, s47
	global_wb scope:SCOPE_DEV
	s_wait_storecnt_dscnt 0x0
	global_inv scope:SCOPE_DEV
	s_wait_loadcnt 0x0
	s_barrier_signal -1
	s_barrier_wait -1
	s_and_saveexec_b32 s47, s59
	s_cbranch_execz .LBB107_2
; %bb.1168:                             ;   in Loop: Header=BB107_3 Depth=1
	s_lshl_b64 s[48:49], s[66:67], 2
	s_wait_kmcnt 0x0
	s_add_nc_u64 s[48:49], s[82:83], s[48:49]
	global_load_b32 v20, v5, s[48:49]
	s_wait_loadcnt 0x0
	v_add_nc_u32_e32 v20, 1, v20
	global_store_b32 v5, v20, s[48:49]
	s_branch .LBB107_2
.LBB107_1169:                           ;   in Loop: Header=BB107_3 Depth=1
	s_mov_b32 s48, exec_lo
	v_readlane_b32 s49, v91, 16
	s_and_b32 s49, s48, s49
	s_delay_alu instid0(SALU_CYCLE_1)
	s_xor_b32 s48, s49, s48
	s_mov_b32 exec_lo, s49
	s_cbranch_execz .LBB107_1173
; %bb.1170:                             ;   in Loop: Header=BB107_3 Depth=1
	s_mov_b32 s49, exec_lo
	v_readlane_b32 s50, v90, 26
	s_and_b32 s50, s49, s50
	s_delay_alu instid0(SALU_CYCLE_1)
	s_mov_b32 exec_lo, s50
; %bb.1171:                             ;   in Loop: Header=BB107_3 Depth=1
	ds_store_b32 v73, v5
; %bb.1172:                             ;   in Loop: Header=BB107_3 Depth=1
	s_or_b32 exec_lo, exec_lo, s49
.LBB107_1173:                           ;   in Loop: Header=BB107_3 Depth=1
	s_and_not1_saveexec_b32 s48, s48
	s_cbranch_execz .LBB107_1175
; %bb.1174:                             ;   in Loop: Header=BB107_3 Depth=1
	v_lshl_add_u64 v[26:27], v[0:1], 2, v[24:25]
	flat_load_b32 v26, v[26:27]
	s_wait_loadcnt_dscnt 0x0
	v_div_scale_f32 v27, null, v26, v26, 1.0
	s_delay_alu instid0(VALU_DEP_1) | instskip(SKIP_1) | instid1(TRANS32_DEP_1)
	v_rcp_f32_e32 v85, v27
	v_nop
	v_fma_f32 v86, -v27, v85, 1.0
	s_delay_alu instid0(VALU_DEP_1) | instskip(SKIP_1) | instid1(VALU_DEP_1)
	v_fmac_f32_e32 v85, v86, v85
	v_div_scale_f32 v86, vcc_lo, 1.0, v26, 1.0
	v_mul_f32_e32 v87, v86, v85
	s_delay_alu instid0(VALU_DEP_1) | instskip(NEXT) | instid1(VALU_DEP_1)
	v_fma_f32 v88, -v27, v87, v86
	v_fmac_f32_e32 v87, v88, v85
	s_delay_alu instid0(VALU_DEP_1) | instskip(NEXT) | instid1(VALU_DEP_1)
	v_fma_f32 v27, -v27, v87, v86
	v_div_fmas_f32 v27, v27, v85, v87
	s_delay_alu instid0(VALU_DEP_1)
	v_div_fixup_f32 v26, v27, v26, 1.0
	ds_store_b32 v73, v26
.LBB107_1175:                           ;   in Loop: Header=BB107_3 Depth=1
	s_or_b32 exec_lo, exec_lo, s48
	s_and_not1_saveexec_b32 s47, s47
	s_cbranch_execz .LBB107_16
.LBB107_1176:                           ;   in Loop: Header=BB107_3 Depth=1
	v_lshl_add_u64 v[26:27], v[0:1], 2, v[24:25]
	flat_load_b32 v26, v[26:27]
	s_wait_loadcnt_dscnt 0x0
	v_xor_b32_e32 v26, 0x80000000, v26
	ds_store_b32 v73, v26
	s_or_b32 exec_lo, exec_lo, s47
	s_and_saveexec_b32 s47, s8
	s_delay_alu instid0(SALU_CYCLE_1)
	s_xor_b32 s47, exec_lo, s47
	s_cbranch_execz .LBB107_17
.LBB107_1177:                           ;   in Loop: Header=BB107_3 Depth=1
	s_mov_b32 s48, exec_lo
	v_readlane_b32 s49, v91, 18
	s_and_b32 s49, s48, s49
	s_delay_alu instid0(SALU_CYCLE_1)
	s_xor_b32 s48, s49, s48
	s_mov_b32 exec_lo, s49
	s_cbranch_execz .LBB107_1181
; %bb.1178:                             ;   in Loop: Header=BB107_3 Depth=1
	s_mov_b32 s49, exec_lo
	v_readlane_b32 s50, v90, 27
	s_and_b32 s50, s49, s50
	s_delay_alu instid0(SALU_CYCLE_1)
	s_mov_b32 exec_lo, s50
; %bb.1179:                             ;   in Loop: Header=BB107_3 Depth=1
	ds_store_b32 v74, v5
; %bb.1180:                             ;   in Loop: Header=BB107_3 Depth=1
	s_or_b32 exec_lo, exec_lo, s49
.LBB107_1181:                           ;   in Loop: Header=BB107_3 Depth=1
	s_and_not1_saveexec_b32 s48, s48
	s_cbranch_execz .LBB107_1183
; %bb.1182:                             ;   in Loop: Header=BB107_3 Depth=1
	v_lshl_add_u64 v[26:27], v[10:11], 2, v[24:25]
	flat_load_b32 v26, v[26:27]
	s_wait_loadcnt_dscnt 0x0
	v_div_scale_f32 v27, null, v26, v26, 1.0
	s_delay_alu instid0(VALU_DEP_1) | instskip(SKIP_1) | instid1(TRANS32_DEP_1)
	v_rcp_f32_e32 v85, v27
	v_nop
	v_fma_f32 v86, -v27, v85, 1.0
	s_delay_alu instid0(VALU_DEP_1) | instskip(SKIP_1) | instid1(VALU_DEP_1)
	v_fmac_f32_e32 v85, v86, v85
	v_div_scale_f32 v86, vcc_lo, 1.0, v26, 1.0
	v_mul_f32_e32 v87, v86, v85
	s_delay_alu instid0(VALU_DEP_1) | instskip(NEXT) | instid1(VALU_DEP_1)
	v_fma_f32 v88, -v27, v87, v86
	v_fmac_f32_e32 v87, v88, v85
	s_delay_alu instid0(VALU_DEP_1) | instskip(NEXT) | instid1(VALU_DEP_1)
	v_fma_f32 v27, -v27, v87, v86
	v_div_fmas_f32 v27, v27, v85, v87
	s_delay_alu instid0(VALU_DEP_1)
	v_div_fixup_f32 v26, v27, v26, 1.0
	ds_store_b32 v74, v26
.LBB107_1183:                           ;   in Loop: Header=BB107_3 Depth=1
	s_or_b32 exec_lo, exec_lo, s48
	s_and_not1_saveexec_b32 s47, s47
	s_cbranch_execz .LBB107_18
.LBB107_1184:                           ;   in Loop: Header=BB107_3 Depth=1
	v_lshl_add_u64 v[26:27], v[10:11], 2, v[24:25]
	flat_load_b32 v26, v[26:27]
	s_wait_loadcnt_dscnt 0x0
	v_xor_b32_e32 v26, 0x80000000, v26
	ds_store_b32 v74, v26
	s_or_b32 exec_lo, exec_lo, s47
	s_and_saveexec_b32 s47, s9
	s_delay_alu instid0(SALU_CYCLE_1)
	s_xor_b32 s47, exec_lo, s47
	s_cbranch_execz .LBB107_19
.LBB107_1185:                           ;   in Loop: Header=BB107_3 Depth=1
	s_mov_b32 s48, exec_lo
	v_readlane_b32 s49, v91, 20
	s_and_b32 s49, s48, s49
	s_delay_alu instid0(SALU_CYCLE_1)
	s_xor_b32 s48, s49, s48
	s_mov_b32 exec_lo, s49
	s_cbranch_execz .LBB107_1189
; %bb.1186:                             ;   in Loop: Header=BB107_3 Depth=1
	s_mov_b32 s49, exec_lo
	v_readlane_b32 s50, v90, 28
	s_and_b32 s50, s49, s50
	s_delay_alu instid0(SALU_CYCLE_1)
	s_mov_b32 exec_lo, s50
; %bb.1187:                             ;   in Loop: Header=BB107_3 Depth=1
	ds_store_b32 v75, v5
; %bb.1188:                             ;   in Loop: Header=BB107_3 Depth=1
	s_or_b32 exec_lo, exec_lo, s49
.LBB107_1189:                           ;   in Loop: Header=BB107_3 Depth=1
	s_and_not1_saveexec_b32 s48, s48
	s_cbranch_execz .LBB107_1191
; %bb.1190:                             ;   in Loop: Header=BB107_3 Depth=1
	v_lshl_add_u64 v[26:27], v[12:13], 2, v[24:25]
	flat_load_b32 v26, v[26:27]
	s_wait_loadcnt_dscnt 0x0
	v_div_scale_f32 v27, null, v26, v26, 1.0
	s_delay_alu instid0(VALU_DEP_1) | instskip(SKIP_1) | instid1(TRANS32_DEP_1)
	v_rcp_f32_e32 v85, v27
	v_nop
	v_fma_f32 v86, -v27, v85, 1.0
	s_delay_alu instid0(VALU_DEP_1) | instskip(SKIP_1) | instid1(VALU_DEP_1)
	v_fmac_f32_e32 v85, v86, v85
	v_div_scale_f32 v86, vcc_lo, 1.0, v26, 1.0
	v_mul_f32_e32 v87, v86, v85
	s_delay_alu instid0(VALU_DEP_1) | instskip(NEXT) | instid1(VALU_DEP_1)
	v_fma_f32 v88, -v27, v87, v86
	v_fmac_f32_e32 v87, v88, v85
	s_delay_alu instid0(VALU_DEP_1) | instskip(NEXT) | instid1(VALU_DEP_1)
	v_fma_f32 v27, -v27, v87, v86
	v_div_fmas_f32 v27, v27, v85, v87
	s_delay_alu instid0(VALU_DEP_1)
	v_div_fixup_f32 v26, v27, v26, 1.0
	ds_store_b32 v75, v26
.LBB107_1191:                           ;   in Loop: Header=BB107_3 Depth=1
	s_or_b32 exec_lo, exec_lo, s48
	s_and_not1_saveexec_b32 s47, s47
	s_cbranch_execz .LBB107_20
.LBB107_1192:                           ;   in Loop: Header=BB107_3 Depth=1
	v_lshl_add_u64 v[26:27], v[12:13], 2, v[24:25]
	flat_load_b32 v26, v[26:27]
	s_wait_loadcnt_dscnt 0x0
	v_xor_b32_e32 v26, 0x80000000, v26
	ds_store_b32 v75, v26
	s_or_b32 exec_lo, exec_lo, s47
	s_and_saveexec_b32 s47, s10
	s_delay_alu instid0(SALU_CYCLE_1)
	s_xor_b32 s47, exec_lo, s47
	s_cbranch_execz .LBB107_21
.LBB107_1193:                           ;   in Loop: Header=BB107_3 Depth=1
	s_mov_b32 s48, exec_lo
	v_readlane_b32 s49, v91, 22
	s_and_b32 s49, s48, s49
	s_delay_alu instid0(SALU_CYCLE_1)
	s_xor_b32 s48, s49, s48
	s_mov_b32 exec_lo, s49
	s_cbranch_execz .LBB107_1197
; %bb.1194:                             ;   in Loop: Header=BB107_3 Depth=1
	s_mov_b32 s49, exec_lo
	v_readlane_b32 s50, v90, 29
	s_and_b32 s50, s49, s50
	s_delay_alu instid0(SALU_CYCLE_1)
	s_mov_b32 exec_lo, s50
; %bb.1195:                             ;   in Loop: Header=BB107_3 Depth=1
	ds_store_b32 v76, v5
; %bb.1196:                             ;   in Loop: Header=BB107_3 Depth=1
	s_or_b32 exec_lo, exec_lo, s49
.LBB107_1197:                           ;   in Loop: Header=BB107_3 Depth=1
	s_and_not1_saveexec_b32 s48, s48
	s_cbranch_execz .LBB107_1199
; %bb.1198:                             ;   in Loop: Header=BB107_3 Depth=1
	v_lshl_add_u64 v[26:27], v[14:15], 2, v[24:25]
	flat_load_b32 v26, v[26:27]
	s_wait_loadcnt_dscnt 0x0
	v_div_scale_f32 v27, null, v26, v26, 1.0
	s_delay_alu instid0(VALU_DEP_1) | instskip(SKIP_1) | instid1(TRANS32_DEP_1)
	v_rcp_f32_e32 v85, v27
	v_nop
	v_fma_f32 v86, -v27, v85, 1.0
	s_delay_alu instid0(VALU_DEP_1) | instskip(SKIP_1) | instid1(VALU_DEP_1)
	v_fmac_f32_e32 v85, v86, v85
	v_div_scale_f32 v86, vcc_lo, 1.0, v26, 1.0
	v_mul_f32_e32 v87, v86, v85
	s_delay_alu instid0(VALU_DEP_1) | instskip(NEXT) | instid1(VALU_DEP_1)
	v_fma_f32 v88, -v27, v87, v86
	v_fmac_f32_e32 v87, v88, v85
	s_delay_alu instid0(VALU_DEP_1) | instskip(NEXT) | instid1(VALU_DEP_1)
	v_fma_f32 v27, -v27, v87, v86
	v_div_fmas_f32 v27, v27, v85, v87
	s_delay_alu instid0(VALU_DEP_1)
	v_div_fixup_f32 v26, v27, v26, 1.0
	ds_store_b32 v76, v26
.LBB107_1199:                           ;   in Loop: Header=BB107_3 Depth=1
	s_or_b32 exec_lo, exec_lo, s48
	s_and_not1_saveexec_b32 s47, s47
	s_cbranch_execnz .LBB107_22
	s_branch .LBB107_23
.LBB107_1200:                           ;   in Loop: Header=BB107_3 Depth=1
	ds_load_b32 v20, v71
	ds_load_b32 v21, v68
	s_wait_dscnt 0x0
	v_fma_f32 v20, v20, v21, 0
	s_or_b32 exec_lo, exec_lo, s47
	s_and_saveexec_b32 s47, s8
	s_cbranch_execz .LBB107_1139
.LBB107_1201:                           ;   in Loop: Header=BB107_3 Depth=1
	ds_load_b32 v21, v71 offset:4096
	ds_load_b32 v24, v68 offset:64
	s_wait_dscnt 0x0
	v_fmac_f32_e32 v20, v21, v24
	s_or_b32 exec_lo, exec_lo, s47
	s_and_saveexec_b32 s47, s9
	s_cbranch_execz .LBB107_1140
.LBB107_1202:                           ;   in Loop: Header=BB107_3 Depth=1
	ds_load_b32 v21, v71 offset:8192
	ds_load_b32 v24, v68 offset:128
	s_wait_dscnt 0x0
	v_fmac_f32_e32 v20, v21, v24
	s_or_b32 exec_lo, exec_lo, s47
	s_and_saveexec_b32 s47, s10
	s_cbranch_execnz .LBB107_1141
	s_branch .LBB107_1142
.LBB107_1203:                           ;   in Loop: Header=BB107_3 Depth=1
	s_or_b32 exec_lo, exec_lo, s85
	s_delay_alu instid0(SALU_CYCLE_1)
	s_and_b32 vcc_lo, exec_lo, s47
	s_cbranch_vccnz .LBB107_1145
.LBB107_1204:                           ;   in Loop: Header=BB107_3 Depth=1
	v_mov_b32_e32 v85, v21
	s_and_saveexec_b32 s47, s84
	s_cbranch_execnz .LBB107_1166
	s_branch .LBB107_1167
.LBB107_1205:                           ;   in Loop: Header=BB107_3 Depth=1
	s_and_not1_b32 s48, s84, exec_lo
	s_and_b32 s49, s3, exec_lo
	s_delay_alu instid0(SALU_CYCLE_1)
	s_or_b32 s84, s48, s49
	s_cbranch_execnz .LBB107_1165
.LBB107_1206:                           ;   in Loop: Header=BB107_3 Depth=1
	v_readlane_b32 s48, v91, 7
	s_and_not1_b32 s47, s84, exec_lo
	s_and_b32 s48, s48, exec_lo
	s_delay_alu instid0(SALU_CYCLE_1) | instskip(NEXT) | instid1(SALU_CYCLE_1)
	s_or_b32 s84, s47, s48
	s_and_saveexec_b32 s47, s84
	s_cbranch_execnz .LBB107_1166
	s_branch .LBB107_1167
.LBB107_1207:                           ;   in Loop: Header=BB107_3 Depth=1
	ds_load_b32 v25, v37 offset:272
	ds_load_b32 v26, v31 offset:4
	s_wait_dscnt 0x0
	v_fmac_f32_e32 v24, v25, v26
	s_or_b32 exec_lo, exec_lo, s48
	s_and_saveexec_b32 s48, s18
	s_cbranch_execz .LBB107_88
.LBB107_1208:                           ;   in Loop: Header=BB107_3 Depth=1
	ds_load_b32 v25, v36 offset:528
	ds_load_b32 v26, v31 offset:8
	s_wait_dscnt 0x0
	v_fmac_f32_e32 v24, v25, v26
	s_or_b32 exec_lo, exec_lo, s48
	s_and_saveexec_b32 s48, s2
	s_cbranch_execnz .LBB107_89
	s_branch .LBB107_90
.LBB107_1209:                           ;   in Loop: Header=BB107_3 Depth=1
	ds_load_b32 v25, v43 offset:288
	ds_load_b32 v26, v39 offset:4
	s_wait_dscnt 0x0
	v_fmac_f32_e32 v24, v25, v26
	s_or_b32 exec_lo, exec_lo, s48
	s_and_saveexec_b32 s48, s20
	s_cbranch_execz .LBB107_130
.LBB107_1210:                           ;   in Loop: Header=BB107_3 Depth=1
	ds_load_b32 v25, v43 offset:544
	ds_load_b32 v26, v39 offset:8
	s_wait_dscnt 0x0
	v_fmac_f32_e32 v24, v25, v26
	s_or_b32 exec_lo, exec_lo, s48
	s_and_saveexec_b32 s48, s21
	s_cbranch_execz .LBB107_131
.LBB107_1211:                           ;   in Loop: Header=BB107_3 Depth=1
	ds_load_b32 v25, v43 offset:800
	ds_load_b32 v26, v39 offset:12
	s_wait_dscnt 0x0
	v_fmac_f32_e32 v24, v25, v26
	s_or_b32 exec_lo, exec_lo, s48
	s_and_saveexec_b32 s48, s22
	s_cbranch_execz .LBB107_132
.LBB107_1212:                           ;   in Loop: Header=BB107_3 Depth=1
	ds_load_b32 v25, v42 offset:1056
	ds_load_b32 v26, v39 offset:16
	s_wait_dscnt 0x0
	v_fmac_f32_e32 v24, v25, v26
	s_or_b32 exec_lo, exec_lo, s48
	s_and_saveexec_b32 s48, s23
	s_cbranch_execz .LBB107_133
.LBB107_1213:                           ;   in Loop: Header=BB107_3 Depth=1
	ds_load_b32 v25, v43 offset:1312
	ds_load_b32 v26, v39 offset:20
	s_wait_dscnt 0x0
	v_fmac_f32_e32 v24, v25, v26
	s_or_b32 exec_lo, exec_lo, s48
	s_and_saveexec_b32 s48, s4
	s_cbranch_execz .LBB107_134
.LBB107_1214:                           ;   in Loop: Header=BB107_3 Depth=1
	ds_load_b32 v25, v42 offset:1568
	ds_load_b32 v26, v39 offset:24
	s_wait_dscnt 0x0
	v_fmac_f32_e32 v24, v25, v26
	s_or_b32 exec_lo, exec_lo, s48
	s_and_saveexec_b32 s48, s18
	s_cbranch_execnz .LBB107_135
	s_branch .LBB107_136
.LBB107_1215:                           ;   in Loop: Header=BB107_3 Depth=1
	ds_load_b32 v25, v37 offset:2352
	ds_load_b32 v26, v31 offset:2084
	s_wait_dscnt 0x0
	v_fmac_f32_e32 v24, v25, v26
	s_or_b32 exec_lo, exec_lo, s48
	s_and_saveexec_b32 s48, s18
	s_cbranch_execz .LBB107_192
.LBB107_1216:                           ;   in Loop: Header=BB107_3 Depth=1
	ds_load_b32 v25, v36 offset:2608
	ds_load_b32 v26, v31 offset:2088
	s_wait_dscnt 0x0
	v_fmac_f32_e32 v24, v25, v26
	s_or_b32 exec_lo, exec_lo, s48
	s_and_saveexec_b32 s48, s2
	s_cbranch_execnz .LBB107_193
	s_branch .LBB107_194
.LBB107_1217:                           ;   in Loop: Header=BB107_3 Depth=1
	ds_load_b32 v25, v48 offset:2880
	ds_load_b32 v26, v44 offset:44
	s_wait_dscnt 0x0
	v_fmac_f32_e32 v24, v25, v26
	s_or_b32 exec_lo, exec_lo, s48
	s_and_saveexec_b32 s48, s5
	s_cbranch_execz .LBB107_254
.LBB107_1218:                           ;   in Loop: Header=BB107_3 Depth=1
	ds_load_b32 v25, v47 offset:3136
	ds_load_b32 v26, v44 offset:48
	s_wait_dscnt 0x0
	v_fmac_f32_e32 v24, v25, v26
	s_or_b32 exec_lo, exec_lo, s48
	s_and_saveexec_b32 s48, s20
	s_cbranch_execz .LBB107_255
.LBB107_1219:                           ;   in Loop: Header=BB107_3 Depth=1
	ds_load_b32 v25, v48 offset:3392
	ds_load_b32 v26, v44 offset:52
	s_wait_dscnt 0x0
	v_fmac_f32_e32 v24, v25, v26
	s_or_b32 exec_lo, exec_lo, s48
	s_and_saveexec_b32 s48, s22
	s_cbranch_execz .LBB107_256
.LBB107_1220:                           ;   in Loop: Header=BB107_3 Depth=1
	ds_load_b32 v25, v47 offset:3648
	ds_load_b32 v26, v44 offset:56
	s_wait_dscnt 0x0
	v_fmac_f32_e32 v24, v25, v26
	s_or_b32 exec_lo, exec_lo, s48
	s_and_saveexec_b32 s48, s4
	s_cbranch_execnz .LBB107_257
	s_branch .LBB107_258
.LBB107_1221:                           ;   in Loop: Header=BB107_3 Depth=1
	ds_load_b32 v25, v37 offset:4432
	ds_load_b32 v26, v31 offset:4164
	s_wait_dscnt 0x0
	v_fmac_f32_e32 v24, v25, v26
	s_or_b32 exec_lo, exec_lo, s48
	s_and_saveexec_b32 s48, s18
	s_cbranch_execz .LBB107_346
.LBB107_1222:                           ;   in Loop: Header=BB107_3 Depth=1
	ds_load_b32 v25, v36 offset:4688
	ds_load_b32 v26, v31 offset:4168
	s_wait_dscnt 0x0
	v_fmac_f32_e32 v24, v25, v26
	s_or_b32 exec_lo, exec_lo, s48
	s_and_saveexec_b32 s48, s2
	s_cbranch_execnz .LBB107_347
	s_branch .LBB107_348
.LBB107_1223:                           ;   in Loop: Header=BB107_3 Depth=1
	ds_load_b32 v25, v43 offset:4448
	ds_load_b32 v26, v39 offset:4164
	s_wait_dscnt 0x0
	v_fmac_f32_e32 v24, v25, v26
	s_or_b32 exec_lo, exec_lo, s48
	s_and_saveexec_b32 s48, s20
	s_cbranch_execz .LBB107_388
.LBB107_1224:                           ;   in Loop: Header=BB107_3 Depth=1
	ds_load_b32 v25, v43 offset:4704
	ds_load_b32 v26, v39 offset:4168
	s_wait_dscnt 0x0
	v_fmac_f32_e32 v24, v25, v26
	s_or_b32 exec_lo, exec_lo, s48
	s_and_saveexec_b32 s48, s21
	s_cbranch_execz .LBB107_389
.LBB107_1225:                           ;   in Loop: Header=BB107_3 Depth=1
	ds_load_b32 v25, v43 offset:4960
	ds_load_b32 v26, v39 offset:4172
	s_wait_dscnt 0x0
	v_fmac_f32_e32 v24, v25, v26
	s_or_b32 exec_lo, exec_lo, s48
	s_and_saveexec_b32 s48, s22
	s_cbranch_execz .LBB107_390
.LBB107_1226:                           ;   in Loop: Header=BB107_3 Depth=1
	ds_load_b32 v25, v42 offset:5216
	ds_load_b32 v26, v39 offset:4176
	s_wait_dscnt 0x0
	v_fmac_f32_e32 v24, v25, v26
	s_or_b32 exec_lo, exec_lo, s48
	s_and_saveexec_b32 s48, s23
	s_cbranch_execz .LBB107_391
.LBB107_1227:                           ;   in Loop: Header=BB107_3 Depth=1
	ds_load_b32 v25, v43 offset:5472
	ds_load_b32 v26, v39 offset:4180
	s_wait_dscnt 0x0
	v_fmac_f32_e32 v24, v25, v26
	s_or_b32 exec_lo, exec_lo, s48
	s_and_saveexec_b32 s48, s4
	s_cbranch_execz .LBB107_392
.LBB107_1228:                           ;   in Loop: Header=BB107_3 Depth=1
	ds_load_b32 v25, v42 offset:5728
	ds_load_b32 v26, v39 offset:4184
	s_wait_dscnt 0x0
	v_fmac_f32_e32 v24, v25, v26
	s_or_b32 exec_lo, exec_lo, s48
	s_and_saveexec_b32 s48, s18
	s_cbranch_execnz .LBB107_393
	s_branch .LBB107_394
.LBB107_1229:                           ;   in Loop: Header=BB107_3 Depth=1
	ds_load_b32 v25, v37 offset:6512
	ds_load_b32 v26, v31 offset:6244
	s_wait_dscnt 0x0
	v_fmac_f32_e32 v24, v25, v26
	s_or_b32 exec_lo, exec_lo, s48
	s_and_saveexec_b32 s48, s18
	s_cbranch_execz .LBB107_450
.LBB107_1230:                           ;   in Loop: Header=BB107_3 Depth=1
	ds_load_b32 v25, v36 offset:6768
	ds_load_b32 v26, v31 offset:6248
	s_wait_dscnt 0x0
	v_fmac_f32_e32 v24, v25, v26
	s_or_b32 exec_lo, exec_lo, s48
	s_and_saveexec_b32 s48, s2
	s_cbranch_execnz .LBB107_451
	s_branch .LBB107_452
.LBB107_1231:                           ;   in Loop: Header=BB107_3 Depth=1
	ds_load_b32 v26, v64 offset:7552
	ds_load_b32 v27, v25 offset:116
	s_wait_dscnt 0x0
	v_fmac_f32_e32 v24, v26, v27
	s_or_b32 exec_lo, exec_lo, s47
	s_and_saveexec_b32 s47, s5
	s_cbranch_execz .LBB107_548
.LBB107_1232:                           ;   in Loop: Header=BB107_3 Depth=1
	ds_load_b32 v26, v64 offset:7808
	ds_load_b32 v25, v25 offset:120
	s_wait_dscnt 0x0
	v_fmac_f32_e32 v24, v26, v25
	s_or_b32 exec_lo, exec_lo, s47
	s_and_saveexec_b32 s47, s22
	s_cbranch_execnz .LBB107_549
	s_branch .LBB107_550
.LBB107_1233:                           ;   in Loop: Header=BB107_3 Depth=1
	ds_load_b32 v25, v37 offset:8592
	ds_load_b32 v26, v31 offset:8324
	s_wait_dscnt 0x0
	v_fmac_f32_e32 v24, v25, v26
	s_or_b32 exec_lo, exec_lo, s48
	s_and_saveexec_b32 s48, s18
	s_cbranch_execz .LBB107_702
.LBB107_1234:                           ;   in Loop: Header=BB107_3 Depth=1
	ds_load_b32 v25, v36 offset:8848
	ds_load_b32 v26, v31 offset:8328
	s_wait_dscnt 0x0
	v_fmac_f32_e32 v24, v25, v26
	s_or_b32 exec_lo, exec_lo, s48
	s_and_saveexec_b32 s48, s2
	s_cbranch_execnz .LBB107_703
	s_branch .LBB107_704
.LBB107_1235:                           ;   in Loop: Header=BB107_3 Depth=1
	ds_load_b32 v25, v43 offset:8608
	ds_load_b32 v26, v39 offset:8324
	s_wait_dscnt 0x0
	v_fmac_f32_e32 v24, v25, v26
	s_or_b32 exec_lo, exec_lo, s48
	s_and_saveexec_b32 s48, s20
	s_cbranch_execz .LBB107_744
.LBB107_1236:                           ;   in Loop: Header=BB107_3 Depth=1
	ds_load_b32 v25, v43 offset:8864
	ds_load_b32 v26, v39 offset:8328
	s_wait_dscnt 0x0
	v_fmac_f32_e32 v24, v25, v26
	s_or_b32 exec_lo, exec_lo, s48
	s_and_saveexec_b32 s48, s21
	s_cbranch_execz .LBB107_745
.LBB107_1237:                           ;   in Loop: Header=BB107_3 Depth=1
	ds_load_b32 v25, v43 offset:9120
	ds_load_b32 v26, v39 offset:8332
	s_wait_dscnt 0x0
	v_fmac_f32_e32 v24, v25, v26
	s_or_b32 exec_lo, exec_lo, s48
	s_and_saveexec_b32 s48, s22
	s_cbranch_execz .LBB107_746
.LBB107_1238:                           ;   in Loop: Header=BB107_3 Depth=1
	ds_load_b32 v25, v42 offset:9376
	ds_load_b32 v26, v39 offset:8336
	s_wait_dscnt 0x0
	v_fmac_f32_e32 v24, v25, v26
	s_or_b32 exec_lo, exec_lo, s48
	s_and_saveexec_b32 s48, s23
	s_cbranch_execz .LBB107_747
.LBB107_1239:                           ;   in Loop: Header=BB107_3 Depth=1
	ds_load_b32 v25, v43 offset:9632
	ds_load_b32 v26, v39 offset:8340
	s_wait_dscnt 0x0
	v_fmac_f32_e32 v24, v25, v26
	s_or_b32 exec_lo, exec_lo, s48
	s_and_saveexec_b32 s48, s4
	s_cbranch_execz .LBB107_748
.LBB107_1240:                           ;   in Loop: Header=BB107_3 Depth=1
	ds_load_b32 v25, v42 offset:9888
	ds_load_b32 v26, v39 offset:8344
	s_wait_dscnt 0x0
	v_fmac_f32_e32 v24, v25, v26
	s_or_b32 exec_lo, exec_lo, s48
	s_and_saveexec_b32 s48, s18
	s_cbranch_execnz .LBB107_749
	s_branch .LBB107_750
.LBB107_1241:                           ;   in Loop: Header=BB107_3 Depth=1
	ds_load_b32 v25, v37 offset:10672
	ds_load_b32 v26, v31 offset:10404
	s_wait_dscnt 0x0
	v_fmac_f32_e32 v24, v25, v26
	s_or_b32 exec_lo, exec_lo, s48
	s_and_saveexec_b32 s48, s18
	s_cbranch_execz .LBB107_806
.LBB107_1242:                           ;   in Loop: Header=BB107_3 Depth=1
	ds_load_b32 v25, v36 offset:10928
	ds_load_b32 v26, v31 offset:10408
	s_wait_dscnt 0x0
	v_fmac_f32_e32 v24, v25, v26
	s_or_b32 exec_lo, exec_lo, s48
	s_and_saveexec_b32 s48, s2
	s_cbranch_execnz .LBB107_807
	s_branch .LBB107_808
.LBB107_1243:                           ;   in Loop: Header=BB107_3 Depth=1
	ds_load_b32 v25, v48 offset:11200
	ds_load_b32 v26, v44 offset:8364
	s_wait_dscnt 0x0
	v_fmac_f32_e32 v24, v25, v26
	s_or_b32 exec_lo, exec_lo, s48
	s_and_saveexec_b32 s48, s5
	s_cbranch_execz .LBB107_868
.LBB107_1244:                           ;   in Loop: Header=BB107_3 Depth=1
	ds_load_b32 v25, v47 offset:11456
	ds_load_b32 v26, v44 offset:8368
	s_wait_dscnt 0x0
	v_fmac_f32_e32 v24, v25, v26
	s_or_b32 exec_lo, exec_lo, s48
	s_and_saveexec_b32 s48, s20
	s_cbranch_execz .LBB107_869
.LBB107_1245:                           ;   in Loop: Header=BB107_3 Depth=1
	ds_load_b32 v25, v48 offset:11712
	ds_load_b32 v26, v44 offset:8372
	s_wait_dscnt 0x0
	v_fmac_f32_e32 v24, v25, v26
	s_or_b32 exec_lo, exec_lo, s48
	s_and_saveexec_b32 s48, s22
	s_cbranch_execz .LBB107_870
.LBB107_1246:                           ;   in Loop: Header=BB107_3 Depth=1
	ds_load_b32 v25, v47 offset:11968
	ds_load_b32 v26, v44 offset:8376
	s_wait_dscnt 0x0
	v_fmac_f32_e32 v24, v25, v26
	s_or_b32 exec_lo, exec_lo, s48
	s_and_saveexec_b32 s48, s4
	s_cbranch_execnz .LBB107_871
	s_branch .LBB107_872
.LBB107_1247:                           ;   in Loop: Header=BB107_3 Depth=1
	ds_load_b32 v25, v37 offset:12752
	ds_load_b32 v26, v31 offset:12484
	s_wait_dscnt 0x0
	v_fmac_f32_e32 v24, v25, v26
	s_or_b32 exec_lo, exec_lo, s48
	s_and_saveexec_b32 s48, s18
	s_cbranch_execz .LBB107_960
.LBB107_1248:                           ;   in Loop: Header=BB107_3 Depth=1
	ds_load_b32 v25, v36 offset:13008
	ds_load_b32 v26, v31 offset:12488
	s_wait_dscnt 0x0
	v_fmac_f32_e32 v24, v25, v26
	s_or_b32 exec_lo, exec_lo, s48
	s_and_saveexec_b32 s48, s2
	s_cbranch_execnz .LBB107_961
	s_branch .LBB107_962
.LBB107_1249:                           ;   in Loop: Header=BB107_3 Depth=1
	ds_load_b32 v25, v43 offset:12768
	ds_load_b32 v26, v39 offset:12484
	s_wait_dscnt 0x0
	v_fmac_f32_e32 v24, v25, v26
	s_or_b32 exec_lo, exec_lo, s48
	s_and_saveexec_b32 s48, s20
	s_cbranch_execz .LBB107_1002
.LBB107_1250:                           ;   in Loop: Header=BB107_3 Depth=1
	ds_load_b32 v25, v43 offset:13024
	ds_load_b32 v26, v39 offset:12488
	s_wait_dscnt 0x0
	v_fmac_f32_e32 v24, v25, v26
	s_or_b32 exec_lo, exec_lo, s48
	s_and_saveexec_b32 s48, s21
	s_cbranch_execz .LBB107_1003
.LBB107_1251:                           ;   in Loop: Header=BB107_3 Depth=1
	ds_load_b32 v25, v43 offset:13280
	ds_load_b32 v26, v39 offset:12492
	s_wait_dscnt 0x0
	v_fmac_f32_e32 v24, v25, v26
	s_or_b32 exec_lo, exec_lo, s48
	s_and_saveexec_b32 s48, s22
	s_cbranch_execz .LBB107_1004
.LBB107_1252:                           ;   in Loop: Header=BB107_3 Depth=1
	ds_load_b32 v25, v42 offset:13536
	ds_load_b32 v26, v39 offset:12496
	s_wait_dscnt 0x0
	v_fmac_f32_e32 v24, v25, v26
	s_or_b32 exec_lo, exec_lo, s48
	s_and_saveexec_b32 s48, s23
	s_cbranch_execz .LBB107_1005
.LBB107_1253:                           ;   in Loop: Header=BB107_3 Depth=1
	ds_load_b32 v25, v43 offset:13792
	ds_load_b32 v26, v39 offset:12500
	s_wait_dscnt 0x0
	v_fmac_f32_e32 v24, v25, v26
	s_or_b32 exec_lo, exec_lo, s48
	s_and_saveexec_b32 s48, s4
	s_cbranch_execz .LBB107_1006
.LBB107_1254:                           ;   in Loop: Header=BB107_3 Depth=1
	ds_load_b32 v25, v42 offset:14048
	ds_load_b32 v26, v39 offset:12504
	s_wait_dscnt 0x0
	v_fmac_f32_e32 v24, v25, v26
	s_or_b32 exec_lo, exec_lo, s48
	s_and_saveexec_b32 s48, s18
	s_cbranch_execnz .LBB107_1007
	s_branch .LBB107_1008
.LBB107_1255:                           ;   in Loop: Header=BB107_3 Depth=1
	ds_load_b32 v25, v37 offset:14832
	ds_load_b32 v26, v31 offset:14564
	s_wait_dscnt 0x0
	v_fmac_f32_e32 v24, v25, v26
	s_or_b32 exec_lo, exec_lo, s48
	s_and_saveexec_b32 s48, s18
	s_cbranch_execz .LBB107_1064
.LBB107_1256:                           ;   in Loop: Header=BB107_3 Depth=1
	ds_load_b32 v25, v36 offset:15088
	ds_load_b32 v26, v31 offset:14568
	s_wait_dscnt 0x0
	v_fmac_f32_e32 v24, v25, v26
	s_or_b32 exec_lo, exec_lo, s48
	s_and_saveexec_b32 s48, s2
	s_cbranch_execnz .LBB107_1065
	s_branch .LBB107_1066
.LBB107_1257:
	s_endpgm
	.section	.rodata,"a",@progbits
	.p2align	6, 0x0
	.amdhsa_kernel _ZL19rocblas_trsv_deviceILi64ELi16ELb1ELb1ELb0ELb0EfPKfPKS1_PKPfEviT7_lllT6_T8_lllPii
		.amdhsa_group_segment_fixed_size 20740
		.amdhsa_private_segment_fixed_size 0
		.amdhsa_kernarg_size 352
		.amdhsa_user_sgpr_count 2
		.amdhsa_user_sgpr_dispatch_ptr 0
		.amdhsa_user_sgpr_queue_ptr 0
		.amdhsa_user_sgpr_kernarg_segment_ptr 1
		.amdhsa_user_sgpr_dispatch_id 0
		.amdhsa_user_sgpr_kernarg_preload_length 0
		.amdhsa_user_sgpr_kernarg_preload_offset 0
		.amdhsa_user_sgpr_private_segment_size 0
		.amdhsa_wavefront_size32 1
		.amdhsa_uses_dynamic_stack 0
		.amdhsa_enable_private_segment 0
		.amdhsa_system_sgpr_workgroup_id_x 1
		.amdhsa_system_sgpr_workgroup_id_y 0
		.amdhsa_system_sgpr_workgroup_id_z 1
		.amdhsa_system_sgpr_workgroup_info 0
		.amdhsa_system_vgpr_workitem_id 1
		.amdhsa_next_free_vgpr 94
		.amdhsa_next_free_sgpr 105
		.amdhsa_named_barrier_count 0
		.amdhsa_reserve_vcc 1
		.amdhsa_float_round_mode_32 0
		.amdhsa_float_round_mode_16_64 0
		.amdhsa_float_denorm_mode_32 3
		.amdhsa_float_denorm_mode_16_64 3
		.amdhsa_fp16_overflow 0
		.amdhsa_memory_ordered 1
		.amdhsa_forward_progress 1
		.amdhsa_inst_pref_size 255
		.amdhsa_round_robin_scheduling 0
		.amdhsa_exception_fp_ieee_invalid_op 0
		.amdhsa_exception_fp_denorm_src 0
		.amdhsa_exception_fp_ieee_div_zero 0
		.amdhsa_exception_fp_ieee_overflow 0
		.amdhsa_exception_fp_ieee_underflow 0
		.amdhsa_exception_fp_ieee_inexact 0
		.amdhsa_exception_int_div_zero 0
	.end_amdhsa_kernel
	.section	.text._ZL19rocblas_trsv_deviceILi64ELi16ELb1ELb1ELb0ELb0EfPKfPKS1_PKPfEviT7_lllT6_T8_lllPii,"axG",@progbits,_ZL19rocblas_trsv_deviceILi64ELi16ELb1ELb1ELb0ELb0EfPKfPKS1_PKPfEviT7_lllT6_T8_lllPii,comdat
.Lfunc_end107:
	.size	_ZL19rocblas_trsv_deviceILi64ELi16ELb1ELb1ELb0ELb0EfPKfPKS1_PKPfEviT7_lllT6_T8_lllPii, .Lfunc_end107-_ZL19rocblas_trsv_deviceILi64ELi16ELb1ELb1ELb0ELb0EfPKfPKS1_PKPfEviT7_lllT6_T8_lllPii
                                        ; -- End function
	.set _ZL19rocblas_trsv_deviceILi64ELi16ELb1ELb1ELb0ELb0EfPKfPKS1_PKPfEviT7_lllT6_T8_lllPii.num_vgpr, 94
	.set _ZL19rocblas_trsv_deviceILi64ELi16ELb1ELb1ELb0ELb0EfPKfPKS1_PKPfEviT7_lllT6_T8_lllPii.num_agpr, 0
	.set _ZL19rocblas_trsv_deviceILi64ELi16ELb1ELb1ELb0ELb0EfPKfPKS1_PKPfEviT7_lllT6_T8_lllPii.numbered_sgpr, 105
	.set _ZL19rocblas_trsv_deviceILi64ELi16ELb1ELb1ELb0ELb0EfPKfPKS1_PKPfEviT7_lllT6_T8_lllPii.num_named_barrier, 0
	.set _ZL19rocblas_trsv_deviceILi64ELi16ELb1ELb1ELb0ELb0EfPKfPKS1_PKPfEviT7_lllT6_T8_lllPii.private_seg_size, 0
	.set _ZL19rocblas_trsv_deviceILi64ELi16ELb1ELb1ELb0ELb0EfPKfPKS1_PKPfEviT7_lllT6_T8_lllPii.uses_vcc, 1
	.set _ZL19rocblas_trsv_deviceILi64ELi16ELb1ELb1ELb0ELb0EfPKfPKS1_PKPfEviT7_lllT6_T8_lllPii.uses_flat_scratch, 0
	.set _ZL19rocblas_trsv_deviceILi64ELi16ELb1ELb1ELb0ELb0EfPKfPKS1_PKPfEviT7_lllT6_T8_lllPii.has_dyn_sized_stack, 0
	.set _ZL19rocblas_trsv_deviceILi64ELi16ELb1ELb1ELb0ELb0EfPKfPKS1_PKPfEviT7_lllT6_T8_lllPii.has_recursion, 0
	.set _ZL19rocblas_trsv_deviceILi64ELi16ELb1ELb1ELb0ELb0EfPKfPKS1_PKPfEviT7_lllT6_T8_lllPii.has_indirect_call, 0
	.section	.AMDGPU.csdata,"",@progbits
; Kernel info:
; codeLenInByte = 40236
; TotalNumSgprs: 107
; NumVgprs: 94
; ScratchSize: 0
; MemoryBound: 0
; FloatMode: 240
; IeeeMode: 1
; LDSByteSize: 20740 bytes/workgroup (compile time only)
; SGPRBlocks: 0
; VGPRBlocks: 5
; NumSGPRsForWavesPerEU: 107
; NumVGPRsForWavesPerEU: 94
; NamedBarCnt: 0
; Occupancy: 10
; WaveLimiterHint : 1
; COMPUTE_PGM_RSRC2:SCRATCH_EN: 0
; COMPUTE_PGM_RSRC2:USER_SGPR: 2
; COMPUTE_PGM_RSRC2:TRAP_HANDLER: 0
; COMPUTE_PGM_RSRC2:TGID_X_EN: 1
; COMPUTE_PGM_RSRC2:TGID_Y_EN: 0
; COMPUTE_PGM_RSRC2:TGID_Z_EN: 1
; COMPUTE_PGM_RSRC2:TIDIG_COMP_CNT: 1
	.section	.text._ZL19rocblas_trsv_deviceILi64ELi16ELb1ELb1ELb1ELb0EfPKfPKS1_PKPfEviT7_lllT6_T8_lllPii,"axG",@progbits,_ZL19rocblas_trsv_deviceILi64ELi16ELb1ELb1ELb1ELb0EfPKfPKS1_PKPfEviT7_lllT6_T8_lllPii,comdat
	.globl	_ZL19rocblas_trsv_deviceILi64ELi16ELb1ELb1ELb1ELb0EfPKfPKS1_PKPfEviT7_lllT6_T8_lllPii ; -- Begin function _ZL19rocblas_trsv_deviceILi64ELi16ELb1ELb1ELb1ELb0EfPKfPKS1_PKPfEviT7_lllT6_T8_lllPii
	.p2align	8
	.type	_ZL19rocblas_trsv_deviceILi64ELi16ELb1ELb1ELb1ELb0EfPKfPKS1_PKPfEviT7_lllT6_T8_lllPii,@function
_ZL19rocblas_trsv_deviceILi64ELi16ELb1ELb1ELb1ELb0EfPKfPKS1_PKPfEviT7_lllT6_T8_lllPii: ; @_ZL19rocblas_trsv_deviceILi64ELi16ELb1ELb1ELb1ELb0EfPKfPKS1_PKPfEviT7_lllT6_T8_lllPii
; %bb.0:
	s_load_b32 s6, s[0:1], 0x58
	s_bfe_u32 s2, ttmp6, 0x40014
	s_lshr_b32 s3, ttmp7, 16
	s_add_co_i32 s2, s2, 1
	s_bfe_u32 s5, ttmp6, 0x40008
	s_mul_i32 s4, s3, s2
	s_getreg_b32 s2, hwreg(HW_REG_IB_STS2, 6, 4)
	s_add_co_i32 s5, s5, s4
	s_cmp_eq_u32 s2, 0
	s_mov_b32 s67, 0
	s_cselect_b32 s66, s3, s5
                                        ; implicit-def: $vgpr93 : SGPR spill to VGPR lane
	s_wait_kmcnt 0x0
	s_cmp_ge_u32 s66, s6
	v_writelane_b32 v93, s6, 0
	s_cbranch_scc1 .LBB108_1257
; %bb.1:
	s_clause 0x2
	s_load_b32 s3, s[0:1], 0x6c
	s_load_b32 s87, s[0:1], 0x60
	;; [unrolled: 1-line block ×3, first 2 shown]
	s_bfe_u32 s5, ttmp6, 0x4000c
	s_and_b32 s4, ttmp6, 15
	s_add_co_i32 s5, s5, 1
	s_clause 0x1
	s_load_b64 s[14:15], s[0:1], 0x18
	s_load_b128 s[76:79], s[0:1], 0x8
	s_mul_i32 s5, ttmp9, s5
	v_and_b32_e32 v2, 0x3ff, v0
	s_add_co_i32 s4, s4, s5
	s_cmp_eq_u32 s2, 0
	v_bfe_u32 v28, v0, 10, 10
	s_cselect_b32 s86, ttmp9, s4
	v_dual_mov_b32 v5, 0 :: v_dual_lshlrev_b32 v51, 6, v2
                                        ; implicit-def: $vgpr92 : SGPR spill to VGPR lane
                                        ; implicit-def: $vgpr91 : SGPR spill to VGPR lane
	s_load_b256 s[68:75], s[0:1], 0x28
	s_delay_alu instid0(VALU_DEP_2) | instskip(SKIP_1) | instid1(VALU_DEP_3)
	v_add_nc_u32_e32 v24, 16, v28
	v_lshl_add_u32 v22, v28, 6, v2
	v_mov_b32_e32 v3, v5
	s_wait_kmcnt 0x0
	s_and_b32 s4, s3, 0xffff
	s_add_co_i32 s87, s87, -1
	s_add_co_i32 s2, s80, -1
	s_ashr_i32 s81, s80, 31
	s_ashr_i32 s3, s2, 31
	s_lshr_b32 s5, s81, 26
	s_lshr_b32 s3, s3, 26
	s_add_co_i32 s5, s80, s5
	s_add_co_i32 s2, s2, s3
	s_and_not1_b32 s5, s5, 63
	s_sub_co_i32 s46, s87, s86
	s_ashr_i32 s2, s2, 6
	s_sub_co_i32 s18, s80, s5
	s_cmp_eq_u32 s2, s46
	v_lshl_add_u32 v11, v24, 6, v2
	s_cselect_b32 s2, -1, 0
	s_cmp_lg_u32 s18, 0
	v_mad_u32_u24 v4, v28, s4, v2
	s_cselect_b32 s3, -1, 0
	v_cmp_gt_u32_e64 s5, 2, v2
	s_and_b32 s19, s3, s2
	v_add_nc_u32_e32 v80, 32, v28
	s_xor_b32 s88, s19, -1
	s_cmp_lg_u32 s86, 0
	s_load_b64 s[82:83], s[0:1], 0x50
	s_cselect_b32 s2, -1, 0
	s_lshl_b32 s16, s46, 6
	s_delay_alu instid0(SALU_CYCLE_1) | instskip(SKIP_3) | instid1(VALU_DEP_3)
	v_dual_add_nc_u32 v1, v28, v51 :: v_dual_add_nc_u32 v25, s16, v28
	v_dual_add_nc_u32 v10, v24, v51 :: v_dual_add_nc_u32 v20, s16, v2
	v_writelane_b32 v93, s2, 1
	s_add_nc_u64 s[2:3], s[14:15], 1
	v_add_nc_u32_e32 v6, 64, v25
	s_cmp_lt_i32 s86, 5
	v_mad_nc_u64_u32 v[14:15], s2, s16, v[2:3]
	s_cselect_b32 vcc_lo, -1, 0
	s_delay_alu instid0(VALU_DEP_2)
	v_dual_ashrrev_i32 v21, 31, v20 :: v_dual_ashrrev_i32 v7, 31, v6
	v_cndmask_b32_e32 v26, v22, v1, vcc_lo
	s_or_b32 vcc_lo, vcc_lo, s19
	s_ashr_i32 s17, s16, 31
	v_dual_cndmask_b32 v27, v11, v10, vcc_lo :: v_dual_lshrrev_b32 v1, 10, v0
	v_dual_lshrrev_b32 v16, 1, v22 :: v_dual_bitop2_b32 v10, 1, v0 bitop3:0x40
	s_mul_i32 s2, s2, s17
	s_mul_i32 s3, s3, s16
	s_delay_alu instid0(VALU_DEP_2) | instskip(NEXT) | instid1(VALU_DEP_2)
	v_bitop3_b32 v23, v0, v1, 0x3ff bitop3:0xa8
	v_cmp_eq_u32_e64 s4, 1, v10
	v_add3_u32 v15, s2, s3, v15
	v_cmp_gt_u32_e64 s2, 4, v22
	v_dual_lshlrev_b32 v17, 2, v10 :: v_dual_bitop2_b32 v10, 3, v0 bitop3:0x40
	s_xor_b32 s3, s4, -1
	v_dual_lshrrev_b32 v1, 2, v22 :: v_dual_bitop2_b32 v11, -4, v22 bitop3:0x40
	s_and_b32 s91, s3, s2
	v_cmp_eq_u32_e64 s3, 0, v28
	s_and_b32 s92, s4, s2
	v_mul_u32_u24_e32 v31, 0x104, v1
	v_cmp_gt_u32_e64 s4, 16, v22
	v_lshlrev_b32_e32 v33, 2, v10
	s_and_b32 s93, s3, s5
	v_cmp_eq_u32_e64 s5, 0, v10
	v_sub_nc_u32_e32 v12, v31, v11
	v_cmp_ne_u32_e64 s6, 0, v10
	v_lshl_or_b32 v36, v1, 8, v33
	v_cmp_eq_u32_e64 s7, 1, v10
	s_and_b32 s94, s5, s4
	v_cmp_eq_u32_e64 s5, 2, v10
	v_dual_add_nc_u32 v37, v12, v33 :: v_dual_lshrrev_b32 v1, 3, v22
	v_cmp_lt_u32_e64 s8, 1, v10
	s_and_b32 s95, s6, s4
	s_and_b32 s98, s5, s4
	v_cmp_eq_u32_e64 s5, 3, v10
	v_cmp_gt_u32_e64 s6, 4, v2
	v_and_b32_e32 v10, 7, v0
	v_add_nc_u32_e32 v35, 0x4000, v11
	s_and_b32 s96, s7, s4
	v_lshlrev_b32_e32 v11, 2, v1
	s_and_b32 s99, s5, s4
	s_and_b32 s100, s3, s6
	v_cmp_gt_u32_e64 s5, 64, v22
	v_cmp_eq_u32_e64 s6, 0, v10
	v_cmp_ne_u32_e64 s7, 0, v10
	s_and_b32 s97, s8, s4
	v_mul_u32_u24_e32 v39, 0x104, v1
	v_cmp_eq_u32_e64 s8, 1, v10
	s_and_b32 s101, s6, s5
	s_and_b32 s102, s7, s5
	v_cmp_lt_u32_e64 s6, 1, v10
	v_cmp_eq_u32_e64 s7, 2, v10
	v_dual_lshlrev_b32 v40, 2, v10 :: v_dual_sub_nc_u32 v12, v39, v11
	s_and_b32 s103, s8, s5
	s_and_b32 s104, s6, s5
	s_and_b32 vcc_hi, s7, s5
	v_cmp_lt_u32_e64 s6, 3, v10
	v_cmp_eq_u32_e64 s7, 4, v10
	v_cmp_lt_u32_e64 s8, 2, v10
	v_cmp_eq_u32_e64 s9, 3, v10
	v_lshl_or_b32 v42, v1, 8, v40
	s_and_b32 s38, s6, s5
	v_cmp_eq_u32_e64 s6, 5, v10
	s_and_b32 s39, s7, s5
	v_cmp_eq_u32_e64 s7, 6, v10
	v_dual_add_nc_u32 v43, v12, v40 :: v_dual_lshrrev_b32 v1, 4, v22
	s_and_b32 s36, s8, s5
	s_and_b32 s37, s9, s5
	v_cmp_lt_u32_e64 s8, 4, v10
	v_cmp_lt_u32_e64 s9, 5, v10
	s_and_b32 s41, s6, s5
	v_cmp_eq_u32_e64 s6, 7, v10
	s_and_b32 s43, s7, s5
	v_and_b32_e32 v10, 15, v0
	v_cmp_gt_u32_e64 s7, 8, v2
	v_add_nc_u32_e32 v41, 0x4000, v11
	s_and_b32 s44, s6, s5
	v_lshlrev_b32_e32 v11, 2, v1
	v_cmp_gt_u32_e64 s6, 0x100, v22
	s_and_b32 s45, s3, s7
	v_cmp_eq_u32_e64 s7, 0, v10
	s_and_b32 s40, s8, s5
	v_cmp_ne_u32_e64 s8, 0, v10
	s_and_b32 s42, s9, s5
	v_cmp_eq_u32_e64 s9, 1, v10
	s_and_b32 s7, s7, s6
	v_cmp_lt_u32_e64 s10, 1, v10
	v_writelane_b32 v93, s7, 2
	s_and_b32 s7, s8, s6
	v_mul_u32_u24_e32 v44, 0x104, v1
	v_lshlrev_b32_e32 v45, 2, v10
	s_and_b32 s8, s10, s6
	v_writelane_b32 v93, s7, 3
	s_and_b32 s7, s9, s6
	v_cmp_eq_u32_e64 s9, 3, v10
	v_cmp_lt_u32_e64 s10, 3, v10
	v_add_nc_u32_e32 v52, v80, v51
	v_writelane_b32 v93, s7, 4
	v_cmp_eq_u32_e64 s7, 2, v10
	s_and_b32 s52, s9, s6
	v_cmp_lt_u32_e64 s9, 5, v10
	v_lshl_add_u32 v53, v80, 6, v2
	v_writelane_b32 v93, s8, 5
	v_cmp_lt_u32_e64 s8, 2, v10
	s_and_b32 s7, s7, s6
	s_and_b32 s57, s9, s6
	v_cmp_eq_u32_e64 s9, 8, v10
	v_writelane_b32 v93, s7, 6
	s_and_b32 s8, s8, s6
	v_cmp_eq_u32_e64 s7, 4, v10
	v_add_nc_u32_e32 v46, 0x4000, v11
	v_sub_nc_u32_e32 v11, v44, v11
	v_writelane_b32 v93, s8, 7
	v_cmp_lt_u32_e64 s8, 4, v10
	s_and_b32 s54, s7, s6
	v_cmp_eq_u32_e64 s7, 5, v10
	s_and_b32 s64, s9, s6
	v_cmp_lt_u32_e64 s9, 10, v10
	s_and_b32 s55, s8, s6
	v_cmp_lt_u32_e64 s8, 6, v10
	s_and_b32 s56, s7, s6
	v_cmp_eq_u32_e64 s7, 7, v10
	v_dual_add_nc_u32 v48, v11, v45 :: v_dual_bitop2_b32 v66, 31, v0 bitop3:0x40
	s_and_b32 s61, s8, s6
	v_cmp_lt_u32_e64 s8, 7, v10
	s_and_b32 s62, s7, s6
	v_cmp_eq_u32_e64 s7, 9, v10
	s_and_b32 s53, s10, s6
	v_cmp_eq_u32_e64 s10, 6, v10
	s_and_b32 s63, s8, s6
	v_cmp_lt_u32_e64 s8, 9, v10
	s_and_b32 s24, s7, s6
	v_cmp_eq_u32_e64 s7, 10, v10
	s_and_b32 s30, s9, s6
	v_cmp_eq_u32_e64 s9, 13, v10
	s_and_b32 s26, s8, s6
	v_cmp_lt_u32_e64 s8, 11, v10
	s_and_b32 s28, s7, s6
	v_cmp_eq_u32_e64 s7, 12, v10
	s_and_b32 s58, s10, s6
	v_cmp_lt_u32_e64 s10, 8, v10
	s_and_b32 s35, s8, s6
	v_cmp_lt_u32_e64 s8, 12, v10
	s_and_b32 s25, s7, s6
	v_cmp_eq_u32_e64 s7, 14, v10
	s_and_b32 s29, s9, s6
	v_cmp_gt_u32_e64 s9, 16, v2
	s_and_b32 s27, s8, s6
	v_cmp_eq_u32_e64 s8, 15, v10
	s_and_b32 s34, s7, s6
	v_cmp_gt_u32_e64 s7, 0x400, v22
	s_and_b32 s13, s10, s6
	v_cmp_eq_u32_e64 s10, 11, v10
	s_and_b32 s65, s8, s6
	v_cmp_eq_u32_e64 s8, 0, v66
	s_and_b32 s89, s3, s9
	v_cmp_ne_u32_e64 s9, 0, v66
	s_and_b32 s33, s10, s6
	v_cmp_lt_u32_e64 s10, 13, v10
	s_and_b32 s8, s8, s7
	v_cmp_eq_u32_e64 s11, 2, v66
	v_writelane_b32 v93, s8, 8
	v_cmp_eq_u32_e64 s8, 1, v66
	s_and_b32 s9, s9, s7
	s_and_b32 s31, s10, s6
	v_cmp_lt_u32_e64 s10, 1, v66
	v_writelane_b32 v93, s9, 9
	s_and_b32 s8, s8, s7
	v_cmp_lt_u32_e64 s12, 2, v66
	v_cmp_lt_u32_e64 s9, 3, v66
	v_dual_lshrrev_b32 v0, 5, v22 :: v_dual_add_nc_u32 v81, 48, v28
	v_writelane_b32 v93, s8, 10
	s_and_b32 s8, s10, s7
	v_cmp_eq_u32_e64 s10, 4, v66
	s_xor_b32 s90, vcc_lo, -1
	v_add_nc_u32_e32 v51, v81, v51
	v_writelane_b32 v93, s8, 11
	s_and_b32 s8, s11, s7
	v_cmp_lt_u32_e64 s11, 4, v66
	v_lshl_add_u32 v54, v81, 6, v2
	v_mul_u64_e32 v[8:9], s[14:15], v[20:21]
	v_writelane_b32 v93, s8, 12
	s_and_b32 s8, s12, s7
	v_cmp_eq_u32_e64 s12, 5, v66
	v_dual_cndmask_b32 v76, v54, v51 :: v_dual_cndmask_b32 v75, v53, v52
	v_writelane_b32 v93, s8, 13
	v_cmp_eq_u32_e64 s8, 3, v66
	v_cmp_eq_u32_e32 vcc_lo, 9, v66
	v_lshl_or_b32 v47, v1, 8, v45
	v_dual_lshlrev_b32 v49, 2, v0 :: v_dual_lshlrev_b32 v50, 8, v0
	s_and_b32 s8, s8, s7
	v_mad_nc_u64_u32 v[0:1], s14, v28, v[14:15]
	v_writelane_b32 v93, s8, 14
	s_and_b32 s8, s9, s7
	v_cmp_eq_u32_e64 s9, 6, v66
	v_mad_nc_u64_u32 v[10:11], s14, v24, v[14:15]
	v_mad_nc_u64_u32 v[12:13], s14, v80, v[14:15]
	v_writelane_b32 v93, s8, 15
	s_and_b32 s8, s10, s7
	v_cmp_lt_u32_e64 s10, 6, v66
	v_mad_nc_u64_u32 v[14:15], s14, v81, v[14:15]
	s_wait_xcnt 0x0
	v_cmp_gt_i32_e64 s0, s18, v2
	v_writelane_b32 v93, s8, 16
	s_and_b32 s8, s11, s7
	v_cmp_eq_u32_e64 s11, 7, v66
	v_cmp_gt_i32_e64 s1, s80, v6
	v_lshl_add_u32 v3, v16, 2, 0x4000
	v_writelane_b32 v93, s8, 17
	s_and_b32 s8, s12, s7
	v_cmp_lt_u32_e64 s12, 7, v66
	v_mul_u32_u24_e32 v29, 0x104, v16
	v_lshl_or_b32 v65, v16, 8, v17
	v_writelane_b32 v93, s8, 18
	v_cmp_lt_u32_e64 s8, 5, v66
	v_mul_u64_e32 v[16:17], s[74:75], v[20:21]
	v_add_nc_u32_e32 v21, 0x50, v25
	v_mad_u32 v1, s15, v28, v1
	v_mad_u32 v11, s15, v24, v11
	s_and_b32 s8, s8, s7
	v_mad_u32 v13, s15, v80, v13
	v_writelane_b32 v93, s8, 19
	s_and_b32 s8, s9, s7
	v_cmp_lt_u32_e64 s9, 8, v66
	v_mad_u32 v15, s15, v81, v15
	v_add_nc_u64_e32 v[18:19], s[16:17], v[4:5]
	v_writelane_b32 v93, s8, 20
	s_and_b32 s8, s10, s7
	v_cmp_lt_u32_e64 s10, 9, v66
	v_cmp_ne_u32_e64 s16, v2, v24
	v_cmp_ne_u32_e64 s17, v2, v80
	v_writelane_b32 v93, s8, 21
	s_and_b32 s8, s11, s7
	s_and_b32 s11, s12, s7
	v_cmp_gt_u32_e64 s47, 0xf0, v22
                                        ; implicit-def: $vgpr90 : SGPR spill to VGPR lane
	v_dual_lshlrev_b32 v30, 2, v2 :: v_dual_lshlrev_b32 v32, 8, v2
	v_writelane_b32 v93, s8, 22
	v_cmp_eq_u32_e64 s8, 8, v66
	v_mul_i32_i24_e32 v79, 0xffffff04, v2
	s_delay_alu instid0(VALU_DEP_4)
	v_mad_u32_u24 v34, 0xfc, v2, v30
	v_mul_u64_e32 v[18:19], s[74:75], v[18:19]
	v_writelane_b32 v93, s11, 23
	s_and_b32 s8, s8, s7
	v_cmp_eq_u32_e64 s11, 10, v66
	v_mad_i32_i24 v38, 0xffffff04, v2, v34
	v_dual_lshlrev_b32 v73, 2, v26 :: v_dual_lshlrev_b32 v74, 2, v27
	v_writelane_b32 v93, s8, 24
	s_and_b32 s8, s9, s7
	s_delay_alu instid0(VALU_DEP_3)
	v_mad_u32_u24 v51, 0xfc, v2, v38
	v_mul_lo_u32 v26, v79, 6
	v_mul_u32_u24_e32 v78, 0xfc, v2
	v_writelane_b32 v93, s8, 25
	s_and_b32 s8, vcc_lo, s7
	v_cmp_lt_u32_e32 vcc_lo, 10, v66
	v_mad_i32_i24 v52, 0xffffff04, v2, v51
	v_dual_lshlrev_b32 v63, 2, v66 :: v_dual_lshlrev_b32 v77, 2, v28
	v_writelane_b32 v93, s8, 26
	s_and_b32 s8, s10, s7
	v_cmp_le_i32_e64 s10, s18, v81
	v_mad_u32_u24 v53, 0xfc, v2, v52
	v_mad_u32 v26, v78, 7, v26
	v_writelane_b32 v93, s8, 27
	s_and_b32 s8, s11, s7
	v_mul_u32_u24_e32 v27, 0xf8, v2
	v_mad_i32_i24 v54, 0xffffff04, v2, v53
	v_or_b32_e32 v68, 0x5000, v77
	v_writelane_b32 v93, s8, 28
	s_and_b32 s8, vcc_lo, s7
	v_cmp_eq_u32_e32 vcc_lo, 11, v66
	v_mad_u32_u24 v55, 0xfc, v2, v54
	v_add_nc_u32_e32 v62, 0x4000, v49
	v_writelane_b32 v93, s8, 29
	v_sub_nc_u32_e32 v26, v26, v27
	s_and_b32 s8, vcc_lo, s7
	v_cmp_lt_u32_e32 vcc_lo, 11, v66
	v_mad_i32_i24 v56, 0xffffff04, v2, v55
	v_writelane_b32 v93, s8, 30
	v_dual_add_nc_u32 v72, v68, v30 :: v_dual_bitop2_b32 v64, v50, v63 bitop3:0x54
	s_and_b32 s8, vcc_lo, s7
	v_cmp_eq_u32_e32 vcc_lo, 12, v66
	v_writelane_b32 v93, s8, 31
	v_mad_u32_u24 v57, 0xfc, v2, v56
	v_lshl_add_u32 v67, v4, 2, 0x5000
	v_lshl_add_u32 v69, v22, 2, 0x4000
	s_and_b32 s8, vcc_lo, s7
	v_cmp_lt_u32_e32 vcc_lo, 12, v66
	v_writelane_b32 v92, s8, 0
	v_mad_i32_i24 v58, 0xffffff04, v2, v57
	v_add_nc_u32_e32 v70, 0x4000, v30
	v_add_nc_u32_e32 v78, 0x3c00, v26
	s_and_b32 s8, vcc_lo, s7
	v_cmp_eq_u32_e32 vcc_lo, 13, v66
	v_writelane_b32 v92, s8, 1
	v_mad_u32_u24 v59, 0xfc, v2, v58
	v_subrev_nc_u32_e32 v79, 63, v2
	v_cmp_gt_u32_e64 s20, 48, v22
	s_and_b32 s8, vcc_lo, s7
	v_cmp_lt_u32_e32 vcc_lo, 13, v66
	v_writelane_b32 v92, s8, 2
	v_mad_i32_i24 v60, 0xffffff04, v2, v59
	v_cmp_gt_u32_e64 s21, 40, v22
	v_cmp_gt_u32_e64 s22, 32, v22
	s_and_b32 s8, vcc_lo, s7
	v_cmp_eq_u32_e32 vcc_lo, 14, v66
	v_writelane_b32 v92, s8, 3
	v_mad_u32_u24 v61, 0xfc, v2, v60
	v_cmp_gt_u32_e64 s23, 24, v22
	v_cmp_eq_u32_e64 s59, 0, v4
	s_and_b32 s8, vcc_lo, s7
	v_cmp_lt_u32_e32 vcc_lo, 14, v66
	v_writelane_b32 v92, s8, 4
	v_cmp_gt_u32_e64 s60, 64, v4
                                        ; implicit-def: $vgpr82
                                        ; implicit-def: $vgpr83
	v_dual_add_nc_u32 v77, v32, v77 :: v_dual_lshlrev_b32 v75, 2, v75
	s_and_b32 s8, vcc_lo, s7
	v_cmp_eq_u32_e32 vcc_lo, 15, v66
	v_writelane_b32 v92, s8, 5
	v_lshlrev_b32_e32 v76, 2, v76
	s_and_b32 s8, vcc_lo, s7
	v_cmp_lt_u32_e32 vcc_lo, 15, v66
	v_writelane_b32 v92, s8, 6
	s_and_b32 s8, vcc_lo, s7
	v_cmp_eq_u32_e32 vcc_lo, 16, v66
	v_writelane_b32 v92, s8, 7
	s_and_b32 s8, vcc_lo, s7
	v_cmp_lt_u32_e32 vcc_lo, 16, v66
	v_writelane_b32 v92, s8, 8
	s_and_b32 s8, vcc_lo, s7
	v_cmp_eq_u32_e32 vcc_lo, 17, v66
	v_writelane_b32 v92, s8, 9
	;; [unrolled: 6-line block ×15, first 2 shown]
	s_and_b32 s8, vcc_lo, s7
	v_cmp_eq_u32_e32 vcc_lo, 31, v66
	v_writelane_b32 v91, s8, 4
	v_mad_i32_i24 v66, 0xffffff04, v2, v32
	s_and_b32 s14, vcc_lo, s7
	v_cmp_gt_u32_e32 vcc_lo, 32, v2
	s_delay_alu instid0(VALU_DEP_2)
	v_lshl_add_u32 v71, v28, 8, v66
	s_and_b32 s8, s3, vcc_lo
	v_cmp_le_i32_e32 vcc_lo, s18, v2
	v_writelane_b32 v91, s8, 5
	s_and_b32 s8, vcc_lo, s19
	v_cmp_gt_u32_e64 s19, 56, v22
	v_writelane_b32 v91, s8, 6
	s_xor_b32 s8, s8, -1
	s_delay_alu instid0(SALU_CYCLE_1)
	s_and_b32 s12, s3, s8
	s_cmp_gt_i32 s86, 0
	s_cselect_b32 s11, -1, 0
	s_and_b32 s0, s3, s0
	s_add_co_i32 s46, s46, 1
	v_writelane_b32 v91, s0, 7
	v_cmp_gt_i32_e64 s0, s80, v20
	v_add_nc_u32_e32 v20, 0x60, v25
	s_lshl_b64 s[78:79], s[78:79], 2
	s_lshl_b64 s[72:73], s[72:73], 2
	s_and_b32 s1, s1, s0
	s_delay_alu instid0(SALU_CYCLE_1) | instskip(SKIP_4) | instid1(SALU_CYCLE_1)
	v_writelane_b32 v91, s1, 8
	v_cmp_gt_i32_e64 s1, s80, v21
	v_add_nc_u32_e32 v21, 0x70, v25
	v_or_b32_e32 v25, v81, v2
	s_and_b32 s1, s1, s0
	v_writelane_b32 v91, s1, 9
	v_cmp_gt_i32_e64 s1, s80, v20
	v_or_b32_e32 v20, v24, v2
	s_and_b32 s1, s1, s0
	s_delay_alu instid0(SALU_CYCLE_1) | instskip(SKIP_3) | instid1(SALU_CYCLE_1)
	v_writelane_b32 v91, s1, 10
	v_cmp_gt_i32_e64 s1, s80, v21
	v_or_b32_e32 v21, v80, v2
	s_and_b32 s1, s1, s0
	v_writelane_b32 v91, s1, 11
	v_cmp_le_i32_e64 s1, s18, v28
	s_or_b32 s8, s1, vcc_lo
	v_cmp_le_u32_e64 s1, v2, v28
	s_or_b32 s8, s8, s1
	s_delay_alu instid0(SALU_CYCLE_1) | instskip(SKIP_4) | instid1(SALU_CYCLE_1)
	v_writelane_b32 v91, s8, 12
	v_cmp_le_i32_e64 s8, s18, v24
	s_or_b32 s9, s8, vcc_lo
	v_cmp_le_u32_e64 s8, v2, v24
	s_or_b32 s9, s9, s8
	v_writelane_b32 v91, s9, 13
	v_cmp_le_i32_e64 s9, s18, v80
	v_cmp_ne_u32_e64 s18, v2, v81
	s_or_b32 s15, s9, vcc_lo
	v_cmp_le_u32_e64 s9, v2, v80
                                        ; implicit-def: $vgpr80
	s_or_b32 s15, s15, s9
	s_delay_alu instid0(SALU_CYCLE_1) | instskip(SKIP_3) | instid1(SALU_CYCLE_1)
	v_writelane_b32 v91, s15, 14
	s_or_b32 s15, s10, vcc_lo
	v_cmp_le_u32_e64 s10, v2, v81
                                        ; implicit-def: $vgpr81
	s_or_b32 s15, s15, s10
	v_writelane_b32 v91, s15, 15
	v_cmp_ne_u32_e64 s15, v2, v28
	s_delay_alu instid0(VALU_DEP_1) | instskip(SKIP_1) | instid1(SALU_CYCLE_1)
	v_writelane_b32 v91, s15, 16
	s_or_b32 s15, vcc_lo, s15
	v_writelane_b32 v91, s15, 17
	s_or_b32 s15, vcc_lo, s16
	v_writelane_b32 v91, s16, 18
	v_cmp_gt_u32_e64 s16, 2, v22
	v_writelane_b32 v91, s15, 19
	s_or_b32 s15, vcc_lo, s17
	v_writelane_b32 v91, s17, 20
	v_cmp_gt_u32_e64 s17, 12, v22
	;; [unrolled: 4-line block ×3, first 2 shown]
	v_writelane_b32 v91, s15, 23
	v_cmp_eq_u32_e64 s15, 0, v23
	v_writelane_b32 v91, s47, 24
	v_cmp_gt_u32_e64 s47, 0xe0, v22
	s_delay_alu instid0(VALU_DEP_1) | instskip(SKIP_1) | instid1(VALU_DEP_1)
	v_writelane_b32 v91, s47, 25
	v_cmp_gt_u32_e64 s47, 0xd0, v22
	v_writelane_b32 v91, s47, 26
	v_cmp_gt_u32_e64 s47, 0xc0, v22
	s_delay_alu instid0(VALU_DEP_1) | instskip(SKIP_1) | instid1(VALU_DEP_1)
	v_writelane_b32 v91, s47, 27
	v_cmp_gt_u32_e64 s47, 0xb0, v22
	;; [unrolled: 5-line block ×18, first 2 shown]
	v_writelane_b32 v90, s47, 28
	v_cmp_gt_u32_e64 s47, 64, v25
	s_delay_alu instid0(VALU_DEP_1)
	v_writelane_b32 v90, s47, 29
	s_branch .LBB108_3
.LBB108_2:                              ;   in Loop: Header=BB108_3 Depth=1
	s_wait_xcnt 0x0
	s_or_b32 exec_lo, exec_lo, s47
	v_readlane_b32 s47, v93, 0
	s_add_co_i32 s66, s66, 0x10000
	global_wb scope:SCOPE_DEV
	s_wait_storecnt 0x0
	global_inv scope:SCOPE_DEV
	s_cmp_lt_u32 s66, s47
	s_cbranch_scc0 .LBB108_1257
.LBB108_3:                              ; =>This Loop Header: Depth=1
                                        ;     Child Loop BB108_1110 Depth 2
                                        ;       Child Loop BB108_1112 Depth 3
                                        ;     Child Loop BB108_1147 Depth 2
	v_mov_b32_e32 v22, s66
	v_readlane_b32 s47, v93, 1
	s_clause 0x1
	global_load_b64 v[20:21], v22, s[76:77] scale_offset
	global_load_b64 v[22:23], v22, s[70:71] scale_offset
	global_load_b32 v84, v5, s[68:69]
	s_and_not1_b32 vcc_lo, exec_lo, s47
	s_wait_loadcnt 0x2
	v_add_nc_u64_e32 v[24:25], s[78:79], v[20:21]
	s_delay_alu instid0(VALU_DEP_1)
	v_lshl_add_u64 v[20:21], v[8:9], 2, v[24:25]
	s_cbranch_vccnz .LBB108_13
; %bb.4:                                ;   in Loop: Header=BB108_3 Depth=1
	s_delay_alu instid0(VALU_DEP_1)
	v_lshl_add_u64 v[26:27], v[6:7], 2, v[20:21]
	v_dual_mov_b32 v81, 0 :: v_dual_mov_b32 v80, 0
	s_wait_loadcnt 0x0
	s_barrier_signal -1
	s_barrier_wait -1
	s_wait_xcnt 0x0
	s_mov_b32 s47, exec_lo
	v_readlane_b32 s48, v91, 8
	s_and_b32 s48, s47, s48
	s_delay_alu instid0(SALU_CYCLE_1)
	s_mov_b32 exec_lo, s48
	s_cbranch_execz .LBB108_6
; %bb.5:                                ;   in Loop: Header=BB108_3 Depth=1
	flat_load_b32 v80, v[26:27]
.LBB108_6:                              ;   in Loop: Header=BB108_3 Depth=1
	s_wait_xcnt 0x0
	s_or_b32 exec_lo, exec_lo, s47
	s_wait_loadcnt_dscnt 0x0
	s_barrier_signal -1
	s_barrier_wait -1
	s_mov_b32 s47, exec_lo
	v_readlane_b32 s48, v91, 9
	s_and_b32 s48, s47, s48
	s_delay_alu instid0(SALU_CYCLE_1)
	s_mov_b32 exec_lo, s48
	s_cbranch_execz .LBB108_8
; %bb.7:                                ;   in Loop: Header=BB108_3 Depth=1
	flat_load_b32 v81, v[26:27] offset:64
.LBB108_8:                              ;   in Loop: Header=BB108_3 Depth=1
	s_wait_xcnt 0x0
	s_or_b32 exec_lo, exec_lo, s47
	v_dual_mov_b32 v83, 0 :: v_dual_mov_b32 v82, 0
	s_wait_loadcnt_dscnt 0x0
	s_barrier_signal -1
	s_barrier_wait -1
	s_mov_b32 s47, exec_lo
	v_readlane_b32 s48, v91, 10
	s_and_b32 s48, s47, s48
	s_delay_alu instid0(SALU_CYCLE_1)
	s_mov_b32 exec_lo, s48
	s_cbranch_execz .LBB108_10
; %bb.9:                                ;   in Loop: Header=BB108_3 Depth=1
	flat_load_b32 v82, v[26:27] offset:128
.LBB108_10:                             ;   in Loop: Header=BB108_3 Depth=1
	s_wait_xcnt 0x0
	s_or_b32 exec_lo, exec_lo, s47
	s_wait_loadcnt_dscnt 0x0
	s_barrier_signal -1
	s_barrier_wait -1
	s_mov_b32 s47, exec_lo
	v_readlane_b32 s48, v91, 11
	s_and_b32 s48, s47, s48
	s_delay_alu instid0(SALU_CYCLE_1)
	s_mov_b32 exec_lo, s48
	s_cbranch_execz .LBB108_12
; %bb.11:                               ;   in Loop: Header=BB108_3 Depth=1
	flat_load_b32 v83, v[26:27] offset:192
.LBB108_12:                             ;   in Loop: Header=BB108_3 Depth=1
	s_wait_xcnt 0x0
	s_or_b32 exec_lo, exec_lo, s47
.LBB108_13:                             ;   in Loop: Header=BB108_3 Depth=1
	s_delay_alu instid0(SALU_CYCLE_1)
	s_and_not1_b32 vcc_lo, exec_lo, s88
	s_mov_b32 s47, -1
	s_cbranch_vccnz .LBB108_24
; %bb.14:                               ;   in Loop: Header=BB108_3 Depth=1
	s_wait_xcnt 0x0
	s_and_saveexec_b32 s47, s1
	s_delay_alu instid0(SALU_CYCLE_1)
	s_xor_b32 s47, exec_lo, s47
	s_cbranch_execnz .LBB108_1169
; %bb.15:                               ;   in Loop: Header=BB108_3 Depth=1
	s_and_not1_saveexec_b32 s47, s47
	s_cbranch_execnz .LBB108_1176
.LBB108_16:                             ;   in Loop: Header=BB108_3 Depth=1
	s_or_b32 exec_lo, exec_lo, s47
	s_and_saveexec_b32 s47, s8
	s_delay_alu instid0(SALU_CYCLE_1)
	s_xor_b32 s47, exec_lo, s47
	s_cbranch_execnz .LBB108_1177
.LBB108_17:                             ;   in Loop: Header=BB108_3 Depth=1
	s_and_not1_saveexec_b32 s47, s47
	s_cbranch_execnz .LBB108_1184
.LBB108_18:                             ;   in Loop: Header=BB108_3 Depth=1
	s_or_b32 exec_lo, exec_lo, s47
	s_and_saveexec_b32 s47, s9
	s_delay_alu instid0(SALU_CYCLE_1)
	s_xor_b32 s47, exec_lo, s47
	s_cbranch_execnz .LBB108_1185
.LBB108_19:                             ;   in Loop: Header=BB108_3 Depth=1
	s_and_not1_saveexec_b32 s47, s47
	s_cbranch_execnz .LBB108_1192
.LBB108_20:                             ;   in Loop: Header=BB108_3 Depth=1
	s_or_b32 exec_lo, exec_lo, s47
	s_and_saveexec_b32 s47, s10
	s_delay_alu instid0(SALU_CYCLE_1)
	s_xor_b32 s47, exec_lo, s47
	s_cbranch_execnz .LBB108_1193
.LBB108_21:                             ;   in Loop: Header=BB108_3 Depth=1
	s_and_not1_saveexec_b32 s47, s47
	s_cbranch_execz .LBB108_23
.LBB108_22:                             ;   in Loop: Header=BB108_3 Depth=1
	v_lshl_add_u64 v[26:27], v[14:15], 2, v[24:25]
	flat_load_b32 v26, v[26:27]
	s_wait_loadcnt_dscnt 0x0
	v_xor_b32_e32 v26, 0x80000000, v26
	ds_store_b32 v76, v26
.LBB108_23:                             ;   in Loop: Header=BB108_3 Depth=1
	s_or_b32 exec_lo, exec_lo, s47
	s_mov_b32 s47, 0
.LBB108_24:                             ;   in Loop: Header=BB108_3 Depth=1
	s_delay_alu instid0(SALU_CYCLE_1)
	s_and_b32 vcc_lo, exec_lo, s47
	s_cbranch_vccz .LBB108_66
; %bb.25:                               ;   in Loop: Header=BB108_3 Depth=1
	s_wait_xcnt 0x0
	s_mov_b32 s47, exec_lo
	v_readlane_b32 s48, v91, 12
	s_and_b32 s48, s47, s48
	s_delay_alu instid0(SALU_CYCLE_1)
	s_xor_b32 s47, s48, s47
	s_mov_b32 exec_lo, s48
	s_cbranch_execz .LBB108_33
; %bb.26:                               ;   in Loop: Header=BB108_3 Depth=1
	s_mov_b32 s48, exec_lo
	v_readlane_b32 s49, v91, 17
	s_and_b32 s49, s48, s49
	s_delay_alu instid0(SALU_CYCLE_1)
	s_xor_b32 s48, s49, s48
	s_mov_b32 exec_lo, s49
	s_cbranch_execz .LBB108_30
; %bb.27:                               ;   in Loop: Header=BB108_3 Depth=1
	s_mov_b32 s49, exec_lo
	v_readlane_b32 s50, v90, 26
	s_and_b32 s50, s49, s50
	s_delay_alu instid0(SALU_CYCLE_1)
	s_mov_b32 exec_lo, s50
; %bb.28:                               ;   in Loop: Header=BB108_3 Depth=1
	ds_store_b32 v77, v5
; %bb.29:                               ;   in Loop: Header=BB108_3 Depth=1
	s_or_b32 exec_lo, exec_lo, s49
.LBB108_30:                             ;   in Loop: Header=BB108_3 Depth=1
	s_and_not1_saveexec_b32 s48, s48
	s_cbranch_execz .LBB108_32
; %bb.31:                               ;   in Loop: Header=BB108_3 Depth=1
	v_lshl_add_u64 v[26:27], v[0:1], 2, v[24:25]
	flat_load_b32 v26, v[26:27]
	s_wait_loadcnt_dscnt 0x0
	v_div_scale_f32 v27, null, v26, v26, 1.0
	s_delay_alu instid0(VALU_DEP_1) | instskip(SKIP_1) | instid1(TRANS32_DEP_1)
	v_rcp_f32_e32 v85, v27
	v_nop
	v_fma_f32 v86, -v27, v85, 1.0
	s_delay_alu instid0(VALU_DEP_1) | instskip(SKIP_1) | instid1(VALU_DEP_1)
	v_fmac_f32_e32 v85, v86, v85
	v_div_scale_f32 v86, vcc_lo, 1.0, v26, 1.0
	v_mul_f32_e32 v87, v86, v85
	s_delay_alu instid0(VALU_DEP_1) | instskip(NEXT) | instid1(VALU_DEP_1)
	v_fma_f32 v88, -v27, v87, v86
	v_fmac_f32_e32 v87, v88, v85
	s_delay_alu instid0(VALU_DEP_1) | instskip(NEXT) | instid1(VALU_DEP_1)
	v_fma_f32 v27, -v27, v87, v86
	v_div_fmas_f32 v27, v27, v85, v87
	s_delay_alu instid0(VALU_DEP_1)
	v_div_fixup_f32 v26, v27, v26, 1.0
	ds_store_b32 v77, v26
.LBB108_32:                             ;   in Loop: Header=BB108_3 Depth=1
	s_or_b32 exec_lo, exec_lo, s48
.LBB108_33:                             ;   in Loop: Header=BB108_3 Depth=1
	s_and_not1_saveexec_b32 s47, s47
	s_cbranch_execz .LBB108_35
; %bb.34:                               ;   in Loop: Header=BB108_3 Depth=1
	v_lshl_add_u64 v[26:27], v[0:1], 2, v[24:25]
	flat_load_b32 v26, v[26:27]
	s_wait_loadcnt_dscnt 0x0
	v_xor_b32_e32 v26, 0x80000000, v26
	ds_store_b32 v77, v26
.LBB108_35:                             ;   in Loop: Header=BB108_3 Depth=1
	s_or_b32 exec_lo, exec_lo, s47
	s_delay_alu instid0(SALU_CYCLE_1) | instskip(SKIP_2) | instid1(SALU_CYCLE_1)
	s_mov_b32 s47, exec_lo
	v_readlane_b32 s48, v91, 13
	s_and_b32 s48, s47, s48
	s_xor_b32 s47, s48, s47
	s_mov_b32 exec_lo, s48
	s_cbranch_execz .LBB108_43
; %bb.36:                               ;   in Loop: Header=BB108_3 Depth=1
	s_mov_b32 s48, exec_lo
	v_readlane_b32 s49, v91, 19
	s_and_b32 s49, s48, s49
	s_delay_alu instid0(SALU_CYCLE_1)
	s_xor_b32 s48, s49, s48
	s_mov_b32 exec_lo, s49
	s_cbranch_execz .LBB108_40
; %bb.37:                               ;   in Loop: Header=BB108_3 Depth=1
	s_mov_b32 s49, exec_lo
	v_readlane_b32 s50, v90, 27
	s_and_b32 s50, s49, s50
	s_delay_alu instid0(SALU_CYCLE_1)
	s_mov_b32 exec_lo, s50
; %bb.38:                               ;   in Loop: Header=BB108_3 Depth=1
	ds_store_b32 v74, v5
; %bb.39:                               ;   in Loop: Header=BB108_3 Depth=1
	s_or_b32 exec_lo, exec_lo, s49
.LBB108_40:                             ;   in Loop: Header=BB108_3 Depth=1
	s_and_not1_saveexec_b32 s48, s48
	s_cbranch_execz .LBB108_42
; %bb.41:                               ;   in Loop: Header=BB108_3 Depth=1
	v_lshl_add_u64 v[26:27], v[10:11], 2, v[24:25]
	flat_load_b32 v26, v[26:27]
	s_wait_loadcnt_dscnt 0x0
	v_div_scale_f32 v27, null, v26, v26, 1.0
	s_delay_alu instid0(VALU_DEP_1) | instskip(SKIP_1) | instid1(TRANS32_DEP_1)
	v_rcp_f32_e32 v85, v27
	v_nop
	v_fma_f32 v86, -v27, v85, 1.0
	s_delay_alu instid0(VALU_DEP_1) | instskip(SKIP_1) | instid1(VALU_DEP_1)
	v_fmac_f32_e32 v85, v86, v85
	v_div_scale_f32 v86, vcc_lo, 1.0, v26, 1.0
	v_mul_f32_e32 v87, v86, v85
	s_delay_alu instid0(VALU_DEP_1) | instskip(NEXT) | instid1(VALU_DEP_1)
	v_fma_f32 v88, -v27, v87, v86
	v_fmac_f32_e32 v87, v88, v85
	s_delay_alu instid0(VALU_DEP_1) | instskip(NEXT) | instid1(VALU_DEP_1)
	v_fma_f32 v27, -v27, v87, v86
	v_div_fmas_f32 v27, v27, v85, v87
	s_delay_alu instid0(VALU_DEP_1)
	v_div_fixup_f32 v26, v27, v26, 1.0
	ds_store_b32 v74, v26
.LBB108_42:                             ;   in Loop: Header=BB108_3 Depth=1
	s_or_b32 exec_lo, exec_lo, s48
.LBB108_43:                             ;   in Loop: Header=BB108_3 Depth=1
	s_and_not1_saveexec_b32 s47, s47
	s_cbranch_execz .LBB108_45
; %bb.44:                               ;   in Loop: Header=BB108_3 Depth=1
	v_lshl_add_u64 v[26:27], v[10:11], 2, v[24:25]
	flat_load_b32 v26, v[26:27]
	s_wait_loadcnt_dscnt 0x0
	v_xor_b32_e32 v26, 0x80000000, v26
	ds_store_b32 v74, v26
.LBB108_45:                             ;   in Loop: Header=BB108_3 Depth=1
	s_or_b32 exec_lo, exec_lo, s47
	s_delay_alu instid0(SALU_CYCLE_1) | instskip(SKIP_2) | instid1(SALU_CYCLE_1)
	s_mov_b32 s47, exec_lo
	v_readlane_b32 s48, v91, 14
	s_and_b32 s48, s47, s48
	s_xor_b32 s47, s48, s47
	s_mov_b32 exec_lo, s48
	s_cbranch_execz .LBB108_53
; %bb.46:                               ;   in Loop: Header=BB108_3 Depth=1
	s_mov_b32 s48, exec_lo
	v_readlane_b32 s49, v91, 21
	s_and_b32 s49, s48, s49
	s_delay_alu instid0(SALU_CYCLE_1)
	s_xor_b32 s48, s49, s48
	s_mov_b32 exec_lo, s49
	s_cbranch_execz .LBB108_50
; %bb.47:                               ;   in Loop: Header=BB108_3 Depth=1
	s_mov_b32 s49, exec_lo
	v_readlane_b32 s50, v90, 28
	s_and_b32 s50, s49, s50
	s_delay_alu instid0(SALU_CYCLE_1)
	s_mov_b32 exec_lo, s50
; %bb.48:                               ;   in Loop: Header=BB108_3 Depth=1
	ds_store_b32 v75, v5
; %bb.49:                               ;   in Loop: Header=BB108_3 Depth=1
	s_or_b32 exec_lo, exec_lo, s49
.LBB108_50:                             ;   in Loop: Header=BB108_3 Depth=1
	s_and_not1_saveexec_b32 s48, s48
	s_cbranch_execz .LBB108_52
; %bb.51:                               ;   in Loop: Header=BB108_3 Depth=1
	v_lshl_add_u64 v[26:27], v[12:13], 2, v[24:25]
	flat_load_b32 v26, v[26:27]
	s_wait_loadcnt_dscnt 0x0
	v_div_scale_f32 v27, null, v26, v26, 1.0
	s_delay_alu instid0(VALU_DEP_1) | instskip(SKIP_1) | instid1(TRANS32_DEP_1)
	v_rcp_f32_e32 v85, v27
	v_nop
	v_fma_f32 v86, -v27, v85, 1.0
	s_delay_alu instid0(VALU_DEP_1) | instskip(SKIP_1) | instid1(VALU_DEP_1)
	v_fmac_f32_e32 v85, v86, v85
	v_div_scale_f32 v86, vcc_lo, 1.0, v26, 1.0
	v_mul_f32_e32 v87, v86, v85
	s_delay_alu instid0(VALU_DEP_1) | instskip(NEXT) | instid1(VALU_DEP_1)
	v_fma_f32 v88, -v27, v87, v86
	v_fmac_f32_e32 v87, v88, v85
	s_delay_alu instid0(VALU_DEP_1) | instskip(NEXT) | instid1(VALU_DEP_1)
	v_fma_f32 v27, -v27, v87, v86
	v_div_fmas_f32 v27, v27, v85, v87
	s_delay_alu instid0(VALU_DEP_1)
	v_div_fixup_f32 v26, v27, v26, 1.0
	ds_store_b32 v75, v26
.LBB108_52:                             ;   in Loop: Header=BB108_3 Depth=1
	s_or_b32 exec_lo, exec_lo, s48
.LBB108_53:                             ;   in Loop: Header=BB108_3 Depth=1
	s_and_not1_saveexec_b32 s47, s47
	s_cbranch_execz .LBB108_55
; %bb.54:                               ;   in Loop: Header=BB108_3 Depth=1
	v_lshl_add_u64 v[26:27], v[12:13], 2, v[24:25]
	flat_load_b32 v26, v[26:27]
	s_wait_loadcnt_dscnt 0x0
	v_xor_b32_e32 v26, 0x80000000, v26
	ds_store_b32 v75, v26
.LBB108_55:                             ;   in Loop: Header=BB108_3 Depth=1
	s_or_b32 exec_lo, exec_lo, s47
	s_delay_alu instid0(SALU_CYCLE_1) | instskip(SKIP_2) | instid1(SALU_CYCLE_1)
	s_mov_b32 s47, exec_lo
	v_readlane_b32 s48, v91, 15
	s_and_b32 s48, s47, s48
	s_xor_b32 s47, s48, s47
	s_mov_b32 exec_lo, s48
	s_cbranch_execz .LBB108_63
; %bb.56:                               ;   in Loop: Header=BB108_3 Depth=1
	s_mov_b32 s48, exec_lo
	v_readlane_b32 s49, v91, 23
	s_and_b32 s49, s48, s49
	s_delay_alu instid0(SALU_CYCLE_1)
	s_xor_b32 s48, s49, s48
	s_mov_b32 exec_lo, s49
	s_cbranch_execz .LBB108_60
; %bb.57:                               ;   in Loop: Header=BB108_3 Depth=1
	s_mov_b32 s49, exec_lo
	v_readlane_b32 s50, v90, 29
	s_and_b32 s50, s49, s50
	s_delay_alu instid0(SALU_CYCLE_1)
	s_mov_b32 exec_lo, s50
; %bb.58:                               ;   in Loop: Header=BB108_3 Depth=1
	ds_store_b32 v76, v5
; %bb.59:                               ;   in Loop: Header=BB108_3 Depth=1
	s_or_b32 exec_lo, exec_lo, s49
                                        ; implicit-def: $vgpr24_vgpr25
.LBB108_60:                             ;   in Loop: Header=BB108_3 Depth=1
	s_and_not1_saveexec_b32 s48, s48
	s_cbranch_execz .LBB108_62
; %bb.61:                               ;   in Loop: Header=BB108_3 Depth=1
	v_lshl_add_u64 v[24:25], v[14:15], 2, v[24:25]
	flat_load_b32 v24, v[24:25]
	s_wait_loadcnt_dscnt 0x0
	v_div_scale_f32 v25, null, v24, v24, 1.0
	s_delay_alu instid0(VALU_DEP_1) | instskip(SKIP_1) | instid1(TRANS32_DEP_1)
	v_rcp_f32_e32 v26, v25
	v_nop
	v_fma_f32 v27, -v25, v26, 1.0
	s_delay_alu instid0(VALU_DEP_1) | instskip(SKIP_1) | instid1(VALU_DEP_1)
	v_fmac_f32_e32 v26, v27, v26
	v_div_scale_f32 v27, vcc_lo, 1.0, v24, 1.0
	v_mul_f32_e32 v85, v27, v26
	s_delay_alu instid0(VALU_DEP_1) | instskip(NEXT) | instid1(VALU_DEP_1)
	v_fma_f32 v86, -v25, v85, v27
	v_fmac_f32_e32 v85, v86, v26
	s_delay_alu instid0(VALU_DEP_1) | instskip(NEXT) | instid1(VALU_DEP_1)
	v_fma_f32 v25, -v25, v85, v27
	v_div_fmas_f32 v25, v25, v26, v85
	s_delay_alu instid0(VALU_DEP_1)
	v_div_fixup_f32 v24, v25, v24, 1.0
	ds_store_b32 v76, v24
.LBB108_62:                             ;   in Loop: Header=BB108_3 Depth=1
	s_or_b32 exec_lo, exec_lo, s48
                                        ; implicit-def: $vgpr24_vgpr25
.LBB108_63:                             ;   in Loop: Header=BB108_3 Depth=1
	s_and_not1_saveexec_b32 s47, s47
	s_cbranch_execz .LBB108_65
; %bb.64:                               ;   in Loop: Header=BB108_3 Depth=1
	v_lshl_add_u64 v[24:25], v[14:15], 2, v[24:25]
	flat_load_b32 v24, v[24:25]
	s_wait_loadcnt_dscnt 0x0
	v_xor_b32_e32 v24, 0x80000000, v24
	ds_store_b32 v76, v24
.LBB108_65:                             ;   in Loop: Header=BB108_3 Depth=1
	s_or_b32 exec_lo, exec_lo, s47
.LBB108_66:                             ;   in Loop: Header=BB108_3 Depth=1
	s_delay_alu instid0(SALU_CYCLE_1)
	s_and_not1_b32 vcc_lo, exec_lo, s90
	s_wait_loadcnt_dscnt 0x0
	s_barrier_signal -1
	s_barrier_wait -1
	s_cbranch_vccnz .LBB108_1104
; %bb.67:                               ;   in Loop: Header=BB108_3 Depth=1
	s_and_saveexec_b32 s47, s15
	s_cbranch_execz .LBB108_69
; %bb.68:                               ;   in Loop: Header=BB108_3 Depth=1
	ds_load_b64 v[24:25], v5
	ds_load_b32 v26, v5 offset:260
	s_wait_dscnt 0x0
	v_mul_f32_e32 v24, v24, v26
	s_delay_alu instid0(VALU_DEP_1)
	v_mul_f32_e32 v24, v25, v24
	ds_store_2addr_b32 v5, v24, v24 offset0:1 offset1:64
.LBB108_69:                             ;   in Loop: Header=BB108_3 Depth=1
	s_or_b32 exec_lo, exec_lo, s47
	v_mov_b32_e32 v24, 0
	s_wait_dscnt 0x0
	s_barrier_signal -1
	s_barrier_wait -1
	s_and_saveexec_b32 s47, s2
	s_cbranch_execz .LBB108_73
; %bb.70:                               ;   in Loop: Header=BB108_3 Depth=1
	ds_load_b32 v24, v65 offset:8
	ds_load_b32 v25, v29
	s_wait_dscnt 0x0
	v_fma_f32 v24, v24, v25, 0
	s_and_saveexec_b32 s48, s16
	s_cbranch_execz .LBB108_72
; %bb.71:                               ;   in Loop: Header=BB108_3 Depth=1
	ds_load_b32 v25, v30 offset:264
	ds_load_b32 v26, v5 offset:4
	s_wait_dscnt 0x0
	v_fmac_f32_e32 v24, v25, v26
.LBB108_72:                             ;   in Loop: Header=BB108_3 Depth=1
	s_or_b32 exec_lo, exec_lo, s48
	s_delay_alu instid0(VALU_DEP_1)
	v_xor_b32_e32 v24, 0x80000000, v24
.LBB108_73:                             ;   in Loop: Header=BB108_3 Depth=1
	s_or_b32 exec_lo, exec_lo, s47
	s_and_saveexec_b32 s47, s91
	s_cbranch_execz .LBB108_75
; %bb.74:                               ;   in Loop: Header=BB108_3 Depth=1
	ds_load_b32 v25, v5 offset:520
	s_wait_dscnt 0x0
	v_mul_f32_e32 v24, v24, v25
	ds_store_b32 v3, v24
.LBB108_75:                             ;   in Loop: Header=BB108_3 Depth=1
	s_or_b32 exec_lo, exec_lo, s47
	s_wait_dscnt 0x0
	s_barrier_signal -1
	s_barrier_wait -1
	s_and_saveexec_b32 s47, s92
	s_cbranch_execz .LBB108_77
; %bb.76:                               ;   in Loop: Header=BB108_3 Depth=1
	ds_load_b32 v25, v5 offset:524
	ds_load_b32 v26, v3
	s_wait_dscnt 0x0
	v_fmac_f32_e32 v24, v25, v26
.LBB108_77:                             ;   in Loop: Header=BB108_3 Depth=1
	s_or_b32 exec_lo, exec_lo, s47
	s_barrier_signal -1
	s_barrier_wait -1
	s_and_saveexec_b32 s47, s92
	s_cbranch_execz .LBB108_79
; %bb.78:                               ;   in Loop: Header=BB108_3 Depth=1
	ds_load_b32 v25, v5 offset:780
	s_wait_dscnt 0x0
	v_mul_f32_e32 v24, v24, v25
	ds_store_b32 v3, v24
.LBB108_79:                             ;   in Loop: Header=BB108_3 Depth=1
	s_or_b32 exec_lo, exec_lo, s47
	s_wait_dscnt 0x0
	s_barrier_signal -1
	s_barrier_wait -1
	s_barrier_signal -1
	s_barrier_wait -1
	s_and_saveexec_b32 s47, s2
; %bb.80:                               ;   in Loop: Header=BB108_3 Depth=1
	v_xor_b32_e32 v24, 0x80000000, v24
	ds_store_b32 v65, v24 offset:8
; %bb.81:                               ;   in Loop: Header=BB108_3 Depth=1
	s_or_b32 exec_lo, exec_lo, s47
	s_wait_dscnt 0x0
	s_barrier_signal -1
	s_barrier_wait -1
	s_barrier_signal -1
	s_barrier_wait -1
	s_and_saveexec_b32 s47, s93
	s_cbranch_execz .LBB108_83
; %bb.82:                               ;   in Loop: Header=BB108_3 Depth=1
	ds_load_b32 v24, v34 offset:8
	s_wait_dscnt 0x0
	ds_store_b32 v30, v24 offset:512
	ds_load_b32 v24, v34 offset:12
	s_wait_dscnt 0x0
	ds_store_b32 v30, v24 offset:768
.LBB108_83:                             ;   in Loop: Header=BB108_3 Depth=1
	s_or_b32 exec_lo, exec_lo, s47
	s_wait_dscnt 0x0
	s_barrier_signal -1
	s_barrier_wait -1
	s_and_saveexec_b32 s47, s15
	s_cbranch_execz .LBB108_85
; %bb.84:                               ;   in Loop: Header=BB108_3 Depth=1
	ds_load_b64 v[24:25], v5 offset:520
	ds_load_b32 v26, v5 offset:780
	s_wait_dscnt 0x0
	v_mul_f32_e32 v24, v24, v26
	s_delay_alu instid0(VALU_DEP_1)
	v_mul_f32_e32 v24, v25, v24
	ds_store_2addr_b32 v5, v24, v24 offset0:131 offset1:194
.LBB108_85:                             ;   in Loop: Header=BB108_3 Depth=1
	s_or_b32 exec_lo, exec_lo, s47
	v_mov_b32_e32 v24, 0
	s_wait_dscnt 0x0
	s_barrier_signal -1
	s_barrier_wait -1
	s_and_saveexec_b32 s47, s4
	s_cbranch_execz .LBB108_91
; %bb.86:                               ;   in Loop: Header=BB108_3 Depth=1
	ds_load_b32 v24, v36 offset:16
	ds_load_b32 v25, v31
	s_wait_dscnt 0x0
	v_fma_f32 v24, v24, v25, 0
	s_and_saveexec_b32 s48, s17
	s_cbranch_execnz .LBB108_1207
; %bb.87:                               ;   in Loop: Header=BB108_3 Depth=1
	s_or_b32 exec_lo, exec_lo, s48
	s_and_saveexec_b32 s48, s18
	s_cbranch_execnz .LBB108_1208
.LBB108_88:                             ;   in Loop: Header=BB108_3 Depth=1
	s_or_b32 exec_lo, exec_lo, s48
	s_and_saveexec_b32 s48, s2
	s_cbranch_execz .LBB108_90
.LBB108_89:                             ;   in Loop: Header=BB108_3 Depth=1
	ds_load_b32 v25, v38 offset:784
	ds_load_b32 v26, v5 offset:12
	s_wait_dscnt 0x0
	v_fmac_f32_e32 v24, v25, v26
.LBB108_90:                             ;   in Loop: Header=BB108_3 Depth=1
	s_or_b32 exec_lo, exec_lo, s48
	s_delay_alu instid0(VALU_DEP_1)
	v_xor_b32_e32 v24, 0x80000000, v24
.LBB108_91:                             ;   in Loop: Header=BB108_3 Depth=1
	s_or_b32 exec_lo, exec_lo, s47
	s_and_saveexec_b32 s47, s94
	s_cbranch_execz .LBB108_93
; %bb.92:                               ;   in Loop: Header=BB108_3 Depth=1
	ds_load_b32 v25, v5 offset:1040
	s_wait_dscnt 0x0
	v_mul_f32_e32 v24, v24, v25
	ds_store_b32 v35, v24
.LBB108_93:                             ;   in Loop: Header=BB108_3 Depth=1
	s_or_b32 exec_lo, exec_lo, s47
	s_wait_dscnt 0x0
	s_barrier_signal -1
	s_barrier_wait -1
	s_and_saveexec_b32 s47, s95
	s_cbranch_execz .LBB108_95
; %bb.94:                               ;   in Loop: Header=BB108_3 Depth=1
	ds_load_b32 v25, v33 offset:1040
	ds_load_b32 v26, v35
	s_wait_dscnt 0x0
	v_fmac_f32_e32 v24, v25, v26
.LBB108_95:                             ;   in Loop: Header=BB108_3 Depth=1
	s_or_b32 exec_lo, exec_lo, s47
	s_barrier_signal -1
	s_barrier_wait -1
	s_and_saveexec_b32 s47, s96
	s_cbranch_execz .LBB108_97
; %bb.96:                               ;   in Loop: Header=BB108_3 Depth=1
	ds_load_b32 v25, v5 offset:1300
	s_wait_dscnt 0x0
	v_mul_f32_e32 v24, v24, v25
	ds_store_b32 v35, v24
.LBB108_97:                             ;   in Loop: Header=BB108_3 Depth=1
	s_or_b32 exec_lo, exec_lo, s47
	s_wait_dscnt 0x0
	s_barrier_signal -1
	s_barrier_wait -1
	s_and_saveexec_b32 s47, s97
	s_cbranch_execz .LBB108_99
; %bb.98:                               ;   in Loop: Header=BB108_3 Depth=1
	ds_load_b32 v25, v33 offset:1296
	ds_load_b32 v26, v35
	s_wait_dscnt 0x0
	v_fmac_f32_e32 v24, v25, v26
.LBB108_99:                             ;   in Loop: Header=BB108_3 Depth=1
	s_or_b32 exec_lo, exec_lo, s47
	s_barrier_signal -1
	s_barrier_wait -1
	s_and_saveexec_b32 s47, s98
	s_cbranch_execz .LBB108_101
; %bb.100:                              ;   in Loop: Header=BB108_3 Depth=1
	ds_load_b32 v25, v5 offset:1560
	s_wait_dscnt 0x0
	v_mul_f32_e32 v24, v24, v25
	ds_store_b32 v35, v24
.LBB108_101:                            ;   in Loop: Header=BB108_3 Depth=1
	s_or_b32 exec_lo, exec_lo, s47
	s_wait_dscnt 0x0
	s_barrier_signal -1
	s_barrier_wait -1
	s_and_saveexec_b32 s47, s99
	s_cbranch_execz .LBB108_103
; %bb.102:                              ;   in Loop: Header=BB108_3 Depth=1
	ds_load_b32 v25, v5 offset:1564
	ds_load_b32 v26, v35
	s_wait_dscnt 0x0
	v_fmac_f32_e32 v24, v25, v26
.LBB108_103:                            ;   in Loop: Header=BB108_3 Depth=1
	s_or_b32 exec_lo, exec_lo, s47
	s_barrier_signal -1
	s_barrier_wait -1
	s_and_saveexec_b32 s47, s99
	s_cbranch_execz .LBB108_105
; %bb.104:                              ;   in Loop: Header=BB108_3 Depth=1
	ds_load_b32 v25, v5 offset:1820
	s_wait_dscnt 0x0
	v_mul_f32_e32 v24, v24, v25
	ds_store_b32 v35, v24
.LBB108_105:                            ;   in Loop: Header=BB108_3 Depth=1
	s_or_b32 exec_lo, exec_lo, s47
	s_wait_dscnt 0x0
	s_barrier_signal -1
	s_barrier_wait -1
	s_barrier_signal -1
	s_barrier_wait -1
	s_and_saveexec_b32 s47, s4
; %bb.106:                              ;   in Loop: Header=BB108_3 Depth=1
	v_xor_b32_e32 v24, 0x80000000, v24
	ds_store_b32 v36, v24 offset:16
; %bb.107:                              ;   in Loop: Header=BB108_3 Depth=1
	s_or_b32 exec_lo, exec_lo, s47
	s_wait_dscnt 0x0
	s_barrier_signal -1
	s_barrier_wait -1
	s_barrier_signal -1
	s_barrier_wait -1
	s_and_saveexec_b32 s47, s100
	s_cbranch_execz .LBB108_109
; %bb.108:                              ;   in Loop: Header=BB108_3 Depth=1
	ds_load_b32 v24, v51 offset:16
	s_wait_dscnt 0x0
	ds_store_b32 v52, v24 offset:1024
	ds_load_b32 v24, v51 offset:20
	s_wait_dscnt 0x0
	ds_store_b32 v52, v24 offset:1280
	;; [unrolled: 3-line block ×4, first 2 shown]
.LBB108_109:                            ;   in Loop: Header=BB108_3 Depth=1
	s_or_b32 exec_lo, exec_lo, s47
	s_wait_dscnt 0x0
	s_barrier_signal -1
	s_barrier_wait -1
	s_and_saveexec_b32 s47, s15
	s_cbranch_execz .LBB108_111
; %bb.110:                              ;   in Loop: Header=BB108_3 Depth=1
	ds_load_b64 v[24:25], v5 offset:1040
	ds_load_b32 v26, v5 offset:1300
	s_wait_dscnt 0x0
	v_mul_f32_e32 v24, v24, v26
	s_delay_alu instid0(VALU_DEP_1)
	v_mul_f32_e32 v24, v25, v24
	v_add_nc_u32_e64 v25, 0x400, 0
	ds_store_2addr_b32 v25, v24, v24 offset0:5 offset1:68
.LBB108_111:                            ;   in Loop: Header=BB108_3 Depth=1
	s_or_b32 exec_lo, exec_lo, s47
	v_mov_b32_e32 v24, 0
	s_wait_dscnt 0x0
	s_barrier_signal -1
	s_barrier_wait -1
	s_and_saveexec_b32 s47, s2
	s_cbranch_execz .LBB108_115
; %bb.112:                              ;   in Loop: Header=BB108_3 Depth=1
	ds_load_b32 v24, v65 offset:1048
	ds_load_b32 v25, v29 offset:1040
	s_wait_dscnt 0x0
	v_fma_f32 v24, v24, v25, 0
	s_and_saveexec_b32 s48, s16
	s_cbranch_execz .LBB108_114
; %bb.113:                              ;   in Loop: Header=BB108_3 Depth=1
	ds_load_b32 v25, v52 offset:1304
	ds_load_b32 v26, v5 offset:1044
	s_wait_dscnt 0x0
	v_fmac_f32_e32 v24, v25, v26
.LBB108_114:                            ;   in Loop: Header=BB108_3 Depth=1
	s_or_b32 exec_lo, exec_lo, s48
	s_delay_alu instid0(VALU_DEP_1)
	v_xor_b32_e32 v24, 0x80000000, v24
.LBB108_115:                            ;   in Loop: Header=BB108_3 Depth=1
	s_or_b32 exec_lo, exec_lo, s47
	s_and_saveexec_b32 s47, s91
	s_cbranch_execz .LBB108_117
; %bb.116:                              ;   in Loop: Header=BB108_3 Depth=1
	ds_load_b32 v25, v5 offset:1560
	s_wait_dscnt 0x0
	v_mul_f32_e32 v24, v24, v25
	ds_store_b32 v3, v24
.LBB108_117:                            ;   in Loop: Header=BB108_3 Depth=1
	s_or_b32 exec_lo, exec_lo, s47
	s_wait_dscnt 0x0
	s_barrier_signal -1
	s_barrier_wait -1
	s_and_saveexec_b32 s47, s92
	s_cbranch_execz .LBB108_119
; %bb.118:                              ;   in Loop: Header=BB108_3 Depth=1
	ds_load_b32 v25, v5 offset:1564
	ds_load_b32 v26, v3
	s_wait_dscnt 0x0
	v_fmac_f32_e32 v24, v25, v26
.LBB108_119:                            ;   in Loop: Header=BB108_3 Depth=1
	s_or_b32 exec_lo, exec_lo, s47
	s_barrier_signal -1
	s_barrier_wait -1
	s_and_saveexec_b32 s47, s92
	s_cbranch_execz .LBB108_121
; %bb.120:                              ;   in Loop: Header=BB108_3 Depth=1
	ds_load_b32 v25, v5 offset:1820
	s_wait_dscnt 0x0
	v_mul_f32_e32 v24, v24, v25
	ds_store_b32 v3, v24
.LBB108_121:                            ;   in Loop: Header=BB108_3 Depth=1
	s_or_b32 exec_lo, exec_lo, s47
	s_wait_dscnt 0x0
	s_barrier_signal -1
	s_barrier_wait -1
	s_barrier_signal -1
	s_barrier_wait -1
	s_and_saveexec_b32 s47, s2
; %bb.122:                              ;   in Loop: Header=BB108_3 Depth=1
	v_xor_b32_e32 v24, 0x80000000, v24
	ds_store_b32 v65, v24 offset:1048
; %bb.123:                              ;   in Loop: Header=BB108_3 Depth=1
	s_or_b32 exec_lo, exec_lo, s47
	s_wait_dscnt 0x0
	s_barrier_signal -1
	s_barrier_wait -1
	s_barrier_signal -1
	s_barrier_wait -1
	s_and_saveexec_b32 s47, s93
	s_cbranch_execz .LBB108_125
; %bb.124:                              ;   in Loop: Header=BB108_3 Depth=1
	ds_load_b32 v24, v53 offset:1048
	s_wait_dscnt 0x0
	ds_store_b32 v52, v24 offset:1552
	ds_load_b32 v24, v53 offset:1052
	s_wait_dscnt 0x0
	ds_store_b32 v52, v24 offset:1808
.LBB108_125:                            ;   in Loop: Header=BB108_3 Depth=1
	s_or_b32 exec_lo, exec_lo, s47
	s_wait_dscnt 0x0
	s_barrier_signal -1
	s_barrier_wait -1
	s_and_saveexec_b32 s47, s15
	s_cbranch_execz .LBB108_127
; %bb.126:                              ;   in Loop: Header=BB108_3 Depth=1
	ds_load_b64 v[24:25], v5 offset:1560
	ds_load_b32 v26, v5 offset:1820
	s_wait_dscnt 0x0
	v_mul_f32_e32 v24, v24, v26
	s_delay_alu instid0(VALU_DEP_1)
	v_mul_f32_e32 v24, v25, v24
	v_add_nc_u32_e64 v25, 0x400, 0
	ds_store_2addr_b32 v25, v24, v24 offset0:135 offset1:198
.LBB108_127:                            ;   in Loop: Header=BB108_3 Depth=1
	s_or_b32 exec_lo, exec_lo, s47
	v_mov_b32_e32 v24, 0
	s_wait_dscnt 0x0
	s_barrier_signal -1
	s_barrier_wait -1
	s_and_saveexec_b32 s47, s5
	s_cbranch_execz .LBB108_137
; %bb.128:                              ;   in Loop: Header=BB108_3 Depth=1
	ds_load_b32 v24, v42 offset:32
	ds_load_b32 v25, v39
	s_wait_dscnt 0x0
	v_fma_f32 v24, v24, v25, 0
	s_and_saveexec_b32 s48, s19
	s_cbranch_execnz .LBB108_1209
; %bb.129:                              ;   in Loop: Header=BB108_3 Depth=1
	s_or_b32 exec_lo, exec_lo, s48
	s_and_saveexec_b32 s48, s20
	s_cbranch_execnz .LBB108_1210
.LBB108_130:                            ;   in Loop: Header=BB108_3 Depth=1
	s_or_b32 exec_lo, exec_lo, s48
	s_and_saveexec_b32 s48, s21
	s_cbranch_execnz .LBB108_1211
.LBB108_131:                            ;   in Loop: Header=BB108_3 Depth=1
	s_or_b32 exec_lo, exec_lo, s48
	s_and_saveexec_b32 s48, s22
	s_cbranch_execnz .LBB108_1212
.LBB108_132:                            ;   in Loop: Header=BB108_3 Depth=1
	s_or_b32 exec_lo, exec_lo, s48
	s_and_saveexec_b32 s48, s23
	s_cbranch_execnz .LBB108_1213
.LBB108_133:                            ;   in Loop: Header=BB108_3 Depth=1
	s_or_b32 exec_lo, exec_lo, s48
	s_and_saveexec_b32 s48, s4
	s_cbranch_execnz .LBB108_1214
.LBB108_134:                            ;   in Loop: Header=BB108_3 Depth=1
	s_or_b32 exec_lo, exec_lo, s48
	s_and_saveexec_b32 s48, s18
	s_cbranch_execz .LBB108_136
.LBB108_135:                            ;   in Loop: Header=BB108_3 Depth=1
	ds_load_b32 v25, v54 offset:1824
	ds_load_b32 v26, v5 offset:28
	s_wait_dscnt 0x0
	v_fmac_f32_e32 v24, v25, v26
.LBB108_136:                            ;   in Loop: Header=BB108_3 Depth=1
	s_or_b32 exec_lo, exec_lo, s48
	s_delay_alu instid0(VALU_DEP_1)
	v_xor_b32_e32 v24, 0x80000000, v24
.LBB108_137:                            ;   in Loop: Header=BB108_3 Depth=1
	s_or_b32 exec_lo, exec_lo, s47
	s_and_saveexec_b32 s47, s101
	s_cbranch_execz .LBB108_139
; %bb.138:                              ;   in Loop: Header=BB108_3 Depth=1
	ds_load_b32 v25, v5 offset:2080
	s_wait_dscnt 0x0
	v_mul_f32_e32 v24, v24, v25
	ds_store_b32 v41, v24
.LBB108_139:                            ;   in Loop: Header=BB108_3 Depth=1
	s_or_b32 exec_lo, exec_lo, s47
	s_wait_dscnt 0x0
	s_barrier_signal -1
	s_barrier_wait -1
	s_and_saveexec_b32 s47, s102
	s_cbranch_execz .LBB108_141
; %bb.140:                              ;   in Loop: Header=BB108_3 Depth=1
	ds_load_b32 v25, v40 offset:2080
	ds_load_b32 v26, v41
	s_wait_dscnt 0x0
	v_fmac_f32_e32 v24, v25, v26
.LBB108_141:                            ;   in Loop: Header=BB108_3 Depth=1
	s_or_b32 exec_lo, exec_lo, s47
	s_barrier_signal -1
	s_barrier_wait -1
	s_and_saveexec_b32 s47, s103
	s_cbranch_execz .LBB108_143
; %bb.142:                              ;   in Loop: Header=BB108_3 Depth=1
	ds_load_b32 v25, v5 offset:2340
	s_wait_dscnt 0x0
	v_mul_f32_e32 v24, v24, v25
	ds_store_b32 v41, v24
.LBB108_143:                            ;   in Loop: Header=BB108_3 Depth=1
	s_or_b32 exec_lo, exec_lo, s47
	s_wait_dscnt 0x0
	s_barrier_signal -1
	s_barrier_wait -1
	s_and_saveexec_b32 s47, s104
	s_cbranch_execz .LBB108_145
; %bb.144:                              ;   in Loop: Header=BB108_3 Depth=1
	ds_load_b32 v25, v40 offset:2336
	ds_load_b32 v26, v41
	s_wait_dscnt 0x0
	v_fmac_f32_e32 v24, v25, v26
.LBB108_145:                            ;   in Loop: Header=BB108_3 Depth=1
	s_or_b32 exec_lo, exec_lo, s47
	s_barrier_signal -1
	s_barrier_wait -1
	s_and_saveexec_b32 s47, vcc_hi
	s_cbranch_execz .LBB108_147
; %bb.146:                              ;   in Loop: Header=BB108_3 Depth=1
	ds_load_b32 v25, v5 offset:2600
	s_wait_dscnt 0x0
	v_mul_f32_e32 v24, v24, v25
	ds_store_b32 v41, v24
.LBB108_147:                            ;   in Loop: Header=BB108_3 Depth=1
	s_or_b32 exec_lo, exec_lo, s47
	s_wait_dscnt 0x0
	s_barrier_signal -1
	s_barrier_wait -1
	s_and_saveexec_b32 s47, s36
	s_cbranch_execz .LBB108_149
; %bb.148:                              ;   in Loop: Header=BB108_3 Depth=1
	ds_load_b32 v25, v40 offset:2592
	ds_load_b32 v26, v41
	s_wait_dscnt 0x0
	v_fmac_f32_e32 v24, v25, v26
.LBB108_149:                            ;   in Loop: Header=BB108_3 Depth=1
	s_or_b32 exec_lo, exec_lo, s47
	s_barrier_signal -1
	s_barrier_wait -1
	s_and_saveexec_b32 s47, s37
	s_cbranch_execz .LBB108_151
; %bb.150:                              ;   in Loop: Header=BB108_3 Depth=1
	ds_load_b32 v25, v5 offset:2860
	s_wait_dscnt 0x0
	v_mul_f32_e32 v24, v24, v25
	ds_store_b32 v41, v24
.LBB108_151:                            ;   in Loop: Header=BB108_3 Depth=1
	s_or_b32 exec_lo, exec_lo, s47
	s_wait_dscnt 0x0
	s_barrier_signal -1
	s_barrier_wait -1
	s_and_saveexec_b32 s47, s38
	s_cbranch_execz .LBB108_153
; %bb.152:                              ;   in Loop: Header=BB108_3 Depth=1
	ds_load_b32 v25, v40 offset:2848
	ds_load_b32 v26, v41
	s_wait_dscnt 0x0
	v_fmac_f32_e32 v24, v25, v26
.LBB108_153:                            ;   in Loop: Header=BB108_3 Depth=1
	s_or_b32 exec_lo, exec_lo, s47
	s_barrier_signal -1
	s_barrier_wait -1
	s_and_saveexec_b32 s47, s39
	;; [unrolled: 23-line block ×5, first 2 shown]
	s_cbranch_execz .LBB108_167
; %bb.166:                              ;   in Loop: Header=BB108_3 Depth=1
	ds_load_b32 v25, v5 offset:3900
	s_wait_dscnt 0x0
	v_mul_f32_e32 v24, v24, v25
	ds_store_b32 v41, v24
.LBB108_167:                            ;   in Loop: Header=BB108_3 Depth=1
	s_or_b32 exec_lo, exec_lo, s47
	s_wait_dscnt 0x0
	s_barrier_signal -1
	s_barrier_wait -1
	s_barrier_signal -1
	s_barrier_wait -1
	s_and_saveexec_b32 s47, s5
; %bb.168:                              ;   in Loop: Header=BB108_3 Depth=1
	v_xor_b32_e32 v24, 0x80000000, v24
	ds_store_b32 v42, v24 offset:32
; %bb.169:                              ;   in Loop: Header=BB108_3 Depth=1
	s_or_b32 exec_lo, exec_lo, s47
	s_wait_dscnt 0x0
	s_barrier_signal -1
	s_barrier_wait -1
	s_barrier_signal -1
	s_barrier_wait -1
	s_and_saveexec_b32 s47, s45
	s_cbranch_execz .LBB108_171
; %bb.170:                              ;   in Loop: Header=BB108_3 Depth=1
	ds_load_b32 v24, v55 offset:32
	s_wait_dscnt 0x0
	ds_store_b32 v56, v24 offset:2048
	ds_load_b32 v24, v55 offset:36
	s_wait_dscnt 0x0
	ds_store_b32 v56, v24 offset:2304
	;; [unrolled: 3-line block ×8, first 2 shown]
.LBB108_171:                            ;   in Loop: Header=BB108_3 Depth=1
	s_or_b32 exec_lo, exec_lo, s47
	s_wait_dscnt 0x0
	s_barrier_signal -1
	s_barrier_wait -1
	s_and_saveexec_b32 s47, s15
	s_cbranch_execz .LBB108_173
; %bb.172:                              ;   in Loop: Header=BB108_3 Depth=1
	ds_load_b64 v[24:25], v5 offset:2080
	ds_load_b32 v26, v5 offset:2340
	s_wait_dscnt 0x0
	v_mul_f32_e32 v24, v24, v26
	s_delay_alu instid0(VALU_DEP_1)
	v_mul_f32_e32 v24, v25, v24
	v_add_nc_u32_e64 v25, 0x800, 0
	ds_store_2addr_b32 v25, v24, v24 offset0:9 offset1:72
.LBB108_173:                            ;   in Loop: Header=BB108_3 Depth=1
	s_or_b32 exec_lo, exec_lo, s47
	v_mov_b32_e32 v24, 0
	s_wait_dscnt 0x0
	s_barrier_signal -1
	s_barrier_wait -1
	s_and_saveexec_b32 s47, s2
	s_cbranch_execz .LBB108_177
; %bb.174:                              ;   in Loop: Header=BB108_3 Depth=1
	ds_load_b32 v24, v65 offset:2088
	ds_load_b32 v25, v29 offset:2080
	s_wait_dscnt 0x0
	v_fma_f32 v24, v24, v25, 0
	s_and_saveexec_b32 s48, s16
	s_cbranch_execz .LBB108_176
; %bb.175:                              ;   in Loop: Header=BB108_3 Depth=1
	ds_load_b32 v25, v56 offset:2344
	ds_load_b32 v26, v5 offset:2084
	s_wait_dscnt 0x0
	v_fmac_f32_e32 v24, v25, v26
.LBB108_176:                            ;   in Loop: Header=BB108_3 Depth=1
	s_or_b32 exec_lo, exec_lo, s48
	s_delay_alu instid0(VALU_DEP_1)
	v_xor_b32_e32 v24, 0x80000000, v24
.LBB108_177:                            ;   in Loop: Header=BB108_3 Depth=1
	s_or_b32 exec_lo, exec_lo, s47
	s_and_saveexec_b32 s47, s91
	s_cbranch_execz .LBB108_179
; %bb.178:                              ;   in Loop: Header=BB108_3 Depth=1
	ds_load_b32 v25, v5 offset:2600
	s_wait_dscnt 0x0
	v_mul_f32_e32 v24, v24, v25
	ds_store_b32 v3, v24
.LBB108_179:                            ;   in Loop: Header=BB108_3 Depth=1
	s_or_b32 exec_lo, exec_lo, s47
	s_wait_dscnt 0x0
	s_barrier_signal -1
	s_barrier_wait -1
	s_and_saveexec_b32 s47, s92
	s_cbranch_execz .LBB108_181
; %bb.180:                              ;   in Loop: Header=BB108_3 Depth=1
	ds_load_b32 v25, v5 offset:2604
	ds_load_b32 v26, v3
	s_wait_dscnt 0x0
	v_fmac_f32_e32 v24, v25, v26
.LBB108_181:                            ;   in Loop: Header=BB108_3 Depth=1
	s_or_b32 exec_lo, exec_lo, s47
	s_barrier_signal -1
	s_barrier_wait -1
	s_and_saveexec_b32 s47, s92
	s_cbranch_execz .LBB108_183
; %bb.182:                              ;   in Loop: Header=BB108_3 Depth=1
	ds_load_b32 v25, v5 offset:2860
	s_wait_dscnt 0x0
	v_mul_f32_e32 v24, v24, v25
	ds_store_b32 v3, v24
.LBB108_183:                            ;   in Loop: Header=BB108_3 Depth=1
	s_or_b32 exec_lo, exec_lo, s47
	s_wait_dscnt 0x0
	s_barrier_signal -1
	s_barrier_wait -1
	s_barrier_signal -1
	s_barrier_wait -1
	s_and_saveexec_b32 s47, s2
; %bb.184:                              ;   in Loop: Header=BB108_3 Depth=1
	v_xor_b32_e32 v24, 0x80000000, v24
	ds_store_b32 v65, v24 offset:2088
; %bb.185:                              ;   in Loop: Header=BB108_3 Depth=1
	s_or_b32 exec_lo, exec_lo, s47
	s_wait_dscnt 0x0
	s_barrier_signal -1
	s_barrier_wait -1
	s_barrier_signal -1
	s_barrier_wait -1
	s_and_saveexec_b32 s47, s93
	s_cbranch_execz .LBB108_187
; %bb.186:                              ;   in Loop: Header=BB108_3 Depth=1
	ds_load_b32 v24, v57 offset:2088
	s_wait_dscnt 0x0
	ds_store_b32 v56, v24 offset:2592
	ds_load_b32 v24, v57 offset:2092
	s_wait_dscnt 0x0
	ds_store_b32 v56, v24 offset:2848
.LBB108_187:                            ;   in Loop: Header=BB108_3 Depth=1
	s_or_b32 exec_lo, exec_lo, s47
	s_wait_dscnt 0x0
	s_barrier_signal -1
	s_barrier_wait -1
	s_and_saveexec_b32 s47, s15
	s_cbranch_execz .LBB108_189
; %bb.188:                              ;   in Loop: Header=BB108_3 Depth=1
	ds_load_b64 v[24:25], v5 offset:2600
	ds_load_b32 v26, v5 offset:2860
	s_wait_dscnt 0x0
	v_mul_f32_e32 v24, v24, v26
	s_delay_alu instid0(VALU_DEP_1)
	v_mul_f32_e32 v24, v25, v24
	v_add_nc_u32_e64 v25, 0x800, 0
	ds_store_2addr_b32 v25, v24, v24 offset0:139 offset1:202
.LBB108_189:                            ;   in Loop: Header=BB108_3 Depth=1
	s_or_b32 exec_lo, exec_lo, s47
	v_mov_b32_e32 v24, 0
	s_wait_dscnt 0x0
	s_barrier_signal -1
	s_barrier_wait -1
	s_and_saveexec_b32 s47, s4
	s_cbranch_execz .LBB108_195
; %bb.190:                              ;   in Loop: Header=BB108_3 Depth=1
	ds_load_b32 v24, v36 offset:2096
	ds_load_b32 v25, v31 offset:2080
	s_wait_dscnt 0x0
	v_fma_f32 v24, v24, v25, 0
	s_and_saveexec_b32 s48, s17
	s_cbranch_execnz .LBB108_1215
; %bb.191:                              ;   in Loop: Header=BB108_3 Depth=1
	s_or_b32 exec_lo, exec_lo, s48
	s_and_saveexec_b32 s48, s18
	s_cbranch_execnz .LBB108_1216
.LBB108_192:                            ;   in Loop: Header=BB108_3 Depth=1
	s_or_b32 exec_lo, exec_lo, s48
	s_and_saveexec_b32 s48, s2
	s_cbranch_execz .LBB108_194
.LBB108_193:                            ;   in Loop: Header=BB108_3 Depth=1
	ds_load_b32 v25, v58 offset:2864
	ds_load_b32 v26, v5 offset:2092
	s_wait_dscnt 0x0
	v_fmac_f32_e32 v24, v25, v26
.LBB108_194:                            ;   in Loop: Header=BB108_3 Depth=1
	s_or_b32 exec_lo, exec_lo, s48
	s_delay_alu instid0(VALU_DEP_1)
	v_xor_b32_e32 v24, 0x80000000, v24
.LBB108_195:                            ;   in Loop: Header=BB108_3 Depth=1
	s_or_b32 exec_lo, exec_lo, s47
	s_and_saveexec_b32 s47, s94
	s_cbranch_execz .LBB108_197
; %bb.196:                              ;   in Loop: Header=BB108_3 Depth=1
	ds_load_b32 v25, v5 offset:3120
	s_wait_dscnt 0x0
	v_mul_f32_e32 v24, v24, v25
	ds_store_b32 v35, v24
.LBB108_197:                            ;   in Loop: Header=BB108_3 Depth=1
	s_or_b32 exec_lo, exec_lo, s47
	s_wait_dscnt 0x0
	s_barrier_signal -1
	s_barrier_wait -1
	s_and_saveexec_b32 s47, s95
	s_cbranch_execz .LBB108_199
; %bb.198:                              ;   in Loop: Header=BB108_3 Depth=1
	ds_load_b32 v25, v33 offset:3120
	ds_load_b32 v26, v35
	s_wait_dscnt 0x0
	v_fmac_f32_e32 v24, v25, v26
.LBB108_199:                            ;   in Loop: Header=BB108_3 Depth=1
	s_or_b32 exec_lo, exec_lo, s47
	s_barrier_signal -1
	s_barrier_wait -1
	s_and_saveexec_b32 s47, s96
	s_cbranch_execz .LBB108_201
; %bb.200:                              ;   in Loop: Header=BB108_3 Depth=1
	ds_load_b32 v25, v5 offset:3380
	s_wait_dscnt 0x0
	v_mul_f32_e32 v24, v24, v25
	ds_store_b32 v35, v24
.LBB108_201:                            ;   in Loop: Header=BB108_3 Depth=1
	s_or_b32 exec_lo, exec_lo, s47
	s_wait_dscnt 0x0
	s_barrier_signal -1
	s_barrier_wait -1
	s_and_saveexec_b32 s47, s97
	s_cbranch_execz .LBB108_203
; %bb.202:                              ;   in Loop: Header=BB108_3 Depth=1
	ds_load_b32 v25, v33 offset:3376
	ds_load_b32 v26, v35
	s_wait_dscnt 0x0
	v_fmac_f32_e32 v24, v25, v26
.LBB108_203:                            ;   in Loop: Header=BB108_3 Depth=1
	s_or_b32 exec_lo, exec_lo, s47
	s_barrier_signal -1
	s_barrier_wait -1
	;; [unrolled: 23-line block ×3, first 2 shown]
	s_and_saveexec_b32 s47, s99
	s_cbranch_execz .LBB108_209
; %bb.208:                              ;   in Loop: Header=BB108_3 Depth=1
	ds_load_b32 v25, v5 offset:3900
	s_wait_dscnt 0x0
	v_mul_f32_e32 v24, v24, v25
	ds_store_b32 v35, v24
.LBB108_209:                            ;   in Loop: Header=BB108_3 Depth=1
	s_or_b32 exec_lo, exec_lo, s47
	s_wait_dscnt 0x0
	s_barrier_signal -1
	s_barrier_wait -1
	s_barrier_signal -1
	s_barrier_wait -1
	s_and_saveexec_b32 s47, s4
; %bb.210:                              ;   in Loop: Header=BB108_3 Depth=1
	v_xor_b32_e32 v24, 0x80000000, v24
	ds_store_b32 v36, v24 offset:2096
; %bb.211:                              ;   in Loop: Header=BB108_3 Depth=1
	s_or_b32 exec_lo, exec_lo, s47
	s_wait_dscnt 0x0
	s_barrier_signal -1
	s_barrier_wait -1
	s_barrier_signal -1
	s_barrier_wait -1
	s_and_saveexec_b32 s47, s100
	s_cbranch_execz .LBB108_213
; %bb.212:                              ;   in Loop: Header=BB108_3 Depth=1
	ds_load_b32 v24, v59 offset:2096
	s_wait_dscnt 0x0
	ds_store_b32 v60, v24 offset:3104
	ds_load_b32 v24, v59 offset:2100
	s_wait_dscnt 0x0
	ds_store_b32 v60, v24 offset:3360
	;; [unrolled: 3-line block ×4, first 2 shown]
.LBB108_213:                            ;   in Loop: Header=BB108_3 Depth=1
	s_or_b32 exec_lo, exec_lo, s47
	s_wait_dscnt 0x0
	s_barrier_signal -1
	s_barrier_wait -1
	s_and_saveexec_b32 s47, s15
	s_cbranch_execz .LBB108_215
; %bb.214:                              ;   in Loop: Header=BB108_3 Depth=1
	ds_load_b64 v[24:25], v5 offset:3120
	ds_load_b32 v26, v5 offset:3380
	s_wait_dscnt 0x0
	v_mul_f32_e32 v24, v24, v26
	s_delay_alu instid0(VALU_DEP_1)
	v_mul_f32_e32 v24, v25, v24
	v_add_nc_u32_e64 v25, 0xc00, 0
	ds_store_2addr_b32 v25, v24, v24 offset0:13 offset1:76
.LBB108_215:                            ;   in Loop: Header=BB108_3 Depth=1
	s_or_b32 exec_lo, exec_lo, s47
	v_mov_b32_e32 v24, 0
	s_wait_dscnt 0x0
	s_barrier_signal -1
	s_barrier_wait -1
	s_and_saveexec_b32 s47, s2
	s_cbranch_execz .LBB108_219
; %bb.216:                              ;   in Loop: Header=BB108_3 Depth=1
	ds_load_b32 v24, v65 offset:3128
	ds_load_b32 v25, v29 offset:3120
	s_wait_dscnt 0x0
	v_fma_f32 v24, v24, v25, 0
	s_and_saveexec_b32 s48, s16
	s_cbranch_execz .LBB108_218
; %bb.217:                              ;   in Loop: Header=BB108_3 Depth=1
	ds_load_b32 v25, v60 offset:3384
	ds_load_b32 v26, v5 offset:3124
	s_wait_dscnt 0x0
	v_fmac_f32_e32 v24, v25, v26
.LBB108_218:                            ;   in Loop: Header=BB108_3 Depth=1
	s_or_b32 exec_lo, exec_lo, s48
	s_delay_alu instid0(VALU_DEP_1)
	v_xor_b32_e32 v24, 0x80000000, v24
.LBB108_219:                            ;   in Loop: Header=BB108_3 Depth=1
	s_or_b32 exec_lo, exec_lo, s47
	s_and_saveexec_b32 s47, s91
	s_cbranch_execz .LBB108_221
; %bb.220:                              ;   in Loop: Header=BB108_3 Depth=1
	ds_load_b32 v25, v5 offset:3640
	s_wait_dscnt 0x0
	v_mul_f32_e32 v24, v24, v25
	ds_store_b32 v3, v24
.LBB108_221:                            ;   in Loop: Header=BB108_3 Depth=1
	s_or_b32 exec_lo, exec_lo, s47
	s_wait_dscnt 0x0
	s_barrier_signal -1
	s_barrier_wait -1
	s_and_saveexec_b32 s47, s92
	s_cbranch_execz .LBB108_223
; %bb.222:                              ;   in Loop: Header=BB108_3 Depth=1
	ds_load_b32 v25, v5 offset:3644
	ds_load_b32 v26, v3
	s_wait_dscnt 0x0
	v_fmac_f32_e32 v24, v25, v26
.LBB108_223:                            ;   in Loop: Header=BB108_3 Depth=1
	s_or_b32 exec_lo, exec_lo, s47
	s_barrier_signal -1
	s_barrier_wait -1
	s_and_saveexec_b32 s47, s92
	s_cbranch_execz .LBB108_225
; %bb.224:                              ;   in Loop: Header=BB108_3 Depth=1
	ds_load_b32 v25, v5 offset:3900
	s_wait_dscnt 0x0
	v_mul_f32_e32 v24, v24, v25
	ds_store_b32 v3, v24
.LBB108_225:                            ;   in Loop: Header=BB108_3 Depth=1
	s_or_b32 exec_lo, exec_lo, s47
	s_wait_dscnt 0x0
	s_barrier_signal -1
	s_barrier_wait -1
	s_barrier_signal -1
	s_barrier_wait -1
	s_and_saveexec_b32 s47, s2
; %bb.226:                              ;   in Loop: Header=BB108_3 Depth=1
	v_xor_b32_e32 v24, 0x80000000, v24
	ds_store_b32 v65, v24 offset:3128
; %bb.227:                              ;   in Loop: Header=BB108_3 Depth=1
	s_or_b32 exec_lo, exec_lo, s47
	s_wait_dscnt 0x0
	s_barrier_signal -1
	s_barrier_wait -1
	s_barrier_signal -1
	s_barrier_wait -1
	s_and_saveexec_b32 s47, s93
	s_cbranch_execz .LBB108_229
; %bb.228:                              ;   in Loop: Header=BB108_3 Depth=1
	ds_load_b32 v24, v61 offset:3128
	s_wait_dscnt 0x0
	ds_store_b32 v60, v24 offset:3632
	ds_load_b32 v24, v61 offset:3132
	s_wait_dscnt 0x0
	ds_store_b32 v60, v24 offset:3888
.LBB108_229:                            ;   in Loop: Header=BB108_3 Depth=1
	s_or_b32 exec_lo, exec_lo, s47
	s_wait_dscnt 0x0
	s_barrier_signal -1
	s_barrier_wait -1
	s_and_saveexec_b32 s47, s15
	s_cbranch_execz .LBB108_231
; %bb.230:                              ;   in Loop: Header=BB108_3 Depth=1
	ds_load_b64 v[24:25], v5 offset:3640
	ds_load_b32 v26, v5 offset:3900
	s_wait_dscnt 0x0
	v_mul_f32_e32 v24, v24, v26
	s_delay_alu instid0(VALU_DEP_1)
	v_mul_f32_e32 v24, v25, v24
	v_add_nc_u32_e64 v25, 0xc00, 0
	ds_store_2addr_b32 v25, v24, v24 offset0:143 offset1:206
.LBB108_231:                            ;   in Loop: Header=BB108_3 Depth=1
	s_or_b32 exec_lo, exec_lo, s47
	v_mov_b32_e32 v24, 0
	s_wait_dscnt 0x0
	s_barrier_signal -1
	s_barrier_wait -1
	s_and_saveexec_b32 s47, s6
	s_cbranch_execz .LBB108_259
; %bb.232:                              ;   in Loop: Header=BB108_3 Depth=1
	ds_load_b32 v24, v47 offset:64
	ds_load_b32 v25, v44
	s_wait_dscnt 0x0
	v_fma_f32 v24, v24, v25, 0
	s_mov_b32 s48, exec_lo
	v_readlane_b32 s49, v91, 24
	s_and_b32 s49, s48, s49
	s_delay_alu instid0(SALU_CYCLE_1)
	s_mov_b32 exec_lo, s49
	s_cbranch_execz .LBB108_234
; %bb.233:                              ;   in Loop: Header=BB108_3 Depth=1
	ds_load_b32 v25, v48 offset:320
	ds_load_b32 v26, v44 offset:4
	s_wait_dscnt 0x0
	v_fmac_f32_e32 v24, v25, v26
.LBB108_234:                            ;   in Loop: Header=BB108_3 Depth=1
	s_or_b32 exec_lo, exec_lo, s48
	s_delay_alu instid0(SALU_CYCLE_1) | instskip(SKIP_2) | instid1(SALU_CYCLE_1)
	s_mov_b32 s48, exec_lo
	v_readlane_b32 s49, v91, 25
	s_and_b32 s49, s48, s49
	s_mov_b32 exec_lo, s49
	s_cbranch_execz .LBB108_236
; %bb.235:                              ;   in Loop: Header=BB108_3 Depth=1
	ds_load_b32 v25, v48 offset:576
	ds_load_b32 v26, v44 offset:8
	s_wait_dscnt 0x0
	v_fmac_f32_e32 v24, v25, v26
.LBB108_236:                            ;   in Loop: Header=BB108_3 Depth=1
	s_or_b32 exec_lo, exec_lo, s48
	s_delay_alu instid0(SALU_CYCLE_1) | instskip(SKIP_2) | instid1(SALU_CYCLE_1)
	s_mov_b32 s48, exec_lo
	v_readlane_b32 s49, v91, 26
	s_and_b32 s49, s48, s49
	s_mov_b32 exec_lo, s49
	s_cbranch_execz .LBB108_238
; %bb.237:                              ;   in Loop: Header=BB108_3 Depth=1
	ds_load_b32 v25, v48 offset:832
	ds_load_b32 v26, v44 offset:12
	s_wait_dscnt 0x0
	v_fmac_f32_e32 v24, v25, v26
.LBB108_238:                            ;   in Loop: Header=BB108_3 Depth=1
	s_or_b32 exec_lo, exec_lo, s48
	s_delay_alu instid0(SALU_CYCLE_1) | instskip(SKIP_2) | instid1(SALU_CYCLE_1)
	s_mov_b32 s48, exec_lo
	v_readlane_b32 s49, v91, 27
	s_and_b32 s49, s48, s49
	s_mov_b32 exec_lo, s49
	s_cbranch_execz .LBB108_240
; %bb.239:                              ;   in Loop: Header=BB108_3 Depth=1
	ds_load_b32 v25, v48 offset:1088
	ds_load_b32 v26, v44 offset:16
	s_wait_dscnt 0x0
	v_fmac_f32_e32 v24, v25, v26
.LBB108_240:                            ;   in Loop: Header=BB108_3 Depth=1
	s_or_b32 exec_lo, exec_lo, s48
	s_delay_alu instid0(SALU_CYCLE_1) | instskip(SKIP_2) | instid1(SALU_CYCLE_1)
	s_mov_b32 s48, exec_lo
	v_readlane_b32 s49, v91, 28
	s_and_b32 s49, s48, s49
	s_mov_b32 exec_lo, s49
	s_cbranch_execz .LBB108_242
; %bb.241:                              ;   in Loop: Header=BB108_3 Depth=1
	ds_load_b32 v25, v48 offset:1344
	ds_load_b32 v26, v44 offset:20
	s_wait_dscnt 0x0
	v_fmac_f32_e32 v24, v25, v26
.LBB108_242:                            ;   in Loop: Header=BB108_3 Depth=1
	s_or_b32 exec_lo, exec_lo, s48
	s_delay_alu instid0(SALU_CYCLE_1) | instskip(SKIP_2) | instid1(SALU_CYCLE_1)
	s_mov_b32 s48, exec_lo
	v_readlane_b32 s49, v91, 29
	s_and_b32 s49, s48, s49
	s_mov_b32 exec_lo, s49
	s_cbranch_execz .LBB108_244
; %bb.243:                              ;   in Loop: Header=BB108_3 Depth=1
	ds_load_b32 v25, v48 offset:1600
	ds_load_b32 v26, v44 offset:24
	s_wait_dscnt 0x0
	v_fmac_f32_e32 v24, v25, v26
.LBB108_244:                            ;   in Loop: Header=BB108_3 Depth=1
	s_or_b32 exec_lo, exec_lo, s48
	s_delay_alu instid0(SALU_CYCLE_1) | instskip(SKIP_2) | instid1(SALU_CYCLE_1)
	s_mov_b32 s48, exec_lo
	v_readlane_b32 s49, v91, 30
	s_and_b32 s49, s48, s49
	s_mov_b32 exec_lo, s49
	s_cbranch_execz .LBB108_246
; %bb.245:                              ;   in Loop: Header=BB108_3 Depth=1
	ds_load_b32 v25, v48 offset:1856
	ds_load_b32 v26, v44 offset:28
	s_wait_dscnt 0x0
	v_fmac_f32_e32 v24, v25, v26
.LBB108_246:                            ;   in Loop: Header=BB108_3 Depth=1
	s_or_b32 exec_lo, exec_lo, s48
	s_delay_alu instid0(SALU_CYCLE_1) | instskip(SKIP_2) | instid1(SALU_CYCLE_1)
	s_mov_b32 s48, exec_lo
	v_readlane_b32 s49, v91, 31
	s_and_b32 s49, s48, s49
	s_mov_b32 exec_lo, s49
	s_cbranch_execz .LBB108_248
; %bb.247:                              ;   in Loop: Header=BB108_3 Depth=1
	ds_load_b32 v25, v47 offset:2112
	ds_load_b32 v26, v44 offset:32
	s_wait_dscnt 0x0
	v_fmac_f32_e32 v24, v25, v26
.LBB108_248:                            ;   in Loop: Header=BB108_3 Depth=1
	s_or_b32 exec_lo, exec_lo, s48
	s_delay_alu instid0(SALU_CYCLE_1) | instskip(SKIP_2) | instid1(SALU_CYCLE_1)
	s_mov_b32 s48, exec_lo
	v_readlane_b32 s49, v90, 0
	s_and_b32 s49, s48, s49
	s_mov_b32 exec_lo, s49
	s_cbranch_execz .LBB108_250
; %bb.249:                              ;   in Loop: Header=BB108_3 Depth=1
	ds_load_b32 v25, v48 offset:2368
	ds_load_b32 v26, v44 offset:36
	s_wait_dscnt 0x0
	v_fmac_f32_e32 v24, v25, v26
.LBB108_250:                            ;   in Loop: Header=BB108_3 Depth=1
	s_or_b32 exec_lo, exec_lo, s48
	s_delay_alu instid0(SALU_CYCLE_1) | instskip(SKIP_2) | instid1(SALU_CYCLE_1)
	s_mov_b32 s48, exec_lo
	v_readlane_b32 s49, v90, 1
	s_and_b32 s49, s48, s49
	s_mov_b32 exec_lo, s49
	s_cbranch_execz .LBB108_252
; %bb.251:                              ;   in Loop: Header=BB108_3 Depth=1
	ds_load_b32 v25, v48 offset:2624
	ds_load_b32 v26, v44 offset:40
	s_wait_dscnt 0x0
	v_fmac_f32_e32 v24, v25, v26
.LBB108_252:                            ;   in Loop: Header=BB108_3 Depth=1
	s_or_b32 exec_lo, exec_lo, s48
	s_delay_alu instid0(SALU_CYCLE_1) | instskip(SKIP_2) | instid1(SALU_CYCLE_1)
	s_mov_b32 s48, exec_lo
	v_readlane_b32 s49, v90, 2
	s_and_b32 s49, s48, s49
	s_mov_b32 exec_lo, s49
	s_cbranch_execnz .LBB108_1217
; %bb.253:                              ;   in Loop: Header=BB108_3 Depth=1
	s_or_b32 exec_lo, exec_lo, s48
	s_and_saveexec_b32 s48, s5
	s_cbranch_execnz .LBB108_1218
.LBB108_254:                            ;   in Loop: Header=BB108_3 Depth=1
	s_or_b32 exec_lo, exec_lo, s48
	s_and_saveexec_b32 s48, s20
	s_cbranch_execnz .LBB108_1219
.LBB108_255:                            ;   in Loop: Header=BB108_3 Depth=1
	s_or_b32 exec_lo, exec_lo, s48
	s_and_saveexec_b32 s48, s22
	s_cbranch_execnz .LBB108_1220
.LBB108_256:                            ;   in Loop: Header=BB108_3 Depth=1
	s_or_b32 exec_lo, exec_lo, s48
	s_and_saveexec_b32 s48, s4
	s_cbranch_execz .LBB108_258
.LBB108_257:                            ;   in Loop: Header=BB108_3 Depth=1
	ds_load_b32 v25, v30 offset:3904
	ds_load_b32 v26, v5 offset:60
	s_wait_dscnt 0x0
	v_fmac_f32_e32 v24, v25, v26
.LBB108_258:                            ;   in Loop: Header=BB108_3 Depth=1
	s_or_b32 exec_lo, exec_lo, s48
	s_delay_alu instid0(VALU_DEP_1)
	v_xor_b32_e32 v24, 0x80000000, v24
.LBB108_259:                            ;   in Loop: Header=BB108_3 Depth=1
	s_or_b32 exec_lo, exec_lo, s47
	s_delay_alu instid0(SALU_CYCLE_1) | instskip(SKIP_2) | instid1(SALU_CYCLE_1)
	s_mov_b32 s47, exec_lo
	v_readlane_b32 s48, v93, 2
	s_and_b32 s48, s47, s48
	s_mov_b32 exec_lo, s48
	s_cbranch_execz .LBB108_261
; %bb.260:                              ;   in Loop: Header=BB108_3 Depth=1
	ds_load_b32 v25, v5 offset:4160
	s_wait_dscnt 0x0
	v_mul_f32_e32 v24, v24, v25
	ds_store_b32 v46, v24
.LBB108_261:                            ;   in Loop: Header=BB108_3 Depth=1
	s_or_b32 exec_lo, exec_lo, s47
	s_wait_dscnt 0x0
	s_barrier_signal -1
	s_barrier_wait -1
	s_mov_b32 s47, exec_lo
	v_readlane_b32 s48, v93, 3
	s_and_b32 s48, s47, s48
	s_delay_alu instid0(SALU_CYCLE_1)
	s_mov_b32 exec_lo, s48
	s_cbranch_execz .LBB108_263
; %bb.262:                              ;   in Loop: Header=BB108_3 Depth=1
	ds_load_b32 v25, v45 offset:4160
	ds_load_b32 v26, v46
	s_wait_dscnt 0x0
	v_fmac_f32_e32 v24, v25, v26
.LBB108_263:                            ;   in Loop: Header=BB108_3 Depth=1
	s_or_b32 exec_lo, exec_lo, s47
	s_barrier_signal -1
	s_barrier_wait -1
	s_mov_b32 s47, exec_lo
	v_readlane_b32 s48, v93, 4
	s_and_b32 s48, s47, s48
	s_delay_alu instid0(SALU_CYCLE_1)
	s_mov_b32 exec_lo, s48
	s_cbranch_execz .LBB108_265
; %bb.264:                              ;   in Loop: Header=BB108_3 Depth=1
	ds_load_b32 v25, v5 offset:4420
	s_wait_dscnt 0x0
	v_mul_f32_e32 v24, v24, v25
	ds_store_b32 v46, v24
.LBB108_265:                            ;   in Loop: Header=BB108_3 Depth=1
	s_or_b32 exec_lo, exec_lo, s47
	s_wait_dscnt 0x0
	s_barrier_signal -1
	s_barrier_wait -1
	s_mov_b32 s47, exec_lo
	v_readlane_b32 s48, v93, 5
	s_and_b32 s48, s47, s48
	s_delay_alu instid0(SALU_CYCLE_1)
	s_mov_b32 exec_lo, s48
	s_cbranch_execz .LBB108_267
; %bb.266:                              ;   in Loop: Header=BB108_3 Depth=1
	ds_load_b32 v25, v45 offset:4416
	ds_load_b32 v26, v46
	s_wait_dscnt 0x0
	v_fmac_f32_e32 v24, v25, v26
.LBB108_267:                            ;   in Loop: Header=BB108_3 Depth=1
	s_or_b32 exec_lo, exec_lo, s47
	s_barrier_signal -1
	s_barrier_wait -1
	s_mov_b32 s47, exec_lo
	v_readlane_b32 s48, v93, 6
	s_and_b32 s48, s47, s48
	s_delay_alu instid0(SALU_CYCLE_1)
	s_mov_b32 exec_lo, s48
	s_cbranch_execz .LBB108_269
; %bb.268:                              ;   in Loop: Header=BB108_3 Depth=1
	ds_load_b32 v25, v5 offset:4680
	s_wait_dscnt 0x0
	v_mul_f32_e32 v24, v24, v25
	ds_store_b32 v46, v24
.LBB108_269:                            ;   in Loop: Header=BB108_3 Depth=1
	s_or_b32 exec_lo, exec_lo, s47
	s_wait_dscnt 0x0
	s_barrier_signal -1
	s_barrier_wait -1
	s_mov_b32 s47, exec_lo
	v_readlane_b32 s48, v93, 7
	s_and_b32 s48, s47, s48
	s_delay_alu instid0(SALU_CYCLE_1)
	s_mov_b32 exec_lo, s48
	s_cbranch_execz .LBB108_271
; %bb.270:                              ;   in Loop: Header=BB108_3 Depth=1
	ds_load_b32 v25, v45 offset:4672
	ds_load_b32 v26, v46
	s_wait_dscnt 0x0
	v_fmac_f32_e32 v24, v25, v26
.LBB108_271:                            ;   in Loop: Header=BB108_3 Depth=1
	s_or_b32 exec_lo, exec_lo, s47
	s_barrier_signal -1
	s_barrier_wait -1
	s_and_saveexec_b32 s47, s52
	s_cbranch_execz .LBB108_273
; %bb.272:                              ;   in Loop: Header=BB108_3 Depth=1
	ds_load_b32 v25, v5 offset:4940
	s_wait_dscnt 0x0
	v_mul_f32_e32 v24, v24, v25
	ds_store_b32 v46, v24
.LBB108_273:                            ;   in Loop: Header=BB108_3 Depth=1
	s_or_b32 exec_lo, exec_lo, s47
	s_wait_dscnt 0x0
	s_barrier_signal -1
	s_barrier_wait -1
	s_and_saveexec_b32 s47, s53
	s_cbranch_execz .LBB108_275
; %bb.274:                              ;   in Loop: Header=BB108_3 Depth=1
	ds_load_b32 v25, v45 offset:4928
	ds_load_b32 v26, v46
	s_wait_dscnt 0x0
	v_fmac_f32_e32 v24, v25, v26
.LBB108_275:                            ;   in Loop: Header=BB108_3 Depth=1
	s_or_b32 exec_lo, exec_lo, s47
	s_barrier_signal -1
	s_barrier_wait -1
	s_and_saveexec_b32 s47, s54
	s_cbranch_execz .LBB108_277
; %bb.276:                              ;   in Loop: Header=BB108_3 Depth=1
	ds_load_b32 v25, v5 offset:5200
	s_wait_dscnt 0x0
	v_mul_f32_e32 v24, v24, v25
	ds_store_b32 v46, v24
.LBB108_277:                            ;   in Loop: Header=BB108_3 Depth=1
	s_or_b32 exec_lo, exec_lo, s47
	s_wait_dscnt 0x0
	s_barrier_signal -1
	s_barrier_wait -1
	s_and_saveexec_b32 s47, s55
	;; [unrolled: 23-line block ×12, first 2 shown]
	s_cbranch_execz .LBB108_319
; %bb.318:                              ;   in Loop: Header=BB108_3 Depth=1
	ds_load_b32 v25, v5 offset:7804
	ds_load_b32 v26, v46
	s_wait_dscnt 0x0
	v_fmac_f32_e32 v24, v25, v26
.LBB108_319:                            ;   in Loop: Header=BB108_3 Depth=1
	s_or_b32 exec_lo, exec_lo, s47
	s_barrier_signal -1
	s_barrier_wait -1
	s_and_saveexec_b32 s47, s65
	s_cbranch_execz .LBB108_321
; %bb.320:                              ;   in Loop: Header=BB108_3 Depth=1
	ds_load_b32 v25, v5 offset:8060
	s_wait_dscnt 0x0
	v_mul_f32_e32 v24, v24, v25
	ds_store_b32 v46, v24
.LBB108_321:                            ;   in Loop: Header=BB108_3 Depth=1
	s_or_b32 exec_lo, exec_lo, s47
	s_wait_dscnt 0x0
	s_barrier_signal -1
	s_barrier_wait -1
	s_barrier_signal -1
	s_barrier_wait -1
	s_and_saveexec_b32 s47, s6
; %bb.322:                              ;   in Loop: Header=BB108_3 Depth=1
	v_xor_b32_e32 v24, 0x80000000, v24
	ds_store_b32 v47, v24 offset:64
; %bb.323:                              ;   in Loop: Header=BB108_3 Depth=1
	s_or_b32 exec_lo, exec_lo, s47
	s_wait_dscnt 0x0
	s_barrier_signal -1
	s_barrier_wait -1
	s_barrier_signal -1
	s_barrier_wait -1
	s_and_saveexec_b32 s47, s89
	s_cbranch_execz .LBB108_325
; %bb.324:                              ;   in Loop: Header=BB108_3 Depth=1
	ds_load_b32 v24, v34 offset:64
	s_wait_dscnt 0x0
	ds_store_b32 v38, v24 offset:4096
	ds_load_b32 v24, v34 offset:68
	s_wait_dscnt 0x0
	ds_store_b32 v38, v24 offset:4352
	;; [unrolled: 3-line block ×16, first 2 shown]
.LBB108_325:                            ;   in Loop: Header=BB108_3 Depth=1
	s_or_b32 exec_lo, exec_lo, s47
	s_wait_dscnt 0x0
	s_barrier_signal -1
	s_barrier_wait -1
	s_and_saveexec_b32 s47, s15
	s_cbranch_execz .LBB108_327
; %bb.326:                              ;   in Loop: Header=BB108_3 Depth=1
	ds_load_b64 v[24:25], v5 offset:4160
	ds_load_b32 v26, v5 offset:4420
	s_wait_dscnt 0x0
	v_mul_f32_e32 v24, v24, v26
	s_delay_alu instid0(VALU_DEP_1)
	v_mul_f32_e32 v24, v25, v24
	v_add_nc_u32_e64 v25, 0x1000, 0
	ds_store_2addr_b32 v25, v24, v24 offset0:17 offset1:80
.LBB108_327:                            ;   in Loop: Header=BB108_3 Depth=1
	s_or_b32 exec_lo, exec_lo, s47
	v_mov_b32_e32 v24, 0
	s_wait_dscnt 0x0
	s_barrier_signal -1
	s_barrier_wait -1
	s_and_saveexec_b32 s47, s2
	s_cbranch_execz .LBB108_331
; %bb.328:                              ;   in Loop: Header=BB108_3 Depth=1
	ds_load_b32 v24, v65 offset:4168
	ds_load_b32 v25, v29 offset:4160
	s_wait_dscnt 0x0
	v_fma_f32 v24, v24, v25, 0
	s_and_saveexec_b32 s48, s16
	s_cbranch_execz .LBB108_330
; %bb.329:                              ;   in Loop: Header=BB108_3 Depth=1
	ds_load_b32 v25, v30 offset:4424
	ds_load_b32 v26, v5 offset:4164
	s_wait_dscnt 0x0
	v_fmac_f32_e32 v24, v25, v26
.LBB108_330:                            ;   in Loop: Header=BB108_3 Depth=1
	s_or_b32 exec_lo, exec_lo, s48
	s_delay_alu instid0(VALU_DEP_1)
	v_xor_b32_e32 v24, 0x80000000, v24
.LBB108_331:                            ;   in Loop: Header=BB108_3 Depth=1
	s_or_b32 exec_lo, exec_lo, s47
	s_and_saveexec_b32 s47, s91
	s_cbranch_execz .LBB108_333
; %bb.332:                              ;   in Loop: Header=BB108_3 Depth=1
	ds_load_b32 v25, v5 offset:4680
	s_wait_dscnt 0x0
	v_mul_f32_e32 v24, v24, v25
	ds_store_b32 v3, v24
.LBB108_333:                            ;   in Loop: Header=BB108_3 Depth=1
	s_or_b32 exec_lo, exec_lo, s47
	s_wait_dscnt 0x0
	s_barrier_signal -1
	s_barrier_wait -1
	s_and_saveexec_b32 s47, s92
	s_cbranch_execz .LBB108_335
; %bb.334:                              ;   in Loop: Header=BB108_3 Depth=1
	ds_load_b32 v25, v5 offset:4684
	ds_load_b32 v26, v3
	s_wait_dscnt 0x0
	v_fmac_f32_e32 v24, v25, v26
.LBB108_335:                            ;   in Loop: Header=BB108_3 Depth=1
	s_or_b32 exec_lo, exec_lo, s47
	s_barrier_signal -1
	s_barrier_wait -1
	s_and_saveexec_b32 s47, s92
	s_cbranch_execz .LBB108_337
; %bb.336:                              ;   in Loop: Header=BB108_3 Depth=1
	ds_load_b32 v25, v5 offset:4940
	s_wait_dscnt 0x0
	v_mul_f32_e32 v24, v24, v25
	ds_store_b32 v3, v24
.LBB108_337:                            ;   in Loop: Header=BB108_3 Depth=1
	s_or_b32 exec_lo, exec_lo, s47
	s_wait_dscnt 0x0
	s_barrier_signal -1
	s_barrier_wait -1
	s_barrier_signal -1
	s_barrier_wait -1
	s_and_saveexec_b32 s47, s2
; %bb.338:                              ;   in Loop: Header=BB108_3 Depth=1
	v_xor_b32_e32 v24, 0x80000000, v24
	ds_store_b32 v65, v24 offset:4168
; %bb.339:                              ;   in Loop: Header=BB108_3 Depth=1
	s_or_b32 exec_lo, exec_lo, s47
	s_wait_dscnt 0x0
	s_barrier_signal -1
	s_barrier_wait -1
	s_barrier_signal -1
	s_barrier_wait -1
	s_and_saveexec_b32 s47, s93
	s_cbranch_execz .LBB108_341
; %bb.340:                              ;   in Loop: Header=BB108_3 Depth=1
	ds_load_b32 v24, v34 offset:4168
	s_wait_dscnt 0x0
	ds_store_b32 v30, v24 offset:4672
	ds_load_b32 v24, v34 offset:4172
	s_wait_dscnt 0x0
	ds_store_b32 v30, v24 offset:4928
.LBB108_341:                            ;   in Loop: Header=BB108_3 Depth=1
	s_or_b32 exec_lo, exec_lo, s47
	s_wait_dscnt 0x0
	s_barrier_signal -1
	s_barrier_wait -1
	s_and_saveexec_b32 s47, s15
	s_cbranch_execz .LBB108_343
; %bb.342:                              ;   in Loop: Header=BB108_3 Depth=1
	ds_load_b64 v[24:25], v5 offset:4680
	ds_load_b32 v26, v5 offset:4940
	s_wait_dscnt 0x0
	v_mul_f32_e32 v24, v24, v26
	s_delay_alu instid0(VALU_DEP_1)
	v_mul_f32_e32 v24, v25, v24
	v_add_nc_u32_e64 v25, 0x1000, 0
	ds_store_2addr_b32 v25, v24, v24 offset0:147 offset1:210
.LBB108_343:                            ;   in Loop: Header=BB108_3 Depth=1
	s_or_b32 exec_lo, exec_lo, s47
	v_mov_b32_e32 v24, 0
	s_wait_dscnt 0x0
	s_barrier_signal -1
	s_barrier_wait -1
	s_and_saveexec_b32 s47, s4
	s_cbranch_execz .LBB108_349
; %bb.344:                              ;   in Loop: Header=BB108_3 Depth=1
	ds_load_b32 v24, v36 offset:4176
	ds_load_b32 v25, v31 offset:4160
	s_wait_dscnt 0x0
	v_fma_f32 v24, v24, v25, 0
	s_and_saveexec_b32 s48, s17
	s_cbranch_execnz .LBB108_1221
; %bb.345:                              ;   in Loop: Header=BB108_3 Depth=1
	s_or_b32 exec_lo, exec_lo, s48
	s_and_saveexec_b32 s48, s18
	s_cbranch_execnz .LBB108_1222
.LBB108_346:                            ;   in Loop: Header=BB108_3 Depth=1
	s_or_b32 exec_lo, exec_lo, s48
	s_and_saveexec_b32 s48, s2
	s_cbranch_execz .LBB108_348
.LBB108_347:                            ;   in Loop: Header=BB108_3 Depth=1
	ds_load_b32 v25, v38 offset:4944
	ds_load_b32 v26, v5 offset:4172
	s_wait_dscnt 0x0
	v_fmac_f32_e32 v24, v25, v26
.LBB108_348:                            ;   in Loop: Header=BB108_3 Depth=1
	s_or_b32 exec_lo, exec_lo, s48
	s_delay_alu instid0(VALU_DEP_1)
	v_xor_b32_e32 v24, 0x80000000, v24
.LBB108_349:                            ;   in Loop: Header=BB108_3 Depth=1
	s_or_b32 exec_lo, exec_lo, s47
	s_and_saveexec_b32 s47, s94
	s_cbranch_execz .LBB108_351
; %bb.350:                              ;   in Loop: Header=BB108_3 Depth=1
	ds_load_b32 v25, v5 offset:5200
	s_wait_dscnt 0x0
	v_mul_f32_e32 v24, v24, v25
	ds_store_b32 v35, v24
.LBB108_351:                            ;   in Loop: Header=BB108_3 Depth=1
	s_or_b32 exec_lo, exec_lo, s47
	s_wait_dscnt 0x0
	s_barrier_signal -1
	s_barrier_wait -1
	s_and_saveexec_b32 s47, s95
	s_cbranch_execz .LBB108_353
; %bb.352:                              ;   in Loop: Header=BB108_3 Depth=1
	ds_load_b32 v25, v33 offset:5200
	ds_load_b32 v26, v35
	s_wait_dscnt 0x0
	v_fmac_f32_e32 v24, v25, v26
.LBB108_353:                            ;   in Loop: Header=BB108_3 Depth=1
	s_or_b32 exec_lo, exec_lo, s47
	s_barrier_signal -1
	s_barrier_wait -1
	s_and_saveexec_b32 s47, s96
	s_cbranch_execz .LBB108_355
; %bb.354:                              ;   in Loop: Header=BB108_3 Depth=1
	ds_load_b32 v25, v5 offset:5460
	s_wait_dscnt 0x0
	v_mul_f32_e32 v24, v24, v25
	ds_store_b32 v35, v24
.LBB108_355:                            ;   in Loop: Header=BB108_3 Depth=1
	s_or_b32 exec_lo, exec_lo, s47
	s_wait_dscnt 0x0
	s_barrier_signal -1
	s_barrier_wait -1
	s_and_saveexec_b32 s47, s97
	s_cbranch_execz .LBB108_357
; %bb.356:                              ;   in Loop: Header=BB108_3 Depth=1
	ds_load_b32 v25, v33 offset:5456
	ds_load_b32 v26, v35
	s_wait_dscnt 0x0
	v_fmac_f32_e32 v24, v25, v26
.LBB108_357:                            ;   in Loop: Header=BB108_3 Depth=1
	s_or_b32 exec_lo, exec_lo, s47
	s_barrier_signal -1
	s_barrier_wait -1
	;; [unrolled: 23-line block ×3, first 2 shown]
	s_and_saveexec_b32 s47, s99
	s_cbranch_execz .LBB108_363
; %bb.362:                              ;   in Loop: Header=BB108_3 Depth=1
	ds_load_b32 v25, v5 offset:5980
	s_wait_dscnt 0x0
	v_mul_f32_e32 v24, v24, v25
	ds_store_b32 v35, v24
.LBB108_363:                            ;   in Loop: Header=BB108_3 Depth=1
	s_or_b32 exec_lo, exec_lo, s47
	s_wait_dscnt 0x0
	s_barrier_signal -1
	s_barrier_wait -1
	s_barrier_signal -1
	s_barrier_wait -1
	s_and_saveexec_b32 s47, s4
; %bb.364:                              ;   in Loop: Header=BB108_3 Depth=1
	v_xor_b32_e32 v24, 0x80000000, v24
	ds_store_b32 v36, v24 offset:4176
; %bb.365:                              ;   in Loop: Header=BB108_3 Depth=1
	s_or_b32 exec_lo, exec_lo, s47
	s_wait_dscnt 0x0
	s_barrier_signal -1
	s_barrier_wait -1
	s_barrier_signal -1
	s_barrier_wait -1
	s_and_saveexec_b32 s47, s100
	s_cbranch_execz .LBB108_367
; %bb.366:                              ;   in Loop: Header=BB108_3 Depth=1
	ds_load_b32 v24, v51 offset:4176
	s_wait_dscnt 0x0
	ds_store_b32 v52, v24 offset:5184
	ds_load_b32 v24, v51 offset:4180
	s_wait_dscnt 0x0
	ds_store_b32 v52, v24 offset:5440
	;; [unrolled: 3-line block ×4, first 2 shown]
.LBB108_367:                            ;   in Loop: Header=BB108_3 Depth=1
	s_or_b32 exec_lo, exec_lo, s47
	s_wait_dscnt 0x0
	s_barrier_signal -1
	s_barrier_wait -1
	s_and_saveexec_b32 s47, s15
	s_cbranch_execz .LBB108_369
; %bb.368:                              ;   in Loop: Header=BB108_3 Depth=1
	ds_load_b64 v[24:25], v5 offset:5200
	ds_load_b32 v26, v5 offset:5460
	s_wait_dscnt 0x0
	v_mul_f32_e32 v24, v24, v26
	s_delay_alu instid0(VALU_DEP_1)
	v_mul_f32_e32 v24, v25, v24
	v_add_nc_u32_e64 v25, 0x1400, 0
	ds_store_2addr_b32 v25, v24, v24 offset0:21 offset1:84
.LBB108_369:                            ;   in Loop: Header=BB108_3 Depth=1
	s_or_b32 exec_lo, exec_lo, s47
	v_mov_b32_e32 v24, 0
	s_wait_dscnt 0x0
	s_barrier_signal -1
	s_barrier_wait -1
	s_and_saveexec_b32 s47, s2
	s_cbranch_execz .LBB108_373
; %bb.370:                              ;   in Loop: Header=BB108_3 Depth=1
	ds_load_b32 v24, v65 offset:5208
	ds_load_b32 v25, v29 offset:5200
	s_wait_dscnt 0x0
	v_fma_f32 v24, v24, v25, 0
	s_and_saveexec_b32 s48, s16
	s_cbranch_execz .LBB108_372
; %bb.371:                              ;   in Loop: Header=BB108_3 Depth=1
	ds_load_b32 v25, v52 offset:5464
	ds_load_b32 v26, v5 offset:5204
	s_wait_dscnt 0x0
	v_fmac_f32_e32 v24, v25, v26
.LBB108_372:                            ;   in Loop: Header=BB108_3 Depth=1
	s_or_b32 exec_lo, exec_lo, s48
	s_delay_alu instid0(VALU_DEP_1)
	v_xor_b32_e32 v24, 0x80000000, v24
.LBB108_373:                            ;   in Loop: Header=BB108_3 Depth=1
	s_or_b32 exec_lo, exec_lo, s47
	s_and_saveexec_b32 s47, s91
	s_cbranch_execz .LBB108_375
; %bb.374:                              ;   in Loop: Header=BB108_3 Depth=1
	ds_load_b32 v25, v5 offset:5720
	s_wait_dscnt 0x0
	v_mul_f32_e32 v24, v24, v25
	ds_store_b32 v3, v24
.LBB108_375:                            ;   in Loop: Header=BB108_3 Depth=1
	s_or_b32 exec_lo, exec_lo, s47
	s_wait_dscnt 0x0
	s_barrier_signal -1
	s_barrier_wait -1
	s_and_saveexec_b32 s47, s92
	s_cbranch_execz .LBB108_377
; %bb.376:                              ;   in Loop: Header=BB108_3 Depth=1
	ds_load_b32 v25, v5 offset:5724
	ds_load_b32 v26, v3
	s_wait_dscnt 0x0
	v_fmac_f32_e32 v24, v25, v26
.LBB108_377:                            ;   in Loop: Header=BB108_3 Depth=1
	s_or_b32 exec_lo, exec_lo, s47
	s_barrier_signal -1
	s_barrier_wait -1
	s_and_saveexec_b32 s47, s92
	s_cbranch_execz .LBB108_379
; %bb.378:                              ;   in Loop: Header=BB108_3 Depth=1
	ds_load_b32 v25, v5 offset:5980
	s_wait_dscnt 0x0
	v_mul_f32_e32 v24, v24, v25
	ds_store_b32 v3, v24
.LBB108_379:                            ;   in Loop: Header=BB108_3 Depth=1
	s_or_b32 exec_lo, exec_lo, s47
	s_wait_dscnt 0x0
	s_barrier_signal -1
	s_barrier_wait -1
	s_barrier_signal -1
	s_barrier_wait -1
	s_and_saveexec_b32 s47, s2
; %bb.380:                              ;   in Loop: Header=BB108_3 Depth=1
	v_xor_b32_e32 v24, 0x80000000, v24
	ds_store_b32 v65, v24 offset:5208
; %bb.381:                              ;   in Loop: Header=BB108_3 Depth=1
	s_or_b32 exec_lo, exec_lo, s47
	s_wait_dscnt 0x0
	s_barrier_signal -1
	s_barrier_wait -1
	s_barrier_signal -1
	s_barrier_wait -1
	s_and_saveexec_b32 s47, s93
	s_cbranch_execz .LBB108_383
; %bb.382:                              ;   in Loop: Header=BB108_3 Depth=1
	ds_load_b32 v24, v53 offset:5208
	s_wait_dscnt 0x0
	ds_store_b32 v52, v24 offset:5712
	ds_load_b32 v24, v53 offset:5212
	s_wait_dscnt 0x0
	ds_store_b32 v52, v24 offset:5968
.LBB108_383:                            ;   in Loop: Header=BB108_3 Depth=1
	s_or_b32 exec_lo, exec_lo, s47
	s_wait_dscnt 0x0
	s_barrier_signal -1
	s_barrier_wait -1
	s_and_saveexec_b32 s47, s15
	s_cbranch_execz .LBB108_385
; %bb.384:                              ;   in Loop: Header=BB108_3 Depth=1
	ds_load_b64 v[24:25], v5 offset:5720
	ds_load_b32 v26, v5 offset:5980
	s_wait_dscnt 0x0
	v_mul_f32_e32 v24, v24, v26
	s_delay_alu instid0(VALU_DEP_1)
	v_mul_f32_e32 v24, v25, v24
	v_add_nc_u32_e64 v25, 0x1400, 0
	ds_store_2addr_b32 v25, v24, v24 offset0:151 offset1:214
.LBB108_385:                            ;   in Loop: Header=BB108_3 Depth=1
	s_or_b32 exec_lo, exec_lo, s47
	v_mov_b32_e32 v24, 0
	s_wait_dscnt 0x0
	s_barrier_signal -1
	s_barrier_wait -1
	s_and_saveexec_b32 s47, s5
	s_cbranch_execz .LBB108_395
; %bb.386:                              ;   in Loop: Header=BB108_3 Depth=1
	ds_load_b32 v24, v42 offset:4192
	ds_load_b32 v25, v39 offset:4160
	s_wait_dscnt 0x0
	v_fma_f32 v24, v24, v25, 0
	s_and_saveexec_b32 s48, s19
	s_cbranch_execnz .LBB108_1223
; %bb.387:                              ;   in Loop: Header=BB108_3 Depth=1
	s_or_b32 exec_lo, exec_lo, s48
	s_and_saveexec_b32 s48, s20
	s_cbranch_execnz .LBB108_1224
.LBB108_388:                            ;   in Loop: Header=BB108_3 Depth=1
	s_or_b32 exec_lo, exec_lo, s48
	s_and_saveexec_b32 s48, s21
	s_cbranch_execnz .LBB108_1225
.LBB108_389:                            ;   in Loop: Header=BB108_3 Depth=1
	s_or_b32 exec_lo, exec_lo, s48
	s_and_saveexec_b32 s48, s22
	s_cbranch_execnz .LBB108_1226
.LBB108_390:                            ;   in Loop: Header=BB108_3 Depth=1
	s_or_b32 exec_lo, exec_lo, s48
	s_and_saveexec_b32 s48, s23
	s_cbranch_execnz .LBB108_1227
.LBB108_391:                            ;   in Loop: Header=BB108_3 Depth=1
	s_or_b32 exec_lo, exec_lo, s48
	s_and_saveexec_b32 s48, s4
	s_cbranch_execnz .LBB108_1228
.LBB108_392:                            ;   in Loop: Header=BB108_3 Depth=1
	s_or_b32 exec_lo, exec_lo, s48
	s_and_saveexec_b32 s48, s18
	s_cbranch_execz .LBB108_394
.LBB108_393:                            ;   in Loop: Header=BB108_3 Depth=1
	ds_load_b32 v25, v54 offset:5984
	ds_load_b32 v26, v5 offset:4188
	s_wait_dscnt 0x0
	v_fmac_f32_e32 v24, v25, v26
.LBB108_394:                            ;   in Loop: Header=BB108_3 Depth=1
	s_or_b32 exec_lo, exec_lo, s48
	s_delay_alu instid0(VALU_DEP_1)
	v_xor_b32_e32 v24, 0x80000000, v24
.LBB108_395:                            ;   in Loop: Header=BB108_3 Depth=1
	s_or_b32 exec_lo, exec_lo, s47
	s_and_saveexec_b32 s47, s101
	s_cbranch_execz .LBB108_397
; %bb.396:                              ;   in Loop: Header=BB108_3 Depth=1
	ds_load_b32 v25, v5 offset:6240
	s_wait_dscnt 0x0
	v_mul_f32_e32 v24, v24, v25
	ds_store_b32 v41, v24
.LBB108_397:                            ;   in Loop: Header=BB108_3 Depth=1
	s_or_b32 exec_lo, exec_lo, s47
	s_wait_dscnt 0x0
	s_barrier_signal -1
	s_barrier_wait -1
	s_and_saveexec_b32 s47, s102
	s_cbranch_execz .LBB108_399
; %bb.398:                              ;   in Loop: Header=BB108_3 Depth=1
	ds_load_b32 v25, v40 offset:6240
	ds_load_b32 v26, v41
	s_wait_dscnt 0x0
	v_fmac_f32_e32 v24, v25, v26
.LBB108_399:                            ;   in Loop: Header=BB108_3 Depth=1
	s_or_b32 exec_lo, exec_lo, s47
	s_barrier_signal -1
	s_barrier_wait -1
	s_and_saveexec_b32 s47, s103
	s_cbranch_execz .LBB108_401
; %bb.400:                              ;   in Loop: Header=BB108_3 Depth=1
	ds_load_b32 v25, v5 offset:6500
	s_wait_dscnt 0x0
	v_mul_f32_e32 v24, v24, v25
	ds_store_b32 v41, v24
.LBB108_401:                            ;   in Loop: Header=BB108_3 Depth=1
	s_or_b32 exec_lo, exec_lo, s47
	s_wait_dscnt 0x0
	s_barrier_signal -1
	s_barrier_wait -1
	s_and_saveexec_b32 s47, s104
	s_cbranch_execz .LBB108_403
; %bb.402:                              ;   in Loop: Header=BB108_3 Depth=1
	ds_load_b32 v25, v40 offset:6496
	ds_load_b32 v26, v41
	s_wait_dscnt 0x0
	v_fmac_f32_e32 v24, v25, v26
.LBB108_403:                            ;   in Loop: Header=BB108_3 Depth=1
	s_or_b32 exec_lo, exec_lo, s47
	s_barrier_signal -1
	s_barrier_wait -1
	s_and_saveexec_b32 s47, vcc_hi
	s_cbranch_execz .LBB108_405
; %bb.404:                              ;   in Loop: Header=BB108_3 Depth=1
	ds_load_b32 v25, v5 offset:6760
	s_wait_dscnt 0x0
	v_mul_f32_e32 v24, v24, v25
	ds_store_b32 v41, v24
.LBB108_405:                            ;   in Loop: Header=BB108_3 Depth=1
	s_or_b32 exec_lo, exec_lo, s47
	s_wait_dscnt 0x0
	s_barrier_signal -1
	s_barrier_wait -1
	s_and_saveexec_b32 s47, s36
	s_cbranch_execz .LBB108_407
; %bb.406:                              ;   in Loop: Header=BB108_3 Depth=1
	ds_load_b32 v25, v40 offset:6752
	ds_load_b32 v26, v41
	s_wait_dscnt 0x0
	v_fmac_f32_e32 v24, v25, v26
.LBB108_407:                            ;   in Loop: Header=BB108_3 Depth=1
	s_or_b32 exec_lo, exec_lo, s47
	s_barrier_signal -1
	s_barrier_wait -1
	s_and_saveexec_b32 s47, s37
	s_cbranch_execz .LBB108_409
; %bb.408:                              ;   in Loop: Header=BB108_3 Depth=1
	ds_load_b32 v25, v5 offset:7020
	s_wait_dscnt 0x0
	v_mul_f32_e32 v24, v24, v25
	ds_store_b32 v41, v24
.LBB108_409:                            ;   in Loop: Header=BB108_3 Depth=1
	s_or_b32 exec_lo, exec_lo, s47
	s_wait_dscnt 0x0
	s_barrier_signal -1
	s_barrier_wait -1
	s_and_saveexec_b32 s47, s38
	s_cbranch_execz .LBB108_411
; %bb.410:                              ;   in Loop: Header=BB108_3 Depth=1
	ds_load_b32 v25, v40 offset:7008
	ds_load_b32 v26, v41
	s_wait_dscnt 0x0
	v_fmac_f32_e32 v24, v25, v26
.LBB108_411:                            ;   in Loop: Header=BB108_3 Depth=1
	s_or_b32 exec_lo, exec_lo, s47
	s_barrier_signal -1
	s_barrier_wait -1
	s_and_saveexec_b32 s47, s39
	;; [unrolled: 23-line block ×5, first 2 shown]
	s_cbranch_execz .LBB108_425
; %bb.424:                              ;   in Loop: Header=BB108_3 Depth=1
	ds_load_b32 v25, v5 offset:8060
	s_wait_dscnt 0x0
	v_mul_f32_e32 v24, v24, v25
	ds_store_b32 v41, v24
.LBB108_425:                            ;   in Loop: Header=BB108_3 Depth=1
	s_or_b32 exec_lo, exec_lo, s47
	s_wait_dscnt 0x0
	s_barrier_signal -1
	s_barrier_wait -1
	s_barrier_signal -1
	s_barrier_wait -1
	s_and_saveexec_b32 s47, s5
; %bb.426:                              ;   in Loop: Header=BB108_3 Depth=1
	v_xor_b32_e32 v24, 0x80000000, v24
	ds_store_b32 v42, v24 offset:4192
; %bb.427:                              ;   in Loop: Header=BB108_3 Depth=1
	s_or_b32 exec_lo, exec_lo, s47
	s_wait_dscnt 0x0
	s_barrier_signal -1
	s_barrier_wait -1
	s_barrier_signal -1
	s_barrier_wait -1
	s_and_saveexec_b32 s47, s45
	s_cbranch_execz .LBB108_429
; %bb.428:                              ;   in Loop: Header=BB108_3 Depth=1
	ds_load_b32 v24, v55 offset:4192
	s_wait_dscnt 0x0
	ds_store_b32 v56, v24 offset:6208
	ds_load_b32 v24, v55 offset:4196
	s_wait_dscnt 0x0
	ds_store_b32 v56, v24 offset:6464
	ds_load_b32 v24, v55 offset:4200
	s_wait_dscnt 0x0
	ds_store_b32 v56, v24 offset:6720
	ds_load_b32 v24, v55 offset:4204
	s_wait_dscnt 0x0
	ds_store_b32 v56, v24 offset:6976
	ds_load_b32 v24, v55 offset:4208
	s_wait_dscnt 0x0
	ds_store_b32 v56, v24 offset:7232
	ds_load_b32 v24, v55 offset:4212
	s_wait_dscnt 0x0
	ds_store_b32 v56, v24 offset:7488
	ds_load_b32 v24, v55 offset:4216
	s_wait_dscnt 0x0
	ds_store_b32 v56, v24 offset:7744
	ds_load_b32 v24, v55 offset:4220
	s_wait_dscnt 0x0
	ds_store_b32 v56, v24 offset:8000
.LBB108_429:                            ;   in Loop: Header=BB108_3 Depth=1
	s_or_b32 exec_lo, exec_lo, s47
	s_wait_dscnt 0x0
	s_barrier_signal -1
	s_barrier_wait -1
	s_and_saveexec_b32 s47, s15
	s_cbranch_execz .LBB108_431
; %bb.430:                              ;   in Loop: Header=BB108_3 Depth=1
	ds_load_b64 v[24:25], v5 offset:6240
	ds_load_b32 v26, v5 offset:6500
	s_wait_dscnt 0x0
	v_mul_f32_e32 v24, v24, v26
	s_delay_alu instid0(VALU_DEP_1)
	v_mul_f32_e32 v24, v25, v24
	v_add_nc_u32_e64 v25, 0x1800, 0
	ds_store_2addr_b32 v25, v24, v24 offset0:25 offset1:88
.LBB108_431:                            ;   in Loop: Header=BB108_3 Depth=1
	s_or_b32 exec_lo, exec_lo, s47
	v_mov_b32_e32 v24, 0
	s_wait_dscnt 0x0
	s_barrier_signal -1
	s_barrier_wait -1
	s_and_saveexec_b32 s47, s2
	s_cbranch_execz .LBB108_435
; %bb.432:                              ;   in Loop: Header=BB108_3 Depth=1
	ds_load_b32 v24, v65 offset:6248
	ds_load_b32 v25, v29 offset:6240
	s_wait_dscnt 0x0
	v_fma_f32 v24, v24, v25, 0
	s_and_saveexec_b32 s48, s16
	s_cbranch_execz .LBB108_434
; %bb.433:                              ;   in Loop: Header=BB108_3 Depth=1
	ds_load_b32 v25, v56 offset:6504
	ds_load_b32 v26, v5 offset:6244
	s_wait_dscnt 0x0
	v_fmac_f32_e32 v24, v25, v26
.LBB108_434:                            ;   in Loop: Header=BB108_3 Depth=1
	s_or_b32 exec_lo, exec_lo, s48
	s_delay_alu instid0(VALU_DEP_1)
	v_xor_b32_e32 v24, 0x80000000, v24
.LBB108_435:                            ;   in Loop: Header=BB108_3 Depth=1
	s_or_b32 exec_lo, exec_lo, s47
	s_and_saveexec_b32 s47, s91
	s_cbranch_execz .LBB108_437
; %bb.436:                              ;   in Loop: Header=BB108_3 Depth=1
	ds_load_b32 v25, v5 offset:6760
	s_wait_dscnt 0x0
	v_mul_f32_e32 v24, v24, v25
	ds_store_b32 v3, v24
.LBB108_437:                            ;   in Loop: Header=BB108_3 Depth=1
	s_or_b32 exec_lo, exec_lo, s47
	s_wait_dscnt 0x0
	s_barrier_signal -1
	s_barrier_wait -1
	s_and_saveexec_b32 s47, s92
	s_cbranch_execz .LBB108_439
; %bb.438:                              ;   in Loop: Header=BB108_3 Depth=1
	ds_load_b32 v25, v5 offset:6764
	ds_load_b32 v26, v3
	s_wait_dscnt 0x0
	v_fmac_f32_e32 v24, v25, v26
.LBB108_439:                            ;   in Loop: Header=BB108_3 Depth=1
	s_or_b32 exec_lo, exec_lo, s47
	s_barrier_signal -1
	s_barrier_wait -1
	s_and_saveexec_b32 s47, s92
	s_cbranch_execz .LBB108_441
; %bb.440:                              ;   in Loop: Header=BB108_3 Depth=1
	ds_load_b32 v25, v5 offset:7020
	s_wait_dscnt 0x0
	v_mul_f32_e32 v24, v24, v25
	ds_store_b32 v3, v24
.LBB108_441:                            ;   in Loop: Header=BB108_3 Depth=1
	s_or_b32 exec_lo, exec_lo, s47
	s_wait_dscnt 0x0
	s_barrier_signal -1
	s_barrier_wait -1
	s_barrier_signal -1
	s_barrier_wait -1
	s_and_saveexec_b32 s47, s2
; %bb.442:                              ;   in Loop: Header=BB108_3 Depth=1
	v_xor_b32_e32 v24, 0x80000000, v24
	ds_store_b32 v65, v24 offset:6248
; %bb.443:                              ;   in Loop: Header=BB108_3 Depth=1
	s_or_b32 exec_lo, exec_lo, s47
	s_wait_dscnt 0x0
	s_barrier_signal -1
	s_barrier_wait -1
	s_barrier_signal -1
	s_barrier_wait -1
	s_and_saveexec_b32 s47, s93
	s_cbranch_execz .LBB108_445
; %bb.444:                              ;   in Loop: Header=BB108_3 Depth=1
	ds_load_b32 v24, v57 offset:6248
	s_wait_dscnt 0x0
	ds_store_b32 v56, v24 offset:6752
	ds_load_b32 v24, v57 offset:6252
	s_wait_dscnt 0x0
	ds_store_b32 v56, v24 offset:7008
.LBB108_445:                            ;   in Loop: Header=BB108_3 Depth=1
	s_or_b32 exec_lo, exec_lo, s47
	s_wait_dscnt 0x0
	s_barrier_signal -1
	s_barrier_wait -1
	s_and_saveexec_b32 s47, s15
	s_cbranch_execz .LBB108_447
; %bb.446:                              ;   in Loop: Header=BB108_3 Depth=1
	ds_load_b64 v[24:25], v5 offset:6760
	ds_load_b32 v26, v5 offset:7020
	s_wait_dscnt 0x0
	v_mul_f32_e32 v24, v24, v26
	s_delay_alu instid0(VALU_DEP_1)
	v_mul_f32_e32 v24, v25, v24
	v_add_nc_u32_e64 v25, 0x1800, 0
	ds_store_2addr_b32 v25, v24, v24 offset0:155 offset1:218
.LBB108_447:                            ;   in Loop: Header=BB108_3 Depth=1
	s_or_b32 exec_lo, exec_lo, s47
	v_mov_b32_e32 v24, 0
	s_wait_dscnt 0x0
	s_barrier_signal -1
	s_barrier_wait -1
	s_and_saveexec_b32 s47, s4
	s_cbranch_execz .LBB108_453
; %bb.448:                              ;   in Loop: Header=BB108_3 Depth=1
	ds_load_b32 v24, v36 offset:6256
	ds_load_b32 v25, v31 offset:6240
	s_wait_dscnt 0x0
	v_fma_f32 v24, v24, v25, 0
	s_and_saveexec_b32 s48, s17
	s_cbranch_execnz .LBB108_1229
; %bb.449:                              ;   in Loop: Header=BB108_3 Depth=1
	s_or_b32 exec_lo, exec_lo, s48
	s_and_saveexec_b32 s48, s18
	s_cbranch_execnz .LBB108_1230
.LBB108_450:                            ;   in Loop: Header=BB108_3 Depth=1
	s_or_b32 exec_lo, exec_lo, s48
	s_and_saveexec_b32 s48, s2
	s_cbranch_execz .LBB108_452
.LBB108_451:                            ;   in Loop: Header=BB108_3 Depth=1
	ds_load_b32 v25, v58 offset:7024
	ds_load_b32 v26, v5 offset:6252
	s_wait_dscnt 0x0
	v_fmac_f32_e32 v24, v25, v26
.LBB108_452:                            ;   in Loop: Header=BB108_3 Depth=1
	s_or_b32 exec_lo, exec_lo, s48
	s_delay_alu instid0(VALU_DEP_1)
	v_xor_b32_e32 v24, 0x80000000, v24
.LBB108_453:                            ;   in Loop: Header=BB108_3 Depth=1
	s_or_b32 exec_lo, exec_lo, s47
	s_and_saveexec_b32 s47, s94
	s_cbranch_execz .LBB108_455
; %bb.454:                              ;   in Loop: Header=BB108_3 Depth=1
	ds_load_b32 v25, v5 offset:7280
	s_wait_dscnt 0x0
	v_mul_f32_e32 v24, v24, v25
	ds_store_b32 v35, v24
.LBB108_455:                            ;   in Loop: Header=BB108_3 Depth=1
	s_or_b32 exec_lo, exec_lo, s47
	s_wait_dscnt 0x0
	s_barrier_signal -1
	s_barrier_wait -1
	s_and_saveexec_b32 s47, s95
	s_cbranch_execz .LBB108_457
; %bb.456:                              ;   in Loop: Header=BB108_3 Depth=1
	ds_load_b32 v25, v33 offset:7280
	ds_load_b32 v26, v35
	s_wait_dscnt 0x0
	v_fmac_f32_e32 v24, v25, v26
.LBB108_457:                            ;   in Loop: Header=BB108_3 Depth=1
	s_or_b32 exec_lo, exec_lo, s47
	s_barrier_signal -1
	s_barrier_wait -1
	s_and_saveexec_b32 s47, s96
	s_cbranch_execz .LBB108_459
; %bb.458:                              ;   in Loop: Header=BB108_3 Depth=1
	ds_load_b32 v25, v5 offset:7540
	s_wait_dscnt 0x0
	v_mul_f32_e32 v24, v24, v25
	ds_store_b32 v35, v24
.LBB108_459:                            ;   in Loop: Header=BB108_3 Depth=1
	s_or_b32 exec_lo, exec_lo, s47
	s_wait_dscnt 0x0
	s_barrier_signal -1
	s_barrier_wait -1
	s_and_saveexec_b32 s47, s97
	s_cbranch_execz .LBB108_461
; %bb.460:                              ;   in Loop: Header=BB108_3 Depth=1
	ds_load_b32 v25, v33 offset:7536
	ds_load_b32 v26, v35
	s_wait_dscnt 0x0
	v_fmac_f32_e32 v24, v25, v26
.LBB108_461:                            ;   in Loop: Header=BB108_3 Depth=1
	s_or_b32 exec_lo, exec_lo, s47
	s_barrier_signal -1
	s_barrier_wait -1
	;; [unrolled: 23-line block ×3, first 2 shown]
	s_and_saveexec_b32 s47, s99
	s_cbranch_execz .LBB108_467
; %bb.466:                              ;   in Loop: Header=BB108_3 Depth=1
	ds_load_b32 v25, v5 offset:8060
	s_wait_dscnt 0x0
	v_mul_f32_e32 v24, v24, v25
	ds_store_b32 v35, v24
.LBB108_467:                            ;   in Loop: Header=BB108_3 Depth=1
	s_or_b32 exec_lo, exec_lo, s47
	s_wait_dscnt 0x0
	s_barrier_signal -1
	s_barrier_wait -1
	s_barrier_signal -1
	s_barrier_wait -1
	s_and_saveexec_b32 s47, s4
; %bb.468:                              ;   in Loop: Header=BB108_3 Depth=1
	v_xor_b32_e32 v24, 0x80000000, v24
	ds_store_b32 v36, v24 offset:6256
; %bb.469:                              ;   in Loop: Header=BB108_3 Depth=1
	s_or_b32 exec_lo, exec_lo, s47
	s_wait_dscnt 0x0
	s_barrier_signal -1
	s_barrier_wait -1
	s_barrier_signal -1
	s_barrier_wait -1
	s_and_saveexec_b32 s47, s100
	s_cbranch_execz .LBB108_471
; %bb.470:                              ;   in Loop: Header=BB108_3 Depth=1
	ds_load_b32 v24, v59 offset:6256
	s_wait_dscnt 0x0
	ds_store_b32 v60, v24 offset:7264
	ds_load_b32 v24, v59 offset:6260
	s_wait_dscnt 0x0
	ds_store_b32 v60, v24 offset:7520
	;; [unrolled: 3-line block ×4, first 2 shown]
.LBB108_471:                            ;   in Loop: Header=BB108_3 Depth=1
	s_or_b32 exec_lo, exec_lo, s47
	s_wait_dscnt 0x0
	s_barrier_signal -1
	s_barrier_wait -1
	s_and_saveexec_b32 s47, s15
	s_cbranch_execz .LBB108_473
; %bb.472:                              ;   in Loop: Header=BB108_3 Depth=1
	ds_load_b64 v[24:25], v5 offset:7280
	ds_load_b32 v26, v5 offset:7540
	s_wait_dscnt 0x0
	v_mul_f32_e32 v24, v24, v26
	s_delay_alu instid0(VALU_DEP_1)
	v_mul_f32_e32 v24, v25, v24
	v_add_nc_u32_e64 v25, 0x1c00, 0
	ds_store_2addr_b32 v25, v24, v24 offset0:29 offset1:92
.LBB108_473:                            ;   in Loop: Header=BB108_3 Depth=1
	s_or_b32 exec_lo, exec_lo, s47
	v_mov_b32_e32 v24, 0
	s_wait_dscnt 0x0
	s_barrier_signal -1
	s_barrier_wait -1
	s_and_saveexec_b32 s47, s2
	s_cbranch_execz .LBB108_477
; %bb.474:                              ;   in Loop: Header=BB108_3 Depth=1
	ds_load_b32 v24, v65 offset:7288
	ds_load_b32 v25, v29 offset:7280
	s_wait_dscnt 0x0
	v_fma_f32 v24, v24, v25, 0
	s_and_saveexec_b32 s48, s16
	s_cbranch_execz .LBB108_476
; %bb.475:                              ;   in Loop: Header=BB108_3 Depth=1
	ds_load_b32 v25, v60 offset:7544
	ds_load_b32 v26, v5 offset:7284
	s_wait_dscnt 0x0
	v_fmac_f32_e32 v24, v25, v26
.LBB108_476:                            ;   in Loop: Header=BB108_3 Depth=1
	s_or_b32 exec_lo, exec_lo, s48
	s_delay_alu instid0(VALU_DEP_1)
	v_xor_b32_e32 v24, 0x80000000, v24
.LBB108_477:                            ;   in Loop: Header=BB108_3 Depth=1
	s_or_b32 exec_lo, exec_lo, s47
	s_and_saveexec_b32 s47, s91
	s_cbranch_execz .LBB108_479
; %bb.478:                              ;   in Loop: Header=BB108_3 Depth=1
	ds_load_b32 v25, v5 offset:7800
	s_wait_dscnt 0x0
	v_mul_f32_e32 v24, v24, v25
	ds_store_b32 v3, v24
.LBB108_479:                            ;   in Loop: Header=BB108_3 Depth=1
	s_or_b32 exec_lo, exec_lo, s47
	s_wait_dscnt 0x0
	s_barrier_signal -1
	s_barrier_wait -1
	s_and_saveexec_b32 s47, s92
	s_cbranch_execz .LBB108_481
; %bb.480:                              ;   in Loop: Header=BB108_3 Depth=1
	ds_load_b32 v25, v5 offset:7804
	ds_load_b32 v26, v3
	s_wait_dscnt 0x0
	v_fmac_f32_e32 v24, v25, v26
.LBB108_481:                            ;   in Loop: Header=BB108_3 Depth=1
	s_or_b32 exec_lo, exec_lo, s47
	s_barrier_signal -1
	s_barrier_wait -1
	s_and_saveexec_b32 s47, s92
	s_cbranch_execz .LBB108_483
; %bb.482:                              ;   in Loop: Header=BB108_3 Depth=1
	ds_load_b32 v25, v5 offset:8060
	s_wait_dscnt 0x0
	v_mul_f32_e32 v24, v24, v25
	ds_store_b32 v3, v24
.LBB108_483:                            ;   in Loop: Header=BB108_3 Depth=1
	s_or_b32 exec_lo, exec_lo, s47
	s_wait_dscnt 0x0
	s_barrier_signal -1
	s_barrier_wait -1
	s_barrier_signal -1
	s_barrier_wait -1
	s_and_saveexec_b32 s47, s2
; %bb.484:                              ;   in Loop: Header=BB108_3 Depth=1
	v_xor_b32_e32 v24, 0x80000000, v24
	ds_store_b32 v65, v24 offset:7288
; %bb.485:                              ;   in Loop: Header=BB108_3 Depth=1
	s_or_b32 exec_lo, exec_lo, s47
	s_wait_dscnt 0x0
	s_barrier_signal -1
	s_barrier_wait -1
	s_barrier_signal -1
	s_barrier_wait -1
	s_and_saveexec_b32 s47, s93
	s_cbranch_execz .LBB108_487
; %bb.486:                              ;   in Loop: Header=BB108_3 Depth=1
	ds_load_b32 v24, v61 offset:7288
	s_wait_dscnt 0x0
	ds_store_b32 v60, v24 offset:7792
	ds_load_b32 v24, v61 offset:7292
	s_wait_dscnt 0x0
	ds_store_b32 v60, v24 offset:8048
.LBB108_487:                            ;   in Loop: Header=BB108_3 Depth=1
	s_or_b32 exec_lo, exec_lo, s47
	s_wait_dscnt 0x0
	s_barrier_signal -1
	s_barrier_wait -1
	s_and_saveexec_b32 s47, s15
	s_cbranch_execz .LBB108_489
; %bb.488:                              ;   in Loop: Header=BB108_3 Depth=1
	ds_load_b64 v[24:25], v5 offset:7800
	ds_load_b32 v26, v5 offset:8060
	s_wait_dscnt 0x0
	v_mul_f32_e32 v24, v24, v26
	s_delay_alu instid0(VALU_DEP_1)
	v_mul_f32_e32 v24, v25, v24
	v_add_nc_u32_e64 v25, 0x1c00, 0
	ds_store_2addr_b32 v25, v24, v24 offset0:159 offset1:222
.LBB108_489:                            ;   in Loop: Header=BB108_3 Depth=1
	s_or_b32 exec_lo, exec_lo, s47
	v_mov_b32_e32 v24, 0
	s_wait_dscnt 0x0
	s_barrier_signal -1
	s_barrier_wait -1
	s_and_saveexec_b32 s84, s7
	s_cbranch_execz .LBB108_551
; %bb.490:                              ;   in Loop: Header=BB108_3 Depth=1
	v_add_nc_u32_e32 v25, v50, v49
	ds_load_b32 v24, v64 offset:128
	ds_load_b32 v26, v25
	s_wait_dscnt 0x0
	v_fma_f32 v24, v24, v26, 0
	s_mov_b32 s47, exec_lo
	v_readlane_b32 s48, v90, 3
	s_and_b32 s48, s47, s48
	s_delay_alu instid0(SALU_CYCLE_1)
	s_mov_b32 exec_lo, s48
	s_cbranch_execz .LBB108_492
; %bb.491:                              ;   in Loop: Header=BB108_3 Depth=1
	ds_load_b32 v26, v64 offset:384
	ds_load_b32 v27, v25 offset:4
	s_wait_dscnt 0x0
	v_fmac_f32_e32 v24, v26, v27
.LBB108_492:                            ;   in Loop: Header=BB108_3 Depth=1
	s_or_b32 exec_lo, exec_lo, s47
	s_delay_alu instid0(SALU_CYCLE_1) | instskip(SKIP_2) | instid1(SALU_CYCLE_1)
	s_mov_b32 s47, exec_lo
	v_readlane_b32 s48, v90, 4
	s_and_b32 s48, s47, s48
	s_mov_b32 exec_lo, s48
	s_cbranch_execz .LBB108_494
; %bb.493:                              ;   in Loop: Header=BB108_3 Depth=1
	ds_load_b32 v26, v64 offset:640
	ds_load_b32 v27, v25 offset:8
	s_wait_dscnt 0x0
	v_fmac_f32_e32 v24, v26, v27
.LBB108_494:                            ;   in Loop: Header=BB108_3 Depth=1
	s_or_b32 exec_lo, exec_lo, s47
	s_delay_alu instid0(SALU_CYCLE_1) | instskip(SKIP_2) | instid1(SALU_CYCLE_1)
	s_mov_b32 s47, exec_lo
	v_readlane_b32 s48, v90, 5
	s_and_b32 s48, s47, s48
	;; [unrolled: 13-line block ×22, first 2 shown]
	s_mov_b32 exec_lo, s48
	s_cbranch_execz .LBB108_536
; %bb.535:                              ;   in Loop: Header=BB108_3 Depth=1
	ds_load_b32 v26, v64 offset:6016
	ds_load_b32 v27, v25 offset:92
	s_wait_dscnt 0x0
	v_fmac_f32_e32 v24, v26, v27
.LBB108_536:                            ;   in Loop: Header=BB108_3 Depth=1
	s_or_b32 exec_lo, exec_lo, s47
	s_and_saveexec_b32 s47, s6
	s_cbranch_execz .LBB108_538
; %bb.537:                              ;   in Loop: Header=BB108_3 Depth=1
	ds_load_b32 v26, v64 offset:6272
	ds_load_b32 v27, v25 offset:96
	s_wait_dscnt 0x0
	v_fmac_f32_e32 v24, v26, v27
.LBB108_538:                            ;   in Loop: Header=BB108_3 Depth=1
	s_or_b32 exec_lo, exec_lo, s47
	s_delay_alu instid0(SALU_CYCLE_1) | instskip(SKIP_2) | instid1(SALU_CYCLE_1)
	s_mov_b32 s47, exec_lo
	v_readlane_b32 s48, v91, 25
	s_and_b32 s48, s47, s48
	s_mov_b32 exec_lo, s48
	s_cbranch_execz .LBB108_540
; %bb.539:                              ;   in Loop: Header=BB108_3 Depth=1
	ds_load_b32 v26, v64 offset:6528
	ds_load_b32 v27, v25 offset:100
	s_wait_dscnt 0x0
	v_fmac_f32_e32 v24, v26, v27
.LBB108_540:                            ;   in Loop: Header=BB108_3 Depth=1
	s_or_b32 exec_lo, exec_lo, s47
	s_delay_alu instid0(SALU_CYCLE_1) | instskip(SKIP_2) | instid1(SALU_CYCLE_1)
	s_mov_b32 s47, exec_lo
	v_readlane_b32 s48, v91, 27
	s_and_b32 s48, s47, s48
	s_mov_b32 exec_lo, s48
	;; [unrolled: 13-line block ×5, first 2 shown]
	s_cbranch_execnz .LBB108_1231
; %bb.547:                              ;   in Loop: Header=BB108_3 Depth=1
	s_or_b32 exec_lo, exec_lo, s47
	s_and_saveexec_b32 s47, s5
	s_cbranch_execnz .LBB108_1232
.LBB108_548:                            ;   in Loop: Header=BB108_3 Depth=1
	s_or_b32 exec_lo, exec_lo, s47
	s_and_saveexec_b32 s47, s22
	s_cbranch_execz .LBB108_550
.LBB108_549:                            ;   in Loop: Header=BB108_3 Depth=1
	ds_load_b32 v25, v30 offset:8064
	ds_load_b32 v26, v5 offset:124
	s_wait_dscnt 0x0
	v_fmac_f32_e32 v24, v25, v26
.LBB108_550:                            ;   in Loop: Header=BB108_3 Depth=1
	s_or_b32 exec_lo, exec_lo, s47
	s_delay_alu instid0(VALU_DEP_1)
	v_xor_b32_e32 v24, 0x80000000, v24
.LBB108_551:                            ;   in Loop: Header=BB108_3 Depth=1
	s_or_b32 exec_lo, exec_lo, s84
	s_delay_alu instid0(SALU_CYCLE_1) | instskip(SKIP_2) | instid1(SALU_CYCLE_1)
	s_mov_b32 s47, exec_lo
	v_readlane_b32 s48, v93, 8
	s_and_b32 s48, s47, s48
	s_mov_b32 exec_lo, s48
	s_cbranch_execz .LBB108_553
; %bb.552:                              ;   in Loop: Header=BB108_3 Depth=1
	ds_load_b32 v25, v5 offset:8320
	s_wait_dscnt 0x0
	v_mul_f32_e32 v24, v24, v25
	ds_store_b32 v62, v24
.LBB108_553:                            ;   in Loop: Header=BB108_3 Depth=1
	s_or_b32 exec_lo, exec_lo, s47
	s_wait_dscnt 0x0
	s_barrier_signal -1
	s_barrier_wait -1
	s_mov_b32 s47, exec_lo
	v_readlane_b32 s48, v93, 9
	s_and_b32 s48, s47, s48
	s_delay_alu instid0(SALU_CYCLE_1)
	s_mov_b32 exec_lo, s48
	s_cbranch_execz .LBB108_555
; %bb.554:                              ;   in Loop: Header=BB108_3 Depth=1
	ds_load_b32 v25, v63 offset:8320
	ds_load_b32 v26, v62
	s_wait_dscnt 0x0
	v_fmac_f32_e32 v24, v25, v26
.LBB108_555:                            ;   in Loop: Header=BB108_3 Depth=1
	s_or_b32 exec_lo, exec_lo, s47
	s_barrier_signal -1
	s_barrier_wait -1
	s_mov_b32 s47, exec_lo
	v_readlane_b32 s48, v93, 10
	s_and_b32 s48, s47, s48
	s_delay_alu instid0(SALU_CYCLE_1)
	s_mov_b32 exec_lo, s48
	s_cbranch_execz .LBB108_557
; %bb.556:                              ;   in Loop: Header=BB108_3 Depth=1
	ds_load_b32 v25, v5 offset:8580
	s_wait_dscnt 0x0
	v_mul_f32_e32 v24, v24, v25
	ds_store_b32 v62, v24
.LBB108_557:                            ;   in Loop: Header=BB108_3 Depth=1
	s_or_b32 exec_lo, exec_lo, s47
	s_wait_dscnt 0x0
	s_barrier_signal -1
	s_barrier_wait -1
	s_mov_b32 s47, exec_lo
	v_readlane_b32 s48, v93, 11
	s_and_b32 s48, s47, s48
	s_delay_alu instid0(SALU_CYCLE_1)
	s_mov_b32 exec_lo, s48
	s_cbranch_execz .LBB108_559
; %bb.558:                              ;   in Loop: Header=BB108_3 Depth=1
	ds_load_b32 v25, v63 offset:8576
	ds_load_b32 v26, v62
	s_wait_dscnt 0x0
	v_fmac_f32_e32 v24, v25, v26
.LBB108_559:                            ;   in Loop: Header=BB108_3 Depth=1
	s_or_b32 exec_lo, exec_lo, s47
	s_barrier_signal -1
	s_barrier_wait -1
	s_mov_b32 s47, exec_lo
	v_readlane_b32 s48, v93, 12
	s_and_b32 s48, s47, s48
	s_delay_alu instid0(SALU_CYCLE_1)
	;; [unrolled: 31-line block ×30, first 2 shown]
	s_mov_b32 exec_lo, s48
	s_cbranch_execz .LBB108_673
; %bb.672:                              ;   in Loop: Header=BB108_3 Depth=1
	ds_load_b32 v25, v5 offset:16120
	s_wait_dscnt 0x0
	v_mul_f32_e32 v24, v24, v25
	ds_store_b32 v62, v24
.LBB108_673:                            ;   in Loop: Header=BB108_3 Depth=1
	s_or_b32 exec_lo, exec_lo, s47
	s_wait_dscnt 0x0
	s_barrier_signal -1
	s_barrier_wait -1
	s_and_saveexec_b32 s47, s14
	s_cbranch_execz .LBB108_675
; %bb.674:                              ;   in Loop: Header=BB108_3 Depth=1
	ds_load_b32 v25, v5 offset:16124
	ds_load_b32 v26, v62
	s_wait_dscnt 0x0
	v_fmac_f32_e32 v24, v25, v26
.LBB108_675:                            ;   in Loop: Header=BB108_3 Depth=1
	s_or_b32 exec_lo, exec_lo, s47
	s_barrier_signal -1
	s_barrier_wait -1
	s_and_saveexec_b32 s47, s14
	s_cbranch_execz .LBB108_677
; %bb.676:                              ;   in Loop: Header=BB108_3 Depth=1
	ds_load_b32 v25, v5 offset:16380
	s_wait_dscnt 0x0
	v_mul_f32_e32 v24, v24, v25
	ds_store_b32 v62, v24
.LBB108_677:                            ;   in Loop: Header=BB108_3 Depth=1
	s_or_b32 exec_lo, exec_lo, s47
	s_wait_dscnt 0x0
	s_barrier_signal -1
	s_barrier_wait -1
	s_barrier_signal -1
	s_barrier_wait -1
	s_and_saveexec_b32 s47, s7
; %bb.678:                              ;   in Loop: Header=BB108_3 Depth=1
	v_xor_b32_e32 v24, 0x80000000, v24
	ds_store_b32 v64, v24 offset:128
; %bb.679:                              ;   in Loop: Header=BB108_3 Depth=1
	s_or_b32 exec_lo, exec_lo, s47
	s_wait_dscnt 0x0
	s_barrier_signal -1
	s_barrier_wait -1
	s_barrier_signal -1
	s_barrier_wait -1
	s_mov_b32 s47, exec_lo
	v_readlane_b32 s48, v91, 5
	s_and_b32 s48, s47, s48
	s_delay_alu instid0(SALU_CYCLE_1)
	s_mov_b32 exec_lo, s48
	s_cbranch_execz .LBB108_681
; %bb.680:                              ;   in Loop: Header=BB108_3 Depth=1
	ds_load_b32 v24, v32 offset:128
	s_wait_dscnt 0x0
	ds_store_b32 v66, v24 offset:8192
	ds_load_b32 v24, v32 offset:132
	s_wait_dscnt 0x0
	ds_store_b32 v66, v24 offset:8448
	;; [unrolled: 3-line block ×32, first 2 shown]
.LBB108_681:                            ;   in Loop: Header=BB108_3 Depth=1
	s_or_b32 exec_lo, exec_lo, s47
	s_wait_dscnt 0x0
	s_barrier_signal -1
	s_barrier_wait -1
	s_and_saveexec_b32 s47, s15
	s_cbranch_execz .LBB108_683
; %bb.682:                              ;   in Loop: Header=BB108_3 Depth=1
	ds_load_b64 v[24:25], v5 offset:8320
	ds_load_b32 v26, v5 offset:8580
	s_wait_dscnt 0x0
	v_mul_f32_e32 v24, v24, v26
	s_delay_alu instid0(VALU_DEP_1)
	v_mul_f32_e32 v24, v25, v24
	v_add_nc_u32_e64 v25, 0x2000, 0
	ds_store_2addr_b32 v25, v24, v24 offset0:33 offset1:96
.LBB108_683:                            ;   in Loop: Header=BB108_3 Depth=1
	s_or_b32 exec_lo, exec_lo, s47
	v_mov_b32_e32 v24, 0
	s_wait_dscnt 0x0
	s_barrier_signal -1
	s_barrier_wait -1
	s_and_saveexec_b32 s47, s2
	s_cbranch_execz .LBB108_687
; %bb.684:                              ;   in Loop: Header=BB108_3 Depth=1
	ds_load_b32 v24, v65 offset:8328
	ds_load_b32 v25, v29 offset:8320
	s_wait_dscnt 0x0
	v_fma_f32 v24, v24, v25, 0
	s_and_saveexec_b32 s48, s16
	s_cbranch_execz .LBB108_686
; %bb.685:                              ;   in Loop: Header=BB108_3 Depth=1
	ds_load_b32 v25, v30 offset:8584
	ds_load_b32 v26, v5 offset:8324
	s_wait_dscnt 0x0
	v_fmac_f32_e32 v24, v25, v26
.LBB108_686:                            ;   in Loop: Header=BB108_3 Depth=1
	s_or_b32 exec_lo, exec_lo, s48
	s_delay_alu instid0(VALU_DEP_1)
	v_xor_b32_e32 v24, 0x80000000, v24
.LBB108_687:                            ;   in Loop: Header=BB108_3 Depth=1
	s_or_b32 exec_lo, exec_lo, s47
	s_and_saveexec_b32 s47, s91
	s_cbranch_execz .LBB108_689
; %bb.688:                              ;   in Loop: Header=BB108_3 Depth=1
	ds_load_b32 v25, v5 offset:8840
	s_wait_dscnt 0x0
	v_mul_f32_e32 v24, v24, v25
	ds_store_b32 v3, v24
.LBB108_689:                            ;   in Loop: Header=BB108_3 Depth=1
	s_or_b32 exec_lo, exec_lo, s47
	s_wait_dscnt 0x0
	s_barrier_signal -1
	s_barrier_wait -1
	s_and_saveexec_b32 s47, s92
	s_cbranch_execz .LBB108_691
; %bb.690:                              ;   in Loop: Header=BB108_3 Depth=1
	ds_load_b32 v25, v5 offset:8844
	ds_load_b32 v26, v3
	s_wait_dscnt 0x0
	v_fmac_f32_e32 v24, v25, v26
.LBB108_691:                            ;   in Loop: Header=BB108_3 Depth=1
	s_or_b32 exec_lo, exec_lo, s47
	s_barrier_signal -1
	s_barrier_wait -1
	s_and_saveexec_b32 s47, s92
	s_cbranch_execz .LBB108_693
; %bb.692:                              ;   in Loop: Header=BB108_3 Depth=1
	ds_load_b32 v25, v5 offset:9100
	s_wait_dscnt 0x0
	v_mul_f32_e32 v24, v24, v25
	ds_store_b32 v3, v24
.LBB108_693:                            ;   in Loop: Header=BB108_3 Depth=1
	s_or_b32 exec_lo, exec_lo, s47
	s_wait_dscnt 0x0
	s_barrier_signal -1
	s_barrier_wait -1
	s_barrier_signal -1
	s_barrier_wait -1
	s_and_saveexec_b32 s47, s2
; %bb.694:                              ;   in Loop: Header=BB108_3 Depth=1
	v_xor_b32_e32 v24, 0x80000000, v24
	ds_store_b32 v65, v24 offset:8328
; %bb.695:                              ;   in Loop: Header=BB108_3 Depth=1
	s_or_b32 exec_lo, exec_lo, s47
	s_wait_dscnt 0x0
	s_barrier_signal -1
	s_barrier_wait -1
	s_barrier_signal -1
	s_barrier_wait -1
	s_and_saveexec_b32 s47, s93
	s_cbranch_execz .LBB108_697
; %bb.696:                              ;   in Loop: Header=BB108_3 Depth=1
	ds_load_b32 v24, v34 offset:8328
	s_wait_dscnt 0x0
	ds_store_b32 v30, v24 offset:8832
	ds_load_b32 v24, v34 offset:8332
	s_wait_dscnt 0x0
	ds_store_b32 v30, v24 offset:9088
.LBB108_697:                            ;   in Loop: Header=BB108_3 Depth=1
	s_or_b32 exec_lo, exec_lo, s47
	s_wait_dscnt 0x0
	s_barrier_signal -1
	s_barrier_wait -1
	s_and_saveexec_b32 s47, s15
	s_cbranch_execz .LBB108_699
; %bb.698:                              ;   in Loop: Header=BB108_3 Depth=1
	ds_load_b64 v[24:25], v5 offset:8840
	ds_load_b32 v26, v5 offset:9100
	s_wait_dscnt 0x0
	v_mul_f32_e32 v24, v24, v26
	s_delay_alu instid0(VALU_DEP_1)
	v_mul_f32_e32 v24, v25, v24
	v_add_nc_u32_e64 v25, 0x2000, 0
	ds_store_2addr_b32 v25, v24, v24 offset0:163 offset1:226
.LBB108_699:                            ;   in Loop: Header=BB108_3 Depth=1
	s_or_b32 exec_lo, exec_lo, s47
	v_mov_b32_e32 v24, 0
	s_wait_dscnt 0x0
	s_barrier_signal -1
	s_barrier_wait -1
	s_and_saveexec_b32 s47, s4
	s_cbranch_execz .LBB108_705
; %bb.700:                              ;   in Loop: Header=BB108_3 Depth=1
	ds_load_b32 v24, v36 offset:8336
	ds_load_b32 v25, v31 offset:8320
	s_wait_dscnt 0x0
	v_fma_f32 v24, v24, v25, 0
	s_and_saveexec_b32 s48, s17
	s_cbranch_execnz .LBB108_1233
; %bb.701:                              ;   in Loop: Header=BB108_3 Depth=1
	s_or_b32 exec_lo, exec_lo, s48
	s_and_saveexec_b32 s48, s18
	s_cbranch_execnz .LBB108_1234
.LBB108_702:                            ;   in Loop: Header=BB108_3 Depth=1
	s_or_b32 exec_lo, exec_lo, s48
	s_and_saveexec_b32 s48, s2
	s_cbranch_execz .LBB108_704
.LBB108_703:                            ;   in Loop: Header=BB108_3 Depth=1
	ds_load_b32 v25, v38 offset:9104
	ds_load_b32 v26, v5 offset:8332
	s_wait_dscnt 0x0
	v_fmac_f32_e32 v24, v25, v26
.LBB108_704:                            ;   in Loop: Header=BB108_3 Depth=1
	s_or_b32 exec_lo, exec_lo, s48
	s_delay_alu instid0(VALU_DEP_1)
	v_xor_b32_e32 v24, 0x80000000, v24
.LBB108_705:                            ;   in Loop: Header=BB108_3 Depth=1
	s_or_b32 exec_lo, exec_lo, s47
	s_and_saveexec_b32 s47, s94
	s_cbranch_execz .LBB108_707
; %bb.706:                              ;   in Loop: Header=BB108_3 Depth=1
	ds_load_b32 v25, v5 offset:9360
	s_wait_dscnt 0x0
	v_mul_f32_e32 v24, v24, v25
	ds_store_b32 v35, v24
.LBB108_707:                            ;   in Loop: Header=BB108_3 Depth=1
	s_or_b32 exec_lo, exec_lo, s47
	s_wait_dscnt 0x0
	s_barrier_signal -1
	s_barrier_wait -1
	s_and_saveexec_b32 s47, s95
	s_cbranch_execz .LBB108_709
; %bb.708:                              ;   in Loop: Header=BB108_3 Depth=1
	ds_load_b32 v25, v33 offset:9360
	ds_load_b32 v26, v35
	s_wait_dscnt 0x0
	v_fmac_f32_e32 v24, v25, v26
.LBB108_709:                            ;   in Loop: Header=BB108_3 Depth=1
	s_or_b32 exec_lo, exec_lo, s47
	s_barrier_signal -1
	s_barrier_wait -1
	s_and_saveexec_b32 s47, s96
	s_cbranch_execz .LBB108_711
; %bb.710:                              ;   in Loop: Header=BB108_3 Depth=1
	ds_load_b32 v25, v5 offset:9620
	s_wait_dscnt 0x0
	v_mul_f32_e32 v24, v24, v25
	ds_store_b32 v35, v24
.LBB108_711:                            ;   in Loop: Header=BB108_3 Depth=1
	s_or_b32 exec_lo, exec_lo, s47
	s_wait_dscnt 0x0
	s_barrier_signal -1
	s_barrier_wait -1
	s_and_saveexec_b32 s47, s97
	s_cbranch_execz .LBB108_713
; %bb.712:                              ;   in Loop: Header=BB108_3 Depth=1
	ds_load_b32 v25, v33 offset:9616
	ds_load_b32 v26, v35
	s_wait_dscnt 0x0
	v_fmac_f32_e32 v24, v25, v26
.LBB108_713:                            ;   in Loop: Header=BB108_3 Depth=1
	s_or_b32 exec_lo, exec_lo, s47
	s_barrier_signal -1
	s_barrier_wait -1
	;; [unrolled: 23-line block ×3, first 2 shown]
	s_and_saveexec_b32 s47, s99
	s_cbranch_execz .LBB108_719
; %bb.718:                              ;   in Loop: Header=BB108_3 Depth=1
	ds_load_b32 v25, v5 offset:10140
	s_wait_dscnt 0x0
	v_mul_f32_e32 v24, v24, v25
	ds_store_b32 v35, v24
.LBB108_719:                            ;   in Loop: Header=BB108_3 Depth=1
	s_or_b32 exec_lo, exec_lo, s47
	s_wait_dscnt 0x0
	s_barrier_signal -1
	s_barrier_wait -1
	s_barrier_signal -1
	s_barrier_wait -1
	s_and_saveexec_b32 s47, s4
; %bb.720:                              ;   in Loop: Header=BB108_3 Depth=1
	v_xor_b32_e32 v24, 0x80000000, v24
	ds_store_b32 v36, v24 offset:8336
; %bb.721:                              ;   in Loop: Header=BB108_3 Depth=1
	s_or_b32 exec_lo, exec_lo, s47
	s_wait_dscnt 0x0
	s_barrier_signal -1
	s_barrier_wait -1
	s_barrier_signal -1
	s_barrier_wait -1
	s_and_saveexec_b32 s47, s100
	s_cbranch_execz .LBB108_723
; %bb.722:                              ;   in Loop: Header=BB108_3 Depth=1
	ds_load_b32 v24, v51 offset:8336
	s_wait_dscnt 0x0
	ds_store_b32 v52, v24 offset:9344
	ds_load_b32 v24, v51 offset:8340
	s_wait_dscnt 0x0
	ds_store_b32 v52, v24 offset:9600
	;; [unrolled: 3-line block ×4, first 2 shown]
.LBB108_723:                            ;   in Loop: Header=BB108_3 Depth=1
	s_or_b32 exec_lo, exec_lo, s47
	s_wait_dscnt 0x0
	s_barrier_signal -1
	s_barrier_wait -1
	s_and_saveexec_b32 s47, s15
	s_cbranch_execz .LBB108_725
; %bb.724:                              ;   in Loop: Header=BB108_3 Depth=1
	ds_load_b64 v[24:25], v5 offset:9360
	ds_load_b32 v26, v5 offset:9620
	s_wait_dscnt 0x0
	v_mul_f32_e32 v24, v24, v26
	s_delay_alu instid0(VALU_DEP_1)
	v_mul_f32_e32 v24, v25, v24
	v_add_nc_u32_e64 v25, 0x2400, 0
	ds_store_2addr_b32 v25, v24, v24 offset0:37 offset1:100
.LBB108_725:                            ;   in Loop: Header=BB108_3 Depth=1
	s_or_b32 exec_lo, exec_lo, s47
	v_mov_b32_e32 v24, 0
	s_wait_dscnt 0x0
	s_barrier_signal -1
	s_barrier_wait -1
	s_and_saveexec_b32 s47, s2
	s_cbranch_execz .LBB108_729
; %bb.726:                              ;   in Loop: Header=BB108_3 Depth=1
	ds_load_b32 v24, v65 offset:9368
	ds_load_b32 v25, v29 offset:9360
	s_wait_dscnt 0x0
	v_fma_f32 v24, v24, v25, 0
	s_and_saveexec_b32 s48, s16
	s_cbranch_execz .LBB108_728
; %bb.727:                              ;   in Loop: Header=BB108_3 Depth=1
	ds_load_b32 v25, v52 offset:9624
	ds_load_b32 v26, v5 offset:9364
	s_wait_dscnt 0x0
	v_fmac_f32_e32 v24, v25, v26
.LBB108_728:                            ;   in Loop: Header=BB108_3 Depth=1
	s_or_b32 exec_lo, exec_lo, s48
	s_delay_alu instid0(VALU_DEP_1)
	v_xor_b32_e32 v24, 0x80000000, v24
.LBB108_729:                            ;   in Loop: Header=BB108_3 Depth=1
	s_or_b32 exec_lo, exec_lo, s47
	s_and_saveexec_b32 s47, s91
	s_cbranch_execz .LBB108_731
; %bb.730:                              ;   in Loop: Header=BB108_3 Depth=1
	ds_load_b32 v25, v5 offset:9880
	s_wait_dscnt 0x0
	v_mul_f32_e32 v24, v24, v25
	ds_store_b32 v3, v24
.LBB108_731:                            ;   in Loop: Header=BB108_3 Depth=1
	s_or_b32 exec_lo, exec_lo, s47
	s_wait_dscnt 0x0
	s_barrier_signal -1
	s_barrier_wait -1
	s_and_saveexec_b32 s47, s92
	s_cbranch_execz .LBB108_733
; %bb.732:                              ;   in Loop: Header=BB108_3 Depth=1
	ds_load_b32 v25, v5 offset:9884
	ds_load_b32 v26, v3
	s_wait_dscnt 0x0
	v_fmac_f32_e32 v24, v25, v26
.LBB108_733:                            ;   in Loop: Header=BB108_3 Depth=1
	s_or_b32 exec_lo, exec_lo, s47
	s_barrier_signal -1
	s_barrier_wait -1
	s_and_saveexec_b32 s47, s92
	s_cbranch_execz .LBB108_735
; %bb.734:                              ;   in Loop: Header=BB108_3 Depth=1
	ds_load_b32 v25, v5 offset:10140
	s_wait_dscnt 0x0
	v_mul_f32_e32 v24, v24, v25
	ds_store_b32 v3, v24
.LBB108_735:                            ;   in Loop: Header=BB108_3 Depth=1
	s_or_b32 exec_lo, exec_lo, s47
	s_wait_dscnt 0x0
	s_barrier_signal -1
	s_barrier_wait -1
	s_barrier_signal -1
	s_barrier_wait -1
	s_and_saveexec_b32 s47, s2
; %bb.736:                              ;   in Loop: Header=BB108_3 Depth=1
	v_xor_b32_e32 v24, 0x80000000, v24
	ds_store_b32 v65, v24 offset:9368
; %bb.737:                              ;   in Loop: Header=BB108_3 Depth=1
	s_or_b32 exec_lo, exec_lo, s47
	s_wait_dscnt 0x0
	s_barrier_signal -1
	s_barrier_wait -1
	s_barrier_signal -1
	s_barrier_wait -1
	s_and_saveexec_b32 s47, s93
	s_cbranch_execz .LBB108_739
; %bb.738:                              ;   in Loop: Header=BB108_3 Depth=1
	ds_load_b32 v24, v53 offset:9368
	s_wait_dscnt 0x0
	ds_store_b32 v52, v24 offset:9872
	ds_load_b32 v24, v53 offset:9372
	s_wait_dscnt 0x0
	ds_store_b32 v52, v24 offset:10128
.LBB108_739:                            ;   in Loop: Header=BB108_3 Depth=1
	s_or_b32 exec_lo, exec_lo, s47
	s_wait_dscnt 0x0
	s_barrier_signal -1
	s_barrier_wait -1
	s_and_saveexec_b32 s47, s15
	s_cbranch_execz .LBB108_741
; %bb.740:                              ;   in Loop: Header=BB108_3 Depth=1
	ds_load_b64 v[24:25], v5 offset:9880
	ds_load_b32 v26, v5 offset:10140
	s_wait_dscnt 0x0
	v_mul_f32_e32 v24, v24, v26
	s_delay_alu instid0(VALU_DEP_1)
	v_mul_f32_e32 v24, v25, v24
	v_add_nc_u32_e64 v25, 0x2400, 0
	ds_store_2addr_b32 v25, v24, v24 offset0:167 offset1:230
.LBB108_741:                            ;   in Loop: Header=BB108_3 Depth=1
	s_or_b32 exec_lo, exec_lo, s47
	v_mov_b32_e32 v24, 0
	s_wait_dscnt 0x0
	s_barrier_signal -1
	s_barrier_wait -1
	s_and_saveexec_b32 s47, s5
	s_cbranch_execz .LBB108_751
; %bb.742:                              ;   in Loop: Header=BB108_3 Depth=1
	ds_load_b32 v24, v42 offset:8352
	ds_load_b32 v25, v39 offset:8320
	s_wait_dscnt 0x0
	v_fma_f32 v24, v24, v25, 0
	s_and_saveexec_b32 s48, s19
	s_cbranch_execnz .LBB108_1235
; %bb.743:                              ;   in Loop: Header=BB108_3 Depth=1
	s_or_b32 exec_lo, exec_lo, s48
	s_and_saveexec_b32 s48, s20
	s_cbranch_execnz .LBB108_1236
.LBB108_744:                            ;   in Loop: Header=BB108_3 Depth=1
	s_or_b32 exec_lo, exec_lo, s48
	s_and_saveexec_b32 s48, s21
	s_cbranch_execnz .LBB108_1237
.LBB108_745:                            ;   in Loop: Header=BB108_3 Depth=1
	s_or_b32 exec_lo, exec_lo, s48
	s_and_saveexec_b32 s48, s22
	s_cbranch_execnz .LBB108_1238
.LBB108_746:                            ;   in Loop: Header=BB108_3 Depth=1
	s_or_b32 exec_lo, exec_lo, s48
	s_and_saveexec_b32 s48, s23
	s_cbranch_execnz .LBB108_1239
.LBB108_747:                            ;   in Loop: Header=BB108_3 Depth=1
	s_or_b32 exec_lo, exec_lo, s48
	s_and_saveexec_b32 s48, s4
	s_cbranch_execnz .LBB108_1240
.LBB108_748:                            ;   in Loop: Header=BB108_3 Depth=1
	s_or_b32 exec_lo, exec_lo, s48
	s_and_saveexec_b32 s48, s18
	s_cbranch_execz .LBB108_750
.LBB108_749:                            ;   in Loop: Header=BB108_3 Depth=1
	ds_load_b32 v25, v54 offset:10144
	ds_load_b32 v26, v5 offset:8348
	s_wait_dscnt 0x0
	v_fmac_f32_e32 v24, v25, v26
.LBB108_750:                            ;   in Loop: Header=BB108_3 Depth=1
	s_or_b32 exec_lo, exec_lo, s48
	s_delay_alu instid0(VALU_DEP_1)
	v_xor_b32_e32 v24, 0x80000000, v24
.LBB108_751:                            ;   in Loop: Header=BB108_3 Depth=1
	s_or_b32 exec_lo, exec_lo, s47
	s_and_saveexec_b32 s47, s101
	s_cbranch_execz .LBB108_753
; %bb.752:                              ;   in Loop: Header=BB108_3 Depth=1
	ds_load_b32 v25, v5 offset:10400
	s_wait_dscnt 0x0
	v_mul_f32_e32 v24, v24, v25
	ds_store_b32 v41, v24
.LBB108_753:                            ;   in Loop: Header=BB108_3 Depth=1
	s_or_b32 exec_lo, exec_lo, s47
	s_wait_dscnt 0x0
	s_barrier_signal -1
	s_barrier_wait -1
	s_and_saveexec_b32 s47, s102
	s_cbranch_execz .LBB108_755
; %bb.754:                              ;   in Loop: Header=BB108_3 Depth=1
	ds_load_b32 v25, v40 offset:10400
	ds_load_b32 v26, v41
	s_wait_dscnt 0x0
	v_fmac_f32_e32 v24, v25, v26
.LBB108_755:                            ;   in Loop: Header=BB108_3 Depth=1
	s_or_b32 exec_lo, exec_lo, s47
	s_barrier_signal -1
	s_barrier_wait -1
	s_and_saveexec_b32 s47, s103
	s_cbranch_execz .LBB108_757
; %bb.756:                              ;   in Loop: Header=BB108_3 Depth=1
	ds_load_b32 v25, v5 offset:10660
	s_wait_dscnt 0x0
	v_mul_f32_e32 v24, v24, v25
	ds_store_b32 v41, v24
.LBB108_757:                            ;   in Loop: Header=BB108_3 Depth=1
	s_or_b32 exec_lo, exec_lo, s47
	s_wait_dscnt 0x0
	s_barrier_signal -1
	s_barrier_wait -1
	s_and_saveexec_b32 s47, s104
	s_cbranch_execz .LBB108_759
; %bb.758:                              ;   in Loop: Header=BB108_3 Depth=1
	ds_load_b32 v25, v40 offset:10656
	ds_load_b32 v26, v41
	s_wait_dscnt 0x0
	v_fmac_f32_e32 v24, v25, v26
.LBB108_759:                            ;   in Loop: Header=BB108_3 Depth=1
	s_or_b32 exec_lo, exec_lo, s47
	s_barrier_signal -1
	s_barrier_wait -1
	s_and_saveexec_b32 s47, vcc_hi
	s_cbranch_execz .LBB108_761
; %bb.760:                              ;   in Loop: Header=BB108_3 Depth=1
	ds_load_b32 v25, v5 offset:10920
	s_wait_dscnt 0x0
	v_mul_f32_e32 v24, v24, v25
	ds_store_b32 v41, v24
.LBB108_761:                            ;   in Loop: Header=BB108_3 Depth=1
	s_or_b32 exec_lo, exec_lo, s47
	s_wait_dscnt 0x0
	s_barrier_signal -1
	s_barrier_wait -1
	s_and_saveexec_b32 s47, s36
	s_cbranch_execz .LBB108_763
; %bb.762:                              ;   in Loop: Header=BB108_3 Depth=1
	ds_load_b32 v25, v40 offset:10912
	ds_load_b32 v26, v41
	s_wait_dscnt 0x0
	v_fmac_f32_e32 v24, v25, v26
.LBB108_763:                            ;   in Loop: Header=BB108_3 Depth=1
	s_or_b32 exec_lo, exec_lo, s47
	s_barrier_signal -1
	s_barrier_wait -1
	s_and_saveexec_b32 s47, s37
	s_cbranch_execz .LBB108_765
; %bb.764:                              ;   in Loop: Header=BB108_3 Depth=1
	ds_load_b32 v25, v5 offset:11180
	s_wait_dscnt 0x0
	v_mul_f32_e32 v24, v24, v25
	ds_store_b32 v41, v24
.LBB108_765:                            ;   in Loop: Header=BB108_3 Depth=1
	s_or_b32 exec_lo, exec_lo, s47
	s_wait_dscnt 0x0
	s_barrier_signal -1
	s_barrier_wait -1
	s_and_saveexec_b32 s47, s38
	s_cbranch_execz .LBB108_767
; %bb.766:                              ;   in Loop: Header=BB108_3 Depth=1
	ds_load_b32 v25, v40 offset:11168
	ds_load_b32 v26, v41
	s_wait_dscnt 0x0
	v_fmac_f32_e32 v24, v25, v26
.LBB108_767:                            ;   in Loop: Header=BB108_3 Depth=1
	s_or_b32 exec_lo, exec_lo, s47
	s_barrier_signal -1
	s_barrier_wait -1
	s_and_saveexec_b32 s47, s39
	;; [unrolled: 23-line block ×5, first 2 shown]
	s_cbranch_execz .LBB108_781
; %bb.780:                              ;   in Loop: Header=BB108_3 Depth=1
	ds_load_b32 v25, v5 offset:12220
	s_wait_dscnt 0x0
	v_mul_f32_e32 v24, v24, v25
	ds_store_b32 v41, v24
.LBB108_781:                            ;   in Loop: Header=BB108_3 Depth=1
	s_or_b32 exec_lo, exec_lo, s47
	s_wait_dscnt 0x0
	s_barrier_signal -1
	s_barrier_wait -1
	s_barrier_signal -1
	s_barrier_wait -1
	s_and_saveexec_b32 s47, s5
; %bb.782:                              ;   in Loop: Header=BB108_3 Depth=1
	v_xor_b32_e32 v24, 0x80000000, v24
	ds_store_b32 v42, v24 offset:8352
; %bb.783:                              ;   in Loop: Header=BB108_3 Depth=1
	s_or_b32 exec_lo, exec_lo, s47
	s_wait_dscnt 0x0
	s_barrier_signal -1
	s_barrier_wait -1
	s_barrier_signal -1
	s_barrier_wait -1
	s_and_saveexec_b32 s47, s45
	s_cbranch_execz .LBB108_785
; %bb.784:                              ;   in Loop: Header=BB108_3 Depth=1
	ds_load_b32 v24, v55 offset:8352
	s_wait_dscnt 0x0
	ds_store_b32 v56, v24 offset:10368
	ds_load_b32 v24, v55 offset:8356
	s_wait_dscnt 0x0
	ds_store_b32 v56, v24 offset:10624
	ds_load_b32 v24, v55 offset:8360
	s_wait_dscnt 0x0
	ds_store_b32 v56, v24 offset:10880
	ds_load_b32 v24, v55 offset:8364
	s_wait_dscnt 0x0
	ds_store_b32 v56, v24 offset:11136
	ds_load_b32 v24, v55 offset:8368
	s_wait_dscnt 0x0
	ds_store_b32 v56, v24 offset:11392
	ds_load_b32 v24, v55 offset:8372
	s_wait_dscnt 0x0
	ds_store_b32 v56, v24 offset:11648
	ds_load_b32 v24, v55 offset:8376
	s_wait_dscnt 0x0
	ds_store_b32 v56, v24 offset:11904
	ds_load_b32 v24, v55 offset:8380
	s_wait_dscnt 0x0
	ds_store_b32 v56, v24 offset:12160
.LBB108_785:                            ;   in Loop: Header=BB108_3 Depth=1
	s_or_b32 exec_lo, exec_lo, s47
	s_wait_dscnt 0x0
	s_barrier_signal -1
	s_barrier_wait -1
	s_and_saveexec_b32 s47, s15
	s_cbranch_execz .LBB108_787
; %bb.786:                              ;   in Loop: Header=BB108_3 Depth=1
	ds_load_b64 v[24:25], v5 offset:10400
	ds_load_b32 v26, v5 offset:10660
	s_wait_dscnt 0x0
	v_mul_f32_e32 v24, v24, v26
	s_delay_alu instid0(VALU_DEP_1)
	v_mul_f32_e32 v24, v25, v24
	v_add_nc_u32_e64 v25, 0x2800, 0
	ds_store_2addr_b32 v25, v24, v24 offset0:41 offset1:104
.LBB108_787:                            ;   in Loop: Header=BB108_3 Depth=1
	s_or_b32 exec_lo, exec_lo, s47
	v_mov_b32_e32 v24, 0
	s_wait_dscnt 0x0
	s_barrier_signal -1
	s_barrier_wait -1
	s_and_saveexec_b32 s47, s2
	s_cbranch_execz .LBB108_791
; %bb.788:                              ;   in Loop: Header=BB108_3 Depth=1
	ds_load_b32 v24, v65 offset:10408
	ds_load_b32 v25, v29 offset:10400
	s_wait_dscnt 0x0
	v_fma_f32 v24, v24, v25, 0
	s_and_saveexec_b32 s48, s16
	s_cbranch_execz .LBB108_790
; %bb.789:                              ;   in Loop: Header=BB108_3 Depth=1
	ds_load_b32 v25, v56 offset:10664
	ds_load_b32 v26, v5 offset:10404
	s_wait_dscnt 0x0
	v_fmac_f32_e32 v24, v25, v26
.LBB108_790:                            ;   in Loop: Header=BB108_3 Depth=1
	s_or_b32 exec_lo, exec_lo, s48
	s_delay_alu instid0(VALU_DEP_1)
	v_xor_b32_e32 v24, 0x80000000, v24
.LBB108_791:                            ;   in Loop: Header=BB108_3 Depth=1
	s_or_b32 exec_lo, exec_lo, s47
	s_and_saveexec_b32 s47, s91
	s_cbranch_execz .LBB108_793
; %bb.792:                              ;   in Loop: Header=BB108_3 Depth=1
	ds_load_b32 v25, v5 offset:10920
	s_wait_dscnt 0x0
	v_mul_f32_e32 v24, v24, v25
	ds_store_b32 v3, v24
.LBB108_793:                            ;   in Loop: Header=BB108_3 Depth=1
	s_or_b32 exec_lo, exec_lo, s47
	s_wait_dscnt 0x0
	s_barrier_signal -1
	s_barrier_wait -1
	s_and_saveexec_b32 s47, s92
	s_cbranch_execz .LBB108_795
; %bb.794:                              ;   in Loop: Header=BB108_3 Depth=1
	ds_load_b32 v25, v5 offset:10924
	ds_load_b32 v26, v3
	s_wait_dscnt 0x0
	v_fmac_f32_e32 v24, v25, v26
.LBB108_795:                            ;   in Loop: Header=BB108_3 Depth=1
	s_or_b32 exec_lo, exec_lo, s47
	s_barrier_signal -1
	s_barrier_wait -1
	s_and_saveexec_b32 s47, s92
	s_cbranch_execz .LBB108_797
; %bb.796:                              ;   in Loop: Header=BB108_3 Depth=1
	ds_load_b32 v25, v5 offset:11180
	s_wait_dscnt 0x0
	v_mul_f32_e32 v24, v24, v25
	ds_store_b32 v3, v24
.LBB108_797:                            ;   in Loop: Header=BB108_3 Depth=1
	s_or_b32 exec_lo, exec_lo, s47
	s_wait_dscnt 0x0
	s_barrier_signal -1
	s_barrier_wait -1
	s_barrier_signal -1
	s_barrier_wait -1
	s_and_saveexec_b32 s47, s2
; %bb.798:                              ;   in Loop: Header=BB108_3 Depth=1
	v_xor_b32_e32 v24, 0x80000000, v24
	ds_store_b32 v65, v24 offset:10408
; %bb.799:                              ;   in Loop: Header=BB108_3 Depth=1
	s_or_b32 exec_lo, exec_lo, s47
	s_wait_dscnt 0x0
	s_barrier_signal -1
	s_barrier_wait -1
	s_barrier_signal -1
	s_barrier_wait -1
	s_and_saveexec_b32 s47, s93
	s_cbranch_execz .LBB108_801
; %bb.800:                              ;   in Loop: Header=BB108_3 Depth=1
	ds_load_b32 v24, v57 offset:10408
	s_wait_dscnt 0x0
	ds_store_b32 v56, v24 offset:10912
	ds_load_b32 v24, v57 offset:10412
	s_wait_dscnt 0x0
	ds_store_b32 v56, v24 offset:11168
.LBB108_801:                            ;   in Loop: Header=BB108_3 Depth=1
	s_or_b32 exec_lo, exec_lo, s47
	s_wait_dscnt 0x0
	s_barrier_signal -1
	s_barrier_wait -1
	s_and_saveexec_b32 s47, s15
	s_cbranch_execz .LBB108_803
; %bb.802:                              ;   in Loop: Header=BB108_3 Depth=1
	ds_load_b64 v[24:25], v5 offset:10920
	ds_load_b32 v26, v5 offset:11180
	s_wait_dscnt 0x0
	v_mul_f32_e32 v24, v24, v26
	s_delay_alu instid0(VALU_DEP_1)
	v_mul_f32_e32 v24, v25, v24
	v_add_nc_u32_e64 v25, 0x2800, 0
	ds_store_2addr_b32 v25, v24, v24 offset0:171 offset1:234
.LBB108_803:                            ;   in Loop: Header=BB108_3 Depth=1
	s_or_b32 exec_lo, exec_lo, s47
	v_mov_b32_e32 v24, 0
	s_wait_dscnt 0x0
	s_barrier_signal -1
	s_barrier_wait -1
	s_and_saveexec_b32 s47, s4
	s_cbranch_execz .LBB108_809
; %bb.804:                              ;   in Loop: Header=BB108_3 Depth=1
	ds_load_b32 v24, v36 offset:10416
	ds_load_b32 v25, v31 offset:10400
	s_wait_dscnt 0x0
	v_fma_f32 v24, v24, v25, 0
	s_and_saveexec_b32 s48, s17
	s_cbranch_execnz .LBB108_1241
; %bb.805:                              ;   in Loop: Header=BB108_3 Depth=1
	s_or_b32 exec_lo, exec_lo, s48
	s_and_saveexec_b32 s48, s18
	s_cbranch_execnz .LBB108_1242
.LBB108_806:                            ;   in Loop: Header=BB108_3 Depth=1
	s_or_b32 exec_lo, exec_lo, s48
	s_and_saveexec_b32 s48, s2
	s_cbranch_execz .LBB108_808
.LBB108_807:                            ;   in Loop: Header=BB108_3 Depth=1
	ds_load_b32 v25, v58 offset:11184
	ds_load_b32 v26, v5 offset:10412
	s_wait_dscnt 0x0
	v_fmac_f32_e32 v24, v25, v26
.LBB108_808:                            ;   in Loop: Header=BB108_3 Depth=1
	s_or_b32 exec_lo, exec_lo, s48
	s_delay_alu instid0(VALU_DEP_1)
	v_xor_b32_e32 v24, 0x80000000, v24
.LBB108_809:                            ;   in Loop: Header=BB108_3 Depth=1
	s_or_b32 exec_lo, exec_lo, s47
	s_and_saveexec_b32 s47, s94
	s_cbranch_execz .LBB108_811
; %bb.810:                              ;   in Loop: Header=BB108_3 Depth=1
	ds_load_b32 v25, v5 offset:11440
	s_wait_dscnt 0x0
	v_mul_f32_e32 v24, v24, v25
	ds_store_b32 v35, v24
.LBB108_811:                            ;   in Loop: Header=BB108_3 Depth=1
	s_or_b32 exec_lo, exec_lo, s47
	s_wait_dscnt 0x0
	s_barrier_signal -1
	s_barrier_wait -1
	s_and_saveexec_b32 s47, s95
	s_cbranch_execz .LBB108_813
; %bb.812:                              ;   in Loop: Header=BB108_3 Depth=1
	ds_load_b32 v25, v33 offset:11440
	ds_load_b32 v26, v35
	s_wait_dscnt 0x0
	v_fmac_f32_e32 v24, v25, v26
.LBB108_813:                            ;   in Loop: Header=BB108_3 Depth=1
	s_or_b32 exec_lo, exec_lo, s47
	s_barrier_signal -1
	s_barrier_wait -1
	s_and_saveexec_b32 s47, s96
	s_cbranch_execz .LBB108_815
; %bb.814:                              ;   in Loop: Header=BB108_3 Depth=1
	ds_load_b32 v25, v5 offset:11700
	s_wait_dscnt 0x0
	v_mul_f32_e32 v24, v24, v25
	ds_store_b32 v35, v24
.LBB108_815:                            ;   in Loop: Header=BB108_3 Depth=1
	s_or_b32 exec_lo, exec_lo, s47
	s_wait_dscnt 0x0
	s_barrier_signal -1
	s_barrier_wait -1
	s_and_saveexec_b32 s47, s97
	s_cbranch_execz .LBB108_817
; %bb.816:                              ;   in Loop: Header=BB108_3 Depth=1
	ds_load_b32 v25, v33 offset:11696
	ds_load_b32 v26, v35
	s_wait_dscnt 0x0
	v_fmac_f32_e32 v24, v25, v26
.LBB108_817:                            ;   in Loop: Header=BB108_3 Depth=1
	s_or_b32 exec_lo, exec_lo, s47
	s_barrier_signal -1
	s_barrier_wait -1
	;; [unrolled: 23-line block ×3, first 2 shown]
	s_and_saveexec_b32 s47, s99
	s_cbranch_execz .LBB108_823
; %bb.822:                              ;   in Loop: Header=BB108_3 Depth=1
	ds_load_b32 v25, v5 offset:12220
	s_wait_dscnt 0x0
	v_mul_f32_e32 v24, v24, v25
	ds_store_b32 v35, v24
.LBB108_823:                            ;   in Loop: Header=BB108_3 Depth=1
	s_or_b32 exec_lo, exec_lo, s47
	s_wait_dscnt 0x0
	s_barrier_signal -1
	s_barrier_wait -1
	s_barrier_signal -1
	s_barrier_wait -1
	s_and_saveexec_b32 s47, s4
; %bb.824:                              ;   in Loop: Header=BB108_3 Depth=1
	v_xor_b32_e32 v24, 0x80000000, v24
	ds_store_b32 v36, v24 offset:10416
; %bb.825:                              ;   in Loop: Header=BB108_3 Depth=1
	s_or_b32 exec_lo, exec_lo, s47
	s_wait_dscnt 0x0
	s_barrier_signal -1
	s_barrier_wait -1
	s_barrier_signal -1
	s_barrier_wait -1
	s_and_saveexec_b32 s47, s100
	s_cbranch_execz .LBB108_827
; %bb.826:                              ;   in Loop: Header=BB108_3 Depth=1
	ds_load_b32 v24, v59 offset:10416
	s_wait_dscnt 0x0
	ds_store_b32 v60, v24 offset:11424
	ds_load_b32 v24, v59 offset:10420
	s_wait_dscnt 0x0
	ds_store_b32 v60, v24 offset:11680
	;; [unrolled: 3-line block ×4, first 2 shown]
.LBB108_827:                            ;   in Loop: Header=BB108_3 Depth=1
	s_or_b32 exec_lo, exec_lo, s47
	s_wait_dscnt 0x0
	s_barrier_signal -1
	s_barrier_wait -1
	s_and_saveexec_b32 s47, s15
	s_cbranch_execz .LBB108_829
; %bb.828:                              ;   in Loop: Header=BB108_3 Depth=1
	ds_load_b64 v[24:25], v5 offset:11440
	ds_load_b32 v26, v5 offset:11700
	s_wait_dscnt 0x0
	v_mul_f32_e32 v24, v24, v26
	s_delay_alu instid0(VALU_DEP_1)
	v_mul_f32_e32 v24, v25, v24
	v_add_nc_u32_e64 v25, 0x2c00, 0
	ds_store_2addr_b32 v25, v24, v24 offset0:45 offset1:108
.LBB108_829:                            ;   in Loop: Header=BB108_3 Depth=1
	s_or_b32 exec_lo, exec_lo, s47
	v_mov_b32_e32 v24, 0
	s_wait_dscnt 0x0
	s_barrier_signal -1
	s_barrier_wait -1
	s_and_saveexec_b32 s47, s2
	s_cbranch_execz .LBB108_833
; %bb.830:                              ;   in Loop: Header=BB108_3 Depth=1
	ds_load_b32 v24, v65 offset:11448
	ds_load_b32 v25, v29 offset:11440
	s_wait_dscnt 0x0
	v_fma_f32 v24, v24, v25, 0
	s_and_saveexec_b32 s48, s16
	s_cbranch_execz .LBB108_832
; %bb.831:                              ;   in Loop: Header=BB108_3 Depth=1
	ds_load_b32 v25, v60 offset:11704
	ds_load_b32 v26, v5 offset:11444
	s_wait_dscnt 0x0
	v_fmac_f32_e32 v24, v25, v26
.LBB108_832:                            ;   in Loop: Header=BB108_3 Depth=1
	s_or_b32 exec_lo, exec_lo, s48
	s_delay_alu instid0(VALU_DEP_1)
	v_xor_b32_e32 v24, 0x80000000, v24
.LBB108_833:                            ;   in Loop: Header=BB108_3 Depth=1
	s_or_b32 exec_lo, exec_lo, s47
	s_and_saveexec_b32 s47, s91
	s_cbranch_execz .LBB108_835
; %bb.834:                              ;   in Loop: Header=BB108_3 Depth=1
	ds_load_b32 v25, v5 offset:11960
	s_wait_dscnt 0x0
	v_mul_f32_e32 v24, v24, v25
	ds_store_b32 v3, v24
.LBB108_835:                            ;   in Loop: Header=BB108_3 Depth=1
	s_or_b32 exec_lo, exec_lo, s47
	s_wait_dscnt 0x0
	s_barrier_signal -1
	s_barrier_wait -1
	s_and_saveexec_b32 s47, s92
	s_cbranch_execz .LBB108_837
; %bb.836:                              ;   in Loop: Header=BB108_3 Depth=1
	ds_load_b32 v25, v5 offset:11964
	ds_load_b32 v26, v3
	s_wait_dscnt 0x0
	v_fmac_f32_e32 v24, v25, v26
.LBB108_837:                            ;   in Loop: Header=BB108_3 Depth=1
	s_or_b32 exec_lo, exec_lo, s47
	s_barrier_signal -1
	s_barrier_wait -1
	s_and_saveexec_b32 s47, s92
	s_cbranch_execz .LBB108_839
; %bb.838:                              ;   in Loop: Header=BB108_3 Depth=1
	ds_load_b32 v25, v5 offset:12220
	s_wait_dscnt 0x0
	v_mul_f32_e32 v24, v24, v25
	ds_store_b32 v3, v24
.LBB108_839:                            ;   in Loop: Header=BB108_3 Depth=1
	s_or_b32 exec_lo, exec_lo, s47
	s_wait_dscnt 0x0
	s_barrier_signal -1
	s_barrier_wait -1
	s_barrier_signal -1
	s_barrier_wait -1
	s_and_saveexec_b32 s47, s2
; %bb.840:                              ;   in Loop: Header=BB108_3 Depth=1
	v_xor_b32_e32 v24, 0x80000000, v24
	ds_store_b32 v65, v24 offset:11448
; %bb.841:                              ;   in Loop: Header=BB108_3 Depth=1
	s_or_b32 exec_lo, exec_lo, s47
	s_wait_dscnt 0x0
	s_barrier_signal -1
	s_barrier_wait -1
	s_barrier_signal -1
	s_barrier_wait -1
	s_and_saveexec_b32 s47, s93
	s_cbranch_execz .LBB108_843
; %bb.842:                              ;   in Loop: Header=BB108_3 Depth=1
	ds_load_b32 v24, v61 offset:11448
	s_wait_dscnt 0x0
	ds_store_b32 v60, v24 offset:11952
	ds_load_b32 v24, v61 offset:11452
	s_wait_dscnt 0x0
	ds_store_b32 v60, v24 offset:12208
.LBB108_843:                            ;   in Loop: Header=BB108_3 Depth=1
	s_or_b32 exec_lo, exec_lo, s47
	s_wait_dscnt 0x0
	s_barrier_signal -1
	s_barrier_wait -1
	s_and_saveexec_b32 s47, s15
	s_cbranch_execz .LBB108_845
; %bb.844:                              ;   in Loop: Header=BB108_3 Depth=1
	ds_load_b64 v[24:25], v5 offset:11960
	ds_load_b32 v26, v5 offset:12220
	s_wait_dscnt 0x0
	v_mul_f32_e32 v24, v24, v26
	s_delay_alu instid0(VALU_DEP_1)
	v_mul_f32_e32 v24, v25, v24
	v_add_nc_u32_e64 v25, 0x2c00, 0
	ds_store_2addr_b32 v25, v24, v24 offset0:175 offset1:238
.LBB108_845:                            ;   in Loop: Header=BB108_3 Depth=1
	s_or_b32 exec_lo, exec_lo, s47
	v_mov_b32_e32 v24, 0
	s_wait_dscnt 0x0
	s_barrier_signal -1
	s_barrier_wait -1
	s_and_saveexec_b32 s47, s6
	s_cbranch_execz .LBB108_873
; %bb.846:                              ;   in Loop: Header=BB108_3 Depth=1
	ds_load_b32 v24, v47 offset:8384
	ds_load_b32 v25, v44 offset:8320
	s_wait_dscnt 0x0
	v_fma_f32 v24, v24, v25, 0
	s_mov_b32 s48, exec_lo
	v_readlane_b32 s49, v91, 24
	s_and_b32 s49, s48, s49
	s_delay_alu instid0(SALU_CYCLE_1)
	s_mov_b32 exec_lo, s49
	s_cbranch_execz .LBB108_848
; %bb.847:                              ;   in Loop: Header=BB108_3 Depth=1
	ds_load_b32 v25, v48 offset:8640
	ds_load_b32 v26, v44 offset:8324
	s_wait_dscnt 0x0
	v_fmac_f32_e32 v24, v25, v26
.LBB108_848:                            ;   in Loop: Header=BB108_3 Depth=1
	s_or_b32 exec_lo, exec_lo, s48
	s_delay_alu instid0(SALU_CYCLE_1) | instskip(SKIP_2) | instid1(SALU_CYCLE_1)
	s_mov_b32 s48, exec_lo
	v_readlane_b32 s49, v91, 25
	s_and_b32 s49, s48, s49
	s_mov_b32 exec_lo, s49
	s_cbranch_execz .LBB108_850
; %bb.849:                              ;   in Loop: Header=BB108_3 Depth=1
	ds_load_b32 v25, v48 offset:8896
	ds_load_b32 v26, v44 offset:8328
	s_wait_dscnt 0x0
	v_fmac_f32_e32 v24, v25, v26
.LBB108_850:                            ;   in Loop: Header=BB108_3 Depth=1
	s_or_b32 exec_lo, exec_lo, s48
	s_delay_alu instid0(SALU_CYCLE_1) | instskip(SKIP_2) | instid1(SALU_CYCLE_1)
	s_mov_b32 s48, exec_lo
	v_readlane_b32 s49, v91, 26
	s_and_b32 s49, s48, s49
	;; [unrolled: 13-line block ×10, first 2 shown]
	s_mov_b32 exec_lo, s49
	s_cbranch_execnz .LBB108_1243
; %bb.867:                              ;   in Loop: Header=BB108_3 Depth=1
	s_or_b32 exec_lo, exec_lo, s48
	s_and_saveexec_b32 s48, s5
	s_cbranch_execnz .LBB108_1244
.LBB108_868:                            ;   in Loop: Header=BB108_3 Depth=1
	s_or_b32 exec_lo, exec_lo, s48
	s_and_saveexec_b32 s48, s20
	s_cbranch_execnz .LBB108_1245
.LBB108_869:                            ;   in Loop: Header=BB108_3 Depth=1
	s_or_b32 exec_lo, exec_lo, s48
	s_and_saveexec_b32 s48, s22
	s_cbranch_execnz .LBB108_1246
.LBB108_870:                            ;   in Loop: Header=BB108_3 Depth=1
	s_or_b32 exec_lo, exec_lo, s48
	s_and_saveexec_b32 s48, s4
	s_cbranch_execz .LBB108_872
.LBB108_871:                            ;   in Loop: Header=BB108_3 Depth=1
	ds_load_b32 v25, v30 offset:12224
	ds_load_b32 v26, v5 offset:8380
	s_wait_dscnt 0x0
	v_fmac_f32_e32 v24, v25, v26
.LBB108_872:                            ;   in Loop: Header=BB108_3 Depth=1
	s_or_b32 exec_lo, exec_lo, s48
	s_delay_alu instid0(VALU_DEP_1)
	v_xor_b32_e32 v24, 0x80000000, v24
.LBB108_873:                            ;   in Loop: Header=BB108_3 Depth=1
	s_or_b32 exec_lo, exec_lo, s47
	s_delay_alu instid0(SALU_CYCLE_1) | instskip(SKIP_2) | instid1(SALU_CYCLE_1)
	s_mov_b32 s47, exec_lo
	v_readlane_b32 s48, v93, 2
	s_and_b32 s48, s47, s48
	s_mov_b32 exec_lo, s48
	s_cbranch_execz .LBB108_875
; %bb.874:                              ;   in Loop: Header=BB108_3 Depth=1
	ds_load_b32 v25, v5 offset:12480
	s_wait_dscnt 0x0
	v_mul_f32_e32 v24, v24, v25
	ds_store_b32 v46, v24
.LBB108_875:                            ;   in Loop: Header=BB108_3 Depth=1
	s_or_b32 exec_lo, exec_lo, s47
	s_wait_dscnt 0x0
	s_barrier_signal -1
	s_barrier_wait -1
	s_mov_b32 s47, exec_lo
	v_readlane_b32 s48, v93, 3
	s_and_b32 s48, s47, s48
	s_delay_alu instid0(SALU_CYCLE_1)
	s_mov_b32 exec_lo, s48
	s_cbranch_execz .LBB108_877
; %bb.876:                              ;   in Loop: Header=BB108_3 Depth=1
	ds_load_b32 v25, v45 offset:12480
	ds_load_b32 v26, v46
	s_wait_dscnt 0x0
	v_fmac_f32_e32 v24, v25, v26
.LBB108_877:                            ;   in Loop: Header=BB108_3 Depth=1
	s_or_b32 exec_lo, exec_lo, s47
	s_barrier_signal -1
	s_barrier_wait -1
	s_mov_b32 s47, exec_lo
	v_readlane_b32 s48, v93, 4
	s_and_b32 s48, s47, s48
	s_delay_alu instid0(SALU_CYCLE_1)
	s_mov_b32 exec_lo, s48
	s_cbranch_execz .LBB108_879
; %bb.878:                              ;   in Loop: Header=BB108_3 Depth=1
	ds_load_b32 v25, v5 offset:12740
	s_wait_dscnt 0x0
	v_mul_f32_e32 v24, v24, v25
	ds_store_b32 v46, v24
.LBB108_879:                            ;   in Loop: Header=BB108_3 Depth=1
	s_or_b32 exec_lo, exec_lo, s47
	s_wait_dscnt 0x0
	s_barrier_signal -1
	s_barrier_wait -1
	s_mov_b32 s47, exec_lo
	v_readlane_b32 s48, v93, 5
	s_and_b32 s48, s47, s48
	s_delay_alu instid0(SALU_CYCLE_1)
	s_mov_b32 exec_lo, s48
	s_cbranch_execz .LBB108_881
; %bb.880:                              ;   in Loop: Header=BB108_3 Depth=1
	ds_load_b32 v25, v45 offset:12736
	ds_load_b32 v26, v46
	s_wait_dscnt 0x0
	v_fmac_f32_e32 v24, v25, v26
.LBB108_881:                            ;   in Loop: Header=BB108_3 Depth=1
	s_or_b32 exec_lo, exec_lo, s47
	s_barrier_signal -1
	s_barrier_wait -1
	s_mov_b32 s47, exec_lo
	v_readlane_b32 s48, v93, 6
	s_and_b32 s48, s47, s48
	s_delay_alu instid0(SALU_CYCLE_1)
	s_mov_b32 exec_lo, s48
	s_cbranch_execz .LBB108_883
; %bb.882:                              ;   in Loop: Header=BB108_3 Depth=1
	ds_load_b32 v25, v5 offset:13000
	s_wait_dscnt 0x0
	v_mul_f32_e32 v24, v24, v25
	ds_store_b32 v46, v24
.LBB108_883:                            ;   in Loop: Header=BB108_3 Depth=1
	s_or_b32 exec_lo, exec_lo, s47
	s_wait_dscnt 0x0
	s_barrier_signal -1
	s_barrier_wait -1
	s_mov_b32 s47, exec_lo
	v_readlane_b32 s48, v93, 7
	s_and_b32 s48, s47, s48
	s_delay_alu instid0(SALU_CYCLE_1)
	s_mov_b32 exec_lo, s48
	s_cbranch_execz .LBB108_885
; %bb.884:                              ;   in Loop: Header=BB108_3 Depth=1
	ds_load_b32 v25, v45 offset:12992
	ds_load_b32 v26, v46
	s_wait_dscnt 0x0
	v_fmac_f32_e32 v24, v25, v26
.LBB108_885:                            ;   in Loop: Header=BB108_3 Depth=1
	s_or_b32 exec_lo, exec_lo, s47
	s_barrier_signal -1
	s_barrier_wait -1
	s_and_saveexec_b32 s47, s52
	s_cbranch_execz .LBB108_887
; %bb.886:                              ;   in Loop: Header=BB108_3 Depth=1
	ds_load_b32 v25, v5 offset:13260
	s_wait_dscnt 0x0
	v_mul_f32_e32 v24, v24, v25
	ds_store_b32 v46, v24
.LBB108_887:                            ;   in Loop: Header=BB108_3 Depth=1
	s_or_b32 exec_lo, exec_lo, s47
	s_wait_dscnt 0x0
	s_barrier_signal -1
	s_barrier_wait -1
	s_and_saveexec_b32 s47, s53
	s_cbranch_execz .LBB108_889
; %bb.888:                              ;   in Loop: Header=BB108_3 Depth=1
	ds_load_b32 v25, v45 offset:13248
	ds_load_b32 v26, v46
	s_wait_dscnt 0x0
	v_fmac_f32_e32 v24, v25, v26
.LBB108_889:                            ;   in Loop: Header=BB108_3 Depth=1
	s_or_b32 exec_lo, exec_lo, s47
	s_barrier_signal -1
	s_barrier_wait -1
	s_and_saveexec_b32 s47, s54
	s_cbranch_execz .LBB108_891
; %bb.890:                              ;   in Loop: Header=BB108_3 Depth=1
	ds_load_b32 v25, v5 offset:13520
	s_wait_dscnt 0x0
	v_mul_f32_e32 v24, v24, v25
	ds_store_b32 v46, v24
.LBB108_891:                            ;   in Loop: Header=BB108_3 Depth=1
	s_or_b32 exec_lo, exec_lo, s47
	s_wait_dscnt 0x0
	s_barrier_signal -1
	s_barrier_wait -1
	s_and_saveexec_b32 s47, s55
	;; [unrolled: 23-line block ×12, first 2 shown]
	s_cbranch_execz .LBB108_933
; %bb.932:                              ;   in Loop: Header=BB108_3 Depth=1
	ds_load_b32 v25, v5 offset:16124
	ds_load_b32 v26, v46
	s_wait_dscnt 0x0
	v_fmac_f32_e32 v24, v25, v26
.LBB108_933:                            ;   in Loop: Header=BB108_3 Depth=1
	s_or_b32 exec_lo, exec_lo, s47
	s_barrier_signal -1
	s_barrier_wait -1
	s_and_saveexec_b32 s47, s65
	s_cbranch_execz .LBB108_935
; %bb.934:                              ;   in Loop: Header=BB108_3 Depth=1
	ds_load_b32 v25, v5 offset:16380
	s_wait_dscnt 0x0
	v_mul_f32_e32 v24, v24, v25
	ds_store_b32 v46, v24
.LBB108_935:                            ;   in Loop: Header=BB108_3 Depth=1
	s_or_b32 exec_lo, exec_lo, s47
	s_wait_dscnt 0x0
	s_barrier_signal -1
	s_barrier_wait -1
	s_barrier_signal -1
	s_barrier_wait -1
	s_and_saveexec_b32 s47, s6
; %bb.936:                              ;   in Loop: Header=BB108_3 Depth=1
	v_xor_b32_e32 v24, 0x80000000, v24
	ds_store_b32 v47, v24 offset:8384
; %bb.937:                              ;   in Loop: Header=BB108_3 Depth=1
	s_or_b32 exec_lo, exec_lo, s47
	s_wait_dscnt 0x0
	s_barrier_signal -1
	s_barrier_wait -1
	s_barrier_signal -1
	s_barrier_wait -1
	s_and_saveexec_b32 s47, s89
	s_cbranch_execz .LBB108_939
; %bb.938:                              ;   in Loop: Header=BB108_3 Depth=1
	ds_load_b32 v24, v34 offset:8384
	s_wait_dscnt 0x0
	ds_store_b32 v38, v24 offset:12416
	ds_load_b32 v24, v34 offset:8388
	s_wait_dscnt 0x0
	ds_store_b32 v38, v24 offset:12672
	;; [unrolled: 3-line block ×16, first 2 shown]
.LBB108_939:                            ;   in Loop: Header=BB108_3 Depth=1
	s_or_b32 exec_lo, exec_lo, s47
	s_wait_dscnt 0x0
	s_barrier_signal -1
	s_barrier_wait -1
	s_and_saveexec_b32 s47, s15
	s_cbranch_execz .LBB108_941
; %bb.940:                              ;   in Loop: Header=BB108_3 Depth=1
	ds_load_b64 v[24:25], v5 offset:12480
	ds_load_b32 v26, v5 offset:12740
	s_wait_dscnt 0x0
	v_mul_f32_e32 v24, v24, v26
	s_delay_alu instid0(VALU_DEP_1)
	v_mul_f32_e32 v24, v25, v24
	v_add_nc_u32_e64 v25, 0x3000, 0
	ds_store_2addr_b32 v25, v24, v24 offset0:49 offset1:112
.LBB108_941:                            ;   in Loop: Header=BB108_3 Depth=1
	s_or_b32 exec_lo, exec_lo, s47
	v_mov_b32_e32 v24, 0
	s_wait_dscnt 0x0
	s_barrier_signal -1
	s_barrier_wait -1
	s_and_saveexec_b32 s47, s2
	s_cbranch_execz .LBB108_945
; %bb.942:                              ;   in Loop: Header=BB108_3 Depth=1
	ds_load_b32 v24, v65 offset:12488
	ds_load_b32 v25, v29 offset:12480
	s_wait_dscnt 0x0
	v_fma_f32 v24, v24, v25, 0
	s_and_saveexec_b32 s48, s16
	s_cbranch_execz .LBB108_944
; %bb.943:                              ;   in Loop: Header=BB108_3 Depth=1
	ds_load_b32 v25, v30 offset:12744
	ds_load_b32 v26, v5 offset:12484
	s_wait_dscnt 0x0
	v_fmac_f32_e32 v24, v25, v26
.LBB108_944:                            ;   in Loop: Header=BB108_3 Depth=1
	s_or_b32 exec_lo, exec_lo, s48
	s_delay_alu instid0(VALU_DEP_1)
	v_xor_b32_e32 v24, 0x80000000, v24
.LBB108_945:                            ;   in Loop: Header=BB108_3 Depth=1
	s_or_b32 exec_lo, exec_lo, s47
	s_and_saveexec_b32 s47, s91
	s_cbranch_execz .LBB108_947
; %bb.946:                              ;   in Loop: Header=BB108_3 Depth=1
	ds_load_b32 v25, v5 offset:13000
	s_wait_dscnt 0x0
	v_mul_f32_e32 v24, v24, v25
	ds_store_b32 v3, v24
.LBB108_947:                            ;   in Loop: Header=BB108_3 Depth=1
	s_or_b32 exec_lo, exec_lo, s47
	s_wait_dscnt 0x0
	s_barrier_signal -1
	s_barrier_wait -1
	s_and_saveexec_b32 s47, s92
	s_cbranch_execz .LBB108_949
; %bb.948:                              ;   in Loop: Header=BB108_3 Depth=1
	ds_load_b32 v25, v5 offset:13004
	ds_load_b32 v26, v3
	s_wait_dscnt 0x0
	v_fmac_f32_e32 v24, v25, v26
.LBB108_949:                            ;   in Loop: Header=BB108_3 Depth=1
	s_or_b32 exec_lo, exec_lo, s47
	s_barrier_signal -1
	s_barrier_wait -1
	s_and_saveexec_b32 s47, s92
	s_cbranch_execz .LBB108_951
; %bb.950:                              ;   in Loop: Header=BB108_3 Depth=1
	ds_load_b32 v25, v5 offset:13260
	s_wait_dscnt 0x0
	v_mul_f32_e32 v24, v24, v25
	ds_store_b32 v3, v24
.LBB108_951:                            ;   in Loop: Header=BB108_3 Depth=1
	s_or_b32 exec_lo, exec_lo, s47
	s_wait_dscnt 0x0
	s_barrier_signal -1
	s_barrier_wait -1
	s_barrier_signal -1
	s_barrier_wait -1
	s_and_saveexec_b32 s47, s2
; %bb.952:                              ;   in Loop: Header=BB108_3 Depth=1
	v_xor_b32_e32 v24, 0x80000000, v24
	ds_store_b32 v65, v24 offset:12488
; %bb.953:                              ;   in Loop: Header=BB108_3 Depth=1
	s_or_b32 exec_lo, exec_lo, s47
	s_wait_dscnt 0x0
	s_barrier_signal -1
	s_barrier_wait -1
	s_barrier_signal -1
	s_barrier_wait -1
	s_and_saveexec_b32 s47, s93
	s_cbranch_execz .LBB108_955
; %bb.954:                              ;   in Loop: Header=BB108_3 Depth=1
	ds_load_b32 v24, v34 offset:12488
	s_wait_dscnt 0x0
	ds_store_b32 v30, v24 offset:12992
	ds_load_b32 v24, v34 offset:12492
	s_wait_dscnt 0x0
	ds_store_b32 v30, v24 offset:13248
.LBB108_955:                            ;   in Loop: Header=BB108_3 Depth=1
	s_or_b32 exec_lo, exec_lo, s47
	s_wait_dscnt 0x0
	s_barrier_signal -1
	s_barrier_wait -1
	s_and_saveexec_b32 s47, s15
	s_cbranch_execz .LBB108_957
; %bb.956:                              ;   in Loop: Header=BB108_3 Depth=1
	ds_load_b64 v[24:25], v5 offset:13000
	ds_load_b32 v26, v5 offset:13260
	s_wait_dscnt 0x0
	v_mul_f32_e32 v24, v24, v26
	s_delay_alu instid0(VALU_DEP_1)
	v_mul_f32_e32 v24, v25, v24
	v_add_nc_u32_e64 v25, 0x3000, 0
	ds_store_2addr_b32 v25, v24, v24 offset0:179 offset1:242
.LBB108_957:                            ;   in Loop: Header=BB108_3 Depth=1
	s_or_b32 exec_lo, exec_lo, s47
	v_mov_b32_e32 v24, 0
	s_wait_dscnt 0x0
	s_barrier_signal -1
	s_barrier_wait -1
	s_and_saveexec_b32 s47, s4
	s_cbranch_execz .LBB108_963
; %bb.958:                              ;   in Loop: Header=BB108_3 Depth=1
	ds_load_b32 v24, v36 offset:12496
	ds_load_b32 v25, v31 offset:12480
	s_wait_dscnt 0x0
	v_fma_f32 v24, v24, v25, 0
	s_and_saveexec_b32 s48, s17
	s_cbranch_execnz .LBB108_1247
; %bb.959:                              ;   in Loop: Header=BB108_3 Depth=1
	s_or_b32 exec_lo, exec_lo, s48
	s_and_saveexec_b32 s48, s18
	s_cbranch_execnz .LBB108_1248
.LBB108_960:                            ;   in Loop: Header=BB108_3 Depth=1
	s_or_b32 exec_lo, exec_lo, s48
	s_and_saveexec_b32 s48, s2
	s_cbranch_execz .LBB108_962
.LBB108_961:                            ;   in Loop: Header=BB108_3 Depth=1
	ds_load_b32 v25, v38 offset:13264
	ds_load_b32 v26, v5 offset:12492
	s_wait_dscnt 0x0
	v_fmac_f32_e32 v24, v25, v26
.LBB108_962:                            ;   in Loop: Header=BB108_3 Depth=1
	s_or_b32 exec_lo, exec_lo, s48
	s_delay_alu instid0(VALU_DEP_1)
	v_xor_b32_e32 v24, 0x80000000, v24
.LBB108_963:                            ;   in Loop: Header=BB108_3 Depth=1
	s_or_b32 exec_lo, exec_lo, s47
	s_and_saveexec_b32 s47, s94
	s_cbranch_execz .LBB108_965
; %bb.964:                              ;   in Loop: Header=BB108_3 Depth=1
	ds_load_b32 v25, v5 offset:13520
	s_wait_dscnt 0x0
	v_mul_f32_e32 v24, v24, v25
	ds_store_b32 v35, v24
.LBB108_965:                            ;   in Loop: Header=BB108_3 Depth=1
	s_or_b32 exec_lo, exec_lo, s47
	s_wait_dscnt 0x0
	s_barrier_signal -1
	s_barrier_wait -1
	s_and_saveexec_b32 s47, s95
	s_cbranch_execz .LBB108_967
; %bb.966:                              ;   in Loop: Header=BB108_3 Depth=1
	ds_load_b32 v25, v33 offset:13520
	ds_load_b32 v26, v35
	s_wait_dscnt 0x0
	v_fmac_f32_e32 v24, v25, v26
.LBB108_967:                            ;   in Loop: Header=BB108_3 Depth=1
	s_or_b32 exec_lo, exec_lo, s47
	s_barrier_signal -1
	s_barrier_wait -1
	s_and_saveexec_b32 s47, s96
	s_cbranch_execz .LBB108_969
; %bb.968:                              ;   in Loop: Header=BB108_3 Depth=1
	ds_load_b32 v25, v5 offset:13780
	s_wait_dscnt 0x0
	v_mul_f32_e32 v24, v24, v25
	ds_store_b32 v35, v24
.LBB108_969:                            ;   in Loop: Header=BB108_3 Depth=1
	s_or_b32 exec_lo, exec_lo, s47
	s_wait_dscnt 0x0
	s_barrier_signal -1
	s_barrier_wait -1
	s_and_saveexec_b32 s47, s97
	s_cbranch_execz .LBB108_971
; %bb.970:                              ;   in Loop: Header=BB108_3 Depth=1
	ds_load_b32 v25, v33 offset:13776
	ds_load_b32 v26, v35
	s_wait_dscnt 0x0
	v_fmac_f32_e32 v24, v25, v26
.LBB108_971:                            ;   in Loop: Header=BB108_3 Depth=1
	s_or_b32 exec_lo, exec_lo, s47
	s_barrier_signal -1
	s_barrier_wait -1
	;; [unrolled: 23-line block ×3, first 2 shown]
	s_and_saveexec_b32 s47, s99
	s_cbranch_execz .LBB108_977
; %bb.976:                              ;   in Loop: Header=BB108_3 Depth=1
	ds_load_b32 v25, v5 offset:14300
	s_wait_dscnt 0x0
	v_mul_f32_e32 v24, v24, v25
	ds_store_b32 v35, v24
.LBB108_977:                            ;   in Loop: Header=BB108_3 Depth=1
	s_or_b32 exec_lo, exec_lo, s47
	s_wait_dscnt 0x0
	s_barrier_signal -1
	s_barrier_wait -1
	s_barrier_signal -1
	s_barrier_wait -1
	s_and_saveexec_b32 s47, s4
; %bb.978:                              ;   in Loop: Header=BB108_3 Depth=1
	v_xor_b32_e32 v24, 0x80000000, v24
	ds_store_b32 v36, v24 offset:12496
; %bb.979:                              ;   in Loop: Header=BB108_3 Depth=1
	s_or_b32 exec_lo, exec_lo, s47
	s_wait_dscnt 0x0
	s_barrier_signal -1
	s_barrier_wait -1
	s_barrier_signal -1
	s_barrier_wait -1
	s_and_saveexec_b32 s47, s100
	s_cbranch_execz .LBB108_981
; %bb.980:                              ;   in Loop: Header=BB108_3 Depth=1
	ds_load_b32 v24, v51 offset:12496
	s_wait_dscnt 0x0
	ds_store_b32 v52, v24 offset:13504
	ds_load_b32 v24, v51 offset:12500
	s_wait_dscnt 0x0
	ds_store_b32 v52, v24 offset:13760
	;; [unrolled: 3-line block ×4, first 2 shown]
.LBB108_981:                            ;   in Loop: Header=BB108_3 Depth=1
	s_or_b32 exec_lo, exec_lo, s47
	s_wait_dscnt 0x0
	s_barrier_signal -1
	s_barrier_wait -1
	s_and_saveexec_b32 s47, s15
	s_cbranch_execz .LBB108_983
; %bb.982:                              ;   in Loop: Header=BB108_3 Depth=1
	ds_load_b64 v[24:25], v5 offset:13520
	ds_load_b32 v26, v5 offset:13780
	s_wait_dscnt 0x0
	v_mul_f32_e32 v24, v24, v26
	s_delay_alu instid0(VALU_DEP_1)
	v_mul_f32_e32 v24, v25, v24
	v_add_nc_u32_e64 v25, 0x3400, 0
	ds_store_2addr_b32 v25, v24, v24 offset0:53 offset1:116
.LBB108_983:                            ;   in Loop: Header=BB108_3 Depth=1
	s_or_b32 exec_lo, exec_lo, s47
	v_mov_b32_e32 v24, 0
	s_wait_dscnt 0x0
	s_barrier_signal -1
	s_barrier_wait -1
	s_and_saveexec_b32 s47, s2
	s_cbranch_execz .LBB108_987
; %bb.984:                              ;   in Loop: Header=BB108_3 Depth=1
	ds_load_b32 v24, v65 offset:13528
	ds_load_b32 v25, v29 offset:13520
	s_wait_dscnt 0x0
	v_fma_f32 v24, v24, v25, 0
	s_and_saveexec_b32 s48, s16
	s_cbranch_execz .LBB108_986
; %bb.985:                              ;   in Loop: Header=BB108_3 Depth=1
	ds_load_b32 v25, v52 offset:13784
	ds_load_b32 v26, v5 offset:13524
	s_wait_dscnt 0x0
	v_fmac_f32_e32 v24, v25, v26
.LBB108_986:                            ;   in Loop: Header=BB108_3 Depth=1
	s_or_b32 exec_lo, exec_lo, s48
	s_delay_alu instid0(VALU_DEP_1)
	v_xor_b32_e32 v24, 0x80000000, v24
.LBB108_987:                            ;   in Loop: Header=BB108_3 Depth=1
	s_or_b32 exec_lo, exec_lo, s47
	s_and_saveexec_b32 s47, s91
	s_cbranch_execz .LBB108_989
; %bb.988:                              ;   in Loop: Header=BB108_3 Depth=1
	ds_load_b32 v25, v5 offset:14040
	s_wait_dscnt 0x0
	v_mul_f32_e32 v24, v24, v25
	ds_store_b32 v3, v24
.LBB108_989:                            ;   in Loop: Header=BB108_3 Depth=1
	s_or_b32 exec_lo, exec_lo, s47
	s_wait_dscnt 0x0
	s_barrier_signal -1
	s_barrier_wait -1
	s_and_saveexec_b32 s47, s92
	s_cbranch_execz .LBB108_991
; %bb.990:                              ;   in Loop: Header=BB108_3 Depth=1
	ds_load_b32 v25, v5 offset:14044
	ds_load_b32 v26, v3
	s_wait_dscnt 0x0
	v_fmac_f32_e32 v24, v25, v26
.LBB108_991:                            ;   in Loop: Header=BB108_3 Depth=1
	s_or_b32 exec_lo, exec_lo, s47
	s_barrier_signal -1
	s_barrier_wait -1
	s_and_saveexec_b32 s47, s92
	s_cbranch_execz .LBB108_993
; %bb.992:                              ;   in Loop: Header=BB108_3 Depth=1
	ds_load_b32 v25, v5 offset:14300
	s_wait_dscnt 0x0
	v_mul_f32_e32 v24, v24, v25
	ds_store_b32 v3, v24
.LBB108_993:                            ;   in Loop: Header=BB108_3 Depth=1
	s_or_b32 exec_lo, exec_lo, s47
	s_wait_dscnt 0x0
	s_barrier_signal -1
	s_barrier_wait -1
	s_barrier_signal -1
	s_barrier_wait -1
	s_and_saveexec_b32 s47, s2
; %bb.994:                              ;   in Loop: Header=BB108_3 Depth=1
	v_xor_b32_e32 v24, 0x80000000, v24
	ds_store_b32 v65, v24 offset:13528
; %bb.995:                              ;   in Loop: Header=BB108_3 Depth=1
	s_or_b32 exec_lo, exec_lo, s47
	s_wait_dscnt 0x0
	s_barrier_signal -1
	s_barrier_wait -1
	s_barrier_signal -1
	s_barrier_wait -1
	s_and_saveexec_b32 s47, s93
	s_cbranch_execz .LBB108_997
; %bb.996:                              ;   in Loop: Header=BB108_3 Depth=1
	ds_load_b32 v24, v53 offset:13528
	s_wait_dscnt 0x0
	ds_store_b32 v52, v24 offset:14032
	ds_load_b32 v24, v53 offset:13532
	s_wait_dscnt 0x0
	ds_store_b32 v52, v24 offset:14288
.LBB108_997:                            ;   in Loop: Header=BB108_3 Depth=1
	s_or_b32 exec_lo, exec_lo, s47
	s_wait_dscnt 0x0
	s_barrier_signal -1
	s_barrier_wait -1
	s_and_saveexec_b32 s47, s15
	s_cbranch_execz .LBB108_999
; %bb.998:                              ;   in Loop: Header=BB108_3 Depth=1
	ds_load_b64 v[24:25], v5 offset:14040
	ds_load_b32 v26, v5 offset:14300
	s_wait_dscnt 0x0
	v_mul_f32_e32 v24, v24, v26
	s_delay_alu instid0(VALU_DEP_1)
	v_mul_f32_e32 v24, v25, v24
	v_add_nc_u32_e64 v25, 0x3400, 0
	ds_store_2addr_b32 v25, v24, v24 offset0:183 offset1:246
.LBB108_999:                            ;   in Loop: Header=BB108_3 Depth=1
	s_or_b32 exec_lo, exec_lo, s47
	v_mov_b32_e32 v24, 0
	s_wait_dscnt 0x0
	s_barrier_signal -1
	s_barrier_wait -1
	s_and_saveexec_b32 s47, s5
	s_cbranch_execz .LBB108_1009
; %bb.1000:                             ;   in Loop: Header=BB108_3 Depth=1
	ds_load_b32 v24, v42 offset:12512
	ds_load_b32 v25, v39 offset:12480
	s_wait_dscnt 0x0
	v_fma_f32 v24, v24, v25, 0
	s_and_saveexec_b32 s48, s19
	s_cbranch_execnz .LBB108_1249
; %bb.1001:                             ;   in Loop: Header=BB108_3 Depth=1
	s_or_b32 exec_lo, exec_lo, s48
	s_and_saveexec_b32 s48, s20
	s_cbranch_execnz .LBB108_1250
.LBB108_1002:                           ;   in Loop: Header=BB108_3 Depth=1
	s_or_b32 exec_lo, exec_lo, s48
	s_and_saveexec_b32 s48, s21
	s_cbranch_execnz .LBB108_1251
.LBB108_1003:                           ;   in Loop: Header=BB108_3 Depth=1
	s_or_b32 exec_lo, exec_lo, s48
	s_and_saveexec_b32 s48, s22
	s_cbranch_execnz .LBB108_1252
.LBB108_1004:                           ;   in Loop: Header=BB108_3 Depth=1
	s_or_b32 exec_lo, exec_lo, s48
	s_and_saveexec_b32 s48, s23
	s_cbranch_execnz .LBB108_1253
.LBB108_1005:                           ;   in Loop: Header=BB108_3 Depth=1
	s_or_b32 exec_lo, exec_lo, s48
	s_and_saveexec_b32 s48, s4
	s_cbranch_execnz .LBB108_1254
.LBB108_1006:                           ;   in Loop: Header=BB108_3 Depth=1
	s_or_b32 exec_lo, exec_lo, s48
	s_and_saveexec_b32 s48, s18
	s_cbranch_execz .LBB108_1008
.LBB108_1007:                           ;   in Loop: Header=BB108_3 Depth=1
	ds_load_b32 v25, v54 offset:14304
	ds_load_b32 v26, v5 offset:12508
	s_wait_dscnt 0x0
	v_fmac_f32_e32 v24, v25, v26
.LBB108_1008:                           ;   in Loop: Header=BB108_3 Depth=1
	s_or_b32 exec_lo, exec_lo, s48
	s_delay_alu instid0(VALU_DEP_1)
	v_xor_b32_e32 v24, 0x80000000, v24
.LBB108_1009:                           ;   in Loop: Header=BB108_3 Depth=1
	s_or_b32 exec_lo, exec_lo, s47
	s_and_saveexec_b32 s47, s101
	s_cbranch_execz .LBB108_1011
; %bb.1010:                             ;   in Loop: Header=BB108_3 Depth=1
	ds_load_b32 v25, v5 offset:14560
	s_wait_dscnt 0x0
	v_mul_f32_e32 v24, v24, v25
	ds_store_b32 v41, v24
.LBB108_1011:                           ;   in Loop: Header=BB108_3 Depth=1
	s_or_b32 exec_lo, exec_lo, s47
	s_wait_dscnt 0x0
	s_barrier_signal -1
	s_barrier_wait -1
	s_and_saveexec_b32 s47, s102
	s_cbranch_execz .LBB108_1013
; %bb.1012:                             ;   in Loop: Header=BB108_3 Depth=1
	ds_load_b32 v25, v40 offset:14560
	ds_load_b32 v26, v41
	s_wait_dscnt 0x0
	v_fmac_f32_e32 v24, v25, v26
.LBB108_1013:                           ;   in Loop: Header=BB108_3 Depth=1
	s_or_b32 exec_lo, exec_lo, s47
	s_barrier_signal -1
	s_barrier_wait -1
	s_and_saveexec_b32 s47, s103
	s_cbranch_execz .LBB108_1015
; %bb.1014:                             ;   in Loop: Header=BB108_3 Depth=1
	ds_load_b32 v25, v5 offset:14820
	s_wait_dscnt 0x0
	v_mul_f32_e32 v24, v24, v25
	ds_store_b32 v41, v24
.LBB108_1015:                           ;   in Loop: Header=BB108_3 Depth=1
	s_or_b32 exec_lo, exec_lo, s47
	s_wait_dscnt 0x0
	s_barrier_signal -1
	s_barrier_wait -1
	s_and_saveexec_b32 s47, s104
	s_cbranch_execz .LBB108_1017
; %bb.1016:                             ;   in Loop: Header=BB108_3 Depth=1
	ds_load_b32 v25, v40 offset:14816
	ds_load_b32 v26, v41
	s_wait_dscnt 0x0
	v_fmac_f32_e32 v24, v25, v26
.LBB108_1017:                           ;   in Loop: Header=BB108_3 Depth=1
	s_or_b32 exec_lo, exec_lo, s47
	s_barrier_signal -1
	s_barrier_wait -1
	s_and_saveexec_b32 s47, vcc_hi
	s_cbranch_execz .LBB108_1019
; %bb.1018:                             ;   in Loop: Header=BB108_3 Depth=1
	ds_load_b32 v25, v5 offset:15080
	s_wait_dscnt 0x0
	v_mul_f32_e32 v24, v24, v25
	ds_store_b32 v41, v24
.LBB108_1019:                           ;   in Loop: Header=BB108_3 Depth=1
	s_or_b32 exec_lo, exec_lo, s47
	s_wait_dscnt 0x0
	s_barrier_signal -1
	s_barrier_wait -1
	s_and_saveexec_b32 s47, s36
	s_cbranch_execz .LBB108_1021
; %bb.1020:                             ;   in Loop: Header=BB108_3 Depth=1
	ds_load_b32 v25, v40 offset:15072
	ds_load_b32 v26, v41
	s_wait_dscnt 0x0
	v_fmac_f32_e32 v24, v25, v26
.LBB108_1021:                           ;   in Loop: Header=BB108_3 Depth=1
	s_or_b32 exec_lo, exec_lo, s47
	s_barrier_signal -1
	s_barrier_wait -1
	s_and_saveexec_b32 s47, s37
	s_cbranch_execz .LBB108_1023
; %bb.1022:                             ;   in Loop: Header=BB108_3 Depth=1
	ds_load_b32 v25, v5 offset:15340
	s_wait_dscnt 0x0
	v_mul_f32_e32 v24, v24, v25
	ds_store_b32 v41, v24
.LBB108_1023:                           ;   in Loop: Header=BB108_3 Depth=1
	s_or_b32 exec_lo, exec_lo, s47
	s_wait_dscnt 0x0
	s_barrier_signal -1
	s_barrier_wait -1
	s_and_saveexec_b32 s47, s38
	s_cbranch_execz .LBB108_1025
; %bb.1024:                             ;   in Loop: Header=BB108_3 Depth=1
	ds_load_b32 v25, v40 offset:15328
	ds_load_b32 v26, v41
	s_wait_dscnt 0x0
	v_fmac_f32_e32 v24, v25, v26
.LBB108_1025:                           ;   in Loop: Header=BB108_3 Depth=1
	s_or_b32 exec_lo, exec_lo, s47
	s_barrier_signal -1
	s_barrier_wait -1
	s_and_saveexec_b32 s47, s39
	;; [unrolled: 23-line block ×5, first 2 shown]
	s_cbranch_execz .LBB108_1039
; %bb.1038:                             ;   in Loop: Header=BB108_3 Depth=1
	ds_load_b32 v25, v5 offset:16380
	s_wait_dscnt 0x0
	v_mul_f32_e32 v24, v24, v25
	ds_store_b32 v41, v24
.LBB108_1039:                           ;   in Loop: Header=BB108_3 Depth=1
	s_or_b32 exec_lo, exec_lo, s47
	s_wait_dscnt 0x0
	s_barrier_signal -1
	s_barrier_wait -1
	s_barrier_signal -1
	s_barrier_wait -1
	s_and_saveexec_b32 s47, s5
; %bb.1040:                             ;   in Loop: Header=BB108_3 Depth=1
	v_xor_b32_e32 v24, 0x80000000, v24
	ds_store_b32 v42, v24 offset:12512
; %bb.1041:                             ;   in Loop: Header=BB108_3 Depth=1
	s_or_b32 exec_lo, exec_lo, s47
	s_wait_dscnt 0x0
	s_barrier_signal -1
	s_barrier_wait -1
	s_barrier_signal -1
	s_barrier_wait -1
	s_and_saveexec_b32 s47, s45
	s_cbranch_execz .LBB108_1043
; %bb.1042:                             ;   in Loop: Header=BB108_3 Depth=1
	ds_load_b32 v24, v55 offset:12512
	s_wait_dscnt 0x0
	ds_store_b32 v56, v24 offset:14528
	ds_load_b32 v24, v55 offset:12516
	s_wait_dscnt 0x0
	ds_store_b32 v56, v24 offset:14784
	;; [unrolled: 3-line block ×8, first 2 shown]
.LBB108_1043:                           ;   in Loop: Header=BB108_3 Depth=1
	s_or_b32 exec_lo, exec_lo, s47
	s_wait_dscnt 0x0
	s_barrier_signal -1
	s_barrier_wait -1
	s_and_saveexec_b32 s47, s15
	s_cbranch_execz .LBB108_1045
; %bb.1044:                             ;   in Loop: Header=BB108_3 Depth=1
	ds_load_b64 v[24:25], v5 offset:14560
	ds_load_b32 v26, v5 offset:14820
	s_wait_dscnt 0x0
	v_mul_f32_e32 v24, v24, v26
	s_delay_alu instid0(VALU_DEP_1)
	v_mul_f32_e32 v24, v25, v24
	v_add_nc_u32_e64 v25, 0x3800, 0
	ds_store_2addr_b32 v25, v24, v24 offset0:57 offset1:120
.LBB108_1045:                           ;   in Loop: Header=BB108_3 Depth=1
	s_or_b32 exec_lo, exec_lo, s47
	v_mov_b32_e32 v24, 0
	s_wait_dscnt 0x0
	s_barrier_signal -1
	s_barrier_wait -1
	s_and_saveexec_b32 s47, s2
	s_cbranch_execz .LBB108_1049
; %bb.1046:                             ;   in Loop: Header=BB108_3 Depth=1
	ds_load_b32 v24, v65 offset:14568
	ds_load_b32 v25, v29 offset:14560
	s_wait_dscnt 0x0
	v_fma_f32 v24, v24, v25, 0
	s_and_saveexec_b32 s48, s16
	s_cbranch_execz .LBB108_1048
; %bb.1047:                             ;   in Loop: Header=BB108_3 Depth=1
	ds_load_b32 v25, v56 offset:14824
	ds_load_b32 v26, v5 offset:14564
	s_wait_dscnt 0x0
	v_fmac_f32_e32 v24, v25, v26
.LBB108_1048:                           ;   in Loop: Header=BB108_3 Depth=1
	s_or_b32 exec_lo, exec_lo, s48
	s_delay_alu instid0(VALU_DEP_1)
	v_xor_b32_e32 v24, 0x80000000, v24
.LBB108_1049:                           ;   in Loop: Header=BB108_3 Depth=1
	s_or_b32 exec_lo, exec_lo, s47
	s_and_saveexec_b32 s47, s91
	s_cbranch_execz .LBB108_1051
; %bb.1050:                             ;   in Loop: Header=BB108_3 Depth=1
	ds_load_b32 v25, v5 offset:15080
	s_wait_dscnt 0x0
	v_mul_f32_e32 v24, v24, v25
	ds_store_b32 v3, v24
.LBB108_1051:                           ;   in Loop: Header=BB108_3 Depth=1
	s_or_b32 exec_lo, exec_lo, s47
	s_wait_dscnt 0x0
	s_barrier_signal -1
	s_barrier_wait -1
	s_and_saveexec_b32 s47, s92
	s_cbranch_execz .LBB108_1053
; %bb.1052:                             ;   in Loop: Header=BB108_3 Depth=1
	ds_load_b32 v25, v5 offset:15084
	ds_load_b32 v26, v3
	s_wait_dscnt 0x0
	v_fmac_f32_e32 v24, v25, v26
.LBB108_1053:                           ;   in Loop: Header=BB108_3 Depth=1
	s_or_b32 exec_lo, exec_lo, s47
	s_barrier_signal -1
	s_barrier_wait -1
	s_and_saveexec_b32 s47, s92
	s_cbranch_execz .LBB108_1055
; %bb.1054:                             ;   in Loop: Header=BB108_3 Depth=1
	ds_load_b32 v25, v5 offset:15340
	s_wait_dscnt 0x0
	v_mul_f32_e32 v24, v24, v25
	ds_store_b32 v3, v24
.LBB108_1055:                           ;   in Loop: Header=BB108_3 Depth=1
	s_or_b32 exec_lo, exec_lo, s47
	s_wait_dscnt 0x0
	s_barrier_signal -1
	s_barrier_wait -1
	s_barrier_signal -1
	s_barrier_wait -1
	s_and_saveexec_b32 s47, s2
; %bb.1056:                             ;   in Loop: Header=BB108_3 Depth=1
	v_xor_b32_e32 v24, 0x80000000, v24
	ds_store_b32 v65, v24 offset:14568
; %bb.1057:                             ;   in Loop: Header=BB108_3 Depth=1
	s_or_b32 exec_lo, exec_lo, s47
	s_wait_dscnt 0x0
	s_barrier_signal -1
	s_barrier_wait -1
	s_barrier_signal -1
	s_barrier_wait -1
	s_and_saveexec_b32 s47, s93
	s_cbranch_execz .LBB108_1059
; %bb.1058:                             ;   in Loop: Header=BB108_3 Depth=1
	ds_load_b32 v24, v57 offset:14568
	s_wait_dscnt 0x0
	ds_store_b32 v56, v24 offset:15072
	ds_load_b32 v24, v57 offset:14572
	s_wait_dscnt 0x0
	ds_store_b32 v56, v24 offset:15328
.LBB108_1059:                           ;   in Loop: Header=BB108_3 Depth=1
	s_or_b32 exec_lo, exec_lo, s47
	s_wait_dscnt 0x0
	s_barrier_signal -1
	s_barrier_wait -1
	s_and_saveexec_b32 s47, s15
	s_cbranch_execz .LBB108_1061
; %bb.1060:                             ;   in Loop: Header=BB108_3 Depth=1
	ds_load_b64 v[24:25], v5 offset:15080
	ds_load_b32 v26, v5 offset:15340
	s_wait_dscnt 0x0
	v_mul_f32_e32 v24, v24, v26
	s_delay_alu instid0(VALU_DEP_1)
	v_mul_f32_e32 v24, v25, v24
	v_add_nc_u32_e64 v25, 0x3800, 0
	ds_store_2addr_b32 v25, v24, v24 offset0:187 offset1:250
.LBB108_1061:                           ;   in Loop: Header=BB108_3 Depth=1
	s_or_b32 exec_lo, exec_lo, s47
	v_mov_b32_e32 v24, 0
	s_wait_dscnt 0x0
	s_barrier_signal -1
	s_barrier_wait -1
	s_and_saveexec_b32 s47, s4
	s_cbranch_execz .LBB108_1067
; %bb.1062:                             ;   in Loop: Header=BB108_3 Depth=1
	ds_load_b32 v24, v36 offset:14576
	ds_load_b32 v25, v31 offset:14560
	s_wait_dscnt 0x0
	v_fma_f32 v24, v24, v25, 0
	s_and_saveexec_b32 s48, s17
	s_cbranch_execnz .LBB108_1255
; %bb.1063:                             ;   in Loop: Header=BB108_3 Depth=1
	s_or_b32 exec_lo, exec_lo, s48
	s_and_saveexec_b32 s48, s18
	s_cbranch_execnz .LBB108_1256
.LBB108_1064:                           ;   in Loop: Header=BB108_3 Depth=1
	s_or_b32 exec_lo, exec_lo, s48
	s_and_saveexec_b32 s48, s2
	s_cbranch_execz .LBB108_1066
.LBB108_1065:                           ;   in Loop: Header=BB108_3 Depth=1
	ds_load_b32 v25, v58 offset:15344
	ds_load_b32 v26, v5 offset:14572
	s_wait_dscnt 0x0
	v_fmac_f32_e32 v24, v25, v26
.LBB108_1066:                           ;   in Loop: Header=BB108_3 Depth=1
	s_or_b32 exec_lo, exec_lo, s48
	s_delay_alu instid0(VALU_DEP_1)
	v_xor_b32_e32 v24, 0x80000000, v24
.LBB108_1067:                           ;   in Loop: Header=BB108_3 Depth=1
	s_or_b32 exec_lo, exec_lo, s47
	s_and_saveexec_b32 s47, s94
	s_cbranch_execz .LBB108_1069
; %bb.1068:                             ;   in Loop: Header=BB108_3 Depth=1
	ds_load_b32 v25, v5 offset:15600
	s_wait_dscnt 0x0
	v_mul_f32_e32 v24, v24, v25
	ds_store_b32 v35, v24
.LBB108_1069:                           ;   in Loop: Header=BB108_3 Depth=1
	s_or_b32 exec_lo, exec_lo, s47
	s_wait_dscnt 0x0
	s_barrier_signal -1
	s_barrier_wait -1
	s_and_saveexec_b32 s47, s95
	s_cbranch_execz .LBB108_1071
; %bb.1070:                             ;   in Loop: Header=BB108_3 Depth=1
	ds_load_b32 v25, v33 offset:15600
	ds_load_b32 v26, v35
	s_wait_dscnt 0x0
	v_fmac_f32_e32 v24, v25, v26
.LBB108_1071:                           ;   in Loop: Header=BB108_3 Depth=1
	s_or_b32 exec_lo, exec_lo, s47
	s_barrier_signal -1
	s_barrier_wait -1
	s_and_saveexec_b32 s47, s96
	s_cbranch_execz .LBB108_1073
; %bb.1072:                             ;   in Loop: Header=BB108_3 Depth=1
	ds_load_b32 v25, v5 offset:15860
	s_wait_dscnt 0x0
	v_mul_f32_e32 v24, v24, v25
	ds_store_b32 v35, v24
.LBB108_1073:                           ;   in Loop: Header=BB108_3 Depth=1
	s_or_b32 exec_lo, exec_lo, s47
	s_wait_dscnt 0x0
	s_barrier_signal -1
	s_barrier_wait -1
	s_and_saveexec_b32 s47, s97
	s_cbranch_execz .LBB108_1075
; %bb.1074:                             ;   in Loop: Header=BB108_3 Depth=1
	ds_load_b32 v25, v33 offset:15856
	ds_load_b32 v26, v35
	s_wait_dscnt 0x0
	v_fmac_f32_e32 v24, v25, v26
.LBB108_1075:                           ;   in Loop: Header=BB108_3 Depth=1
	s_or_b32 exec_lo, exec_lo, s47
	s_barrier_signal -1
	s_barrier_wait -1
	;; [unrolled: 23-line block ×3, first 2 shown]
	s_and_saveexec_b32 s47, s99
	s_cbranch_execz .LBB108_1081
; %bb.1080:                             ;   in Loop: Header=BB108_3 Depth=1
	ds_load_b32 v25, v5 offset:16380
	s_wait_dscnt 0x0
	v_mul_f32_e32 v24, v24, v25
	ds_store_b32 v35, v24
.LBB108_1081:                           ;   in Loop: Header=BB108_3 Depth=1
	s_or_b32 exec_lo, exec_lo, s47
	s_wait_dscnt 0x0
	s_barrier_signal -1
	s_barrier_wait -1
	s_barrier_signal -1
	s_barrier_wait -1
	s_and_saveexec_b32 s47, s4
; %bb.1082:                             ;   in Loop: Header=BB108_3 Depth=1
	v_xor_b32_e32 v24, 0x80000000, v24
	ds_store_b32 v36, v24 offset:14576
; %bb.1083:                             ;   in Loop: Header=BB108_3 Depth=1
	s_or_b32 exec_lo, exec_lo, s47
	s_wait_dscnt 0x0
	s_barrier_signal -1
	s_barrier_wait -1
	s_barrier_signal -1
	s_barrier_wait -1
	s_and_saveexec_b32 s47, s100
	s_cbranch_execz .LBB108_1085
; %bb.1084:                             ;   in Loop: Header=BB108_3 Depth=1
	ds_load_b32 v24, v59 offset:14576
	s_wait_dscnt 0x0
	ds_store_b32 v60, v24 offset:15584
	ds_load_b32 v24, v59 offset:14580
	s_wait_dscnt 0x0
	ds_store_b32 v60, v24 offset:15840
	;; [unrolled: 3-line block ×4, first 2 shown]
.LBB108_1085:                           ;   in Loop: Header=BB108_3 Depth=1
	s_or_b32 exec_lo, exec_lo, s47
	s_wait_dscnt 0x0
	s_barrier_signal -1
	s_barrier_wait -1
	s_and_saveexec_b32 s47, s15
	s_cbranch_execz .LBB108_1087
; %bb.1086:                             ;   in Loop: Header=BB108_3 Depth=1
	ds_load_b64 v[24:25], v5 offset:15600
	ds_load_b32 v26, v5 offset:15860
	s_wait_dscnt 0x0
	v_mul_f32_e32 v24, v24, v26
	s_delay_alu instid0(VALU_DEP_1)
	v_mul_f32_e32 v24, v25, v24
	v_add_nc_u32_e64 v25, 0x3c00, 0
	ds_store_2addr_b32 v25, v24, v24 offset0:61 offset1:124
.LBB108_1087:                           ;   in Loop: Header=BB108_3 Depth=1
	s_or_b32 exec_lo, exec_lo, s47
	v_mov_b32_e32 v24, 0
	s_wait_dscnt 0x0
	s_barrier_signal -1
	s_barrier_wait -1
	s_and_saveexec_b32 s47, s2
	s_cbranch_execz .LBB108_1091
; %bb.1088:                             ;   in Loop: Header=BB108_3 Depth=1
	ds_load_b32 v24, v65 offset:15608
	ds_load_b32 v25, v29 offset:15600
	s_wait_dscnt 0x0
	v_fma_f32 v24, v24, v25, 0
	s_and_saveexec_b32 s48, s16
	s_cbranch_execz .LBB108_1090
; %bb.1089:                             ;   in Loop: Header=BB108_3 Depth=1
	ds_load_b32 v25, v60 offset:15864
	ds_load_b32 v26, v5 offset:15604
	s_wait_dscnt 0x0
	v_fmac_f32_e32 v24, v25, v26
.LBB108_1090:                           ;   in Loop: Header=BB108_3 Depth=1
	s_or_b32 exec_lo, exec_lo, s48
	s_delay_alu instid0(VALU_DEP_1)
	v_xor_b32_e32 v24, 0x80000000, v24
.LBB108_1091:                           ;   in Loop: Header=BB108_3 Depth=1
	s_or_b32 exec_lo, exec_lo, s47
	s_and_saveexec_b32 s47, s91
	s_cbranch_execz .LBB108_1093
; %bb.1092:                             ;   in Loop: Header=BB108_3 Depth=1
	ds_load_b32 v25, v5 offset:16120
	s_wait_dscnt 0x0
	v_mul_f32_e32 v24, v24, v25
	ds_store_b32 v3, v24
.LBB108_1093:                           ;   in Loop: Header=BB108_3 Depth=1
	s_or_b32 exec_lo, exec_lo, s47
	s_wait_dscnt 0x0
	s_barrier_signal -1
	s_barrier_wait -1
	s_and_saveexec_b32 s47, s92
	s_cbranch_execz .LBB108_1095
; %bb.1094:                             ;   in Loop: Header=BB108_3 Depth=1
	ds_load_b32 v25, v5 offset:16124
	ds_load_b32 v26, v3
	s_wait_dscnt 0x0
	v_fmac_f32_e32 v24, v25, v26
.LBB108_1095:                           ;   in Loop: Header=BB108_3 Depth=1
	s_or_b32 exec_lo, exec_lo, s47
	s_barrier_signal -1
	s_barrier_wait -1
	s_and_saveexec_b32 s47, s92
	s_cbranch_execz .LBB108_1097
; %bb.1096:                             ;   in Loop: Header=BB108_3 Depth=1
	ds_load_b32 v25, v5 offset:16380
	s_wait_dscnt 0x0
	v_mul_f32_e32 v24, v24, v25
	ds_store_b32 v3, v24
.LBB108_1097:                           ;   in Loop: Header=BB108_3 Depth=1
	s_or_b32 exec_lo, exec_lo, s47
	s_wait_dscnt 0x0
	s_barrier_signal -1
	s_barrier_wait -1
	s_barrier_signal -1
	s_barrier_wait -1
	s_and_saveexec_b32 s47, s2
; %bb.1098:                             ;   in Loop: Header=BB108_3 Depth=1
	v_xor_b32_e32 v24, 0x80000000, v24
	ds_store_b32 v65, v24 offset:15608
; %bb.1099:                             ;   in Loop: Header=BB108_3 Depth=1
	s_or_b32 exec_lo, exec_lo, s47
	s_wait_dscnt 0x0
	s_barrier_signal -1
	s_barrier_wait -1
	s_barrier_signal -1
	s_barrier_wait -1
	s_and_saveexec_b32 s47, s93
	s_cbranch_execz .LBB108_1101
; %bb.1100:                             ;   in Loop: Header=BB108_3 Depth=1
	ds_load_b32 v24, v61 offset:15608
	s_wait_dscnt 0x0
	ds_store_b32 v60, v24 offset:16112
	ds_load_b32 v24, v61 offset:15612
	s_wait_dscnt 0x0
	ds_store_b32 v60, v24 offset:16368
.LBB108_1101:                           ;   in Loop: Header=BB108_3 Depth=1
	s_or_b32 exec_lo, exec_lo, s47
	s_wait_dscnt 0x0
	s_barrier_signal -1
	s_barrier_wait -1
	s_and_saveexec_b32 s47, s15
	s_cbranch_execz .LBB108_1103
; %bb.1102:                             ;   in Loop: Header=BB108_3 Depth=1
	ds_load_b64 v[24:25], v5 offset:16120
	ds_load_b32 v26, v5 offset:16380
	s_wait_dscnt 0x0
	v_mul_f32_e32 v24, v24, v26
	s_delay_alu instid0(VALU_DEP_1)
	v_mul_f32_e32 v24, v25, v24
	v_add_nc_u32_e64 v25, 0x3c00, 0
	ds_store_2addr_b32 v25, v24, v24 offset0:191 offset1:254
.LBB108_1103:                           ;   in Loop: Header=BB108_3 Depth=1
	s_or_b32 exec_lo, exec_lo, s47
.LBB108_1104:                           ;   in Loop: Header=BB108_3 Depth=1
	v_add_nc_u64_e32 v[22:23], s[72:73], v[22:23]
	v_mov_b32_e32 v85, 0
	s_wait_dscnt 0x0
	s_barrier_signal -1
	s_barrier_wait -1
	s_and_saveexec_b32 s47, s12
	s_cbranch_execz .LBB108_1106
; %bb.1105:                             ;   in Loop: Header=BB108_3 Depth=1
	v_lshl_add_u64 v[24:25], v[16:17], 2, v[22:23]
	flat_load_b32 v24, v[24:25]
	s_wait_loadcnt_dscnt 0x0
	v_mul_f32_e64 v85, v24, -v84
.LBB108_1106:                           ;   in Loop: Header=BB108_3 Depth=1
	s_or_b32 exec_lo, exec_lo, s47
	s_delay_alu instid0(SALU_CYCLE_1)
	s_and_not1_b32 vcc_lo, exec_lo, s11
	s_cbranch_vccnz .LBB108_1132
; %bb.1107:                             ;   in Loop: Header=BB108_3 Depth=1
	v_mov_b32_e32 v84, -1
	s_lshl_b64 s[48:49], s[66:67], 2
	s_mov_b32 s47, 0
	s_wait_kmcnt 0x0
	s_add_nc_u64 s[84:85], s[82:83], s[48:49]
	s_branch .LBB108_1110
.LBB108_1108:                           ;   in Loop: Header=BB108_1110 Depth=2
	s_wait_xcnt 0x0
	ds_load_b32 v24, v68 offset:192
	s_wait_loadcnt_dscnt 0x0
	v_fmac_f32_e32 v85, v26, v24
.LBB108_1109:                           ;   in Loop: Header=BB108_1110 Depth=2
	s_or_b32 exec_lo, exec_lo, s48
	s_add_co_i32 s47, s47, 1
	s_delay_alu instid0(SALU_CYCLE_1)
	s_cmp_eq_u32 s47, s86
	s_cbranch_scc1 .LBB108_1132
.LBB108_1110:                           ;   Parent Loop BB108_3 Depth=1
                                        ; =>  This Loop Header: Depth=2
                                        ;       Child Loop BB108_1112 Depth 3
	v_cmp_gt_i32_e32 vcc_lo, s47, v84
	s_and_b32 s49, s59, vcc_lo
	s_delay_alu instid0(SALU_CYCLE_1)
	s_and_saveexec_b32 s48, s49
	s_cbranch_execz .LBB108_1113
; %bb.1111:                             ;   in Loop: Header=BB108_1110 Depth=2
	global_load_b32 v84, v5, s[84:85]
	s_wait_loadcnt 0x0
	v_cmp_le_i32_e32 vcc_lo, s47, v84
	s_cbranch_vccnz .LBB108_1113
.LBB108_1112:                           ;   Parent Loop BB108_3 Depth=1
                                        ;     Parent Loop BB108_1110 Depth=2
                                        ; =>    This Inner Loop Header: Depth=3
	global_wb scope:SCOPE_DEV
	s_wait_storecnt 0x0
	global_inv scope:SCOPE_DEV
	global_load_b32 v84, v5, s[84:85]
	s_wait_loadcnt 0x0
	v_cmp_gt_i32_e32 vcc_lo, s47, v84
	s_cbranch_vccnz .LBB108_1112
.LBB108_1113:                           ;   in Loop: Header=BB108_1110 Depth=2
	s_or_b32 exec_lo, exec_lo, s48
	s_sub_co_i32 s48, s87, s47
	global_wb scope:SCOPE_DEV
	s_wait_storecnt 0x0
	global_inv scope:SCOPE_DEV
	s_lshl_b32 s49, s48, 6
	s_wait_loadcnt 0x0
	s_barrier_signal -1
	s_barrier_wait -1
	s_and_saveexec_b32 s50, s60
	s_cbranch_execz .LBB108_1117
; %bb.1114:                             ;   in Loop: Header=BB108_1110 Depth=2
	s_ashr_i32 s51, s49, 31
	s_delay_alu instid0(SALU_CYCLE_1) | instskip(SKIP_2) | instid1(VALU_DEP_1)
	v_dual_mov_b32 v26, 0 :: v_dual_mov_b32 v25, s51
	v_or_b32_e32 v24, s49, v4
	s_mov_b32 s51, exec_lo
	v_cmpx_gt_i64_e64 s[80:81], v[24:25]
	s_cbranch_execz .LBB108_1116
; %bb.1115:                             ;   in Loop: Header=BB108_1110 Depth=2
	v_mul_u64_e32 v[24:25], s[74:75], v[24:25]
	s_delay_alu instid0(VALU_DEP_1)
	v_lshl_add_u64 v[24:25], v[24:25], 2, v[22:23]
	flat_load_b32 v26, v[24:25]
.LBB108_1116:                           ;   in Loop: Header=BB108_1110 Depth=2
	s_wait_xcnt 0x0
	s_or_b32 exec_lo, exec_lo, s51
	s_wait_loadcnt_dscnt 0x0
	ds_store_b32 v67, v26
.LBB108_1117:                           ;   in Loop: Header=BB108_1110 Depth=2
	s_or_b32 exec_lo, exec_lo, s50
	v_add_nc_u32_e32 v26, s49, v28
	s_cmp_lg_u32 s48, s46
	s_wait_dscnt 0x0
	s_cselect_b32 s49, -1, 0
	s_barrier_signal -1
	v_ashrrev_i32_e32 v27, 31, v26
	v_cmp_gt_i32_e32 vcc_lo, s80, v26
	s_barrier_wait -1
	s_delay_alu instid0(VALU_DEP_2) | instskip(SKIP_2) | instid1(SALU_CYCLE_1)
	v_lshl_add_u64 v[24:25], v[26:27], 2, v[20:21]
	v_cndmask_b32_e64 v27, 0, 1, s49
	s_and_b32 s50, vcc_lo, s0
	s_and_saveexec_b32 s48, s50
	s_cbranch_execz .LBB108_1121
; %bb.1118:                             ;   in Loop: Header=BB108_1110 Depth=2
	v_mov_b32_e32 v86, v80
	s_and_not1_b32 vcc_lo, exec_lo, s49
	s_cbranch_vccnz .LBB108_1120
; %bb.1119:                             ;   in Loop: Header=BB108_1110 Depth=2
	flat_load_b32 v86, v[24:25]
.LBB108_1120:                           ;   in Loop: Header=BB108_1110 Depth=2
	ds_load_b32 v87, v68
	s_wait_loadcnt_dscnt 0x0
	v_fmac_f32_e32 v85, v86, v87
.LBB108_1121:                           ;   in Loop: Header=BB108_1110 Depth=2
	s_or_b32 exec_lo, exec_lo, s48
	v_add_nc_u32_e32 v86, 16, v26
	s_delay_alu instid0(VALU_DEP_1) | instskip(SKIP_1) | instid1(SALU_CYCLE_1)
	v_cmp_gt_i32_e32 vcc_lo, s80, v86
	s_and_b32 s49, vcc_lo, s0
	s_and_saveexec_b32 s48, s49
	s_cbranch_execz .LBB108_1125
; %bb.1122:                             ;   in Loop: Header=BB108_1110 Depth=2
	v_cmp_ne_u32_e32 vcc_lo, 1, v27
	v_mov_b32_e32 v86, v81
	s_cbranch_vccnz .LBB108_1124
; %bb.1123:                             ;   in Loop: Header=BB108_1110 Depth=2
	flat_load_b32 v86, v[24:25] offset:64
.LBB108_1124:                           ;   in Loop: Header=BB108_1110 Depth=2
	ds_load_b32 v87, v68 offset:64
	s_wait_loadcnt_dscnt 0x0
	v_fmac_f32_e32 v85, v86, v87
.LBB108_1125:                           ;   in Loop: Header=BB108_1110 Depth=2
	s_or_b32 exec_lo, exec_lo, s48
	v_add_nc_u32_e32 v86, 32, v26
	s_delay_alu instid0(VALU_DEP_1) | instskip(SKIP_1) | instid1(SALU_CYCLE_1)
	v_cmp_gt_i32_e32 vcc_lo, s80, v86
	s_and_b32 s49, vcc_lo, s0
	s_and_saveexec_b32 s48, s49
	s_cbranch_execz .LBB108_1129
; %bb.1126:                             ;   in Loop: Header=BB108_1110 Depth=2
	v_cmp_ne_u32_e32 vcc_lo, 1, v27
	v_mov_b32_e32 v86, v82
	s_cbranch_vccnz .LBB108_1128
; %bb.1127:                             ;   in Loop: Header=BB108_1110 Depth=2
	flat_load_b32 v86, v[24:25] offset:128
.LBB108_1128:                           ;   in Loop: Header=BB108_1110 Depth=2
	ds_load_b32 v87, v68 offset:128
	s_wait_loadcnt_dscnt 0x0
	v_fmac_f32_e32 v85, v86, v87
.LBB108_1129:                           ;   in Loop: Header=BB108_1110 Depth=2
	s_or_b32 exec_lo, exec_lo, s48
	v_add_nc_u32_e32 v26, 48, v26
	s_delay_alu instid0(VALU_DEP_1) | instskip(SKIP_1) | instid1(SALU_CYCLE_1)
	v_cmp_gt_i32_e32 vcc_lo, s80, v26
	s_and_b32 s49, vcc_lo, s0
	s_and_saveexec_b32 s48, s49
	s_cbranch_execz .LBB108_1109
; %bb.1130:                             ;   in Loop: Header=BB108_1110 Depth=2
	v_cmp_ne_u32_e32 vcc_lo, 1, v27
	v_mov_b32_e32 v26, v83
	s_cbranch_vccnz .LBB108_1108
; %bb.1131:                             ;   in Loop: Header=BB108_1110 Depth=2
	flat_load_b32 v26, v[24:25] offset:192
	s_branch .LBB108_1108
.LBB108_1132:                           ;   in Loop: Header=BB108_3 Depth=1
	ds_store_b32 v69, v85
	s_wait_dscnt 0x0
	s_barrier_signal -1
	s_barrier_wait -1
	s_and_saveexec_b32 s47, s3
	s_cbranch_execz .LBB108_1134
; %bb.1133:                             ;   in Loop: Header=BB108_3 Depth=1
	ds_load_2addr_stride64_b32 v[20:21], v70 offset0:1 offset1:2
	ds_load_2addr_stride64_b32 v[24:25], v70 offset0:3 offset1:4
	ds_load_2addr_stride64_b32 v[26:27], v70 offset0:5 offset1:6
	ds_load_2addr_stride64_b32 v[86:87], v70 offset0:7 offset1:8
	v_readlane_b32 s48, v91, 6
	s_wait_dscnt 0x3
	v_add_f32_e32 v20, v85, v20
	s_delay_alu instid0(VALU_DEP_1) | instskip(SKIP_1) | instid1(VALU_DEP_1)
	v_add_f32_e32 v20, v20, v21
	s_wait_dscnt 0x2
	v_add_f32_e32 v20, v20, v24
	s_delay_alu instid0(VALU_DEP_1) | instskip(SKIP_1) | instid1(VALU_DEP_1)
	v_add_f32_e32 v20, v20, v25
	s_wait_dscnt 0x1
	v_add_f32_e32 v24, v20, v26
	ds_load_2addr_stride64_b32 v[20:21], v70 offset0:9 offset1:10
	v_add_f32_e32 v24, v24, v27
	s_wait_dscnt 0x1
	s_delay_alu instid0(VALU_DEP_1)
	v_add_f32_e32 v26, v24, v86
	ds_load_2addr_stride64_b32 v[24:25], v70 offset0:11 offset1:12
	v_add_f32_e32 v84, v26, v87
	ds_load_2addr_stride64_b32 v[26:27], v70 offset0:13 offset1:14
	ds_load_b32 v85, v70 offset:3840
	s_wait_dscnt 0x3
	v_add_f32_e32 v20, v84, v20
	s_delay_alu instid0(VALU_DEP_1) | instskip(SKIP_1) | instid1(VALU_DEP_1)
	v_add_f32_e32 v20, v20, v21
	s_wait_dscnt 0x2
	v_add_f32_e32 v20, v20, v24
	s_delay_alu instid0(VALU_DEP_1) | instskip(SKIP_1) | instid1(VALU_DEP_1)
	v_add_f32_e32 v20, v20, v25
	;; [unrolled: 4-line block ×3, first 2 shown]
	s_wait_dscnt 0x0
	v_add_f32_e32 v20, v20, v85
	s_delay_alu instid0(VALU_DEP_1)
	v_cndmask_b32_e64 v85, -v20, 0, s48
.LBB108_1134:                           ;   in Loop: Header=BB108_3 Depth=1
	s_or_b32 exec_lo, exec_lo, s47
	s_delay_alu instid0(SALU_CYCLE_1)
	s_and_not1_b32 vcc_lo, exec_lo, s90
	s_cbranch_vccnz .LBB108_1144
; %bb.1135:                             ;   in Loop: Header=BB108_3 Depth=1
	s_and_saveexec_b32 s47, s3
; %bb.1136:                             ;   in Loop: Header=BB108_3 Depth=1
	ds_store_b32 v72, v85
; %bb.1137:                             ;   in Loop: Header=BB108_3 Depth=1
	s_or_b32 exec_lo, exec_lo, s47
	v_mov_b32_e32 v20, 0
	s_wait_dscnt 0x0
	s_barrier_signal -1
	s_barrier_wait -1
	s_and_saveexec_b32 s47, s1
	s_cbranch_execnz .LBB108_1200
; %bb.1138:                             ;   in Loop: Header=BB108_3 Depth=1
	s_or_b32 exec_lo, exec_lo, s47
	s_and_saveexec_b32 s47, s8
	s_cbranch_execnz .LBB108_1201
.LBB108_1139:                           ;   in Loop: Header=BB108_3 Depth=1
	s_or_b32 exec_lo, exec_lo, s47
	s_and_saveexec_b32 s47, s9
	s_cbranch_execnz .LBB108_1202
.LBB108_1140:                           ;   in Loop: Header=BB108_3 Depth=1
	s_or_b32 exec_lo, exec_lo, s47
	s_and_saveexec_b32 s47, s10
	s_cbranch_execz .LBB108_1142
.LBB108_1141:                           ;   in Loop: Header=BB108_3 Depth=1
	ds_load_b32 v21, v71 offset:12288
	ds_load_b32 v24, v68 offset:192
	s_wait_dscnt 0x0
	v_fmac_f32_e32 v20, v21, v24
.LBB108_1142:                           ;   in Loop: Header=BB108_3 Depth=1
	s_or_b32 exec_lo, exec_lo, s47
	s_mov_b32 s47, 0
	s_mov_b32 s84, 0
	ds_store_b32 v69, v20
	s_wait_dscnt 0x0
	s_barrier_signal -1
	s_barrier_wait -1
                                        ; implicit-def: $vgpr21
	s_and_saveexec_b32 s85, s3
	s_cbranch_execz .LBB108_1203
; %bb.1143:                             ;   in Loop: Header=BB108_3 Depth=1
	ds_load_2addr_stride64_b32 v[24:25], v70 offset0:1 offset1:2
	ds_load_2addr_stride64_b32 v[26:27], v70 offset0:3 offset1:4
	;; [unrolled: 1-line block ×4, first 2 shown]
	s_mov_b32 s84, exec_lo
	s_wait_dscnt 0x3
	v_add_f32_e32 v20, v20, v24
	s_delay_alu instid0(VALU_DEP_1) | instskip(SKIP_1) | instid1(VALU_DEP_1)
	v_add_f32_e32 v20, v25, v20
	s_wait_dscnt 0x2
	v_add_f32_e32 v20, v26, v20
	s_delay_alu instid0(VALU_DEP_1) | instskip(SKIP_1) | instid1(VALU_DEP_1)
	v_add_f32_e32 v20, v27, v20
	s_wait_dscnt 0x1
	v_add_f32_e32 v24, v86, v20
	ds_load_2addr_stride64_b32 v[20:21], v70 offset0:9 offset1:10
	v_add_f32_e32 v24, v87, v24
	s_wait_dscnt 0x1
	s_delay_alu instid0(VALU_DEP_1)
	v_add_f32_e32 v26, v88, v24
	ds_load_2addr_stride64_b32 v[24:25], v70 offset0:11 offset1:12
	v_add_f32_e32 v84, v89, v26
	ds_load_2addr_stride64_b32 v[26:27], v70 offset0:13 offset1:14
	ds_load_b32 v86, v70 offset:3840
	s_wait_dscnt 0x3
	v_add_f32_e32 v20, v20, v84
	s_delay_alu instid0(VALU_DEP_1) | instskip(SKIP_1) | instid1(VALU_DEP_1)
	v_add_f32_e32 v20, v21, v20
	s_wait_dscnt 0x2
	v_add_f32_e32 v20, v24, v20
	s_delay_alu instid0(VALU_DEP_1) | instskip(SKIP_1) | instid1(VALU_DEP_1)
	v_add_f32_e32 v20, v25, v20
	;; [unrolled: 4-line block ×3, first 2 shown]
	s_wait_dscnt 0x0
	v_add_f32_e32 v21, v86, v20
	s_or_b32 exec_lo, exec_lo, s85
	s_delay_alu instid0(SALU_CYCLE_1)
	s_and_b32 vcc_lo, exec_lo, s47
	s_cbranch_vccnz .LBB108_1145
	s_branch .LBB108_1204
.LBB108_1144:                           ;   in Loop: Header=BB108_3 Depth=1
	s_mov_b32 s84, 0
                                        ; implicit-def: $vgpr21
	s_cbranch_execz .LBB108_1204
.LBB108_1145:                           ;   in Loop: Header=BB108_3 Depth=1
	v_dual_mov_b32 v20, v79 :: v_dual_mov_b32 v21, v78
	s_mov_b32 s47, 63
	s_branch .LBB108_1147
.LBB108_1146:                           ;   in Loop: Header=BB108_1147 Depth=2
	s_or_b32 exec_lo, exec_lo, s48
	v_add_nc_u32_e32 v21, 0xfffffc00, v21
	v_add_nc_u32_e32 v20, 4, v20
	s_add_co_i32 s47, s47, -4
	s_cmp_lg_u32 s85, 0
	s_barrier_signal -1
	s_barrier_wait -1
	s_cbranch_scc0 .LBB108_1163
.LBB108_1147:                           ;   Parent Loop BB108_3 Depth=1
                                        ; =>  This Inner Loop Header: Depth=2
	s_delay_alu instid0(VALU_DEP_1) | instskip(SKIP_2) | instid1(SALU_CYCLE_1)
	v_cmp_eq_u32_e32 vcc_lo, 0, v20
	v_add_nc_u32_e32 v24, v61, v30
	s_and_b32 s49, s3, vcc_lo
	s_and_saveexec_b32 s48, s49
	s_cbranch_execz .LBB108_1149
; %bb.1148:                             ;   in Loop: Header=BB108_1147 Depth=2
	ds_load_b32 v25, v24
	s_wait_dscnt 0x0
	v_mul_f32_e32 v85, v85, v25
	ds_store_b32 v5, v85 offset:20736
.LBB108_1149:                           ;   in Loop: Header=BB108_1147 Depth=2
	s_or_b32 exec_lo, exec_lo, s48
	v_cmp_gt_u32_e32 vcc_lo, s47, v2
	s_wait_dscnt 0x0
	s_barrier_signal -1
	s_barrier_wait -1
	s_and_b32 s49, s3, vcc_lo
	s_delay_alu instid0(SALU_CYCLE_1)
	s_and_saveexec_b32 s48, s49
	s_cbranch_execz .LBB108_1151
; %bb.1150:                             ;   in Loop: Header=BB108_1147 Depth=2
	ds_load_b32 v25, v21 offset:768
	ds_load_b32 v26, v5 offset:20736
	s_wait_dscnt 0x0
	v_fmac_f32_e32 v85, v25, v26
.LBB108_1151:                           ;   in Loop: Header=BB108_1147 Depth=2
	s_or_b32 exec_lo, exec_lo, s48
	s_add_co_i32 s48, s47, -1
	s_delay_alu instid0(SALU_CYCLE_1) | instskip(SKIP_3) | instid1(SALU_CYCLE_1)
	v_cmp_eq_u32_e32 vcc_lo, s48, v2
	s_barrier_signal -1
	s_barrier_wait -1
	s_and_b32 s50, s3, vcc_lo
	s_and_saveexec_b32 s49, s50
	s_cbranch_execz .LBB108_1153
; %bb.1152:                             ;   in Loop: Header=BB108_1147 Depth=2
	ds_load_b32 v25, v24
	s_wait_dscnt 0x0
	v_mul_f32_e32 v85, v85, v25
	ds_store_b32 v5, v85 offset:20736
.LBB108_1153:                           ;   in Loop: Header=BB108_1147 Depth=2
	s_or_b32 exec_lo, exec_lo, s49
	v_cmp_gt_u32_e32 vcc_lo, s48, v2
	s_wait_dscnt 0x0
	s_barrier_signal -1
	s_barrier_wait -1
	s_and_b32 s49, s3, vcc_lo
	s_delay_alu instid0(SALU_CYCLE_1)
	s_and_saveexec_b32 s48, s49
	s_cbranch_execz .LBB108_1155
; %bb.1154:                             ;   in Loop: Header=BB108_1147 Depth=2
	ds_load_b32 v25, v21 offset:512
	ds_load_b32 v26, v5 offset:20736
	s_wait_dscnt 0x0
	v_fmac_f32_e32 v85, v25, v26
.LBB108_1155:                           ;   in Loop: Header=BB108_1147 Depth=2
	s_or_b32 exec_lo, exec_lo, s48
	s_add_co_i32 s48, s47, -2
	s_delay_alu instid0(SALU_CYCLE_1) | instskip(SKIP_3) | instid1(SALU_CYCLE_1)
	v_cmp_eq_u32_e32 vcc_lo, s48, v2
	s_barrier_signal -1
	s_barrier_wait -1
	;; [unrolled: 30-line block ×3, first 2 shown]
	s_and_b32 s49, s3, vcc_lo
	s_and_saveexec_b32 s48, s49
	s_cbranch_execz .LBB108_1161
; %bb.1160:                             ;   in Loop: Header=BB108_1147 Depth=2
	ds_load_b32 v24, v24
	s_wait_dscnt 0x0
	v_mul_f32_e32 v85, v85, v24
	ds_store_b32 v5, v85 offset:20736
.LBB108_1161:                           ;   in Loop: Header=BB108_1147 Depth=2
	s_or_b32 exec_lo, exec_lo, s48
	v_cmp_gt_u32_e32 vcc_lo, s85, v2
	s_wait_dscnt 0x0
	s_barrier_signal -1
	s_barrier_wait -1
	s_and_b32 s49, s3, vcc_lo
	s_delay_alu instid0(SALU_CYCLE_1)
	s_and_saveexec_b32 s48, s49
	s_cbranch_execz .LBB108_1146
; %bb.1162:                             ;   in Loop: Header=BB108_1147 Depth=2
	ds_load_b32 v24, v21
	ds_load_b32 v25, v5 offset:20736
	s_wait_dscnt 0x0
	v_fmac_f32_e32 v85, v24, v25
	s_branch .LBB108_1146
.LBB108_1163:                           ;   in Loop: Header=BB108_3 Depth=1
	s_and_b32 vcc_lo, exec_lo, s88
	s_mov_b32 s47, -1
	s_cbranch_vccnz .LBB108_1205
; %bb.1164:                             ;   in Loop: Header=BB108_3 Depth=1
	s_and_not1_b32 vcc_lo, exec_lo, s47
	s_cbranch_vccz .LBB108_1206
.LBB108_1165:                           ;   in Loop: Header=BB108_3 Depth=1
	s_and_saveexec_b32 s47, s84
	s_cbranch_execz .LBB108_1167
.LBB108_1166:                           ;   in Loop: Header=BB108_3 Depth=1
	v_lshl_add_u64 v[20:21], v[18:19], 2, v[22:23]
	flat_store_b32 v[20:21], v85
.LBB108_1167:                           ;   in Loop: Header=BB108_3 Depth=1
	s_wait_xcnt 0x0
	s_or_b32 exec_lo, exec_lo, s47
	global_wb scope:SCOPE_DEV
	s_wait_storecnt_dscnt 0x0
	global_inv scope:SCOPE_DEV
	s_wait_loadcnt 0x0
	s_barrier_signal -1
	s_barrier_wait -1
	s_and_saveexec_b32 s47, s59
	s_cbranch_execz .LBB108_2
; %bb.1168:                             ;   in Loop: Header=BB108_3 Depth=1
	s_lshl_b64 s[48:49], s[66:67], 2
	s_wait_kmcnt 0x0
	s_add_nc_u64 s[48:49], s[82:83], s[48:49]
	global_load_b32 v20, v5, s[48:49]
	s_wait_loadcnt 0x0
	v_add_nc_u32_e32 v20, 1, v20
	global_store_b32 v5, v20, s[48:49]
	s_branch .LBB108_2
.LBB108_1169:                           ;   in Loop: Header=BB108_3 Depth=1
	s_mov_b32 s48, exec_lo
	v_readlane_b32 s49, v91, 16
	s_and_b32 s49, s48, s49
	s_delay_alu instid0(SALU_CYCLE_1)
	s_xor_b32 s48, s49, s48
	s_mov_b32 exec_lo, s49
	s_cbranch_execz .LBB108_1173
; %bb.1170:                             ;   in Loop: Header=BB108_3 Depth=1
	s_mov_b32 s49, exec_lo
	v_readlane_b32 s50, v90, 26
	s_and_b32 s50, s49, s50
	s_delay_alu instid0(SALU_CYCLE_1)
	s_mov_b32 exec_lo, s50
; %bb.1171:                             ;   in Loop: Header=BB108_3 Depth=1
	ds_store_b32 v73, v5
; %bb.1172:                             ;   in Loop: Header=BB108_3 Depth=1
	s_or_b32 exec_lo, exec_lo, s49
.LBB108_1173:                           ;   in Loop: Header=BB108_3 Depth=1
	s_and_not1_saveexec_b32 s48, s48
	s_cbranch_execz .LBB108_1175
; %bb.1174:                             ;   in Loop: Header=BB108_3 Depth=1
	v_lshl_add_u64 v[26:27], v[0:1], 2, v[24:25]
	flat_load_b32 v26, v[26:27]
	s_wait_loadcnt_dscnt 0x0
	v_div_scale_f32 v27, null, v26, v26, 1.0
	s_delay_alu instid0(VALU_DEP_1) | instskip(SKIP_1) | instid1(TRANS32_DEP_1)
	v_rcp_f32_e32 v85, v27
	v_nop
	v_fma_f32 v86, -v27, v85, 1.0
	s_delay_alu instid0(VALU_DEP_1) | instskip(SKIP_1) | instid1(VALU_DEP_1)
	v_fmac_f32_e32 v85, v86, v85
	v_div_scale_f32 v86, vcc_lo, 1.0, v26, 1.0
	v_mul_f32_e32 v87, v86, v85
	s_delay_alu instid0(VALU_DEP_1) | instskip(NEXT) | instid1(VALU_DEP_1)
	v_fma_f32 v88, -v27, v87, v86
	v_fmac_f32_e32 v87, v88, v85
	s_delay_alu instid0(VALU_DEP_1) | instskip(NEXT) | instid1(VALU_DEP_1)
	v_fma_f32 v27, -v27, v87, v86
	v_div_fmas_f32 v27, v27, v85, v87
	s_delay_alu instid0(VALU_DEP_1)
	v_div_fixup_f32 v26, v27, v26, 1.0
	ds_store_b32 v73, v26
.LBB108_1175:                           ;   in Loop: Header=BB108_3 Depth=1
	s_or_b32 exec_lo, exec_lo, s48
	s_and_not1_saveexec_b32 s47, s47
	s_cbranch_execz .LBB108_16
.LBB108_1176:                           ;   in Loop: Header=BB108_3 Depth=1
	v_lshl_add_u64 v[26:27], v[0:1], 2, v[24:25]
	flat_load_b32 v26, v[26:27]
	s_wait_loadcnt_dscnt 0x0
	v_xor_b32_e32 v26, 0x80000000, v26
	ds_store_b32 v73, v26
	s_or_b32 exec_lo, exec_lo, s47
	s_and_saveexec_b32 s47, s8
	s_delay_alu instid0(SALU_CYCLE_1)
	s_xor_b32 s47, exec_lo, s47
	s_cbranch_execz .LBB108_17
.LBB108_1177:                           ;   in Loop: Header=BB108_3 Depth=1
	s_mov_b32 s48, exec_lo
	v_readlane_b32 s49, v91, 18
	s_and_b32 s49, s48, s49
	s_delay_alu instid0(SALU_CYCLE_1)
	s_xor_b32 s48, s49, s48
	s_mov_b32 exec_lo, s49
	s_cbranch_execz .LBB108_1181
; %bb.1178:                             ;   in Loop: Header=BB108_3 Depth=1
	s_mov_b32 s49, exec_lo
	v_readlane_b32 s50, v90, 27
	s_and_b32 s50, s49, s50
	s_delay_alu instid0(SALU_CYCLE_1)
	s_mov_b32 exec_lo, s50
; %bb.1179:                             ;   in Loop: Header=BB108_3 Depth=1
	ds_store_b32 v74, v5
; %bb.1180:                             ;   in Loop: Header=BB108_3 Depth=1
	s_or_b32 exec_lo, exec_lo, s49
.LBB108_1181:                           ;   in Loop: Header=BB108_3 Depth=1
	s_and_not1_saveexec_b32 s48, s48
	s_cbranch_execz .LBB108_1183
; %bb.1182:                             ;   in Loop: Header=BB108_3 Depth=1
	v_lshl_add_u64 v[26:27], v[10:11], 2, v[24:25]
	flat_load_b32 v26, v[26:27]
	s_wait_loadcnt_dscnt 0x0
	v_div_scale_f32 v27, null, v26, v26, 1.0
	s_delay_alu instid0(VALU_DEP_1) | instskip(SKIP_1) | instid1(TRANS32_DEP_1)
	v_rcp_f32_e32 v85, v27
	v_nop
	v_fma_f32 v86, -v27, v85, 1.0
	s_delay_alu instid0(VALU_DEP_1) | instskip(SKIP_1) | instid1(VALU_DEP_1)
	v_fmac_f32_e32 v85, v86, v85
	v_div_scale_f32 v86, vcc_lo, 1.0, v26, 1.0
	v_mul_f32_e32 v87, v86, v85
	s_delay_alu instid0(VALU_DEP_1) | instskip(NEXT) | instid1(VALU_DEP_1)
	v_fma_f32 v88, -v27, v87, v86
	v_fmac_f32_e32 v87, v88, v85
	s_delay_alu instid0(VALU_DEP_1) | instskip(NEXT) | instid1(VALU_DEP_1)
	v_fma_f32 v27, -v27, v87, v86
	v_div_fmas_f32 v27, v27, v85, v87
	s_delay_alu instid0(VALU_DEP_1)
	v_div_fixup_f32 v26, v27, v26, 1.0
	ds_store_b32 v74, v26
.LBB108_1183:                           ;   in Loop: Header=BB108_3 Depth=1
	s_or_b32 exec_lo, exec_lo, s48
	s_and_not1_saveexec_b32 s47, s47
	s_cbranch_execz .LBB108_18
.LBB108_1184:                           ;   in Loop: Header=BB108_3 Depth=1
	v_lshl_add_u64 v[26:27], v[10:11], 2, v[24:25]
	flat_load_b32 v26, v[26:27]
	s_wait_loadcnt_dscnt 0x0
	v_xor_b32_e32 v26, 0x80000000, v26
	ds_store_b32 v74, v26
	s_or_b32 exec_lo, exec_lo, s47
	s_and_saveexec_b32 s47, s9
	s_delay_alu instid0(SALU_CYCLE_1)
	s_xor_b32 s47, exec_lo, s47
	s_cbranch_execz .LBB108_19
.LBB108_1185:                           ;   in Loop: Header=BB108_3 Depth=1
	s_mov_b32 s48, exec_lo
	v_readlane_b32 s49, v91, 20
	s_and_b32 s49, s48, s49
	s_delay_alu instid0(SALU_CYCLE_1)
	s_xor_b32 s48, s49, s48
	s_mov_b32 exec_lo, s49
	s_cbranch_execz .LBB108_1189
; %bb.1186:                             ;   in Loop: Header=BB108_3 Depth=1
	s_mov_b32 s49, exec_lo
	v_readlane_b32 s50, v90, 28
	s_and_b32 s50, s49, s50
	s_delay_alu instid0(SALU_CYCLE_1)
	s_mov_b32 exec_lo, s50
; %bb.1187:                             ;   in Loop: Header=BB108_3 Depth=1
	ds_store_b32 v75, v5
; %bb.1188:                             ;   in Loop: Header=BB108_3 Depth=1
	s_or_b32 exec_lo, exec_lo, s49
.LBB108_1189:                           ;   in Loop: Header=BB108_3 Depth=1
	s_and_not1_saveexec_b32 s48, s48
	s_cbranch_execz .LBB108_1191
; %bb.1190:                             ;   in Loop: Header=BB108_3 Depth=1
	v_lshl_add_u64 v[26:27], v[12:13], 2, v[24:25]
	flat_load_b32 v26, v[26:27]
	s_wait_loadcnt_dscnt 0x0
	v_div_scale_f32 v27, null, v26, v26, 1.0
	s_delay_alu instid0(VALU_DEP_1) | instskip(SKIP_1) | instid1(TRANS32_DEP_1)
	v_rcp_f32_e32 v85, v27
	v_nop
	v_fma_f32 v86, -v27, v85, 1.0
	s_delay_alu instid0(VALU_DEP_1) | instskip(SKIP_1) | instid1(VALU_DEP_1)
	v_fmac_f32_e32 v85, v86, v85
	v_div_scale_f32 v86, vcc_lo, 1.0, v26, 1.0
	v_mul_f32_e32 v87, v86, v85
	s_delay_alu instid0(VALU_DEP_1) | instskip(NEXT) | instid1(VALU_DEP_1)
	v_fma_f32 v88, -v27, v87, v86
	v_fmac_f32_e32 v87, v88, v85
	s_delay_alu instid0(VALU_DEP_1) | instskip(NEXT) | instid1(VALU_DEP_1)
	v_fma_f32 v27, -v27, v87, v86
	v_div_fmas_f32 v27, v27, v85, v87
	s_delay_alu instid0(VALU_DEP_1)
	v_div_fixup_f32 v26, v27, v26, 1.0
	ds_store_b32 v75, v26
.LBB108_1191:                           ;   in Loop: Header=BB108_3 Depth=1
	s_or_b32 exec_lo, exec_lo, s48
	s_and_not1_saveexec_b32 s47, s47
	s_cbranch_execz .LBB108_20
.LBB108_1192:                           ;   in Loop: Header=BB108_3 Depth=1
	v_lshl_add_u64 v[26:27], v[12:13], 2, v[24:25]
	flat_load_b32 v26, v[26:27]
	s_wait_loadcnt_dscnt 0x0
	v_xor_b32_e32 v26, 0x80000000, v26
	ds_store_b32 v75, v26
	s_or_b32 exec_lo, exec_lo, s47
	s_and_saveexec_b32 s47, s10
	s_delay_alu instid0(SALU_CYCLE_1)
	s_xor_b32 s47, exec_lo, s47
	s_cbranch_execz .LBB108_21
.LBB108_1193:                           ;   in Loop: Header=BB108_3 Depth=1
	s_mov_b32 s48, exec_lo
	v_readlane_b32 s49, v91, 22
	s_and_b32 s49, s48, s49
	s_delay_alu instid0(SALU_CYCLE_1)
	s_xor_b32 s48, s49, s48
	s_mov_b32 exec_lo, s49
	s_cbranch_execz .LBB108_1197
; %bb.1194:                             ;   in Loop: Header=BB108_3 Depth=1
	s_mov_b32 s49, exec_lo
	v_readlane_b32 s50, v90, 29
	s_and_b32 s50, s49, s50
	s_delay_alu instid0(SALU_CYCLE_1)
	s_mov_b32 exec_lo, s50
; %bb.1195:                             ;   in Loop: Header=BB108_3 Depth=1
	ds_store_b32 v76, v5
; %bb.1196:                             ;   in Loop: Header=BB108_3 Depth=1
	s_or_b32 exec_lo, exec_lo, s49
.LBB108_1197:                           ;   in Loop: Header=BB108_3 Depth=1
	s_and_not1_saveexec_b32 s48, s48
	s_cbranch_execz .LBB108_1199
; %bb.1198:                             ;   in Loop: Header=BB108_3 Depth=1
	v_lshl_add_u64 v[26:27], v[14:15], 2, v[24:25]
	flat_load_b32 v26, v[26:27]
	s_wait_loadcnt_dscnt 0x0
	v_div_scale_f32 v27, null, v26, v26, 1.0
	s_delay_alu instid0(VALU_DEP_1) | instskip(SKIP_1) | instid1(TRANS32_DEP_1)
	v_rcp_f32_e32 v85, v27
	v_nop
	v_fma_f32 v86, -v27, v85, 1.0
	s_delay_alu instid0(VALU_DEP_1) | instskip(SKIP_1) | instid1(VALU_DEP_1)
	v_fmac_f32_e32 v85, v86, v85
	v_div_scale_f32 v86, vcc_lo, 1.0, v26, 1.0
	v_mul_f32_e32 v87, v86, v85
	s_delay_alu instid0(VALU_DEP_1) | instskip(NEXT) | instid1(VALU_DEP_1)
	v_fma_f32 v88, -v27, v87, v86
	v_fmac_f32_e32 v87, v88, v85
	s_delay_alu instid0(VALU_DEP_1) | instskip(NEXT) | instid1(VALU_DEP_1)
	v_fma_f32 v27, -v27, v87, v86
	v_div_fmas_f32 v27, v27, v85, v87
	s_delay_alu instid0(VALU_DEP_1)
	v_div_fixup_f32 v26, v27, v26, 1.0
	ds_store_b32 v76, v26
.LBB108_1199:                           ;   in Loop: Header=BB108_3 Depth=1
	s_or_b32 exec_lo, exec_lo, s48
	s_and_not1_saveexec_b32 s47, s47
	s_cbranch_execnz .LBB108_22
	s_branch .LBB108_23
.LBB108_1200:                           ;   in Loop: Header=BB108_3 Depth=1
	ds_load_b32 v20, v71
	ds_load_b32 v21, v68
	s_wait_dscnt 0x0
	v_fma_f32 v20, v20, v21, 0
	s_or_b32 exec_lo, exec_lo, s47
	s_and_saveexec_b32 s47, s8
	s_cbranch_execz .LBB108_1139
.LBB108_1201:                           ;   in Loop: Header=BB108_3 Depth=1
	ds_load_b32 v21, v71 offset:4096
	ds_load_b32 v24, v68 offset:64
	s_wait_dscnt 0x0
	v_fmac_f32_e32 v20, v21, v24
	s_or_b32 exec_lo, exec_lo, s47
	s_and_saveexec_b32 s47, s9
	s_cbranch_execz .LBB108_1140
.LBB108_1202:                           ;   in Loop: Header=BB108_3 Depth=1
	ds_load_b32 v21, v71 offset:8192
	ds_load_b32 v24, v68 offset:128
	s_wait_dscnt 0x0
	v_fmac_f32_e32 v20, v21, v24
	s_or_b32 exec_lo, exec_lo, s47
	s_and_saveexec_b32 s47, s10
	s_cbranch_execnz .LBB108_1141
	s_branch .LBB108_1142
.LBB108_1203:                           ;   in Loop: Header=BB108_3 Depth=1
	s_or_b32 exec_lo, exec_lo, s85
	s_delay_alu instid0(SALU_CYCLE_1)
	s_and_b32 vcc_lo, exec_lo, s47
	s_cbranch_vccnz .LBB108_1145
.LBB108_1204:                           ;   in Loop: Header=BB108_3 Depth=1
	v_mov_b32_e32 v85, v21
	s_and_saveexec_b32 s47, s84
	s_cbranch_execnz .LBB108_1166
	s_branch .LBB108_1167
.LBB108_1205:                           ;   in Loop: Header=BB108_3 Depth=1
	s_and_not1_b32 s48, s84, exec_lo
	s_and_b32 s49, s3, exec_lo
	s_delay_alu instid0(SALU_CYCLE_1)
	s_or_b32 s84, s48, s49
	s_cbranch_execnz .LBB108_1165
.LBB108_1206:                           ;   in Loop: Header=BB108_3 Depth=1
	v_readlane_b32 s48, v91, 7
	s_and_not1_b32 s47, s84, exec_lo
	s_and_b32 s48, s48, exec_lo
	s_delay_alu instid0(SALU_CYCLE_1) | instskip(NEXT) | instid1(SALU_CYCLE_1)
	s_or_b32 s84, s47, s48
	s_and_saveexec_b32 s47, s84
	s_cbranch_execnz .LBB108_1166
	s_branch .LBB108_1167
.LBB108_1207:                           ;   in Loop: Header=BB108_3 Depth=1
	ds_load_b32 v25, v37 offset:272
	ds_load_b32 v26, v31 offset:4
	s_wait_dscnt 0x0
	v_fmac_f32_e32 v24, v25, v26
	s_or_b32 exec_lo, exec_lo, s48
	s_and_saveexec_b32 s48, s18
	s_cbranch_execz .LBB108_88
.LBB108_1208:                           ;   in Loop: Header=BB108_3 Depth=1
	ds_load_b32 v25, v36 offset:528
	ds_load_b32 v26, v31 offset:8
	s_wait_dscnt 0x0
	v_fmac_f32_e32 v24, v25, v26
	s_or_b32 exec_lo, exec_lo, s48
	s_and_saveexec_b32 s48, s2
	s_cbranch_execnz .LBB108_89
	s_branch .LBB108_90
.LBB108_1209:                           ;   in Loop: Header=BB108_3 Depth=1
	ds_load_b32 v25, v43 offset:288
	ds_load_b32 v26, v39 offset:4
	s_wait_dscnt 0x0
	v_fmac_f32_e32 v24, v25, v26
	s_or_b32 exec_lo, exec_lo, s48
	s_and_saveexec_b32 s48, s20
	s_cbranch_execz .LBB108_130
.LBB108_1210:                           ;   in Loop: Header=BB108_3 Depth=1
	ds_load_b32 v25, v43 offset:544
	ds_load_b32 v26, v39 offset:8
	s_wait_dscnt 0x0
	v_fmac_f32_e32 v24, v25, v26
	s_or_b32 exec_lo, exec_lo, s48
	s_and_saveexec_b32 s48, s21
	s_cbranch_execz .LBB108_131
.LBB108_1211:                           ;   in Loop: Header=BB108_3 Depth=1
	ds_load_b32 v25, v43 offset:800
	ds_load_b32 v26, v39 offset:12
	s_wait_dscnt 0x0
	v_fmac_f32_e32 v24, v25, v26
	s_or_b32 exec_lo, exec_lo, s48
	s_and_saveexec_b32 s48, s22
	s_cbranch_execz .LBB108_132
.LBB108_1212:                           ;   in Loop: Header=BB108_3 Depth=1
	ds_load_b32 v25, v42 offset:1056
	ds_load_b32 v26, v39 offset:16
	s_wait_dscnt 0x0
	v_fmac_f32_e32 v24, v25, v26
	s_or_b32 exec_lo, exec_lo, s48
	s_and_saveexec_b32 s48, s23
	s_cbranch_execz .LBB108_133
.LBB108_1213:                           ;   in Loop: Header=BB108_3 Depth=1
	ds_load_b32 v25, v43 offset:1312
	ds_load_b32 v26, v39 offset:20
	s_wait_dscnt 0x0
	v_fmac_f32_e32 v24, v25, v26
	s_or_b32 exec_lo, exec_lo, s48
	s_and_saveexec_b32 s48, s4
	s_cbranch_execz .LBB108_134
.LBB108_1214:                           ;   in Loop: Header=BB108_3 Depth=1
	ds_load_b32 v25, v42 offset:1568
	ds_load_b32 v26, v39 offset:24
	s_wait_dscnt 0x0
	v_fmac_f32_e32 v24, v25, v26
	s_or_b32 exec_lo, exec_lo, s48
	s_and_saveexec_b32 s48, s18
	s_cbranch_execnz .LBB108_135
	s_branch .LBB108_136
.LBB108_1215:                           ;   in Loop: Header=BB108_3 Depth=1
	ds_load_b32 v25, v37 offset:2352
	ds_load_b32 v26, v31 offset:2084
	s_wait_dscnt 0x0
	v_fmac_f32_e32 v24, v25, v26
	s_or_b32 exec_lo, exec_lo, s48
	s_and_saveexec_b32 s48, s18
	s_cbranch_execz .LBB108_192
.LBB108_1216:                           ;   in Loop: Header=BB108_3 Depth=1
	ds_load_b32 v25, v36 offset:2608
	ds_load_b32 v26, v31 offset:2088
	s_wait_dscnt 0x0
	v_fmac_f32_e32 v24, v25, v26
	s_or_b32 exec_lo, exec_lo, s48
	s_and_saveexec_b32 s48, s2
	s_cbranch_execnz .LBB108_193
	s_branch .LBB108_194
.LBB108_1217:                           ;   in Loop: Header=BB108_3 Depth=1
	ds_load_b32 v25, v48 offset:2880
	ds_load_b32 v26, v44 offset:44
	s_wait_dscnt 0x0
	v_fmac_f32_e32 v24, v25, v26
	s_or_b32 exec_lo, exec_lo, s48
	s_and_saveexec_b32 s48, s5
	s_cbranch_execz .LBB108_254
.LBB108_1218:                           ;   in Loop: Header=BB108_3 Depth=1
	ds_load_b32 v25, v47 offset:3136
	ds_load_b32 v26, v44 offset:48
	s_wait_dscnt 0x0
	v_fmac_f32_e32 v24, v25, v26
	s_or_b32 exec_lo, exec_lo, s48
	s_and_saveexec_b32 s48, s20
	s_cbranch_execz .LBB108_255
.LBB108_1219:                           ;   in Loop: Header=BB108_3 Depth=1
	ds_load_b32 v25, v48 offset:3392
	ds_load_b32 v26, v44 offset:52
	s_wait_dscnt 0x0
	v_fmac_f32_e32 v24, v25, v26
	s_or_b32 exec_lo, exec_lo, s48
	s_and_saveexec_b32 s48, s22
	s_cbranch_execz .LBB108_256
.LBB108_1220:                           ;   in Loop: Header=BB108_3 Depth=1
	ds_load_b32 v25, v47 offset:3648
	ds_load_b32 v26, v44 offset:56
	s_wait_dscnt 0x0
	v_fmac_f32_e32 v24, v25, v26
	s_or_b32 exec_lo, exec_lo, s48
	s_and_saveexec_b32 s48, s4
	s_cbranch_execnz .LBB108_257
	s_branch .LBB108_258
.LBB108_1221:                           ;   in Loop: Header=BB108_3 Depth=1
	ds_load_b32 v25, v37 offset:4432
	ds_load_b32 v26, v31 offset:4164
	s_wait_dscnt 0x0
	v_fmac_f32_e32 v24, v25, v26
	s_or_b32 exec_lo, exec_lo, s48
	s_and_saveexec_b32 s48, s18
	s_cbranch_execz .LBB108_346
.LBB108_1222:                           ;   in Loop: Header=BB108_3 Depth=1
	ds_load_b32 v25, v36 offset:4688
	ds_load_b32 v26, v31 offset:4168
	s_wait_dscnt 0x0
	v_fmac_f32_e32 v24, v25, v26
	s_or_b32 exec_lo, exec_lo, s48
	s_and_saveexec_b32 s48, s2
	s_cbranch_execnz .LBB108_347
	s_branch .LBB108_348
.LBB108_1223:                           ;   in Loop: Header=BB108_3 Depth=1
	ds_load_b32 v25, v43 offset:4448
	ds_load_b32 v26, v39 offset:4164
	s_wait_dscnt 0x0
	v_fmac_f32_e32 v24, v25, v26
	s_or_b32 exec_lo, exec_lo, s48
	s_and_saveexec_b32 s48, s20
	s_cbranch_execz .LBB108_388
.LBB108_1224:                           ;   in Loop: Header=BB108_3 Depth=1
	ds_load_b32 v25, v43 offset:4704
	ds_load_b32 v26, v39 offset:4168
	s_wait_dscnt 0x0
	v_fmac_f32_e32 v24, v25, v26
	s_or_b32 exec_lo, exec_lo, s48
	s_and_saveexec_b32 s48, s21
	s_cbranch_execz .LBB108_389
.LBB108_1225:                           ;   in Loop: Header=BB108_3 Depth=1
	ds_load_b32 v25, v43 offset:4960
	ds_load_b32 v26, v39 offset:4172
	s_wait_dscnt 0x0
	v_fmac_f32_e32 v24, v25, v26
	s_or_b32 exec_lo, exec_lo, s48
	s_and_saveexec_b32 s48, s22
	s_cbranch_execz .LBB108_390
.LBB108_1226:                           ;   in Loop: Header=BB108_3 Depth=1
	ds_load_b32 v25, v42 offset:5216
	ds_load_b32 v26, v39 offset:4176
	s_wait_dscnt 0x0
	v_fmac_f32_e32 v24, v25, v26
	s_or_b32 exec_lo, exec_lo, s48
	s_and_saveexec_b32 s48, s23
	s_cbranch_execz .LBB108_391
.LBB108_1227:                           ;   in Loop: Header=BB108_3 Depth=1
	ds_load_b32 v25, v43 offset:5472
	ds_load_b32 v26, v39 offset:4180
	s_wait_dscnt 0x0
	v_fmac_f32_e32 v24, v25, v26
	s_or_b32 exec_lo, exec_lo, s48
	s_and_saveexec_b32 s48, s4
	s_cbranch_execz .LBB108_392
.LBB108_1228:                           ;   in Loop: Header=BB108_3 Depth=1
	ds_load_b32 v25, v42 offset:5728
	ds_load_b32 v26, v39 offset:4184
	s_wait_dscnt 0x0
	v_fmac_f32_e32 v24, v25, v26
	s_or_b32 exec_lo, exec_lo, s48
	s_and_saveexec_b32 s48, s18
	s_cbranch_execnz .LBB108_393
	s_branch .LBB108_394
.LBB108_1229:                           ;   in Loop: Header=BB108_3 Depth=1
	ds_load_b32 v25, v37 offset:6512
	ds_load_b32 v26, v31 offset:6244
	s_wait_dscnt 0x0
	v_fmac_f32_e32 v24, v25, v26
	s_or_b32 exec_lo, exec_lo, s48
	s_and_saveexec_b32 s48, s18
	s_cbranch_execz .LBB108_450
.LBB108_1230:                           ;   in Loop: Header=BB108_3 Depth=1
	ds_load_b32 v25, v36 offset:6768
	ds_load_b32 v26, v31 offset:6248
	s_wait_dscnt 0x0
	v_fmac_f32_e32 v24, v25, v26
	s_or_b32 exec_lo, exec_lo, s48
	s_and_saveexec_b32 s48, s2
	s_cbranch_execnz .LBB108_451
	s_branch .LBB108_452
.LBB108_1231:                           ;   in Loop: Header=BB108_3 Depth=1
	ds_load_b32 v26, v64 offset:7552
	ds_load_b32 v27, v25 offset:116
	s_wait_dscnt 0x0
	v_fmac_f32_e32 v24, v26, v27
	s_or_b32 exec_lo, exec_lo, s47
	s_and_saveexec_b32 s47, s5
	s_cbranch_execz .LBB108_548
.LBB108_1232:                           ;   in Loop: Header=BB108_3 Depth=1
	ds_load_b32 v26, v64 offset:7808
	ds_load_b32 v25, v25 offset:120
	s_wait_dscnt 0x0
	v_fmac_f32_e32 v24, v26, v25
	s_or_b32 exec_lo, exec_lo, s47
	s_and_saveexec_b32 s47, s22
	s_cbranch_execnz .LBB108_549
	s_branch .LBB108_550
.LBB108_1233:                           ;   in Loop: Header=BB108_3 Depth=1
	ds_load_b32 v25, v37 offset:8592
	ds_load_b32 v26, v31 offset:8324
	s_wait_dscnt 0x0
	v_fmac_f32_e32 v24, v25, v26
	s_or_b32 exec_lo, exec_lo, s48
	s_and_saveexec_b32 s48, s18
	s_cbranch_execz .LBB108_702
.LBB108_1234:                           ;   in Loop: Header=BB108_3 Depth=1
	ds_load_b32 v25, v36 offset:8848
	ds_load_b32 v26, v31 offset:8328
	s_wait_dscnt 0x0
	v_fmac_f32_e32 v24, v25, v26
	s_or_b32 exec_lo, exec_lo, s48
	s_and_saveexec_b32 s48, s2
	s_cbranch_execnz .LBB108_703
	s_branch .LBB108_704
.LBB108_1235:                           ;   in Loop: Header=BB108_3 Depth=1
	ds_load_b32 v25, v43 offset:8608
	ds_load_b32 v26, v39 offset:8324
	s_wait_dscnt 0x0
	v_fmac_f32_e32 v24, v25, v26
	s_or_b32 exec_lo, exec_lo, s48
	s_and_saveexec_b32 s48, s20
	s_cbranch_execz .LBB108_744
.LBB108_1236:                           ;   in Loop: Header=BB108_3 Depth=1
	ds_load_b32 v25, v43 offset:8864
	ds_load_b32 v26, v39 offset:8328
	s_wait_dscnt 0x0
	v_fmac_f32_e32 v24, v25, v26
	s_or_b32 exec_lo, exec_lo, s48
	s_and_saveexec_b32 s48, s21
	s_cbranch_execz .LBB108_745
.LBB108_1237:                           ;   in Loop: Header=BB108_3 Depth=1
	ds_load_b32 v25, v43 offset:9120
	ds_load_b32 v26, v39 offset:8332
	s_wait_dscnt 0x0
	v_fmac_f32_e32 v24, v25, v26
	s_or_b32 exec_lo, exec_lo, s48
	s_and_saveexec_b32 s48, s22
	s_cbranch_execz .LBB108_746
.LBB108_1238:                           ;   in Loop: Header=BB108_3 Depth=1
	ds_load_b32 v25, v42 offset:9376
	ds_load_b32 v26, v39 offset:8336
	s_wait_dscnt 0x0
	v_fmac_f32_e32 v24, v25, v26
	s_or_b32 exec_lo, exec_lo, s48
	s_and_saveexec_b32 s48, s23
	s_cbranch_execz .LBB108_747
.LBB108_1239:                           ;   in Loop: Header=BB108_3 Depth=1
	ds_load_b32 v25, v43 offset:9632
	ds_load_b32 v26, v39 offset:8340
	s_wait_dscnt 0x0
	v_fmac_f32_e32 v24, v25, v26
	s_or_b32 exec_lo, exec_lo, s48
	s_and_saveexec_b32 s48, s4
	s_cbranch_execz .LBB108_748
.LBB108_1240:                           ;   in Loop: Header=BB108_3 Depth=1
	ds_load_b32 v25, v42 offset:9888
	ds_load_b32 v26, v39 offset:8344
	s_wait_dscnt 0x0
	v_fmac_f32_e32 v24, v25, v26
	s_or_b32 exec_lo, exec_lo, s48
	s_and_saveexec_b32 s48, s18
	s_cbranch_execnz .LBB108_749
	s_branch .LBB108_750
.LBB108_1241:                           ;   in Loop: Header=BB108_3 Depth=1
	ds_load_b32 v25, v37 offset:10672
	ds_load_b32 v26, v31 offset:10404
	s_wait_dscnt 0x0
	v_fmac_f32_e32 v24, v25, v26
	s_or_b32 exec_lo, exec_lo, s48
	s_and_saveexec_b32 s48, s18
	s_cbranch_execz .LBB108_806
.LBB108_1242:                           ;   in Loop: Header=BB108_3 Depth=1
	ds_load_b32 v25, v36 offset:10928
	ds_load_b32 v26, v31 offset:10408
	s_wait_dscnt 0x0
	v_fmac_f32_e32 v24, v25, v26
	s_or_b32 exec_lo, exec_lo, s48
	s_and_saveexec_b32 s48, s2
	s_cbranch_execnz .LBB108_807
	s_branch .LBB108_808
.LBB108_1243:                           ;   in Loop: Header=BB108_3 Depth=1
	ds_load_b32 v25, v48 offset:11200
	ds_load_b32 v26, v44 offset:8364
	s_wait_dscnt 0x0
	v_fmac_f32_e32 v24, v25, v26
	s_or_b32 exec_lo, exec_lo, s48
	s_and_saveexec_b32 s48, s5
	s_cbranch_execz .LBB108_868
.LBB108_1244:                           ;   in Loop: Header=BB108_3 Depth=1
	ds_load_b32 v25, v47 offset:11456
	ds_load_b32 v26, v44 offset:8368
	s_wait_dscnt 0x0
	v_fmac_f32_e32 v24, v25, v26
	s_or_b32 exec_lo, exec_lo, s48
	s_and_saveexec_b32 s48, s20
	s_cbranch_execz .LBB108_869
.LBB108_1245:                           ;   in Loop: Header=BB108_3 Depth=1
	ds_load_b32 v25, v48 offset:11712
	ds_load_b32 v26, v44 offset:8372
	s_wait_dscnt 0x0
	v_fmac_f32_e32 v24, v25, v26
	s_or_b32 exec_lo, exec_lo, s48
	s_and_saveexec_b32 s48, s22
	s_cbranch_execz .LBB108_870
.LBB108_1246:                           ;   in Loop: Header=BB108_3 Depth=1
	ds_load_b32 v25, v47 offset:11968
	ds_load_b32 v26, v44 offset:8376
	s_wait_dscnt 0x0
	v_fmac_f32_e32 v24, v25, v26
	s_or_b32 exec_lo, exec_lo, s48
	s_and_saveexec_b32 s48, s4
	s_cbranch_execnz .LBB108_871
	s_branch .LBB108_872
.LBB108_1247:                           ;   in Loop: Header=BB108_3 Depth=1
	ds_load_b32 v25, v37 offset:12752
	ds_load_b32 v26, v31 offset:12484
	s_wait_dscnt 0x0
	v_fmac_f32_e32 v24, v25, v26
	s_or_b32 exec_lo, exec_lo, s48
	s_and_saveexec_b32 s48, s18
	s_cbranch_execz .LBB108_960
.LBB108_1248:                           ;   in Loop: Header=BB108_3 Depth=1
	ds_load_b32 v25, v36 offset:13008
	ds_load_b32 v26, v31 offset:12488
	s_wait_dscnt 0x0
	v_fmac_f32_e32 v24, v25, v26
	s_or_b32 exec_lo, exec_lo, s48
	s_and_saveexec_b32 s48, s2
	s_cbranch_execnz .LBB108_961
	s_branch .LBB108_962
.LBB108_1249:                           ;   in Loop: Header=BB108_3 Depth=1
	ds_load_b32 v25, v43 offset:12768
	ds_load_b32 v26, v39 offset:12484
	s_wait_dscnt 0x0
	v_fmac_f32_e32 v24, v25, v26
	s_or_b32 exec_lo, exec_lo, s48
	s_and_saveexec_b32 s48, s20
	s_cbranch_execz .LBB108_1002
.LBB108_1250:                           ;   in Loop: Header=BB108_3 Depth=1
	ds_load_b32 v25, v43 offset:13024
	ds_load_b32 v26, v39 offset:12488
	s_wait_dscnt 0x0
	v_fmac_f32_e32 v24, v25, v26
	s_or_b32 exec_lo, exec_lo, s48
	s_and_saveexec_b32 s48, s21
	s_cbranch_execz .LBB108_1003
.LBB108_1251:                           ;   in Loop: Header=BB108_3 Depth=1
	ds_load_b32 v25, v43 offset:13280
	ds_load_b32 v26, v39 offset:12492
	s_wait_dscnt 0x0
	v_fmac_f32_e32 v24, v25, v26
	s_or_b32 exec_lo, exec_lo, s48
	s_and_saveexec_b32 s48, s22
	s_cbranch_execz .LBB108_1004
.LBB108_1252:                           ;   in Loop: Header=BB108_3 Depth=1
	ds_load_b32 v25, v42 offset:13536
	ds_load_b32 v26, v39 offset:12496
	s_wait_dscnt 0x0
	v_fmac_f32_e32 v24, v25, v26
	s_or_b32 exec_lo, exec_lo, s48
	s_and_saveexec_b32 s48, s23
	s_cbranch_execz .LBB108_1005
.LBB108_1253:                           ;   in Loop: Header=BB108_3 Depth=1
	ds_load_b32 v25, v43 offset:13792
	ds_load_b32 v26, v39 offset:12500
	s_wait_dscnt 0x0
	v_fmac_f32_e32 v24, v25, v26
	s_or_b32 exec_lo, exec_lo, s48
	s_and_saveexec_b32 s48, s4
	s_cbranch_execz .LBB108_1006
.LBB108_1254:                           ;   in Loop: Header=BB108_3 Depth=1
	ds_load_b32 v25, v42 offset:14048
	ds_load_b32 v26, v39 offset:12504
	s_wait_dscnt 0x0
	v_fmac_f32_e32 v24, v25, v26
	s_or_b32 exec_lo, exec_lo, s48
	s_and_saveexec_b32 s48, s18
	s_cbranch_execnz .LBB108_1007
	s_branch .LBB108_1008
.LBB108_1255:                           ;   in Loop: Header=BB108_3 Depth=1
	ds_load_b32 v25, v37 offset:14832
	ds_load_b32 v26, v31 offset:14564
	s_wait_dscnt 0x0
	v_fmac_f32_e32 v24, v25, v26
	s_or_b32 exec_lo, exec_lo, s48
	s_and_saveexec_b32 s48, s18
	s_cbranch_execz .LBB108_1064
.LBB108_1256:                           ;   in Loop: Header=BB108_3 Depth=1
	ds_load_b32 v25, v36 offset:15088
	ds_load_b32 v26, v31 offset:14568
	s_wait_dscnt 0x0
	v_fmac_f32_e32 v24, v25, v26
	s_or_b32 exec_lo, exec_lo, s48
	s_and_saveexec_b32 s48, s2
	s_cbranch_execnz .LBB108_1065
	s_branch .LBB108_1066
.LBB108_1257:
	s_endpgm
	.section	.rodata,"a",@progbits
	.p2align	6, 0x0
	.amdhsa_kernel _ZL19rocblas_trsv_deviceILi64ELi16ELb1ELb1ELb1ELb0EfPKfPKS1_PKPfEviT7_lllT6_T8_lllPii
		.amdhsa_group_segment_fixed_size 20740
		.amdhsa_private_segment_fixed_size 0
		.amdhsa_kernarg_size 352
		.amdhsa_user_sgpr_count 2
		.amdhsa_user_sgpr_dispatch_ptr 0
		.amdhsa_user_sgpr_queue_ptr 0
		.amdhsa_user_sgpr_kernarg_segment_ptr 1
		.amdhsa_user_sgpr_dispatch_id 0
		.amdhsa_user_sgpr_kernarg_preload_length 0
		.amdhsa_user_sgpr_kernarg_preload_offset 0
		.amdhsa_user_sgpr_private_segment_size 0
		.amdhsa_wavefront_size32 1
		.amdhsa_uses_dynamic_stack 0
		.amdhsa_enable_private_segment 0
		.amdhsa_system_sgpr_workgroup_id_x 1
		.amdhsa_system_sgpr_workgroup_id_y 0
		.amdhsa_system_sgpr_workgroup_id_z 1
		.amdhsa_system_sgpr_workgroup_info 0
		.amdhsa_system_vgpr_workitem_id 1
		.amdhsa_next_free_vgpr 94
		.amdhsa_next_free_sgpr 105
		.amdhsa_named_barrier_count 0
		.amdhsa_reserve_vcc 1
		.amdhsa_float_round_mode_32 0
		.amdhsa_float_round_mode_16_64 0
		.amdhsa_float_denorm_mode_32 3
		.amdhsa_float_denorm_mode_16_64 3
		.amdhsa_fp16_overflow 0
		.amdhsa_memory_ordered 1
		.amdhsa_forward_progress 1
		.amdhsa_inst_pref_size 255
		.amdhsa_round_robin_scheduling 0
		.amdhsa_exception_fp_ieee_invalid_op 0
		.amdhsa_exception_fp_denorm_src 0
		.amdhsa_exception_fp_ieee_div_zero 0
		.amdhsa_exception_fp_ieee_overflow 0
		.amdhsa_exception_fp_ieee_underflow 0
		.amdhsa_exception_fp_ieee_inexact 0
		.amdhsa_exception_int_div_zero 0
	.end_amdhsa_kernel
	.section	.text._ZL19rocblas_trsv_deviceILi64ELi16ELb1ELb1ELb1ELb0EfPKfPKS1_PKPfEviT7_lllT6_T8_lllPii,"axG",@progbits,_ZL19rocblas_trsv_deviceILi64ELi16ELb1ELb1ELb1ELb0EfPKfPKS1_PKPfEviT7_lllT6_T8_lllPii,comdat
.Lfunc_end108:
	.size	_ZL19rocblas_trsv_deviceILi64ELi16ELb1ELb1ELb1ELb0EfPKfPKS1_PKPfEviT7_lllT6_T8_lllPii, .Lfunc_end108-_ZL19rocblas_trsv_deviceILi64ELi16ELb1ELb1ELb1ELb0EfPKfPKS1_PKPfEviT7_lllT6_T8_lllPii
                                        ; -- End function
	.set _ZL19rocblas_trsv_deviceILi64ELi16ELb1ELb1ELb1ELb0EfPKfPKS1_PKPfEviT7_lllT6_T8_lllPii.num_vgpr, 94
	.set _ZL19rocblas_trsv_deviceILi64ELi16ELb1ELb1ELb1ELb0EfPKfPKS1_PKPfEviT7_lllT6_T8_lllPii.num_agpr, 0
	.set _ZL19rocblas_trsv_deviceILi64ELi16ELb1ELb1ELb1ELb0EfPKfPKS1_PKPfEviT7_lllT6_T8_lllPii.numbered_sgpr, 105
	.set _ZL19rocblas_trsv_deviceILi64ELi16ELb1ELb1ELb1ELb0EfPKfPKS1_PKPfEviT7_lllT6_T8_lllPii.num_named_barrier, 0
	.set _ZL19rocblas_trsv_deviceILi64ELi16ELb1ELb1ELb1ELb0EfPKfPKS1_PKPfEviT7_lllT6_T8_lllPii.private_seg_size, 0
	.set _ZL19rocblas_trsv_deviceILi64ELi16ELb1ELb1ELb1ELb0EfPKfPKS1_PKPfEviT7_lllT6_T8_lllPii.uses_vcc, 1
	.set _ZL19rocblas_trsv_deviceILi64ELi16ELb1ELb1ELb1ELb0EfPKfPKS1_PKPfEviT7_lllT6_T8_lllPii.uses_flat_scratch, 0
	.set _ZL19rocblas_trsv_deviceILi64ELi16ELb1ELb1ELb1ELb0EfPKfPKS1_PKPfEviT7_lllT6_T8_lllPii.has_dyn_sized_stack, 0
	.set _ZL19rocblas_trsv_deviceILi64ELi16ELb1ELb1ELb1ELb0EfPKfPKS1_PKPfEviT7_lllT6_T8_lllPii.has_recursion, 0
	.set _ZL19rocblas_trsv_deviceILi64ELi16ELb1ELb1ELb1ELb0EfPKfPKS1_PKPfEviT7_lllT6_T8_lllPii.has_indirect_call, 0
	.section	.AMDGPU.csdata,"",@progbits
; Kernel info:
; codeLenInByte = 40236
; TotalNumSgprs: 107
; NumVgprs: 94
; ScratchSize: 0
; MemoryBound: 0
; FloatMode: 240
; IeeeMode: 1
; LDSByteSize: 20740 bytes/workgroup (compile time only)
; SGPRBlocks: 0
; VGPRBlocks: 5
; NumSGPRsForWavesPerEU: 107
; NumVGPRsForWavesPerEU: 94
; NamedBarCnt: 0
; Occupancy: 10
; WaveLimiterHint : 1
; COMPUTE_PGM_RSRC2:SCRATCH_EN: 0
; COMPUTE_PGM_RSRC2:USER_SGPR: 2
; COMPUTE_PGM_RSRC2:TRAP_HANDLER: 0
; COMPUTE_PGM_RSRC2:TGID_X_EN: 1
; COMPUTE_PGM_RSRC2:TGID_Y_EN: 0
; COMPUTE_PGM_RSRC2:TGID_Z_EN: 1
; COMPUTE_PGM_RSRC2:TIDIG_COMP_CNT: 1
	.section	.text._ZL19rocblas_trsv_deviceILi64ELi16ELb0ELb0ELb0ELb1EffPKPKfPKPfEviT7_lllT6_T8_lllPii,"axG",@progbits,_ZL19rocblas_trsv_deviceILi64ELi16ELb0ELb0ELb0ELb1EffPKPKfPKPfEviT7_lllT6_T8_lllPii,comdat
	.globl	_ZL19rocblas_trsv_deviceILi64ELi16ELb0ELb0ELb0ELb1EffPKPKfPKPfEviT7_lllT6_T8_lllPii ; -- Begin function _ZL19rocblas_trsv_deviceILi64ELi16ELb0ELb0ELb0ELb1EffPKPKfPKPfEviT7_lllT6_T8_lllPii
	.p2align	8
	.type	_ZL19rocblas_trsv_deviceILi64ELi16ELb0ELb0ELb0ELb1EffPKPKfPKPfEviT7_lllT6_T8_lllPii,@function
_ZL19rocblas_trsv_deviceILi64ELi16ELb0ELb0ELb0ELb1EffPKPKfPKPfEviT7_lllT6_T8_lllPii: ; @_ZL19rocblas_trsv_deviceILi64ELi16ELb0ELb0ELb0ELb1EffPKPKfPKPfEviT7_lllT6_T8_lllPii
; %bb.0:
	s_load_b32 s6, s[0:1], 0x58
	s_bfe_u32 s2, ttmp6, 0x40014
	s_lshr_b32 s3, ttmp7, 16
	s_add_co_i32 s2, s2, 1
	s_bfe_u32 s5, ttmp6, 0x40008
	s_mul_i32 s4, s3, s2
	s_getreg_b32 s2, hwreg(HW_REG_IB_STS2, 6, 4)
	s_add_co_i32 s5, s5, s4
	s_cmp_eq_u32 s2, 0
	s_mov_b32 s67, 0
	s_cselect_b32 s66, s3, s5
                                        ; implicit-def: $vgpr77 : SGPR spill to VGPR lane
	s_wait_kmcnt 0x0
	s_cmp_ge_u32 s66, s6
	v_writelane_b32 v77, s6, 0
	s_cbranch_scc1 .LBB109_1163
; %bb.1:
	s_clause 0x2
	s_load_b32 s3, s[0:1], 0x6c
	s_load_b32 s95, s[0:1], 0x60
	;; [unrolled: 1-line block ×3, first 2 shown]
	s_bfe_u32 s5, ttmp6, 0x4000c
	s_and_b32 s4, ttmp6, 15
	s_add_co_i32 s5, s5, 1
	s_load_b64 s[80:81], s[0:1], 0x50
	s_mul_i32 s5, ttmp9, s5
	s_clause 0x1
	s_load_b64 s[78:79], s[0:1], 0x18
	s_load_b128 s[68:71], s[0:1], 0x8
	s_add_co_i32 s4, s4, s5
	s_cmp_eq_u32 s2, 0
	v_bfe_u32 v2, v0, 10, 10
	s_cselect_b32 s94, ttmp9, s4
	v_and_b32_e32 v4, 0x3ff, v0
	v_dual_mov_b32 v7, 0 :: v_dual_bitop2_b32 v14, 1, v0 bitop3:0x40
	s_delay_alu instid0(VALU_DEP_3) | instskip(NEXT) | instid1(VALU_DEP_3)
	v_dual_add_nc_u32 v26, 32, v2 :: v_dual_bitop2_b32 v15, 7, v0 bitop3:0x40
	v_lshl_add_u32 v30, v2, 6, v4
	s_wait_kmcnt 0x0
	s_and_b32 s3, s3, 0xffff
	s_add_co_i32 s95, s95, -1
	s_add_co_i32 s2, s76, -1
	s_ashr_i32 s77, s76, 31
	s_ashr_i32 s4, s2, 31
	s_lshr_b32 s5, s77, 26
	s_lshr_b32 s4, s4, 26
	s_add_co_i32 s5, s76, s5
	s_add_co_i32 s2, s2, s4
	s_and_not1_b32 s5, s5, 63
	s_sub_co_i32 s11, s95, s94
	s_ashr_i32 s2, s2, 6
	s_sub_co_i32 s16, s76, s5
	s_cmp_eq_u32 s2, s11
	v_mad_u32_u24 v6, v2, s3, v4
	s_cselect_b32 s2, -1, 0
	s_cmp_lg_u32 s16, 0
	v_cmp_eq_u32_e32 vcc_lo, 0, v14
	s_cselect_b32 s4, -1, 0
	v_cmp_gt_u32_e64 s8, 5, v15
	s_and_b32 s17, s4, s2
	s_load_b32 s4, s[0:1], 0x28
	s_xor_b32 s96, s17, -1
	s_cmp_lg_u32 s94, 0
	v_cmp_gt_u32_e64 s2, 4, v30
	s_cselect_b32 s6, -1, 0
	s_lshl_b32 s14, s11, 6
	s_delay_alu instid0(SALU_CYCLE_1)
	v_dual_add_nc_u32 v3, s14, v2 :: v_dual_bitop2_b32 v1, 3, v0 bitop3:0x40
	s_ashr_i32 s15, s14, 31
	s_cmp_gt_i32 s94, 4
	v_dual_add_nc_u32 v24, 48, v2 :: v_dual_bitop2_b32 v16, 15, v0 bitop3:0x40
	s_cselect_b32 s3, -1, 0
	s_and_b32 s101, vcc_lo, s2
	s_and_b32 s99, s3, s96
	v_cmp_gt_u32_e64 s3, 16, v30
	v_cmp_gt_u32_e32 vcc_lo, 2, v1
	v_cmp_eq_u32_e64 s7, 2, v1
	v_cmp_ne_u32_e64 s9, 15, v16
	v_dual_add_nc_u32 v18, 64, v3 :: v_dual_bitop2_b32 v17, 31, v0 bitop3:0x40
	s_wait_kmcnt 0x0
	v_writelane_b32 v77, s4, 1
	s_add_nc_u64 s[4:5], s[78:79], 1
	s_and_b32 vcc_hi, vcc_lo, s3
	s_mul_u64 s[12:13], s[4:5], s[14:15]
	v_cmp_eq_u32_e64 s5, 3, v1
	v_writelane_b32 v77, s6, 2
	v_cmp_ne_u32_e64 s6, 3, v1
	v_cmp_eq_u32_e64 s4, 1, v14
	v_cmp_ne_u32_e32 vcc_lo, 7, v15
	s_and_b32 s102, s5, s3
	v_cmp_eq_u32_e64 s5, 1, v1
	s_and_b32 s103, s6, s3
	v_cmp_eq_u32_e64 s6, 0, v1
	s_and_b32 s100, s4, s2
	v_cmp_gt_u32_e64 s4, 64, v30
	s_and_b32 s31, s5, s3
	v_cmp_eq_u32_e64 s5, 6, v15
	s_and_b32 s33, s6, s3
	v_cmp_gt_u32_e64 s6, 6, v15
	;; [unrolled: 4-line block ×3, first 2 shown]
	s_and_b32 s37, s6, s4
	v_cmp_eq_u32_e64 s6, 3, v15
	s_and_b32 s104, s7, s3
	v_cmp_eq_u32_e64 s7, 7, v15
	s_and_b32 s35, vcc_lo, s4
	v_cmp_eq_u32_e32 vcc_lo, 4, v15
	s_and_b32 s41, s5, s4
	s_and_b32 s42, s6, s4
	;; [unrolled: 1-line block ×3, first 2 shown]
	v_cmp_eq_u32_e64 s6, 1, v15
	v_cmp_gt_u32_e64 s5, 0x100, v30
	v_cmp_eq_u32_e64 s8, 15, v16
	s_and_b32 s34, s7, s4
	v_cmp_eq_u32_e64 s7, 5, v15
	s_and_b32 s40, vcc_lo, s4
	v_cmp_gt_u32_e32 vcc_lo, 2, v15
	s_and_b32 s46, s6, s4
	s_and_b32 s6, s8, s5
	;; [unrolled: 1-line block ×3, first 2 shown]
	v_writelane_b32 v77, s6, 3
	v_cmp_gt_u32_e64 s7, 3, v15
	s_and_b32 s45, vcc_lo, s4
	s_and_b32 s6, s9, s5
	v_cmp_eq_u32_e32 vcc_lo, 14, v16
	v_writelane_b32 v77, s6, 4
	s_and_b32 s43, s7, s4
	v_cmp_eq_u32_e64 s7, 0, v15
	v_cmp_gt_u32_e64 s6, 14, v16
	s_and_b32 s10, vcc_lo, s5
	v_cmp_gt_u32_e64 s8, 13, v16
	v_writelane_b32 v77, s10, 5
	s_and_b32 s47, s7, s4
	v_cmp_eq_u32_e64 s7, 13, v16
	s_and_b32 s6, s6, s5
	v_cmp_eq_u32_e64 s9, 12, v16
	v_writelane_b32 v77, s6, 6
	v_cmp_gt_u32_e32 vcc_lo, 12, v16
	s_and_b32 s6, s7, s5
	v_cmp_gt_u32_e64 s7, 11, v16
	s_and_b32 s54, s9, s5
	v_writelane_b32 v77, s6, 7
	s_and_b32 s6, s8, s5
	v_cmp_gt_u32_e64 s9, 10, v16
	s_and_b32 s22, s7, s5
	v_cmp_eq_u32_e64 s7, 8, v16
	v_writelane_b32 v77, s6, 8
	v_cmp_eq_u32_e64 s6, 11, v16
	s_and_b32 s26, s9, s5
	v_cmp_eq_u32_e64 s9, 7, v16
	s_and_b32 s97, vcc_lo, s5
	v_cmp_eq_u32_e32 vcc_lo, 9, v16
	s_and_b32 s20, s6, s5
	v_cmp_gt_u32_e64 s6, 9, v16
	s_and_b32 s57, s7, s5
	s_and_b32 s59, s9, s5
	v_cmp_gt_u32_e64 s7, 6, v16
	v_cmp_gt_u32_e64 s9, 5, v16
	s_and_b32 s30, s6, s5
	v_cmp_eq_u32_e64 s6, 6, v16
	v_cmp_eq_u32_e64 s8, 10, v16
	s_and_b32 s28, vcc_lo, s5
	v_cmp_gt_u32_e32 vcc_lo, 7, v16
	s_and_b32 s62, s7, s5
	s_and_b32 s61, s6, s5
	;; [unrolled: 1-line block ×3, first 2 shown]
	v_cmp_gt_u32_e64 s6, 4, v16
	v_cmp_eq_u32_e64 s7, 3, v16
	v_cmp_eq_u32_e64 s9, 2, v16
	s_and_b32 s24, s8, s5
	v_cmp_gt_u32_e64 s8, 8, v16
	s_and_b32 s60, vcc_lo, s5
	v_cmp_eq_u32_e32 vcc_lo, 4, v16
	s_and_b32 s23, s6, s5
	s_and_b32 s25, s7, s5
	s_and_b32 s29, s9, s5
	v_cmp_eq_u32_e64 s7, 1, v16
	v_cmp_gt_u32_e64 s6, 0x400, v30
	v_cmp_eq_u32_e64 s9, 31, v17
	s_and_b32 s58, s8, s5
	v_cmp_eq_u32_e64 s8, 5, v16
	s_and_b32 s21, vcc_lo, s5
	v_cmp_gt_u32_e32 vcc_lo, 2, v16
	v_cmp_ne_u32_e64 s10, 31, v17
	s_and_b32 s98, s7, s5
	s_and_b32 s7, s9, s6
	s_and_b32 s63, s8, s5
	v_writelane_b32 v77, s7, 9
	v_cmp_gt_u32_e64 s8, 3, v16
	s_and_b32 s65, vcc_lo, s5
	s_and_b32 s7, s10, s6
	v_cmp_eq_u32_e32 vcc_lo, 30, v17
	v_writelane_b32 v77, s7, 10
	s_and_b32 s27, s8, s5
	v_cmp_eq_u32_e64 s8, 0, v16
	v_cmp_gt_u32_e64 s7, 30, v17
	s_and_b32 s18, vcc_lo, s6
	v_cmp_gt_u32_e64 s9, 29, v17
	v_writelane_b32 v77, s18, 11
	s_and_b32 s48, s8, s5
	v_cmp_eq_u32_e64 s8, 29, v17
	s_and_b32 s7, s7, s6
	v_cmp_eq_u32_e64 s10, 28, v17
	v_writelane_b32 v77, s7, 12
	v_cmp_gt_u32_e32 vcc_lo, 28, v17
	s_and_b32 s7, s8, s6
	v_cmp_gt_u32_e64 s8, 27, v17
                                        ; implicit-def: $vgpr76 : SGPR spill to VGPR lane
                                        ; implicit-def: $vgpr75 : SGPR spill to VGPR lane
	v_dual_add_nc_u32 v8, s14, v4 :: v_dual_add_nc_u32 v28, 16, v2
	v_writelane_b32 v77, s7, 13
	s_and_b32 s7, s9, s6
	s_and_b32 s18, vcc_lo, s6
	v_cmp_eq_u32_e64 s9, 26, v17
	v_cmp_eq_u32_e32 vcc_lo, 25, v17
	v_writelane_b32 v77, s7, 14
	s_and_b32 s7, s10, s6
	v_cmp_gt_u32_e64 s10, 26, v17
	v_add_nc_u64_e32 v[12:13], s[14:15], v[6:7]
	v_dual_ashrrev_i32 v19, 31, v18 :: v_dual_lshrrev_b32 v20, 10, v0
	v_writelane_b32 v77, s7, 15
	v_cmp_eq_u32_e64 s7, 27, v17
	v_dual_lshrrev_b32 v5, 1, v30 :: v_dual_ashrrev_i32 v9, 31, v8
	s_delay_alu instid0(VALU_DEP_4)
	v_mul_u64_e32 v[10:11], s[78:79], v[18:19]
	v_writelane_b32 v77, s18, 16
	s_and_b32 s7, s7, s6
	s_and_b32 s18, vcc_lo, s6
	v_cmp_gt_u32_e32 vcc_lo, 23, v17
	v_lshlrev_b32_e32 v19, 8, v5
	v_writelane_b32 v77, s7, 17
	s_and_b32 s7, s8, s6
	v_cmp_eq_u32_e64 s8, 24, v17
	v_bitop3_b32 v31, v0, v20, 0x3ff bitop3:0xa8
	v_lshlrev_b32_e32 v0, 6, v30
	v_writelane_b32 v77, s7, 18
	s_and_b32 s7, s9, s6
	v_cmp_gt_u32_e64 s9, 24, v17
	v_dual_sub_nc_u32 v32, 0, v19 :: v_dual_lshlrev_b32 v33, 2, v14
	v_writelane_b32 v77, s7, 19
	s_and_b32 s7, s10, s6
	v_cmp_eq_u32_e64 s10, 23, v17
	s_and_b32 s9, s9, s6
	v_dual_lshlrev_b32 v34, 2, v4 :: v_dual_lshrrev_b32 v20, 3, v30
	v_writelane_b32 v77, s7, 20
	v_cmp_gt_u32_e64 s7, 25, v17
	v_and_b32_e32 v14, 0x1fffc, v30
	v_and_b32_e32 v0, 0xffffff00, v0
	v_dual_lshlrev_b32 v35, 2, v1 :: v_dual_sub_nc_u32 v36, v33, v19
	v_writelane_b32 v77, s18, 21
	s_and_b32 s7, s7, s6
	v_dual_mov_b32 v62, 1.0 :: v_dual_add_nc_u32 v37, 0x4000, v14
	s_delay_alu instid0(VALU_DEP_3)
	v_dual_sub_nc_u32 v38, 0, v0 :: v_dual_sub_nc_u32 v39, v35, v0
	v_writelane_b32 v77, s7, 22
	s_and_b32 s7, s8, s6
	v_cmp_gt_u32_e64 s8, 22, v17
	v_dual_lshlrev_b32 v1, 8, v20 :: v_dual_lshlrev_b32 v40, 2, v15
	v_writelane_b32 v77, s7, 23
	v_cmp_eq_u32_e64 s7, 22, v17
	s_delay_alu instid0(VALU_DEP_3) | instskip(NEXT) | instid1(VALU_DEP_4)
	v_dual_lshrrev_b32 v0, 4, v30 :: v_dual_sub_nc_u32 v42, 0, v1
	v_dual_lshrrev_b32 v14, 5, v30 :: v_dual_sub_nc_u32 v43, v40, v1
	v_writelane_b32 v77, s9, 24
	s_and_b32 s9, s10, s6
	s_and_b32 s7, s7, s6
	s_clause 0x1
	s_load_b64 s[82:83], s[0:1], 0x40
	s_load_b128 s[72:75], s[0:1], 0x30
	v_lshlrev_b32_e32 v1, 8, v0
	v_writelane_b32 v77, s9, 25
	s_and_b32 s9, vcc_lo, s6
	v_cmp_eq_u32_e32 vcc_lo, 21, v17
	v_lshl_add_u32 v45, v0, 2, 0x4000
	v_lshlrev_b32_e32 v0, 8, v14
	v_writelane_b32 v77, s9, 26
	v_lshl_add_u32 v49, v14, 2, 0x4000
	v_dual_mov_b32 v29, v7 :: v_dual_add_nc_u32 v14, 0x50, v3
	v_add_nc_u32_e32 v15, 0x60, v3
	v_writelane_b32 v77, s7, 27
	s_and_b32 s7, s8, s6
                                        ; implicit-def: $vgpr74 : SGPR spill to VGPR lane
	v_lshl_add_u32 v53, v2, 2, 0x5000
	v_dual_lshlrev_b32 v44, 2, v16 :: v_dual_lshlrev_b32 v46, 2, v17
	v_writelane_b32 v77, s7, 28
	s_and_b32 s7, vcc_lo, s6
	v_cmp_gt_u32_e32 vcc_lo, 21, v17
	v_dual_add_nc_u32 v57, v53, v34 :: v_dual_bitop2_b32 v68, v28, v4 bitop3:0x54
	v_mov_b32_e32 v25, v7
	v_writelane_b32 v77, s7, 29
	s_and_b32 s7, vcc_lo, s6
	v_cmp_eq_u32_e32 vcc_lo, 20, v17
	v_lshl_add_u32 v41, v20, 2, 0x4000
	v_dual_sub_nc_u32 v47, 0, v1 :: v_dual_sub_nc_u32 v48, v44, v1
	v_writelane_b32 v77, s7, 30
	s_and_b32 s7, vcc_lo, s6
	v_cmp_gt_u32_e32 vcc_lo, 20, v17
	v_dual_sub_nc_u32 v50, 0, v0 :: v_dual_sub_nc_u32 v51, v46, v0
	v_writelane_b32 v77, s7, 31
	s_wait_kmcnt 0x0
	v_mul_u64_e32 v[0:1], s[82:83], v[8:9]
	s_and_b32 s7, vcc_lo, s6
	v_cmp_eq_u32_e32 vcc_lo, 19, v17
	v_writelane_b32 v76, s7, 0
	v_mul_u64_e32 v[12:13], s[82:83], v[12:13]
	v_mul_u64_e32 v[20:21], s[78:79], v[24:25]
	v_lshl_add_u32 v5, v5, 2, 0x4000
	s_and_b32 s7, vcc_lo, s6
	v_cmp_gt_u32_e32 vcc_lo, 19, v17
	v_writelane_b32 v76, s7, 1
	v_lshl_add_u32 v52, v6, 2, 0x5000
	v_lshl_add_u32 v54, v30, 2, 0x4000
	v_add_nc_u32_e32 v55, 0x4000, v34
	s_and_b32 s7, vcc_lo, s6
	v_cmp_eq_u32_e32 vcc_lo, 18, v17
	v_writelane_b32 v76, s7, 2
	v_lshl_add_u32 v56, v2, 8, v34
	v_lshl_add_u32 v58, v26, 8, v34
	v_lshl_add_u32 v59, v24, 8, v34
	s_and_b32 s7, vcc_lo, s6
	v_cmp_gt_u32_e32 vcc_lo, 18, v17
	v_writelane_b32 v76, s7, 3
	v_add_nc_u32_e32 v60, 0x3c00, v34
	v_subrev_nc_u32_e32 v61, 63, v4
	v_add_nc_u32_e64 v63, 0x3c00, 0
	s_and_b32 s7, vcc_lo, s6
	v_cmp_eq_u32_e32 vcc_lo, 17, v17
	v_writelane_b32 v76, s7, 4
	v_cmp_gt_u32_e64 s19, 24, v30
	v_cmp_eq_u32_e64 s55, 0, v6
	v_cmp_gt_u32_e64 s56, 64, v6
	s_and_b32 s7, vcc_lo, s6
	v_cmp_gt_u32_e32 vcc_lo, 17, v17
	v_writelane_b32 v76, s7, 5
	s_mul_u64 s[90:91], s[78:79], 0xc0
                                        ; implicit-def: $vgpr64
                                        ; implicit-def: $vgpr65
                                        ; implicit-def: $vgpr66
                                        ; implicit-def: $vgpr67
	v_dual_mov_b32 v27, v7 :: v_dual_lshlrev_b32 v22, 2, v4
	s_and_b32 s7, vcc_lo, s6
	v_cmp_eq_u32_e32 vcc_lo, 16, v17
	v_writelane_b32 v76, s7, 6
	v_mov_b32_e32 v23, v7
	s_and_b32 s7, vcc_lo, s6
	v_cmp_gt_u32_e32 vcc_lo, 16, v17
	v_writelane_b32 v76, s7, 7
	s_and_b32 s7, vcc_lo, s6
	v_cmp_eq_u32_e32 vcc_lo, 15, v17
	v_writelane_b32 v76, s7, 8
	s_and_b32 s7, vcc_lo, s6
	v_cmp_gt_u32_e32 vcc_lo, 15, v17
	v_writelane_b32 v76, s7, 9
	s_and_b32 s7, vcc_lo, s6
	v_cmp_eq_u32_e32 vcc_lo, 14, v17
	v_writelane_b32 v76, s7, 10
	s_and_b32 s7, vcc_lo, s6
	v_cmp_gt_u32_e32 vcc_lo, 14, v17
	v_writelane_b32 v76, s7, 11
	s_and_b32 s7, vcc_lo, s6
	v_cmp_eq_u32_e32 vcc_lo, 13, v17
	v_writelane_b32 v76, s7, 12
	s_and_b32 s7, vcc_lo, s6
	v_cmp_gt_u32_e32 vcc_lo, 13, v17
	v_writelane_b32 v76, s7, 13
	s_and_b32 s7, vcc_lo, s6
	v_cmp_eq_u32_e32 vcc_lo, 12, v17
	v_writelane_b32 v76, s7, 14
	s_and_b32 s7, vcc_lo, s6
	v_cmp_gt_u32_e32 vcc_lo, 12, v17
	v_writelane_b32 v76, s7, 15
	s_and_b32 s7, vcc_lo, s6
	v_cmp_eq_u32_e32 vcc_lo, 11, v17
	v_writelane_b32 v76, s7, 16
	s_and_b32 s7, vcc_lo, s6
	v_cmp_gt_u32_e32 vcc_lo, 11, v17
	v_writelane_b32 v76, s7, 17
	s_and_b32 s7, vcc_lo, s6
	v_cmp_eq_u32_e32 vcc_lo, 10, v17
	v_writelane_b32 v76, s7, 18
	s_and_b32 s7, vcc_lo, s6
	v_cmp_gt_u32_e32 vcc_lo, 10, v17
	v_writelane_b32 v76, s7, 19
	s_and_b32 s7, vcc_lo, s6
	v_cmp_eq_u32_e32 vcc_lo, 9, v17
	v_writelane_b32 v76, s7, 20
	s_and_b32 s7, vcc_lo, s6
	v_cmp_gt_u32_e32 vcc_lo, 9, v17
	v_writelane_b32 v76, s7, 21
	s_and_b32 s7, vcc_lo, s6
	v_cmp_eq_u32_e32 vcc_lo, 8, v17
	v_writelane_b32 v76, s7, 22
	s_and_b32 s7, vcc_lo, s6
	v_cmp_gt_u32_e32 vcc_lo, 8, v17
	v_writelane_b32 v76, s7, 23
	s_and_b32 s7, vcc_lo, s6
	v_cmp_eq_u32_e32 vcc_lo, 7, v17
	v_writelane_b32 v76, s7, 24
	s_and_b32 s7, vcc_lo, s6
	v_cmp_gt_u32_e32 vcc_lo, 7, v17
	v_writelane_b32 v76, s7, 25
	s_and_b32 s7, vcc_lo, s6
	v_cmp_eq_u32_e32 vcc_lo, 6, v17
	v_writelane_b32 v76, s7, 26
	s_and_b32 s7, vcc_lo, s6
	v_cmp_gt_u32_e32 vcc_lo, 6, v17
	v_writelane_b32 v76, s7, 27
	s_and_b32 s7, vcc_lo, s6
	v_cmp_eq_u32_e32 vcc_lo, 5, v17
	v_writelane_b32 v76, s7, 28
	s_and_b32 s7, vcc_lo, s6
	v_cmp_gt_u32_e32 vcc_lo, 5, v17
	v_writelane_b32 v76, s7, 29
	s_and_b32 s7, vcc_lo, s6
	v_cmp_eq_u32_e32 vcc_lo, 4, v17
	v_writelane_b32 v76, s7, 30
	s_and_b32 s7, vcc_lo, s6
	v_cmp_gt_u32_e32 vcc_lo, 4, v17
	v_writelane_b32 v76, s7, 31
	s_and_b32 s7, vcc_lo, s6
	v_cmp_eq_u32_e32 vcc_lo, 3, v17
	v_writelane_b32 v75, s7, 0
	s_and_b32 s7, vcc_lo, s6
	v_cmp_gt_u32_e32 vcc_lo, 3, v17
	v_writelane_b32 v75, s7, 1
	s_and_b32 s7, vcc_lo, s6
	v_cmp_eq_u32_e32 vcc_lo, 2, v17
	v_writelane_b32 v75, s7, 2
	s_and_b32 s7, vcc_lo, s6
	v_cmp_gt_u32_e32 vcc_lo, 2, v17
	v_writelane_b32 v75, s7, 3
	s_and_b32 s7, vcc_lo, s6
	v_cmp_eq_u32_e32 vcc_lo, 1, v17
	v_writelane_b32 v75, s7, 4
	s_and_b32 s7, vcc_lo, s6
	v_cmp_eq_u32_e32 vcc_lo, 0, v17
	v_writelane_b32 v75, s7, 5
	v_cmp_eq_u32_e64 s7, 0, v2
	v_mul_u64_e32 v[16:17], s[78:79], v[28:29]
	v_or_b32_e32 v29, v26, v4
	s_and_b32 s9, vcc_lo, s6
	v_cmp_le_i32_e32 vcc_lo, s16, v4
	s_and_b32 s8, vcc_lo, s17
	s_delay_alu instid0(SALU_CYCLE_1) | instskip(SKIP_1) | instid1(SALU_CYCLE_1)
	v_writelane_b32 v75, s8, 6
	s_xor_b32 s8, s8, -1
	s_and_b32 s10, s7, s8
	v_cmp_le_i32_e64 s8, s16, v2
	s_cmp_gt_i32 s94, 0
	s_cselect_b32 s49, -1, 0
	s_lshl_b64 s[84:85], s[12:13], 2
	s_or_b32 s14, s8, vcc_lo
	v_cmp_le_i32_e64 s8, s16, v28
	v_cmp_gt_u32_e64 s12, 2, v30
	v_cmp_gt_u32_e64 s13, 12, v30
	s_lshl_b64 s[86:87], s[78:79], 6
	s_lshl_b64 s[88:89], s[78:79], 7
	s_or_b32 s15, s8, vcc_lo
	v_cmp_le_i32_e64 s8, s16, v26
	s_lshl_b64 s[70:71], s[70:71], 2
	s_lshl_b64 s[74:75], s[74:75], 2
	s_or_b32 s17, s8, vcc_lo
	v_cmp_le_i32_e64 s8, s16, v24
	s_or_b32 s18, s8, vcc_lo
	v_cmp_gt_i32_e32 vcc_lo, s16, v4
	s_add_co_i32 s8, s11, 1
	v_cmp_eq_u32_e64 s11, 0, v31
	v_cmp_gt_u32_e64 s16, 48, v30
	s_and_b32 s0, s7, vcc_lo
	v_cmp_gt_i32_e32 vcc_lo, s76, v18
	v_writelane_b32 v75, s0, 7
	v_cmp_gt_i32_e64 s0, s76, v8
	v_mul_u64_e32 v[18:19], s[78:79], v[26:27]
	v_or_b32_e32 v27, v24, v4
	s_and_b32 s1, s0, vcc_lo
	v_cmp_gt_i32_e32 vcc_lo, s76, v14
	v_writelane_b32 v75, s1, 8
	v_dual_mov_b32 v3, v7 :: v_dual_add_nc_u32 v14, 0x70, v3
	s_and_b32 s1, s0, vcc_lo
	v_cmp_gt_i32_e32 vcc_lo, s76, v15
	v_writelane_b32 v75, s1, 9
	s_and_b32 s1, s0, vcc_lo
	v_cmp_gt_i32_e32 vcc_lo, s76, v14
	v_writelane_b32 v75, s1, 10
	v_mul_u64_e32 v[14:15], s[78:79], v[2:3]
	v_lshl_add_u32 v3, v28, 8, v34
	s_and_b32 s1, s0, vcc_lo
	s_delay_alu instid0(SALU_CYCLE_1) | instskip(SKIP_1) | instid1(VALU_DEP_1)
	v_writelane_b32 v75, s1, 11
	v_cmp_le_u32_e64 s1, v2, v4
	v_writelane_b32 v75, s1, 12
	s_or_b32 s1, s14, s1
	v_cmp_gt_u32_e64 s14, 8, v30
	v_writelane_b32 v75, s1, 13
	v_cmp_le_u32_e64 s1, v28, v4
	s_delay_alu instid0(VALU_DEP_1) | instskip(SKIP_4) | instid1(VALU_DEP_1)
	v_writelane_b32 v75, s1, 14
	s_or_b32 s1, s15, s1
	v_cmp_gt_u32_e64 s15, 56, v30
	v_writelane_b32 v75, s1, 15
	v_cmp_le_u32_e64 s1, v26, v4
	v_writelane_b32 v75, s1, 16
	s_or_b32 s1, s17, s1
	v_cmp_gt_u32_e64 s17, 40, v30
	v_writelane_b32 v75, s1, 17
	v_cmp_le_u32_e64 s1, v24, v4
	s_delay_alu instid0(VALU_DEP_1) | instskip(SKIP_4) | instid1(VALU_DEP_1)
	v_writelane_b32 v75, s1, 18
	s_or_b32 s1, s18, s1
	v_cmp_gt_u32_e64 s18, 32, v30
	v_writelane_b32 v75, s1, 19
	v_cmp_gt_u32_e64 s1, 0xf0, v30
	v_writelane_b32 v75, s1, 20
	v_cmp_gt_u32_e64 s1, 0xe0, v30
	s_delay_alu instid0(VALU_DEP_1) | instskip(SKIP_1) | instid1(VALU_DEP_1)
	v_writelane_b32 v75, s1, 21
	v_cmp_gt_u32_e64 s1, 0xd0, v30
	v_writelane_b32 v75, s1, 22
	v_cmp_gt_u32_e64 s1, 0xc0, v30
	s_delay_alu instid0(VALU_DEP_1) | instskip(SKIP_1) | instid1(VALU_DEP_1)
	;; [unrolled: 5-line block ×17, first 2 shown]
	v_writelane_b32 v74, s1, 21
	v_cmp_le_u32_e64 s1, v4, v2
	v_writelane_b32 v74, s1, 22
	v_cmp_le_u32_e64 s1, v4, v28
	s_delay_alu instid0(VALU_DEP_1) | instskip(SKIP_1) | instid1(VALU_DEP_1)
	v_writelane_b32 v74, s1, 23
	v_cmp_le_u32_e64 s1, v4, v26
	v_writelane_b32 v74, s1, 24
	v_cmp_le_u32_e64 s1, v4, v24
	s_delay_alu instid0(VALU_DEP_1) | instskip(SKIP_1) | instid1(VALU_DEP_1)
	v_writelane_b32 v74, s1, 25
	v_cmp_gt_u32_e64 s1, 64, v31
	v_writelane_b32 v74, s1, 26
	v_cmp_gt_u32_e64 s1, 64, v68
	s_delay_alu instid0(VALU_DEP_1) | instskip(SKIP_1) | instid1(VALU_DEP_1)
	v_writelane_b32 v74, s1, 27
	v_cmp_gt_u32_e64 s1, 64, v29
	v_writelane_b32 v74, s1, 28
	v_cmp_gt_u32_e64 s1, 64, v27
	s_delay_alu instid0(VALU_DEP_1)
	v_writelane_b32 v74, s1, 29
	s_branch .LBB109_3
.LBB109_2:                              ;   in Loop: Header=BB109_3 Depth=1
	s_wait_xcnt 0x0
	s_or_b32 exec_lo, exec_lo, s1
	v_readlane_b32 s1, v77, 0
	s_add_co_i32 s66, s66, 0x10000
	global_wb scope:SCOPE_DEV
	s_wait_storecnt 0x0
	global_inv scope:SCOPE_DEV
	s_cmp_lt_u32 s66, s1
	s_cbranch_scc0 .LBB109_1163
.LBB109_3:                              ; =>This Loop Header: Depth=1
                                        ;     Child Loop BB109_1043 Depth 2
                                        ;       Child Loop BB109_1045 Depth 3
                                        ;     Child Loop BB109_1083 Depth 2
	v_mov_b32_e32 v26, s66
	v_readlane_b32 s1, v77, 2
	s_clause 0x1
	global_load_b64 v[24:25], v26, s[68:69] scale_offset
	global_load_b64 v[26:27], v26, s[72:73] scale_offset
	s_and_not1_b32 vcc_lo, exec_lo, s1
	s_wait_loadcnt 0x1
	v_add_nc_u64_e32 v[24:25], s[70:71], v[24:25]
	s_cbranch_vccnz .LBB109_13
; %bb.4:                                ;   in Loop: Header=BB109_3 Depth=1
	s_delay_alu instid0(VALU_DEP_1) | instskip(SKIP_3) | instid1(VALU_DEP_2)
	v_lshl_add_u64 v[28:29], v[10:11], 2, v[24:25]
	v_dual_mov_b32 v65, 0 :: v_dual_mov_b32 v64, 0
	s_wait_loadcnt 0x0
	s_barrier_signal -1
	v_lshl_add_u64 v[28:29], v[8:9], 2, v[28:29]
	s_barrier_wait -1
	s_wait_xcnt 0x0
	s_mov_b32 s1, exec_lo
	v_readlane_b32 s50, v75, 8
	s_and_b32 s50, s1, s50
	s_delay_alu instid0(SALU_CYCLE_1)
	s_mov_b32 exec_lo, s50
	s_cbranch_execz .LBB109_6
; %bb.5:                                ;   in Loop: Header=BB109_3 Depth=1
	flat_load_b32 v64, v[28:29]
.LBB109_6:                              ;   in Loop: Header=BB109_3 Depth=1
	s_wait_xcnt 0x0
	s_or_b32 exec_lo, exec_lo, s1
	s_wait_loadcnt_dscnt 0x0
	s_barrier_signal -1
	s_barrier_wait -1
	s_mov_b32 s1, exec_lo
	v_readlane_b32 s50, v75, 9
	s_and_b32 s50, s1, s50
	s_delay_alu instid0(SALU_CYCLE_1)
	s_mov_b32 exec_lo, s50
	s_cbranch_execz .LBB109_8
; %bb.7:                                ;   in Loop: Header=BB109_3 Depth=1
	v_add_nc_u64_e32 v[30:31], s[86:87], v[28:29]
	flat_load_b32 v65, v[30:31]
.LBB109_8:                              ;   in Loop: Header=BB109_3 Depth=1
	s_wait_xcnt 0x0
	s_or_b32 exec_lo, exec_lo, s1
	v_dual_mov_b32 v67, 0 :: v_dual_mov_b32 v66, 0
	s_wait_loadcnt_dscnt 0x0
	s_barrier_signal -1
	s_barrier_wait -1
	s_mov_b32 s1, exec_lo
	v_readlane_b32 s50, v75, 10
	s_and_b32 s50, s1, s50
	s_delay_alu instid0(SALU_CYCLE_1)
	s_mov_b32 exec_lo, s50
	s_cbranch_execz .LBB109_10
; %bb.9:                                ;   in Loop: Header=BB109_3 Depth=1
	v_add_nc_u64_e32 v[30:31], s[88:89], v[28:29]
	flat_load_b32 v66, v[30:31]
.LBB109_10:                             ;   in Loop: Header=BB109_3 Depth=1
	s_wait_xcnt 0x0
	s_or_b32 exec_lo, exec_lo, s1
	s_wait_loadcnt_dscnt 0x0
	s_barrier_signal -1
	s_barrier_wait -1
	s_mov_b32 s1, exec_lo
	v_readlane_b32 s50, v75, 11
	s_and_b32 s50, s1, s50
	s_delay_alu instid0(SALU_CYCLE_1)
	s_mov_b32 exec_lo, s50
	s_cbranch_execz .LBB109_12
; %bb.11:                               ;   in Loop: Header=BB109_3 Depth=1
	v_add_nc_u64_e32 v[28:29], s[90:91], v[28:29]
	flat_load_b32 v67, v[28:29]
.LBB109_12:                             ;   in Loop: Header=BB109_3 Depth=1
	s_wait_xcnt 0x0
	s_or_b32 exec_lo, exec_lo, s1
.LBB109_13:                             ;   in Loop: Header=BB109_3 Depth=1
	s_delay_alu instid0(VALU_DEP_1) | instskip(SKIP_2) | instid1(VALU_DEP_1)
	v_add_nc_u64_e32 v[28:29], s[84:85], v[24:25]
	s_and_not1_b32 vcc_lo, exec_lo, s96
	s_mov_b32 s1, -1
	v_add_nc_u64_e32 v[28:29], v[28:29], v[22:23]
	s_cbranch_vccnz .LBB109_37
; %bb.14:                               ;   in Loop: Header=BB109_3 Depth=1
	s_mov_b32 s1, 0
	s_wait_xcnt 0x0
	s_mov_b32 s50, exec_lo
	v_readlane_b32 s51, v75, 12
	s_and_b32 s51, s50, s51
	s_delay_alu instid0(SALU_CYCLE_1)
	s_xor_b32 s50, s51, s50
	s_mov_b32 exec_lo, s51
	s_cbranch_execnz .LBB109_1105
; %bb.15:                               ;   in Loop: Header=BB109_3 Depth=1
	s_or_saveexec_b32 s50, s50
	v_mov_b32_e32 v30, 0
	s_xor_b32 exec_lo, exec_lo, s50
	s_cbranch_execnz .LBB109_1106
.LBB109_16:                             ;   in Loop: Header=BB109_3 Depth=1
	s_or_b32 exec_lo, exec_lo, s50
	s_and_saveexec_b32 s50, s1
.LBB109_17:                             ;   in Loop: Header=BB109_3 Depth=1
	ds_store_b32 v56, v30
.LBB109_18:                             ;   in Loop: Header=BB109_3 Depth=1
	s_or_b32 exec_lo, exec_lo, s50
	s_delay_alu instid0(SALU_CYCLE_1) | instskip(SKIP_2) | instid1(SALU_CYCLE_1)
	s_mov_b32 s1, exec_lo
	v_readlane_b32 s50, v75, 14
	s_and_b32 s50, s1, s50
	s_xor_b32 s1, s50, s1
	s_mov_b32 exec_lo, s50
	s_cbranch_execz .LBB109_22
; %bb.19:                               ;   in Loop: Header=BB109_3 Depth=1
	s_mov_b32 s50, exec_lo
	v_readlane_b32 s51, v74, 27
	s_and_b32 s51, s50, s51
	s_delay_alu instid0(SALU_CYCLE_1)
	s_mov_b32 exec_lo, s51
; %bb.20:                               ;   in Loop: Header=BB109_3 Depth=1
	ds_store_b32 v3, v7
; %bb.21:                               ;   in Loop: Header=BB109_3 Depth=1
	s_or_b32 exec_lo, exec_lo, s50
.LBB109_22:                             ;   in Loop: Header=BB109_3 Depth=1
	s_and_not1_saveexec_b32 s1, s1
	s_cbranch_execz .LBB109_24
; %bb.23:                               ;   in Loop: Header=BB109_3 Depth=1
	v_lshl_add_u64 v[30:31], v[16:17], 2, v[28:29]
	flat_load_b32 v30, v[30:31]
	s_wait_loadcnt_dscnt 0x0
	v_xor_b32_e32 v30, 0x80000000, v30
	ds_store_b32 v3, v30
.LBB109_24:                             ;   in Loop: Header=BB109_3 Depth=1
	s_or_b32 exec_lo, exec_lo, s1
	s_delay_alu instid0(SALU_CYCLE_1) | instskip(SKIP_2) | instid1(SALU_CYCLE_1)
	s_mov_b32 s1, exec_lo
	v_readlane_b32 s50, v75, 16
	s_and_b32 s50, s1, s50
	s_xor_b32 s1, s50, s1
	s_mov_b32 exec_lo, s50
	s_cbranch_execz .LBB109_28
; %bb.25:                               ;   in Loop: Header=BB109_3 Depth=1
	s_mov_b32 s50, exec_lo
	v_readlane_b32 s51, v74, 28
	s_and_b32 s51, s50, s51
	s_delay_alu instid0(SALU_CYCLE_1)
	s_mov_b32 exec_lo, s51
; %bb.26:                               ;   in Loop: Header=BB109_3 Depth=1
	ds_store_b32 v58, v7
; %bb.27:                               ;   in Loop: Header=BB109_3 Depth=1
	s_or_b32 exec_lo, exec_lo, s50
.LBB109_28:                             ;   in Loop: Header=BB109_3 Depth=1
	s_and_not1_saveexec_b32 s1, s1
	s_cbranch_execz .LBB109_30
; %bb.29:                               ;   in Loop: Header=BB109_3 Depth=1
	v_lshl_add_u64 v[30:31], v[18:19], 2, v[28:29]
	flat_load_b32 v30, v[30:31]
	s_wait_loadcnt_dscnt 0x0
	v_xor_b32_e32 v30, 0x80000000, v30
	ds_store_b32 v58, v30
.LBB109_30:                             ;   in Loop: Header=BB109_3 Depth=1
	;; [unrolled: 28-line block ×3, first 2 shown]
	s_or_b32 exec_lo, exec_lo, s1
	s_mov_b32 s1, 0
.LBB109_37:                             ;   in Loop: Header=BB109_3 Depth=1
	s_delay_alu instid0(SALU_CYCLE_1)
	s_and_b32 vcc_lo, exec_lo, s1
	s_cbranch_vccz .LBB109_61
; %bb.38:                               ;   in Loop: Header=BB109_3 Depth=1
	s_mov_b32 s1, 0
	s_wait_xcnt 0x0
	s_mov_b32 s50, exec_lo
	v_readlane_b32 s51, v75, 13
	s_and_b32 s51, s50, s51
	s_delay_alu instid0(SALU_CYCLE_1)
	s_xor_b32 s50, s51, s50
	s_mov_b32 exec_lo, s51
	s_cbranch_execnz .LBB109_1107
; %bb.39:                               ;   in Loop: Header=BB109_3 Depth=1
	s_or_saveexec_b32 s50, s50
	v_mov_b32_e32 v30, 0
	s_xor_b32 exec_lo, exec_lo, s50
	s_cbranch_execnz .LBB109_1108
.LBB109_40:                             ;   in Loop: Header=BB109_3 Depth=1
	s_or_b32 exec_lo, exec_lo, s50
	s_and_saveexec_b32 s50, s1
.LBB109_41:                             ;   in Loop: Header=BB109_3 Depth=1
	ds_store_b32 v56, v30
.LBB109_42:                             ;   in Loop: Header=BB109_3 Depth=1
	s_or_b32 exec_lo, exec_lo, s50
	s_delay_alu instid0(SALU_CYCLE_1) | instskip(SKIP_2) | instid1(SALU_CYCLE_1)
	s_mov_b32 s1, exec_lo
	v_readlane_b32 s50, v75, 15
	s_and_b32 s50, s1, s50
	s_xor_b32 s1, s50, s1
	s_mov_b32 exec_lo, s50
	s_cbranch_execz .LBB109_46
; %bb.43:                               ;   in Loop: Header=BB109_3 Depth=1
	s_mov_b32 s50, exec_lo
	v_readlane_b32 s51, v74, 27
	s_and_b32 s51, s50, s51
	s_delay_alu instid0(SALU_CYCLE_1)
	s_mov_b32 exec_lo, s51
; %bb.44:                               ;   in Loop: Header=BB109_3 Depth=1
	ds_store_b32 v3, v7
; %bb.45:                               ;   in Loop: Header=BB109_3 Depth=1
	s_or_b32 exec_lo, exec_lo, s50
.LBB109_46:                             ;   in Loop: Header=BB109_3 Depth=1
	s_and_not1_saveexec_b32 s1, s1
	s_cbranch_execz .LBB109_48
; %bb.47:                               ;   in Loop: Header=BB109_3 Depth=1
	v_lshl_add_u64 v[30:31], v[16:17], 2, v[28:29]
	flat_load_b32 v30, v[30:31]
	s_wait_loadcnt_dscnt 0x0
	v_xor_b32_e32 v30, 0x80000000, v30
	ds_store_b32 v3, v30
.LBB109_48:                             ;   in Loop: Header=BB109_3 Depth=1
	s_or_b32 exec_lo, exec_lo, s1
	s_delay_alu instid0(SALU_CYCLE_1) | instskip(SKIP_2) | instid1(SALU_CYCLE_1)
	s_mov_b32 s1, exec_lo
	v_readlane_b32 s50, v75, 17
	s_and_b32 s50, s1, s50
	s_xor_b32 s1, s50, s1
	s_mov_b32 exec_lo, s50
	s_cbranch_execz .LBB109_52
; %bb.49:                               ;   in Loop: Header=BB109_3 Depth=1
	s_mov_b32 s50, exec_lo
	v_readlane_b32 s51, v74, 28
	s_and_b32 s51, s50, s51
	s_delay_alu instid0(SALU_CYCLE_1)
	s_mov_b32 exec_lo, s51
; %bb.50:                               ;   in Loop: Header=BB109_3 Depth=1
	ds_store_b32 v58, v7
; %bb.51:                               ;   in Loop: Header=BB109_3 Depth=1
	s_or_b32 exec_lo, exec_lo, s50
.LBB109_52:                             ;   in Loop: Header=BB109_3 Depth=1
	s_and_not1_saveexec_b32 s1, s1
	s_cbranch_execz .LBB109_54
; %bb.53:                               ;   in Loop: Header=BB109_3 Depth=1
	v_lshl_add_u64 v[30:31], v[18:19], 2, v[28:29]
	flat_load_b32 v30, v[30:31]
	s_wait_loadcnt_dscnt 0x0
	v_xor_b32_e32 v30, 0x80000000, v30
	ds_store_b32 v58, v30
.LBB109_54:                             ;   in Loop: Header=BB109_3 Depth=1
	s_or_b32 exec_lo, exec_lo, s1
	s_delay_alu instid0(SALU_CYCLE_1) | instskip(SKIP_2) | instid1(SALU_CYCLE_1)
	s_mov_b32 s1, exec_lo
	v_readlane_b32 s50, v75, 19
	s_and_b32 s50, s1, s50
	s_xor_b32 s1, s50, s1
	s_mov_b32 exec_lo, s50
	s_cbranch_execz .LBB109_58
; %bb.55:                               ;   in Loop: Header=BB109_3 Depth=1
	s_mov_b32 s50, exec_lo
	v_readlane_b32 s51, v74, 29
	s_and_b32 s51, s50, s51
	s_delay_alu instid0(SALU_CYCLE_1)
	s_mov_b32 exec_lo, s51
; %bb.56:                               ;   in Loop: Header=BB109_3 Depth=1
	ds_store_b32 v59, v7
; %bb.57:                               ;   in Loop: Header=BB109_3 Depth=1
	s_or_b32 exec_lo, exec_lo, s50
                                        ; implicit-def: $vgpr28_vgpr29
.LBB109_58:                             ;   in Loop: Header=BB109_3 Depth=1
	s_and_not1_saveexec_b32 s1, s1
	s_cbranch_execz .LBB109_60
; %bb.59:                               ;   in Loop: Header=BB109_3 Depth=1
	v_lshl_add_u64 v[28:29], v[20:21], 2, v[28:29]
	flat_load_b32 v28, v[28:29]
	s_wait_loadcnt_dscnt 0x0
	v_xor_b32_e32 v28, 0x80000000, v28
	ds_store_b32 v59, v28
.LBB109_60:                             ;   in Loop: Header=BB109_3 Depth=1
	s_or_b32 exec_lo, exec_lo, s1
.LBB109_61:                             ;   in Loop: Header=BB109_3 Depth=1
	s_delay_alu instid0(SALU_CYCLE_1)
	s_and_not1_b32 vcc_lo, exec_lo, s99
	s_wait_loadcnt_dscnt 0x0
	s_barrier_signal -1
	s_barrier_wait -1
	s_cbranch_vccnz .LBB109_1037
; %bb.62:                               ;   in Loop: Header=BB109_3 Depth=1
	s_and_saveexec_b32 s1, s11
; %bb.63:                               ;   in Loop: Header=BB109_3 Depth=1
	ds_store_2addr_b32 v63, v62, v62 offset0:190 offset1:255
; %bb.64:                               ;   in Loop: Header=BB109_3 Depth=1
	s_or_b32 exec_lo, exec_lo, s1
	v_mov_b32_e32 v28, 0
	s_wait_dscnt 0x0
	s_barrier_signal -1
	s_barrier_wait -1
	global_wb scope:SCOPE_DEV
	s_wait_storecnt 0x0
	global_inv scope:SCOPE_DEV
	s_and_saveexec_b32 s1, s2
	s_cbranch_execz .LBB109_68
; %bb.65:                               ;   in Loop: Header=BB109_3 Depth=1
	ds_load_b32 v28, v33 offset:16112
	ds_load_b32 v29, v32 offset:16376
	s_wait_dscnt 0x0
	v_fma_f32 v28, v28, v29, 0
	s_and_saveexec_b32 s50, s12
	s_cbranch_execz .LBB109_67
; %bb.66:                               ;   in Loop: Header=BB109_3 Depth=1
	ds_load_b32 v29, v34 offset:16368
	ds_load_b32 v30, v7 offset:16380
	s_wait_dscnt 0x0
	v_fmac_f32_e32 v28, v29, v30
.LBB109_67:                             ;   in Loop: Header=BB109_3 Depth=1
	s_or_b32 exec_lo, exec_lo, s50
.LBB109_68:                             ;   in Loop: Header=BB109_3 Depth=1
	s_delay_alu instid0(SALU_CYCLE_1)
	s_or_b32 exec_lo, exec_lo, s1
	s_and_saveexec_b32 s1, s100
; %bb.69:                               ;   in Loop: Header=BB109_3 Depth=1
	s_delay_alu instid0(VALU_DEP_1)
	v_xor_b32_e32 v29, 0x80000000, v28
	ds_store_b32 v5, v29
; %bb.70:                               ;   in Loop: Header=BB109_3 Depth=1
	s_or_b32 exec_lo, exec_lo, s1
	s_wait_loadcnt_dscnt 0x0
	s_barrier_signal -1
	s_barrier_wait -1
	s_and_saveexec_b32 s1, s101
	s_cbranch_execz .LBB109_72
; %bb.71:                               ;   in Loop: Header=BB109_3 Depth=1
	ds_load_b32 v29, v7 offset:15856
	ds_load_b32 v30, v5
	s_wait_dscnt 0x0
	v_fma_f32 v28, -v29, v30, v28
.LBB109_72:                             ;   in Loop: Header=BB109_3 Depth=1
	s_or_b32 exec_lo, exec_lo, s1
	s_barrier_signal -1
	s_barrier_wait -1
	s_and_saveexec_b32 s1, s101
; %bb.73:                               ;   in Loop: Header=BB109_3 Depth=1
	v_xor_b32_e32 v29, 0x80000000, v28
	ds_store_b32 v5, v29
; %bb.74:                               ;   in Loop: Header=BB109_3 Depth=1
	s_or_b32 exec_lo, exec_lo, s1
	s_wait_dscnt 0x0
	s_barrier_signal -1
	s_barrier_wait -1
	s_barrier_signal -1
	s_barrier_wait -1
	s_and_saveexec_b32 s1, s2
; %bb.75:                               ;   in Loop: Header=BB109_3 Depth=1
	ds_store_b32 v36, v28 offset:16368
; %bb.76:                               ;   in Loop: Header=BB109_3 Depth=1
	s_or_b32 exec_lo, exec_lo, s1
	s_wait_dscnt 0x0
	s_barrier_signal -1
	s_barrier_wait -1
	s_barrier_signal -1
	s_barrier_wait -1
	s_and_saveexec_b32 s1, s11
; %bb.77:                               ;   in Loop: Header=BB109_3 Depth=1
	ds_store_2addr_b32 v63, v62, v62 offset0:60 offset1:125
; %bb.78:                               ;   in Loop: Header=BB109_3 Depth=1
	s_or_b32 exec_lo, exec_lo, s1
	v_mov_b32_e32 v28, 0
	s_wait_dscnt 0x0
	s_barrier_signal -1
	s_barrier_wait -1
	global_wb scope:SCOPE_DEV
	s_wait_storecnt 0x0
	global_inv scope:SCOPE_DEV
	s_and_saveexec_b32 s1, s3
	s_cbranch_execz .LBB109_84
; %bb.79:                               ;   in Loop: Header=BB109_3 Depth=1
	ds_load_b32 v28, v35 offset:15584
	ds_load_b32 v29, v38 offset:16368
	s_wait_dscnt 0x0
	v_fma_f32 v28, v28, v29, 0
	s_and_saveexec_b32 s50, s13
	s_cbranch_execnz .LBB109_1113
; %bb.80:                               ;   in Loop: Header=BB109_3 Depth=1
	s_or_b32 exec_lo, exec_lo, s50
	s_and_saveexec_b32 s50, s14
	s_cbranch_execnz .LBB109_1114
.LBB109_81:                             ;   in Loop: Header=BB109_3 Depth=1
	s_or_b32 exec_lo, exec_lo, s50
	s_and_saveexec_b32 s50, s2
	s_cbranch_execz .LBB109_83
.LBB109_82:                             ;   in Loop: Header=BB109_3 Depth=1
	ds_load_b32 v29, v34 offset:16352
	ds_load_b32 v30, v7 offset:16380
	s_wait_dscnt 0x0
	v_fmac_f32_e32 v28, v29, v30
.LBB109_83:                             ;   in Loop: Header=BB109_3 Depth=1
	s_or_b32 exec_lo, exec_lo, s50
.LBB109_84:                             ;   in Loop: Header=BB109_3 Depth=1
	s_delay_alu instid0(SALU_CYCLE_1)
	s_or_b32 exec_lo, exec_lo, s1
	s_and_saveexec_b32 s1, s102
; %bb.85:                               ;   in Loop: Header=BB109_3 Depth=1
	s_delay_alu instid0(VALU_DEP_1)
	v_xor_b32_e32 v29, 0x80000000, v28
	ds_store_b32 v37, v29
; %bb.86:                               ;   in Loop: Header=BB109_3 Depth=1
	s_or_b32 exec_lo, exec_lo, s1
	s_wait_loadcnt_dscnt 0x0
	s_barrier_signal -1
	s_barrier_wait -1
	s_and_saveexec_b32 s1, s103
	s_cbranch_execz .LBB109_88
; %bb.87:                               ;   in Loop: Header=BB109_3 Depth=1
	ds_load_b32 v29, v35 offset:15328
	ds_load_b32 v30, v37
	s_wait_dscnt 0x0
	v_fma_f32 v28, -v29, v30, v28
.LBB109_88:                             ;   in Loop: Header=BB109_3 Depth=1
	s_or_b32 exec_lo, exec_lo, s1
	s_barrier_signal -1
	s_barrier_wait -1
	s_and_saveexec_b32 s1, s104
; %bb.89:                               ;   in Loop: Header=BB109_3 Depth=1
	v_xor_b32_e32 v29, 0x80000000, v28
	ds_store_b32 v37, v29
; %bb.90:                               ;   in Loop: Header=BB109_3 Depth=1
	s_or_b32 exec_lo, exec_lo, s1
	s_wait_dscnt 0x0
	s_barrier_signal -1
	s_barrier_wait -1
	s_and_saveexec_b32 s1, vcc_hi
	s_cbranch_execz .LBB109_92
; %bb.91:                               ;   in Loop: Header=BB109_3 Depth=1
	ds_load_b32 v29, v35 offset:15072
	ds_load_b32 v30, v37
	s_wait_dscnt 0x0
	v_fma_f32 v28, -v29, v30, v28
.LBB109_92:                             ;   in Loop: Header=BB109_3 Depth=1
	s_or_b32 exec_lo, exec_lo, s1
	s_barrier_signal -1
	s_barrier_wait -1
	s_and_saveexec_b32 s1, s31
; %bb.93:                               ;   in Loop: Header=BB109_3 Depth=1
	v_xor_b32_e32 v29, 0x80000000, v28
	ds_store_b32 v37, v29
; %bb.94:                               ;   in Loop: Header=BB109_3 Depth=1
	s_or_b32 exec_lo, exec_lo, s1
	s_wait_dscnt 0x0
	s_barrier_signal -1
	s_barrier_wait -1
	s_and_saveexec_b32 s1, s33
	s_cbranch_execz .LBB109_96
; %bb.95:                               ;   in Loop: Header=BB109_3 Depth=1
	ds_load_b32 v29, v7 offset:14816
	ds_load_b32 v30, v37
	s_wait_dscnt 0x0
	v_fma_f32 v28, -v29, v30, v28
.LBB109_96:                             ;   in Loop: Header=BB109_3 Depth=1
	s_or_b32 exec_lo, exec_lo, s1
	s_barrier_signal -1
	s_barrier_wait -1
	s_and_saveexec_b32 s1, s33
; %bb.97:                               ;   in Loop: Header=BB109_3 Depth=1
	v_xor_b32_e32 v29, 0x80000000, v28
	ds_store_b32 v37, v29
; %bb.98:                               ;   in Loop: Header=BB109_3 Depth=1
	s_or_b32 exec_lo, exec_lo, s1
	s_wait_dscnt 0x0
	s_barrier_signal -1
	s_barrier_wait -1
	s_barrier_signal -1
	s_barrier_wait -1
	s_and_saveexec_b32 s1, s3
; %bb.99:                               ;   in Loop: Header=BB109_3 Depth=1
	ds_store_b32 v39, v28 offset:16352
; %bb.100:                              ;   in Loop: Header=BB109_3 Depth=1
	s_or_b32 exec_lo, exec_lo, s1
	s_wait_dscnt 0x0
	s_barrier_signal -1
	s_barrier_wait -1
	s_barrier_signal -1
	s_barrier_wait -1
	s_and_saveexec_b32 s1, s11
; %bb.101:                              ;   in Loop: Header=BB109_3 Depth=1
	v_add_nc_u32_e64 v28, 0x3800, 0
	ds_store_2addr_b32 v28, v62, v62 offset0:186 offset1:251
; %bb.102:                              ;   in Loop: Header=BB109_3 Depth=1
	s_or_b32 exec_lo, exec_lo, s1
	v_mov_b32_e32 v28, 0
	s_wait_dscnt 0x0
	s_barrier_signal -1
	s_barrier_wait -1
	global_wb scope:SCOPE_DEV
	s_wait_storecnt 0x0
	global_inv scope:SCOPE_DEV
	s_and_saveexec_b32 s1, s2
	s_cbranch_execz .LBB109_106
; %bb.103:                              ;   in Loop: Header=BB109_3 Depth=1
	ds_load_b32 v28, v33 offset:15072
	ds_load_b32 v29, v32 offset:15336
	s_wait_dscnt 0x0
	v_fma_f32 v28, v28, v29, 0
	s_and_saveexec_b32 s50, s12
	s_cbranch_execz .LBB109_105
; %bb.104:                              ;   in Loop: Header=BB109_3 Depth=1
	ds_load_b32 v29, v34 offset:15328
	ds_load_b32 v30, v7 offset:15340
	s_wait_dscnt 0x0
	v_fmac_f32_e32 v28, v29, v30
.LBB109_105:                            ;   in Loop: Header=BB109_3 Depth=1
	s_or_b32 exec_lo, exec_lo, s50
.LBB109_106:                            ;   in Loop: Header=BB109_3 Depth=1
	s_delay_alu instid0(SALU_CYCLE_1)
	s_or_b32 exec_lo, exec_lo, s1
	s_and_saveexec_b32 s1, s100
; %bb.107:                              ;   in Loop: Header=BB109_3 Depth=1
	s_delay_alu instid0(VALU_DEP_1)
	v_xor_b32_e32 v29, 0x80000000, v28
	ds_store_b32 v5, v29
; %bb.108:                              ;   in Loop: Header=BB109_3 Depth=1
	s_or_b32 exec_lo, exec_lo, s1
	s_wait_loadcnt_dscnt 0x0
	s_barrier_signal -1
	s_barrier_wait -1
	s_and_saveexec_b32 s1, s101
	s_cbranch_execz .LBB109_110
; %bb.109:                              ;   in Loop: Header=BB109_3 Depth=1
	ds_load_b32 v29, v7 offset:14816
	ds_load_b32 v30, v5
	s_wait_dscnt 0x0
	v_fma_f32 v28, -v29, v30, v28
.LBB109_110:                            ;   in Loop: Header=BB109_3 Depth=1
	s_or_b32 exec_lo, exec_lo, s1
	s_barrier_signal -1
	s_barrier_wait -1
	s_and_saveexec_b32 s1, s101
; %bb.111:                              ;   in Loop: Header=BB109_3 Depth=1
	v_xor_b32_e32 v29, 0x80000000, v28
	ds_store_b32 v5, v29
; %bb.112:                              ;   in Loop: Header=BB109_3 Depth=1
	s_or_b32 exec_lo, exec_lo, s1
	s_wait_dscnt 0x0
	s_barrier_signal -1
	s_barrier_wait -1
	s_barrier_signal -1
	s_barrier_wait -1
	s_and_saveexec_b32 s1, s2
; %bb.113:                              ;   in Loop: Header=BB109_3 Depth=1
	ds_store_b32 v36, v28 offset:15328
; %bb.114:                              ;   in Loop: Header=BB109_3 Depth=1
	s_or_b32 exec_lo, exec_lo, s1
	s_wait_dscnt 0x0
	s_barrier_signal -1
	s_barrier_wait -1
	s_barrier_signal -1
	s_barrier_wait -1
	s_and_saveexec_b32 s1, s11
; %bb.115:                              ;   in Loop: Header=BB109_3 Depth=1
	v_add_nc_u32_e64 v28, 0x3800, 0
	ds_store_2addr_b32 v28, v62, v62 offset0:56 offset1:121
; %bb.116:                              ;   in Loop: Header=BB109_3 Depth=1
	s_or_b32 exec_lo, exec_lo, s1
	v_mov_b32_e32 v28, 0
	s_wait_dscnt 0x0
	s_barrier_signal -1
	s_barrier_wait -1
	global_wb scope:SCOPE_DEV
	s_wait_storecnt 0x0
	global_inv scope:SCOPE_DEV
	s_and_saveexec_b32 s1, s4
	s_cbranch_execz .LBB109_126
; %bb.117:                              ;   in Loop: Header=BB109_3 Depth=1
	ds_load_b32 v28, v40 offset:14528
	ds_load_b32 v29, v42 offset:16352
	s_wait_dscnt 0x0
	v_fma_f32 v28, v28, v29, 0
	s_and_saveexec_b32 s50, s15
	s_cbranch_execnz .LBB109_1115
; %bb.118:                              ;   in Loop: Header=BB109_3 Depth=1
	s_or_b32 exec_lo, exec_lo, s50
	s_and_saveexec_b32 s50, s16
	s_cbranch_execnz .LBB109_1116
.LBB109_119:                            ;   in Loop: Header=BB109_3 Depth=1
	s_or_b32 exec_lo, exec_lo, s50
	s_and_saveexec_b32 s50, s17
	s_cbranch_execnz .LBB109_1117
.LBB109_120:                            ;   in Loop: Header=BB109_3 Depth=1
	s_or_b32 exec_lo, exec_lo, s50
	s_and_saveexec_b32 s50, s18
	s_cbranch_execnz .LBB109_1118
.LBB109_121:                            ;   in Loop: Header=BB109_3 Depth=1
	s_or_b32 exec_lo, exec_lo, s50
	s_and_saveexec_b32 s50, s19
	s_cbranch_execnz .LBB109_1119
.LBB109_122:                            ;   in Loop: Header=BB109_3 Depth=1
	s_or_b32 exec_lo, exec_lo, s50
	s_and_saveexec_b32 s50, s3
	s_cbranch_execnz .LBB109_1120
.LBB109_123:                            ;   in Loop: Header=BB109_3 Depth=1
	s_or_b32 exec_lo, exec_lo, s50
	s_and_saveexec_b32 s50, s14
	s_cbranch_execz .LBB109_125
.LBB109_124:                            ;   in Loop: Header=BB109_3 Depth=1
	ds_load_b32 v29, v34 offset:16320
	ds_load_b32 v30, v7 offset:16380
	s_wait_dscnt 0x0
	v_fmac_f32_e32 v28, v29, v30
.LBB109_125:                            ;   in Loop: Header=BB109_3 Depth=1
	s_or_b32 exec_lo, exec_lo, s50
.LBB109_126:                            ;   in Loop: Header=BB109_3 Depth=1
	s_delay_alu instid0(SALU_CYCLE_1)
	s_or_b32 exec_lo, exec_lo, s1
	s_and_saveexec_b32 s1, s34
; %bb.127:                              ;   in Loop: Header=BB109_3 Depth=1
	s_delay_alu instid0(VALU_DEP_1)
	v_xor_b32_e32 v29, 0x80000000, v28
	ds_store_b32 v41, v29
; %bb.128:                              ;   in Loop: Header=BB109_3 Depth=1
	s_or_b32 exec_lo, exec_lo, s1
	s_wait_loadcnt_dscnt 0x0
	s_barrier_signal -1
	s_barrier_wait -1
	s_and_saveexec_b32 s1, s35
	s_cbranch_execz .LBB109_130
; %bb.129:                              ;   in Loop: Header=BB109_3 Depth=1
	ds_load_b32 v29, v40 offset:14272
	ds_load_b32 v30, v41
	s_wait_dscnt 0x0
	v_fma_f32 v28, -v29, v30, v28
.LBB109_130:                            ;   in Loop: Header=BB109_3 Depth=1
	s_or_b32 exec_lo, exec_lo, s1
	s_barrier_signal -1
	s_barrier_wait -1
	s_and_saveexec_b32 s1, s36
; %bb.131:                              ;   in Loop: Header=BB109_3 Depth=1
	v_xor_b32_e32 v29, 0x80000000, v28
	ds_store_b32 v41, v29
; %bb.132:                              ;   in Loop: Header=BB109_3 Depth=1
	s_or_b32 exec_lo, exec_lo, s1
	s_wait_dscnt 0x0
	s_barrier_signal -1
	s_barrier_wait -1
	s_and_saveexec_b32 s1, s37
	s_cbranch_execz .LBB109_134
; %bb.133:                              ;   in Loop: Header=BB109_3 Depth=1
	ds_load_b32 v29, v40 offset:14016
	ds_load_b32 v30, v41
	s_wait_dscnt 0x0
	v_fma_f32 v28, -v29, v30, v28
.LBB109_134:                            ;   in Loop: Header=BB109_3 Depth=1
	s_or_b32 exec_lo, exec_lo, s1
	s_barrier_signal -1
	s_barrier_wait -1
	s_and_saveexec_b32 s1, s38
; %bb.135:                              ;   in Loop: Header=BB109_3 Depth=1
	v_xor_b32_e32 v29, 0x80000000, v28
	ds_store_b32 v41, v29
; %bb.136:                              ;   in Loop: Header=BB109_3 Depth=1
	s_or_b32 exec_lo, exec_lo, s1
	s_wait_dscnt 0x0
	;; [unrolled: 20-line block ×7, first 2 shown]
	s_barrier_signal -1
	s_barrier_wait -1
	s_barrier_signal -1
	s_barrier_wait -1
	s_and_saveexec_b32 s1, s4
; %bb.157:                              ;   in Loop: Header=BB109_3 Depth=1
	ds_store_b32 v43, v28 offset:16320
; %bb.158:                              ;   in Loop: Header=BB109_3 Depth=1
	s_or_b32 exec_lo, exec_lo, s1
	s_wait_dscnt 0x0
	s_barrier_signal -1
	s_barrier_wait -1
	s_barrier_signal -1
	s_barrier_wait -1
	s_and_saveexec_b32 s1, s11
; %bb.159:                              ;   in Loop: Header=BB109_3 Depth=1
	v_add_nc_u32_e64 v28, 0x3400, 0
	ds_store_2addr_b32 v28, v62, v62 offset0:182 offset1:247
; %bb.160:                              ;   in Loop: Header=BB109_3 Depth=1
	s_or_b32 exec_lo, exec_lo, s1
	v_mov_b32_e32 v28, 0
	s_wait_dscnt 0x0
	s_barrier_signal -1
	s_barrier_wait -1
	global_wb scope:SCOPE_DEV
	s_wait_storecnt 0x0
	global_inv scope:SCOPE_DEV
	s_and_saveexec_b32 s1, s2
	s_cbranch_execz .LBB109_164
; %bb.161:                              ;   in Loop: Header=BB109_3 Depth=1
	ds_load_b32 v28, v33 offset:14032
	ds_load_b32 v29, v32 offset:14296
	s_wait_dscnt 0x0
	v_fma_f32 v28, v28, v29, 0
	s_and_saveexec_b32 s50, s12
	s_cbranch_execz .LBB109_163
; %bb.162:                              ;   in Loop: Header=BB109_3 Depth=1
	ds_load_b32 v29, v34 offset:14288
	ds_load_b32 v30, v7 offset:14300
	s_wait_dscnt 0x0
	v_fmac_f32_e32 v28, v29, v30
.LBB109_163:                            ;   in Loop: Header=BB109_3 Depth=1
	s_or_b32 exec_lo, exec_lo, s50
.LBB109_164:                            ;   in Loop: Header=BB109_3 Depth=1
	s_delay_alu instid0(SALU_CYCLE_1)
	s_or_b32 exec_lo, exec_lo, s1
	s_and_saveexec_b32 s1, s100
; %bb.165:                              ;   in Loop: Header=BB109_3 Depth=1
	s_delay_alu instid0(VALU_DEP_1)
	v_xor_b32_e32 v29, 0x80000000, v28
	ds_store_b32 v5, v29
; %bb.166:                              ;   in Loop: Header=BB109_3 Depth=1
	s_or_b32 exec_lo, exec_lo, s1
	s_wait_loadcnt_dscnt 0x0
	s_barrier_signal -1
	s_barrier_wait -1
	s_and_saveexec_b32 s1, s101
	s_cbranch_execz .LBB109_168
; %bb.167:                              ;   in Loop: Header=BB109_3 Depth=1
	ds_load_b32 v29, v7 offset:13776
	ds_load_b32 v30, v5
	s_wait_dscnt 0x0
	v_fma_f32 v28, -v29, v30, v28
.LBB109_168:                            ;   in Loop: Header=BB109_3 Depth=1
	s_or_b32 exec_lo, exec_lo, s1
	s_barrier_signal -1
	s_barrier_wait -1
	s_and_saveexec_b32 s1, s101
; %bb.169:                              ;   in Loop: Header=BB109_3 Depth=1
	v_xor_b32_e32 v29, 0x80000000, v28
	ds_store_b32 v5, v29
; %bb.170:                              ;   in Loop: Header=BB109_3 Depth=1
	s_or_b32 exec_lo, exec_lo, s1
	s_wait_dscnt 0x0
	s_barrier_signal -1
	s_barrier_wait -1
	s_barrier_signal -1
	s_barrier_wait -1
	s_and_saveexec_b32 s1, s2
; %bb.171:                              ;   in Loop: Header=BB109_3 Depth=1
	ds_store_b32 v36, v28 offset:14288
; %bb.172:                              ;   in Loop: Header=BB109_3 Depth=1
	s_or_b32 exec_lo, exec_lo, s1
	s_wait_dscnt 0x0
	s_barrier_signal -1
	s_barrier_wait -1
	s_barrier_signal -1
	s_barrier_wait -1
	s_and_saveexec_b32 s1, s11
; %bb.173:                              ;   in Loop: Header=BB109_3 Depth=1
	v_add_nc_u32_e64 v28, 0x3400, 0
	ds_store_2addr_b32 v28, v62, v62 offset0:52 offset1:117
; %bb.174:                              ;   in Loop: Header=BB109_3 Depth=1
	s_or_b32 exec_lo, exec_lo, s1
	v_mov_b32_e32 v28, 0
	s_wait_dscnt 0x0
	s_barrier_signal -1
	s_barrier_wait -1
	global_wb scope:SCOPE_DEV
	s_wait_storecnt 0x0
	global_inv scope:SCOPE_DEV
	s_and_saveexec_b32 s1, s3
	s_cbranch_execz .LBB109_180
; %bb.175:                              ;   in Loop: Header=BB109_3 Depth=1
	ds_load_b32 v28, v35 offset:13504
	ds_load_b32 v29, v38 offset:14288
	s_wait_dscnt 0x0
	v_fma_f32 v28, v28, v29, 0
	s_and_saveexec_b32 s50, s13
	s_cbranch_execnz .LBB109_1121
; %bb.176:                              ;   in Loop: Header=BB109_3 Depth=1
	s_or_b32 exec_lo, exec_lo, s50
	s_and_saveexec_b32 s50, s14
	s_cbranch_execnz .LBB109_1122
.LBB109_177:                            ;   in Loop: Header=BB109_3 Depth=1
	s_or_b32 exec_lo, exec_lo, s50
	s_and_saveexec_b32 s50, s2
	s_cbranch_execz .LBB109_179
.LBB109_178:                            ;   in Loop: Header=BB109_3 Depth=1
	ds_load_b32 v29, v34 offset:14272
	ds_load_b32 v30, v7 offset:14300
	s_wait_dscnt 0x0
	v_fmac_f32_e32 v28, v29, v30
.LBB109_179:                            ;   in Loop: Header=BB109_3 Depth=1
	s_or_b32 exec_lo, exec_lo, s50
.LBB109_180:                            ;   in Loop: Header=BB109_3 Depth=1
	s_delay_alu instid0(SALU_CYCLE_1)
	s_or_b32 exec_lo, exec_lo, s1
	s_and_saveexec_b32 s1, s102
; %bb.181:                              ;   in Loop: Header=BB109_3 Depth=1
	s_delay_alu instid0(VALU_DEP_1)
	v_xor_b32_e32 v29, 0x80000000, v28
	ds_store_b32 v37, v29
; %bb.182:                              ;   in Loop: Header=BB109_3 Depth=1
	s_or_b32 exec_lo, exec_lo, s1
	s_wait_loadcnt_dscnt 0x0
	s_barrier_signal -1
	s_barrier_wait -1
	s_and_saveexec_b32 s1, s103
	s_cbranch_execz .LBB109_184
; %bb.183:                              ;   in Loop: Header=BB109_3 Depth=1
	ds_load_b32 v29, v35 offset:13248
	ds_load_b32 v30, v37
	s_wait_dscnt 0x0
	v_fma_f32 v28, -v29, v30, v28
.LBB109_184:                            ;   in Loop: Header=BB109_3 Depth=1
	s_or_b32 exec_lo, exec_lo, s1
	s_barrier_signal -1
	s_barrier_wait -1
	s_and_saveexec_b32 s1, s104
; %bb.185:                              ;   in Loop: Header=BB109_3 Depth=1
	v_xor_b32_e32 v29, 0x80000000, v28
	ds_store_b32 v37, v29
; %bb.186:                              ;   in Loop: Header=BB109_3 Depth=1
	s_or_b32 exec_lo, exec_lo, s1
	s_wait_dscnt 0x0
	s_barrier_signal -1
	s_barrier_wait -1
	s_and_saveexec_b32 s1, vcc_hi
	s_cbranch_execz .LBB109_188
; %bb.187:                              ;   in Loop: Header=BB109_3 Depth=1
	ds_load_b32 v29, v35 offset:12992
	ds_load_b32 v30, v37
	s_wait_dscnt 0x0
	v_fma_f32 v28, -v29, v30, v28
.LBB109_188:                            ;   in Loop: Header=BB109_3 Depth=1
	s_or_b32 exec_lo, exec_lo, s1
	s_barrier_signal -1
	s_barrier_wait -1
	s_and_saveexec_b32 s1, s31
; %bb.189:                              ;   in Loop: Header=BB109_3 Depth=1
	v_xor_b32_e32 v29, 0x80000000, v28
	ds_store_b32 v37, v29
; %bb.190:                              ;   in Loop: Header=BB109_3 Depth=1
	s_or_b32 exec_lo, exec_lo, s1
	s_wait_dscnt 0x0
	s_barrier_signal -1
	s_barrier_wait -1
	s_and_saveexec_b32 s1, s33
	s_cbranch_execz .LBB109_192
; %bb.191:                              ;   in Loop: Header=BB109_3 Depth=1
	ds_load_b32 v29, v7 offset:12736
	ds_load_b32 v30, v37
	s_wait_dscnt 0x0
	v_fma_f32 v28, -v29, v30, v28
.LBB109_192:                            ;   in Loop: Header=BB109_3 Depth=1
	s_or_b32 exec_lo, exec_lo, s1
	s_barrier_signal -1
	s_barrier_wait -1
	s_and_saveexec_b32 s1, s33
; %bb.193:                              ;   in Loop: Header=BB109_3 Depth=1
	v_xor_b32_e32 v29, 0x80000000, v28
	ds_store_b32 v37, v29
; %bb.194:                              ;   in Loop: Header=BB109_3 Depth=1
	s_or_b32 exec_lo, exec_lo, s1
	s_wait_dscnt 0x0
	s_barrier_signal -1
	s_barrier_wait -1
	s_barrier_signal -1
	s_barrier_wait -1
	s_and_saveexec_b32 s1, s3
; %bb.195:                              ;   in Loop: Header=BB109_3 Depth=1
	ds_store_b32 v39, v28 offset:14272
; %bb.196:                              ;   in Loop: Header=BB109_3 Depth=1
	s_or_b32 exec_lo, exec_lo, s1
	s_wait_dscnt 0x0
	s_barrier_signal -1
	s_barrier_wait -1
	s_barrier_signal -1
	s_barrier_wait -1
	s_and_saveexec_b32 s1, s11
; %bb.197:                              ;   in Loop: Header=BB109_3 Depth=1
	v_add_nc_u32_e64 v28, 0x3000, 0
	ds_store_2addr_b32 v28, v62, v62 offset0:178 offset1:243
; %bb.198:                              ;   in Loop: Header=BB109_3 Depth=1
	s_or_b32 exec_lo, exec_lo, s1
	v_mov_b32_e32 v28, 0
	s_wait_dscnt 0x0
	s_barrier_signal -1
	s_barrier_wait -1
	global_wb scope:SCOPE_DEV
	s_wait_storecnt 0x0
	global_inv scope:SCOPE_DEV
	s_and_saveexec_b32 s1, s2
	s_cbranch_execz .LBB109_202
; %bb.199:                              ;   in Loop: Header=BB109_3 Depth=1
	ds_load_b32 v28, v33 offset:12992
	ds_load_b32 v29, v32 offset:13256
	s_wait_dscnt 0x0
	v_fma_f32 v28, v28, v29, 0
	s_and_saveexec_b32 s50, s12
	s_cbranch_execz .LBB109_201
; %bb.200:                              ;   in Loop: Header=BB109_3 Depth=1
	ds_load_b32 v29, v34 offset:13248
	ds_load_b32 v30, v7 offset:13260
	s_wait_dscnt 0x0
	v_fmac_f32_e32 v28, v29, v30
.LBB109_201:                            ;   in Loop: Header=BB109_3 Depth=1
	s_or_b32 exec_lo, exec_lo, s50
.LBB109_202:                            ;   in Loop: Header=BB109_3 Depth=1
	s_delay_alu instid0(SALU_CYCLE_1)
	s_or_b32 exec_lo, exec_lo, s1
	s_and_saveexec_b32 s1, s100
; %bb.203:                              ;   in Loop: Header=BB109_3 Depth=1
	s_delay_alu instid0(VALU_DEP_1)
	v_xor_b32_e32 v29, 0x80000000, v28
	ds_store_b32 v5, v29
; %bb.204:                              ;   in Loop: Header=BB109_3 Depth=1
	s_or_b32 exec_lo, exec_lo, s1
	s_wait_loadcnt_dscnt 0x0
	s_barrier_signal -1
	s_barrier_wait -1
	s_and_saveexec_b32 s1, s101
	s_cbranch_execz .LBB109_206
; %bb.205:                              ;   in Loop: Header=BB109_3 Depth=1
	ds_load_b32 v29, v7 offset:12736
	ds_load_b32 v30, v5
	s_wait_dscnt 0x0
	v_fma_f32 v28, -v29, v30, v28
.LBB109_206:                            ;   in Loop: Header=BB109_3 Depth=1
	s_or_b32 exec_lo, exec_lo, s1
	s_barrier_signal -1
	s_barrier_wait -1
	s_and_saveexec_b32 s1, s101
; %bb.207:                              ;   in Loop: Header=BB109_3 Depth=1
	v_xor_b32_e32 v29, 0x80000000, v28
	ds_store_b32 v5, v29
; %bb.208:                              ;   in Loop: Header=BB109_3 Depth=1
	s_or_b32 exec_lo, exec_lo, s1
	s_wait_dscnt 0x0
	s_barrier_signal -1
	s_barrier_wait -1
	s_barrier_signal -1
	s_barrier_wait -1
	s_and_saveexec_b32 s1, s2
; %bb.209:                              ;   in Loop: Header=BB109_3 Depth=1
	ds_store_b32 v36, v28 offset:13248
; %bb.210:                              ;   in Loop: Header=BB109_3 Depth=1
	s_or_b32 exec_lo, exec_lo, s1
	s_wait_dscnt 0x0
	s_barrier_signal -1
	s_barrier_wait -1
	s_barrier_signal -1
	s_barrier_wait -1
	s_and_saveexec_b32 s1, s11
; %bb.211:                              ;   in Loop: Header=BB109_3 Depth=1
	v_add_nc_u32_e64 v28, 0x3000, 0
	ds_store_2addr_b32 v28, v62, v62 offset0:48 offset1:113
; %bb.212:                              ;   in Loop: Header=BB109_3 Depth=1
	s_or_b32 exec_lo, exec_lo, s1
	v_mov_b32_e32 v28, 0
	s_wait_dscnt 0x0
	s_barrier_signal -1
	s_barrier_wait -1
	global_wb scope:SCOPE_DEV
	s_wait_storecnt 0x0
	global_inv scope:SCOPE_DEV
	s_and_saveexec_b32 s1, s5
	s_cbranch_execz .LBB109_240
; %bb.213:                              ;   in Loop: Header=BB109_3 Depth=1
	ds_load_b32 v28, v44 offset:12416
	ds_load_b32 v29, v47 offset:16320
	s_wait_dscnt 0x0
	v_fma_f32 v28, v28, v29, 0
	s_mov_b32 s50, exec_lo
	v_readlane_b32 s51, v75, 20
	s_and_b32 s51, s50, s51
	s_delay_alu instid0(SALU_CYCLE_1)
	s_mov_b32 exec_lo, s51
	s_cbranch_execz .LBB109_215
; %bb.214:                              ;   in Loop: Header=BB109_3 Depth=1
	ds_load_b32 v29, v44 offset:12672
	ds_load_b32 v30, v47 offset:16324
	s_wait_dscnt 0x0
	v_fmac_f32_e32 v28, v29, v30
.LBB109_215:                            ;   in Loop: Header=BB109_3 Depth=1
	s_or_b32 exec_lo, exec_lo, s50
	s_delay_alu instid0(SALU_CYCLE_1) | instskip(SKIP_2) | instid1(SALU_CYCLE_1)
	s_mov_b32 s50, exec_lo
	v_readlane_b32 s51, v75, 21
	s_and_b32 s51, s50, s51
	s_mov_b32 exec_lo, s51
	s_cbranch_execz .LBB109_217
; %bb.216:                              ;   in Loop: Header=BB109_3 Depth=1
	ds_load_b32 v29, v44 offset:12928
	ds_load_b32 v30, v47 offset:16328
	s_wait_dscnt 0x0
	v_fmac_f32_e32 v28, v29, v30
.LBB109_217:                            ;   in Loop: Header=BB109_3 Depth=1
	s_or_b32 exec_lo, exec_lo, s50
	s_delay_alu instid0(SALU_CYCLE_1) | instskip(SKIP_2) | instid1(SALU_CYCLE_1)
	s_mov_b32 s50, exec_lo
	v_readlane_b32 s51, v75, 22
	s_and_b32 s51, s50, s51
	;; [unrolled: 13-line block ×10, first 2 shown]
	s_mov_b32 exec_lo, s51
	s_cbranch_execnz .LBB109_1123
; %bb.234:                              ;   in Loop: Header=BB109_3 Depth=1
	s_or_b32 exec_lo, exec_lo, s50
	s_and_saveexec_b32 s50, s4
	s_cbranch_execnz .LBB109_1124
.LBB109_235:                            ;   in Loop: Header=BB109_3 Depth=1
	s_or_b32 exec_lo, exec_lo, s50
	s_and_saveexec_b32 s50, s16
	s_cbranch_execnz .LBB109_1125
.LBB109_236:                            ;   in Loop: Header=BB109_3 Depth=1
	s_or_b32 exec_lo, exec_lo, s50
	s_and_saveexec_b32 s50, s18
	s_cbranch_execnz .LBB109_1126
.LBB109_237:                            ;   in Loop: Header=BB109_3 Depth=1
	s_or_b32 exec_lo, exec_lo, s50
	s_and_saveexec_b32 s50, s3
	s_cbranch_execz .LBB109_239
.LBB109_238:                            ;   in Loop: Header=BB109_3 Depth=1
	ds_load_b32 v29, v34 offset:16256
	ds_load_b32 v30, v7 offset:16380
	s_wait_dscnt 0x0
	v_fmac_f32_e32 v28, v29, v30
.LBB109_239:                            ;   in Loop: Header=BB109_3 Depth=1
	s_or_b32 exec_lo, exec_lo, s50
.LBB109_240:                            ;   in Loop: Header=BB109_3 Depth=1
	s_delay_alu instid0(SALU_CYCLE_1) | instskip(NEXT) | instid1(SALU_CYCLE_1)
	s_or_b32 exec_lo, exec_lo, s1
	s_mov_b32 s1, exec_lo
	v_readlane_b32 s50, v77, 3
	s_and_b32 s50, s1, s50
	s_delay_alu instid0(SALU_CYCLE_1)
	s_mov_b32 exec_lo, s50
; %bb.241:                              ;   in Loop: Header=BB109_3 Depth=1
	v_xor_b32_e32 v29, 0x80000000, v28
	ds_store_b32 v45, v29
; %bb.242:                              ;   in Loop: Header=BB109_3 Depth=1
	s_or_b32 exec_lo, exec_lo, s1
	s_wait_loadcnt_dscnt 0x0
	s_barrier_signal -1
	s_barrier_wait -1
	s_mov_b32 s1, exec_lo
	v_readlane_b32 s50, v77, 4
	s_and_b32 s50, s1, s50
	s_delay_alu instid0(SALU_CYCLE_1)
	s_mov_b32 exec_lo, s50
	s_cbranch_execz .LBB109_244
; %bb.243:                              ;   in Loop: Header=BB109_3 Depth=1
	ds_load_b32 v29, v44 offset:12160
	ds_load_b32 v30, v45
	s_wait_dscnt 0x0
	v_fma_f32 v28, -v29, v30, v28
.LBB109_244:                            ;   in Loop: Header=BB109_3 Depth=1
	s_or_b32 exec_lo, exec_lo, s1
	s_barrier_signal -1
	s_barrier_wait -1
	s_mov_b32 s1, exec_lo
	v_readlane_b32 s50, v77, 5
	s_and_b32 s50, s1, s50
	s_delay_alu instid0(SALU_CYCLE_1)
	s_mov_b32 exec_lo, s50
; %bb.245:                              ;   in Loop: Header=BB109_3 Depth=1
	v_xor_b32_e32 v29, 0x80000000, v28
	ds_store_b32 v45, v29
; %bb.246:                              ;   in Loop: Header=BB109_3 Depth=1
	s_or_b32 exec_lo, exec_lo, s1
	s_wait_dscnt 0x0
	s_barrier_signal -1
	s_barrier_wait -1
	s_mov_b32 s1, exec_lo
	v_readlane_b32 s50, v77, 6
	s_and_b32 s50, s1, s50
	s_delay_alu instid0(SALU_CYCLE_1)
	s_mov_b32 exec_lo, s50
	s_cbranch_execz .LBB109_248
; %bb.247:                              ;   in Loop: Header=BB109_3 Depth=1
	ds_load_b32 v29, v44 offset:11904
	ds_load_b32 v30, v45
	s_wait_dscnt 0x0
	v_fma_f32 v28, -v29, v30, v28
.LBB109_248:                            ;   in Loop: Header=BB109_3 Depth=1
	s_or_b32 exec_lo, exec_lo, s1
	s_barrier_signal -1
	s_barrier_wait -1
	s_mov_b32 s1, exec_lo
	v_readlane_b32 s50, v77, 7
	s_and_b32 s50, s1, s50
	s_delay_alu instid0(SALU_CYCLE_1)
	s_mov_b32 exec_lo, s50
; %bb.249:                              ;   in Loop: Header=BB109_3 Depth=1
	v_xor_b32_e32 v29, 0x80000000, v28
	ds_store_b32 v45, v29
; %bb.250:                              ;   in Loop: Header=BB109_3 Depth=1
	s_or_b32 exec_lo, exec_lo, s1
	s_wait_dscnt 0x0
	s_barrier_signal -1
	s_barrier_wait -1
	s_mov_b32 s1, exec_lo
	v_readlane_b32 s50, v77, 8
	s_and_b32 s50, s1, s50
	s_delay_alu instid0(SALU_CYCLE_1)
	s_mov_b32 exec_lo, s50
	s_cbranch_execz .LBB109_252
; %bb.251:                              ;   in Loop: Header=BB109_3 Depth=1
	ds_load_b32 v29, v44 offset:11648
	ds_load_b32 v30, v45
	s_wait_dscnt 0x0
	v_fma_f32 v28, -v29, v30, v28
.LBB109_252:                            ;   in Loop: Header=BB109_3 Depth=1
	s_or_b32 exec_lo, exec_lo, s1
	s_barrier_signal -1
	s_barrier_wait -1
	s_and_saveexec_b32 s1, s54
; %bb.253:                              ;   in Loop: Header=BB109_3 Depth=1
	v_xor_b32_e32 v29, 0x80000000, v28
	ds_store_b32 v45, v29
; %bb.254:                              ;   in Loop: Header=BB109_3 Depth=1
	s_or_b32 exec_lo, exec_lo, s1
	s_wait_dscnt 0x0
	s_barrier_signal -1
	s_barrier_wait -1
	s_and_saveexec_b32 s1, s97
	s_cbranch_execz .LBB109_256
; %bb.255:                              ;   in Loop: Header=BB109_3 Depth=1
	ds_load_b32 v29, v44 offset:11392
	ds_load_b32 v30, v45
	s_wait_dscnt 0x0
	v_fma_f32 v28, -v29, v30, v28
.LBB109_256:                            ;   in Loop: Header=BB109_3 Depth=1
	s_or_b32 exec_lo, exec_lo, s1
	s_barrier_signal -1
	s_barrier_wait -1
	s_and_saveexec_b32 s1, s20
; %bb.257:                              ;   in Loop: Header=BB109_3 Depth=1
	v_xor_b32_e32 v29, 0x80000000, v28
	ds_store_b32 v45, v29
; %bb.258:                              ;   in Loop: Header=BB109_3 Depth=1
	s_or_b32 exec_lo, exec_lo, s1
	s_wait_dscnt 0x0
	s_barrier_signal -1
	s_barrier_wait -1
	s_and_saveexec_b32 s1, s22
	;; [unrolled: 20-line block ×12, first 2 shown]
	s_cbranch_execz .LBB109_300
; %bb.299:                              ;   in Loop: Header=BB109_3 Depth=1
	ds_load_b32 v29, v7 offset:8576
	ds_load_b32 v30, v45
	s_wait_dscnt 0x0
	v_fma_f32 v28, -v29, v30, v28
.LBB109_300:                            ;   in Loop: Header=BB109_3 Depth=1
	s_or_b32 exec_lo, exec_lo, s1
	s_barrier_signal -1
	s_barrier_wait -1
	s_and_saveexec_b32 s1, s48
; %bb.301:                              ;   in Loop: Header=BB109_3 Depth=1
	v_xor_b32_e32 v29, 0x80000000, v28
	ds_store_b32 v45, v29
; %bb.302:                              ;   in Loop: Header=BB109_3 Depth=1
	s_or_b32 exec_lo, exec_lo, s1
	s_wait_dscnt 0x0
	s_barrier_signal -1
	s_barrier_wait -1
	s_barrier_signal -1
	s_barrier_wait -1
	s_and_saveexec_b32 s1, s5
; %bb.303:                              ;   in Loop: Header=BB109_3 Depth=1
	ds_store_b32 v48, v28 offset:16256
; %bb.304:                              ;   in Loop: Header=BB109_3 Depth=1
	s_or_b32 exec_lo, exec_lo, s1
	s_wait_dscnt 0x0
	s_barrier_signal -1
	s_barrier_wait -1
	s_barrier_signal -1
	s_barrier_wait -1
	s_and_saveexec_b32 s1, s11
; %bb.305:                              ;   in Loop: Header=BB109_3 Depth=1
	v_add_nc_u32_e64 v28, 0x2c00, 0
	ds_store_2addr_b32 v28, v62, v62 offset0:174 offset1:239
; %bb.306:                              ;   in Loop: Header=BB109_3 Depth=1
	s_or_b32 exec_lo, exec_lo, s1
	v_mov_b32_e32 v28, 0
	s_wait_dscnt 0x0
	s_barrier_signal -1
	s_barrier_wait -1
	global_wb scope:SCOPE_DEV
	s_wait_storecnt 0x0
	global_inv scope:SCOPE_DEV
	s_and_saveexec_b32 s1, s2
	s_cbranch_execz .LBB109_310
; %bb.307:                              ;   in Loop: Header=BB109_3 Depth=1
	ds_load_b32 v28, v33 offset:11952
	ds_load_b32 v29, v32 offset:12216
	s_wait_dscnt 0x0
	v_fma_f32 v28, v28, v29, 0
	s_and_saveexec_b32 s50, s12
	s_cbranch_execz .LBB109_309
; %bb.308:                              ;   in Loop: Header=BB109_3 Depth=1
	ds_load_b32 v29, v34 offset:12208
	ds_load_b32 v30, v7 offset:12220
	s_wait_dscnt 0x0
	v_fmac_f32_e32 v28, v29, v30
.LBB109_309:                            ;   in Loop: Header=BB109_3 Depth=1
	s_or_b32 exec_lo, exec_lo, s50
.LBB109_310:                            ;   in Loop: Header=BB109_3 Depth=1
	s_delay_alu instid0(SALU_CYCLE_1)
	s_or_b32 exec_lo, exec_lo, s1
	s_and_saveexec_b32 s1, s100
; %bb.311:                              ;   in Loop: Header=BB109_3 Depth=1
	s_delay_alu instid0(VALU_DEP_1)
	v_xor_b32_e32 v29, 0x80000000, v28
	ds_store_b32 v5, v29
; %bb.312:                              ;   in Loop: Header=BB109_3 Depth=1
	s_or_b32 exec_lo, exec_lo, s1
	s_wait_loadcnt_dscnt 0x0
	s_barrier_signal -1
	s_barrier_wait -1
	s_and_saveexec_b32 s1, s101
	s_cbranch_execz .LBB109_314
; %bb.313:                              ;   in Loop: Header=BB109_3 Depth=1
	ds_load_b32 v29, v7 offset:11696
	ds_load_b32 v30, v5
	s_wait_dscnt 0x0
	v_fma_f32 v28, -v29, v30, v28
.LBB109_314:                            ;   in Loop: Header=BB109_3 Depth=1
	s_or_b32 exec_lo, exec_lo, s1
	s_barrier_signal -1
	s_barrier_wait -1
	s_and_saveexec_b32 s1, s101
; %bb.315:                              ;   in Loop: Header=BB109_3 Depth=1
	v_xor_b32_e32 v29, 0x80000000, v28
	ds_store_b32 v5, v29
; %bb.316:                              ;   in Loop: Header=BB109_3 Depth=1
	s_or_b32 exec_lo, exec_lo, s1
	s_wait_dscnt 0x0
	s_barrier_signal -1
	s_barrier_wait -1
	s_barrier_signal -1
	s_barrier_wait -1
	s_and_saveexec_b32 s1, s2
; %bb.317:                              ;   in Loop: Header=BB109_3 Depth=1
	ds_store_b32 v36, v28 offset:12208
; %bb.318:                              ;   in Loop: Header=BB109_3 Depth=1
	s_or_b32 exec_lo, exec_lo, s1
	s_wait_dscnt 0x0
	s_barrier_signal -1
	s_barrier_wait -1
	s_barrier_signal -1
	s_barrier_wait -1
	s_and_saveexec_b32 s1, s11
; %bb.319:                              ;   in Loop: Header=BB109_3 Depth=1
	v_add_nc_u32_e64 v28, 0x2c00, 0
	ds_store_2addr_b32 v28, v62, v62 offset0:44 offset1:109
; %bb.320:                              ;   in Loop: Header=BB109_3 Depth=1
	s_or_b32 exec_lo, exec_lo, s1
	v_mov_b32_e32 v28, 0
	s_wait_dscnt 0x0
	s_barrier_signal -1
	s_barrier_wait -1
	global_wb scope:SCOPE_DEV
	s_wait_storecnt 0x0
	global_inv scope:SCOPE_DEV
	s_and_saveexec_b32 s1, s3
	s_cbranch_execz .LBB109_326
; %bb.321:                              ;   in Loop: Header=BB109_3 Depth=1
	ds_load_b32 v28, v35 offset:11424
	ds_load_b32 v29, v38 offset:12208
	s_wait_dscnt 0x0
	v_fma_f32 v28, v28, v29, 0
	s_and_saveexec_b32 s50, s13
	s_cbranch_execnz .LBB109_1127
; %bb.322:                              ;   in Loop: Header=BB109_3 Depth=1
	s_or_b32 exec_lo, exec_lo, s50
	s_and_saveexec_b32 s50, s14
	s_cbranch_execnz .LBB109_1128
.LBB109_323:                            ;   in Loop: Header=BB109_3 Depth=1
	s_or_b32 exec_lo, exec_lo, s50
	s_and_saveexec_b32 s50, s2
	s_cbranch_execz .LBB109_325
.LBB109_324:                            ;   in Loop: Header=BB109_3 Depth=1
	ds_load_b32 v29, v34 offset:12192
	ds_load_b32 v30, v7 offset:12220
	s_wait_dscnt 0x0
	v_fmac_f32_e32 v28, v29, v30
.LBB109_325:                            ;   in Loop: Header=BB109_3 Depth=1
	s_or_b32 exec_lo, exec_lo, s50
.LBB109_326:                            ;   in Loop: Header=BB109_3 Depth=1
	s_delay_alu instid0(SALU_CYCLE_1)
	s_or_b32 exec_lo, exec_lo, s1
	s_and_saveexec_b32 s1, s102
; %bb.327:                              ;   in Loop: Header=BB109_3 Depth=1
	s_delay_alu instid0(VALU_DEP_1)
	v_xor_b32_e32 v29, 0x80000000, v28
	ds_store_b32 v37, v29
; %bb.328:                              ;   in Loop: Header=BB109_3 Depth=1
	s_or_b32 exec_lo, exec_lo, s1
	s_wait_loadcnt_dscnt 0x0
	s_barrier_signal -1
	s_barrier_wait -1
	s_and_saveexec_b32 s1, s103
	s_cbranch_execz .LBB109_330
; %bb.329:                              ;   in Loop: Header=BB109_3 Depth=1
	ds_load_b32 v29, v35 offset:11168
	ds_load_b32 v30, v37
	s_wait_dscnt 0x0
	v_fma_f32 v28, -v29, v30, v28
.LBB109_330:                            ;   in Loop: Header=BB109_3 Depth=1
	s_or_b32 exec_lo, exec_lo, s1
	s_barrier_signal -1
	s_barrier_wait -1
	s_and_saveexec_b32 s1, s104
; %bb.331:                              ;   in Loop: Header=BB109_3 Depth=1
	v_xor_b32_e32 v29, 0x80000000, v28
	ds_store_b32 v37, v29
; %bb.332:                              ;   in Loop: Header=BB109_3 Depth=1
	s_or_b32 exec_lo, exec_lo, s1
	s_wait_dscnt 0x0
	s_barrier_signal -1
	s_barrier_wait -1
	s_and_saveexec_b32 s1, vcc_hi
	s_cbranch_execz .LBB109_334
; %bb.333:                              ;   in Loop: Header=BB109_3 Depth=1
	ds_load_b32 v29, v35 offset:10912
	ds_load_b32 v30, v37
	s_wait_dscnt 0x0
	v_fma_f32 v28, -v29, v30, v28
.LBB109_334:                            ;   in Loop: Header=BB109_3 Depth=1
	s_or_b32 exec_lo, exec_lo, s1
	s_barrier_signal -1
	s_barrier_wait -1
	s_and_saveexec_b32 s1, s31
; %bb.335:                              ;   in Loop: Header=BB109_3 Depth=1
	v_xor_b32_e32 v29, 0x80000000, v28
	ds_store_b32 v37, v29
; %bb.336:                              ;   in Loop: Header=BB109_3 Depth=1
	s_or_b32 exec_lo, exec_lo, s1
	s_wait_dscnt 0x0
	s_barrier_signal -1
	s_barrier_wait -1
	s_and_saveexec_b32 s1, s33
	s_cbranch_execz .LBB109_338
; %bb.337:                              ;   in Loop: Header=BB109_3 Depth=1
	ds_load_b32 v29, v7 offset:10656
	ds_load_b32 v30, v37
	s_wait_dscnt 0x0
	v_fma_f32 v28, -v29, v30, v28
.LBB109_338:                            ;   in Loop: Header=BB109_3 Depth=1
	s_or_b32 exec_lo, exec_lo, s1
	s_barrier_signal -1
	s_barrier_wait -1
	s_and_saveexec_b32 s1, s33
; %bb.339:                              ;   in Loop: Header=BB109_3 Depth=1
	v_xor_b32_e32 v29, 0x80000000, v28
	ds_store_b32 v37, v29
; %bb.340:                              ;   in Loop: Header=BB109_3 Depth=1
	s_or_b32 exec_lo, exec_lo, s1
	s_wait_dscnt 0x0
	s_barrier_signal -1
	s_barrier_wait -1
	s_barrier_signal -1
	s_barrier_wait -1
	s_and_saveexec_b32 s1, s3
; %bb.341:                              ;   in Loop: Header=BB109_3 Depth=1
	ds_store_b32 v39, v28 offset:12192
; %bb.342:                              ;   in Loop: Header=BB109_3 Depth=1
	s_or_b32 exec_lo, exec_lo, s1
	s_wait_dscnt 0x0
	s_barrier_signal -1
	s_barrier_wait -1
	s_barrier_signal -1
	s_barrier_wait -1
	s_and_saveexec_b32 s1, s11
; %bb.343:                              ;   in Loop: Header=BB109_3 Depth=1
	v_add_nc_u32_e64 v28, 0x2800, 0
	ds_store_2addr_b32 v28, v62, v62 offset0:170 offset1:235
; %bb.344:                              ;   in Loop: Header=BB109_3 Depth=1
	s_or_b32 exec_lo, exec_lo, s1
	v_mov_b32_e32 v28, 0
	s_wait_dscnt 0x0
	s_barrier_signal -1
	s_barrier_wait -1
	global_wb scope:SCOPE_DEV
	s_wait_storecnt 0x0
	global_inv scope:SCOPE_DEV
	s_and_saveexec_b32 s1, s2
	s_cbranch_execz .LBB109_348
; %bb.345:                              ;   in Loop: Header=BB109_3 Depth=1
	ds_load_b32 v28, v33 offset:10912
	ds_load_b32 v29, v32 offset:11176
	s_wait_dscnt 0x0
	v_fma_f32 v28, v28, v29, 0
	s_and_saveexec_b32 s50, s12
	s_cbranch_execz .LBB109_347
; %bb.346:                              ;   in Loop: Header=BB109_3 Depth=1
	ds_load_b32 v29, v34 offset:11168
	ds_load_b32 v30, v7 offset:11180
	s_wait_dscnt 0x0
	v_fmac_f32_e32 v28, v29, v30
.LBB109_347:                            ;   in Loop: Header=BB109_3 Depth=1
	s_or_b32 exec_lo, exec_lo, s50
.LBB109_348:                            ;   in Loop: Header=BB109_3 Depth=1
	s_delay_alu instid0(SALU_CYCLE_1)
	s_or_b32 exec_lo, exec_lo, s1
	s_and_saveexec_b32 s1, s100
; %bb.349:                              ;   in Loop: Header=BB109_3 Depth=1
	s_delay_alu instid0(VALU_DEP_1)
	v_xor_b32_e32 v29, 0x80000000, v28
	ds_store_b32 v5, v29
; %bb.350:                              ;   in Loop: Header=BB109_3 Depth=1
	s_or_b32 exec_lo, exec_lo, s1
	s_wait_loadcnt_dscnt 0x0
	s_barrier_signal -1
	s_barrier_wait -1
	s_and_saveexec_b32 s1, s101
	s_cbranch_execz .LBB109_352
; %bb.351:                              ;   in Loop: Header=BB109_3 Depth=1
	ds_load_b32 v29, v7 offset:10656
	ds_load_b32 v30, v5
	s_wait_dscnt 0x0
	v_fma_f32 v28, -v29, v30, v28
.LBB109_352:                            ;   in Loop: Header=BB109_3 Depth=1
	s_or_b32 exec_lo, exec_lo, s1
	s_barrier_signal -1
	s_barrier_wait -1
	s_and_saveexec_b32 s1, s101
; %bb.353:                              ;   in Loop: Header=BB109_3 Depth=1
	v_xor_b32_e32 v29, 0x80000000, v28
	ds_store_b32 v5, v29
; %bb.354:                              ;   in Loop: Header=BB109_3 Depth=1
	s_or_b32 exec_lo, exec_lo, s1
	s_wait_dscnt 0x0
	s_barrier_signal -1
	s_barrier_wait -1
	s_barrier_signal -1
	s_barrier_wait -1
	s_and_saveexec_b32 s1, s2
; %bb.355:                              ;   in Loop: Header=BB109_3 Depth=1
	ds_store_b32 v36, v28 offset:11168
; %bb.356:                              ;   in Loop: Header=BB109_3 Depth=1
	s_or_b32 exec_lo, exec_lo, s1
	s_wait_dscnt 0x0
	s_barrier_signal -1
	s_barrier_wait -1
	s_barrier_signal -1
	s_barrier_wait -1
	s_and_saveexec_b32 s1, s11
; %bb.357:                              ;   in Loop: Header=BB109_3 Depth=1
	v_add_nc_u32_e64 v28, 0x2800, 0
	ds_store_2addr_b32 v28, v62, v62 offset0:40 offset1:105
; %bb.358:                              ;   in Loop: Header=BB109_3 Depth=1
	s_or_b32 exec_lo, exec_lo, s1
	v_mov_b32_e32 v28, 0
	s_wait_dscnt 0x0
	s_barrier_signal -1
	s_barrier_wait -1
	global_wb scope:SCOPE_DEV
	s_wait_storecnt 0x0
	global_inv scope:SCOPE_DEV
	s_and_saveexec_b32 s1, s4
	s_cbranch_execz .LBB109_368
; %bb.359:                              ;   in Loop: Header=BB109_3 Depth=1
	ds_load_b32 v28, v40 offset:10368
	ds_load_b32 v29, v42 offset:12192
	s_wait_dscnt 0x0
	v_fma_f32 v28, v28, v29, 0
	s_and_saveexec_b32 s50, s15
	s_cbranch_execnz .LBB109_1129
; %bb.360:                              ;   in Loop: Header=BB109_3 Depth=1
	s_or_b32 exec_lo, exec_lo, s50
	s_and_saveexec_b32 s50, s16
	s_cbranch_execnz .LBB109_1130
.LBB109_361:                            ;   in Loop: Header=BB109_3 Depth=1
	s_or_b32 exec_lo, exec_lo, s50
	s_and_saveexec_b32 s50, s17
	s_cbranch_execnz .LBB109_1131
.LBB109_362:                            ;   in Loop: Header=BB109_3 Depth=1
	s_or_b32 exec_lo, exec_lo, s50
	s_and_saveexec_b32 s50, s18
	s_cbranch_execnz .LBB109_1132
.LBB109_363:                            ;   in Loop: Header=BB109_3 Depth=1
	s_or_b32 exec_lo, exec_lo, s50
	s_and_saveexec_b32 s50, s19
	s_cbranch_execnz .LBB109_1133
.LBB109_364:                            ;   in Loop: Header=BB109_3 Depth=1
	s_or_b32 exec_lo, exec_lo, s50
	s_and_saveexec_b32 s50, s3
	s_cbranch_execnz .LBB109_1134
.LBB109_365:                            ;   in Loop: Header=BB109_3 Depth=1
	s_or_b32 exec_lo, exec_lo, s50
	s_and_saveexec_b32 s50, s14
	s_cbranch_execz .LBB109_367
.LBB109_366:                            ;   in Loop: Header=BB109_3 Depth=1
	ds_load_b32 v29, v34 offset:12160
	ds_load_b32 v30, v7 offset:12220
	s_wait_dscnt 0x0
	v_fmac_f32_e32 v28, v29, v30
.LBB109_367:                            ;   in Loop: Header=BB109_3 Depth=1
	s_or_b32 exec_lo, exec_lo, s50
.LBB109_368:                            ;   in Loop: Header=BB109_3 Depth=1
	s_delay_alu instid0(SALU_CYCLE_1)
	s_or_b32 exec_lo, exec_lo, s1
	s_and_saveexec_b32 s1, s34
; %bb.369:                              ;   in Loop: Header=BB109_3 Depth=1
	s_delay_alu instid0(VALU_DEP_1)
	v_xor_b32_e32 v29, 0x80000000, v28
	ds_store_b32 v41, v29
; %bb.370:                              ;   in Loop: Header=BB109_3 Depth=1
	s_or_b32 exec_lo, exec_lo, s1
	s_wait_loadcnt_dscnt 0x0
	s_barrier_signal -1
	s_barrier_wait -1
	s_and_saveexec_b32 s1, s35
	s_cbranch_execz .LBB109_372
; %bb.371:                              ;   in Loop: Header=BB109_3 Depth=1
	ds_load_b32 v29, v40 offset:10112
	ds_load_b32 v30, v41
	s_wait_dscnt 0x0
	v_fma_f32 v28, -v29, v30, v28
.LBB109_372:                            ;   in Loop: Header=BB109_3 Depth=1
	s_or_b32 exec_lo, exec_lo, s1
	s_barrier_signal -1
	s_barrier_wait -1
	s_and_saveexec_b32 s1, s36
; %bb.373:                              ;   in Loop: Header=BB109_3 Depth=1
	v_xor_b32_e32 v29, 0x80000000, v28
	ds_store_b32 v41, v29
; %bb.374:                              ;   in Loop: Header=BB109_3 Depth=1
	s_or_b32 exec_lo, exec_lo, s1
	s_wait_dscnt 0x0
	s_barrier_signal -1
	s_barrier_wait -1
	s_and_saveexec_b32 s1, s37
	s_cbranch_execz .LBB109_376
; %bb.375:                              ;   in Loop: Header=BB109_3 Depth=1
	ds_load_b32 v29, v40 offset:9856
	ds_load_b32 v30, v41
	s_wait_dscnt 0x0
	v_fma_f32 v28, -v29, v30, v28
.LBB109_376:                            ;   in Loop: Header=BB109_3 Depth=1
	s_or_b32 exec_lo, exec_lo, s1
	s_barrier_signal -1
	s_barrier_wait -1
	s_and_saveexec_b32 s1, s38
; %bb.377:                              ;   in Loop: Header=BB109_3 Depth=1
	v_xor_b32_e32 v29, 0x80000000, v28
	ds_store_b32 v41, v29
; %bb.378:                              ;   in Loop: Header=BB109_3 Depth=1
	s_or_b32 exec_lo, exec_lo, s1
	s_wait_dscnt 0x0
	;; [unrolled: 20-line block ×7, first 2 shown]
	s_barrier_signal -1
	s_barrier_wait -1
	s_barrier_signal -1
	s_barrier_wait -1
	s_and_saveexec_b32 s1, s4
; %bb.399:                              ;   in Loop: Header=BB109_3 Depth=1
	ds_store_b32 v43, v28 offset:12160
; %bb.400:                              ;   in Loop: Header=BB109_3 Depth=1
	s_or_b32 exec_lo, exec_lo, s1
	s_wait_dscnt 0x0
	s_barrier_signal -1
	s_barrier_wait -1
	s_barrier_signal -1
	s_barrier_wait -1
	s_and_saveexec_b32 s1, s11
; %bb.401:                              ;   in Loop: Header=BB109_3 Depth=1
	v_add_nc_u32_e64 v28, 0x2400, 0
	ds_store_2addr_b32 v28, v62, v62 offset0:166 offset1:231
; %bb.402:                              ;   in Loop: Header=BB109_3 Depth=1
	s_or_b32 exec_lo, exec_lo, s1
	v_mov_b32_e32 v28, 0
	s_wait_dscnt 0x0
	s_barrier_signal -1
	s_barrier_wait -1
	global_wb scope:SCOPE_DEV
	s_wait_storecnt 0x0
	global_inv scope:SCOPE_DEV
	s_and_saveexec_b32 s1, s2
	s_cbranch_execz .LBB109_406
; %bb.403:                              ;   in Loop: Header=BB109_3 Depth=1
	ds_load_b32 v28, v33 offset:9872
	ds_load_b32 v29, v32 offset:10136
	s_wait_dscnt 0x0
	v_fma_f32 v28, v28, v29, 0
	s_and_saveexec_b32 s50, s12
	s_cbranch_execz .LBB109_405
; %bb.404:                              ;   in Loop: Header=BB109_3 Depth=1
	ds_load_b32 v29, v34 offset:10128
	ds_load_b32 v30, v7 offset:10140
	s_wait_dscnt 0x0
	v_fmac_f32_e32 v28, v29, v30
.LBB109_405:                            ;   in Loop: Header=BB109_3 Depth=1
	s_or_b32 exec_lo, exec_lo, s50
.LBB109_406:                            ;   in Loop: Header=BB109_3 Depth=1
	s_delay_alu instid0(SALU_CYCLE_1)
	s_or_b32 exec_lo, exec_lo, s1
	s_and_saveexec_b32 s1, s100
; %bb.407:                              ;   in Loop: Header=BB109_3 Depth=1
	s_delay_alu instid0(VALU_DEP_1)
	v_xor_b32_e32 v29, 0x80000000, v28
	ds_store_b32 v5, v29
; %bb.408:                              ;   in Loop: Header=BB109_3 Depth=1
	s_or_b32 exec_lo, exec_lo, s1
	s_wait_loadcnt_dscnt 0x0
	s_barrier_signal -1
	s_barrier_wait -1
	s_and_saveexec_b32 s1, s101
	s_cbranch_execz .LBB109_410
; %bb.409:                              ;   in Loop: Header=BB109_3 Depth=1
	ds_load_b32 v29, v7 offset:9616
	ds_load_b32 v30, v5
	s_wait_dscnt 0x0
	v_fma_f32 v28, -v29, v30, v28
.LBB109_410:                            ;   in Loop: Header=BB109_3 Depth=1
	s_or_b32 exec_lo, exec_lo, s1
	s_barrier_signal -1
	s_barrier_wait -1
	s_and_saveexec_b32 s1, s101
; %bb.411:                              ;   in Loop: Header=BB109_3 Depth=1
	v_xor_b32_e32 v29, 0x80000000, v28
	ds_store_b32 v5, v29
; %bb.412:                              ;   in Loop: Header=BB109_3 Depth=1
	s_or_b32 exec_lo, exec_lo, s1
	s_wait_dscnt 0x0
	s_barrier_signal -1
	s_barrier_wait -1
	s_barrier_signal -1
	s_barrier_wait -1
	s_and_saveexec_b32 s1, s2
; %bb.413:                              ;   in Loop: Header=BB109_3 Depth=1
	ds_store_b32 v36, v28 offset:10128
; %bb.414:                              ;   in Loop: Header=BB109_3 Depth=1
	s_or_b32 exec_lo, exec_lo, s1
	s_wait_dscnt 0x0
	s_barrier_signal -1
	s_barrier_wait -1
	s_barrier_signal -1
	s_barrier_wait -1
	s_and_saveexec_b32 s1, s11
; %bb.415:                              ;   in Loop: Header=BB109_3 Depth=1
	v_add_nc_u32_e64 v28, 0x2400, 0
	ds_store_2addr_b32 v28, v62, v62 offset0:36 offset1:101
; %bb.416:                              ;   in Loop: Header=BB109_3 Depth=1
	s_or_b32 exec_lo, exec_lo, s1
	v_mov_b32_e32 v28, 0
	s_wait_dscnt 0x0
	s_barrier_signal -1
	s_barrier_wait -1
	global_wb scope:SCOPE_DEV
	s_wait_storecnt 0x0
	global_inv scope:SCOPE_DEV
	s_and_saveexec_b32 s1, s3
	s_cbranch_execz .LBB109_422
; %bb.417:                              ;   in Loop: Header=BB109_3 Depth=1
	ds_load_b32 v28, v35 offset:9344
	ds_load_b32 v29, v38 offset:10128
	s_wait_dscnt 0x0
	v_fma_f32 v28, v28, v29, 0
	s_and_saveexec_b32 s50, s13
	s_cbranch_execnz .LBB109_1135
; %bb.418:                              ;   in Loop: Header=BB109_3 Depth=1
	s_or_b32 exec_lo, exec_lo, s50
	s_and_saveexec_b32 s50, s14
	s_cbranch_execnz .LBB109_1136
.LBB109_419:                            ;   in Loop: Header=BB109_3 Depth=1
	s_or_b32 exec_lo, exec_lo, s50
	s_and_saveexec_b32 s50, s2
	s_cbranch_execz .LBB109_421
.LBB109_420:                            ;   in Loop: Header=BB109_3 Depth=1
	ds_load_b32 v29, v34 offset:10112
	ds_load_b32 v30, v7 offset:10140
	s_wait_dscnt 0x0
	v_fmac_f32_e32 v28, v29, v30
.LBB109_421:                            ;   in Loop: Header=BB109_3 Depth=1
	s_or_b32 exec_lo, exec_lo, s50
.LBB109_422:                            ;   in Loop: Header=BB109_3 Depth=1
	s_delay_alu instid0(SALU_CYCLE_1)
	s_or_b32 exec_lo, exec_lo, s1
	s_and_saveexec_b32 s1, s102
; %bb.423:                              ;   in Loop: Header=BB109_3 Depth=1
	s_delay_alu instid0(VALU_DEP_1)
	v_xor_b32_e32 v29, 0x80000000, v28
	ds_store_b32 v37, v29
; %bb.424:                              ;   in Loop: Header=BB109_3 Depth=1
	s_or_b32 exec_lo, exec_lo, s1
	s_wait_loadcnt_dscnt 0x0
	s_barrier_signal -1
	s_barrier_wait -1
	s_and_saveexec_b32 s1, s103
	s_cbranch_execz .LBB109_426
; %bb.425:                              ;   in Loop: Header=BB109_3 Depth=1
	ds_load_b32 v29, v35 offset:9088
	ds_load_b32 v30, v37
	s_wait_dscnt 0x0
	v_fma_f32 v28, -v29, v30, v28
.LBB109_426:                            ;   in Loop: Header=BB109_3 Depth=1
	s_or_b32 exec_lo, exec_lo, s1
	s_barrier_signal -1
	s_barrier_wait -1
	s_and_saveexec_b32 s1, s104
; %bb.427:                              ;   in Loop: Header=BB109_3 Depth=1
	v_xor_b32_e32 v29, 0x80000000, v28
	ds_store_b32 v37, v29
; %bb.428:                              ;   in Loop: Header=BB109_3 Depth=1
	s_or_b32 exec_lo, exec_lo, s1
	s_wait_dscnt 0x0
	s_barrier_signal -1
	s_barrier_wait -1
	s_and_saveexec_b32 s1, vcc_hi
	s_cbranch_execz .LBB109_430
; %bb.429:                              ;   in Loop: Header=BB109_3 Depth=1
	ds_load_b32 v29, v35 offset:8832
	ds_load_b32 v30, v37
	s_wait_dscnt 0x0
	v_fma_f32 v28, -v29, v30, v28
.LBB109_430:                            ;   in Loop: Header=BB109_3 Depth=1
	s_or_b32 exec_lo, exec_lo, s1
	s_barrier_signal -1
	s_barrier_wait -1
	s_and_saveexec_b32 s1, s31
; %bb.431:                              ;   in Loop: Header=BB109_3 Depth=1
	v_xor_b32_e32 v29, 0x80000000, v28
	ds_store_b32 v37, v29
; %bb.432:                              ;   in Loop: Header=BB109_3 Depth=1
	s_or_b32 exec_lo, exec_lo, s1
	s_wait_dscnt 0x0
	s_barrier_signal -1
	s_barrier_wait -1
	s_and_saveexec_b32 s1, s33
	s_cbranch_execz .LBB109_434
; %bb.433:                              ;   in Loop: Header=BB109_3 Depth=1
	ds_load_b32 v29, v7 offset:8576
	ds_load_b32 v30, v37
	s_wait_dscnt 0x0
	v_fma_f32 v28, -v29, v30, v28
.LBB109_434:                            ;   in Loop: Header=BB109_3 Depth=1
	s_or_b32 exec_lo, exec_lo, s1
	s_barrier_signal -1
	s_barrier_wait -1
	s_and_saveexec_b32 s1, s33
; %bb.435:                              ;   in Loop: Header=BB109_3 Depth=1
	v_xor_b32_e32 v29, 0x80000000, v28
	ds_store_b32 v37, v29
; %bb.436:                              ;   in Loop: Header=BB109_3 Depth=1
	s_or_b32 exec_lo, exec_lo, s1
	s_wait_dscnt 0x0
	s_barrier_signal -1
	s_barrier_wait -1
	s_barrier_signal -1
	s_barrier_wait -1
	s_and_saveexec_b32 s1, s3
; %bb.437:                              ;   in Loop: Header=BB109_3 Depth=1
	ds_store_b32 v39, v28 offset:10112
; %bb.438:                              ;   in Loop: Header=BB109_3 Depth=1
	s_or_b32 exec_lo, exec_lo, s1
	s_wait_dscnt 0x0
	s_barrier_signal -1
	s_barrier_wait -1
	s_barrier_signal -1
	s_barrier_wait -1
	s_and_saveexec_b32 s1, s11
; %bb.439:                              ;   in Loop: Header=BB109_3 Depth=1
	v_add_nc_u32_e64 v28, 0x2000, 0
	ds_store_2addr_b32 v28, v62, v62 offset0:162 offset1:227
; %bb.440:                              ;   in Loop: Header=BB109_3 Depth=1
	s_or_b32 exec_lo, exec_lo, s1
	v_mov_b32_e32 v28, 0
	s_wait_dscnt 0x0
	s_barrier_signal -1
	s_barrier_wait -1
	global_wb scope:SCOPE_DEV
	s_wait_storecnt 0x0
	global_inv scope:SCOPE_DEV
	s_and_saveexec_b32 s1, s2
	s_cbranch_execz .LBB109_444
; %bb.441:                              ;   in Loop: Header=BB109_3 Depth=1
	ds_load_b32 v28, v33 offset:8832
	ds_load_b32 v29, v32 offset:9096
	s_wait_dscnt 0x0
	v_fma_f32 v28, v28, v29, 0
	s_and_saveexec_b32 s50, s12
	s_cbranch_execz .LBB109_443
; %bb.442:                              ;   in Loop: Header=BB109_3 Depth=1
	ds_load_b32 v29, v34 offset:9088
	ds_load_b32 v30, v7 offset:9100
	s_wait_dscnt 0x0
	v_fmac_f32_e32 v28, v29, v30
.LBB109_443:                            ;   in Loop: Header=BB109_3 Depth=1
	s_or_b32 exec_lo, exec_lo, s50
.LBB109_444:                            ;   in Loop: Header=BB109_3 Depth=1
	s_delay_alu instid0(SALU_CYCLE_1)
	s_or_b32 exec_lo, exec_lo, s1
	s_and_saveexec_b32 s1, s100
; %bb.445:                              ;   in Loop: Header=BB109_3 Depth=1
	s_delay_alu instid0(VALU_DEP_1)
	v_xor_b32_e32 v29, 0x80000000, v28
	ds_store_b32 v5, v29
; %bb.446:                              ;   in Loop: Header=BB109_3 Depth=1
	s_or_b32 exec_lo, exec_lo, s1
	s_wait_loadcnt_dscnt 0x0
	s_barrier_signal -1
	s_barrier_wait -1
	s_and_saveexec_b32 s1, s101
	s_cbranch_execz .LBB109_448
; %bb.447:                              ;   in Loop: Header=BB109_3 Depth=1
	ds_load_b32 v29, v7 offset:8576
	ds_load_b32 v30, v5
	s_wait_dscnt 0x0
	v_fma_f32 v28, -v29, v30, v28
.LBB109_448:                            ;   in Loop: Header=BB109_3 Depth=1
	s_or_b32 exec_lo, exec_lo, s1
	s_barrier_signal -1
	s_barrier_wait -1
	s_and_saveexec_b32 s1, s101
; %bb.449:                              ;   in Loop: Header=BB109_3 Depth=1
	v_xor_b32_e32 v29, 0x80000000, v28
	ds_store_b32 v5, v29
; %bb.450:                              ;   in Loop: Header=BB109_3 Depth=1
	s_or_b32 exec_lo, exec_lo, s1
	s_wait_dscnt 0x0
	s_barrier_signal -1
	s_barrier_wait -1
	s_barrier_signal -1
	s_barrier_wait -1
	s_and_saveexec_b32 s1, s2
; %bb.451:                              ;   in Loop: Header=BB109_3 Depth=1
	ds_store_b32 v36, v28 offset:9088
; %bb.452:                              ;   in Loop: Header=BB109_3 Depth=1
	s_or_b32 exec_lo, exec_lo, s1
	s_wait_dscnt 0x0
	s_barrier_signal -1
	s_barrier_wait -1
	s_barrier_signal -1
	s_barrier_wait -1
	s_and_saveexec_b32 s1, s11
; %bb.453:                              ;   in Loop: Header=BB109_3 Depth=1
	v_add_nc_u32_e64 v28, 0x2000, 0
	ds_store_2addr_b32 v28, v62, v62 offset0:32 offset1:97
; %bb.454:                              ;   in Loop: Header=BB109_3 Depth=1
	s_or_b32 exec_lo, exec_lo, s1
	v_mov_b32_e32 v28, 0
	s_wait_dscnt 0x0
	s_barrier_signal -1
	s_barrier_wait -1
	global_wb scope:SCOPE_DEV
	s_wait_storecnt 0x0
	global_inv scope:SCOPE_DEV
	s_and_saveexec_b32 s92, s6
	s_cbranch_execz .LBB109_516
; %bb.455:                              ;   in Loop: Header=BB109_3 Depth=1
	ds_load_b32 v28, v46 offset:8192
	ds_load_b32 v29, v50 offset:16256
	s_wait_dscnt 0x0
	v_fma_f32 v28, v28, v29, 0
	s_mov_b32 s1, exec_lo
	v_readlane_b32 s50, v75, 31
	s_and_b32 s50, s1, s50
	s_delay_alu instid0(SALU_CYCLE_1)
	s_mov_b32 exec_lo, s50
	s_cbranch_execz .LBB109_457
; %bb.456:                              ;   in Loop: Header=BB109_3 Depth=1
	ds_load_b32 v29, v46 offset:8448
	ds_load_b32 v30, v50 offset:16260
	s_wait_dscnt 0x0
	v_fmac_f32_e32 v28, v29, v30
.LBB109_457:                            ;   in Loop: Header=BB109_3 Depth=1
	s_or_b32 exec_lo, exec_lo, s1
	s_delay_alu instid0(SALU_CYCLE_1) | instskip(SKIP_2) | instid1(SALU_CYCLE_1)
	s_mov_b32 s1, exec_lo
	v_readlane_b32 s50, v74, 0
	s_and_b32 s50, s1, s50
	s_mov_b32 exec_lo, s50
	s_cbranch_execz .LBB109_459
; %bb.458:                              ;   in Loop: Header=BB109_3 Depth=1
	ds_load_b32 v29, v46 offset:8704
	ds_load_b32 v30, v50 offset:16264
	s_wait_dscnt 0x0
	v_fmac_f32_e32 v28, v29, v30
.LBB109_459:                            ;   in Loop: Header=BB109_3 Depth=1
	s_or_b32 exec_lo, exec_lo, s1
	s_delay_alu instid0(SALU_CYCLE_1) | instskip(SKIP_2) | instid1(SALU_CYCLE_1)
	s_mov_b32 s1, exec_lo
	v_readlane_b32 s50, v74, 1
	s_and_b32 s50, s1, s50
	s_mov_b32 exec_lo, s50
	s_cbranch_execz .LBB109_461
; %bb.460:                              ;   in Loop: Header=BB109_3 Depth=1
	ds_load_b32 v29, v46 offset:8960
	ds_load_b32 v30, v50 offset:16268
	s_wait_dscnt 0x0
	v_fmac_f32_e32 v28, v29, v30
.LBB109_461:                            ;   in Loop: Header=BB109_3 Depth=1
	s_or_b32 exec_lo, exec_lo, s1
	s_delay_alu instid0(SALU_CYCLE_1) | instskip(SKIP_2) | instid1(SALU_CYCLE_1)
	s_mov_b32 s1, exec_lo
	v_readlane_b32 s50, v74, 2
	s_and_b32 s50, s1, s50
	s_mov_b32 exec_lo, s50
	s_cbranch_execz .LBB109_463
; %bb.462:                              ;   in Loop: Header=BB109_3 Depth=1
	ds_load_b32 v29, v46 offset:9216
	ds_load_b32 v30, v50 offset:16272
	s_wait_dscnt 0x0
	v_fmac_f32_e32 v28, v29, v30
.LBB109_463:                            ;   in Loop: Header=BB109_3 Depth=1
	s_or_b32 exec_lo, exec_lo, s1
	s_delay_alu instid0(SALU_CYCLE_1) | instskip(SKIP_2) | instid1(SALU_CYCLE_1)
	s_mov_b32 s1, exec_lo
	v_readlane_b32 s50, v74, 3
	s_and_b32 s50, s1, s50
	s_mov_b32 exec_lo, s50
	s_cbranch_execz .LBB109_465
; %bb.464:                              ;   in Loop: Header=BB109_3 Depth=1
	ds_load_b32 v29, v46 offset:9472
	ds_load_b32 v30, v50 offset:16276
	s_wait_dscnt 0x0
	v_fmac_f32_e32 v28, v29, v30
.LBB109_465:                            ;   in Loop: Header=BB109_3 Depth=1
	s_or_b32 exec_lo, exec_lo, s1
	s_delay_alu instid0(SALU_CYCLE_1) | instskip(SKIP_2) | instid1(SALU_CYCLE_1)
	s_mov_b32 s1, exec_lo
	v_readlane_b32 s50, v74, 4
	s_and_b32 s50, s1, s50
	s_mov_b32 exec_lo, s50
	s_cbranch_execz .LBB109_467
; %bb.466:                              ;   in Loop: Header=BB109_3 Depth=1
	ds_load_b32 v29, v46 offset:9728
	ds_load_b32 v30, v50 offset:16280
	s_wait_dscnt 0x0
	v_fmac_f32_e32 v28, v29, v30
.LBB109_467:                            ;   in Loop: Header=BB109_3 Depth=1
	s_or_b32 exec_lo, exec_lo, s1
	s_delay_alu instid0(SALU_CYCLE_1) | instskip(SKIP_2) | instid1(SALU_CYCLE_1)
	s_mov_b32 s1, exec_lo
	v_readlane_b32 s50, v74, 5
	s_and_b32 s50, s1, s50
	s_mov_b32 exec_lo, s50
	s_cbranch_execz .LBB109_469
; %bb.468:                              ;   in Loop: Header=BB109_3 Depth=1
	ds_load_b32 v29, v46 offset:9984
	ds_load_b32 v30, v50 offset:16284
	s_wait_dscnt 0x0
	v_fmac_f32_e32 v28, v29, v30
.LBB109_469:                            ;   in Loop: Header=BB109_3 Depth=1
	s_or_b32 exec_lo, exec_lo, s1
	s_delay_alu instid0(SALU_CYCLE_1) | instskip(SKIP_2) | instid1(SALU_CYCLE_1)
	s_mov_b32 s1, exec_lo
	v_readlane_b32 s50, v74, 6
	s_and_b32 s50, s1, s50
	s_mov_b32 exec_lo, s50
	s_cbranch_execz .LBB109_471
; %bb.470:                              ;   in Loop: Header=BB109_3 Depth=1
	ds_load_b32 v29, v46 offset:10240
	ds_load_b32 v30, v50 offset:16288
	s_wait_dscnt 0x0
	v_fmac_f32_e32 v28, v29, v30
.LBB109_471:                            ;   in Loop: Header=BB109_3 Depth=1
	s_or_b32 exec_lo, exec_lo, s1
	s_delay_alu instid0(SALU_CYCLE_1) | instskip(SKIP_2) | instid1(SALU_CYCLE_1)
	s_mov_b32 s1, exec_lo
	v_readlane_b32 s50, v74, 7
	s_and_b32 s50, s1, s50
	s_mov_b32 exec_lo, s50
	s_cbranch_execz .LBB109_473
; %bb.472:                              ;   in Loop: Header=BB109_3 Depth=1
	ds_load_b32 v29, v46 offset:10496
	ds_load_b32 v30, v50 offset:16292
	s_wait_dscnt 0x0
	v_fmac_f32_e32 v28, v29, v30
.LBB109_473:                            ;   in Loop: Header=BB109_3 Depth=1
	s_or_b32 exec_lo, exec_lo, s1
	s_delay_alu instid0(SALU_CYCLE_1) | instskip(SKIP_2) | instid1(SALU_CYCLE_1)
	s_mov_b32 s1, exec_lo
	v_readlane_b32 s50, v74, 8
	s_and_b32 s50, s1, s50
	s_mov_b32 exec_lo, s50
	s_cbranch_execz .LBB109_475
; %bb.474:                              ;   in Loop: Header=BB109_3 Depth=1
	ds_load_b32 v29, v46 offset:10752
	ds_load_b32 v30, v50 offset:16296
	s_wait_dscnt 0x0
	v_fmac_f32_e32 v28, v29, v30
.LBB109_475:                            ;   in Loop: Header=BB109_3 Depth=1
	s_or_b32 exec_lo, exec_lo, s1
	s_delay_alu instid0(SALU_CYCLE_1) | instskip(SKIP_2) | instid1(SALU_CYCLE_1)
	s_mov_b32 s1, exec_lo
	v_readlane_b32 s50, v74, 9
	s_and_b32 s50, s1, s50
	s_mov_b32 exec_lo, s50
	s_cbranch_execz .LBB109_477
; %bb.476:                              ;   in Loop: Header=BB109_3 Depth=1
	ds_load_b32 v29, v46 offset:11008
	ds_load_b32 v30, v50 offset:16300
	s_wait_dscnt 0x0
	v_fmac_f32_e32 v28, v29, v30
.LBB109_477:                            ;   in Loop: Header=BB109_3 Depth=1
	s_or_b32 exec_lo, exec_lo, s1
	s_delay_alu instid0(SALU_CYCLE_1) | instskip(SKIP_2) | instid1(SALU_CYCLE_1)
	s_mov_b32 s1, exec_lo
	v_readlane_b32 s50, v74, 10
	s_and_b32 s50, s1, s50
	s_mov_b32 exec_lo, s50
	s_cbranch_execz .LBB109_479
; %bb.478:                              ;   in Loop: Header=BB109_3 Depth=1
	ds_load_b32 v29, v46 offset:11264
	ds_load_b32 v30, v50 offset:16304
	s_wait_dscnt 0x0
	v_fmac_f32_e32 v28, v29, v30
.LBB109_479:                            ;   in Loop: Header=BB109_3 Depth=1
	s_or_b32 exec_lo, exec_lo, s1
	s_delay_alu instid0(SALU_CYCLE_1) | instskip(SKIP_2) | instid1(SALU_CYCLE_1)
	s_mov_b32 s1, exec_lo
	v_readlane_b32 s50, v74, 11
	s_and_b32 s50, s1, s50
	s_mov_b32 exec_lo, s50
	s_cbranch_execz .LBB109_481
; %bb.480:                              ;   in Loop: Header=BB109_3 Depth=1
	ds_load_b32 v29, v46 offset:11520
	ds_load_b32 v30, v50 offset:16308
	s_wait_dscnt 0x0
	v_fmac_f32_e32 v28, v29, v30
.LBB109_481:                            ;   in Loop: Header=BB109_3 Depth=1
	s_or_b32 exec_lo, exec_lo, s1
	s_delay_alu instid0(SALU_CYCLE_1) | instskip(SKIP_2) | instid1(SALU_CYCLE_1)
	s_mov_b32 s1, exec_lo
	v_readlane_b32 s50, v74, 12
	s_and_b32 s50, s1, s50
	s_mov_b32 exec_lo, s50
	s_cbranch_execz .LBB109_483
; %bb.482:                              ;   in Loop: Header=BB109_3 Depth=1
	ds_load_b32 v29, v46 offset:11776
	ds_load_b32 v30, v50 offset:16312
	s_wait_dscnt 0x0
	v_fmac_f32_e32 v28, v29, v30
.LBB109_483:                            ;   in Loop: Header=BB109_3 Depth=1
	s_or_b32 exec_lo, exec_lo, s1
	s_delay_alu instid0(SALU_CYCLE_1) | instskip(SKIP_2) | instid1(SALU_CYCLE_1)
	s_mov_b32 s1, exec_lo
	v_readlane_b32 s50, v74, 13
	s_and_b32 s50, s1, s50
	s_mov_b32 exec_lo, s50
	s_cbranch_execz .LBB109_485
; %bb.484:                              ;   in Loop: Header=BB109_3 Depth=1
	ds_load_b32 v29, v46 offset:12032
	ds_load_b32 v30, v50 offset:16316
	s_wait_dscnt 0x0
	v_fmac_f32_e32 v28, v29, v30
.LBB109_485:                            ;   in Loop: Header=BB109_3 Depth=1
	s_or_b32 exec_lo, exec_lo, s1
	s_delay_alu instid0(SALU_CYCLE_1) | instskip(SKIP_2) | instid1(SALU_CYCLE_1)
	s_mov_b32 s1, exec_lo
	v_readlane_b32 s50, v74, 14
	s_and_b32 s50, s1, s50
	s_mov_b32 exec_lo, s50
	s_cbranch_execz .LBB109_487
; %bb.486:                              ;   in Loop: Header=BB109_3 Depth=1
	ds_load_b32 v29, v46 offset:12288
	ds_load_b32 v30, v50 offset:16320
	s_wait_dscnt 0x0
	v_fmac_f32_e32 v28, v29, v30
.LBB109_487:                            ;   in Loop: Header=BB109_3 Depth=1
	s_or_b32 exec_lo, exec_lo, s1
	s_delay_alu instid0(SALU_CYCLE_1) | instskip(SKIP_2) | instid1(SALU_CYCLE_1)
	s_mov_b32 s1, exec_lo
	v_readlane_b32 s50, v74, 15
	s_and_b32 s50, s1, s50
	s_mov_b32 exec_lo, s50
	s_cbranch_execz .LBB109_489
; %bb.488:                              ;   in Loop: Header=BB109_3 Depth=1
	ds_load_b32 v29, v46 offset:12544
	ds_load_b32 v30, v50 offset:16324
	s_wait_dscnt 0x0
	v_fmac_f32_e32 v28, v29, v30
.LBB109_489:                            ;   in Loop: Header=BB109_3 Depth=1
	s_or_b32 exec_lo, exec_lo, s1
	s_delay_alu instid0(SALU_CYCLE_1) | instskip(SKIP_2) | instid1(SALU_CYCLE_1)
	s_mov_b32 s1, exec_lo
	v_readlane_b32 s50, v74, 16
	s_and_b32 s50, s1, s50
	s_mov_b32 exec_lo, s50
	s_cbranch_execz .LBB109_491
; %bb.490:                              ;   in Loop: Header=BB109_3 Depth=1
	ds_load_b32 v29, v46 offset:12800
	ds_load_b32 v30, v50 offset:16328
	s_wait_dscnt 0x0
	v_fmac_f32_e32 v28, v29, v30
.LBB109_491:                            ;   in Loop: Header=BB109_3 Depth=1
	s_or_b32 exec_lo, exec_lo, s1
	s_delay_alu instid0(SALU_CYCLE_1) | instskip(SKIP_2) | instid1(SALU_CYCLE_1)
	s_mov_b32 s1, exec_lo
	v_readlane_b32 s50, v74, 17
	s_and_b32 s50, s1, s50
	s_mov_b32 exec_lo, s50
	s_cbranch_execz .LBB109_493
; %bb.492:                              ;   in Loop: Header=BB109_3 Depth=1
	ds_load_b32 v29, v46 offset:13056
	ds_load_b32 v30, v50 offset:16332
	s_wait_dscnt 0x0
	v_fmac_f32_e32 v28, v29, v30
.LBB109_493:                            ;   in Loop: Header=BB109_3 Depth=1
	s_or_b32 exec_lo, exec_lo, s1
	s_delay_alu instid0(SALU_CYCLE_1) | instskip(SKIP_2) | instid1(SALU_CYCLE_1)
	s_mov_b32 s1, exec_lo
	v_readlane_b32 s50, v74, 18
	s_and_b32 s50, s1, s50
	s_mov_b32 exec_lo, s50
	s_cbranch_execz .LBB109_495
; %bb.494:                              ;   in Loop: Header=BB109_3 Depth=1
	ds_load_b32 v29, v46 offset:13312
	ds_load_b32 v30, v50 offset:16336
	s_wait_dscnt 0x0
	v_fmac_f32_e32 v28, v29, v30
.LBB109_495:                            ;   in Loop: Header=BB109_3 Depth=1
	s_or_b32 exec_lo, exec_lo, s1
	s_delay_alu instid0(SALU_CYCLE_1) | instskip(SKIP_2) | instid1(SALU_CYCLE_1)
	s_mov_b32 s1, exec_lo
	v_readlane_b32 s50, v74, 19
	s_and_b32 s50, s1, s50
	s_mov_b32 exec_lo, s50
	s_cbranch_execz .LBB109_497
; %bb.496:                              ;   in Loop: Header=BB109_3 Depth=1
	ds_load_b32 v29, v46 offset:13568
	ds_load_b32 v30, v50 offset:16340
	s_wait_dscnt 0x0
	v_fmac_f32_e32 v28, v29, v30
.LBB109_497:                            ;   in Loop: Header=BB109_3 Depth=1
	s_or_b32 exec_lo, exec_lo, s1
	s_delay_alu instid0(SALU_CYCLE_1) | instskip(SKIP_2) | instid1(SALU_CYCLE_1)
	s_mov_b32 s1, exec_lo
	v_readlane_b32 s50, v74, 20
	s_and_b32 s50, s1, s50
	s_mov_b32 exec_lo, s50
	s_cbranch_execz .LBB109_499
; %bb.498:                              ;   in Loop: Header=BB109_3 Depth=1
	ds_load_b32 v29, v46 offset:13824
	ds_load_b32 v30, v50 offset:16344
	s_wait_dscnt 0x0
	v_fmac_f32_e32 v28, v29, v30
.LBB109_499:                            ;   in Loop: Header=BB109_3 Depth=1
	s_or_b32 exec_lo, exec_lo, s1
	s_delay_alu instid0(SALU_CYCLE_1) | instskip(SKIP_2) | instid1(SALU_CYCLE_1)
	s_mov_b32 s1, exec_lo
	v_readlane_b32 s50, v74, 21
	s_and_b32 s50, s1, s50
	s_mov_b32 exec_lo, s50
	s_cbranch_execz .LBB109_501
; %bb.500:                              ;   in Loop: Header=BB109_3 Depth=1
	ds_load_b32 v29, v46 offset:14080
	ds_load_b32 v30, v50 offset:16348
	s_wait_dscnt 0x0
	v_fmac_f32_e32 v28, v29, v30
.LBB109_501:                            ;   in Loop: Header=BB109_3 Depth=1
	s_or_b32 exec_lo, exec_lo, s1
	s_and_saveexec_b32 s1, s5
	s_cbranch_execz .LBB109_503
; %bb.502:                              ;   in Loop: Header=BB109_3 Depth=1
	ds_load_b32 v29, v46 offset:14336
	ds_load_b32 v30, v50 offset:16352
	s_wait_dscnt 0x0
	v_fmac_f32_e32 v28, v29, v30
.LBB109_503:                            ;   in Loop: Header=BB109_3 Depth=1
	s_or_b32 exec_lo, exec_lo, s1
	s_delay_alu instid0(SALU_CYCLE_1) | instskip(SKIP_2) | instid1(SALU_CYCLE_1)
	s_mov_b32 s1, exec_lo
	v_readlane_b32 s50, v75, 21
	s_and_b32 s50, s1, s50
	s_mov_b32 exec_lo, s50
	s_cbranch_execz .LBB109_505
; %bb.504:                              ;   in Loop: Header=BB109_3 Depth=1
	ds_load_b32 v29, v46 offset:14592
	ds_load_b32 v30, v50 offset:16356
	s_wait_dscnt 0x0
	v_fmac_f32_e32 v28, v29, v30
.LBB109_505:                            ;   in Loop: Header=BB109_3 Depth=1
	s_or_b32 exec_lo, exec_lo, s1
	s_delay_alu instid0(SALU_CYCLE_1) | instskip(SKIP_2) | instid1(SALU_CYCLE_1)
	s_mov_b32 s1, exec_lo
	v_readlane_b32 s50, v75, 23
	s_and_b32 s50, s1, s50
	s_mov_b32 exec_lo, s50
	;; [unrolled: 13-line block ×5, first 2 shown]
	s_cbranch_execnz .LBB109_1137
; %bb.512:                              ;   in Loop: Header=BB109_3 Depth=1
	s_or_b32 exec_lo, exec_lo, s1
	s_and_saveexec_b32 s1, s4
	s_cbranch_execnz .LBB109_1138
.LBB109_513:                            ;   in Loop: Header=BB109_3 Depth=1
	s_or_b32 exec_lo, exec_lo, s1
	s_and_saveexec_b32 s1, s18
	s_cbranch_execz .LBB109_515
.LBB109_514:                            ;   in Loop: Header=BB109_3 Depth=1
	ds_load_b32 v29, v34 offset:16128
	ds_load_b32 v30, v7 offset:16380
	s_wait_dscnt 0x0
	v_fmac_f32_e32 v28, v29, v30
.LBB109_515:                            ;   in Loop: Header=BB109_3 Depth=1
	s_or_b32 exec_lo, exec_lo, s1
.LBB109_516:                            ;   in Loop: Header=BB109_3 Depth=1
	s_delay_alu instid0(SALU_CYCLE_1) | instskip(NEXT) | instid1(SALU_CYCLE_1)
	s_or_b32 exec_lo, exec_lo, s92
	s_mov_b32 s1, exec_lo
	v_readlane_b32 s50, v77, 9
	s_and_b32 s50, s1, s50
	s_delay_alu instid0(SALU_CYCLE_1)
	s_mov_b32 exec_lo, s50
; %bb.517:                              ;   in Loop: Header=BB109_3 Depth=1
	v_xor_b32_e32 v29, 0x80000000, v28
	ds_store_b32 v49, v29
; %bb.518:                              ;   in Loop: Header=BB109_3 Depth=1
	s_or_b32 exec_lo, exec_lo, s1
	s_wait_loadcnt_dscnt 0x0
	s_barrier_signal -1
	s_barrier_wait -1
	s_mov_b32 s1, exec_lo
	v_readlane_b32 s50, v77, 10
	s_and_b32 s50, s1, s50
	s_delay_alu instid0(SALU_CYCLE_1)
	s_mov_b32 exec_lo, s50
	s_cbranch_execz .LBB109_520
; %bb.519:                              ;   in Loop: Header=BB109_3 Depth=1
	ds_load_b32 v29, v46 offset:7936
	ds_load_b32 v30, v49
	s_wait_dscnt 0x0
	v_fma_f32 v28, -v29, v30, v28
.LBB109_520:                            ;   in Loop: Header=BB109_3 Depth=1
	s_or_b32 exec_lo, exec_lo, s1
	s_barrier_signal -1
	s_barrier_wait -1
	s_mov_b32 s1, exec_lo
	v_readlane_b32 s50, v77, 11
	s_and_b32 s50, s1, s50
	s_delay_alu instid0(SALU_CYCLE_1)
	s_mov_b32 exec_lo, s50
; %bb.521:                              ;   in Loop: Header=BB109_3 Depth=1
	v_xor_b32_e32 v29, 0x80000000, v28
	ds_store_b32 v49, v29
; %bb.522:                              ;   in Loop: Header=BB109_3 Depth=1
	s_or_b32 exec_lo, exec_lo, s1
	s_wait_dscnt 0x0
	s_barrier_signal -1
	s_barrier_wait -1
	s_mov_b32 s1, exec_lo
	v_readlane_b32 s50, v77, 12
	s_and_b32 s50, s1, s50
	s_delay_alu instid0(SALU_CYCLE_1)
	s_mov_b32 exec_lo, s50
	s_cbranch_execz .LBB109_524
; %bb.523:                              ;   in Loop: Header=BB109_3 Depth=1
	ds_load_b32 v29, v46 offset:7680
	ds_load_b32 v30, v49
	s_wait_dscnt 0x0
	v_fma_f32 v28, -v29, v30, v28
.LBB109_524:                            ;   in Loop: Header=BB109_3 Depth=1
	s_or_b32 exec_lo, exec_lo, s1
	s_barrier_signal -1
	s_barrier_wait -1
	s_mov_b32 s1, exec_lo
	v_readlane_b32 s50, v77, 13
	s_and_b32 s50, s1, s50
	s_delay_alu instid0(SALU_CYCLE_1)
	s_mov_b32 exec_lo, s50
; %bb.525:                              ;   in Loop: Header=BB109_3 Depth=1
	v_xor_b32_e32 v29, 0x80000000, v28
	ds_store_b32 v49, v29
; %bb.526:                              ;   in Loop: Header=BB109_3 Depth=1
	s_or_b32 exec_lo, exec_lo, s1
	s_wait_dscnt 0x0
	;; [unrolled: 28-line block ×30, first 2 shown]
	s_barrier_signal -1
	s_barrier_wait -1
	s_and_saveexec_b32 s1, s9
	s_cbranch_execz .LBB109_640
; %bb.639:                              ;   in Loop: Header=BB109_3 Depth=1
	ds_load_b32 v29, v7 offset:256
	ds_load_b32 v30, v49
	s_wait_dscnt 0x0
	v_fma_f32 v28, -v29, v30, v28
.LBB109_640:                            ;   in Loop: Header=BB109_3 Depth=1
	s_or_b32 exec_lo, exec_lo, s1
	s_barrier_signal -1
	s_barrier_wait -1
	s_and_saveexec_b32 s1, s9
; %bb.641:                              ;   in Loop: Header=BB109_3 Depth=1
	v_xor_b32_e32 v29, 0x80000000, v28
	ds_store_b32 v49, v29
; %bb.642:                              ;   in Loop: Header=BB109_3 Depth=1
	s_or_b32 exec_lo, exec_lo, s1
	s_wait_dscnt 0x0
	s_barrier_signal -1
	s_barrier_wait -1
	s_barrier_signal -1
	s_barrier_wait -1
	s_and_saveexec_b32 s1, s6
; %bb.643:                              ;   in Loop: Header=BB109_3 Depth=1
	ds_store_b32 v51, v28 offset:16128
; %bb.644:                              ;   in Loop: Header=BB109_3 Depth=1
	s_or_b32 exec_lo, exec_lo, s1
	s_wait_dscnt 0x0
	s_barrier_signal -1
	s_barrier_wait -1
	s_barrier_signal -1
	s_barrier_wait -1
	s_and_saveexec_b32 s1, s11
; %bb.645:                              ;   in Loop: Header=BB109_3 Depth=1
	v_add_nc_u32_e64 v28, 0x1c00, 0
	ds_store_2addr_b32 v28, v62, v62 offset0:158 offset1:223
; %bb.646:                              ;   in Loop: Header=BB109_3 Depth=1
	s_or_b32 exec_lo, exec_lo, s1
	v_mov_b32_e32 v28, 0
	s_wait_dscnt 0x0
	s_barrier_signal -1
	s_barrier_wait -1
	global_wb scope:SCOPE_DEV
	s_wait_storecnt 0x0
	global_inv scope:SCOPE_DEV
	s_and_saveexec_b32 s1, s2
	s_cbranch_execz .LBB109_650
; %bb.647:                              ;   in Loop: Header=BB109_3 Depth=1
	ds_load_b32 v28, v33 offset:7792
	ds_load_b32 v29, v32 offset:8056
	s_wait_dscnt 0x0
	v_fma_f32 v28, v28, v29, 0
	s_and_saveexec_b32 s50, s12
	s_cbranch_execz .LBB109_649
; %bb.648:                              ;   in Loop: Header=BB109_3 Depth=1
	ds_load_b32 v29, v34 offset:8048
	ds_load_b32 v30, v7 offset:8060
	s_wait_dscnt 0x0
	v_fmac_f32_e32 v28, v29, v30
.LBB109_649:                            ;   in Loop: Header=BB109_3 Depth=1
	s_or_b32 exec_lo, exec_lo, s50
.LBB109_650:                            ;   in Loop: Header=BB109_3 Depth=1
	s_delay_alu instid0(SALU_CYCLE_1)
	s_or_b32 exec_lo, exec_lo, s1
	s_and_saveexec_b32 s1, s100
; %bb.651:                              ;   in Loop: Header=BB109_3 Depth=1
	s_delay_alu instid0(VALU_DEP_1)
	v_xor_b32_e32 v29, 0x80000000, v28
	ds_store_b32 v5, v29
; %bb.652:                              ;   in Loop: Header=BB109_3 Depth=1
	s_or_b32 exec_lo, exec_lo, s1
	s_wait_loadcnt_dscnt 0x0
	s_barrier_signal -1
	s_barrier_wait -1
	s_and_saveexec_b32 s1, s101
	s_cbranch_execz .LBB109_654
; %bb.653:                              ;   in Loop: Header=BB109_3 Depth=1
	ds_load_b32 v29, v7 offset:7536
	ds_load_b32 v30, v5
	s_wait_dscnt 0x0
	v_fma_f32 v28, -v29, v30, v28
.LBB109_654:                            ;   in Loop: Header=BB109_3 Depth=1
	s_or_b32 exec_lo, exec_lo, s1
	s_barrier_signal -1
	s_barrier_wait -1
	s_and_saveexec_b32 s1, s101
; %bb.655:                              ;   in Loop: Header=BB109_3 Depth=1
	v_xor_b32_e32 v29, 0x80000000, v28
	ds_store_b32 v5, v29
; %bb.656:                              ;   in Loop: Header=BB109_3 Depth=1
	s_or_b32 exec_lo, exec_lo, s1
	s_wait_dscnt 0x0
	s_barrier_signal -1
	s_barrier_wait -1
	s_barrier_signal -1
	s_barrier_wait -1
	s_and_saveexec_b32 s1, s2
; %bb.657:                              ;   in Loop: Header=BB109_3 Depth=1
	ds_store_b32 v36, v28 offset:8048
; %bb.658:                              ;   in Loop: Header=BB109_3 Depth=1
	s_or_b32 exec_lo, exec_lo, s1
	s_wait_dscnt 0x0
	s_barrier_signal -1
	s_barrier_wait -1
	s_barrier_signal -1
	s_barrier_wait -1
	s_and_saveexec_b32 s1, s11
; %bb.659:                              ;   in Loop: Header=BB109_3 Depth=1
	v_add_nc_u32_e64 v28, 0x1c00, 0
	ds_store_2addr_b32 v28, v62, v62 offset0:28 offset1:93
; %bb.660:                              ;   in Loop: Header=BB109_3 Depth=1
	s_or_b32 exec_lo, exec_lo, s1
	v_mov_b32_e32 v28, 0
	s_wait_dscnt 0x0
	s_barrier_signal -1
	s_barrier_wait -1
	global_wb scope:SCOPE_DEV
	s_wait_storecnt 0x0
	global_inv scope:SCOPE_DEV
	s_and_saveexec_b32 s1, s3
	s_cbranch_execz .LBB109_666
; %bb.661:                              ;   in Loop: Header=BB109_3 Depth=1
	ds_load_b32 v28, v35 offset:7264
	ds_load_b32 v29, v38 offset:8048
	s_wait_dscnt 0x0
	v_fma_f32 v28, v28, v29, 0
	s_and_saveexec_b32 s50, s13
	s_cbranch_execnz .LBB109_1139
; %bb.662:                              ;   in Loop: Header=BB109_3 Depth=1
	s_or_b32 exec_lo, exec_lo, s50
	s_and_saveexec_b32 s50, s14
	s_cbranch_execnz .LBB109_1140
.LBB109_663:                            ;   in Loop: Header=BB109_3 Depth=1
	s_or_b32 exec_lo, exec_lo, s50
	s_and_saveexec_b32 s50, s2
	s_cbranch_execz .LBB109_665
.LBB109_664:                            ;   in Loop: Header=BB109_3 Depth=1
	ds_load_b32 v29, v34 offset:8032
	ds_load_b32 v30, v7 offset:8060
	s_wait_dscnt 0x0
	v_fmac_f32_e32 v28, v29, v30
.LBB109_665:                            ;   in Loop: Header=BB109_3 Depth=1
	s_or_b32 exec_lo, exec_lo, s50
.LBB109_666:                            ;   in Loop: Header=BB109_3 Depth=1
	s_delay_alu instid0(SALU_CYCLE_1)
	s_or_b32 exec_lo, exec_lo, s1
	s_and_saveexec_b32 s1, s102
; %bb.667:                              ;   in Loop: Header=BB109_3 Depth=1
	s_delay_alu instid0(VALU_DEP_1)
	v_xor_b32_e32 v29, 0x80000000, v28
	ds_store_b32 v37, v29
; %bb.668:                              ;   in Loop: Header=BB109_3 Depth=1
	s_or_b32 exec_lo, exec_lo, s1
	s_wait_loadcnt_dscnt 0x0
	s_barrier_signal -1
	s_barrier_wait -1
	s_and_saveexec_b32 s1, s103
	s_cbranch_execz .LBB109_670
; %bb.669:                              ;   in Loop: Header=BB109_3 Depth=1
	ds_load_b32 v29, v35 offset:7008
	ds_load_b32 v30, v37
	s_wait_dscnt 0x0
	v_fma_f32 v28, -v29, v30, v28
.LBB109_670:                            ;   in Loop: Header=BB109_3 Depth=1
	s_or_b32 exec_lo, exec_lo, s1
	s_barrier_signal -1
	s_barrier_wait -1
	s_and_saveexec_b32 s1, s104
; %bb.671:                              ;   in Loop: Header=BB109_3 Depth=1
	v_xor_b32_e32 v29, 0x80000000, v28
	ds_store_b32 v37, v29
; %bb.672:                              ;   in Loop: Header=BB109_3 Depth=1
	s_or_b32 exec_lo, exec_lo, s1
	s_wait_dscnt 0x0
	s_barrier_signal -1
	s_barrier_wait -1
	s_and_saveexec_b32 s1, vcc_hi
	s_cbranch_execz .LBB109_674
; %bb.673:                              ;   in Loop: Header=BB109_3 Depth=1
	ds_load_b32 v29, v35 offset:6752
	ds_load_b32 v30, v37
	s_wait_dscnt 0x0
	v_fma_f32 v28, -v29, v30, v28
.LBB109_674:                            ;   in Loop: Header=BB109_3 Depth=1
	s_or_b32 exec_lo, exec_lo, s1
	s_barrier_signal -1
	s_barrier_wait -1
	s_and_saveexec_b32 s1, s31
; %bb.675:                              ;   in Loop: Header=BB109_3 Depth=1
	v_xor_b32_e32 v29, 0x80000000, v28
	ds_store_b32 v37, v29
; %bb.676:                              ;   in Loop: Header=BB109_3 Depth=1
	s_or_b32 exec_lo, exec_lo, s1
	s_wait_dscnt 0x0
	s_barrier_signal -1
	s_barrier_wait -1
	s_and_saveexec_b32 s1, s33
	s_cbranch_execz .LBB109_678
; %bb.677:                              ;   in Loop: Header=BB109_3 Depth=1
	ds_load_b32 v29, v7 offset:6496
	ds_load_b32 v30, v37
	s_wait_dscnt 0x0
	v_fma_f32 v28, -v29, v30, v28
.LBB109_678:                            ;   in Loop: Header=BB109_3 Depth=1
	s_or_b32 exec_lo, exec_lo, s1
	s_barrier_signal -1
	s_barrier_wait -1
	s_and_saveexec_b32 s1, s33
; %bb.679:                              ;   in Loop: Header=BB109_3 Depth=1
	v_xor_b32_e32 v29, 0x80000000, v28
	ds_store_b32 v37, v29
; %bb.680:                              ;   in Loop: Header=BB109_3 Depth=1
	s_or_b32 exec_lo, exec_lo, s1
	s_wait_dscnt 0x0
	s_barrier_signal -1
	s_barrier_wait -1
	s_barrier_signal -1
	s_barrier_wait -1
	s_and_saveexec_b32 s1, s3
; %bb.681:                              ;   in Loop: Header=BB109_3 Depth=1
	ds_store_b32 v39, v28 offset:8032
; %bb.682:                              ;   in Loop: Header=BB109_3 Depth=1
	s_or_b32 exec_lo, exec_lo, s1
	s_wait_dscnt 0x0
	s_barrier_signal -1
	s_barrier_wait -1
	s_barrier_signal -1
	s_barrier_wait -1
	s_and_saveexec_b32 s1, s11
; %bb.683:                              ;   in Loop: Header=BB109_3 Depth=1
	v_add_nc_u32_e64 v28, 0x1800, 0
	ds_store_2addr_b32 v28, v62, v62 offset0:154 offset1:219
; %bb.684:                              ;   in Loop: Header=BB109_3 Depth=1
	s_or_b32 exec_lo, exec_lo, s1
	v_mov_b32_e32 v28, 0
	s_wait_dscnt 0x0
	s_barrier_signal -1
	s_barrier_wait -1
	global_wb scope:SCOPE_DEV
	s_wait_storecnt 0x0
	global_inv scope:SCOPE_DEV
	s_and_saveexec_b32 s1, s2
	s_cbranch_execz .LBB109_688
; %bb.685:                              ;   in Loop: Header=BB109_3 Depth=1
	ds_load_b32 v28, v33 offset:6752
	ds_load_b32 v29, v32 offset:7016
	s_wait_dscnt 0x0
	v_fma_f32 v28, v28, v29, 0
	s_and_saveexec_b32 s50, s12
	s_cbranch_execz .LBB109_687
; %bb.686:                              ;   in Loop: Header=BB109_3 Depth=1
	ds_load_b32 v29, v34 offset:7008
	ds_load_b32 v30, v7 offset:7020
	s_wait_dscnt 0x0
	v_fmac_f32_e32 v28, v29, v30
.LBB109_687:                            ;   in Loop: Header=BB109_3 Depth=1
	s_or_b32 exec_lo, exec_lo, s50
.LBB109_688:                            ;   in Loop: Header=BB109_3 Depth=1
	s_delay_alu instid0(SALU_CYCLE_1)
	s_or_b32 exec_lo, exec_lo, s1
	s_and_saveexec_b32 s1, s100
; %bb.689:                              ;   in Loop: Header=BB109_3 Depth=1
	s_delay_alu instid0(VALU_DEP_1)
	v_xor_b32_e32 v29, 0x80000000, v28
	ds_store_b32 v5, v29
; %bb.690:                              ;   in Loop: Header=BB109_3 Depth=1
	s_or_b32 exec_lo, exec_lo, s1
	s_wait_loadcnt_dscnt 0x0
	s_barrier_signal -1
	s_barrier_wait -1
	s_and_saveexec_b32 s1, s101
	s_cbranch_execz .LBB109_692
; %bb.691:                              ;   in Loop: Header=BB109_3 Depth=1
	ds_load_b32 v29, v7 offset:6496
	ds_load_b32 v30, v5
	s_wait_dscnt 0x0
	v_fma_f32 v28, -v29, v30, v28
.LBB109_692:                            ;   in Loop: Header=BB109_3 Depth=1
	s_or_b32 exec_lo, exec_lo, s1
	s_barrier_signal -1
	s_barrier_wait -1
	s_and_saveexec_b32 s1, s101
; %bb.693:                              ;   in Loop: Header=BB109_3 Depth=1
	v_xor_b32_e32 v29, 0x80000000, v28
	ds_store_b32 v5, v29
; %bb.694:                              ;   in Loop: Header=BB109_3 Depth=1
	s_or_b32 exec_lo, exec_lo, s1
	s_wait_dscnt 0x0
	s_barrier_signal -1
	s_barrier_wait -1
	s_barrier_signal -1
	s_barrier_wait -1
	s_and_saveexec_b32 s1, s2
; %bb.695:                              ;   in Loop: Header=BB109_3 Depth=1
	ds_store_b32 v36, v28 offset:7008
; %bb.696:                              ;   in Loop: Header=BB109_3 Depth=1
	s_or_b32 exec_lo, exec_lo, s1
	s_wait_dscnt 0x0
	s_barrier_signal -1
	s_barrier_wait -1
	s_barrier_signal -1
	s_barrier_wait -1
	s_and_saveexec_b32 s1, s11
; %bb.697:                              ;   in Loop: Header=BB109_3 Depth=1
	v_add_nc_u32_e64 v28, 0x1800, 0
	ds_store_2addr_b32 v28, v62, v62 offset0:24 offset1:89
; %bb.698:                              ;   in Loop: Header=BB109_3 Depth=1
	s_or_b32 exec_lo, exec_lo, s1
	v_mov_b32_e32 v28, 0
	s_wait_dscnt 0x0
	s_barrier_signal -1
	s_barrier_wait -1
	global_wb scope:SCOPE_DEV
	s_wait_storecnt 0x0
	global_inv scope:SCOPE_DEV
	s_and_saveexec_b32 s1, s4
	s_cbranch_execz .LBB109_708
; %bb.699:                              ;   in Loop: Header=BB109_3 Depth=1
	ds_load_b32 v28, v40 offset:6208
	ds_load_b32 v29, v42 offset:8032
	s_wait_dscnt 0x0
	v_fma_f32 v28, v28, v29, 0
	s_and_saveexec_b32 s50, s15
	s_cbranch_execnz .LBB109_1141
; %bb.700:                              ;   in Loop: Header=BB109_3 Depth=1
	s_or_b32 exec_lo, exec_lo, s50
	s_and_saveexec_b32 s50, s16
	s_cbranch_execnz .LBB109_1142
.LBB109_701:                            ;   in Loop: Header=BB109_3 Depth=1
	s_or_b32 exec_lo, exec_lo, s50
	s_and_saveexec_b32 s50, s17
	s_cbranch_execnz .LBB109_1143
.LBB109_702:                            ;   in Loop: Header=BB109_3 Depth=1
	s_or_b32 exec_lo, exec_lo, s50
	s_and_saveexec_b32 s50, s18
	s_cbranch_execnz .LBB109_1144
.LBB109_703:                            ;   in Loop: Header=BB109_3 Depth=1
	s_or_b32 exec_lo, exec_lo, s50
	s_and_saveexec_b32 s50, s19
	s_cbranch_execnz .LBB109_1145
.LBB109_704:                            ;   in Loop: Header=BB109_3 Depth=1
	s_or_b32 exec_lo, exec_lo, s50
	s_and_saveexec_b32 s50, s3
	s_cbranch_execnz .LBB109_1146
.LBB109_705:                            ;   in Loop: Header=BB109_3 Depth=1
	s_or_b32 exec_lo, exec_lo, s50
	s_and_saveexec_b32 s50, s14
	s_cbranch_execz .LBB109_707
.LBB109_706:                            ;   in Loop: Header=BB109_3 Depth=1
	ds_load_b32 v29, v34 offset:8000
	ds_load_b32 v30, v7 offset:8060
	s_wait_dscnt 0x0
	v_fmac_f32_e32 v28, v29, v30
.LBB109_707:                            ;   in Loop: Header=BB109_3 Depth=1
	s_or_b32 exec_lo, exec_lo, s50
.LBB109_708:                            ;   in Loop: Header=BB109_3 Depth=1
	s_delay_alu instid0(SALU_CYCLE_1)
	s_or_b32 exec_lo, exec_lo, s1
	s_and_saveexec_b32 s1, s34
; %bb.709:                              ;   in Loop: Header=BB109_3 Depth=1
	s_delay_alu instid0(VALU_DEP_1)
	v_xor_b32_e32 v29, 0x80000000, v28
	ds_store_b32 v41, v29
; %bb.710:                              ;   in Loop: Header=BB109_3 Depth=1
	s_or_b32 exec_lo, exec_lo, s1
	s_wait_loadcnt_dscnt 0x0
	s_barrier_signal -1
	s_barrier_wait -1
	s_and_saveexec_b32 s1, s35
	s_cbranch_execz .LBB109_712
; %bb.711:                              ;   in Loop: Header=BB109_3 Depth=1
	ds_load_b32 v29, v40 offset:5952
	ds_load_b32 v30, v41
	s_wait_dscnt 0x0
	v_fma_f32 v28, -v29, v30, v28
.LBB109_712:                            ;   in Loop: Header=BB109_3 Depth=1
	s_or_b32 exec_lo, exec_lo, s1
	s_barrier_signal -1
	s_barrier_wait -1
	s_and_saveexec_b32 s1, s36
; %bb.713:                              ;   in Loop: Header=BB109_3 Depth=1
	v_xor_b32_e32 v29, 0x80000000, v28
	ds_store_b32 v41, v29
; %bb.714:                              ;   in Loop: Header=BB109_3 Depth=1
	s_or_b32 exec_lo, exec_lo, s1
	s_wait_dscnt 0x0
	s_barrier_signal -1
	s_barrier_wait -1
	s_and_saveexec_b32 s1, s37
	s_cbranch_execz .LBB109_716
; %bb.715:                              ;   in Loop: Header=BB109_3 Depth=1
	ds_load_b32 v29, v40 offset:5696
	ds_load_b32 v30, v41
	s_wait_dscnt 0x0
	v_fma_f32 v28, -v29, v30, v28
.LBB109_716:                            ;   in Loop: Header=BB109_3 Depth=1
	s_or_b32 exec_lo, exec_lo, s1
	s_barrier_signal -1
	s_barrier_wait -1
	s_and_saveexec_b32 s1, s38
; %bb.717:                              ;   in Loop: Header=BB109_3 Depth=1
	v_xor_b32_e32 v29, 0x80000000, v28
	ds_store_b32 v41, v29
; %bb.718:                              ;   in Loop: Header=BB109_3 Depth=1
	s_or_b32 exec_lo, exec_lo, s1
	s_wait_dscnt 0x0
	;; [unrolled: 20-line block ×7, first 2 shown]
	s_barrier_signal -1
	s_barrier_wait -1
	s_barrier_signal -1
	s_barrier_wait -1
	s_and_saveexec_b32 s1, s4
; %bb.739:                              ;   in Loop: Header=BB109_3 Depth=1
	ds_store_b32 v43, v28 offset:8000
; %bb.740:                              ;   in Loop: Header=BB109_3 Depth=1
	s_or_b32 exec_lo, exec_lo, s1
	s_wait_dscnt 0x0
	s_barrier_signal -1
	s_barrier_wait -1
	s_barrier_signal -1
	s_barrier_wait -1
	s_and_saveexec_b32 s1, s11
; %bb.741:                              ;   in Loop: Header=BB109_3 Depth=1
	v_add_nc_u32_e64 v28, 0x1400, 0
	ds_store_2addr_b32 v28, v62, v62 offset0:150 offset1:215
; %bb.742:                              ;   in Loop: Header=BB109_3 Depth=1
	s_or_b32 exec_lo, exec_lo, s1
	v_mov_b32_e32 v28, 0
	s_wait_dscnt 0x0
	s_barrier_signal -1
	s_barrier_wait -1
	global_wb scope:SCOPE_DEV
	s_wait_storecnt 0x0
	global_inv scope:SCOPE_DEV
	s_and_saveexec_b32 s1, s2
	s_cbranch_execz .LBB109_746
; %bb.743:                              ;   in Loop: Header=BB109_3 Depth=1
	ds_load_b32 v28, v33 offset:5712
	ds_load_b32 v29, v32 offset:5976
	s_wait_dscnt 0x0
	v_fma_f32 v28, v28, v29, 0
	s_and_saveexec_b32 s50, s12
	s_cbranch_execz .LBB109_745
; %bb.744:                              ;   in Loop: Header=BB109_3 Depth=1
	ds_load_b32 v29, v34 offset:5968
	ds_load_b32 v30, v7 offset:5980
	s_wait_dscnt 0x0
	v_fmac_f32_e32 v28, v29, v30
.LBB109_745:                            ;   in Loop: Header=BB109_3 Depth=1
	s_or_b32 exec_lo, exec_lo, s50
.LBB109_746:                            ;   in Loop: Header=BB109_3 Depth=1
	s_delay_alu instid0(SALU_CYCLE_1)
	s_or_b32 exec_lo, exec_lo, s1
	s_and_saveexec_b32 s1, s100
; %bb.747:                              ;   in Loop: Header=BB109_3 Depth=1
	s_delay_alu instid0(VALU_DEP_1)
	v_xor_b32_e32 v29, 0x80000000, v28
	ds_store_b32 v5, v29
; %bb.748:                              ;   in Loop: Header=BB109_3 Depth=1
	s_or_b32 exec_lo, exec_lo, s1
	s_wait_loadcnt_dscnt 0x0
	s_barrier_signal -1
	s_barrier_wait -1
	s_and_saveexec_b32 s1, s101
	s_cbranch_execz .LBB109_750
; %bb.749:                              ;   in Loop: Header=BB109_3 Depth=1
	ds_load_b32 v29, v7 offset:5456
	ds_load_b32 v30, v5
	s_wait_dscnt 0x0
	v_fma_f32 v28, -v29, v30, v28
.LBB109_750:                            ;   in Loop: Header=BB109_3 Depth=1
	s_or_b32 exec_lo, exec_lo, s1
	s_barrier_signal -1
	s_barrier_wait -1
	s_and_saveexec_b32 s1, s101
; %bb.751:                              ;   in Loop: Header=BB109_3 Depth=1
	v_xor_b32_e32 v29, 0x80000000, v28
	ds_store_b32 v5, v29
; %bb.752:                              ;   in Loop: Header=BB109_3 Depth=1
	s_or_b32 exec_lo, exec_lo, s1
	s_wait_dscnt 0x0
	s_barrier_signal -1
	s_barrier_wait -1
	s_barrier_signal -1
	s_barrier_wait -1
	s_and_saveexec_b32 s1, s2
; %bb.753:                              ;   in Loop: Header=BB109_3 Depth=1
	ds_store_b32 v36, v28 offset:5968
; %bb.754:                              ;   in Loop: Header=BB109_3 Depth=1
	s_or_b32 exec_lo, exec_lo, s1
	s_wait_dscnt 0x0
	s_barrier_signal -1
	s_barrier_wait -1
	s_barrier_signal -1
	s_barrier_wait -1
	s_and_saveexec_b32 s1, s11
; %bb.755:                              ;   in Loop: Header=BB109_3 Depth=1
	v_add_nc_u32_e64 v28, 0x1400, 0
	ds_store_2addr_b32 v28, v62, v62 offset0:20 offset1:85
; %bb.756:                              ;   in Loop: Header=BB109_3 Depth=1
	s_or_b32 exec_lo, exec_lo, s1
	v_mov_b32_e32 v28, 0
	s_wait_dscnt 0x0
	s_barrier_signal -1
	s_barrier_wait -1
	global_wb scope:SCOPE_DEV
	s_wait_storecnt 0x0
	global_inv scope:SCOPE_DEV
	s_and_saveexec_b32 s1, s3
	s_cbranch_execz .LBB109_762
; %bb.757:                              ;   in Loop: Header=BB109_3 Depth=1
	ds_load_b32 v28, v35 offset:5184
	ds_load_b32 v29, v38 offset:5968
	s_wait_dscnt 0x0
	v_fma_f32 v28, v28, v29, 0
	s_and_saveexec_b32 s50, s13
	s_cbranch_execnz .LBB109_1147
; %bb.758:                              ;   in Loop: Header=BB109_3 Depth=1
	s_or_b32 exec_lo, exec_lo, s50
	s_and_saveexec_b32 s50, s14
	s_cbranch_execnz .LBB109_1148
.LBB109_759:                            ;   in Loop: Header=BB109_3 Depth=1
	s_or_b32 exec_lo, exec_lo, s50
	s_and_saveexec_b32 s50, s2
	s_cbranch_execz .LBB109_761
.LBB109_760:                            ;   in Loop: Header=BB109_3 Depth=1
	ds_load_b32 v29, v34 offset:5952
	ds_load_b32 v30, v7 offset:5980
	s_wait_dscnt 0x0
	v_fmac_f32_e32 v28, v29, v30
.LBB109_761:                            ;   in Loop: Header=BB109_3 Depth=1
	s_or_b32 exec_lo, exec_lo, s50
.LBB109_762:                            ;   in Loop: Header=BB109_3 Depth=1
	s_delay_alu instid0(SALU_CYCLE_1)
	s_or_b32 exec_lo, exec_lo, s1
	s_and_saveexec_b32 s1, s102
; %bb.763:                              ;   in Loop: Header=BB109_3 Depth=1
	s_delay_alu instid0(VALU_DEP_1)
	v_xor_b32_e32 v29, 0x80000000, v28
	ds_store_b32 v37, v29
; %bb.764:                              ;   in Loop: Header=BB109_3 Depth=1
	s_or_b32 exec_lo, exec_lo, s1
	s_wait_loadcnt_dscnt 0x0
	s_barrier_signal -1
	s_barrier_wait -1
	s_and_saveexec_b32 s1, s103
	s_cbranch_execz .LBB109_766
; %bb.765:                              ;   in Loop: Header=BB109_3 Depth=1
	ds_load_b32 v29, v35 offset:4928
	ds_load_b32 v30, v37
	s_wait_dscnt 0x0
	v_fma_f32 v28, -v29, v30, v28
.LBB109_766:                            ;   in Loop: Header=BB109_3 Depth=1
	s_or_b32 exec_lo, exec_lo, s1
	s_barrier_signal -1
	s_barrier_wait -1
	s_and_saveexec_b32 s1, s104
; %bb.767:                              ;   in Loop: Header=BB109_3 Depth=1
	v_xor_b32_e32 v29, 0x80000000, v28
	ds_store_b32 v37, v29
; %bb.768:                              ;   in Loop: Header=BB109_3 Depth=1
	s_or_b32 exec_lo, exec_lo, s1
	s_wait_dscnt 0x0
	s_barrier_signal -1
	s_barrier_wait -1
	s_and_saveexec_b32 s1, vcc_hi
	s_cbranch_execz .LBB109_770
; %bb.769:                              ;   in Loop: Header=BB109_3 Depth=1
	ds_load_b32 v29, v35 offset:4672
	ds_load_b32 v30, v37
	s_wait_dscnt 0x0
	v_fma_f32 v28, -v29, v30, v28
.LBB109_770:                            ;   in Loop: Header=BB109_3 Depth=1
	s_or_b32 exec_lo, exec_lo, s1
	s_barrier_signal -1
	s_barrier_wait -1
	s_and_saveexec_b32 s1, s31
; %bb.771:                              ;   in Loop: Header=BB109_3 Depth=1
	v_xor_b32_e32 v29, 0x80000000, v28
	ds_store_b32 v37, v29
; %bb.772:                              ;   in Loop: Header=BB109_3 Depth=1
	s_or_b32 exec_lo, exec_lo, s1
	s_wait_dscnt 0x0
	s_barrier_signal -1
	s_barrier_wait -1
	s_and_saveexec_b32 s1, s33
	s_cbranch_execz .LBB109_774
; %bb.773:                              ;   in Loop: Header=BB109_3 Depth=1
	ds_load_b32 v29, v7 offset:4416
	ds_load_b32 v30, v37
	s_wait_dscnt 0x0
	v_fma_f32 v28, -v29, v30, v28
.LBB109_774:                            ;   in Loop: Header=BB109_3 Depth=1
	s_or_b32 exec_lo, exec_lo, s1
	s_barrier_signal -1
	s_barrier_wait -1
	s_and_saveexec_b32 s1, s33
; %bb.775:                              ;   in Loop: Header=BB109_3 Depth=1
	v_xor_b32_e32 v29, 0x80000000, v28
	ds_store_b32 v37, v29
; %bb.776:                              ;   in Loop: Header=BB109_3 Depth=1
	s_or_b32 exec_lo, exec_lo, s1
	s_wait_dscnt 0x0
	s_barrier_signal -1
	s_barrier_wait -1
	s_barrier_signal -1
	s_barrier_wait -1
	s_and_saveexec_b32 s1, s3
; %bb.777:                              ;   in Loop: Header=BB109_3 Depth=1
	ds_store_b32 v39, v28 offset:5952
; %bb.778:                              ;   in Loop: Header=BB109_3 Depth=1
	s_or_b32 exec_lo, exec_lo, s1
	s_wait_dscnt 0x0
	s_barrier_signal -1
	s_barrier_wait -1
	s_barrier_signal -1
	s_barrier_wait -1
	s_and_saveexec_b32 s1, s11
; %bb.779:                              ;   in Loop: Header=BB109_3 Depth=1
	v_add_nc_u32_e64 v28, 0x1000, 0
	ds_store_2addr_b32 v28, v62, v62 offset0:146 offset1:211
; %bb.780:                              ;   in Loop: Header=BB109_3 Depth=1
	s_or_b32 exec_lo, exec_lo, s1
	v_mov_b32_e32 v28, 0
	s_wait_dscnt 0x0
	s_barrier_signal -1
	s_barrier_wait -1
	global_wb scope:SCOPE_DEV
	s_wait_storecnt 0x0
	global_inv scope:SCOPE_DEV
	s_and_saveexec_b32 s1, s2
	s_cbranch_execz .LBB109_784
; %bb.781:                              ;   in Loop: Header=BB109_3 Depth=1
	ds_load_b32 v28, v33 offset:4672
	ds_load_b32 v29, v32 offset:4936
	s_wait_dscnt 0x0
	v_fma_f32 v28, v28, v29, 0
	s_and_saveexec_b32 s50, s12
	s_cbranch_execz .LBB109_783
; %bb.782:                              ;   in Loop: Header=BB109_3 Depth=1
	ds_load_b32 v29, v34 offset:4928
	ds_load_b32 v30, v7 offset:4940
	s_wait_dscnt 0x0
	v_fmac_f32_e32 v28, v29, v30
.LBB109_783:                            ;   in Loop: Header=BB109_3 Depth=1
	s_or_b32 exec_lo, exec_lo, s50
.LBB109_784:                            ;   in Loop: Header=BB109_3 Depth=1
	s_delay_alu instid0(SALU_CYCLE_1)
	s_or_b32 exec_lo, exec_lo, s1
	s_and_saveexec_b32 s1, s100
; %bb.785:                              ;   in Loop: Header=BB109_3 Depth=1
	s_delay_alu instid0(VALU_DEP_1)
	v_xor_b32_e32 v29, 0x80000000, v28
	ds_store_b32 v5, v29
; %bb.786:                              ;   in Loop: Header=BB109_3 Depth=1
	s_or_b32 exec_lo, exec_lo, s1
	s_wait_loadcnt_dscnt 0x0
	s_barrier_signal -1
	s_barrier_wait -1
	s_and_saveexec_b32 s1, s101
	s_cbranch_execz .LBB109_788
; %bb.787:                              ;   in Loop: Header=BB109_3 Depth=1
	ds_load_b32 v29, v7 offset:4416
	ds_load_b32 v30, v5
	s_wait_dscnt 0x0
	v_fma_f32 v28, -v29, v30, v28
.LBB109_788:                            ;   in Loop: Header=BB109_3 Depth=1
	s_or_b32 exec_lo, exec_lo, s1
	s_barrier_signal -1
	s_barrier_wait -1
	s_and_saveexec_b32 s1, s101
; %bb.789:                              ;   in Loop: Header=BB109_3 Depth=1
	v_xor_b32_e32 v29, 0x80000000, v28
	ds_store_b32 v5, v29
; %bb.790:                              ;   in Loop: Header=BB109_3 Depth=1
	s_or_b32 exec_lo, exec_lo, s1
	s_wait_dscnt 0x0
	s_barrier_signal -1
	s_barrier_wait -1
	s_barrier_signal -1
	s_barrier_wait -1
	s_and_saveexec_b32 s1, s2
; %bb.791:                              ;   in Loop: Header=BB109_3 Depth=1
	ds_store_b32 v36, v28 offset:4928
; %bb.792:                              ;   in Loop: Header=BB109_3 Depth=1
	s_or_b32 exec_lo, exec_lo, s1
	s_wait_dscnt 0x0
	s_barrier_signal -1
	s_barrier_wait -1
	s_barrier_signal -1
	s_barrier_wait -1
	s_and_saveexec_b32 s1, s11
; %bb.793:                              ;   in Loop: Header=BB109_3 Depth=1
	v_add_nc_u32_e64 v28, 0x1000, 0
	ds_store_2addr_b32 v28, v62, v62 offset0:16 offset1:81
; %bb.794:                              ;   in Loop: Header=BB109_3 Depth=1
	s_or_b32 exec_lo, exec_lo, s1
	v_mov_b32_e32 v28, 0
	s_wait_dscnt 0x0
	s_barrier_signal -1
	s_barrier_wait -1
	global_wb scope:SCOPE_DEV
	s_wait_storecnt 0x0
	global_inv scope:SCOPE_DEV
	s_and_saveexec_b32 s1, s5
	s_cbranch_execz .LBB109_822
; %bb.795:                              ;   in Loop: Header=BB109_3 Depth=1
	ds_load_b32 v28, v44 offset:4096
	ds_load_b32 v29, v47 offset:8000
	s_wait_dscnt 0x0
	v_fma_f32 v28, v28, v29, 0
	s_mov_b32 s50, exec_lo
	v_readlane_b32 s51, v75, 20
	s_and_b32 s51, s50, s51
	s_delay_alu instid0(SALU_CYCLE_1)
	s_mov_b32 exec_lo, s51
	s_cbranch_execz .LBB109_797
; %bb.796:                              ;   in Loop: Header=BB109_3 Depth=1
	ds_load_b32 v29, v44 offset:4352
	ds_load_b32 v30, v47 offset:8004
	s_wait_dscnt 0x0
	v_fmac_f32_e32 v28, v29, v30
.LBB109_797:                            ;   in Loop: Header=BB109_3 Depth=1
	s_or_b32 exec_lo, exec_lo, s50
	s_delay_alu instid0(SALU_CYCLE_1) | instskip(SKIP_2) | instid1(SALU_CYCLE_1)
	s_mov_b32 s50, exec_lo
	v_readlane_b32 s51, v75, 21
	s_and_b32 s51, s50, s51
	s_mov_b32 exec_lo, s51
	s_cbranch_execz .LBB109_799
; %bb.798:                              ;   in Loop: Header=BB109_3 Depth=1
	ds_load_b32 v29, v44 offset:4608
	ds_load_b32 v30, v47 offset:8008
	s_wait_dscnt 0x0
	v_fmac_f32_e32 v28, v29, v30
.LBB109_799:                            ;   in Loop: Header=BB109_3 Depth=1
	s_or_b32 exec_lo, exec_lo, s50
	s_delay_alu instid0(SALU_CYCLE_1) | instskip(SKIP_2) | instid1(SALU_CYCLE_1)
	s_mov_b32 s50, exec_lo
	v_readlane_b32 s51, v75, 22
	s_and_b32 s51, s50, s51
	;; [unrolled: 13-line block ×10, first 2 shown]
	s_mov_b32 exec_lo, s51
	s_cbranch_execnz .LBB109_1149
; %bb.816:                              ;   in Loop: Header=BB109_3 Depth=1
	s_or_b32 exec_lo, exec_lo, s50
	s_and_saveexec_b32 s50, s4
	s_cbranch_execnz .LBB109_1150
.LBB109_817:                            ;   in Loop: Header=BB109_3 Depth=1
	s_or_b32 exec_lo, exec_lo, s50
	s_and_saveexec_b32 s50, s16
	s_cbranch_execnz .LBB109_1151
.LBB109_818:                            ;   in Loop: Header=BB109_3 Depth=1
	s_or_b32 exec_lo, exec_lo, s50
	s_and_saveexec_b32 s50, s18
	s_cbranch_execnz .LBB109_1152
.LBB109_819:                            ;   in Loop: Header=BB109_3 Depth=1
	s_or_b32 exec_lo, exec_lo, s50
	s_and_saveexec_b32 s50, s3
	s_cbranch_execz .LBB109_821
.LBB109_820:                            ;   in Loop: Header=BB109_3 Depth=1
	ds_load_b32 v29, v34 offset:7936
	ds_load_b32 v30, v7 offset:8060
	s_wait_dscnt 0x0
	v_fmac_f32_e32 v28, v29, v30
.LBB109_821:                            ;   in Loop: Header=BB109_3 Depth=1
	s_or_b32 exec_lo, exec_lo, s50
.LBB109_822:                            ;   in Loop: Header=BB109_3 Depth=1
	s_delay_alu instid0(SALU_CYCLE_1) | instskip(NEXT) | instid1(SALU_CYCLE_1)
	s_or_b32 exec_lo, exec_lo, s1
	s_mov_b32 s1, exec_lo
	v_readlane_b32 s50, v77, 3
	s_and_b32 s50, s1, s50
	s_delay_alu instid0(SALU_CYCLE_1)
	s_mov_b32 exec_lo, s50
; %bb.823:                              ;   in Loop: Header=BB109_3 Depth=1
	v_xor_b32_e32 v29, 0x80000000, v28
	ds_store_b32 v45, v29
; %bb.824:                              ;   in Loop: Header=BB109_3 Depth=1
	s_or_b32 exec_lo, exec_lo, s1
	s_wait_loadcnt_dscnt 0x0
	s_barrier_signal -1
	s_barrier_wait -1
	s_mov_b32 s1, exec_lo
	v_readlane_b32 s50, v77, 4
	s_and_b32 s50, s1, s50
	s_delay_alu instid0(SALU_CYCLE_1)
	s_mov_b32 exec_lo, s50
	s_cbranch_execz .LBB109_826
; %bb.825:                              ;   in Loop: Header=BB109_3 Depth=1
	ds_load_b32 v29, v44 offset:3840
	ds_load_b32 v30, v45
	s_wait_dscnt 0x0
	v_fma_f32 v28, -v29, v30, v28
.LBB109_826:                            ;   in Loop: Header=BB109_3 Depth=1
	s_or_b32 exec_lo, exec_lo, s1
	s_barrier_signal -1
	s_barrier_wait -1
	s_mov_b32 s1, exec_lo
	v_readlane_b32 s50, v77, 5
	s_and_b32 s50, s1, s50
	s_delay_alu instid0(SALU_CYCLE_1)
	s_mov_b32 exec_lo, s50
; %bb.827:                              ;   in Loop: Header=BB109_3 Depth=1
	v_xor_b32_e32 v29, 0x80000000, v28
	ds_store_b32 v45, v29
; %bb.828:                              ;   in Loop: Header=BB109_3 Depth=1
	s_or_b32 exec_lo, exec_lo, s1
	s_wait_dscnt 0x0
	s_barrier_signal -1
	s_barrier_wait -1
	s_mov_b32 s1, exec_lo
	v_readlane_b32 s50, v77, 6
	s_and_b32 s50, s1, s50
	s_delay_alu instid0(SALU_CYCLE_1)
	s_mov_b32 exec_lo, s50
	s_cbranch_execz .LBB109_830
; %bb.829:                              ;   in Loop: Header=BB109_3 Depth=1
	ds_load_b32 v29, v44 offset:3584
	ds_load_b32 v30, v45
	s_wait_dscnt 0x0
	v_fma_f32 v28, -v29, v30, v28
.LBB109_830:                            ;   in Loop: Header=BB109_3 Depth=1
	s_or_b32 exec_lo, exec_lo, s1
	s_barrier_signal -1
	s_barrier_wait -1
	s_mov_b32 s1, exec_lo
	v_readlane_b32 s50, v77, 7
	s_and_b32 s50, s1, s50
	s_delay_alu instid0(SALU_CYCLE_1)
	s_mov_b32 exec_lo, s50
; %bb.831:                              ;   in Loop: Header=BB109_3 Depth=1
	v_xor_b32_e32 v29, 0x80000000, v28
	ds_store_b32 v45, v29
; %bb.832:                              ;   in Loop: Header=BB109_3 Depth=1
	s_or_b32 exec_lo, exec_lo, s1
	s_wait_dscnt 0x0
	s_barrier_signal -1
	s_barrier_wait -1
	s_mov_b32 s1, exec_lo
	v_readlane_b32 s50, v77, 8
	s_and_b32 s50, s1, s50
	s_delay_alu instid0(SALU_CYCLE_1)
	s_mov_b32 exec_lo, s50
	s_cbranch_execz .LBB109_834
; %bb.833:                              ;   in Loop: Header=BB109_3 Depth=1
	ds_load_b32 v29, v44 offset:3328
	ds_load_b32 v30, v45
	s_wait_dscnt 0x0
	v_fma_f32 v28, -v29, v30, v28
.LBB109_834:                            ;   in Loop: Header=BB109_3 Depth=1
	s_or_b32 exec_lo, exec_lo, s1
	s_barrier_signal -1
	s_barrier_wait -1
	s_and_saveexec_b32 s1, s54
; %bb.835:                              ;   in Loop: Header=BB109_3 Depth=1
	v_xor_b32_e32 v29, 0x80000000, v28
	ds_store_b32 v45, v29
; %bb.836:                              ;   in Loop: Header=BB109_3 Depth=1
	s_or_b32 exec_lo, exec_lo, s1
	s_wait_dscnt 0x0
	s_barrier_signal -1
	s_barrier_wait -1
	s_and_saveexec_b32 s1, s97
	s_cbranch_execz .LBB109_838
; %bb.837:                              ;   in Loop: Header=BB109_3 Depth=1
	ds_load_b32 v29, v44 offset:3072
	ds_load_b32 v30, v45
	s_wait_dscnt 0x0
	v_fma_f32 v28, -v29, v30, v28
.LBB109_838:                            ;   in Loop: Header=BB109_3 Depth=1
	s_or_b32 exec_lo, exec_lo, s1
	s_barrier_signal -1
	s_barrier_wait -1
	s_and_saveexec_b32 s1, s20
; %bb.839:                              ;   in Loop: Header=BB109_3 Depth=1
	v_xor_b32_e32 v29, 0x80000000, v28
	ds_store_b32 v45, v29
; %bb.840:                              ;   in Loop: Header=BB109_3 Depth=1
	s_or_b32 exec_lo, exec_lo, s1
	s_wait_dscnt 0x0
	s_barrier_signal -1
	s_barrier_wait -1
	s_and_saveexec_b32 s1, s22
	s_cbranch_execz .LBB109_842
; %bb.841:                              ;   in Loop: Header=BB109_3 Depth=1
	ds_load_b32 v29, v44 offset:2816
	ds_load_b32 v30, v45
	s_wait_dscnt 0x0
	v_fma_f32 v28, -v29, v30, v28
.LBB109_842:                            ;   in Loop: Header=BB109_3 Depth=1
	s_or_b32 exec_lo, exec_lo, s1
	s_barrier_signal -1
	s_barrier_wait -1
	s_and_saveexec_b32 s1, s24
; %bb.843:                              ;   in Loop: Header=BB109_3 Depth=1
	v_xor_b32_e32 v29, 0x80000000, v28
	ds_store_b32 v45, v29
; %bb.844:                              ;   in Loop: Header=BB109_3 Depth=1
	s_or_b32 exec_lo, exec_lo, s1
	s_wait_dscnt 0x0
	s_barrier_signal -1
	s_barrier_wait -1
	s_and_saveexec_b32 s1, s26
	s_cbranch_execz .LBB109_846
; %bb.845:                              ;   in Loop: Header=BB109_3 Depth=1
	ds_load_b32 v29, v44 offset:2560
	ds_load_b32 v30, v45
	s_wait_dscnt 0x0
	v_fma_f32 v28, -v29, v30, v28
.LBB109_846:                            ;   in Loop: Header=BB109_3 Depth=1
	s_or_b32 exec_lo, exec_lo, s1
	s_barrier_signal -1
	s_barrier_wait -1
	s_and_saveexec_b32 s1, s28
; %bb.847:                              ;   in Loop: Header=BB109_3 Depth=1
	v_xor_b32_e32 v29, 0x80000000, v28
	ds_store_b32 v45, v29
; %bb.848:                              ;   in Loop: Header=BB109_3 Depth=1
	s_or_b32 exec_lo, exec_lo, s1
	s_wait_dscnt 0x0
	s_barrier_signal -1
	s_barrier_wait -1
	s_and_saveexec_b32 s1, s30
	s_cbranch_execz .LBB109_850
; %bb.849:                              ;   in Loop: Header=BB109_3 Depth=1
	ds_load_b32 v29, v44 offset:2304
	ds_load_b32 v30, v45
	s_wait_dscnt 0x0
	v_fma_f32 v28, -v29, v30, v28
.LBB109_850:                            ;   in Loop: Header=BB109_3 Depth=1
	s_or_b32 exec_lo, exec_lo, s1
	s_barrier_signal -1
	s_barrier_wait -1
	s_and_saveexec_b32 s1, s57
; %bb.851:                              ;   in Loop: Header=BB109_3 Depth=1
	v_xor_b32_e32 v29, 0x80000000, v28
	ds_store_b32 v45, v29
; %bb.852:                              ;   in Loop: Header=BB109_3 Depth=1
	s_or_b32 exec_lo, exec_lo, s1
	s_wait_dscnt 0x0
	s_barrier_signal -1
	s_barrier_wait -1
	s_and_saveexec_b32 s1, s58
	s_cbranch_execz .LBB109_854
; %bb.853:                              ;   in Loop: Header=BB109_3 Depth=1
	ds_load_b32 v29, v44 offset:2048
	ds_load_b32 v30, v45
	s_wait_dscnt 0x0
	v_fma_f32 v28, -v29, v30, v28
.LBB109_854:                            ;   in Loop: Header=BB109_3 Depth=1
	s_or_b32 exec_lo, exec_lo, s1
	s_barrier_signal -1
	s_barrier_wait -1
	s_and_saveexec_b32 s1, s59
; %bb.855:                              ;   in Loop: Header=BB109_3 Depth=1
	v_xor_b32_e32 v29, 0x80000000, v28
	ds_store_b32 v45, v29
; %bb.856:                              ;   in Loop: Header=BB109_3 Depth=1
	s_or_b32 exec_lo, exec_lo, s1
	s_wait_dscnt 0x0
	s_barrier_signal -1
	s_barrier_wait -1
	s_and_saveexec_b32 s1, s60
	s_cbranch_execz .LBB109_858
; %bb.857:                              ;   in Loop: Header=BB109_3 Depth=1
	ds_load_b32 v29, v44 offset:1792
	ds_load_b32 v30, v45
	s_wait_dscnt 0x0
	v_fma_f32 v28, -v29, v30, v28
.LBB109_858:                            ;   in Loop: Header=BB109_3 Depth=1
	s_or_b32 exec_lo, exec_lo, s1
	s_barrier_signal -1
	s_barrier_wait -1
	s_and_saveexec_b32 s1, s61
; %bb.859:                              ;   in Loop: Header=BB109_3 Depth=1
	v_xor_b32_e32 v29, 0x80000000, v28
	ds_store_b32 v45, v29
; %bb.860:                              ;   in Loop: Header=BB109_3 Depth=1
	s_or_b32 exec_lo, exec_lo, s1
	s_wait_dscnt 0x0
	s_barrier_signal -1
	s_barrier_wait -1
	s_and_saveexec_b32 s1, s62
	s_cbranch_execz .LBB109_862
; %bb.861:                              ;   in Loop: Header=BB109_3 Depth=1
	ds_load_b32 v29, v44 offset:1536
	ds_load_b32 v30, v45
	s_wait_dscnt 0x0
	v_fma_f32 v28, -v29, v30, v28
.LBB109_862:                            ;   in Loop: Header=BB109_3 Depth=1
	s_or_b32 exec_lo, exec_lo, s1
	s_barrier_signal -1
	s_barrier_wait -1
	s_and_saveexec_b32 s1, s63
; %bb.863:                              ;   in Loop: Header=BB109_3 Depth=1
	v_xor_b32_e32 v29, 0x80000000, v28
	ds_store_b32 v45, v29
; %bb.864:                              ;   in Loop: Header=BB109_3 Depth=1
	s_or_b32 exec_lo, exec_lo, s1
	s_wait_dscnt 0x0
	s_barrier_signal -1
	s_barrier_wait -1
	s_and_saveexec_b32 s1, s64
	s_cbranch_execz .LBB109_866
; %bb.865:                              ;   in Loop: Header=BB109_3 Depth=1
	ds_load_b32 v29, v44 offset:1280
	ds_load_b32 v30, v45
	s_wait_dscnt 0x0
	v_fma_f32 v28, -v29, v30, v28
.LBB109_866:                            ;   in Loop: Header=BB109_3 Depth=1
	s_or_b32 exec_lo, exec_lo, s1
	s_barrier_signal -1
	s_barrier_wait -1
	s_and_saveexec_b32 s1, s21
; %bb.867:                              ;   in Loop: Header=BB109_3 Depth=1
	v_xor_b32_e32 v29, 0x80000000, v28
	ds_store_b32 v45, v29
; %bb.868:                              ;   in Loop: Header=BB109_3 Depth=1
	s_or_b32 exec_lo, exec_lo, s1
	s_wait_dscnt 0x0
	s_barrier_signal -1
	s_barrier_wait -1
	s_and_saveexec_b32 s1, s23
	s_cbranch_execz .LBB109_870
; %bb.869:                              ;   in Loop: Header=BB109_3 Depth=1
	ds_load_b32 v29, v44 offset:1024
	ds_load_b32 v30, v45
	s_wait_dscnt 0x0
	v_fma_f32 v28, -v29, v30, v28
.LBB109_870:                            ;   in Loop: Header=BB109_3 Depth=1
	s_or_b32 exec_lo, exec_lo, s1
	s_barrier_signal -1
	s_barrier_wait -1
	s_and_saveexec_b32 s1, s25
; %bb.871:                              ;   in Loop: Header=BB109_3 Depth=1
	v_xor_b32_e32 v29, 0x80000000, v28
	ds_store_b32 v45, v29
; %bb.872:                              ;   in Loop: Header=BB109_3 Depth=1
	s_or_b32 exec_lo, exec_lo, s1
	s_wait_dscnt 0x0
	s_barrier_signal -1
	s_barrier_wait -1
	s_and_saveexec_b32 s1, s27
	s_cbranch_execz .LBB109_874
; %bb.873:                              ;   in Loop: Header=BB109_3 Depth=1
	ds_load_b32 v29, v44 offset:768
	ds_load_b32 v30, v45
	s_wait_dscnt 0x0
	v_fma_f32 v28, -v29, v30, v28
.LBB109_874:                            ;   in Loop: Header=BB109_3 Depth=1
	s_or_b32 exec_lo, exec_lo, s1
	s_barrier_signal -1
	s_barrier_wait -1
	s_and_saveexec_b32 s1, s29
; %bb.875:                              ;   in Loop: Header=BB109_3 Depth=1
	v_xor_b32_e32 v29, 0x80000000, v28
	ds_store_b32 v45, v29
; %bb.876:                              ;   in Loop: Header=BB109_3 Depth=1
	s_or_b32 exec_lo, exec_lo, s1
	s_wait_dscnt 0x0
	s_barrier_signal -1
	s_barrier_wait -1
	s_and_saveexec_b32 s1, s65
	s_cbranch_execz .LBB109_878
; %bb.877:                              ;   in Loop: Header=BB109_3 Depth=1
	ds_load_b32 v29, v44 offset:512
	ds_load_b32 v30, v45
	s_wait_dscnt 0x0
	v_fma_f32 v28, -v29, v30, v28
.LBB109_878:                            ;   in Loop: Header=BB109_3 Depth=1
	s_or_b32 exec_lo, exec_lo, s1
	s_barrier_signal -1
	s_barrier_wait -1
	s_and_saveexec_b32 s1, s98
; %bb.879:                              ;   in Loop: Header=BB109_3 Depth=1
	v_xor_b32_e32 v29, 0x80000000, v28
	ds_store_b32 v45, v29
; %bb.880:                              ;   in Loop: Header=BB109_3 Depth=1
	s_or_b32 exec_lo, exec_lo, s1
	s_wait_dscnt 0x0
	s_barrier_signal -1
	s_barrier_wait -1
	s_and_saveexec_b32 s1, s48
	s_cbranch_execz .LBB109_882
; %bb.881:                              ;   in Loop: Header=BB109_3 Depth=1
	ds_load_b32 v29, v7 offset:256
	ds_load_b32 v30, v45
	s_wait_dscnt 0x0
	v_fma_f32 v28, -v29, v30, v28
.LBB109_882:                            ;   in Loop: Header=BB109_3 Depth=1
	s_or_b32 exec_lo, exec_lo, s1
	s_barrier_signal -1
	s_barrier_wait -1
	s_and_saveexec_b32 s1, s48
; %bb.883:                              ;   in Loop: Header=BB109_3 Depth=1
	v_xor_b32_e32 v29, 0x80000000, v28
	ds_store_b32 v45, v29
; %bb.884:                              ;   in Loop: Header=BB109_3 Depth=1
	s_or_b32 exec_lo, exec_lo, s1
	s_wait_dscnt 0x0
	s_barrier_signal -1
	s_barrier_wait -1
	s_barrier_signal -1
	s_barrier_wait -1
	s_and_saveexec_b32 s1, s5
; %bb.885:                              ;   in Loop: Header=BB109_3 Depth=1
	ds_store_b32 v48, v28 offset:7936
; %bb.886:                              ;   in Loop: Header=BB109_3 Depth=1
	s_or_b32 exec_lo, exec_lo, s1
	s_wait_dscnt 0x0
	s_barrier_signal -1
	s_barrier_wait -1
	s_barrier_signal -1
	s_barrier_wait -1
	s_and_saveexec_b32 s1, s11
; %bb.887:                              ;   in Loop: Header=BB109_3 Depth=1
	v_add_nc_u32_e64 v28, 0xc00, 0
	ds_store_2addr_b32 v28, v62, v62 offset0:142 offset1:207
; %bb.888:                              ;   in Loop: Header=BB109_3 Depth=1
	s_or_b32 exec_lo, exec_lo, s1
	v_mov_b32_e32 v28, 0
	s_wait_dscnt 0x0
	s_barrier_signal -1
	s_barrier_wait -1
	global_wb scope:SCOPE_DEV
	s_wait_storecnt 0x0
	global_inv scope:SCOPE_DEV
	s_and_saveexec_b32 s1, s2
	s_cbranch_execz .LBB109_892
; %bb.889:                              ;   in Loop: Header=BB109_3 Depth=1
	ds_load_b32 v28, v33 offset:3632
	ds_load_b32 v29, v32 offset:3896
	s_wait_dscnt 0x0
	v_fma_f32 v28, v28, v29, 0
	s_and_saveexec_b32 s50, s12
	s_cbranch_execz .LBB109_891
; %bb.890:                              ;   in Loop: Header=BB109_3 Depth=1
	ds_load_b32 v29, v34 offset:3888
	ds_load_b32 v30, v7 offset:3900
	s_wait_dscnt 0x0
	v_fmac_f32_e32 v28, v29, v30
.LBB109_891:                            ;   in Loop: Header=BB109_3 Depth=1
	s_or_b32 exec_lo, exec_lo, s50
.LBB109_892:                            ;   in Loop: Header=BB109_3 Depth=1
	s_delay_alu instid0(SALU_CYCLE_1)
	s_or_b32 exec_lo, exec_lo, s1
	s_and_saveexec_b32 s1, s100
; %bb.893:                              ;   in Loop: Header=BB109_3 Depth=1
	s_delay_alu instid0(VALU_DEP_1)
	v_xor_b32_e32 v29, 0x80000000, v28
	ds_store_b32 v5, v29
; %bb.894:                              ;   in Loop: Header=BB109_3 Depth=1
	s_or_b32 exec_lo, exec_lo, s1
	s_wait_loadcnt_dscnt 0x0
	s_barrier_signal -1
	s_barrier_wait -1
	s_and_saveexec_b32 s1, s101
	s_cbranch_execz .LBB109_896
; %bb.895:                              ;   in Loop: Header=BB109_3 Depth=1
	ds_load_b32 v29, v7 offset:3376
	ds_load_b32 v30, v5
	s_wait_dscnt 0x0
	v_fma_f32 v28, -v29, v30, v28
.LBB109_896:                            ;   in Loop: Header=BB109_3 Depth=1
	s_or_b32 exec_lo, exec_lo, s1
	s_barrier_signal -1
	s_barrier_wait -1
	s_and_saveexec_b32 s1, s101
; %bb.897:                              ;   in Loop: Header=BB109_3 Depth=1
	v_xor_b32_e32 v29, 0x80000000, v28
	ds_store_b32 v5, v29
; %bb.898:                              ;   in Loop: Header=BB109_3 Depth=1
	s_or_b32 exec_lo, exec_lo, s1
	s_wait_dscnt 0x0
	s_barrier_signal -1
	s_barrier_wait -1
	s_barrier_signal -1
	s_barrier_wait -1
	s_and_saveexec_b32 s1, s2
; %bb.899:                              ;   in Loop: Header=BB109_3 Depth=1
	ds_store_b32 v36, v28 offset:3888
; %bb.900:                              ;   in Loop: Header=BB109_3 Depth=1
	s_or_b32 exec_lo, exec_lo, s1
	s_wait_dscnt 0x0
	s_barrier_signal -1
	s_barrier_wait -1
	s_barrier_signal -1
	s_barrier_wait -1
	s_and_saveexec_b32 s1, s11
; %bb.901:                              ;   in Loop: Header=BB109_3 Depth=1
	v_add_nc_u32_e64 v28, 0xc00, 0
	ds_store_2addr_b32 v28, v62, v62 offset0:12 offset1:77
; %bb.902:                              ;   in Loop: Header=BB109_3 Depth=1
	s_or_b32 exec_lo, exec_lo, s1
	v_mov_b32_e32 v28, 0
	s_wait_dscnt 0x0
	s_barrier_signal -1
	s_barrier_wait -1
	global_wb scope:SCOPE_DEV
	s_wait_storecnt 0x0
	global_inv scope:SCOPE_DEV
	s_and_saveexec_b32 s1, s3
	s_cbranch_execz .LBB109_908
; %bb.903:                              ;   in Loop: Header=BB109_3 Depth=1
	ds_load_b32 v28, v35 offset:3104
	ds_load_b32 v29, v38 offset:3888
	s_wait_dscnt 0x0
	v_fma_f32 v28, v28, v29, 0
	s_and_saveexec_b32 s50, s13
	s_cbranch_execnz .LBB109_1153
; %bb.904:                              ;   in Loop: Header=BB109_3 Depth=1
	s_or_b32 exec_lo, exec_lo, s50
	s_and_saveexec_b32 s50, s14
	s_cbranch_execnz .LBB109_1154
.LBB109_905:                            ;   in Loop: Header=BB109_3 Depth=1
	s_or_b32 exec_lo, exec_lo, s50
	s_and_saveexec_b32 s50, s2
	s_cbranch_execz .LBB109_907
.LBB109_906:                            ;   in Loop: Header=BB109_3 Depth=1
	ds_load_b32 v29, v34 offset:3872
	ds_load_b32 v30, v7 offset:3900
	s_wait_dscnt 0x0
	v_fmac_f32_e32 v28, v29, v30
.LBB109_907:                            ;   in Loop: Header=BB109_3 Depth=1
	s_or_b32 exec_lo, exec_lo, s50
.LBB109_908:                            ;   in Loop: Header=BB109_3 Depth=1
	s_delay_alu instid0(SALU_CYCLE_1)
	s_or_b32 exec_lo, exec_lo, s1
	s_and_saveexec_b32 s1, s102
; %bb.909:                              ;   in Loop: Header=BB109_3 Depth=1
	s_delay_alu instid0(VALU_DEP_1)
	v_xor_b32_e32 v29, 0x80000000, v28
	ds_store_b32 v37, v29
; %bb.910:                              ;   in Loop: Header=BB109_3 Depth=1
	s_or_b32 exec_lo, exec_lo, s1
	s_wait_loadcnt_dscnt 0x0
	s_barrier_signal -1
	s_barrier_wait -1
	s_and_saveexec_b32 s1, s103
	s_cbranch_execz .LBB109_912
; %bb.911:                              ;   in Loop: Header=BB109_3 Depth=1
	ds_load_b32 v29, v35 offset:2848
	ds_load_b32 v30, v37
	s_wait_dscnt 0x0
	v_fma_f32 v28, -v29, v30, v28
.LBB109_912:                            ;   in Loop: Header=BB109_3 Depth=1
	s_or_b32 exec_lo, exec_lo, s1
	s_barrier_signal -1
	s_barrier_wait -1
	s_and_saveexec_b32 s1, s104
; %bb.913:                              ;   in Loop: Header=BB109_3 Depth=1
	v_xor_b32_e32 v29, 0x80000000, v28
	ds_store_b32 v37, v29
; %bb.914:                              ;   in Loop: Header=BB109_3 Depth=1
	s_or_b32 exec_lo, exec_lo, s1
	s_wait_dscnt 0x0
	s_barrier_signal -1
	s_barrier_wait -1
	s_and_saveexec_b32 s1, vcc_hi
	s_cbranch_execz .LBB109_916
; %bb.915:                              ;   in Loop: Header=BB109_3 Depth=1
	ds_load_b32 v29, v35 offset:2592
	ds_load_b32 v30, v37
	s_wait_dscnt 0x0
	v_fma_f32 v28, -v29, v30, v28
.LBB109_916:                            ;   in Loop: Header=BB109_3 Depth=1
	s_or_b32 exec_lo, exec_lo, s1
	s_barrier_signal -1
	s_barrier_wait -1
	s_and_saveexec_b32 s1, s31
; %bb.917:                              ;   in Loop: Header=BB109_3 Depth=1
	v_xor_b32_e32 v29, 0x80000000, v28
	ds_store_b32 v37, v29
; %bb.918:                              ;   in Loop: Header=BB109_3 Depth=1
	s_or_b32 exec_lo, exec_lo, s1
	s_wait_dscnt 0x0
	s_barrier_signal -1
	s_barrier_wait -1
	s_and_saveexec_b32 s1, s33
	s_cbranch_execz .LBB109_920
; %bb.919:                              ;   in Loop: Header=BB109_3 Depth=1
	ds_load_b32 v29, v7 offset:2336
	ds_load_b32 v30, v37
	s_wait_dscnt 0x0
	v_fma_f32 v28, -v29, v30, v28
.LBB109_920:                            ;   in Loop: Header=BB109_3 Depth=1
	s_or_b32 exec_lo, exec_lo, s1
	s_barrier_signal -1
	s_barrier_wait -1
	s_and_saveexec_b32 s1, s33
; %bb.921:                              ;   in Loop: Header=BB109_3 Depth=1
	v_xor_b32_e32 v29, 0x80000000, v28
	ds_store_b32 v37, v29
; %bb.922:                              ;   in Loop: Header=BB109_3 Depth=1
	s_or_b32 exec_lo, exec_lo, s1
	s_wait_dscnt 0x0
	s_barrier_signal -1
	s_barrier_wait -1
	s_barrier_signal -1
	s_barrier_wait -1
	s_and_saveexec_b32 s1, s3
; %bb.923:                              ;   in Loop: Header=BB109_3 Depth=1
	ds_store_b32 v39, v28 offset:3872
; %bb.924:                              ;   in Loop: Header=BB109_3 Depth=1
	s_or_b32 exec_lo, exec_lo, s1
	s_wait_dscnt 0x0
	s_barrier_signal -1
	s_barrier_wait -1
	s_barrier_signal -1
	s_barrier_wait -1
	s_and_saveexec_b32 s1, s11
; %bb.925:                              ;   in Loop: Header=BB109_3 Depth=1
	v_add_nc_u32_e64 v28, 0x800, 0
	ds_store_2addr_b32 v28, v62, v62 offset0:138 offset1:203
; %bb.926:                              ;   in Loop: Header=BB109_3 Depth=1
	s_or_b32 exec_lo, exec_lo, s1
	v_mov_b32_e32 v28, 0
	s_wait_dscnt 0x0
	s_barrier_signal -1
	s_barrier_wait -1
	global_wb scope:SCOPE_DEV
	s_wait_storecnt 0x0
	global_inv scope:SCOPE_DEV
	s_and_saveexec_b32 s1, s2
	s_cbranch_execz .LBB109_930
; %bb.927:                              ;   in Loop: Header=BB109_3 Depth=1
	ds_load_b32 v28, v33 offset:2592
	ds_load_b32 v29, v32 offset:2856
	s_wait_dscnt 0x0
	v_fma_f32 v28, v28, v29, 0
	s_and_saveexec_b32 s50, s12
	s_cbranch_execz .LBB109_929
; %bb.928:                              ;   in Loop: Header=BB109_3 Depth=1
	ds_load_b32 v29, v34 offset:2848
	ds_load_b32 v30, v7 offset:2860
	s_wait_dscnt 0x0
	v_fmac_f32_e32 v28, v29, v30
.LBB109_929:                            ;   in Loop: Header=BB109_3 Depth=1
	s_or_b32 exec_lo, exec_lo, s50
.LBB109_930:                            ;   in Loop: Header=BB109_3 Depth=1
	s_delay_alu instid0(SALU_CYCLE_1)
	s_or_b32 exec_lo, exec_lo, s1
	s_and_saveexec_b32 s1, s100
; %bb.931:                              ;   in Loop: Header=BB109_3 Depth=1
	s_delay_alu instid0(VALU_DEP_1)
	v_xor_b32_e32 v29, 0x80000000, v28
	ds_store_b32 v5, v29
; %bb.932:                              ;   in Loop: Header=BB109_3 Depth=1
	s_or_b32 exec_lo, exec_lo, s1
	s_wait_loadcnt_dscnt 0x0
	s_barrier_signal -1
	s_barrier_wait -1
	s_and_saveexec_b32 s1, s101
	s_cbranch_execz .LBB109_934
; %bb.933:                              ;   in Loop: Header=BB109_3 Depth=1
	ds_load_b32 v29, v7 offset:2336
	ds_load_b32 v30, v5
	s_wait_dscnt 0x0
	v_fma_f32 v28, -v29, v30, v28
.LBB109_934:                            ;   in Loop: Header=BB109_3 Depth=1
	s_or_b32 exec_lo, exec_lo, s1
	s_barrier_signal -1
	s_barrier_wait -1
	s_and_saveexec_b32 s1, s101
; %bb.935:                              ;   in Loop: Header=BB109_3 Depth=1
	v_xor_b32_e32 v29, 0x80000000, v28
	ds_store_b32 v5, v29
; %bb.936:                              ;   in Loop: Header=BB109_3 Depth=1
	s_or_b32 exec_lo, exec_lo, s1
	s_wait_dscnt 0x0
	s_barrier_signal -1
	s_barrier_wait -1
	s_barrier_signal -1
	s_barrier_wait -1
	s_and_saveexec_b32 s1, s2
; %bb.937:                              ;   in Loop: Header=BB109_3 Depth=1
	ds_store_b32 v36, v28 offset:2848
; %bb.938:                              ;   in Loop: Header=BB109_3 Depth=1
	s_or_b32 exec_lo, exec_lo, s1
	s_wait_dscnt 0x0
	s_barrier_signal -1
	s_barrier_wait -1
	s_barrier_signal -1
	s_barrier_wait -1
	s_and_saveexec_b32 s1, s11
; %bb.939:                              ;   in Loop: Header=BB109_3 Depth=1
	v_add_nc_u32_e64 v28, 0x800, 0
	ds_store_2addr_b32 v28, v62, v62 offset0:8 offset1:73
; %bb.940:                              ;   in Loop: Header=BB109_3 Depth=1
	s_or_b32 exec_lo, exec_lo, s1
	v_mov_b32_e32 v28, 0
	s_wait_dscnt 0x0
	s_barrier_signal -1
	s_barrier_wait -1
	global_wb scope:SCOPE_DEV
	s_wait_storecnt 0x0
	global_inv scope:SCOPE_DEV
	s_and_saveexec_b32 s1, s4
	s_cbranch_execz .LBB109_950
; %bb.941:                              ;   in Loop: Header=BB109_3 Depth=1
	ds_load_b32 v28, v40 offset:2048
	ds_load_b32 v29, v42 offset:3872
	s_wait_dscnt 0x0
	v_fma_f32 v28, v28, v29, 0
	s_and_saveexec_b32 s50, s15
	s_cbranch_execnz .LBB109_1155
; %bb.942:                              ;   in Loop: Header=BB109_3 Depth=1
	s_or_b32 exec_lo, exec_lo, s50
	s_and_saveexec_b32 s50, s16
	s_cbranch_execnz .LBB109_1156
.LBB109_943:                            ;   in Loop: Header=BB109_3 Depth=1
	s_or_b32 exec_lo, exec_lo, s50
	s_and_saveexec_b32 s50, s17
	s_cbranch_execnz .LBB109_1157
.LBB109_944:                            ;   in Loop: Header=BB109_3 Depth=1
	s_or_b32 exec_lo, exec_lo, s50
	s_and_saveexec_b32 s50, s18
	s_cbranch_execnz .LBB109_1158
.LBB109_945:                            ;   in Loop: Header=BB109_3 Depth=1
	s_or_b32 exec_lo, exec_lo, s50
	s_and_saveexec_b32 s50, s19
	s_cbranch_execnz .LBB109_1159
.LBB109_946:                            ;   in Loop: Header=BB109_3 Depth=1
	s_or_b32 exec_lo, exec_lo, s50
	s_and_saveexec_b32 s50, s3
	s_cbranch_execnz .LBB109_1160
.LBB109_947:                            ;   in Loop: Header=BB109_3 Depth=1
	s_or_b32 exec_lo, exec_lo, s50
	s_and_saveexec_b32 s50, s14
	s_cbranch_execz .LBB109_949
.LBB109_948:                            ;   in Loop: Header=BB109_3 Depth=1
	ds_load_b32 v29, v34 offset:3840
	ds_load_b32 v30, v7 offset:3900
	s_wait_dscnt 0x0
	v_fmac_f32_e32 v28, v29, v30
.LBB109_949:                            ;   in Loop: Header=BB109_3 Depth=1
	s_or_b32 exec_lo, exec_lo, s50
.LBB109_950:                            ;   in Loop: Header=BB109_3 Depth=1
	s_delay_alu instid0(SALU_CYCLE_1)
	s_or_b32 exec_lo, exec_lo, s1
	s_and_saveexec_b32 s1, s34
; %bb.951:                              ;   in Loop: Header=BB109_3 Depth=1
	s_delay_alu instid0(VALU_DEP_1)
	v_xor_b32_e32 v29, 0x80000000, v28
	ds_store_b32 v41, v29
; %bb.952:                              ;   in Loop: Header=BB109_3 Depth=1
	s_or_b32 exec_lo, exec_lo, s1
	s_wait_loadcnt_dscnt 0x0
	s_barrier_signal -1
	s_barrier_wait -1
	s_and_saveexec_b32 s1, s35
	s_cbranch_execz .LBB109_954
; %bb.953:                              ;   in Loop: Header=BB109_3 Depth=1
	ds_load_b32 v29, v40 offset:1792
	ds_load_b32 v30, v41
	s_wait_dscnt 0x0
	v_fma_f32 v28, -v29, v30, v28
.LBB109_954:                            ;   in Loop: Header=BB109_3 Depth=1
	s_or_b32 exec_lo, exec_lo, s1
	s_barrier_signal -1
	s_barrier_wait -1
	s_and_saveexec_b32 s1, s36
; %bb.955:                              ;   in Loop: Header=BB109_3 Depth=1
	v_xor_b32_e32 v29, 0x80000000, v28
	ds_store_b32 v41, v29
; %bb.956:                              ;   in Loop: Header=BB109_3 Depth=1
	s_or_b32 exec_lo, exec_lo, s1
	s_wait_dscnt 0x0
	s_barrier_signal -1
	s_barrier_wait -1
	s_and_saveexec_b32 s1, s37
	s_cbranch_execz .LBB109_958
; %bb.957:                              ;   in Loop: Header=BB109_3 Depth=1
	ds_load_b32 v29, v40 offset:1536
	ds_load_b32 v30, v41
	s_wait_dscnt 0x0
	v_fma_f32 v28, -v29, v30, v28
.LBB109_958:                            ;   in Loop: Header=BB109_3 Depth=1
	s_or_b32 exec_lo, exec_lo, s1
	s_barrier_signal -1
	s_barrier_wait -1
	s_and_saveexec_b32 s1, s38
; %bb.959:                              ;   in Loop: Header=BB109_3 Depth=1
	v_xor_b32_e32 v29, 0x80000000, v28
	ds_store_b32 v41, v29
; %bb.960:                              ;   in Loop: Header=BB109_3 Depth=1
	s_or_b32 exec_lo, exec_lo, s1
	s_wait_dscnt 0x0
	;; [unrolled: 20-line block ×7, first 2 shown]
	s_barrier_signal -1
	s_barrier_wait -1
	s_barrier_signal -1
	s_barrier_wait -1
	s_and_saveexec_b32 s1, s4
; %bb.981:                              ;   in Loop: Header=BB109_3 Depth=1
	ds_store_b32 v43, v28 offset:3840
; %bb.982:                              ;   in Loop: Header=BB109_3 Depth=1
	s_or_b32 exec_lo, exec_lo, s1
	s_wait_dscnt 0x0
	s_barrier_signal -1
	s_barrier_wait -1
	s_barrier_signal -1
	s_barrier_wait -1
	s_and_saveexec_b32 s1, s11
; %bb.983:                              ;   in Loop: Header=BB109_3 Depth=1
	v_add_nc_u32_e64 v28, 0x400, 0
	ds_store_2addr_b32 v28, v62, v62 offset0:134 offset1:199
; %bb.984:                              ;   in Loop: Header=BB109_3 Depth=1
	s_or_b32 exec_lo, exec_lo, s1
	v_mov_b32_e32 v28, 0
	s_wait_dscnt 0x0
	s_barrier_signal -1
	s_barrier_wait -1
	global_wb scope:SCOPE_DEV
	s_wait_storecnt 0x0
	global_inv scope:SCOPE_DEV
	s_and_saveexec_b32 s1, s2
	s_cbranch_execz .LBB109_988
; %bb.985:                              ;   in Loop: Header=BB109_3 Depth=1
	ds_load_b32 v28, v33 offset:1552
	ds_load_b32 v29, v32 offset:1816
	s_wait_dscnt 0x0
	v_fma_f32 v28, v28, v29, 0
	s_and_saveexec_b32 s50, s12
	s_cbranch_execz .LBB109_987
; %bb.986:                              ;   in Loop: Header=BB109_3 Depth=1
	ds_load_b32 v29, v34 offset:1808
	ds_load_b32 v30, v7 offset:1820
	s_wait_dscnt 0x0
	v_fmac_f32_e32 v28, v29, v30
.LBB109_987:                            ;   in Loop: Header=BB109_3 Depth=1
	s_or_b32 exec_lo, exec_lo, s50
.LBB109_988:                            ;   in Loop: Header=BB109_3 Depth=1
	s_delay_alu instid0(SALU_CYCLE_1)
	s_or_b32 exec_lo, exec_lo, s1
	s_and_saveexec_b32 s1, s100
; %bb.989:                              ;   in Loop: Header=BB109_3 Depth=1
	s_delay_alu instid0(VALU_DEP_1)
	v_xor_b32_e32 v29, 0x80000000, v28
	ds_store_b32 v5, v29
; %bb.990:                              ;   in Loop: Header=BB109_3 Depth=1
	s_or_b32 exec_lo, exec_lo, s1
	s_wait_loadcnt_dscnt 0x0
	s_barrier_signal -1
	s_barrier_wait -1
	s_and_saveexec_b32 s1, s101
	s_cbranch_execz .LBB109_992
; %bb.991:                              ;   in Loop: Header=BB109_3 Depth=1
	ds_load_b32 v29, v7 offset:1296
	ds_load_b32 v30, v5
	s_wait_dscnt 0x0
	v_fma_f32 v28, -v29, v30, v28
.LBB109_992:                            ;   in Loop: Header=BB109_3 Depth=1
	s_or_b32 exec_lo, exec_lo, s1
	s_barrier_signal -1
	s_barrier_wait -1
	s_and_saveexec_b32 s1, s101
; %bb.993:                              ;   in Loop: Header=BB109_3 Depth=1
	v_xor_b32_e32 v29, 0x80000000, v28
	ds_store_b32 v5, v29
; %bb.994:                              ;   in Loop: Header=BB109_3 Depth=1
	s_or_b32 exec_lo, exec_lo, s1
	s_wait_dscnt 0x0
	s_barrier_signal -1
	s_barrier_wait -1
	s_barrier_signal -1
	s_barrier_wait -1
	s_and_saveexec_b32 s1, s2
; %bb.995:                              ;   in Loop: Header=BB109_3 Depth=1
	ds_store_b32 v36, v28 offset:1808
; %bb.996:                              ;   in Loop: Header=BB109_3 Depth=1
	s_or_b32 exec_lo, exec_lo, s1
	s_wait_dscnt 0x0
	s_barrier_signal -1
	s_barrier_wait -1
	s_barrier_signal -1
	s_barrier_wait -1
	s_and_saveexec_b32 s1, s11
; %bb.997:                              ;   in Loop: Header=BB109_3 Depth=1
	v_add_nc_u32_e64 v28, 0x400, 0
	ds_store_2addr_b32 v28, v62, v62 offset0:4 offset1:69
; %bb.998:                              ;   in Loop: Header=BB109_3 Depth=1
	s_or_b32 exec_lo, exec_lo, s1
	v_mov_b32_e32 v28, 0
	s_wait_dscnt 0x0
	s_barrier_signal -1
	s_barrier_wait -1
	global_wb scope:SCOPE_DEV
	s_wait_storecnt 0x0
	global_inv scope:SCOPE_DEV
	s_and_saveexec_b32 s1, s3
	s_cbranch_execz .LBB109_1004
; %bb.999:                              ;   in Loop: Header=BB109_3 Depth=1
	ds_load_b32 v28, v35 offset:1024
	ds_load_b32 v29, v38 offset:1808
	s_wait_dscnt 0x0
	v_fma_f32 v28, v28, v29, 0
	s_and_saveexec_b32 s50, s13
	s_cbranch_execnz .LBB109_1161
; %bb.1000:                             ;   in Loop: Header=BB109_3 Depth=1
	s_or_b32 exec_lo, exec_lo, s50
	s_and_saveexec_b32 s50, s14
	s_cbranch_execnz .LBB109_1162
.LBB109_1001:                           ;   in Loop: Header=BB109_3 Depth=1
	s_or_b32 exec_lo, exec_lo, s50
	s_and_saveexec_b32 s50, s2
	s_cbranch_execz .LBB109_1003
.LBB109_1002:                           ;   in Loop: Header=BB109_3 Depth=1
	ds_load_b32 v29, v34 offset:1792
	ds_load_b32 v30, v7 offset:1820
	s_wait_dscnt 0x0
	v_fmac_f32_e32 v28, v29, v30
.LBB109_1003:                           ;   in Loop: Header=BB109_3 Depth=1
	s_or_b32 exec_lo, exec_lo, s50
.LBB109_1004:                           ;   in Loop: Header=BB109_3 Depth=1
	s_delay_alu instid0(SALU_CYCLE_1)
	s_or_b32 exec_lo, exec_lo, s1
	s_and_saveexec_b32 s1, s102
; %bb.1005:                             ;   in Loop: Header=BB109_3 Depth=1
	s_delay_alu instid0(VALU_DEP_1)
	v_xor_b32_e32 v29, 0x80000000, v28
	ds_store_b32 v37, v29
; %bb.1006:                             ;   in Loop: Header=BB109_3 Depth=1
	s_or_b32 exec_lo, exec_lo, s1
	s_wait_loadcnt_dscnt 0x0
	s_barrier_signal -1
	s_barrier_wait -1
	s_and_saveexec_b32 s1, s103
	s_cbranch_execz .LBB109_1008
; %bb.1007:                             ;   in Loop: Header=BB109_3 Depth=1
	ds_load_b32 v29, v35 offset:768
	ds_load_b32 v30, v37
	s_wait_dscnt 0x0
	v_fma_f32 v28, -v29, v30, v28
.LBB109_1008:                           ;   in Loop: Header=BB109_3 Depth=1
	s_or_b32 exec_lo, exec_lo, s1
	s_barrier_signal -1
	s_barrier_wait -1
	s_and_saveexec_b32 s1, s104
; %bb.1009:                             ;   in Loop: Header=BB109_3 Depth=1
	v_xor_b32_e32 v29, 0x80000000, v28
	ds_store_b32 v37, v29
; %bb.1010:                             ;   in Loop: Header=BB109_3 Depth=1
	s_or_b32 exec_lo, exec_lo, s1
	s_wait_dscnt 0x0
	s_barrier_signal -1
	s_barrier_wait -1
	s_and_saveexec_b32 s1, vcc_hi
	s_cbranch_execz .LBB109_1012
; %bb.1011:                             ;   in Loop: Header=BB109_3 Depth=1
	ds_load_b32 v29, v35 offset:512
	ds_load_b32 v30, v37
	s_wait_dscnt 0x0
	v_fma_f32 v28, -v29, v30, v28
.LBB109_1012:                           ;   in Loop: Header=BB109_3 Depth=1
	s_or_b32 exec_lo, exec_lo, s1
	s_barrier_signal -1
	s_barrier_wait -1
	s_and_saveexec_b32 s1, s31
; %bb.1013:                             ;   in Loop: Header=BB109_3 Depth=1
	v_xor_b32_e32 v29, 0x80000000, v28
	ds_store_b32 v37, v29
; %bb.1014:                             ;   in Loop: Header=BB109_3 Depth=1
	s_or_b32 exec_lo, exec_lo, s1
	s_wait_dscnt 0x0
	s_barrier_signal -1
	s_barrier_wait -1
	s_and_saveexec_b32 s1, s33
	s_cbranch_execz .LBB109_1016
; %bb.1015:                             ;   in Loop: Header=BB109_3 Depth=1
	ds_load_b32 v29, v7 offset:256
	ds_load_b32 v30, v37
	s_wait_dscnt 0x0
	v_fma_f32 v28, -v29, v30, v28
.LBB109_1016:                           ;   in Loop: Header=BB109_3 Depth=1
	s_or_b32 exec_lo, exec_lo, s1
	s_barrier_signal -1
	s_barrier_wait -1
	s_and_saveexec_b32 s1, s33
; %bb.1017:                             ;   in Loop: Header=BB109_3 Depth=1
	v_xor_b32_e32 v29, 0x80000000, v28
	ds_store_b32 v37, v29
; %bb.1018:                             ;   in Loop: Header=BB109_3 Depth=1
	s_or_b32 exec_lo, exec_lo, s1
	s_wait_dscnt 0x0
	s_barrier_signal -1
	s_barrier_wait -1
	s_barrier_signal -1
	s_barrier_wait -1
	s_and_saveexec_b32 s1, s3
; %bb.1019:                             ;   in Loop: Header=BB109_3 Depth=1
	ds_store_b32 v39, v28 offset:1792
; %bb.1020:                             ;   in Loop: Header=BB109_3 Depth=1
	s_or_b32 exec_lo, exec_lo, s1
	s_wait_dscnt 0x0
	s_barrier_signal -1
	s_barrier_wait -1
	s_barrier_signal -1
	s_barrier_wait -1
	s_and_saveexec_b32 s1, s11
; %bb.1021:                             ;   in Loop: Header=BB109_3 Depth=1
	ds_store_2addr_b32 v7, v62, v62 offset0:130 offset1:195
; %bb.1022:                             ;   in Loop: Header=BB109_3 Depth=1
	s_or_b32 exec_lo, exec_lo, s1
	v_mov_b32_e32 v28, 0
	s_wait_dscnt 0x0
	s_barrier_signal -1
	s_barrier_wait -1
	global_wb scope:SCOPE_DEV
	s_wait_storecnt 0x0
	global_inv scope:SCOPE_DEV
	s_and_saveexec_b32 s1, s2
	s_cbranch_execz .LBB109_1026
; %bb.1023:                             ;   in Loop: Header=BB109_3 Depth=1
	ds_load_b32 v28, v33 offset:512
	ds_load_b32 v29, v32 offset:776
	s_wait_dscnt 0x0
	v_fma_f32 v28, v28, v29, 0
	s_and_saveexec_b32 s50, s12
	s_cbranch_execz .LBB109_1025
; %bb.1024:                             ;   in Loop: Header=BB109_3 Depth=1
	ds_load_b32 v29, v34 offset:768
	ds_load_b32 v30, v7 offset:780
	s_wait_dscnt 0x0
	v_fmac_f32_e32 v28, v29, v30
.LBB109_1025:                           ;   in Loop: Header=BB109_3 Depth=1
	s_or_b32 exec_lo, exec_lo, s50
.LBB109_1026:                           ;   in Loop: Header=BB109_3 Depth=1
	s_delay_alu instid0(SALU_CYCLE_1)
	s_or_b32 exec_lo, exec_lo, s1
	s_and_saveexec_b32 s1, s100
; %bb.1027:                             ;   in Loop: Header=BB109_3 Depth=1
	s_delay_alu instid0(VALU_DEP_1)
	v_xor_b32_e32 v29, 0x80000000, v28
	ds_store_b32 v5, v29
; %bb.1028:                             ;   in Loop: Header=BB109_3 Depth=1
	s_or_b32 exec_lo, exec_lo, s1
	s_wait_loadcnt_dscnt 0x0
	s_barrier_signal -1
	s_barrier_wait -1
	s_and_saveexec_b32 s1, s101
	s_cbranch_execz .LBB109_1030
; %bb.1029:                             ;   in Loop: Header=BB109_3 Depth=1
	ds_load_b32 v29, v7 offset:256
	ds_load_b32 v30, v5
	s_wait_dscnt 0x0
	v_fma_f32 v28, -v29, v30, v28
.LBB109_1030:                           ;   in Loop: Header=BB109_3 Depth=1
	s_or_b32 exec_lo, exec_lo, s1
	s_barrier_signal -1
	s_barrier_wait -1
	s_and_saveexec_b32 s1, s101
; %bb.1031:                             ;   in Loop: Header=BB109_3 Depth=1
	v_xor_b32_e32 v29, 0x80000000, v28
	ds_store_b32 v5, v29
; %bb.1032:                             ;   in Loop: Header=BB109_3 Depth=1
	s_or_b32 exec_lo, exec_lo, s1
	s_wait_dscnt 0x0
	s_barrier_signal -1
	s_barrier_wait -1
	s_barrier_signal -1
	s_barrier_wait -1
	s_and_saveexec_b32 s1, s2
; %bb.1033:                             ;   in Loop: Header=BB109_3 Depth=1
	ds_store_b32 v36, v28 offset:768
; %bb.1034:                             ;   in Loop: Header=BB109_3 Depth=1
	s_or_b32 exec_lo, exec_lo, s1
	s_wait_dscnt 0x0
	s_barrier_signal -1
	s_barrier_wait -1
	s_barrier_signal -1
	s_barrier_wait -1
	s_and_saveexec_b32 s1, s11
; %bb.1035:                             ;   in Loop: Header=BB109_3 Depth=1
	ds_store_2addr_b32 v7, v62, v62 offset1:65
; %bb.1036:                             ;   in Loop: Header=BB109_3 Depth=1
	s_or_b32 exec_lo, exec_lo, s1
.LBB109_1037:                           ;   in Loop: Header=BB109_3 Depth=1
	v_add_nc_u64_e32 v[26:27], s[74:75], v[26:27]
	v_mov_b32_e32 v68, 0
	s_wait_dscnt 0x0
	s_barrier_signal -1
	s_barrier_wait -1
	s_and_saveexec_b32 s1, s10
	s_cbranch_execz .LBB109_1039
; %bb.1038:                             ;   in Loop: Header=BB109_3 Depth=1
	v_lshl_add_u64 v[28:29], v[0:1], 2, v[26:27]
	v_readlane_b32 s50, v77, 1
	flat_load_b32 v28, v[28:29]
	s_wait_loadcnt_dscnt 0x0
	v_mul_f32_e64 v68, v28, -s50
.LBB109_1039:                           ;   in Loop: Header=BB109_3 Depth=1
	s_or_b32 exec_lo, exec_lo, s1
	s_delay_alu instid0(SALU_CYCLE_1)
	s_and_not1_b32 vcc_lo, exec_lo, s49
	s_cbranch_vccnz .LBB109_1065
; %bb.1040:                             ;   in Loop: Header=BB109_3 Depth=1
	v_lshl_add_u64 v[24:25], v[8:9], 2, v[24:25]
	v_mov_b32_e32 v69, -1
	s_lshl_b64 s[50:51], s[66:67], 2
	s_mov_b32 s1, 0
	s_add_nc_u64 s[92:93], s[80:81], s[50:51]
	s_branch .LBB109_1043
.LBB109_1041:                           ;   in Loop: Header=BB109_1043 Depth=2
	s_wait_xcnt 0x0
	ds_load_b32 v28, v53 offset:192
	s_wait_loadcnt_dscnt 0x0
	v_fmac_f32_e32 v68, v30, v28
.LBB109_1042:                           ;   in Loop: Header=BB109_1043 Depth=2
	s_or_b32 exec_lo, exec_lo, s50
	s_add_co_i32 s1, s1, 1
	s_delay_alu instid0(SALU_CYCLE_1)
	s_cmp_eq_u32 s1, s94
	s_cbranch_scc1 .LBB109_1065
.LBB109_1043:                           ;   Parent Loop BB109_3 Depth=1
                                        ; =>  This Loop Header: Depth=2
                                        ;       Child Loop BB109_1045 Depth 3
	v_cmp_gt_i32_e32 vcc_lo, s1, v69
	s_and_b32 s51, s55, vcc_lo
	s_delay_alu instid0(SALU_CYCLE_1)
	s_and_saveexec_b32 s50, s51
	s_cbranch_execz .LBB109_1046
; %bb.1044:                             ;   in Loop: Header=BB109_1043 Depth=2
	global_load_b32 v69, v7, s[92:93]
	s_wait_loadcnt 0x0
	v_cmp_le_i32_e32 vcc_lo, s1, v69
	s_cbranch_vccnz .LBB109_1046
.LBB109_1045:                           ;   Parent Loop BB109_3 Depth=1
                                        ;     Parent Loop BB109_1043 Depth=2
                                        ; =>    This Inner Loop Header: Depth=3
	global_wb scope:SCOPE_DEV
	s_wait_storecnt 0x0
	global_inv scope:SCOPE_DEV
	global_load_b32 v69, v7, s[92:93]
	s_wait_loadcnt 0x0
	v_cmp_gt_i32_e32 vcc_lo, s1, v69
	s_cbranch_vccnz .LBB109_1045
.LBB109_1046:                           ;   in Loop: Header=BB109_1043 Depth=2
	s_or_b32 exec_lo, exec_lo, s50
	s_sub_co_i32 s50, s95, s1
	global_wb scope:SCOPE_DEV
	s_wait_storecnt 0x0
	global_inv scope:SCOPE_DEV
	s_lshl_b32 s51, s50, 6
	s_wait_loadcnt 0x0
	s_barrier_signal -1
	s_barrier_wait -1
	s_and_saveexec_b32 s52, s56
	s_cbranch_execz .LBB109_1050
; %bb.1047:                             ;   in Loop: Header=BB109_1043 Depth=2
	s_ashr_i32 s53, s51, 31
	s_delay_alu instid0(SALU_CYCLE_1) | instskip(SKIP_2) | instid1(VALU_DEP_1)
	v_dual_mov_b32 v30, 0 :: v_dual_mov_b32 v29, s53
	v_or_b32_e32 v28, s51, v6
	s_mov_b32 s53, exec_lo
	v_cmpx_gt_i64_e64 s[76:77], v[28:29]
	s_cbranch_execz .LBB109_1049
; %bb.1048:                             ;   in Loop: Header=BB109_1043 Depth=2
	v_mul_u64_e32 v[28:29], s[82:83], v[28:29]
	s_delay_alu instid0(VALU_DEP_1)
	v_lshl_add_u64 v[28:29], v[28:29], 2, v[26:27]
	flat_load_b32 v30, v[28:29]
.LBB109_1049:                           ;   in Loop: Header=BB109_1043 Depth=2
	s_wait_xcnt 0x0
	s_or_b32 exec_lo, exec_lo, s53
	s_wait_loadcnt_dscnt 0x0
	ds_store_b32 v52, v30
.LBB109_1050:                           ;   in Loop: Header=BB109_1043 Depth=2
	s_or_b32 exec_lo, exec_lo, s52
	v_add_nc_u32_e32 v30, s51, v2
	s_cmp_lg_u32 s50, s8
	s_wait_dscnt 0x0
	s_cselect_b32 s51, -1, 0
	s_barrier_signal -1
	v_ashrrev_i32_e32 v31, 31, v30
	v_cmp_gt_i32_e32 vcc_lo, s76, v30
	s_barrier_wait -1
	s_delay_alu instid0(VALU_DEP_2) | instskip(SKIP_2) | instid1(VALU_DEP_2)
	v_mul_u64_e32 v[28:29], s[78:79], v[30:31]
	v_cndmask_b32_e64 v31, 0, 1, s51
	s_and_b32 s52, s0, vcc_lo
	v_lshl_add_u64 v[28:29], v[28:29], 2, v[24:25]
	s_and_saveexec_b32 s50, s52
	s_cbranch_execz .LBB109_1054
; %bb.1051:                             ;   in Loop: Header=BB109_1043 Depth=2
	v_mov_b32_e32 v70, v64
	s_and_not1_b32 vcc_lo, exec_lo, s51
	s_cbranch_vccnz .LBB109_1053
; %bb.1052:                             ;   in Loop: Header=BB109_1043 Depth=2
	flat_load_b32 v70, v[28:29]
.LBB109_1053:                           ;   in Loop: Header=BB109_1043 Depth=2
	ds_load_b32 v71, v53
	s_wait_loadcnt_dscnt 0x0
	v_fmac_f32_e32 v68, v70, v71
.LBB109_1054:                           ;   in Loop: Header=BB109_1043 Depth=2
	s_or_b32 exec_lo, exec_lo, s50
	v_add_nc_u32_e32 v70, 16, v30
	s_delay_alu instid0(VALU_DEP_1) | instskip(SKIP_1) | instid1(SALU_CYCLE_1)
	v_cmp_gt_i32_e32 vcc_lo, s76, v70
	s_and_b32 s51, s0, vcc_lo
	s_and_saveexec_b32 s50, s51
	s_cbranch_execz .LBB109_1058
; %bb.1055:                             ;   in Loop: Header=BB109_1043 Depth=2
	v_cmp_ne_u32_e32 vcc_lo, 1, v31
	v_mov_b32_e32 v70, v65
	s_cbranch_vccnz .LBB109_1057
; %bb.1056:                             ;   in Loop: Header=BB109_1043 Depth=2
	v_add_nc_u64_e32 v[70:71], s[86:87], v[28:29]
	flat_load_b32 v70, v[70:71]
.LBB109_1057:                           ;   in Loop: Header=BB109_1043 Depth=2
	s_wait_xcnt 0x0
	ds_load_b32 v71, v53 offset:64
	s_wait_loadcnt_dscnt 0x0
	v_fmac_f32_e32 v68, v70, v71
.LBB109_1058:                           ;   in Loop: Header=BB109_1043 Depth=2
	s_or_b32 exec_lo, exec_lo, s50
	v_add_nc_u32_e32 v70, 32, v30
	s_delay_alu instid0(VALU_DEP_1) | instskip(SKIP_1) | instid1(SALU_CYCLE_1)
	v_cmp_gt_i32_e32 vcc_lo, s76, v70
	s_and_b32 s51, s0, vcc_lo
	s_and_saveexec_b32 s50, s51
	s_cbranch_execz .LBB109_1062
; %bb.1059:                             ;   in Loop: Header=BB109_1043 Depth=2
	v_cmp_ne_u32_e32 vcc_lo, 1, v31
	v_mov_b32_e32 v70, v66
	s_cbranch_vccnz .LBB109_1061
; %bb.1060:                             ;   in Loop: Header=BB109_1043 Depth=2
	v_add_nc_u64_e32 v[70:71], s[88:89], v[28:29]
	flat_load_b32 v70, v[70:71]
.LBB109_1061:                           ;   in Loop: Header=BB109_1043 Depth=2
	s_wait_xcnt 0x0
	ds_load_b32 v71, v53 offset:128
	s_wait_loadcnt_dscnt 0x0
	v_fmac_f32_e32 v68, v70, v71
.LBB109_1062:                           ;   in Loop: Header=BB109_1043 Depth=2
	s_or_b32 exec_lo, exec_lo, s50
	v_add_nc_u32_e32 v30, 48, v30
	s_delay_alu instid0(VALU_DEP_1) | instskip(SKIP_1) | instid1(SALU_CYCLE_1)
	v_cmp_gt_i32_e32 vcc_lo, s76, v30
	s_and_b32 s51, s0, vcc_lo
	s_and_saveexec_b32 s50, s51
	s_cbranch_execz .LBB109_1042
; %bb.1063:                             ;   in Loop: Header=BB109_1043 Depth=2
	v_cmp_ne_u32_e32 vcc_lo, 1, v31
	v_mov_b32_e32 v30, v67
	s_cbranch_vccnz .LBB109_1041
; %bb.1064:                             ;   in Loop: Header=BB109_1043 Depth=2
	v_add_nc_u64_e32 v[28:29], s[90:91], v[28:29]
	flat_load_b32 v30, v[28:29]
	s_branch .LBB109_1041
.LBB109_1065:                           ;   in Loop: Header=BB109_3 Depth=1
	ds_store_b32 v54, v68
	s_wait_dscnt 0x0
	s_barrier_signal -1
	s_barrier_wait -1
	s_and_saveexec_b32 s1, s7
	s_cbranch_execz .LBB109_1067
; %bb.1066:                             ;   in Loop: Header=BB109_3 Depth=1
	ds_load_2addr_stride64_b32 v[24:25], v55 offset0:1 offset1:2
	ds_load_2addr_stride64_b32 v[28:29], v55 offset0:3 offset1:4
	;; [unrolled: 1-line block ×4, first 2 shown]
	v_readlane_b32 s50, v75, 6
	s_wait_dscnt 0x3
	v_add_f32_e32 v24, v68, v24
	s_delay_alu instid0(VALU_DEP_1) | instskip(SKIP_1) | instid1(VALU_DEP_1)
	v_add_f32_e32 v24, v24, v25
	s_wait_dscnt 0x2
	v_add_f32_e32 v24, v24, v28
	s_delay_alu instid0(VALU_DEP_1) | instskip(SKIP_1) | instid1(VALU_DEP_1)
	v_add_f32_e32 v24, v24, v29
	s_wait_dscnt 0x1
	v_add_f32_e32 v28, v24, v30
	ds_load_2addr_stride64_b32 v[24:25], v55 offset0:9 offset1:10
	v_add_f32_e32 v28, v28, v31
	s_wait_dscnt 0x1
	s_delay_alu instid0(VALU_DEP_1)
	v_add_f32_e32 v30, v28, v70
	ds_load_2addr_stride64_b32 v[28:29], v55 offset0:11 offset1:12
	v_add_f32_e32 v68, v30, v71
	ds_load_2addr_stride64_b32 v[30:31], v55 offset0:13 offset1:14
	ds_load_b32 v69, v55 offset:3840
	s_wait_dscnt 0x3
	v_add_f32_e32 v24, v68, v24
	s_delay_alu instid0(VALU_DEP_1) | instskip(SKIP_1) | instid1(VALU_DEP_1)
	v_add_f32_e32 v24, v24, v25
	s_wait_dscnt 0x2
	v_add_f32_e32 v24, v24, v28
	s_delay_alu instid0(VALU_DEP_1) | instskip(SKIP_1) | instid1(VALU_DEP_1)
	v_add_f32_e32 v24, v24, v29
	;; [unrolled: 4-line block ×3, first 2 shown]
	s_wait_dscnt 0x0
	v_add_f32_e32 v24, v24, v69
	s_delay_alu instid0(VALU_DEP_1)
	v_cndmask_b32_e64 v68, -v24, 0, s50
.LBB109_1067:                           ;   in Loop: Header=BB109_3 Depth=1
	s_or_b32 exec_lo, exec_lo, s1
	s_delay_alu instid0(SALU_CYCLE_1)
	s_and_not1_b32 vcc_lo, exec_lo, s99
	s_cbranch_vccnz .LBB109_1080
; %bb.1068:                             ;   in Loop: Header=BB109_3 Depth=1
	s_and_saveexec_b32 s1, s7
; %bb.1069:                             ;   in Loop: Header=BB109_3 Depth=1
	ds_store_b32 v57, v68
; %bb.1070:                             ;   in Loop: Header=BB109_3 Depth=1
	s_or_b32 exec_lo, exec_lo, s1
	v_mov_b32_e32 v24, 0
	s_wait_dscnt 0x0
	s_barrier_signal -1
	s_barrier_wait -1
	s_mov_b32 s1, exec_lo
	v_readlane_b32 s50, v74, 22
	s_and_b32 s50, s1, s50
	s_delay_alu instid0(SALU_CYCLE_1)
	s_mov_b32 exec_lo, s50
	s_cbranch_execz .LBB109_1072
; %bb.1071:                             ;   in Loop: Header=BB109_3 Depth=1
	ds_load_b32 v24, v56
	ds_load_b32 v25, v53
	s_wait_dscnt 0x0
	v_fma_f32 v24, v24, v25, 0
.LBB109_1072:                           ;   in Loop: Header=BB109_3 Depth=1
	s_or_b32 exec_lo, exec_lo, s1
	s_delay_alu instid0(SALU_CYCLE_1) | instskip(SKIP_2) | instid1(SALU_CYCLE_1)
	s_mov_b32 s1, exec_lo
	v_readlane_b32 s50, v74, 23
	s_and_b32 s50, s1, s50
	s_mov_b32 exec_lo, s50
	s_cbranch_execz .LBB109_1074
; %bb.1073:                             ;   in Loop: Header=BB109_3 Depth=1
	ds_load_b32 v25, v56 offset:4096
	ds_load_b32 v28, v53 offset:64
	s_wait_dscnt 0x0
	v_fmac_f32_e32 v24, v25, v28
.LBB109_1074:                           ;   in Loop: Header=BB109_3 Depth=1
	s_or_b32 exec_lo, exec_lo, s1
	s_delay_alu instid0(SALU_CYCLE_1) | instskip(SKIP_2) | instid1(SALU_CYCLE_1)
	s_mov_b32 s1, exec_lo
	v_readlane_b32 s50, v74, 24
	s_and_b32 s50, s1, s50
	s_mov_b32 exec_lo, s50
	s_cbranch_execz .LBB109_1076
; %bb.1075:                             ;   in Loop: Header=BB109_3 Depth=1
	ds_load_b32 v25, v56 offset:8192
	ds_load_b32 v28, v53 offset:128
	s_wait_dscnt 0x0
	v_fmac_f32_e32 v24, v25, v28
.LBB109_1076:                           ;   in Loop: Header=BB109_3 Depth=1
	s_or_b32 exec_lo, exec_lo, s1
	s_delay_alu instid0(SALU_CYCLE_1) | instskip(SKIP_2) | instid1(SALU_CYCLE_1)
	s_mov_b32 s1, exec_lo
	v_readlane_b32 s50, v74, 25
	s_and_b32 s50, s1, s50
	s_mov_b32 exec_lo, s50
	s_cbranch_execz .LBB109_1078
; %bb.1077:                             ;   in Loop: Header=BB109_3 Depth=1
	ds_load_b32 v25, v56 offset:12288
	ds_load_b32 v28, v53 offset:192
	s_wait_dscnt 0x0
	v_fmac_f32_e32 v24, v25, v28
.LBB109_1078:                           ;   in Loop: Header=BB109_3 Depth=1
	s_or_b32 exec_lo, exec_lo, s1
	s_mov_b32 s1, 0
	s_mov_b32 s92, 0
	ds_store_b32 v54, v24
	s_wait_dscnt 0x0
	s_barrier_signal -1
	s_barrier_wait -1
                                        ; implicit-def: $vgpr25
	s_and_saveexec_b32 s93, s7
	s_cbranch_execz .LBB109_1109
; %bb.1079:                             ;   in Loop: Header=BB109_3 Depth=1
	ds_load_2addr_stride64_b32 v[28:29], v55 offset0:1 offset1:2
	ds_load_2addr_stride64_b32 v[30:31], v55 offset0:3 offset1:4
	;; [unrolled: 1-line block ×4, first 2 shown]
	s_mov_b32 s92, exec_lo
	s_wait_dscnt 0x3
	v_add_f32_e32 v24, v24, v28
	s_delay_alu instid0(VALU_DEP_1) | instskip(SKIP_1) | instid1(VALU_DEP_1)
	v_add_f32_e32 v24, v29, v24
	s_wait_dscnt 0x2
	v_add_f32_e32 v24, v30, v24
	s_delay_alu instid0(VALU_DEP_1) | instskip(SKIP_1) | instid1(VALU_DEP_1)
	v_add_f32_e32 v24, v31, v24
	s_wait_dscnt 0x1
	v_add_f32_e32 v28, v70, v24
	ds_load_2addr_stride64_b32 v[24:25], v55 offset0:9 offset1:10
	v_add_f32_e32 v28, v71, v28
	s_wait_dscnt 0x1
	s_delay_alu instid0(VALU_DEP_1)
	v_add_f32_e32 v30, v72, v28
	ds_load_2addr_stride64_b32 v[28:29], v55 offset0:11 offset1:12
	v_add_f32_e32 v69, v73, v30
	ds_load_2addr_stride64_b32 v[30:31], v55 offset0:13 offset1:14
	ds_load_b32 v70, v55 offset:3840
	s_wait_dscnt 0x3
	v_add_f32_e32 v24, v24, v69
	s_delay_alu instid0(VALU_DEP_1) | instskip(SKIP_1) | instid1(VALU_DEP_1)
	v_add_f32_e32 v24, v25, v24
	s_wait_dscnt 0x2
	v_add_f32_e32 v24, v28, v24
	s_delay_alu instid0(VALU_DEP_1) | instskip(SKIP_1) | instid1(VALU_DEP_1)
	v_add_f32_e32 v24, v29, v24
	;; [unrolled: 4-line block ×3, first 2 shown]
	s_wait_dscnt 0x0
	v_add_f32_e32 v25, v70, v24
	s_or_b32 exec_lo, exec_lo, s93
	s_delay_alu instid0(SALU_CYCLE_1)
	s_and_b32 vcc_lo, exec_lo, s1
	s_cbranch_vccnz .LBB109_1081
	s_branch .LBB109_1110
.LBB109_1080:                           ;   in Loop: Header=BB109_3 Depth=1
	s_mov_b32 s92, 0
                                        ; implicit-def: $vgpr25
	s_cbranch_execz .LBB109_1110
.LBB109_1081:                           ;   in Loop: Header=BB109_3 Depth=1
	v_dual_mov_b32 v24, v61 :: v_dual_mov_b32 v25, v60
	s_mov_b32 s1, 63
	s_branch .LBB109_1083
.LBB109_1082:                           ;   in Loop: Header=BB109_1083 Depth=2
	s_or_b32 exec_lo, exec_lo, s51
	v_add_nc_u32_e32 v25, 0xfffffc00, v25
	v_add_nc_u32_e32 v24, 4, v24
	s_add_co_i32 s1, s1, -4
	s_cmp_lg_u32 s50, 0
	s_barrier_signal -1
	s_barrier_wait -1
	s_cbranch_scc0 .LBB109_1099
.LBB109_1083:                           ;   Parent Loop BB109_3 Depth=1
                                        ; =>  This Inner Loop Header: Depth=2
	s_delay_alu instid0(VALU_DEP_1) | instskip(SKIP_1) | instid1(SALU_CYCLE_1)
	v_cmp_eq_u32_e32 vcc_lo, 0, v24
	s_and_b32 s51, s7, vcc_lo
	s_and_saveexec_b32 s50, s51
; %bb.1084:                             ;   in Loop: Header=BB109_1083 Depth=2
	ds_store_b32 v7, v68 offset:20736
; %bb.1085:                             ;   in Loop: Header=BB109_1083 Depth=2
	s_or_b32 exec_lo, exec_lo, s50
	v_cmp_gt_u32_e32 vcc_lo, s1, v4
	s_wait_dscnt 0x0
	s_barrier_signal -1
	s_barrier_wait -1
	s_and_b32 s51, s7, vcc_lo
	s_delay_alu instid0(SALU_CYCLE_1)
	s_and_saveexec_b32 s50, s51
	s_cbranch_execz .LBB109_1087
; %bb.1086:                             ;   in Loop: Header=BB109_1083 Depth=2
	ds_load_b32 v28, v25 offset:768
	ds_load_b32 v29, v7 offset:20736
	s_wait_dscnt 0x0
	v_fmac_f32_e32 v68, v28, v29
.LBB109_1087:                           ;   in Loop: Header=BB109_1083 Depth=2
	s_or_b32 exec_lo, exec_lo, s50
	s_add_co_i32 s50, s1, -1
	s_delay_alu instid0(SALU_CYCLE_1) | instskip(SKIP_3) | instid1(SALU_CYCLE_1)
	v_cmp_eq_u32_e32 vcc_lo, s50, v4
	s_barrier_signal -1
	s_barrier_wait -1
	s_and_b32 s52, s7, vcc_lo
	s_and_saveexec_b32 s51, s52
; %bb.1088:                             ;   in Loop: Header=BB109_1083 Depth=2
	ds_store_b32 v7, v68 offset:20736
; %bb.1089:                             ;   in Loop: Header=BB109_1083 Depth=2
	s_or_b32 exec_lo, exec_lo, s51
	v_cmp_gt_u32_e32 vcc_lo, s50, v4
	s_wait_dscnt 0x0
	s_barrier_signal -1
	s_barrier_wait -1
	s_and_b32 s51, s7, vcc_lo
	s_delay_alu instid0(SALU_CYCLE_1)
	s_and_saveexec_b32 s50, s51
	s_cbranch_execz .LBB109_1091
; %bb.1090:                             ;   in Loop: Header=BB109_1083 Depth=2
	ds_load_b32 v28, v25 offset:512
	ds_load_b32 v29, v7 offset:20736
	s_wait_dscnt 0x0
	v_fmac_f32_e32 v68, v28, v29
.LBB109_1091:                           ;   in Loop: Header=BB109_1083 Depth=2
	s_or_b32 exec_lo, exec_lo, s50
	s_add_co_i32 s50, s1, -2
	s_delay_alu instid0(SALU_CYCLE_1) | instskip(SKIP_3) | instid1(SALU_CYCLE_1)
	v_cmp_eq_u32_e32 vcc_lo, s50, v4
	s_barrier_signal -1
	s_barrier_wait -1
	;; [unrolled: 26-line block ×3, first 2 shown]
	s_and_b32 s52, s7, vcc_lo
	s_and_saveexec_b32 s51, s52
; %bb.1096:                             ;   in Loop: Header=BB109_1083 Depth=2
	ds_store_b32 v7, v68 offset:20736
; %bb.1097:                             ;   in Loop: Header=BB109_1083 Depth=2
	s_or_b32 exec_lo, exec_lo, s51
	v_cmp_gt_u32_e32 vcc_lo, s50, v4
	s_wait_dscnt 0x0
	s_barrier_signal -1
	s_barrier_wait -1
	s_and_b32 s52, s7, vcc_lo
	s_delay_alu instid0(SALU_CYCLE_1)
	s_and_saveexec_b32 s51, s52
	s_cbranch_execz .LBB109_1082
; %bb.1098:                             ;   in Loop: Header=BB109_1083 Depth=2
	ds_load_b32 v28, v25
	ds_load_b32 v29, v7 offset:20736
	s_wait_dscnt 0x0
	v_fmac_f32_e32 v68, v28, v29
	s_branch .LBB109_1082
.LBB109_1099:                           ;   in Loop: Header=BB109_3 Depth=1
	s_and_b32 vcc_lo, exec_lo, s96
	s_mov_b32 s1, -1
	s_cbranch_vccnz .LBB109_1111
; %bb.1100:                             ;   in Loop: Header=BB109_3 Depth=1
	s_and_not1_b32 vcc_lo, exec_lo, s1
	s_cbranch_vccz .LBB109_1112
.LBB109_1101:                           ;   in Loop: Header=BB109_3 Depth=1
	s_and_saveexec_b32 s1, s92
	s_cbranch_execz .LBB109_1103
.LBB109_1102:                           ;   in Loop: Header=BB109_3 Depth=1
	v_lshl_add_u64 v[24:25], v[12:13], 2, v[26:27]
	flat_store_b32 v[24:25], v68
.LBB109_1103:                           ;   in Loop: Header=BB109_3 Depth=1
	s_wait_xcnt 0x0
	s_or_b32 exec_lo, exec_lo, s1
	global_wb scope:SCOPE_DEV
	s_wait_storecnt_dscnt 0x0
	global_inv scope:SCOPE_DEV
	s_wait_loadcnt 0x0
	s_barrier_signal -1
	s_barrier_wait -1
	s_and_saveexec_b32 s1, s55
	s_cbranch_execz .LBB109_2
; %bb.1104:                             ;   in Loop: Header=BB109_3 Depth=1
	s_lshl_b64 s[50:51], s[66:67], 2
	s_delay_alu instid0(SALU_CYCLE_1)
	s_add_nc_u64 s[50:51], s[80:81], s[50:51]
	global_load_b32 v24, v7, s[50:51]
	s_wait_loadcnt 0x0
	v_add_nc_u32_e32 v24, 1, v24
	global_store_b32 v7, v24, s[50:51]
	s_branch .LBB109_2
.LBB109_1105:                           ;   in Loop: Header=BB109_3 Depth=1
	v_readlane_b32 s1, v74, 26
	s_and_b32 s1, s1, exec_lo
	s_or_saveexec_b32 s50, s50
	v_mov_b32_e32 v30, 0
	s_xor_b32 exec_lo, exec_lo, s50
	s_cbranch_execz .LBB109_16
.LBB109_1106:                           ;   in Loop: Header=BB109_3 Depth=1
	v_lshl_add_u64 v[30:31], v[14:15], 2, v[28:29]
	s_or_b32 s1, s1, exec_lo
	flat_load_b32 v30, v[30:31]
	s_wait_loadcnt_dscnt 0x0
	v_xor_b32_e32 v30, 0x80000000, v30
	s_or_b32 exec_lo, exec_lo, s50
	s_and_saveexec_b32 s50, s1
	s_cbranch_execnz .LBB109_17
	s_branch .LBB109_18
.LBB109_1107:                           ;   in Loop: Header=BB109_3 Depth=1
	v_readlane_b32 s1, v74, 26
	s_and_b32 s1, s1, exec_lo
	s_or_saveexec_b32 s50, s50
	v_mov_b32_e32 v30, 0
	s_xor_b32 exec_lo, exec_lo, s50
	s_cbranch_execz .LBB109_40
.LBB109_1108:                           ;   in Loop: Header=BB109_3 Depth=1
	v_lshl_add_u64 v[30:31], v[14:15], 2, v[28:29]
	s_or_b32 s1, s1, exec_lo
	flat_load_b32 v30, v[30:31]
	s_wait_loadcnt_dscnt 0x0
	v_xor_b32_e32 v30, 0x80000000, v30
	s_or_b32 exec_lo, exec_lo, s50
	s_and_saveexec_b32 s50, s1
	s_cbranch_execnz .LBB109_41
	s_branch .LBB109_42
.LBB109_1109:                           ;   in Loop: Header=BB109_3 Depth=1
	s_or_b32 exec_lo, exec_lo, s93
	s_delay_alu instid0(SALU_CYCLE_1)
	s_and_b32 vcc_lo, exec_lo, s1
	s_cbranch_vccnz .LBB109_1081
.LBB109_1110:                           ;   in Loop: Header=BB109_3 Depth=1
	v_mov_b32_e32 v68, v25
	s_and_saveexec_b32 s1, s92
	s_cbranch_execnz .LBB109_1102
	s_branch .LBB109_1103
.LBB109_1111:                           ;   in Loop: Header=BB109_3 Depth=1
	s_and_not1_b32 s50, s92, exec_lo
	s_and_b32 s51, s7, exec_lo
	s_delay_alu instid0(SALU_CYCLE_1)
	s_or_b32 s92, s50, s51
	s_cbranch_execnz .LBB109_1101
.LBB109_1112:                           ;   in Loop: Header=BB109_3 Depth=1
	v_readlane_b32 s50, v75, 7
	s_and_not1_b32 s1, s92, exec_lo
	s_and_b32 s50, s50, exec_lo
	s_delay_alu instid0(SALU_CYCLE_1) | instskip(NEXT) | instid1(SALU_CYCLE_1)
	s_or_b32 s92, s1, s50
	s_and_saveexec_b32 s1, s92
	s_cbranch_execnz .LBB109_1102
	s_branch .LBB109_1103
.LBB109_1113:                           ;   in Loop: Header=BB109_3 Depth=1
	ds_load_b32 v29, v35 offset:15840
	ds_load_b32 v30, v38 offset:16372
	s_wait_dscnt 0x0
	v_fmac_f32_e32 v28, v29, v30
	s_or_b32 exec_lo, exec_lo, s50
	s_and_saveexec_b32 s50, s14
	s_cbranch_execz .LBB109_81
.LBB109_1114:                           ;   in Loop: Header=BB109_3 Depth=1
	ds_load_b32 v29, v35 offset:16096
	ds_load_b32 v30, v38 offset:16376
	s_wait_dscnt 0x0
	v_fmac_f32_e32 v28, v29, v30
	s_or_b32 exec_lo, exec_lo, s50
	s_and_saveexec_b32 s50, s2
	s_cbranch_execnz .LBB109_82
	s_branch .LBB109_83
.LBB109_1115:                           ;   in Loop: Header=BB109_3 Depth=1
	ds_load_b32 v29, v40 offset:14784
	ds_load_b32 v30, v42 offset:16356
	s_wait_dscnt 0x0
	v_fmac_f32_e32 v28, v29, v30
	s_or_b32 exec_lo, exec_lo, s50
	s_and_saveexec_b32 s50, s16
	s_cbranch_execz .LBB109_119
.LBB109_1116:                           ;   in Loop: Header=BB109_3 Depth=1
	ds_load_b32 v29, v40 offset:15040
	ds_load_b32 v30, v42 offset:16360
	s_wait_dscnt 0x0
	v_fmac_f32_e32 v28, v29, v30
	s_or_b32 exec_lo, exec_lo, s50
	s_and_saveexec_b32 s50, s17
	s_cbranch_execz .LBB109_120
.LBB109_1117:                           ;   in Loop: Header=BB109_3 Depth=1
	ds_load_b32 v29, v40 offset:15296
	ds_load_b32 v30, v42 offset:16364
	s_wait_dscnt 0x0
	v_fmac_f32_e32 v28, v29, v30
	s_or_b32 exec_lo, exec_lo, s50
	s_and_saveexec_b32 s50, s18
	s_cbranch_execz .LBB109_121
.LBB109_1118:                           ;   in Loop: Header=BB109_3 Depth=1
	ds_load_b32 v29, v40 offset:15552
	ds_load_b32 v30, v42 offset:16368
	s_wait_dscnt 0x0
	v_fmac_f32_e32 v28, v29, v30
	s_or_b32 exec_lo, exec_lo, s50
	s_and_saveexec_b32 s50, s19
	s_cbranch_execz .LBB109_122
.LBB109_1119:                           ;   in Loop: Header=BB109_3 Depth=1
	ds_load_b32 v29, v40 offset:15808
	ds_load_b32 v30, v42 offset:16372
	s_wait_dscnt 0x0
	v_fmac_f32_e32 v28, v29, v30
	s_or_b32 exec_lo, exec_lo, s50
	s_and_saveexec_b32 s50, s3
	s_cbranch_execz .LBB109_123
.LBB109_1120:                           ;   in Loop: Header=BB109_3 Depth=1
	ds_load_b32 v29, v40 offset:16064
	ds_load_b32 v30, v42 offset:16376
	s_wait_dscnt 0x0
	v_fmac_f32_e32 v28, v29, v30
	s_or_b32 exec_lo, exec_lo, s50
	s_and_saveexec_b32 s50, s14
	s_cbranch_execnz .LBB109_124
	s_branch .LBB109_125
.LBB109_1121:                           ;   in Loop: Header=BB109_3 Depth=1
	ds_load_b32 v29, v35 offset:13760
	ds_load_b32 v30, v38 offset:14292
	s_wait_dscnt 0x0
	v_fmac_f32_e32 v28, v29, v30
	s_or_b32 exec_lo, exec_lo, s50
	s_and_saveexec_b32 s50, s14
	s_cbranch_execz .LBB109_177
.LBB109_1122:                           ;   in Loop: Header=BB109_3 Depth=1
	ds_load_b32 v29, v35 offset:14016
	ds_load_b32 v30, v38 offset:14296
	s_wait_dscnt 0x0
	v_fmac_f32_e32 v28, v29, v30
	s_or_b32 exec_lo, exec_lo, s50
	s_and_saveexec_b32 s50, s2
	s_cbranch_execnz .LBB109_178
	s_branch .LBB109_179
.LBB109_1123:                           ;   in Loop: Header=BB109_3 Depth=1
	ds_load_b32 v29, v44 offset:15232
	ds_load_b32 v30, v47 offset:16364
	s_wait_dscnt 0x0
	v_fmac_f32_e32 v28, v29, v30
	s_or_b32 exec_lo, exec_lo, s50
	s_and_saveexec_b32 s50, s4
	s_cbranch_execz .LBB109_235
.LBB109_1124:                           ;   in Loop: Header=BB109_3 Depth=1
	ds_load_b32 v29, v44 offset:15488
	ds_load_b32 v30, v47 offset:16368
	s_wait_dscnt 0x0
	v_fmac_f32_e32 v28, v29, v30
	s_or_b32 exec_lo, exec_lo, s50
	s_and_saveexec_b32 s50, s16
	s_cbranch_execz .LBB109_236
.LBB109_1125:                           ;   in Loop: Header=BB109_3 Depth=1
	ds_load_b32 v29, v44 offset:15744
	ds_load_b32 v30, v47 offset:16372
	s_wait_dscnt 0x0
	v_fmac_f32_e32 v28, v29, v30
	s_or_b32 exec_lo, exec_lo, s50
	s_and_saveexec_b32 s50, s18
	s_cbranch_execz .LBB109_237
.LBB109_1126:                           ;   in Loop: Header=BB109_3 Depth=1
	ds_load_b32 v29, v44 offset:16000
	ds_load_b32 v30, v47 offset:16376
	s_wait_dscnt 0x0
	v_fmac_f32_e32 v28, v29, v30
	s_or_b32 exec_lo, exec_lo, s50
	s_and_saveexec_b32 s50, s3
	s_cbranch_execnz .LBB109_238
	s_branch .LBB109_239
.LBB109_1127:                           ;   in Loop: Header=BB109_3 Depth=1
	ds_load_b32 v29, v35 offset:11680
	ds_load_b32 v30, v38 offset:12212
	s_wait_dscnt 0x0
	v_fmac_f32_e32 v28, v29, v30
	s_or_b32 exec_lo, exec_lo, s50
	s_and_saveexec_b32 s50, s14
	s_cbranch_execz .LBB109_323
.LBB109_1128:                           ;   in Loop: Header=BB109_3 Depth=1
	ds_load_b32 v29, v35 offset:11936
	ds_load_b32 v30, v38 offset:12216
	s_wait_dscnt 0x0
	v_fmac_f32_e32 v28, v29, v30
	s_or_b32 exec_lo, exec_lo, s50
	s_and_saveexec_b32 s50, s2
	s_cbranch_execnz .LBB109_324
	s_branch .LBB109_325
.LBB109_1129:                           ;   in Loop: Header=BB109_3 Depth=1
	ds_load_b32 v29, v40 offset:10624
	ds_load_b32 v30, v42 offset:12196
	s_wait_dscnt 0x0
	v_fmac_f32_e32 v28, v29, v30
	s_or_b32 exec_lo, exec_lo, s50
	s_and_saveexec_b32 s50, s16
	s_cbranch_execz .LBB109_361
.LBB109_1130:                           ;   in Loop: Header=BB109_3 Depth=1
	ds_load_b32 v29, v40 offset:10880
	ds_load_b32 v30, v42 offset:12200
	s_wait_dscnt 0x0
	v_fmac_f32_e32 v28, v29, v30
	s_or_b32 exec_lo, exec_lo, s50
	s_and_saveexec_b32 s50, s17
	s_cbranch_execz .LBB109_362
.LBB109_1131:                           ;   in Loop: Header=BB109_3 Depth=1
	ds_load_b32 v29, v40 offset:11136
	ds_load_b32 v30, v42 offset:12204
	s_wait_dscnt 0x0
	v_fmac_f32_e32 v28, v29, v30
	s_or_b32 exec_lo, exec_lo, s50
	s_and_saveexec_b32 s50, s18
	s_cbranch_execz .LBB109_363
.LBB109_1132:                           ;   in Loop: Header=BB109_3 Depth=1
	ds_load_b32 v29, v40 offset:11392
	ds_load_b32 v30, v42 offset:12208
	s_wait_dscnt 0x0
	v_fmac_f32_e32 v28, v29, v30
	s_or_b32 exec_lo, exec_lo, s50
	s_and_saveexec_b32 s50, s19
	s_cbranch_execz .LBB109_364
.LBB109_1133:                           ;   in Loop: Header=BB109_3 Depth=1
	ds_load_b32 v29, v40 offset:11648
	ds_load_b32 v30, v42 offset:12212
	s_wait_dscnt 0x0
	v_fmac_f32_e32 v28, v29, v30
	s_or_b32 exec_lo, exec_lo, s50
	s_and_saveexec_b32 s50, s3
	s_cbranch_execz .LBB109_365
.LBB109_1134:                           ;   in Loop: Header=BB109_3 Depth=1
	ds_load_b32 v29, v40 offset:11904
	ds_load_b32 v30, v42 offset:12216
	s_wait_dscnt 0x0
	v_fmac_f32_e32 v28, v29, v30
	s_or_b32 exec_lo, exec_lo, s50
	s_and_saveexec_b32 s50, s14
	s_cbranch_execnz .LBB109_366
	s_branch .LBB109_367
.LBB109_1135:                           ;   in Loop: Header=BB109_3 Depth=1
	ds_load_b32 v29, v35 offset:9600
	ds_load_b32 v30, v38 offset:10132
	s_wait_dscnt 0x0
	v_fmac_f32_e32 v28, v29, v30
	s_or_b32 exec_lo, exec_lo, s50
	s_and_saveexec_b32 s50, s14
	s_cbranch_execz .LBB109_419
.LBB109_1136:                           ;   in Loop: Header=BB109_3 Depth=1
	ds_load_b32 v29, v35 offset:9856
	ds_load_b32 v30, v38 offset:10136
	s_wait_dscnt 0x0
	v_fmac_f32_e32 v28, v29, v30
	s_or_b32 exec_lo, exec_lo, s50
	s_and_saveexec_b32 s50, s2
	s_cbranch_execnz .LBB109_420
	s_branch .LBB109_421
.LBB109_1137:                           ;   in Loop: Header=BB109_3 Depth=1
	ds_load_b32 v29, v46 offset:15616
	ds_load_b32 v30, v50 offset:16372
	s_wait_dscnt 0x0
	v_fmac_f32_e32 v28, v29, v30
	s_or_b32 exec_lo, exec_lo, s1
	s_and_saveexec_b32 s1, s4
	s_cbranch_execz .LBB109_513
.LBB109_1138:                           ;   in Loop: Header=BB109_3 Depth=1
	ds_load_b32 v29, v46 offset:15872
	ds_load_b32 v30, v50 offset:16376
	s_wait_dscnt 0x0
	v_fmac_f32_e32 v28, v29, v30
	s_or_b32 exec_lo, exec_lo, s1
	s_and_saveexec_b32 s1, s18
	s_cbranch_execnz .LBB109_514
	s_branch .LBB109_515
.LBB109_1139:                           ;   in Loop: Header=BB109_3 Depth=1
	ds_load_b32 v29, v35 offset:7520
	ds_load_b32 v30, v38 offset:8052
	s_wait_dscnt 0x0
	v_fmac_f32_e32 v28, v29, v30
	s_or_b32 exec_lo, exec_lo, s50
	s_and_saveexec_b32 s50, s14
	s_cbranch_execz .LBB109_663
.LBB109_1140:                           ;   in Loop: Header=BB109_3 Depth=1
	ds_load_b32 v29, v35 offset:7776
	ds_load_b32 v30, v38 offset:8056
	s_wait_dscnt 0x0
	v_fmac_f32_e32 v28, v29, v30
	s_or_b32 exec_lo, exec_lo, s50
	s_and_saveexec_b32 s50, s2
	s_cbranch_execnz .LBB109_664
	s_branch .LBB109_665
.LBB109_1141:                           ;   in Loop: Header=BB109_3 Depth=1
	ds_load_b32 v29, v40 offset:6464
	ds_load_b32 v30, v42 offset:8036
	s_wait_dscnt 0x0
	v_fmac_f32_e32 v28, v29, v30
	s_or_b32 exec_lo, exec_lo, s50
	s_and_saveexec_b32 s50, s16
	s_cbranch_execz .LBB109_701
.LBB109_1142:                           ;   in Loop: Header=BB109_3 Depth=1
	ds_load_b32 v29, v40 offset:6720
	ds_load_b32 v30, v42 offset:8040
	s_wait_dscnt 0x0
	v_fmac_f32_e32 v28, v29, v30
	s_or_b32 exec_lo, exec_lo, s50
	s_and_saveexec_b32 s50, s17
	s_cbranch_execz .LBB109_702
.LBB109_1143:                           ;   in Loop: Header=BB109_3 Depth=1
	ds_load_b32 v29, v40 offset:6976
	ds_load_b32 v30, v42 offset:8044
	s_wait_dscnt 0x0
	v_fmac_f32_e32 v28, v29, v30
	s_or_b32 exec_lo, exec_lo, s50
	s_and_saveexec_b32 s50, s18
	s_cbranch_execz .LBB109_703
.LBB109_1144:                           ;   in Loop: Header=BB109_3 Depth=1
	ds_load_b32 v29, v40 offset:7232
	ds_load_b32 v30, v42 offset:8048
	s_wait_dscnt 0x0
	v_fmac_f32_e32 v28, v29, v30
	s_or_b32 exec_lo, exec_lo, s50
	s_and_saveexec_b32 s50, s19
	s_cbranch_execz .LBB109_704
.LBB109_1145:                           ;   in Loop: Header=BB109_3 Depth=1
	ds_load_b32 v29, v40 offset:7488
	ds_load_b32 v30, v42 offset:8052
	s_wait_dscnt 0x0
	v_fmac_f32_e32 v28, v29, v30
	s_or_b32 exec_lo, exec_lo, s50
	s_and_saveexec_b32 s50, s3
	s_cbranch_execz .LBB109_705
.LBB109_1146:                           ;   in Loop: Header=BB109_3 Depth=1
	ds_load_b32 v29, v40 offset:7744
	ds_load_b32 v30, v42 offset:8056
	s_wait_dscnt 0x0
	v_fmac_f32_e32 v28, v29, v30
	s_or_b32 exec_lo, exec_lo, s50
	s_and_saveexec_b32 s50, s14
	s_cbranch_execnz .LBB109_706
	s_branch .LBB109_707
.LBB109_1147:                           ;   in Loop: Header=BB109_3 Depth=1
	ds_load_b32 v29, v35 offset:5440
	ds_load_b32 v30, v38 offset:5972
	s_wait_dscnt 0x0
	v_fmac_f32_e32 v28, v29, v30
	s_or_b32 exec_lo, exec_lo, s50
	s_and_saveexec_b32 s50, s14
	s_cbranch_execz .LBB109_759
.LBB109_1148:                           ;   in Loop: Header=BB109_3 Depth=1
	ds_load_b32 v29, v35 offset:5696
	ds_load_b32 v30, v38 offset:5976
	s_wait_dscnt 0x0
	v_fmac_f32_e32 v28, v29, v30
	s_or_b32 exec_lo, exec_lo, s50
	s_and_saveexec_b32 s50, s2
	s_cbranch_execnz .LBB109_760
	s_branch .LBB109_761
.LBB109_1149:                           ;   in Loop: Header=BB109_3 Depth=1
	ds_load_b32 v29, v44 offset:6912
	ds_load_b32 v30, v47 offset:8044
	s_wait_dscnt 0x0
	v_fmac_f32_e32 v28, v29, v30
	s_or_b32 exec_lo, exec_lo, s50
	s_and_saveexec_b32 s50, s4
	s_cbranch_execz .LBB109_817
.LBB109_1150:                           ;   in Loop: Header=BB109_3 Depth=1
	ds_load_b32 v29, v44 offset:7168
	ds_load_b32 v30, v47 offset:8048
	s_wait_dscnt 0x0
	v_fmac_f32_e32 v28, v29, v30
	s_or_b32 exec_lo, exec_lo, s50
	s_and_saveexec_b32 s50, s16
	s_cbranch_execz .LBB109_818
.LBB109_1151:                           ;   in Loop: Header=BB109_3 Depth=1
	ds_load_b32 v29, v44 offset:7424
	ds_load_b32 v30, v47 offset:8052
	s_wait_dscnt 0x0
	v_fmac_f32_e32 v28, v29, v30
	s_or_b32 exec_lo, exec_lo, s50
	s_and_saveexec_b32 s50, s18
	s_cbranch_execz .LBB109_819
.LBB109_1152:                           ;   in Loop: Header=BB109_3 Depth=1
	ds_load_b32 v29, v44 offset:7680
	ds_load_b32 v30, v47 offset:8056
	s_wait_dscnt 0x0
	v_fmac_f32_e32 v28, v29, v30
	s_or_b32 exec_lo, exec_lo, s50
	s_and_saveexec_b32 s50, s3
	s_cbranch_execnz .LBB109_820
	s_branch .LBB109_821
.LBB109_1153:                           ;   in Loop: Header=BB109_3 Depth=1
	ds_load_b32 v29, v35 offset:3360
	ds_load_b32 v30, v38 offset:3892
	s_wait_dscnt 0x0
	v_fmac_f32_e32 v28, v29, v30
	s_or_b32 exec_lo, exec_lo, s50
	s_and_saveexec_b32 s50, s14
	s_cbranch_execz .LBB109_905
.LBB109_1154:                           ;   in Loop: Header=BB109_3 Depth=1
	ds_load_b32 v29, v35 offset:3616
	ds_load_b32 v30, v38 offset:3896
	s_wait_dscnt 0x0
	v_fmac_f32_e32 v28, v29, v30
	s_or_b32 exec_lo, exec_lo, s50
	s_and_saveexec_b32 s50, s2
	s_cbranch_execnz .LBB109_906
	s_branch .LBB109_907
.LBB109_1155:                           ;   in Loop: Header=BB109_3 Depth=1
	ds_load_b32 v29, v40 offset:2304
	ds_load_b32 v30, v42 offset:3876
	s_wait_dscnt 0x0
	v_fmac_f32_e32 v28, v29, v30
	s_or_b32 exec_lo, exec_lo, s50
	s_and_saveexec_b32 s50, s16
	s_cbranch_execz .LBB109_943
.LBB109_1156:                           ;   in Loop: Header=BB109_3 Depth=1
	ds_load_b32 v29, v40 offset:2560
	ds_load_b32 v30, v42 offset:3880
	s_wait_dscnt 0x0
	v_fmac_f32_e32 v28, v29, v30
	s_or_b32 exec_lo, exec_lo, s50
	s_and_saveexec_b32 s50, s17
	s_cbranch_execz .LBB109_944
.LBB109_1157:                           ;   in Loop: Header=BB109_3 Depth=1
	ds_load_b32 v29, v40 offset:2816
	ds_load_b32 v30, v42 offset:3884
	s_wait_dscnt 0x0
	v_fmac_f32_e32 v28, v29, v30
	s_or_b32 exec_lo, exec_lo, s50
	s_and_saveexec_b32 s50, s18
	s_cbranch_execz .LBB109_945
.LBB109_1158:                           ;   in Loop: Header=BB109_3 Depth=1
	ds_load_b32 v29, v40 offset:3072
	ds_load_b32 v30, v42 offset:3888
	s_wait_dscnt 0x0
	v_fmac_f32_e32 v28, v29, v30
	s_or_b32 exec_lo, exec_lo, s50
	s_and_saveexec_b32 s50, s19
	s_cbranch_execz .LBB109_946
.LBB109_1159:                           ;   in Loop: Header=BB109_3 Depth=1
	ds_load_b32 v29, v40 offset:3328
	ds_load_b32 v30, v42 offset:3892
	s_wait_dscnt 0x0
	v_fmac_f32_e32 v28, v29, v30
	s_or_b32 exec_lo, exec_lo, s50
	s_and_saveexec_b32 s50, s3
	s_cbranch_execz .LBB109_947
.LBB109_1160:                           ;   in Loop: Header=BB109_3 Depth=1
	ds_load_b32 v29, v40 offset:3584
	ds_load_b32 v30, v42 offset:3896
	s_wait_dscnt 0x0
	v_fmac_f32_e32 v28, v29, v30
	s_or_b32 exec_lo, exec_lo, s50
	s_and_saveexec_b32 s50, s14
	s_cbranch_execnz .LBB109_948
	s_branch .LBB109_949
.LBB109_1161:                           ;   in Loop: Header=BB109_3 Depth=1
	ds_load_b32 v29, v35 offset:1280
	ds_load_b32 v30, v38 offset:1812
	s_wait_dscnt 0x0
	v_fmac_f32_e32 v28, v29, v30
	s_or_b32 exec_lo, exec_lo, s50
	s_and_saveexec_b32 s50, s14
	s_cbranch_execz .LBB109_1001
.LBB109_1162:                           ;   in Loop: Header=BB109_3 Depth=1
	ds_load_b32 v29, v35 offset:1536
	ds_load_b32 v30, v38 offset:1816
	s_wait_dscnt 0x0
	v_fmac_f32_e32 v28, v29, v30
	s_or_b32 exec_lo, exec_lo, s50
	s_and_saveexec_b32 s50, s2
	s_cbranch_execnz .LBB109_1002
	s_branch .LBB109_1003
.LBB109_1163:
	s_endpgm
	.section	.rodata,"a",@progbits
	.p2align	6, 0x0
	.amdhsa_kernel _ZL19rocblas_trsv_deviceILi64ELi16ELb0ELb0ELb0ELb1EffPKPKfPKPfEviT7_lllT6_T8_lllPii
		.amdhsa_group_segment_fixed_size 20740
		.amdhsa_private_segment_fixed_size 0
		.amdhsa_kernarg_size 352
		.amdhsa_user_sgpr_count 2
		.amdhsa_user_sgpr_dispatch_ptr 0
		.amdhsa_user_sgpr_queue_ptr 0
		.amdhsa_user_sgpr_kernarg_segment_ptr 1
		.amdhsa_user_sgpr_dispatch_id 0
		.amdhsa_user_sgpr_kernarg_preload_length 0
		.amdhsa_user_sgpr_kernarg_preload_offset 0
		.amdhsa_user_sgpr_private_segment_size 0
		.amdhsa_wavefront_size32 1
		.amdhsa_uses_dynamic_stack 0
		.amdhsa_enable_private_segment 0
		.amdhsa_system_sgpr_workgroup_id_x 1
		.amdhsa_system_sgpr_workgroup_id_y 0
		.amdhsa_system_sgpr_workgroup_id_z 1
		.amdhsa_system_sgpr_workgroup_info 0
		.amdhsa_system_vgpr_workitem_id 1
		.amdhsa_next_free_vgpr 78
		.amdhsa_next_free_sgpr 105
		.amdhsa_named_barrier_count 0
		.amdhsa_reserve_vcc 1
		.amdhsa_float_round_mode_32 0
		.amdhsa_float_round_mode_16_64 0
		.amdhsa_float_denorm_mode_32 3
		.amdhsa_float_denorm_mode_16_64 3
		.amdhsa_fp16_overflow 0
		.amdhsa_memory_ordered 1
		.amdhsa_forward_progress 1
		.amdhsa_inst_pref_size 253
		.amdhsa_round_robin_scheduling 0
		.amdhsa_exception_fp_ieee_invalid_op 0
		.amdhsa_exception_fp_denorm_src 0
		.amdhsa_exception_fp_ieee_div_zero 0
		.amdhsa_exception_fp_ieee_overflow 0
		.amdhsa_exception_fp_ieee_underflow 0
		.amdhsa_exception_fp_ieee_inexact 0
		.amdhsa_exception_int_div_zero 0
	.end_amdhsa_kernel
	.section	.text._ZL19rocblas_trsv_deviceILi64ELi16ELb0ELb0ELb0ELb1EffPKPKfPKPfEviT7_lllT6_T8_lllPii,"axG",@progbits,_ZL19rocblas_trsv_deviceILi64ELi16ELb0ELb0ELb0ELb1EffPKPKfPKPfEviT7_lllT6_T8_lllPii,comdat
.Lfunc_end109:
	.size	_ZL19rocblas_trsv_deviceILi64ELi16ELb0ELb0ELb0ELb1EffPKPKfPKPfEviT7_lllT6_T8_lllPii, .Lfunc_end109-_ZL19rocblas_trsv_deviceILi64ELi16ELb0ELb0ELb0ELb1EffPKPKfPKPfEviT7_lllT6_T8_lllPii
                                        ; -- End function
	.set _ZL19rocblas_trsv_deviceILi64ELi16ELb0ELb0ELb0ELb1EffPKPKfPKPfEviT7_lllT6_T8_lllPii.num_vgpr, 78
	.set _ZL19rocblas_trsv_deviceILi64ELi16ELb0ELb0ELb0ELb1EffPKPKfPKPfEviT7_lllT6_T8_lllPii.num_agpr, 0
	.set _ZL19rocblas_trsv_deviceILi64ELi16ELb0ELb0ELb0ELb1EffPKPKfPKPfEviT7_lllT6_T8_lllPii.numbered_sgpr, 105
	.set _ZL19rocblas_trsv_deviceILi64ELi16ELb0ELb0ELb0ELb1EffPKPKfPKPfEviT7_lllT6_T8_lllPii.num_named_barrier, 0
	.set _ZL19rocblas_trsv_deviceILi64ELi16ELb0ELb0ELb0ELb1EffPKPKfPKPfEviT7_lllT6_T8_lllPii.private_seg_size, 0
	.set _ZL19rocblas_trsv_deviceILi64ELi16ELb0ELb0ELb0ELb1EffPKPKfPKPfEviT7_lllT6_T8_lllPii.uses_vcc, 1
	.set _ZL19rocblas_trsv_deviceILi64ELi16ELb0ELb0ELb0ELb1EffPKPKfPKPfEviT7_lllT6_T8_lllPii.uses_flat_scratch, 0
	.set _ZL19rocblas_trsv_deviceILi64ELi16ELb0ELb0ELb0ELb1EffPKPKfPKPfEviT7_lllT6_T8_lllPii.has_dyn_sized_stack, 0
	.set _ZL19rocblas_trsv_deviceILi64ELi16ELb0ELb0ELb0ELb1EffPKPKfPKPfEviT7_lllT6_T8_lllPii.has_recursion, 0
	.set _ZL19rocblas_trsv_deviceILi64ELi16ELb0ELb0ELb0ELb1EffPKPKfPKPfEviT7_lllT6_T8_lllPii.has_indirect_call, 0
	.section	.AMDGPU.csdata,"",@progbits
; Kernel info:
; codeLenInByte = 32376
; TotalNumSgprs: 107
; NumVgprs: 78
; ScratchSize: 0
; MemoryBound: 0
; FloatMode: 240
; IeeeMode: 1
; LDSByteSize: 20740 bytes/workgroup (compile time only)
; SGPRBlocks: 0
; VGPRBlocks: 4
; NumSGPRsForWavesPerEU: 107
; NumVGPRsForWavesPerEU: 78
; NamedBarCnt: 0
; Occupancy: 12
; WaveLimiterHint : 1
; COMPUTE_PGM_RSRC2:SCRATCH_EN: 0
; COMPUTE_PGM_RSRC2:USER_SGPR: 2
; COMPUTE_PGM_RSRC2:TRAP_HANDLER: 0
; COMPUTE_PGM_RSRC2:TGID_X_EN: 1
; COMPUTE_PGM_RSRC2:TGID_Y_EN: 0
; COMPUTE_PGM_RSRC2:TGID_Z_EN: 1
; COMPUTE_PGM_RSRC2:TIDIG_COMP_CNT: 1
	.section	.text._ZL19rocblas_trsv_deviceILi64ELi16ELb0ELb1ELb0ELb1EffPKPKfPKPfEviT7_lllT6_T8_lllPii,"axG",@progbits,_ZL19rocblas_trsv_deviceILi64ELi16ELb0ELb1ELb0ELb1EffPKPKfPKPfEviT7_lllT6_T8_lllPii,comdat
	.globl	_ZL19rocblas_trsv_deviceILi64ELi16ELb0ELb1ELb0ELb1EffPKPKfPKPfEviT7_lllT6_T8_lllPii ; -- Begin function _ZL19rocblas_trsv_deviceILi64ELi16ELb0ELb1ELb0ELb1EffPKPKfPKPfEviT7_lllT6_T8_lllPii
	.p2align	8
	.type	_ZL19rocblas_trsv_deviceILi64ELi16ELb0ELb1ELb0ELb1EffPKPKfPKPfEviT7_lllT6_T8_lllPii,@function
_ZL19rocblas_trsv_deviceILi64ELi16ELb0ELb1ELb0ELb1EffPKPKfPKPfEviT7_lllT6_T8_lllPii: ; @_ZL19rocblas_trsv_deviceILi64ELi16ELb0ELb1ELb0ELb1EffPKPKfPKPfEviT7_lllT6_T8_lllPii
; %bb.0:
	s_load_b32 s6, s[0:1], 0x58
	s_bfe_u32 s2, ttmp6, 0x40014
	s_lshr_b32 s3, ttmp7, 16
	s_add_co_i32 s2, s2, 1
	s_bfe_u32 s5, ttmp6, 0x40008
	s_mul_i32 s4, s3, s2
	s_getreg_b32 s2, hwreg(HW_REG_IB_STS2, 6, 4)
	s_add_co_i32 s5, s5, s4
	s_cmp_eq_u32 s2, 0
	s_mov_b32 s63, 0
	s_cselect_b32 s62, s3, s5
                                        ; implicit-def: $vgpr91 : SGPR spill to VGPR lane
	s_wait_kmcnt 0x0
	s_cmp_ge_u32 s62, s6
	v_writelane_b32 v91, s6, 0
	s_cbranch_scc1 .LBB110_1225
; %bb.1:
	s_clause 0x2
	s_load_b32 s3, s[0:1], 0x6c
	s_load_b32 s81, s[0:1], 0x0
	s_load_b64 s[14:15], s[0:1], 0x18
	s_bfe_u32 s5, ttmp6, 0x4000c
	s_and_b32 s4, ttmp6, 15
	s_add_co_i32 s5, s5, 1
	s_load_b128 s[64:67], s[0:1], 0x8
	s_mul_i32 s5, ttmp9, s5
	v_and_b32_e32 v4, 0x3ff, v0
	s_add_co_i32 s4, s4, s5
	s_cmp_eq_u32 s2, 0
	v_mov_b32_e32 v3, 0
	s_cselect_b32 s82, ttmp9, s4
	v_bfe_u32 v6, v0, 10, 10
	v_lshlrev_b32_e32 v18, 6, v4
	v_sub_co_u32 v5, s7, s82, 1
	s_delay_alu instid0(VALU_DEP_3)
	v_dual_mov_b32 v9, v3 :: v_dual_add_nc_u32 v26, 16, v6
	v_lshl_add_u32 v34, v6, 6, v4
	s_wait_kmcnt 0x0
	s_and_b32 s4, s3, 0xffff
	s_add_co_i32 s2, s81, -1
	s_ashr_i32 s3, s81, 31
	s_ashr_i32 s5, s2, 31
	s_lshr_b32 s3, s3, 26
	s_lshr_b32 s5, s5, 26
	s_add_co_i32 s3, s81, s3
	s_add_co_i32 s2, s2, s5
	s_and_not1_b32 s3, s3, 63
	s_ashr_i32 s2, s2, 6
	s_sub_co_i32 s13, s81, s3
	s_cmp_eq_u32 s2, s82
	s_load_b32 s2, s[0:1], 0x28
	s_cselect_b32 s5, -1, 0
	s_cmp_lg_u32 s13, 0
	v_mad_u32_u24 v8, v6, s4, v4
	s_cselect_b32 s6, -1, 0
	s_lshl_b32 s18, s82, 6
	s_and_b32 s29, s6, s5
	s_xor_b32 s4, s7, -1
	s_xor_b32 s85, s29, -1
	v_dual_add_nc_u32 v7, v26, v18 :: v_dual_bitop2_b32 v1, 1, v0 bitop3:0x40
	s_cmp_lt_i32 s82, 5
	v_dual_add_nc_u32 v2, v6, v18 :: v_dual_add_nc_u32 v28, s18, v4
	s_cselect_b32 vcc_lo, -1, 0
	s_ashr_i32 s19, s18, 31
	v_lshl_add_u32 v12, v26, 6, v4
	v_cmp_eq_u32_e64 s5, 0, v1
	v_and_b32_e32 v22, 3, v0
	v_cmp_gt_u32_e64 s6, 2, v4
	s_wait_kmcnt 0x0
	v_writelane_b32 v91, s2, 1
	s_add_nc_u64 s[2:3], s[14:15], 1
	v_cndmask_b32_e32 v36, v34, v2, vcc_lo
	s_mul_u64 s[16:17], s[2:3], s[18:19]
	v_cmp_gt_u32_e64 s2, 4, v34
	v_writelane_b32 v91, s4, 2
	v_cmp_eq_u32_e64 s4, 1, v1
	v_cmp_eq_u32_e64 s3, 0, v6
	s_or_b32 vcc_lo, vcc_lo, s29
	s_and_b32 s88, s5, s2
	v_cndmask_b32_e32 v37, v12, v7, vcc_lo
	s_and_b32 s87, s4, s2
	v_cmp_gt_u32_e64 s4, 16, v34
	s_and_b32 s89, s3, s6
	v_mov_b32_e32 v7, v3
	v_cmp_eq_u32_e64 s5, 3, v22
	v_cmp_ne_u32_e64 s6, 3, v22
	v_cmp_eq_u32_e64 s7, 2, v22
	v_dual_mov_b32 v27, v3 :: v_dual_bitop2_b32 v23, 7, v0 bitop3:0x40
	s_and_b32 s90, s5, s4
	v_cmp_eq_u32_e64 s5, 1, v22
	s_and_b32 s91, s6, s4
	v_cmp_eq_u32_e64 s6, 0, v22
	s_and_b32 s92, s7, s4
	v_cmp_gt_u32_e64 s7, 4, v4
	s_and_b32 s94, s5, s4
	v_cmp_gt_u32_e64 s5, 64, v34
	s_and_b32 s95, s6, s4
	v_cmp_eq_u32_e64 s6, 6, v23
	v_cmp_ne_u32_e64 s9, 7, v23
	s_and_b32 s96, s3, s7
	v_cmp_gt_u32_e64 s7, 6, v23
	v_cmp_gt_u32_e64 s8, 2, v22
	s_and_b32 s99, s6, s5
	v_cmp_eq_u32_e64 s6, 5, v23
	s_and_b32 s98, s9, s5
	v_cmp_eq_u32_e64 s9, 4, v23
	s_and_b32 s100, s7, s5
	v_cmp_gt_u32_e64 s7, 4, v23
	s_and_b32 s101, s6, s5
	v_cmp_eq_u32_e64 s6, 3, v23
	s_and_b32 s93, s8, s4
	v_cmp_eq_u32_e64 s8, 7, v23
	s_and_b32 s103, s9, s5
	s_and_b32 s104, s7, s5
	v_cmp_gt_u32_e64 s7, 3, v23
	v_cmp_gt_u32_e64 s9, 2, v23
	s_and_b32 vcc_hi, s6, s5
	v_cmp_eq_u32_e64 s6, 1, v23
	v_dual_add_nc_u32 v32, 32, v6 :: v_dual_bitop2_b32 v62, 15, v0 bitop3:0x40
	s_and_b32 s97, s8, s5
	v_cmp_gt_u32_e64 s8, 5, v23
	s_and_b32 s31, s7, s5
	s_and_b32 s34, s9, s5
	;; [unrolled: 1-line block ×3, first 2 shown]
	v_cmp_eq_u32_e64 s7, 0, v23
	v_cmp_gt_u32_e64 s6, 0x100, v34
	v_cmp_eq_u32_e64 s9, 15, v62
	s_and_b32 s102, s8, s5
	v_cmp_eq_u32_e64 s8, 2, v23
	v_cmp_ne_u32_e64 s10, 15, v62
	s_and_b32 s36, s7, s5
	s_and_b32 s7, s9, s6
	v_cmp_eq_u32_e64 s11, 14, v62
	s_and_b32 s33, s8, s5
	v_cmp_gt_u32_e64 s8, 8, v4
	v_writelane_b32 v91, s7, 3
	s_and_b32 s7, s10, s6
	s_and_b32 s40, s11, s6
	v_cmp_gt_u32_e64 s11, 12, v62
	s_and_b32 s37, s3, s8
	v_writelane_b32 v91, s7, 4
	v_cmp_gt_u32_e64 s7, 14, v62
	v_cmp_eq_u32_e64 s8, 13, v62
	s_and_b32 s45, s11, s6
	v_cmp_eq_u32_e64 s11, 9, v62
	v_cmp_gt_u32_e64 s9, 13, v62
	s_and_b32 s41, s7, s6
	s_and_b32 s42, s8, s6
	v_cmp_eq_u32_e64 s7, 11, v62
	v_cmp_gt_u32_e64 s8, 11, v62
	s_and_b32 s50, s11, s6
	v_cmp_gt_u32_e64 s11, 7, v62
	v_cmp_eq_u32_e64 s10, 12, v62
	s_and_b32 s46, s7, s6
	s_and_b32 s47, s8, s6
	v_cmp_gt_u32_e64 s7, 9, v62
	v_cmp_eq_u32_e64 s8, 8, v62
	s_and_b32 s83, s11, s6
	v_cmp_eq_u32_e64 s11, 4, v62
	s_and_b32 s43, s9, s6
	s_and_b32 s51, s7, s6
	;; [unrolled: 1-line block ×3, first 2 shown]
	v_cmp_eq_u32_e64 s7, 6, v62
	v_cmp_gt_u32_e64 s8, 6, v62
	v_cmp_eq_u32_e64 s9, 10, v62
	s_and_b32 s28, s11, s6
	v_cmp_gt_u32_e64 s11, 2, v62
	s_and_b32 s20, s7, s6
	s_and_b32 s22, s8, s6
	v_cmp_gt_u32_e64 s7, 4, v62
	v_cmp_eq_u32_e64 s8, 3, v62
	v_dual_add_nc_u32 v30, 48, v6 :: v_dual_bitop2_b32 v64, 31, v0 bitop3:0x40
	s_and_b32 s44, s10, s6
	v_cmp_gt_u32_e64 s10, 10, v62
	s_and_b32 s48, s9, s6
	v_cmp_gt_u32_e64 s9, 8, v62
	s_and_b32 s30, s7, s6
	s_and_b32 s57, s8, s6
	;; [unrolled: 1-line block ×3, first 2 shown]
	v_cmp_eq_u32_e64 s8, 1, v62
	v_cmp_gt_u32_e64 s7, 0x400, v34
	v_cmp_eq_u32_e64 s11, 31, v64
	s_and_b32 s49, s10, s6
	v_cmp_eq_u32_e64 s10, 7, v62
	s_and_b32 s53, s9, s6
	v_cmp_eq_u32_e64 s9, 5, v62
	v_cmp_ne_u32_e64 s12, 31, v64
	s_and_b32 s21, s8, s6
	s_and_b32 s8, s11, s7
	;; [unrolled: 1-line block ×3, first 2 shown]
	v_cmp_gt_u32_e64 s10, 5, v62
	s_and_b32 s24, s9, s6
	v_cmp_gt_u32_e64 s9, 3, v62
	v_writelane_b32 v91, s8, 5
	s_and_b32 s8, s12, s7
	s_and_b32 s26, s10, s6
	v_cmp_eq_u32_e64 s10, 2, v62
	s_and_b32 s58, s9, s6
	v_cmp_eq_u32_e64 s9, 0, v62
	v_writelane_b32 v91, s8, 6
	v_cmp_eq_u32_e64 s8, 30, v64
	s_and_b32 s59, s10, s6
	v_cmp_gt_u32_e64 s10, 16, v4
	s_and_b32 s23, s9, s6
	v_cmp_gt_u32_e64 s9, 30, v64
	;; [unrolled: 2-line block ×3, first 2 shown]
	v_writelane_b32 v91, s8, 7
	s_and_b32 s25, s3, s10
	v_cmp_eq_u32_e64 s10, 29, v64
	s_and_b32 s8, s9, s7
	v_cmp_eq_u32_e64 s12, 28, v64
	v_writelane_b32 v91, s8, 8
	v_cmp_eq_u32_e64 s9, 27, v64
	s_and_b32 s8, s10, s7
	v_cmp_gt_u32_e64 s10, 27, v64
	v_add_nc_u64_e32 v[24:25], s[18:19], v[8:9]
	v_writelane_b32 v91, s8, 9
	s_and_b32 s8, s11, s7
	v_cmp_eq_u32_e64 s11, 26, v64
	v_mul_u64_e32 v[12:13], s[14:15], v[6:7]
	v_dual_add_nc_u32 v7, v32, v18 :: v_dual_mov_b32 v31, v3
	v_writelane_b32 v91, s8, 10
	s_and_b32 s8, s12, s7
	v_cmp_gt_u32_e64 s12, 26, v64
	v_lshl_add_u32 v9, v32, 6, v4
	v_add_nc_u32_e32 v20, v30, v18
	v_writelane_b32 v91, s8, 11
	v_cmp_gt_u32_e64 s8, 28, v64
	v_lshl_add_u32 v21, v30, 6, v4
	s_xor_b32 s86, vcc_lo, -1
	v_mul_u64_e32 v[14:15], s[14:15], v[26:27]
	v_mul_u64_e32 v[18:19], s[14:15], v[30:31]
	s_and_b32 s8, s8, s7
	v_cndmask_b32_e32 v27, v9, v7, vcc_lo
	v_writelane_b32 v91, s8, 12
	s_and_b32 s8, s9, s7
	v_cmp_gt_u32_e64 s9, 25, v64
	v_dual_cndmask_b32 v31, v21, v20 :: v_dual_lshrrev_b32 v46, 1, v34
	v_writelane_b32 v91, s8, 13
	s_and_b32 s8, s10, s7
	v_cmp_eq_u32_e64 s10, 24, v64
	v_cmp_gt_u32_e32 vcc_lo, 22, v64
                                        ; implicit-def: $vgpr90 : SGPR spill to VGPR lane
                                        ; implicit-def: $vgpr89 : SGPR spill to VGPR lane
	v_dual_ashrrev_i32 v29, 31, v28 :: v_dual_add_nc_u32 v35, s18, v6
	v_writelane_b32 v91, s8, 14
	s_and_b32 s8, s11, s7
	v_cmp_gt_u32_e64 s11, 24, v64
	v_dual_mov_b32 v33, v3 :: v_dual_add_nc_u32 v2, s18, v8
	v_writelane_b32 v91, s8, 15
	s_and_b32 s8, s12, s7
	v_cmp_eq_u32_e64 s12, 23, v64
	v_subrev_nc_u32_e32 v20, 64, v35
	v_mul_u64_e32 v[16:17], s[14:15], v[32:33]
	v_writelane_b32 v91, s8, 16
	v_cmp_eq_u32_e64 s8, 25, v64
	v_lshrrev_b32_e32 v33, 10, v0
	v_lshlrev_b32_e32 v7, 2, v4
	v_ashrrev_i32_e32 v21, 31, v20
	v_lshl_add_u32 v44, v46, 2, 0x4000
	s_and_b32 s8, s8, s7
	v_bitop3_b32 v33, v0, v33, 0x3ff bitop3:0xa8
	v_writelane_b32 v91, s8, 17
	s_and_b32 s8, s9, s7
	v_cmp_eq_u32_e64 s9, 22, v64
	v_dual_lshlrev_b32 v0, 8, v46 :: v_dual_lshlrev_b32 v46, 2, v1
	v_writelane_b32 v91, s8, 18
	s_and_b32 s8, s10, s7
	s_and_b32 s10, s11, s7
	v_lshlrev_b32_e32 v1, 6, v34
	s_clause 0x1
	s_load_b64 s[74:75], s[0:1], 0x40
	s_load_b128 s[68:71], s[0:1], 0x30
	v_writelane_b32 v91, s8, 19
	v_cmp_gt_u32_e64 s8, 23, v64
	v_dual_sub_nc_u32 v48, 0, v0 :: v_dual_bitop2_b32 v50, -4, v34 bitop3:0x40
	v_dual_sub_nc_u32 v49, v46, v0 :: v_dual_lshlrev_b32 v52, 2, v22
	v_writelane_b32 v91, s10, 20
	s_and_b32 s10, s12, s7
	s_and_b32 s8, s8, s7
	v_and_b32_e32 v0, 0xffffff00, v1
	v_lshrrev_b32_e32 v1, 3, v34
	v_writelane_b32 v91, s10, 21
	v_lshlrev_b32_e32 v56, 2, v23
	s_load_b64 s[72:73], s[0:1], 0x50
	v_dual_sub_nc_u32 v53, 0, v0 :: v_dual_sub_nc_u32 v55, v52, v0
	v_lshlrev_b32_e32 v0, 8, v1
	v_writelane_b32 v91, s8, 22
	s_and_b32 s8, s9, s7
	v_lshl_add_u32 v57, v1, 2, 0x4000
	s_delay_alu instid0(VALU_DEP_3)
	v_dual_lshrrev_b32 v1, 4, v34 :: v_dual_sub_nc_u32 v59, 0, v0
	v_sub_nc_u32_e32 v60, v56, v0
	v_writelane_b32 v91, s8, 23
	s_and_b32 s8, vcc_lo, s7
	v_cmp_eq_u32_e32 vcc_lo, 21, v64
	v_dual_lshrrev_b32 v0, 5, v34 :: v_dual_lshlrev_b32 v22, 8, v1
	v_writelane_b32 v91, s8, 24
	v_lshlrev_b32_e32 v62, 2, v62
	s_and_b32 s8, vcc_lo, s7
	v_cmp_gt_u32_e32 vcc_lo, 21, v64
	v_lshl_add_u32 v63, v1, 2, 0x4000
	v_writelane_b32 v91, s8, 25
	v_dual_lshlrev_b32 v1, 8, v0 :: v_dual_sub_nc_u32 v66, v62, v22
	s_and_b32 s8, vcc_lo, s7
	v_cmp_eq_u32_e32 vcc_lo, 20, v64
	v_writelane_b32 v91, s8, 26
	v_mul_u64_e32 v[10:11], s[14:15], v[28:29]
	v_lshl_add_u32 v67, v0, 2, 0x4000
	v_sub_nc_u32_e32 v68, 0, v1
	s_and_b32 s8, vcc_lo, s7
	v_cmp_gt_u32_e32 vcc_lo, 20, v64
	v_writelane_b32 v91, s8, 27
	v_cmp_gt_u32_e64 s38, 0xf0, v34
                                        ; implicit-def: $vgpr88 : SGPR spill to VGPR lane
	v_mad_u32_u24 v9, 0xfc, v4, v7
	s_wait_kmcnt 0x0
	v_mul_u64_e32 v[24:25], s[74:75], v[24:25]
	s_and_b32 s8, vcc_lo, s7
	v_cmp_eq_u32_e32 vcc_lo, 19, v64
	v_writelane_b32 v91, s8, 28
	v_mad_i32_i24 v38, 0xffffff04, v4, v9
	v_mul_i32_i24_e32 v81, 0xffffff04, v4
	v_add_nc_u32_e32 v50, 0x4000, v50
	s_and_b32 s8, vcc_lo, s7
	v_cmp_gt_u32_e32 vcc_lo, 19, v64
	v_writelane_b32 v91, s8, 29
	v_mad_u32_u24 v39, 0xfc, v4, v38
	v_lshl_add_u32 v71, v8, 2, 0x5000
	v_lshl_add_u32 v72, v34, 2, 0x4000
	s_and_b32 s8, vcc_lo, s7
	v_cmp_eq_u32_e32 vcc_lo, 18, v64
	v_writelane_b32 v91, s8, 30
	v_mad_i32_i24 v40, 0xffffff04, v4, v39
	v_add_nc_u32_e32 v73, 0x4000, v7
	v_cmp_gt_u32_e64 s14, 8, v34
	s_and_b32 s8, vcc_lo, s7
	v_cmp_gt_u32_e32 vcc_lo, 18, v64
	v_writelane_b32 v91, s8, 31
	v_mad_u32_u24 v41, 0xfc, v4, v40
	v_cmp_gt_u32_e64 s15, 56, v34
	v_cmp_gt_u32_e64 s18, 32, v34
	s_and_b32 s8, vcc_lo, s7
	v_cmp_eq_u32_e32 vcc_lo, 17, v64
	v_writelane_b32 v90, s8, 0
	v_mad_i32_i24 v42, 0xffffff04, v4, v41
	v_cmp_gt_u32_e64 s19, 24, v34
	v_cmp_eq_u32_e64 s55, 0, v8
	s_and_b32 s8, vcc_lo, s7
	v_cmp_gt_u32_e32 vcc_lo, 17, v64
	v_writelane_b32 v90, s8, 1
	v_mad_u32_u24 v43, 0xfc, v4, v42
	v_cmp_gt_u32_e64 s56, 64, v8
                                        ; implicit-def: $vgpr82
                                        ; implicit-def: $vgpr83
                                        ; implicit-def: $vgpr84
                                        ; implicit-def: $vgpr85
	v_sub_nc_u32_e32 v65, 0, v22
	s_and_b32 s8, vcc_lo, s7
	v_cmp_eq_u32_e32 vcc_lo, 16, v64
	v_writelane_b32 v90, s8, 2
	v_mul_u64_e32 v[22:23], s[74:75], v[2:3]
	v_subrev_nc_u32_e32 v2, 48, v35
	v_mad_i32_i24 v45, 0xffffff04, v4, v43
	s_and_b32 s8, vcc_lo, s7
	v_cmp_gt_u32_e32 vcc_lo, 16, v64
	v_writelane_b32 v90, s8, 3
	v_lshlrev_b32_e32 v80, 2, v6
	v_mad_u32_u24 v47, 0xfc, v4, v45
	v_lshlrev_b32_e32 v79, 2, v31
	s_and_b32 s8, vcc_lo, s7
	v_cmp_eq_u32_e32 vcc_lo, 15, v64
	v_writelane_b32 v90, s8, 4
	v_mad_i32_i24 v51, 0xffffff04, v4, v47
	v_or_b32_e32 v70, 0x5000, v80
	v_lshlrev_b32_e32 v76, 2, v36
	s_and_b32 s8, vcc_lo, s7
	v_cmp_gt_u32_e32 vcc_lo, 15, v64
	v_writelane_b32 v90, s8, 5
	v_mad_u32_u24 v54, 0xfc, v4, v51
	v_lshl_add_u32 v74, v6, 8, v51
	v_add_nc_u32_e32 v75, v70, v7
	s_and_b32 s8, vcc_lo, s7
	v_cmp_eq_u32_e32 vcc_lo, 14, v64
	v_writelane_b32 v90, s8, 6
	v_mad_i32_i24 v58, 0xffffff04, v4, v54
	v_dual_lshlrev_b32 v77, 2, v37 :: v_dual_lshlrev_b32 v78, 2, v27
	s_and_b32 s8, vcc_lo, s7
	v_cmp_gt_u32_e32 vcc_lo, 14, v64
	v_writelane_b32 v90, s8, 7
	v_mad_u32_u24 v61, 0xfc, v4, v58
	v_mov_b32_e32 v27, v3
	s_and_b32 s8, vcc_lo, s7
	v_cmp_eq_u32_e32 vcc_lo, 13, v64
	v_writelane_b32 v90, s8, 8
	v_add_nc_u32_e32 v80, v61, v80
	s_and_b32 s8, vcc_lo, s7
	v_cmp_gt_u32_e32 vcc_lo, 13, v64
	v_writelane_b32 v90, s8, 9
	s_and_b32 s8, vcc_lo, s7
	v_cmp_eq_u32_e32 vcc_lo, 12, v64
	v_writelane_b32 v90, s8, 10
	s_and_b32 s8, vcc_lo, s7
	v_cmp_gt_u32_e32 vcc_lo, 12, v64
	v_writelane_b32 v90, s8, 11
	s_and_b32 s8, vcc_lo, s7
	v_cmp_eq_u32_e32 vcc_lo, 11, v64
	v_writelane_b32 v90, s8, 12
	;; [unrolled: 6-line block ×12, first 2 shown]
	s_and_b32 s8, vcc_lo, s7
	v_cmp_eq_u32_e32 vcc_lo, 0, v64
	v_writelane_b32 v89, s8, 1
	v_cmp_gt_u32_e64 s8, 32, v4
	v_lshlrev_b32_e32 v64, 2, v64
	s_and_b32 s27, vcc_lo, s7
	v_cmp_le_i32_e32 vcc_lo, s13, v4
	s_and_b32 s8, s3, s8
	s_delay_alu instid0(VALU_DEP_2)
	v_sub_nc_u32_e32 v69, v64, v1
	v_writelane_b32 v89, s8, 2
	v_mul_u64_e32 v[0:1], s[74:75], v[28:29]
	s_and_b32 s9, vcc_lo, s29
	v_or_b32_e32 v29, v32, v4
	s_xor_b32 s8, s9, -1
	v_writelane_b32 v89, s9, 3
	s_and_b32 s29, s3, s8
	v_cmp_le_i32_e64 s8, s13, v6
	s_cmp_gt_i32 s82, 0
	s_cselect_b32 s80, -1, 0
	s_lshl_b64 s[76:77], s[16:17], 2
	s_or_b32 s9, s8, vcc_lo
	v_cmp_le_i32_e64 s8, s13, v26
	v_cmp_gt_u32_e64 s16, 48, v34
	v_cmp_gt_u32_e64 s17, 40, v34
	s_lshl_b64 s[66:67], s[66:67], 2
	s_lshl_b64 s[70:71], s[70:71], 2
	s_or_b32 s10, s8, vcc_lo
	v_cmp_le_i32_e64 s8, s13, v32
	s_or_b32 s11, s8, vcc_lo
	v_cmp_le_i32_e64 s8, s13, v30
	s_or_b32 s12, s8, vcc_lo
	v_cmp_gt_i32_e32 vcc_lo, s13, v4
	v_cmp_gt_u32_e64 s13, 12, v34
	s_and_b32 s0, s3, vcc_lo
	v_cmp_gt_i32_e32 vcc_lo, s81, v20
	v_writelane_b32 v89, s0, 4
	v_cmp_gt_i32_e64 s0, s81, v28
	v_subrev_nc_u32_e32 v28, 32, v35
	s_and_b32 s1, vcc_lo, s0
	v_cmp_gt_i32_e32 vcc_lo, s81, v2
	v_writelane_b32 v89, s1, 5
	v_dual_add_nc_u32 v2, -16, v35 :: v_dual_bitop2_b32 v35, v30, v4 bitop3:0x54
	s_and_b32 s1, vcc_lo, s0
	v_cmp_gt_i32_e32 vcc_lo, s81, v28
	v_writelane_b32 v89, s1, 6
	v_mov_b32_e32 v28, 1.0
	s_and_b32 s1, vcc_lo, s0
	v_cmp_gt_i32_e32 vcc_lo, s81, v2
	v_writelane_b32 v89, s1, 7
	v_or_b32_e32 v2, v26, v4
	s_and_b32 s1, vcc_lo, s0
	s_delay_alu instid0(SALU_CYCLE_1) | instskip(SKIP_2) | instid1(SALU_CYCLE_1)
	v_writelane_b32 v89, s1, 8
	v_cmp_ge_u32_e64 s1, v4, v6
	s_or_b32 s8, s9, s1
	v_writelane_b32 v89, s8, 9
	v_cmp_ge_u32_e64 s8, v4, v26
	v_mad_u32_u24 v26, 0xfc, v4, v81
	s_or_b32 s9, s10, s8
	s_delay_alu instid0(VALU_DEP_1) | instskip(SKIP_4) | instid1(SALU_CYCLE_1)
	v_mad_u32 v81, v26, 7, v7
	v_writelane_b32 v89, s9, 10
	v_cmp_ge_u32_e64 s9, v4, v32
	v_lshlrev_b32_e32 v26, 2, v4
	s_or_b32 s10, s11, s9
	v_writelane_b32 v89, s10, 11
	v_cmp_ge_u32_e64 s10, v4, v30
	s_or_b32 s11, s12, s10
	v_cmp_gt_u32_e64 s12, 2, v34
	v_writelane_b32 v89, s11, 12
	v_cmp_eq_u32_e64 s11, 0, v33
	v_writelane_b32 v89, s38, 13
	v_cmp_gt_u32_e64 s38, 0xe0, v34
	s_delay_alu instid0(VALU_DEP_1) | instskip(SKIP_1) | instid1(VALU_DEP_1)
	v_writelane_b32 v89, s38, 14
	v_cmp_gt_u32_e64 s38, 0xd0, v34
	v_writelane_b32 v89, s38, 15
	v_cmp_gt_u32_e64 s38, 0xc0, v34
	s_delay_alu instid0(VALU_DEP_1) | instskip(SKIP_1) | instid1(VALU_DEP_1)
	v_writelane_b32 v89, s38, 16
	v_cmp_gt_u32_e64 s38, 0xb0, v34
	;; [unrolled: 5-line block ×18, first 2 shown]
	v_writelane_b32 v88, s38, 17
	v_cmp_gt_u32_e64 s38, 64, v35
	s_delay_alu instid0(VALU_DEP_1)
	v_writelane_b32 v88, s38, 18
	s_branch .LBB110_3
.LBB110_2:                              ;   in Loop: Header=BB110_3 Depth=1
	s_wait_xcnt 0x0
	s_or_b32 exec_lo, exec_lo, s38
	v_readlane_b32 s38, v91, 0
	s_add_co_i32 s62, s62, 0x10000
	global_wb scope:SCOPE_DEV
	s_wait_storecnt 0x0
	global_inv scope:SCOPE_DEV
	s_cmp_lt_u32 s62, s38
	s_cbranch_scc0 .LBB110_1225
.LBB110_3:                              ; =>This Loop Header: Depth=1
                                        ;     Child Loop BB110_1094 Depth 2
                                        ;       Child Loop BB110_1096 Depth 3
                                        ;     Child Loop BB110_1131 Depth 2
	v_mov_b32_e32 v2, s62
	v_readlane_b32 s38, v91, 2
	s_clause 0x1
	global_load_b64 v[30:31], v2, s[64:65] scale_offset
	global_load_b64 v[32:33], v2, s[68:69] scale_offset
	s_and_not1_b32 vcc_lo, exec_lo, s38
	s_wait_loadcnt 0x1
	v_add_nc_u64_e32 v[34:35], s[66:67], v[30:31]
	s_delay_alu instid0(VALU_DEP_1)
	v_lshl_add_u64 v[30:31], v[10:11], 2, v[34:35]
	s_cbranch_vccnz .LBB110_13
; %bb.4:                                ;   in Loop: Header=BB110_3 Depth=1
	s_delay_alu instid0(VALU_DEP_1)
	v_lshl_add_u64 v[36:37], v[20:21], 2, v[30:31]
	v_dual_mov_b32 v83, 0 :: v_dual_mov_b32 v82, 0
	s_wait_loadcnt 0x0
	s_barrier_signal -1
	s_barrier_wait -1
	s_wait_xcnt 0x0
	s_mov_b32 s38, exec_lo
	v_readlane_b32 s39, v89, 5
	s_and_b32 s39, s38, s39
	s_delay_alu instid0(SALU_CYCLE_1)
	s_mov_b32 exec_lo, s39
	s_cbranch_execz .LBB110_6
; %bb.5:                                ;   in Loop: Header=BB110_3 Depth=1
	flat_load_b32 v82, v[36:37]
.LBB110_6:                              ;   in Loop: Header=BB110_3 Depth=1
	s_wait_xcnt 0x0
	s_or_b32 exec_lo, exec_lo, s38
	s_wait_loadcnt_dscnt 0x0
	s_barrier_signal -1
	s_barrier_wait -1
	s_mov_b32 s38, exec_lo
	v_readlane_b32 s39, v89, 6
	s_and_b32 s39, s38, s39
	s_delay_alu instid0(SALU_CYCLE_1)
	s_mov_b32 exec_lo, s39
	s_cbranch_execz .LBB110_8
; %bb.7:                                ;   in Loop: Header=BB110_3 Depth=1
	flat_load_b32 v83, v[36:37] offset:64
.LBB110_8:                              ;   in Loop: Header=BB110_3 Depth=1
	s_wait_xcnt 0x0
	s_or_b32 exec_lo, exec_lo, s38
	v_dual_mov_b32 v85, 0 :: v_dual_mov_b32 v84, 0
	s_wait_loadcnt_dscnt 0x0
	s_barrier_signal -1
	s_barrier_wait -1
	s_mov_b32 s38, exec_lo
	v_readlane_b32 s39, v89, 7
	s_and_b32 s39, s38, s39
	s_delay_alu instid0(SALU_CYCLE_1)
	s_mov_b32 exec_lo, s39
	s_cbranch_execz .LBB110_10
; %bb.9:                                ;   in Loop: Header=BB110_3 Depth=1
	flat_load_b32 v84, v[36:37] offset:128
.LBB110_10:                             ;   in Loop: Header=BB110_3 Depth=1
	s_wait_xcnt 0x0
	s_or_b32 exec_lo, exec_lo, s38
	s_wait_loadcnt_dscnt 0x0
	s_barrier_signal -1
	s_barrier_wait -1
	s_mov_b32 s38, exec_lo
	v_readlane_b32 s39, v89, 8
	s_and_b32 s39, s38, s39
	s_delay_alu instid0(SALU_CYCLE_1)
	s_mov_b32 exec_lo, s39
	s_cbranch_execz .LBB110_12
; %bb.11:                               ;   in Loop: Header=BB110_3 Depth=1
	flat_load_b32 v85, v[36:37] offset:192
.LBB110_12:                             ;   in Loop: Header=BB110_3 Depth=1
	s_wait_xcnt 0x0
	s_or_b32 exec_lo, exec_lo, s38
.LBB110_13:                             ;   in Loop: Header=BB110_3 Depth=1
	v_add_nc_u64_e32 v[34:35], s[76:77], v[34:35]
	s_and_not1_b32 vcc_lo, exec_lo, s85
	s_mov_b32 s38, -1
	s_delay_alu instid0(VALU_DEP_1)
	v_add_nc_u64_e32 v[34:35], v[34:35], v[26:27]
	s_cbranch_vccnz .LBB110_24
; %bb.14:                               ;   in Loop: Header=BB110_3 Depth=1
	s_wait_xcnt 0x0
	s_and_saveexec_b32 s38, s1
	s_delay_alu instid0(SALU_CYCLE_1)
	s_xor_b32 s38, exec_lo, s38
	s_cbranch_execnz .LBB110_1152
; %bb.15:                               ;   in Loop: Header=BB110_3 Depth=1
	s_and_not1_saveexec_b32 s38, s38
	s_cbranch_execnz .LBB110_1155
.LBB110_16:                             ;   in Loop: Header=BB110_3 Depth=1
	s_or_b32 exec_lo, exec_lo, s38
	s_and_saveexec_b32 s38, s8
	s_delay_alu instid0(SALU_CYCLE_1)
	s_xor_b32 s38, exec_lo, s38
	s_cbranch_execnz .LBB110_1156
.LBB110_17:                             ;   in Loop: Header=BB110_3 Depth=1
	s_and_not1_saveexec_b32 s38, s38
	s_cbranch_execnz .LBB110_1159
.LBB110_18:                             ;   in Loop: Header=BB110_3 Depth=1
	s_or_b32 exec_lo, exec_lo, s38
	s_and_saveexec_b32 s38, s9
	s_delay_alu instid0(SALU_CYCLE_1)
	s_xor_b32 s38, exec_lo, s38
	s_cbranch_execnz .LBB110_1160
.LBB110_19:                             ;   in Loop: Header=BB110_3 Depth=1
	s_and_not1_saveexec_b32 s38, s38
	s_cbranch_execnz .LBB110_1163
.LBB110_20:                             ;   in Loop: Header=BB110_3 Depth=1
	s_or_b32 exec_lo, exec_lo, s38
	s_and_saveexec_b32 s38, s10
	s_delay_alu instid0(SALU_CYCLE_1)
	s_xor_b32 s38, exec_lo, s38
	s_cbranch_execnz .LBB110_1164
.LBB110_21:                             ;   in Loop: Header=BB110_3 Depth=1
	s_and_not1_saveexec_b32 s38, s38
	s_cbranch_execz .LBB110_23
.LBB110_22:                             ;   in Loop: Header=BB110_3 Depth=1
	v_lshl_add_u64 v[36:37], v[18:19], 2, v[34:35]
	flat_load_b32 v2, v[36:37]
	s_wait_loadcnt_dscnt 0x0
	v_xor_b32_e32 v2, 0x80000000, v2
	ds_store_b32 v79, v2
.LBB110_23:                             ;   in Loop: Header=BB110_3 Depth=1
	s_or_b32 exec_lo, exec_lo, s38
	s_mov_b32 s38, 0
.LBB110_24:                             ;   in Loop: Header=BB110_3 Depth=1
	s_delay_alu instid0(SALU_CYCLE_1)
	s_and_b32 vcc_lo, exec_lo, s38
	s_cbranch_vccz .LBB110_50
; %bb.25:                               ;   in Loop: Header=BB110_3 Depth=1
	s_wait_xcnt 0x0
	s_mov_b32 s38, exec_lo
	v_readlane_b32 s39, v89, 9
	s_and_b32 s39, s38, s39
	s_delay_alu instid0(SALU_CYCLE_1)
	s_xor_b32 s38, s39, s38
	s_mov_b32 exec_lo, s39
	s_cbranch_execz .LBB110_29
; %bb.26:                               ;   in Loop: Header=BB110_3 Depth=1
	s_mov_b32 s39, exec_lo
	v_readlane_b32 s61, v88, 15
	s_and_b32 s61, s39, s61
	s_delay_alu instid0(SALU_CYCLE_1)
	s_mov_b32 exec_lo, s61
; %bb.27:                               ;   in Loop: Header=BB110_3 Depth=1
	ds_store_b32 v80, v3
; %bb.28:                               ;   in Loop: Header=BB110_3 Depth=1
	s_or_b32 exec_lo, exec_lo, s39
.LBB110_29:                             ;   in Loop: Header=BB110_3 Depth=1
	s_and_not1_saveexec_b32 s38, s38
	s_cbranch_execz .LBB110_31
; %bb.30:                               ;   in Loop: Header=BB110_3 Depth=1
	v_lshl_add_u64 v[36:37], v[12:13], 2, v[34:35]
	flat_load_b32 v2, v[36:37]
	s_wait_loadcnt_dscnt 0x0
	v_xor_b32_e32 v2, 0x80000000, v2
	ds_store_b32 v80, v2
.LBB110_31:                             ;   in Loop: Header=BB110_3 Depth=1
	s_or_b32 exec_lo, exec_lo, s38
	s_delay_alu instid0(SALU_CYCLE_1) | instskip(SKIP_2) | instid1(SALU_CYCLE_1)
	s_mov_b32 s38, exec_lo
	v_readlane_b32 s39, v89, 10
	s_and_b32 s39, s38, s39
	s_xor_b32 s38, s39, s38
	s_mov_b32 exec_lo, s39
	s_cbranch_execz .LBB110_35
; %bb.32:                               ;   in Loop: Header=BB110_3 Depth=1
	s_mov_b32 s39, exec_lo
	v_readlane_b32 s61, v88, 16
	s_and_b32 s61, s39, s61
	s_delay_alu instid0(SALU_CYCLE_1)
	s_mov_b32 exec_lo, s61
; %bb.33:                               ;   in Loop: Header=BB110_3 Depth=1
	ds_store_b32 v77, v3
; %bb.34:                               ;   in Loop: Header=BB110_3 Depth=1
	s_or_b32 exec_lo, exec_lo, s39
.LBB110_35:                             ;   in Loop: Header=BB110_3 Depth=1
	s_and_not1_saveexec_b32 s38, s38
	s_cbranch_execz .LBB110_37
; %bb.36:                               ;   in Loop: Header=BB110_3 Depth=1
	v_lshl_add_u64 v[36:37], v[14:15], 2, v[34:35]
	flat_load_b32 v2, v[36:37]
	s_wait_loadcnt_dscnt 0x0
	v_xor_b32_e32 v2, 0x80000000, v2
	ds_store_b32 v77, v2
.LBB110_37:                             ;   in Loop: Header=BB110_3 Depth=1
	s_or_b32 exec_lo, exec_lo, s38
	s_delay_alu instid0(SALU_CYCLE_1) | instskip(SKIP_2) | instid1(SALU_CYCLE_1)
	s_mov_b32 s38, exec_lo
	v_readlane_b32 s39, v89, 11
	s_and_b32 s39, s38, s39
	s_xor_b32 s38, s39, s38
	s_mov_b32 exec_lo, s39
	s_cbranch_execz .LBB110_41
; %bb.38:                               ;   in Loop: Header=BB110_3 Depth=1
	s_mov_b32 s39, exec_lo
	v_readlane_b32 s61, v88, 17
	s_and_b32 s61, s39, s61
	s_delay_alu instid0(SALU_CYCLE_1)
	s_mov_b32 exec_lo, s61
; %bb.39:                               ;   in Loop: Header=BB110_3 Depth=1
	ds_store_b32 v78, v3
; %bb.40:                               ;   in Loop: Header=BB110_3 Depth=1
	s_or_b32 exec_lo, exec_lo, s39
.LBB110_41:                             ;   in Loop: Header=BB110_3 Depth=1
	s_and_not1_saveexec_b32 s38, s38
	s_cbranch_execz .LBB110_43
; %bb.42:                               ;   in Loop: Header=BB110_3 Depth=1
	v_lshl_add_u64 v[36:37], v[16:17], 2, v[34:35]
	flat_load_b32 v2, v[36:37]
	s_wait_loadcnt_dscnt 0x0
	v_xor_b32_e32 v2, 0x80000000, v2
	ds_store_b32 v78, v2
.LBB110_43:                             ;   in Loop: Header=BB110_3 Depth=1
	s_or_b32 exec_lo, exec_lo, s38
	s_delay_alu instid0(SALU_CYCLE_1) | instskip(SKIP_2) | instid1(SALU_CYCLE_1)
	s_mov_b32 s38, exec_lo
	v_readlane_b32 s39, v89, 12
	s_and_b32 s39, s38, s39
	s_xor_b32 s38, s39, s38
	s_mov_b32 exec_lo, s39
	s_cbranch_execz .LBB110_47
; %bb.44:                               ;   in Loop: Header=BB110_3 Depth=1
	s_mov_b32 s39, exec_lo
	v_readlane_b32 s61, v88, 18
	s_and_b32 s61, s39, s61
	s_delay_alu instid0(SALU_CYCLE_1)
	s_mov_b32 exec_lo, s61
; %bb.45:                               ;   in Loop: Header=BB110_3 Depth=1
	ds_store_b32 v79, v3
; %bb.46:                               ;   in Loop: Header=BB110_3 Depth=1
	s_or_b32 exec_lo, exec_lo, s39
                                        ; implicit-def: $vgpr34_vgpr35
.LBB110_47:                             ;   in Loop: Header=BB110_3 Depth=1
	s_and_not1_saveexec_b32 s38, s38
	s_cbranch_execz .LBB110_49
; %bb.48:                               ;   in Loop: Header=BB110_3 Depth=1
	v_lshl_add_u64 v[34:35], v[18:19], 2, v[34:35]
	flat_load_b32 v2, v[34:35]
	s_wait_loadcnt_dscnt 0x0
	v_xor_b32_e32 v2, 0x80000000, v2
	ds_store_b32 v79, v2
.LBB110_49:                             ;   in Loop: Header=BB110_3 Depth=1
	s_or_b32 exec_lo, exec_lo, s38
.LBB110_50:                             ;   in Loop: Header=BB110_3 Depth=1
	s_delay_alu instid0(SALU_CYCLE_1)
	s_and_not1_b32 vcc_lo, exec_lo, s86
	s_wait_loadcnt_dscnt 0x0
	s_barrier_signal -1
	s_barrier_wait -1
	s_cbranch_vccnz .LBB110_1088
; %bb.51:                               ;   in Loop: Header=BB110_3 Depth=1
	s_wait_xcnt 0x0
	s_and_saveexec_b32 s38, s11
	s_cbranch_execz .LBB110_53
; %bb.52:                               ;   in Loop: Header=BB110_3 Depth=1
	ds_load_b32 v29, v3 offset:16376
	ds_store_b32 v3, v28 offset:16380
	s_wait_dscnt 0x1
	ds_store_b64 v3, v[28:29] offset:16120
.LBB110_53:                             ;   in Loop: Header=BB110_3 Depth=1
	s_or_b32 exec_lo, exec_lo, s38
	v_mov_b32_e32 v2, 0
	s_wait_dscnt 0x0
	s_barrier_signal -1
	s_barrier_wait -1
	global_wb scope:SCOPE_DEV
	s_wait_storecnt 0x0
	global_inv scope:SCOPE_DEV
	s_and_saveexec_b32 s38, s2
	s_cbranch_execz .LBB110_57
; %bb.54:                               ;   in Loop: Header=BB110_3 Depth=1
	ds_load_b32 v2, v46 offset:16112
	ds_load_b32 v29, v48 offset:16376
	s_wait_dscnt 0x0
	v_fma_f32 v2, v2, v29, 0
	s_and_saveexec_b32 s39, s12
	s_cbranch_execz .LBB110_56
; %bb.55:                               ;   in Loop: Header=BB110_3 Depth=1
	ds_load_b32 v29, v7 offset:16368
	ds_load_b32 v34, v3 offset:16380
	s_wait_dscnt 0x0
	v_fmac_f32_e32 v2, v29, v34
.LBB110_56:                             ;   in Loop: Header=BB110_3 Depth=1
	s_or_b32 exec_lo, exec_lo, s39
.LBB110_57:                             ;   in Loop: Header=BB110_3 Depth=1
	s_delay_alu instid0(SALU_CYCLE_1)
	s_or_b32 exec_lo, exec_lo, s38
	s_and_saveexec_b32 s38, s87
; %bb.58:                               ;   in Loop: Header=BB110_3 Depth=1
	s_delay_alu instid0(VALU_DEP_1)
	v_xor_b32_e32 v29, 0x80000000, v2
	ds_store_b32 v44, v29
; %bb.59:                               ;   in Loop: Header=BB110_3 Depth=1
	s_or_b32 exec_lo, exec_lo, s38
	s_wait_loadcnt_dscnt 0x0
	s_barrier_signal -1
	s_barrier_wait -1
	s_and_saveexec_b32 s38, s88
	s_cbranch_execz .LBB110_61
; %bb.60:                               ;   in Loop: Header=BB110_3 Depth=1
	ds_load_b32 v29, v3 offset:15856
	ds_load_b32 v34, v44
	s_wait_dscnt 0x0
	v_fma_f32 v2, -v29, v34, v2
.LBB110_61:                             ;   in Loop: Header=BB110_3 Depth=1
	s_or_b32 exec_lo, exec_lo, s38
	s_barrier_signal -1
	s_barrier_wait -1
	s_and_saveexec_b32 s38, s88
; %bb.62:                               ;   in Loop: Header=BB110_3 Depth=1
	v_xor_b32_e32 v29, 0x80000000, v2
	ds_store_b32 v44, v29
; %bb.63:                               ;   in Loop: Header=BB110_3 Depth=1
	s_or_b32 exec_lo, exec_lo, s38
	s_wait_dscnt 0x0
	s_barrier_signal -1
	s_barrier_wait -1
	s_barrier_signal -1
	s_barrier_wait -1
	s_and_saveexec_b32 s38, s2
; %bb.64:                               ;   in Loop: Header=BB110_3 Depth=1
	ds_store_b32 v49, v2 offset:16368
; %bb.65:                               ;   in Loop: Header=BB110_3 Depth=1
	s_or_b32 exec_lo, exec_lo, s38
	s_wait_dscnt 0x0
	s_barrier_signal -1
	s_barrier_wait -1
	s_barrier_signal -1
	s_barrier_wait -1
	s_and_saveexec_b32 s38, s89
	s_cbranch_execz .LBB110_67
; %bb.66:                               ;   in Loop: Header=BB110_3 Depth=1
	ds_load_b32 v2, v9 offset:16112
	s_wait_dscnt 0x0
	ds_store_b32 v7, v2 offset:15608
	ds_load_b32 v2, v9 offset:16116
	s_wait_dscnt 0x0
	ds_store_b32 v7, v2 offset:15864
.LBB110_67:                             ;   in Loop: Header=BB110_3 Depth=1
	s_or_b32 exec_lo, exec_lo, s38
	s_wait_dscnt 0x0
	s_barrier_signal -1
	s_barrier_wait -1
	s_and_saveexec_b32 s38, s11
	s_cbranch_execz .LBB110_69
; %bb.68:                               ;   in Loop: Header=BB110_3 Depth=1
	ds_load_b32 v29, v3 offset:15856
	ds_store_b32 v3, v28 offset:15860
	s_wait_dscnt 0x1
	ds_store_b64 v3, v[28:29] offset:15600
.LBB110_69:                             ;   in Loop: Header=BB110_3 Depth=1
	s_or_b32 exec_lo, exec_lo, s38
	v_mov_b32_e32 v2, 0
	s_wait_dscnt 0x0
	s_barrier_signal -1
	s_barrier_wait -1
	global_wb scope:SCOPE_DEV
	s_wait_storecnt 0x0
	global_inv scope:SCOPE_DEV
	s_and_saveexec_b32 s61, s4
	s_cbranch_execz .LBB110_75
; %bb.70:                               ;   in Loop: Header=BB110_3 Depth=1
	ds_load_b32 v2, v52 offset:15584
	ds_load_b32 v29, v53 offset:16368
	s_wait_dscnt 0x0
	v_fma_f32 v2, v2, v29, 0
	s_and_saveexec_b32 s38, s13
	s_cbranch_execnz .LBB110_1175
; %bb.71:                               ;   in Loop: Header=BB110_3 Depth=1
	s_or_b32 exec_lo, exec_lo, s38
	s_and_saveexec_b32 s38, s14
	s_cbranch_execnz .LBB110_1176
.LBB110_72:                             ;   in Loop: Header=BB110_3 Depth=1
	s_or_b32 exec_lo, exec_lo, s38
	s_and_saveexec_b32 s38, s2
	s_cbranch_execz .LBB110_74
.LBB110_73:                             ;   in Loop: Header=BB110_3 Depth=1
	ds_load_b32 v29, v38 offset:16352
	ds_load_b32 v34, v3 offset:16380
	s_wait_dscnt 0x0
	v_fmac_f32_e32 v2, v29, v34
.LBB110_74:                             ;   in Loop: Header=BB110_3 Depth=1
	s_or_b32 exec_lo, exec_lo, s38
.LBB110_75:                             ;   in Loop: Header=BB110_3 Depth=1
	s_delay_alu instid0(SALU_CYCLE_1)
	s_or_b32 exec_lo, exec_lo, s61
	s_and_saveexec_b32 s38, s90
; %bb.76:                               ;   in Loop: Header=BB110_3 Depth=1
	s_delay_alu instid0(VALU_DEP_1)
	v_xor_b32_e32 v29, 0x80000000, v2
	ds_store_b32 v50, v29
; %bb.77:                               ;   in Loop: Header=BB110_3 Depth=1
	s_or_b32 exec_lo, exec_lo, s38
	s_wait_loadcnt_dscnt 0x0
	s_barrier_signal -1
	s_barrier_wait -1
	s_and_saveexec_b32 s38, s91
	s_cbranch_execz .LBB110_79
; %bb.78:                               ;   in Loop: Header=BB110_3 Depth=1
	ds_load_b32 v29, v52 offset:15328
	ds_load_b32 v34, v50
	s_wait_dscnt 0x0
	v_fma_f32 v2, -v29, v34, v2
.LBB110_79:                             ;   in Loop: Header=BB110_3 Depth=1
	s_or_b32 exec_lo, exec_lo, s38
	s_barrier_signal -1
	s_barrier_wait -1
	s_and_saveexec_b32 s38, s92
; %bb.80:                               ;   in Loop: Header=BB110_3 Depth=1
	v_xor_b32_e32 v29, 0x80000000, v2
	ds_store_b32 v50, v29
; %bb.81:                               ;   in Loop: Header=BB110_3 Depth=1
	s_or_b32 exec_lo, exec_lo, s38
	s_wait_dscnt 0x0
	s_barrier_signal -1
	s_barrier_wait -1
	s_and_saveexec_b32 s38, s93
	s_cbranch_execz .LBB110_83
; %bb.82:                               ;   in Loop: Header=BB110_3 Depth=1
	ds_load_b32 v29, v52 offset:15072
	ds_load_b32 v34, v50
	s_wait_dscnt 0x0
	v_fma_f32 v2, -v29, v34, v2
.LBB110_83:                             ;   in Loop: Header=BB110_3 Depth=1
	s_or_b32 exec_lo, exec_lo, s38
	s_barrier_signal -1
	s_barrier_wait -1
	s_and_saveexec_b32 s38, s94
; %bb.84:                               ;   in Loop: Header=BB110_3 Depth=1
	v_xor_b32_e32 v29, 0x80000000, v2
	ds_store_b32 v50, v29
; %bb.85:                               ;   in Loop: Header=BB110_3 Depth=1
	s_or_b32 exec_lo, exec_lo, s38
	s_wait_dscnt 0x0
	;; [unrolled: 20-line block ×3, first 2 shown]
	s_barrier_signal -1
	s_barrier_wait -1
	s_barrier_signal -1
	s_barrier_wait -1
	s_and_saveexec_b32 s38, s4
; %bb.90:                               ;   in Loop: Header=BB110_3 Depth=1
	ds_store_b32 v55, v2 offset:16352
; %bb.91:                               ;   in Loop: Header=BB110_3 Depth=1
	s_or_b32 exec_lo, exec_lo, s38
	s_wait_dscnt 0x0
	s_barrier_signal -1
	s_barrier_wait -1
	s_barrier_signal -1
	s_barrier_wait -1
	s_and_saveexec_b32 s38, s96
	s_cbranch_execz .LBB110_93
; %bb.92:                               ;   in Loop: Header=BB110_3 Depth=1
	ds_load_b32 v2, v39 offset:15584
	s_wait_dscnt 0x0
	ds_store_b32 v40, v2 offset:14576
	ds_load_b32 v2, v39 offset:15588
	s_wait_dscnt 0x0
	ds_store_b32 v40, v2 offset:14832
	;; [unrolled: 3-line block ×4, first 2 shown]
.LBB110_93:                             ;   in Loop: Header=BB110_3 Depth=1
	s_or_b32 exec_lo, exec_lo, s38
	s_wait_dscnt 0x0
	s_barrier_signal -1
	s_barrier_wait -1
	s_and_saveexec_b32 s38, s11
	s_cbranch_execz .LBB110_95
; %bb.94:                               ;   in Loop: Header=BB110_3 Depth=1
	ds_load_b32 v29, v3 offset:15336
	ds_store_b32 v3, v28 offset:15340
	s_wait_dscnt 0x1
	ds_store_b64 v3, v[28:29] offset:15080
.LBB110_95:                             ;   in Loop: Header=BB110_3 Depth=1
	s_or_b32 exec_lo, exec_lo, s38
	v_mov_b32_e32 v2, 0
	s_wait_dscnt 0x0
	s_barrier_signal -1
	s_barrier_wait -1
	global_wb scope:SCOPE_DEV
	s_wait_storecnt 0x0
	global_inv scope:SCOPE_DEV
	s_and_saveexec_b32 s38, s2
	s_cbranch_execz .LBB110_99
; %bb.96:                               ;   in Loop: Header=BB110_3 Depth=1
	ds_load_b32 v2, v46 offset:15072
	ds_load_b32 v29, v48 offset:15336
	s_wait_dscnt 0x0
	v_fma_f32 v2, v2, v29, 0
	s_and_saveexec_b32 s39, s12
	s_cbranch_execz .LBB110_98
; %bb.97:                               ;   in Loop: Header=BB110_3 Depth=1
	ds_load_b32 v29, v40 offset:15328
	ds_load_b32 v34, v3 offset:15340
	s_wait_dscnt 0x0
	v_fmac_f32_e32 v2, v29, v34
.LBB110_98:                             ;   in Loop: Header=BB110_3 Depth=1
	s_or_b32 exec_lo, exec_lo, s39
.LBB110_99:                             ;   in Loop: Header=BB110_3 Depth=1
	s_delay_alu instid0(SALU_CYCLE_1)
	s_or_b32 exec_lo, exec_lo, s38
	s_and_saveexec_b32 s38, s87
; %bb.100:                              ;   in Loop: Header=BB110_3 Depth=1
	s_delay_alu instid0(VALU_DEP_1)
	v_xor_b32_e32 v29, 0x80000000, v2
	ds_store_b32 v44, v29
; %bb.101:                              ;   in Loop: Header=BB110_3 Depth=1
	s_or_b32 exec_lo, exec_lo, s38
	s_wait_loadcnt_dscnt 0x0
	s_barrier_signal -1
	s_barrier_wait -1
	s_and_saveexec_b32 s38, s88
	s_cbranch_execz .LBB110_103
; %bb.102:                              ;   in Loop: Header=BB110_3 Depth=1
	ds_load_b32 v29, v3 offset:14816
	ds_load_b32 v34, v44
	s_wait_dscnt 0x0
	v_fma_f32 v2, -v29, v34, v2
.LBB110_103:                            ;   in Loop: Header=BB110_3 Depth=1
	s_or_b32 exec_lo, exec_lo, s38
	s_barrier_signal -1
	s_barrier_wait -1
	s_and_saveexec_b32 s38, s88
; %bb.104:                              ;   in Loop: Header=BB110_3 Depth=1
	v_xor_b32_e32 v29, 0x80000000, v2
	ds_store_b32 v44, v29
; %bb.105:                              ;   in Loop: Header=BB110_3 Depth=1
	s_or_b32 exec_lo, exec_lo, s38
	s_wait_dscnt 0x0
	s_barrier_signal -1
	s_barrier_wait -1
	s_barrier_signal -1
	s_barrier_wait -1
	s_and_saveexec_b32 s38, s2
; %bb.106:                              ;   in Loop: Header=BB110_3 Depth=1
	ds_store_b32 v49, v2 offset:15328
; %bb.107:                              ;   in Loop: Header=BB110_3 Depth=1
	s_or_b32 exec_lo, exec_lo, s38
	s_wait_dscnt 0x0
	s_barrier_signal -1
	s_barrier_wait -1
	s_barrier_signal -1
	s_barrier_wait -1
	s_and_saveexec_b32 s38, s89
	s_cbranch_execz .LBB110_109
; %bb.108:                              ;   in Loop: Header=BB110_3 Depth=1
	ds_load_b32 v2, v41 offset:15072
	s_wait_dscnt 0x0
	ds_store_b32 v40, v2 offset:14568
	ds_load_b32 v2, v41 offset:15076
	s_wait_dscnt 0x0
	ds_store_b32 v40, v2 offset:14824
.LBB110_109:                            ;   in Loop: Header=BB110_3 Depth=1
	s_or_b32 exec_lo, exec_lo, s38
	s_wait_dscnt 0x0
	s_barrier_signal -1
	s_barrier_wait -1
	s_and_saveexec_b32 s38, s11
	s_cbranch_execz .LBB110_111
; %bb.110:                              ;   in Loop: Header=BB110_3 Depth=1
	ds_load_b32 v29, v3 offset:14816
	ds_store_b32 v3, v28 offset:14820
	s_wait_dscnt 0x1
	ds_store_b64 v3, v[28:29] offset:14560
.LBB110_111:                            ;   in Loop: Header=BB110_3 Depth=1
	s_or_b32 exec_lo, exec_lo, s38
	v_mov_b32_e32 v2, 0
	s_wait_dscnt 0x0
	s_barrier_signal -1
	s_barrier_wait -1
	global_wb scope:SCOPE_DEV
	s_wait_storecnt 0x0
	global_inv scope:SCOPE_DEV
	s_and_saveexec_b32 s61, s5
	s_cbranch_execz .LBB110_121
; %bb.112:                              ;   in Loop: Header=BB110_3 Depth=1
	ds_load_b32 v2, v56 offset:14528
	ds_load_b32 v29, v59 offset:16352
	s_wait_dscnt 0x0
	v_fma_f32 v2, v2, v29, 0
	s_and_saveexec_b32 s38, s15
	s_cbranch_execnz .LBB110_1177
; %bb.113:                              ;   in Loop: Header=BB110_3 Depth=1
	s_or_b32 exec_lo, exec_lo, s38
	s_and_saveexec_b32 s38, s16
	s_cbranch_execnz .LBB110_1178
.LBB110_114:                            ;   in Loop: Header=BB110_3 Depth=1
	s_or_b32 exec_lo, exec_lo, s38
	s_and_saveexec_b32 s38, s17
	s_cbranch_execnz .LBB110_1179
.LBB110_115:                            ;   in Loop: Header=BB110_3 Depth=1
	s_or_b32 exec_lo, exec_lo, s38
	s_and_saveexec_b32 s38, s18
	s_cbranch_execnz .LBB110_1180
.LBB110_116:                            ;   in Loop: Header=BB110_3 Depth=1
	s_or_b32 exec_lo, exec_lo, s38
	s_and_saveexec_b32 s38, s19
	s_cbranch_execnz .LBB110_1181
.LBB110_117:                            ;   in Loop: Header=BB110_3 Depth=1
	s_or_b32 exec_lo, exec_lo, s38
	s_and_saveexec_b32 s38, s4
	s_cbranch_execnz .LBB110_1182
.LBB110_118:                            ;   in Loop: Header=BB110_3 Depth=1
	s_or_b32 exec_lo, exec_lo, s38
	s_and_saveexec_b32 s38, s14
	s_cbranch_execz .LBB110_120
.LBB110_119:                            ;   in Loop: Header=BB110_3 Depth=1
	ds_load_b32 v29, v42 offset:16320
	ds_load_b32 v34, v3 offset:16380
	s_wait_dscnt 0x0
	v_fmac_f32_e32 v2, v29, v34
.LBB110_120:                            ;   in Loop: Header=BB110_3 Depth=1
	s_or_b32 exec_lo, exec_lo, s38
.LBB110_121:                            ;   in Loop: Header=BB110_3 Depth=1
	s_delay_alu instid0(SALU_CYCLE_1)
	s_or_b32 exec_lo, exec_lo, s61
	s_and_saveexec_b32 s38, s97
; %bb.122:                              ;   in Loop: Header=BB110_3 Depth=1
	s_delay_alu instid0(VALU_DEP_1)
	v_xor_b32_e32 v29, 0x80000000, v2
	ds_store_b32 v57, v29
; %bb.123:                              ;   in Loop: Header=BB110_3 Depth=1
	s_or_b32 exec_lo, exec_lo, s38
	s_wait_loadcnt_dscnt 0x0
	s_barrier_signal -1
	s_barrier_wait -1
	s_and_saveexec_b32 s38, s98
	s_cbranch_execz .LBB110_125
; %bb.124:                              ;   in Loop: Header=BB110_3 Depth=1
	ds_load_b32 v29, v56 offset:14272
	ds_load_b32 v34, v57
	s_wait_dscnt 0x0
	v_fma_f32 v2, -v29, v34, v2
.LBB110_125:                            ;   in Loop: Header=BB110_3 Depth=1
	s_or_b32 exec_lo, exec_lo, s38
	s_barrier_signal -1
	s_barrier_wait -1
	s_and_saveexec_b32 s38, s99
; %bb.126:                              ;   in Loop: Header=BB110_3 Depth=1
	v_xor_b32_e32 v29, 0x80000000, v2
	ds_store_b32 v57, v29
; %bb.127:                              ;   in Loop: Header=BB110_3 Depth=1
	s_or_b32 exec_lo, exec_lo, s38
	s_wait_dscnt 0x0
	s_barrier_signal -1
	s_barrier_wait -1
	s_and_saveexec_b32 s38, s100
	s_cbranch_execz .LBB110_129
; %bb.128:                              ;   in Loop: Header=BB110_3 Depth=1
	ds_load_b32 v29, v56 offset:14016
	ds_load_b32 v34, v57
	s_wait_dscnt 0x0
	v_fma_f32 v2, -v29, v34, v2
.LBB110_129:                            ;   in Loop: Header=BB110_3 Depth=1
	s_or_b32 exec_lo, exec_lo, s38
	s_barrier_signal -1
	s_barrier_wait -1
	s_and_saveexec_b32 s38, s101
; %bb.130:                              ;   in Loop: Header=BB110_3 Depth=1
	v_xor_b32_e32 v29, 0x80000000, v2
	ds_store_b32 v57, v29
; %bb.131:                              ;   in Loop: Header=BB110_3 Depth=1
	s_or_b32 exec_lo, exec_lo, s38
	s_wait_dscnt 0x0
	;; [unrolled: 20-line block ×3, first 2 shown]
	s_barrier_signal -1
	s_barrier_wait -1
	s_and_saveexec_b32 s38, s104
	s_cbranch_execz .LBB110_137
; %bb.136:                              ;   in Loop: Header=BB110_3 Depth=1
	ds_load_b32 v29, v56 offset:13504
	ds_load_b32 v34, v57
	s_wait_dscnt 0x0
	v_fma_f32 v2, -v29, v34, v2
.LBB110_137:                            ;   in Loop: Header=BB110_3 Depth=1
	s_or_b32 exec_lo, exec_lo, s38
	s_barrier_signal -1
	s_barrier_wait -1
	s_and_saveexec_b32 s38, vcc_hi
; %bb.138:                              ;   in Loop: Header=BB110_3 Depth=1
	v_xor_b32_e32 v29, 0x80000000, v2
	ds_store_b32 v57, v29
; %bb.139:                              ;   in Loop: Header=BB110_3 Depth=1
	s_or_b32 exec_lo, exec_lo, s38
	s_wait_dscnt 0x0
	s_barrier_signal -1
	s_barrier_wait -1
	s_and_saveexec_b32 s38, s31
	s_cbranch_execz .LBB110_141
; %bb.140:                              ;   in Loop: Header=BB110_3 Depth=1
	ds_load_b32 v29, v56 offset:13248
	ds_load_b32 v34, v57
	s_wait_dscnt 0x0
	v_fma_f32 v2, -v29, v34, v2
.LBB110_141:                            ;   in Loop: Header=BB110_3 Depth=1
	s_or_b32 exec_lo, exec_lo, s38
	s_barrier_signal -1
	s_barrier_wait -1
	s_and_saveexec_b32 s38, s33
; %bb.142:                              ;   in Loop: Header=BB110_3 Depth=1
	v_xor_b32_e32 v29, 0x80000000, v2
	ds_store_b32 v57, v29
; %bb.143:                              ;   in Loop: Header=BB110_3 Depth=1
	s_or_b32 exec_lo, exec_lo, s38
	s_wait_dscnt 0x0
	s_barrier_signal -1
	s_barrier_wait -1
	s_and_saveexec_b32 s38, s34
	s_cbranch_execz .LBB110_145
; %bb.144:                              ;   in Loop: Header=BB110_3 Depth=1
	ds_load_b32 v29, v56 offset:12992
	ds_load_b32 v34, v57
	s_wait_dscnt 0x0
	v_fma_f32 v2, -v29, v34, v2
.LBB110_145:                            ;   in Loop: Header=BB110_3 Depth=1
	s_or_b32 exec_lo, exec_lo, s38
	s_barrier_signal -1
	s_barrier_wait -1
	s_and_saveexec_b32 s38, s35
	;; [unrolled: 20-line block ×3, first 2 shown]
; %bb.150:                              ;   in Loop: Header=BB110_3 Depth=1
	v_xor_b32_e32 v29, 0x80000000, v2
	ds_store_b32 v57, v29
; %bb.151:                              ;   in Loop: Header=BB110_3 Depth=1
	s_or_b32 exec_lo, exec_lo, s38
	s_wait_dscnt 0x0
	s_barrier_signal -1
	s_barrier_wait -1
	s_barrier_signal -1
	s_barrier_wait -1
	s_and_saveexec_b32 s38, s5
; %bb.152:                              ;   in Loop: Header=BB110_3 Depth=1
	ds_store_b32 v60, v2 offset:16320
; %bb.153:                              ;   in Loop: Header=BB110_3 Depth=1
	s_or_b32 exec_lo, exec_lo, s38
	s_wait_dscnt 0x0
	s_barrier_signal -1
	s_barrier_wait -1
	s_barrier_signal -1
	s_barrier_wait -1
	s_and_saveexec_b32 s38, s37
	s_cbranch_execz .LBB110_155
; %bb.154:                              ;   in Loop: Header=BB110_3 Depth=1
	ds_load_b32 v2, v43 offset:14528
	s_wait_dscnt 0x0
	ds_store_b32 v45, v2 offset:12512
	ds_load_b32 v2, v43 offset:14532
	s_wait_dscnt 0x0
	ds_store_b32 v45, v2 offset:12768
	ds_load_b32 v2, v43 offset:14536
	s_wait_dscnt 0x0
	ds_store_b32 v45, v2 offset:13024
	ds_load_b32 v2, v43 offset:14540
	s_wait_dscnt 0x0
	ds_store_b32 v45, v2 offset:13280
	ds_load_b32 v2, v43 offset:14544
	s_wait_dscnt 0x0
	ds_store_b32 v45, v2 offset:13536
	ds_load_b32 v2, v43 offset:14548
	s_wait_dscnt 0x0
	ds_store_b32 v45, v2 offset:13792
	ds_load_b32 v2, v43 offset:14552
	s_wait_dscnt 0x0
	ds_store_b32 v45, v2 offset:14048
	ds_load_b32 v2, v43 offset:14556
	s_wait_dscnt 0x0
	ds_store_b32 v45, v2 offset:14304
.LBB110_155:                            ;   in Loop: Header=BB110_3 Depth=1
	s_or_b32 exec_lo, exec_lo, s38
	s_wait_dscnt 0x0
	s_barrier_signal -1
	s_barrier_wait -1
	s_and_saveexec_b32 s38, s11
	s_cbranch_execz .LBB110_157
; %bb.156:                              ;   in Loop: Header=BB110_3 Depth=1
	ds_load_b32 v29, v3 offset:14296
	ds_store_b32 v3, v28 offset:14300
	s_wait_dscnt 0x1
	ds_store_b64 v3, v[28:29] offset:14040
.LBB110_157:                            ;   in Loop: Header=BB110_3 Depth=1
	s_or_b32 exec_lo, exec_lo, s38
	v_mov_b32_e32 v2, 0
	s_wait_dscnt 0x0
	s_barrier_signal -1
	s_barrier_wait -1
	global_wb scope:SCOPE_DEV
	s_wait_storecnt 0x0
	global_inv scope:SCOPE_DEV
	s_and_saveexec_b32 s38, s2
	s_cbranch_execz .LBB110_161
; %bb.158:                              ;   in Loop: Header=BB110_3 Depth=1
	ds_load_b32 v2, v46 offset:14032
	ds_load_b32 v29, v48 offset:14296
	s_wait_dscnt 0x0
	v_fma_f32 v2, v2, v29, 0
	s_and_saveexec_b32 s39, s12
	s_cbranch_execz .LBB110_160
; %bb.159:                              ;   in Loop: Header=BB110_3 Depth=1
	ds_load_b32 v29, v45 offset:14288
	ds_load_b32 v34, v3 offset:14300
	s_wait_dscnt 0x0
	v_fmac_f32_e32 v2, v29, v34
.LBB110_160:                            ;   in Loop: Header=BB110_3 Depth=1
	s_or_b32 exec_lo, exec_lo, s39
.LBB110_161:                            ;   in Loop: Header=BB110_3 Depth=1
	s_delay_alu instid0(SALU_CYCLE_1)
	s_or_b32 exec_lo, exec_lo, s38
	s_and_saveexec_b32 s38, s87
; %bb.162:                              ;   in Loop: Header=BB110_3 Depth=1
	s_delay_alu instid0(VALU_DEP_1)
	v_xor_b32_e32 v29, 0x80000000, v2
	ds_store_b32 v44, v29
; %bb.163:                              ;   in Loop: Header=BB110_3 Depth=1
	s_or_b32 exec_lo, exec_lo, s38
	s_wait_loadcnt_dscnt 0x0
	s_barrier_signal -1
	s_barrier_wait -1
	s_and_saveexec_b32 s38, s88
	s_cbranch_execz .LBB110_165
; %bb.164:                              ;   in Loop: Header=BB110_3 Depth=1
	ds_load_b32 v29, v3 offset:13776
	ds_load_b32 v34, v44
	s_wait_dscnt 0x0
	v_fma_f32 v2, -v29, v34, v2
.LBB110_165:                            ;   in Loop: Header=BB110_3 Depth=1
	s_or_b32 exec_lo, exec_lo, s38
	s_barrier_signal -1
	s_barrier_wait -1
	s_and_saveexec_b32 s38, s88
; %bb.166:                              ;   in Loop: Header=BB110_3 Depth=1
	v_xor_b32_e32 v29, 0x80000000, v2
	ds_store_b32 v44, v29
; %bb.167:                              ;   in Loop: Header=BB110_3 Depth=1
	s_or_b32 exec_lo, exec_lo, s38
	s_wait_dscnt 0x0
	s_barrier_signal -1
	s_barrier_wait -1
	s_barrier_signal -1
	s_barrier_wait -1
	s_and_saveexec_b32 s38, s2
; %bb.168:                              ;   in Loop: Header=BB110_3 Depth=1
	ds_store_b32 v49, v2 offset:14288
; %bb.169:                              ;   in Loop: Header=BB110_3 Depth=1
	s_or_b32 exec_lo, exec_lo, s38
	s_wait_dscnt 0x0
	s_barrier_signal -1
	s_barrier_wait -1
	s_barrier_signal -1
	s_barrier_wait -1
	s_and_saveexec_b32 s38, s89
	s_cbranch_execz .LBB110_171
; %bb.170:                              ;   in Loop: Header=BB110_3 Depth=1
	ds_load_b32 v2, v47 offset:14032
	s_wait_dscnt 0x0
	ds_store_b32 v45, v2 offset:13528
	ds_load_b32 v2, v47 offset:14036
	s_wait_dscnt 0x0
	ds_store_b32 v45, v2 offset:13784
.LBB110_171:                            ;   in Loop: Header=BB110_3 Depth=1
	s_or_b32 exec_lo, exec_lo, s38
	s_wait_dscnt 0x0
	s_barrier_signal -1
	s_barrier_wait -1
	s_and_saveexec_b32 s38, s11
	s_cbranch_execz .LBB110_173
; %bb.172:                              ;   in Loop: Header=BB110_3 Depth=1
	ds_load_b32 v29, v3 offset:13776
	ds_store_b32 v3, v28 offset:13780
	s_wait_dscnt 0x1
	ds_store_b64 v3, v[28:29] offset:13520
.LBB110_173:                            ;   in Loop: Header=BB110_3 Depth=1
	s_or_b32 exec_lo, exec_lo, s38
	v_mov_b32_e32 v2, 0
	s_wait_dscnt 0x0
	s_barrier_signal -1
	s_barrier_wait -1
	global_wb scope:SCOPE_DEV
	s_wait_storecnt 0x0
	global_inv scope:SCOPE_DEV
	s_and_saveexec_b32 s61, s4
	s_cbranch_execz .LBB110_179
; %bb.174:                              ;   in Loop: Header=BB110_3 Depth=1
	ds_load_b32 v2, v52 offset:13504
	ds_load_b32 v29, v53 offset:14288
	s_wait_dscnt 0x0
	v_fma_f32 v2, v2, v29, 0
	s_and_saveexec_b32 s38, s13
	s_cbranch_execnz .LBB110_1183
; %bb.175:                              ;   in Loop: Header=BB110_3 Depth=1
	s_or_b32 exec_lo, exec_lo, s38
	s_and_saveexec_b32 s38, s14
	s_cbranch_execnz .LBB110_1184
.LBB110_176:                            ;   in Loop: Header=BB110_3 Depth=1
	s_or_b32 exec_lo, exec_lo, s38
	s_and_saveexec_b32 s38, s2
	s_cbranch_execz .LBB110_178
.LBB110_177:                            ;   in Loop: Header=BB110_3 Depth=1
	ds_load_b32 v29, v51 offset:14272
	ds_load_b32 v34, v3 offset:14300
	s_wait_dscnt 0x0
	v_fmac_f32_e32 v2, v29, v34
.LBB110_178:                            ;   in Loop: Header=BB110_3 Depth=1
	s_or_b32 exec_lo, exec_lo, s38
.LBB110_179:                            ;   in Loop: Header=BB110_3 Depth=1
	s_delay_alu instid0(SALU_CYCLE_1)
	s_or_b32 exec_lo, exec_lo, s61
	s_and_saveexec_b32 s38, s90
; %bb.180:                              ;   in Loop: Header=BB110_3 Depth=1
	s_delay_alu instid0(VALU_DEP_1)
	v_xor_b32_e32 v29, 0x80000000, v2
	ds_store_b32 v50, v29
; %bb.181:                              ;   in Loop: Header=BB110_3 Depth=1
	s_or_b32 exec_lo, exec_lo, s38
	s_wait_loadcnt_dscnt 0x0
	s_barrier_signal -1
	s_barrier_wait -1
	s_and_saveexec_b32 s38, s91
	s_cbranch_execz .LBB110_183
; %bb.182:                              ;   in Loop: Header=BB110_3 Depth=1
	ds_load_b32 v29, v52 offset:13248
	ds_load_b32 v34, v50
	s_wait_dscnt 0x0
	v_fma_f32 v2, -v29, v34, v2
.LBB110_183:                            ;   in Loop: Header=BB110_3 Depth=1
	s_or_b32 exec_lo, exec_lo, s38
	s_barrier_signal -1
	s_barrier_wait -1
	s_and_saveexec_b32 s38, s92
; %bb.184:                              ;   in Loop: Header=BB110_3 Depth=1
	v_xor_b32_e32 v29, 0x80000000, v2
	ds_store_b32 v50, v29
; %bb.185:                              ;   in Loop: Header=BB110_3 Depth=1
	s_or_b32 exec_lo, exec_lo, s38
	s_wait_dscnt 0x0
	s_barrier_signal -1
	s_barrier_wait -1
	s_and_saveexec_b32 s38, s93
	s_cbranch_execz .LBB110_187
; %bb.186:                              ;   in Loop: Header=BB110_3 Depth=1
	ds_load_b32 v29, v52 offset:12992
	ds_load_b32 v34, v50
	s_wait_dscnt 0x0
	v_fma_f32 v2, -v29, v34, v2
.LBB110_187:                            ;   in Loop: Header=BB110_3 Depth=1
	s_or_b32 exec_lo, exec_lo, s38
	s_barrier_signal -1
	s_barrier_wait -1
	s_and_saveexec_b32 s38, s94
; %bb.188:                              ;   in Loop: Header=BB110_3 Depth=1
	v_xor_b32_e32 v29, 0x80000000, v2
	ds_store_b32 v50, v29
; %bb.189:                              ;   in Loop: Header=BB110_3 Depth=1
	s_or_b32 exec_lo, exec_lo, s38
	s_wait_dscnt 0x0
	;; [unrolled: 20-line block ×3, first 2 shown]
	s_barrier_signal -1
	s_barrier_wait -1
	s_barrier_signal -1
	s_barrier_wait -1
	s_and_saveexec_b32 s38, s4
; %bb.194:                              ;   in Loop: Header=BB110_3 Depth=1
	ds_store_b32 v55, v2 offset:14272
; %bb.195:                              ;   in Loop: Header=BB110_3 Depth=1
	s_or_b32 exec_lo, exec_lo, s38
	s_wait_dscnt 0x0
	s_barrier_signal -1
	s_barrier_wait -1
	s_barrier_signal -1
	s_barrier_wait -1
	s_and_saveexec_b32 s38, s96
	s_cbranch_execz .LBB110_197
; %bb.196:                              ;   in Loop: Header=BB110_3 Depth=1
	ds_load_b32 v2, v54 offset:13504
	s_wait_dscnt 0x0
	ds_store_b32 v58, v2 offset:12496
	ds_load_b32 v2, v54 offset:13508
	s_wait_dscnt 0x0
	ds_store_b32 v58, v2 offset:12752
	;; [unrolled: 3-line block ×4, first 2 shown]
.LBB110_197:                            ;   in Loop: Header=BB110_3 Depth=1
	s_or_b32 exec_lo, exec_lo, s38
	s_wait_dscnt 0x0
	s_barrier_signal -1
	s_barrier_wait -1
	s_and_saveexec_b32 s38, s11
	s_cbranch_execz .LBB110_199
; %bb.198:                              ;   in Loop: Header=BB110_3 Depth=1
	ds_load_b32 v29, v3 offset:13256
	ds_store_b32 v3, v28 offset:13260
	s_wait_dscnt 0x1
	ds_store_b64 v3, v[28:29] offset:13000
.LBB110_199:                            ;   in Loop: Header=BB110_3 Depth=1
	s_or_b32 exec_lo, exec_lo, s38
	v_mov_b32_e32 v2, 0
	s_wait_dscnt 0x0
	s_barrier_signal -1
	s_barrier_wait -1
	global_wb scope:SCOPE_DEV
	s_wait_storecnt 0x0
	global_inv scope:SCOPE_DEV
	s_and_saveexec_b32 s38, s2
	s_cbranch_execz .LBB110_203
; %bb.200:                              ;   in Loop: Header=BB110_3 Depth=1
	ds_load_b32 v2, v46 offset:12992
	ds_load_b32 v29, v48 offset:13256
	s_wait_dscnt 0x0
	v_fma_f32 v2, v2, v29, 0
	s_and_saveexec_b32 s39, s12
	s_cbranch_execz .LBB110_202
; %bb.201:                              ;   in Loop: Header=BB110_3 Depth=1
	ds_load_b32 v29, v58 offset:13248
	ds_load_b32 v34, v3 offset:13260
	s_wait_dscnt 0x0
	v_fmac_f32_e32 v2, v29, v34
.LBB110_202:                            ;   in Loop: Header=BB110_3 Depth=1
	s_or_b32 exec_lo, exec_lo, s39
.LBB110_203:                            ;   in Loop: Header=BB110_3 Depth=1
	s_delay_alu instid0(SALU_CYCLE_1)
	s_or_b32 exec_lo, exec_lo, s38
	s_and_saveexec_b32 s38, s87
; %bb.204:                              ;   in Loop: Header=BB110_3 Depth=1
	s_delay_alu instid0(VALU_DEP_1)
	v_xor_b32_e32 v29, 0x80000000, v2
	ds_store_b32 v44, v29
; %bb.205:                              ;   in Loop: Header=BB110_3 Depth=1
	s_or_b32 exec_lo, exec_lo, s38
	s_wait_loadcnt_dscnt 0x0
	s_barrier_signal -1
	s_barrier_wait -1
	s_and_saveexec_b32 s38, s88
	s_cbranch_execz .LBB110_207
; %bb.206:                              ;   in Loop: Header=BB110_3 Depth=1
	ds_load_b32 v29, v3 offset:12736
	ds_load_b32 v34, v44
	s_wait_dscnt 0x0
	v_fma_f32 v2, -v29, v34, v2
.LBB110_207:                            ;   in Loop: Header=BB110_3 Depth=1
	s_or_b32 exec_lo, exec_lo, s38
	s_barrier_signal -1
	s_barrier_wait -1
	s_and_saveexec_b32 s38, s88
; %bb.208:                              ;   in Loop: Header=BB110_3 Depth=1
	v_xor_b32_e32 v29, 0x80000000, v2
	ds_store_b32 v44, v29
; %bb.209:                              ;   in Loop: Header=BB110_3 Depth=1
	s_or_b32 exec_lo, exec_lo, s38
	s_wait_dscnt 0x0
	s_barrier_signal -1
	s_barrier_wait -1
	s_barrier_signal -1
	s_barrier_wait -1
	s_and_saveexec_b32 s38, s2
; %bb.210:                              ;   in Loop: Header=BB110_3 Depth=1
	ds_store_b32 v49, v2 offset:13248
; %bb.211:                              ;   in Loop: Header=BB110_3 Depth=1
	s_or_b32 exec_lo, exec_lo, s38
	s_wait_dscnt 0x0
	s_barrier_signal -1
	s_barrier_wait -1
	s_barrier_signal -1
	s_barrier_wait -1
	s_and_saveexec_b32 s38, s89
	s_cbranch_execz .LBB110_213
; %bb.212:                              ;   in Loop: Header=BB110_3 Depth=1
	ds_load_b32 v2, v61 offset:12992
	s_wait_dscnt 0x0
	ds_store_b32 v58, v2 offset:12488
	ds_load_b32 v2, v61 offset:12996
	s_wait_dscnt 0x0
	ds_store_b32 v58, v2 offset:12744
.LBB110_213:                            ;   in Loop: Header=BB110_3 Depth=1
	s_or_b32 exec_lo, exec_lo, s38
	s_wait_dscnt 0x0
	s_barrier_signal -1
	s_barrier_wait -1
	s_and_saveexec_b32 s38, s11
	s_cbranch_execz .LBB110_215
; %bb.214:                              ;   in Loop: Header=BB110_3 Depth=1
	ds_load_b32 v29, v3 offset:12736
	ds_store_b32 v3, v28 offset:12740
	s_wait_dscnt 0x1
	ds_store_b64 v3, v[28:29] offset:12480
.LBB110_215:                            ;   in Loop: Header=BB110_3 Depth=1
	s_or_b32 exec_lo, exec_lo, s38
	v_mov_b32_e32 v2, 0
	s_wait_dscnt 0x0
	s_barrier_signal -1
	s_barrier_wait -1
	global_wb scope:SCOPE_DEV
	s_wait_storecnt 0x0
	global_inv scope:SCOPE_DEV
	s_and_saveexec_b32 s61, s6
	s_cbranch_execz .LBB110_243
; %bb.216:                              ;   in Loop: Header=BB110_3 Depth=1
	ds_load_b32 v2, v62 offset:12416
	ds_load_b32 v29, v65 offset:16320
	s_wait_dscnt 0x0
	v_fma_f32 v2, v2, v29, 0
	s_mov_b32 s38, exec_lo
	v_readlane_b32 s39, v89, 13
	s_and_b32 s39, s38, s39
	s_delay_alu instid0(SALU_CYCLE_1)
	s_mov_b32 exec_lo, s39
	s_cbranch_execz .LBB110_218
; %bb.217:                              ;   in Loop: Header=BB110_3 Depth=1
	ds_load_b32 v29, v62 offset:12672
	ds_load_b32 v34, v65 offset:16324
	s_wait_dscnt 0x0
	v_fmac_f32_e32 v2, v29, v34
.LBB110_218:                            ;   in Loop: Header=BB110_3 Depth=1
	s_or_b32 exec_lo, exec_lo, s38
	s_delay_alu instid0(SALU_CYCLE_1) | instskip(SKIP_2) | instid1(SALU_CYCLE_1)
	s_mov_b32 s38, exec_lo
	v_readlane_b32 s39, v89, 14
	s_and_b32 s39, s38, s39
	s_mov_b32 exec_lo, s39
	s_cbranch_execz .LBB110_220
; %bb.219:                              ;   in Loop: Header=BB110_3 Depth=1
	ds_load_b32 v29, v62 offset:12928
	ds_load_b32 v34, v65 offset:16328
	s_wait_dscnt 0x0
	v_fmac_f32_e32 v2, v29, v34
.LBB110_220:                            ;   in Loop: Header=BB110_3 Depth=1
	s_or_b32 exec_lo, exec_lo, s38
	s_delay_alu instid0(SALU_CYCLE_1) | instskip(SKIP_2) | instid1(SALU_CYCLE_1)
	s_mov_b32 s38, exec_lo
	v_readlane_b32 s39, v89, 15
	s_and_b32 s39, s38, s39
	;; [unrolled: 13-line block ×10, first 2 shown]
	s_mov_b32 exec_lo, s39
	s_cbranch_execnz .LBB110_1185
; %bb.237:                              ;   in Loop: Header=BB110_3 Depth=1
	s_or_b32 exec_lo, exec_lo, s38
	s_and_saveexec_b32 s38, s5
	s_cbranch_execnz .LBB110_1186
.LBB110_238:                            ;   in Loop: Header=BB110_3 Depth=1
	s_or_b32 exec_lo, exec_lo, s38
	s_and_saveexec_b32 s38, s16
	s_cbranch_execnz .LBB110_1187
.LBB110_239:                            ;   in Loop: Header=BB110_3 Depth=1
	s_or_b32 exec_lo, exec_lo, s38
	s_and_saveexec_b32 s38, s18
	s_cbranch_execnz .LBB110_1188
.LBB110_240:                            ;   in Loop: Header=BB110_3 Depth=1
	s_or_b32 exec_lo, exec_lo, s38
	s_and_saveexec_b32 s38, s4
	s_cbranch_execz .LBB110_242
.LBB110_241:                            ;   in Loop: Header=BB110_3 Depth=1
	ds_load_b32 v29, v7 offset:16256
	ds_load_b32 v34, v3 offset:16380
	s_wait_dscnt 0x0
	v_fmac_f32_e32 v2, v29, v34
.LBB110_242:                            ;   in Loop: Header=BB110_3 Depth=1
	s_or_b32 exec_lo, exec_lo, s38
.LBB110_243:                            ;   in Loop: Header=BB110_3 Depth=1
	s_delay_alu instid0(SALU_CYCLE_1) | instskip(NEXT) | instid1(SALU_CYCLE_1)
	s_or_b32 exec_lo, exec_lo, s61
	s_mov_b32 s38, exec_lo
	v_readlane_b32 s39, v91, 3
	s_and_b32 s39, s38, s39
	s_delay_alu instid0(SALU_CYCLE_1)
	s_mov_b32 exec_lo, s39
; %bb.244:                              ;   in Loop: Header=BB110_3 Depth=1
	v_xor_b32_e32 v29, 0x80000000, v2
	ds_store_b32 v63, v29
; %bb.245:                              ;   in Loop: Header=BB110_3 Depth=1
	s_or_b32 exec_lo, exec_lo, s38
	s_wait_loadcnt_dscnt 0x0
	s_barrier_signal -1
	s_barrier_wait -1
	s_mov_b32 s38, exec_lo
	v_readlane_b32 s39, v91, 4
	s_and_b32 s39, s38, s39
	s_delay_alu instid0(SALU_CYCLE_1)
	s_mov_b32 exec_lo, s39
	s_cbranch_execz .LBB110_247
; %bb.246:                              ;   in Loop: Header=BB110_3 Depth=1
	ds_load_b32 v29, v62 offset:12160
	ds_load_b32 v34, v63
	s_wait_dscnt 0x0
	v_fma_f32 v2, -v29, v34, v2
.LBB110_247:                            ;   in Loop: Header=BB110_3 Depth=1
	s_or_b32 exec_lo, exec_lo, s38
	s_barrier_signal -1
	s_barrier_wait -1
	s_and_saveexec_b32 s38, s40
; %bb.248:                              ;   in Loop: Header=BB110_3 Depth=1
	v_xor_b32_e32 v29, 0x80000000, v2
	ds_store_b32 v63, v29
; %bb.249:                              ;   in Loop: Header=BB110_3 Depth=1
	s_or_b32 exec_lo, exec_lo, s38
	s_wait_dscnt 0x0
	s_barrier_signal -1
	s_barrier_wait -1
	s_and_saveexec_b32 s38, s41
	s_cbranch_execz .LBB110_251
; %bb.250:                              ;   in Loop: Header=BB110_3 Depth=1
	ds_load_b32 v29, v62 offset:11904
	ds_load_b32 v34, v63
	s_wait_dscnt 0x0
	v_fma_f32 v2, -v29, v34, v2
.LBB110_251:                            ;   in Loop: Header=BB110_3 Depth=1
	s_or_b32 exec_lo, exec_lo, s38
	s_barrier_signal -1
	s_barrier_wait -1
	s_and_saveexec_b32 s38, s42
; %bb.252:                              ;   in Loop: Header=BB110_3 Depth=1
	v_xor_b32_e32 v29, 0x80000000, v2
	ds_store_b32 v63, v29
; %bb.253:                              ;   in Loop: Header=BB110_3 Depth=1
	s_or_b32 exec_lo, exec_lo, s38
	s_wait_dscnt 0x0
	s_barrier_signal -1
	s_barrier_wait -1
	s_and_saveexec_b32 s38, s43
	s_cbranch_execz .LBB110_255
; %bb.254:                              ;   in Loop: Header=BB110_3 Depth=1
	ds_load_b32 v29, v62 offset:11648
	ds_load_b32 v34, v63
	s_wait_dscnt 0x0
	v_fma_f32 v2, -v29, v34, v2
.LBB110_255:                            ;   in Loop: Header=BB110_3 Depth=1
	s_or_b32 exec_lo, exec_lo, s38
	s_barrier_signal -1
	s_barrier_wait -1
	s_and_saveexec_b32 s38, s44
; %bb.256:                              ;   in Loop: Header=BB110_3 Depth=1
	v_xor_b32_e32 v29, 0x80000000, v2
	ds_store_b32 v63, v29
; %bb.257:                              ;   in Loop: Header=BB110_3 Depth=1
	s_or_b32 exec_lo, exec_lo, s38
	s_wait_dscnt 0x0
	s_barrier_signal -1
	s_barrier_wait -1
	s_and_saveexec_b32 s38, s45
	s_cbranch_execz .LBB110_259
; %bb.258:                              ;   in Loop: Header=BB110_3 Depth=1
	ds_load_b32 v29, v62 offset:11392
	ds_load_b32 v34, v63
	s_wait_dscnt 0x0
	v_fma_f32 v2, -v29, v34, v2
.LBB110_259:                            ;   in Loop: Header=BB110_3 Depth=1
	s_or_b32 exec_lo, exec_lo, s38
	s_barrier_signal -1
	s_barrier_wait -1
	s_and_saveexec_b32 s38, s46
; %bb.260:                              ;   in Loop: Header=BB110_3 Depth=1
	v_xor_b32_e32 v29, 0x80000000, v2
	ds_store_b32 v63, v29
; %bb.261:                              ;   in Loop: Header=BB110_3 Depth=1
	s_or_b32 exec_lo, exec_lo, s38
	s_wait_dscnt 0x0
	s_barrier_signal -1
	s_barrier_wait -1
	s_and_saveexec_b32 s38, s47
	s_cbranch_execz .LBB110_263
; %bb.262:                              ;   in Loop: Header=BB110_3 Depth=1
	ds_load_b32 v29, v62 offset:11136
	ds_load_b32 v34, v63
	s_wait_dscnt 0x0
	v_fma_f32 v2, -v29, v34, v2
.LBB110_263:                            ;   in Loop: Header=BB110_3 Depth=1
	s_or_b32 exec_lo, exec_lo, s38
	s_barrier_signal -1
	s_barrier_wait -1
	s_and_saveexec_b32 s38, s48
; %bb.264:                              ;   in Loop: Header=BB110_3 Depth=1
	v_xor_b32_e32 v29, 0x80000000, v2
	ds_store_b32 v63, v29
; %bb.265:                              ;   in Loop: Header=BB110_3 Depth=1
	s_or_b32 exec_lo, exec_lo, s38
	s_wait_dscnt 0x0
	s_barrier_signal -1
	s_barrier_wait -1
	s_and_saveexec_b32 s38, s49
	s_cbranch_execz .LBB110_267
; %bb.266:                              ;   in Loop: Header=BB110_3 Depth=1
	ds_load_b32 v29, v62 offset:10880
	ds_load_b32 v34, v63
	s_wait_dscnt 0x0
	v_fma_f32 v2, -v29, v34, v2
.LBB110_267:                            ;   in Loop: Header=BB110_3 Depth=1
	s_or_b32 exec_lo, exec_lo, s38
	s_barrier_signal -1
	s_barrier_wait -1
	s_and_saveexec_b32 s38, s50
; %bb.268:                              ;   in Loop: Header=BB110_3 Depth=1
	v_xor_b32_e32 v29, 0x80000000, v2
	ds_store_b32 v63, v29
; %bb.269:                              ;   in Loop: Header=BB110_3 Depth=1
	s_or_b32 exec_lo, exec_lo, s38
	s_wait_dscnt 0x0
	s_barrier_signal -1
	s_barrier_wait -1
	s_and_saveexec_b32 s38, s51
	s_cbranch_execz .LBB110_271
; %bb.270:                              ;   in Loop: Header=BB110_3 Depth=1
	ds_load_b32 v29, v62 offset:10624
	ds_load_b32 v34, v63
	s_wait_dscnt 0x0
	v_fma_f32 v2, -v29, v34, v2
.LBB110_271:                            ;   in Loop: Header=BB110_3 Depth=1
	s_or_b32 exec_lo, exec_lo, s38
	s_barrier_signal -1
	s_barrier_wait -1
	s_and_saveexec_b32 s38, s52
; %bb.272:                              ;   in Loop: Header=BB110_3 Depth=1
	v_xor_b32_e32 v29, 0x80000000, v2
	ds_store_b32 v63, v29
; %bb.273:                              ;   in Loop: Header=BB110_3 Depth=1
	s_or_b32 exec_lo, exec_lo, s38
	s_wait_dscnt 0x0
	s_barrier_signal -1
	s_barrier_wait -1
	s_and_saveexec_b32 s38, s53
	s_cbranch_execz .LBB110_275
; %bb.274:                              ;   in Loop: Header=BB110_3 Depth=1
	ds_load_b32 v29, v62 offset:10368
	ds_load_b32 v34, v63
	s_wait_dscnt 0x0
	v_fma_f32 v2, -v29, v34, v2
.LBB110_275:                            ;   in Loop: Header=BB110_3 Depth=1
	s_or_b32 exec_lo, exec_lo, s38
	s_barrier_signal -1
	s_barrier_wait -1
	s_and_saveexec_b32 s38, s54
; %bb.276:                              ;   in Loop: Header=BB110_3 Depth=1
	v_xor_b32_e32 v29, 0x80000000, v2
	ds_store_b32 v63, v29
; %bb.277:                              ;   in Loop: Header=BB110_3 Depth=1
	s_or_b32 exec_lo, exec_lo, s38
	s_wait_dscnt 0x0
	s_barrier_signal -1
	s_barrier_wait -1
	s_and_saveexec_b32 s38, s83
	s_cbranch_execz .LBB110_279
; %bb.278:                              ;   in Loop: Header=BB110_3 Depth=1
	ds_load_b32 v29, v62 offset:10112
	ds_load_b32 v34, v63
	s_wait_dscnt 0x0
	v_fma_f32 v2, -v29, v34, v2
.LBB110_279:                            ;   in Loop: Header=BB110_3 Depth=1
	s_or_b32 exec_lo, exec_lo, s38
	s_barrier_signal -1
	s_barrier_wait -1
	s_and_saveexec_b32 s38, s20
; %bb.280:                              ;   in Loop: Header=BB110_3 Depth=1
	v_xor_b32_e32 v29, 0x80000000, v2
	ds_store_b32 v63, v29
; %bb.281:                              ;   in Loop: Header=BB110_3 Depth=1
	s_or_b32 exec_lo, exec_lo, s38
	s_wait_dscnt 0x0
	s_barrier_signal -1
	s_barrier_wait -1
	s_and_saveexec_b32 s38, s22
	s_cbranch_execz .LBB110_283
; %bb.282:                              ;   in Loop: Header=BB110_3 Depth=1
	ds_load_b32 v29, v62 offset:9856
	ds_load_b32 v34, v63
	s_wait_dscnt 0x0
	v_fma_f32 v2, -v29, v34, v2
.LBB110_283:                            ;   in Loop: Header=BB110_3 Depth=1
	s_or_b32 exec_lo, exec_lo, s38
	s_barrier_signal -1
	s_barrier_wait -1
	s_and_saveexec_b32 s38, s24
; %bb.284:                              ;   in Loop: Header=BB110_3 Depth=1
	v_xor_b32_e32 v29, 0x80000000, v2
	ds_store_b32 v63, v29
; %bb.285:                              ;   in Loop: Header=BB110_3 Depth=1
	s_or_b32 exec_lo, exec_lo, s38
	s_wait_dscnt 0x0
	s_barrier_signal -1
	s_barrier_wait -1
	s_and_saveexec_b32 s38, s26
	s_cbranch_execz .LBB110_287
; %bb.286:                              ;   in Loop: Header=BB110_3 Depth=1
	ds_load_b32 v29, v62 offset:9600
	ds_load_b32 v34, v63
	s_wait_dscnt 0x0
	v_fma_f32 v2, -v29, v34, v2
.LBB110_287:                            ;   in Loop: Header=BB110_3 Depth=1
	s_or_b32 exec_lo, exec_lo, s38
	s_barrier_signal -1
	s_barrier_wait -1
	s_and_saveexec_b32 s38, s28
; %bb.288:                              ;   in Loop: Header=BB110_3 Depth=1
	v_xor_b32_e32 v29, 0x80000000, v2
	ds_store_b32 v63, v29
; %bb.289:                              ;   in Loop: Header=BB110_3 Depth=1
	s_or_b32 exec_lo, exec_lo, s38
	s_wait_dscnt 0x0
	s_barrier_signal -1
	s_barrier_wait -1
	s_and_saveexec_b32 s38, s30
	s_cbranch_execz .LBB110_291
; %bb.290:                              ;   in Loop: Header=BB110_3 Depth=1
	ds_load_b32 v29, v62 offset:9344
	ds_load_b32 v34, v63
	s_wait_dscnt 0x0
	v_fma_f32 v2, -v29, v34, v2
.LBB110_291:                            ;   in Loop: Header=BB110_3 Depth=1
	s_or_b32 exec_lo, exec_lo, s38
	s_barrier_signal -1
	s_barrier_wait -1
	s_and_saveexec_b32 s38, s57
; %bb.292:                              ;   in Loop: Header=BB110_3 Depth=1
	v_xor_b32_e32 v29, 0x80000000, v2
	ds_store_b32 v63, v29
; %bb.293:                              ;   in Loop: Header=BB110_3 Depth=1
	s_or_b32 exec_lo, exec_lo, s38
	s_wait_dscnt 0x0
	s_barrier_signal -1
	s_barrier_wait -1
	s_and_saveexec_b32 s38, s58
	s_cbranch_execz .LBB110_295
; %bb.294:                              ;   in Loop: Header=BB110_3 Depth=1
	ds_load_b32 v29, v62 offset:9088
	ds_load_b32 v34, v63
	s_wait_dscnt 0x0
	v_fma_f32 v2, -v29, v34, v2
.LBB110_295:                            ;   in Loop: Header=BB110_3 Depth=1
	s_or_b32 exec_lo, exec_lo, s38
	s_barrier_signal -1
	s_barrier_wait -1
	s_and_saveexec_b32 s38, s59
; %bb.296:                              ;   in Loop: Header=BB110_3 Depth=1
	v_xor_b32_e32 v29, 0x80000000, v2
	ds_store_b32 v63, v29
; %bb.297:                              ;   in Loop: Header=BB110_3 Depth=1
	s_or_b32 exec_lo, exec_lo, s38
	s_wait_dscnt 0x0
	s_barrier_signal -1
	s_barrier_wait -1
	s_and_saveexec_b32 s38, s60
	s_cbranch_execz .LBB110_299
; %bb.298:                              ;   in Loop: Header=BB110_3 Depth=1
	ds_load_b32 v29, v62 offset:8832
	ds_load_b32 v34, v63
	s_wait_dscnt 0x0
	v_fma_f32 v2, -v29, v34, v2
.LBB110_299:                            ;   in Loop: Header=BB110_3 Depth=1
	s_or_b32 exec_lo, exec_lo, s38
	s_barrier_signal -1
	s_barrier_wait -1
	s_and_saveexec_b32 s38, s21
; %bb.300:                              ;   in Loop: Header=BB110_3 Depth=1
	v_xor_b32_e32 v29, 0x80000000, v2
	ds_store_b32 v63, v29
; %bb.301:                              ;   in Loop: Header=BB110_3 Depth=1
	s_or_b32 exec_lo, exec_lo, s38
	s_wait_dscnt 0x0
	s_barrier_signal -1
	s_barrier_wait -1
	s_and_saveexec_b32 s38, s23
	s_cbranch_execz .LBB110_303
; %bb.302:                              ;   in Loop: Header=BB110_3 Depth=1
	ds_load_b32 v29, v3 offset:8576
	ds_load_b32 v34, v63
	s_wait_dscnt 0x0
	v_fma_f32 v2, -v29, v34, v2
.LBB110_303:                            ;   in Loop: Header=BB110_3 Depth=1
	s_or_b32 exec_lo, exec_lo, s38
	s_barrier_signal -1
	s_barrier_wait -1
	s_and_saveexec_b32 s38, s23
; %bb.304:                              ;   in Loop: Header=BB110_3 Depth=1
	v_xor_b32_e32 v29, 0x80000000, v2
	ds_store_b32 v63, v29
; %bb.305:                              ;   in Loop: Header=BB110_3 Depth=1
	s_or_b32 exec_lo, exec_lo, s38
	s_wait_dscnt 0x0
	s_barrier_signal -1
	s_barrier_wait -1
	s_barrier_signal -1
	s_barrier_wait -1
	s_and_saveexec_b32 s38, s6
; %bb.306:                              ;   in Loop: Header=BB110_3 Depth=1
	ds_store_b32 v66, v2 offset:16256
; %bb.307:                              ;   in Loop: Header=BB110_3 Depth=1
	s_or_b32 exec_lo, exec_lo, s38
	s_wait_dscnt 0x0
	s_barrier_signal -1
	s_barrier_wait -1
	s_barrier_signal -1
	s_barrier_wait -1
	s_and_saveexec_b32 s61, s25
	s_cbranch_execz .LBB110_309
; %bb.308:                              ;   in Loop: Header=BB110_3 Depth=1
	ds_load_b32 v2, v9 offset:12416
	s_wait_dscnt 0x0
	ds_store_b32 v38, v2 offset:8384
	ds_load_b32 v2, v9 offset:12420
	s_wait_dscnt 0x0
	ds_store_b32 v38, v2 offset:8640
	;; [unrolled: 3-line block ×16, first 2 shown]
.LBB110_309:                            ;   in Loop: Header=BB110_3 Depth=1
	s_or_b32 exec_lo, exec_lo, s61
	s_wait_dscnt 0x0
	s_barrier_signal -1
	s_barrier_wait -1
	s_and_saveexec_b32 s38, s11
	s_cbranch_execz .LBB110_311
; %bb.310:                              ;   in Loop: Header=BB110_3 Depth=1
	ds_load_b32 v29, v3 offset:12216
	ds_store_b32 v3, v28 offset:12220
	s_wait_dscnt 0x1
	ds_store_b64 v3, v[28:29] offset:11960
.LBB110_311:                            ;   in Loop: Header=BB110_3 Depth=1
	s_or_b32 exec_lo, exec_lo, s38
	v_mov_b32_e32 v2, 0
	s_wait_dscnt 0x0
	s_barrier_signal -1
	s_barrier_wait -1
	global_wb scope:SCOPE_DEV
	s_wait_storecnt 0x0
	global_inv scope:SCOPE_DEV
	s_and_saveexec_b32 s38, s2
	s_cbranch_execz .LBB110_315
; %bb.312:                              ;   in Loop: Header=BB110_3 Depth=1
	ds_load_b32 v2, v46 offset:11952
	ds_load_b32 v29, v48 offset:12216
	s_wait_dscnt 0x0
	v_fma_f32 v2, v2, v29, 0
	s_and_saveexec_b32 s39, s12
	s_cbranch_execz .LBB110_314
; %bb.313:                              ;   in Loop: Header=BB110_3 Depth=1
	ds_load_b32 v29, v7 offset:12208
	ds_load_b32 v34, v3 offset:12220
	s_wait_dscnt 0x0
	v_fmac_f32_e32 v2, v29, v34
.LBB110_314:                            ;   in Loop: Header=BB110_3 Depth=1
	s_or_b32 exec_lo, exec_lo, s39
.LBB110_315:                            ;   in Loop: Header=BB110_3 Depth=1
	s_delay_alu instid0(SALU_CYCLE_1)
	s_or_b32 exec_lo, exec_lo, s38
	s_and_saveexec_b32 s38, s87
; %bb.316:                              ;   in Loop: Header=BB110_3 Depth=1
	s_delay_alu instid0(VALU_DEP_1)
	v_xor_b32_e32 v29, 0x80000000, v2
	ds_store_b32 v44, v29
; %bb.317:                              ;   in Loop: Header=BB110_3 Depth=1
	s_or_b32 exec_lo, exec_lo, s38
	s_wait_loadcnt_dscnt 0x0
	s_barrier_signal -1
	s_barrier_wait -1
	s_and_saveexec_b32 s38, s88
	s_cbranch_execz .LBB110_319
; %bb.318:                              ;   in Loop: Header=BB110_3 Depth=1
	ds_load_b32 v29, v3 offset:11696
	ds_load_b32 v34, v44
	s_wait_dscnt 0x0
	v_fma_f32 v2, -v29, v34, v2
.LBB110_319:                            ;   in Loop: Header=BB110_3 Depth=1
	s_or_b32 exec_lo, exec_lo, s38
	s_barrier_signal -1
	s_barrier_wait -1
	s_and_saveexec_b32 s38, s88
; %bb.320:                              ;   in Loop: Header=BB110_3 Depth=1
	v_xor_b32_e32 v29, 0x80000000, v2
	ds_store_b32 v44, v29
; %bb.321:                              ;   in Loop: Header=BB110_3 Depth=1
	s_or_b32 exec_lo, exec_lo, s38
	s_wait_dscnt 0x0
	s_barrier_signal -1
	s_barrier_wait -1
	s_barrier_signal -1
	s_barrier_wait -1
	s_and_saveexec_b32 s38, s2
; %bb.322:                              ;   in Loop: Header=BB110_3 Depth=1
	ds_store_b32 v49, v2 offset:12208
; %bb.323:                              ;   in Loop: Header=BB110_3 Depth=1
	s_or_b32 exec_lo, exec_lo, s38
	s_wait_dscnt 0x0
	s_barrier_signal -1
	s_barrier_wait -1
	s_barrier_signal -1
	s_barrier_wait -1
	s_and_saveexec_b32 s38, s89
	s_cbranch_execz .LBB110_325
; %bb.324:                              ;   in Loop: Header=BB110_3 Depth=1
	ds_load_b32 v2, v9 offset:11952
	s_wait_dscnt 0x0
	ds_store_b32 v7, v2 offset:11448
	ds_load_b32 v2, v9 offset:11956
	s_wait_dscnt 0x0
	ds_store_b32 v7, v2 offset:11704
.LBB110_325:                            ;   in Loop: Header=BB110_3 Depth=1
	s_or_b32 exec_lo, exec_lo, s38
	s_wait_dscnt 0x0
	s_barrier_signal -1
	s_barrier_wait -1
	s_and_saveexec_b32 s38, s11
	s_cbranch_execz .LBB110_327
; %bb.326:                              ;   in Loop: Header=BB110_3 Depth=1
	ds_load_b32 v29, v3 offset:11696
	ds_store_b32 v3, v28 offset:11700
	s_wait_dscnt 0x1
	ds_store_b64 v3, v[28:29] offset:11440
.LBB110_327:                            ;   in Loop: Header=BB110_3 Depth=1
	s_or_b32 exec_lo, exec_lo, s38
	v_mov_b32_e32 v2, 0
	s_wait_dscnt 0x0
	s_barrier_signal -1
	s_barrier_wait -1
	global_wb scope:SCOPE_DEV
	s_wait_storecnt 0x0
	global_inv scope:SCOPE_DEV
	s_and_saveexec_b32 s61, s4
	s_cbranch_execz .LBB110_333
; %bb.328:                              ;   in Loop: Header=BB110_3 Depth=1
	ds_load_b32 v2, v52 offset:11424
	ds_load_b32 v29, v53 offset:12208
	s_wait_dscnt 0x0
	v_fma_f32 v2, v2, v29, 0
	s_and_saveexec_b32 s38, s13
	s_cbranch_execnz .LBB110_1189
; %bb.329:                              ;   in Loop: Header=BB110_3 Depth=1
	s_or_b32 exec_lo, exec_lo, s38
	s_and_saveexec_b32 s38, s14
	s_cbranch_execnz .LBB110_1190
.LBB110_330:                            ;   in Loop: Header=BB110_3 Depth=1
	s_or_b32 exec_lo, exec_lo, s38
	s_and_saveexec_b32 s38, s2
	s_cbranch_execz .LBB110_332
.LBB110_331:                            ;   in Loop: Header=BB110_3 Depth=1
	ds_load_b32 v29, v38 offset:12192
	ds_load_b32 v34, v3 offset:12220
	s_wait_dscnt 0x0
	v_fmac_f32_e32 v2, v29, v34
.LBB110_332:                            ;   in Loop: Header=BB110_3 Depth=1
	s_or_b32 exec_lo, exec_lo, s38
.LBB110_333:                            ;   in Loop: Header=BB110_3 Depth=1
	s_delay_alu instid0(SALU_CYCLE_1)
	s_or_b32 exec_lo, exec_lo, s61
	s_and_saveexec_b32 s38, s90
; %bb.334:                              ;   in Loop: Header=BB110_3 Depth=1
	s_delay_alu instid0(VALU_DEP_1)
	v_xor_b32_e32 v29, 0x80000000, v2
	ds_store_b32 v50, v29
; %bb.335:                              ;   in Loop: Header=BB110_3 Depth=1
	s_or_b32 exec_lo, exec_lo, s38
	s_wait_loadcnt_dscnt 0x0
	s_barrier_signal -1
	s_barrier_wait -1
	s_and_saveexec_b32 s38, s91
	s_cbranch_execz .LBB110_337
; %bb.336:                              ;   in Loop: Header=BB110_3 Depth=1
	ds_load_b32 v29, v52 offset:11168
	ds_load_b32 v34, v50
	s_wait_dscnt 0x0
	v_fma_f32 v2, -v29, v34, v2
.LBB110_337:                            ;   in Loop: Header=BB110_3 Depth=1
	s_or_b32 exec_lo, exec_lo, s38
	s_barrier_signal -1
	s_barrier_wait -1
	s_and_saveexec_b32 s38, s92
; %bb.338:                              ;   in Loop: Header=BB110_3 Depth=1
	v_xor_b32_e32 v29, 0x80000000, v2
	ds_store_b32 v50, v29
; %bb.339:                              ;   in Loop: Header=BB110_3 Depth=1
	s_or_b32 exec_lo, exec_lo, s38
	s_wait_dscnt 0x0
	s_barrier_signal -1
	s_barrier_wait -1
	s_and_saveexec_b32 s38, s93
	s_cbranch_execz .LBB110_341
; %bb.340:                              ;   in Loop: Header=BB110_3 Depth=1
	ds_load_b32 v29, v52 offset:10912
	ds_load_b32 v34, v50
	s_wait_dscnt 0x0
	v_fma_f32 v2, -v29, v34, v2
.LBB110_341:                            ;   in Loop: Header=BB110_3 Depth=1
	s_or_b32 exec_lo, exec_lo, s38
	s_barrier_signal -1
	s_barrier_wait -1
	s_and_saveexec_b32 s38, s94
; %bb.342:                              ;   in Loop: Header=BB110_3 Depth=1
	v_xor_b32_e32 v29, 0x80000000, v2
	ds_store_b32 v50, v29
; %bb.343:                              ;   in Loop: Header=BB110_3 Depth=1
	s_or_b32 exec_lo, exec_lo, s38
	s_wait_dscnt 0x0
	;; [unrolled: 20-line block ×3, first 2 shown]
	s_barrier_signal -1
	s_barrier_wait -1
	s_barrier_signal -1
	s_barrier_wait -1
	s_and_saveexec_b32 s38, s4
; %bb.348:                              ;   in Loop: Header=BB110_3 Depth=1
	ds_store_b32 v55, v2 offset:12192
; %bb.349:                              ;   in Loop: Header=BB110_3 Depth=1
	s_or_b32 exec_lo, exec_lo, s38
	s_wait_dscnt 0x0
	s_barrier_signal -1
	s_barrier_wait -1
	s_barrier_signal -1
	s_barrier_wait -1
	s_and_saveexec_b32 s38, s96
	s_cbranch_execz .LBB110_351
; %bb.350:                              ;   in Loop: Header=BB110_3 Depth=1
	ds_load_b32 v2, v39 offset:11424
	s_wait_dscnt 0x0
	ds_store_b32 v40, v2 offset:10416
	ds_load_b32 v2, v39 offset:11428
	s_wait_dscnt 0x0
	ds_store_b32 v40, v2 offset:10672
	;; [unrolled: 3-line block ×4, first 2 shown]
.LBB110_351:                            ;   in Loop: Header=BB110_3 Depth=1
	s_or_b32 exec_lo, exec_lo, s38
	s_wait_dscnt 0x0
	s_barrier_signal -1
	s_barrier_wait -1
	s_and_saveexec_b32 s38, s11
	s_cbranch_execz .LBB110_353
; %bb.352:                              ;   in Loop: Header=BB110_3 Depth=1
	ds_load_b32 v29, v3 offset:11176
	ds_store_b32 v3, v28 offset:11180
	s_wait_dscnt 0x1
	ds_store_b64 v3, v[28:29] offset:10920
.LBB110_353:                            ;   in Loop: Header=BB110_3 Depth=1
	s_or_b32 exec_lo, exec_lo, s38
	v_mov_b32_e32 v2, 0
	s_wait_dscnt 0x0
	s_barrier_signal -1
	s_barrier_wait -1
	global_wb scope:SCOPE_DEV
	s_wait_storecnt 0x0
	global_inv scope:SCOPE_DEV
	s_and_saveexec_b32 s38, s2
	s_cbranch_execz .LBB110_357
; %bb.354:                              ;   in Loop: Header=BB110_3 Depth=1
	ds_load_b32 v2, v46 offset:10912
	ds_load_b32 v29, v48 offset:11176
	s_wait_dscnt 0x0
	v_fma_f32 v2, v2, v29, 0
	s_and_saveexec_b32 s39, s12
	s_cbranch_execz .LBB110_356
; %bb.355:                              ;   in Loop: Header=BB110_3 Depth=1
	ds_load_b32 v29, v40 offset:11168
	ds_load_b32 v34, v3 offset:11180
	s_wait_dscnt 0x0
	v_fmac_f32_e32 v2, v29, v34
.LBB110_356:                            ;   in Loop: Header=BB110_3 Depth=1
	s_or_b32 exec_lo, exec_lo, s39
.LBB110_357:                            ;   in Loop: Header=BB110_3 Depth=1
	s_delay_alu instid0(SALU_CYCLE_1)
	s_or_b32 exec_lo, exec_lo, s38
	s_and_saveexec_b32 s38, s87
; %bb.358:                              ;   in Loop: Header=BB110_3 Depth=1
	s_delay_alu instid0(VALU_DEP_1)
	v_xor_b32_e32 v29, 0x80000000, v2
	ds_store_b32 v44, v29
; %bb.359:                              ;   in Loop: Header=BB110_3 Depth=1
	s_or_b32 exec_lo, exec_lo, s38
	s_wait_loadcnt_dscnt 0x0
	s_barrier_signal -1
	s_barrier_wait -1
	s_and_saveexec_b32 s38, s88
	s_cbranch_execz .LBB110_361
; %bb.360:                              ;   in Loop: Header=BB110_3 Depth=1
	ds_load_b32 v29, v3 offset:10656
	ds_load_b32 v34, v44
	s_wait_dscnt 0x0
	v_fma_f32 v2, -v29, v34, v2
.LBB110_361:                            ;   in Loop: Header=BB110_3 Depth=1
	s_or_b32 exec_lo, exec_lo, s38
	s_barrier_signal -1
	s_barrier_wait -1
	s_and_saveexec_b32 s38, s88
; %bb.362:                              ;   in Loop: Header=BB110_3 Depth=1
	v_xor_b32_e32 v29, 0x80000000, v2
	ds_store_b32 v44, v29
; %bb.363:                              ;   in Loop: Header=BB110_3 Depth=1
	s_or_b32 exec_lo, exec_lo, s38
	s_wait_dscnt 0x0
	s_barrier_signal -1
	s_barrier_wait -1
	s_barrier_signal -1
	s_barrier_wait -1
	s_and_saveexec_b32 s38, s2
; %bb.364:                              ;   in Loop: Header=BB110_3 Depth=1
	ds_store_b32 v49, v2 offset:11168
; %bb.365:                              ;   in Loop: Header=BB110_3 Depth=1
	s_or_b32 exec_lo, exec_lo, s38
	s_wait_dscnt 0x0
	s_barrier_signal -1
	s_barrier_wait -1
	s_barrier_signal -1
	s_barrier_wait -1
	s_and_saveexec_b32 s38, s89
	s_cbranch_execz .LBB110_367
; %bb.366:                              ;   in Loop: Header=BB110_3 Depth=1
	ds_load_b32 v2, v41 offset:10912
	s_wait_dscnt 0x0
	ds_store_b32 v40, v2 offset:10408
	ds_load_b32 v2, v41 offset:10916
	s_wait_dscnt 0x0
	ds_store_b32 v40, v2 offset:10664
.LBB110_367:                            ;   in Loop: Header=BB110_3 Depth=1
	s_or_b32 exec_lo, exec_lo, s38
	s_wait_dscnt 0x0
	s_barrier_signal -1
	s_barrier_wait -1
	s_and_saveexec_b32 s38, s11
	s_cbranch_execz .LBB110_369
; %bb.368:                              ;   in Loop: Header=BB110_3 Depth=1
	ds_load_b32 v29, v3 offset:10656
	ds_store_b32 v3, v28 offset:10660
	s_wait_dscnt 0x1
	ds_store_b64 v3, v[28:29] offset:10400
.LBB110_369:                            ;   in Loop: Header=BB110_3 Depth=1
	s_or_b32 exec_lo, exec_lo, s38
	v_mov_b32_e32 v2, 0
	s_wait_dscnt 0x0
	s_barrier_signal -1
	s_barrier_wait -1
	global_wb scope:SCOPE_DEV
	s_wait_storecnt 0x0
	global_inv scope:SCOPE_DEV
	s_and_saveexec_b32 s61, s5
	s_cbranch_execz .LBB110_379
; %bb.370:                              ;   in Loop: Header=BB110_3 Depth=1
	ds_load_b32 v2, v56 offset:10368
	ds_load_b32 v29, v59 offset:12192
	s_wait_dscnt 0x0
	v_fma_f32 v2, v2, v29, 0
	s_and_saveexec_b32 s38, s15
	s_cbranch_execnz .LBB110_1191
; %bb.371:                              ;   in Loop: Header=BB110_3 Depth=1
	s_or_b32 exec_lo, exec_lo, s38
	s_and_saveexec_b32 s38, s16
	s_cbranch_execnz .LBB110_1192
.LBB110_372:                            ;   in Loop: Header=BB110_3 Depth=1
	s_or_b32 exec_lo, exec_lo, s38
	s_and_saveexec_b32 s38, s17
	s_cbranch_execnz .LBB110_1193
.LBB110_373:                            ;   in Loop: Header=BB110_3 Depth=1
	s_or_b32 exec_lo, exec_lo, s38
	s_and_saveexec_b32 s38, s18
	s_cbranch_execnz .LBB110_1194
.LBB110_374:                            ;   in Loop: Header=BB110_3 Depth=1
	s_or_b32 exec_lo, exec_lo, s38
	s_and_saveexec_b32 s38, s19
	s_cbranch_execnz .LBB110_1195
.LBB110_375:                            ;   in Loop: Header=BB110_3 Depth=1
	s_or_b32 exec_lo, exec_lo, s38
	s_and_saveexec_b32 s38, s4
	s_cbranch_execnz .LBB110_1196
.LBB110_376:                            ;   in Loop: Header=BB110_3 Depth=1
	s_or_b32 exec_lo, exec_lo, s38
	s_and_saveexec_b32 s38, s14
	s_cbranch_execz .LBB110_378
.LBB110_377:                            ;   in Loop: Header=BB110_3 Depth=1
	ds_load_b32 v29, v42 offset:12160
	ds_load_b32 v34, v3 offset:12220
	s_wait_dscnt 0x0
	v_fmac_f32_e32 v2, v29, v34
.LBB110_378:                            ;   in Loop: Header=BB110_3 Depth=1
	s_or_b32 exec_lo, exec_lo, s38
.LBB110_379:                            ;   in Loop: Header=BB110_3 Depth=1
	s_delay_alu instid0(SALU_CYCLE_1)
	s_or_b32 exec_lo, exec_lo, s61
	s_and_saveexec_b32 s38, s97
; %bb.380:                              ;   in Loop: Header=BB110_3 Depth=1
	s_delay_alu instid0(VALU_DEP_1)
	v_xor_b32_e32 v29, 0x80000000, v2
	ds_store_b32 v57, v29
; %bb.381:                              ;   in Loop: Header=BB110_3 Depth=1
	s_or_b32 exec_lo, exec_lo, s38
	s_wait_loadcnt_dscnt 0x0
	s_barrier_signal -1
	s_barrier_wait -1
	s_and_saveexec_b32 s38, s98
	s_cbranch_execz .LBB110_383
; %bb.382:                              ;   in Loop: Header=BB110_3 Depth=1
	ds_load_b32 v29, v56 offset:10112
	ds_load_b32 v34, v57
	s_wait_dscnt 0x0
	v_fma_f32 v2, -v29, v34, v2
.LBB110_383:                            ;   in Loop: Header=BB110_3 Depth=1
	s_or_b32 exec_lo, exec_lo, s38
	s_barrier_signal -1
	s_barrier_wait -1
	s_and_saveexec_b32 s38, s99
; %bb.384:                              ;   in Loop: Header=BB110_3 Depth=1
	v_xor_b32_e32 v29, 0x80000000, v2
	ds_store_b32 v57, v29
; %bb.385:                              ;   in Loop: Header=BB110_3 Depth=1
	s_or_b32 exec_lo, exec_lo, s38
	s_wait_dscnt 0x0
	s_barrier_signal -1
	s_barrier_wait -1
	s_and_saveexec_b32 s38, s100
	s_cbranch_execz .LBB110_387
; %bb.386:                              ;   in Loop: Header=BB110_3 Depth=1
	ds_load_b32 v29, v56 offset:9856
	ds_load_b32 v34, v57
	s_wait_dscnt 0x0
	v_fma_f32 v2, -v29, v34, v2
.LBB110_387:                            ;   in Loop: Header=BB110_3 Depth=1
	s_or_b32 exec_lo, exec_lo, s38
	s_barrier_signal -1
	s_barrier_wait -1
	s_and_saveexec_b32 s38, s101
; %bb.388:                              ;   in Loop: Header=BB110_3 Depth=1
	v_xor_b32_e32 v29, 0x80000000, v2
	ds_store_b32 v57, v29
; %bb.389:                              ;   in Loop: Header=BB110_3 Depth=1
	s_or_b32 exec_lo, exec_lo, s38
	s_wait_dscnt 0x0
	;; [unrolled: 20-line block ×3, first 2 shown]
	s_barrier_signal -1
	s_barrier_wait -1
	s_and_saveexec_b32 s38, s104
	s_cbranch_execz .LBB110_395
; %bb.394:                              ;   in Loop: Header=BB110_3 Depth=1
	ds_load_b32 v29, v56 offset:9344
	ds_load_b32 v34, v57
	s_wait_dscnt 0x0
	v_fma_f32 v2, -v29, v34, v2
.LBB110_395:                            ;   in Loop: Header=BB110_3 Depth=1
	s_or_b32 exec_lo, exec_lo, s38
	s_barrier_signal -1
	s_barrier_wait -1
	s_and_saveexec_b32 s38, vcc_hi
; %bb.396:                              ;   in Loop: Header=BB110_3 Depth=1
	v_xor_b32_e32 v29, 0x80000000, v2
	ds_store_b32 v57, v29
; %bb.397:                              ;   in Loop: Header=BB110_3 Depth=1
	s_or_b32 exec_lo, exec_lo, s38
	s_wait_dscnt 0x0
	s_barrier_signal -1
	s_barrier_wait -1
	s_and_saveexec_b32 s38, s31
	s_cbranch_execz .LBB110_399
; %bb.398:                              ;   in Loop: Header=BB110_3 Depth=1
	ds_load_b32 v29, v56 offset:9088
	ds_load_b32 v34, v57
	s_wait_dscnt 0x0
	v_fma_f32 v2, -v29, v34, v2
.LBB110_399:                            ;   in Loop: Header=BB110_3 Depth=1
	s_or_b32 exec_lo, exec_lo, s38
	s_barrier_signal -1
	s_barrier_wait -1
	s_and_saveexec_b32 s38, s33
; %bb.400:                              ;   in Loop: Header=BB110_3 Depth=1
	v_xor_b32_e32 v29, 0x80000000, v2
	ds_store_b32 v57, v29
; %bb.401:                              ;   in Loop: Header=BB110_3 Depth=1
	s_or_b32 exec_lo, exec_lo, s38
	s_wait_dscnt 0x0
	s_barrier_signal -1
	s_barrier_wait -1
	s_and_saveexec_b32 s38, s34
	s_cbranch_execz .LBB110_403
; %bb.402:                              ;   in Loop: Header=BB110_3 Depth=1
	ds_load_b32 v29, v56 offset:8832
	ds_load_b32 v34, v57
	s_wait_dscnt 0x0
	v_fma_f32 v2, -v29, v34, v2
.LBB110_403:                            ;   in Loop: Header=BB110_3 Depth=1
	s_or_b32 exec_lo, exec_lo, s38
	s_barrier_signal -1
	s_barrier_wait -1
	s_and_saveexec_b32 s38, s35
	;; [unrolled: 20-line block ×3, first 2 shown]
; %bb.408:                              ;   in Loop: Header=BB110_3 Depth=1
	v_xor_b32_e32 v29, 0x80000000, v2
	ds_store_b32 v57, v29
; %bb.409:                              ;   in Loop: Header=BB110_3 Depth=1
	s_or_b32 exec_lo, exec_lo, s38
	s_wait_dscnt 0x0
	s_barrier_signal -1
	s_barrier_wait -1
	s_barrier_signal -1
	s_barrier_wait -1
	s_and_saveexec_b32 s38, s5
; %bb.410:                              ;   in Loop: Header=BB110_3 Depth=1
	ds_store_b32 v60, v2 offset:12160
; %bb.411:                              ;   in Loop: Header=BB110_3 Depth=1
	s_or_b32 exec_lo, exec_lo, s38
	s_wait_dscnt 0x0
	s_barrier_signal -1
	s_barrier_wait -1
	s_barrier_signal -1
	s_barrier_wait -1
	s_and_saveexec_b32 s38, s37
	s_cbranch_execz .LBB110_413
; %bb.412:                              ;   in Loop: Header=BB110_3 Depth=1
	ds_load_b32 v2, v43 offset:10368
	s_wait_dscnt 0x0
	ds_store_b32 v45, v2 offset:8352
	ds_load_b32 v2, v43 offset:10372
	s_wait_dscnt 0x0
	ds_store_b32 v45, v2 offset:8608
	;; [unrolled: 3-line block ×8, first 2 shown]
.LBB110_413:                            ;   in Loop: Header=BB110_3 Depth=1
	s_or_b32 exec_lo, exec_lo, s38
	s_wait_dscnt 0x0
	s_barrier_signal -1
	s_barrier_wait -1
	s_and_saveexec_b32 s38, s11
	s_cbranch_execz .LBB110_415
; %bb.414:                              ;   in Loop: Header=BB110_3 Depth=1
	ds_load_b32 v29, v3 offset:10136
	ds_store_b32 v3, v28 offset:10140
	s_wait_dscnt 0x1
	ds_store_b64 v3, v[28:29] offset:9880
.LBB110_415:                            ;   in Loop: Header=BB110_3 Depth=1
	s_or_b32 exec_lo, exec_lo, s38
	v_mov_b32_e32 v2, 0
	s_wait_dscnt 0x0
	s_barrier_signal -1
	s_barrier_wait -1
	global_wb scope:SCOPE_DEV
	s_wait_storecnt 0x0
	global_inv scope:SCOPE_DEV
	s_and_saveexec_b32 s38, s2
	s_cbranch_execz .LBB110_419
; %bb.416:                              ;   in Loop: Header=BB110_3 Depth=1
	ds_load_b32 v2, v46 offset:9872
	ds_load_b32 v29, v48 offset:10136
	s_wait_dscnt 0x0
	v_fma_f32 v2, v2, v29, 0
	s_and_saveexec_b32 s39, s12
	s_cbranch_execz .LBB110_418
; %bb.417:                              ;   in Loop: Header=BB110_3 Depth=1
	ds_load_b32 v29, v45 offset:10128
	ds_load_b32 v34, v3 offset:10140
	s_wait_dscnt 0x0
	v_fmac_f32_e32 v2, v29, v34
.LBB110_418:                            ;   in Loop: Header=BB110_3 Depth=1
	s_or_b32 exec_lo, exec_lo, s39
.LBB110_419:                            ;   in Loop: Header=BB110_3 Depth=1
	s_delay_alu instid0(SALU_CYCLE_1)
	s_or_b32 exec_lo, exec_lo, s38
	s_and_saveexec_b32 s38, s87
; %bb.420:                              ;   in Loop: Header=BB110_3 Depth=1
	s_delay_alu instid0(VALU_DEP_1)
	v_xor_b32_e32 v29, 0x80000000, v2
	ds_store_b32 v44, v29
; %bb.421:                              ;   in Loop: Header=BB110_3 Depth=1
	s_or_b32 exec_lo, exec_lo, s38
	s_wait_loadcnt_dscnt 0x0
	s_barrier_signal -1
	s_barrier_wait -1
	s_and_saveexec_b32 s38, s88
	s_cbranch_execz .LBB110_423
; %bb.422:                              ;   in Loop: Header=BB110_3 Depth=1
	ds_load_b32 v29, v3 offset:9616
	ds_load_b32 v34, v44
	s_wait_dscnt 0x0
	v_fma_f32 v2, -v29, v34, v2
.LBB110_423:                            ;   in Loop: Header=BB110_3 Depth=1
	s_or_b32 exec_lo, exec_lo, s38
	s_barrier_signal -1
	s_barrier_wait -1
	s_and_saveexec_b32 s38, s88
; %bb.424:                              ;   in Loop: Header=BB110_3 Depth=1
	v_xor_b32_e32 v29, 0x80000000, v2
	ds_store_b32 v44, v29
; %bb.425:                              ;   in Loop: Header=BB110_3 Depth=1
	s_or_b32 exec_lo, exec_lo, s38
	s_wait_dscnt 0x0
	s_barrier_signal -1
	s_barrier_wait -1
	s_barrier_signal -1
	s_barrier_wait -1
	s_and_saveexec_b32 s38, s2
; %bb.426:                              ;   in Loop: Header=BB110_3 Depth=1
	ds_store_b32 v49, v2 offset:10128
; %bb.427:                              ;   in Loop: Header=BB110_3 Depth=1
	s_or_b32 exec_lo, exec_lo, s38
	s_wait_dscnt 0x0
	s_barrier_signal -1
	s_barrier_wait -1
	s_barrier_signal -1
	s_barrier_wait -1
	s_and_saveexec_b32 s38, s89
	s_cbranch_execz .LBB110_429
; %bb.428:                              ;   in Loop: Header=BB110_3 Depth=1
	ds_load_b32 v2, v47 offset:9872
	s_wait_dscnt 0x0
	ds_store_b32 v45, v2 offset:9368
	ds_load_b32 v2, v47 offset:9876
	s_wait_dscnt 0x0
	ds_store_b32 v45, v2 offset:9624
.LBB110_429:                            ;   in Loop: Header=BB110_3 Depth=1
	s_or_b32 exec_lo, exec_lo, s38
	s_wait_dscnt 0x0
	s_barrier_signal -1
	s_barrier_wait -1
	s_and_saveexec_b32 s38, s11
	s_cbranch_execz .LBB110_431
; %bb.430:                              ;   in Loop: Header=BB110_3 Depth=1
	ds_load_b32 v29, v3 offset:9616
	ds_store_b32 v3, v28 offset:9620
	s_wait_dscnt 0x1
	ds_store_b64 v3, v[28:29] offset:9360
.LBB110_431:                            ;   in Loop: Header=BB110_3 Depth=1
	s_or_b32 exec_lo, exec_lo, s38
	v_mov_b32_e32 v2, 0
	s_wait_dscnt 0x0
	s_barrier_signal -1
	s_barrier_wait -1
	global_wb scope:SCOPE_DEV
	s_wait_storecnt 0x0
	global_inv scope:SCOPE_DEV
	s_and_saveexec_b32 s61, s4
	s_cbranch_execz .LBB110_437
; %bb.432:                              ;   in Loop: Header=BB110_3 Depth=1
	ds_load_b32 v2, v52 offset:9344
	ds_load_b32 v29, v53 offset:10128
	s_wait_dscnt 0x0
	v_fma_f32 v2, v2, v29, 0
	s_and_saveexec_b32 s38, s13
	s_cbranch_execnz .LBB110_1197
; %bb.433:                              ;   in Loop: Header=BB110_3 Depth=1
	s_or_b32 exec_lo, exec_lo, s38
	s_and_saveexec_b32 s38, s14
	s_cbranch_execnz .LBB110_1198
.LBB110_434:                            ;   in Loop: Header=BB110_3 Depth=1
	s_or_b32 exec_lo, exec_lo, s38
	s_and_saveexec_b32 s38, s2
	s_cbranch_execz .LBB110_436
.LBB110_435:                            ;   in Loop: Header=BB110_3 Depth=1
	ds_load_b32 v29, v51 offset:10112
	ds_load_b32 v34, v3 offset:10140
	s_wait_dscnt 0x0
	v_fmac_f32_e32 v2, v29, v34
.LBB110_436:                            ;   in Loop: Header=BB110_3 Depth=1
	s_or_b32 exec_lo, exec_lo, s38
.LBB110_437:                            ;   in Loop: Header=BB110_3 Depth=1
	s_delay_alu instid0(SALU_CYCLE_1)
	s_or_b32 exec_lo, exec_lo, s61
	s_and_saveexec_b32 s38, s90
; %bb.438:                              ;   in Loop: Header=BB110_3 Depth=1
	s_delay_alu instid0(VALU_DEP_1)
	v_xor_b32_e32 v29, 0x80000000, v2
	ds_store_b32 v50, v29
; %bb.439:                              ;   in Loop: Header=BB110_3 Depth=1
	s_or_b32 exec_lo, exec_lo, s38
	s_wait_loadcnt_dscnt 0x0
	s_barrier_signal -1
	s_barrier_wait -1
	s_and_saveexec_b32 s38, s91
	s_cbranch_execz .LBB110_441
; %bb.440:                              ;   in Loop: Header=BB110_3 Depth=1
	ds_load_b32 v29, v52 offset:9088
	ds_load_b32 v34, v50
	s_wait_dscnt 0x0
	v_fma_f32 v2, -v29, v34, v2
.LBB110_441:                            ;   in Loop: Header=BB110_3 Depth=1
	s_or_b32 exec_lo, exec_lo, s38
	s_barrier_signal -1
	s_barrier_wait -1
	s_and_saveexec_b32 s38, s92
; %bb.442:                              ;   in Loop: Header=BB110_3 Depth=1
	v_xor_b32_e32 v29, 0x80000000, v2
	ds_store_b32 v50, v29
; %bb.443:                              ;   in Loop: Header=BB110_3 Depth=1
	s_or_b32 exec_lo, exec_lo, s38
	s_wait_dscnt 0x0
	s_barrier_signal -1
	s_barrier_wait -1
	s_and_saveexec_b32 s38, s93
	s_cbranch_execz .LBB110_445
; %bb.444:                              ;   in Loop: Header=BB110_3 Depth=1
	ds_load_b32 v29, v52 offset:8832
	ds_load_b32 v34, v50
	s_wait_dscnt 0x0
	v_fma_f32 v2, -v29, v34, v2
.LBB110_445:                            ;   in Loop: Header=BB110_3 Depth=1
	s_or_b32 exec_lo, exec_lo, s38
	s_barrier_signal -1
	s_barrier_wait -1
	s_and_saveexec_b32 s38, s94
; %bb.446:                              ;   in Loop: Header=BB110_3 Depth=1
	v_xor_b32_e32 v29, 0x80000000, v2
	ds_store_b32 v50, v29
; %bb.447:                              ;   in Loop: Header=BB110_3 Depth=1
	s_or_b32 exec_lo, exec_lo, s38
	s_wait_dscnt 0x0
	;; [unrolled: 20-line block ×3, first 2 shown]
	s_barrier_signal -1
	s_barrier_wait -1
	s_barrier_signal -1
	s_barrier_wait -1
	s_and_saveexec_b32 s38, s4
; %bb.452:                              ;   in Loop: Header=BB110_3 Depth=1
	ds_store_b32 v55, v2 offset:10112
; %bb.453:                              ;   in Loop: Header=BB110_3 Depth=1
	s_or_b32 exec_lo, exec_lo, s38
	s_wait_dscnt 0x0
	s_barrier_signal -1
	s_barrier_wait -1
	s_barrier_signal -1
	s_barrier_wait -1
	s_and_saveexec_b32 s38, s96
	s_cbranch_execz .LBB110_455
; %bb.454:                              ;   in Loop: Header=BB110_3 Depth=1
	ds_load_b32 v2, v54 offset:9344
	s_wait_dscnt 0x0
	ds_store_b32 v58, v2 offset:8336
	ds_load_b32 v2, v54 offset:9348
	s_wait_dscnt 0x0
	ds_store_b32 v58, v2 offset:8592
	ds_load_b32 v2, v54 offset:9352
	s_wait_dscnt 0x0
	ds_store_b32 v58, v2 offset:8848
	ds_load_b32 v2, v54 offset:9356
	s_wait_dscnt 0x0
	ds_store_b32 v58, v2 offset:9104
.LBB110_455:                            ;   in Loop: Header=BB110_3 Depth=1
	s_or_b32 exec_lo, exec_lo, s38
	s_wait_dscnt 0x0
	s_barrier_signal -1
	s_barrier_wait -1
	s_and_saveexec_b32 s38, s11
	s_cbranch_execz .LBB110_457
; %bb.456:                              ;   in Loop: Header=BB110_3 Depth=1
	ds_load_b32 v29, v3 offset:9096
	ds_store_b32 v3, v28 offset:9100
	s_wait_dscnt 0x1
	ds_store_b64 v3, v[28:29] offset:8840
.LBB110_457:                            ;   in Loop: Header=BB110_3 Depth=1
	s_or_b32 exec_lo, exec_lo, s38
	v_mov_b32_e32 v2, 0
	s_wait_dscnt 0x0
	s_barrier_signal -1
	s_barrier_wait -1
	global_wb scope:SCOPE_DEV
	s_wait_storecnt 0x0
	global_inv scope:SCOPE_DEV
	s_and_saveexec_b32 s38, s2
	s_cbranch_execz .LBB110_461
; %bb.458:                              ;   in Loop: Header=BB110_3 Depth=1
	ds_load_b32 v2, v46 offset:8832
	ds_load_b32 v29, v48 offset:9096
	s_wait_dscnt 0x0
	v_fma_f32 v2, v2, v29, 0
	s_and_saveexec_b32 s39, s12
	s_cbranch_execz .LBB110_460
; %bb.459:                              ;   in Loop: Header=BB110_3 Depth=1
	ds_load_b32 v29, v58 offset:9088
	ds_load_b32 v34, v3 offset:9100
	s_wait_dscnt 0x0
	v_fmac_f32_e32 v2, v29, v34
.LBB110_460:                            ;   in Loop: Header=BB110_3 Depth=1
	s_or_b32 exec_lo, exec_lo, s39
.LBB110_461:                            ;   in Loop: Header=BB110_3 Depth=1
	s_delay_alu instid0(SALU_CYCLE_1)
	s_or_b32 exec_lo, exec_lo, s38
	s_and_saveexec_b32 s38, s87
; %bb.462:                              ;   in Loop: Header=BB110_3 Depth=1
	s_delay_alu instid0(VALU_DEP_1)
	v_xor_b32_e32 v29, 0x80000000, v2
	ds_store_b32 v44, v29
; %bb.463:                              ;   in Loop: Header=BB110_3 Depth=1
	s_or_b32 exec_lo, exec_lo, s38
	s_wait_loadcnt_dscnt 0x0
	s_barrier_signal -1
	s_barrier_wait -1
	s_and_saveexec_b32 s38, s88
	s_cbranch_execz .LBB110_465
; %bb.464:                              ;   in Loop: Header=BB110_3 Depth=1
	ds_load_b32 v29, v3 offset:8576
	ds_load_b32 v34, v44
	s_wait_dscnt 0x0
	v_fma_f32 v2, -v29, v34, v2
.LBB110_465:                            ;   in Loop: Header=BB110_3 Depth=1
	s_or_b32 exec_lo, exec_lo, s38
	s_barrier_signal -1
	s_barrier_wait -1
	s_and_saveexec_b32 s38, s88
; %bb.466:                              ;   in Loop: Header=BB110_3 Depth=1
	v_xor_b32_e32 v29, 0x80000000, v2
	ds_store_b32 v44, v29
; %bb.467:                              ;   in Loop: Header=BB110_3 Depth=1
	s_or_b32 exec_lo, exec_lo, s38
	s_wait_dscnt 0x0
	s_barrier_signal -1
	s_barrier_wait -1
	s_barrier_signal -1
	s_barrier_wait -1
	s_and_saveexec_b32 s38, s2
; %bb.468:                              ;   in Loop: Header=BB110_3 Depth=1
	ds_store_b32 v49, v2 offset:9088
; %bb.469:                              ;   in Loop: Header=BB110_3 Depth=1
	s_or_b32 exec_lo, exec_lo, s38
	s_wait_dscnt 0x0
	s_barrier_signal -1
	s_barrier_wait -1
	s_barrier_signal -1
	s_barrier_wait -1
	s_and_saveexec_b32 s38, s89
	s_cbranch_execz .LBB110_471
; %bb.470:                              ;   in Loop: Header=BB110_3 Depth=1
	ds_load_b32 v2, v61 offset:8832
	s_wait_dscnt 0x0
	ds_store_b32 v58, v2 offset:8328
	ds_load_b32 v2, v61 offset:8836
	s_wait_dscnt 0x0
	ds_store_b32 v58, v2 offset:8584
.LBB110_471:                            ;   in Loop: Header=BB110_3 Depth=1
	s_or_b32 exec_lo, exec_lo, s38
	s_wait_dscnt 0x0
	s_barrier_signal -1
	s_barrier_wait -1
	s_and_saveexec_b32 s38, s11
	s_cbranch_execz .LBB110_473
; %bb.472:                              ;   in Loop: Header=BB110_3 Depth=1
	ds_load_b32 v29, v3 offset:8576
	ds_store_b32 v3, v28 offset:8580
	s_wait_dscnt 0x1
	ds_store_b64 v3, v[28:29] offset:8320
.LBB110_473:                            ;   in Loop: Header=BB110_3 Depth=1
	s_or_b32 exec_lo, exec_lo, s38
	v_mov_b32_e32 v2, 0
	s_wait_dscnt 0x0
	s_barrier_signal -1
	s_barrier_wait -1
	global_wb scope:SCOPE_DEV
	s_wait_storecnt 0x0
	global_inv scope:SCOPE_DEV
	s_and_saveexec_b32 s61, s7
	s_cbranch_execz .LBB110_535
; %bb.474:                              ;   in Loop: Header=BB110_3 Depth=1
	ds_load_b32 v2, v64 offset:8192
	ds_load_b32 v29, v68 offset:16256
	s_wait_dscnt 0x0
	v_fma_f32 v2, v2, v29, 0
	s_mov_b32 s38, exec_lo
	v_readlane_b32 s39, v89, 24
	s_and_b32 s39, s38, s39
	s_delay_alu instid0(SALU_CYCLE_1)
	s_mov_b32 exec_lo, s39
	s_cbranch_execz .LBB110_476
; %bb.475:                              ;   in Loop: Header=BB110_3 Depth=1
	ds_load_b32 v29, v64 offset:8448
	ds_load_b32 v34, v68 offset:16260
	s_wait_dscnt 0x0
	v_fmac_f32_e32 v2, v29, v34
.LBB110_476:                            ;   in Loop: Header=BB110_3 Depth=1
	s_or_b32 exec_lo, exec_lo, s38
	s_delay_alu instid0(SALU_CYCLE_1) | instskip(SKIP_2) | instid1(SALU_CYCLE_1)
	s_mov_b32 s38, exec_lo
	v_readlane_b32 s39, v89, 25
	s_and_b32 s39, s38, s39
	s_mov_b32 exec_lo, s39
	s_cbranch_execz .LBB110_478
; %bb.477:                              ;   in Loop: Header=BB110_3 Depth=1
	ds_load_b32 v29, v64 offset:8704
	ds_load_b32 v34, v68 offset:16264
	s_wait_dscnt 0x0
	v_fmac_f32_e32 v2, v29, v34
.LBB110_478:                            ;   in Loop: Header=BB110_3 Depth=1
	s_or_b32 exec_lo, exec_lo, s38
	s_delay_alu instid0(SALU_CYCLE_1) | instskip(SKIP_2) | instid1(SALU_CYCLE_1)
	s_mov_b32 s38, exec_lo
	v_readlane_b32 s39, v89, 26
	s_and_b32 s39, s38, s39
	;; [unrolled: 13-line block ×22, first 2 shown]
	s_mov_b32 exec_lo, s39
	s_cbranch_execz .LBB110_520
; %bb.519:                              ;   in Loop: Header=BB110_3 Depth=1
	ds_load_b32 v29, v64 offset:14080
	ds_load_b32 v34, v68 offset:16348
	s_wait_dscnt 0x0
	v_fmac_f32_e32 v2, v29, v34
.LBB110_520:                            ;   in Loop: Header=BB110_3 Depth=1
	s_or_b32 exec_lo, exec_lo, s38
	s_and_saveexec_b32 s38, s6
	s_cbranch_execz .LBB110_522
; %bb.521:                              ;   in Loop: Header=BB110_3 Depth=1
	ds_load_b32 v29, v64 offset:14336
	ds_load_b32 v34, v68 offset:16352
	s_wait_dscnt 0x0
	v_fmac_f32_e32 v2, v29, v34
.LBB110_522:                            ;   in Loop: Header=BB110_3 Depth=1
	s_or_b32 exec_lo, exec_lo, s38
	s_delay_alu instid0(SALU_CYCLE_1) | instskip(SKIP_2) | instid1(SALU_CYCLE_1)
	s_mov_b32 s38, exec_lo
	v_readlane_b32 s39, v89, 14
	s_and_b32 s39, s38, s39
	s_mov_b32 exec_lo, s39
	s_cbranch_execz .LBB110_524
; %bb.523:                              ;   in Loop: Header=BB110_3 Depth=1
	ds_load_b32 v29, v64 offset:14592
	ds_load_b32 v34, v68 offset:16356
	s_wait_dscnt 0x0
	v_fmac_f32_e32 v2, v29, v34
.LBB110_524:                            ;   in Loop: Header=BB110_3 Depth=1
	s_or_b32 exec_lo, exec_lo, s38
	s_delay_alu instid0(SALU_CYCLE_1) | instskip(SKIP_2) | instid1(SALU_CYCLE_1)
	s_mov_b32 s38, exec_lo
	v_readlane_b32 s39, v89, 16
	s_and_b32 s39, s38, s39
	s_mov_b32 exec_lo, s39
	;; [unrolled: 13-line block ×5, first 2 shown]
	s_cbranch_execnz .LBB110_1199
; %bb.531:                              ;   in Loop: Header=BB110_3 Depth=1
	s_or_b32 exec_lo, exec_lo, s38
	s_and_saveexec_b32 s38, s5
	s_cbranch_execnz .LBB110_1200
.LBB110_532:                            ;   in Loop: Header=BB110_3 Depth=1
	s_or_b32 exec_lo, exec_lo, s38
	s_and_saveexec_b32 s38, s18
	s_cbranch_execz .LBB110_534
.LBB110_533:                            ;   in Loop: Header=BB110_3 Depth=1
	ds_load_b32 v29, v7 offset:16128
	ds_load_b32 v34, v3 offset:16380
	s_wait_dscnt 0x0
	v_fmac_f32_e32 v2, v29, v34
.LBB110_534:                            ;   in Loop: Header=BB110_3 Depth=1
	s_or_b32 exec_lo, exec_lo, s38
.LBB110_535:                            ;   in Loop: Header=BB110_3 Depth=1
	s_delay_alu instid0(SALU_CYCLE_1) | instskip(NEXT) | instid1(SALU_CYCLE_1)
	s_or_b32 exec_lo, exec_lo, s61
	s_mov_b32 s38, exec_lo
	v_readlane_b32 s39, v91, 5
	s_and_b32 s39, s38, s39
	s_delay_alu instid0(SALU_CYCLE_1)
	s_mov_b32 exec_lo, s39
; %bb.536:                              ;   in Loop: Header=BB110_3 Depth=1
	v_xor_b32_e32 v29, 0x80000000, v2
	ds_store_b32 v67, v29
; %bb.537:                              ;   in Loop: Header=BB110_3 Depth=1
	s_or_b32 exec_lo, exec_lo, s38
	s_wait_loadcnt_dscnt 0x0
	s_barrier_signal -1
	s_barrier_wait -1
	s_mov_b32 s38, exec_lo
	v_readlane_b32 s39, v91, 6
	s_and_b32 s39, s38, s39
	s_delay_alu instid0(SALU_CYCLE_1)
	s_mov_b32 exec_lo, s39
	s_cbranch_execz .LBB110_539
; %bb.538:                              ;   in Loop: Header=BB110_3 Depth=1
	ds_load_b32 v29, v64 offset:7936
	ds_load_b32 v34, v67
	s_wait_dscnt 0x0
	v_fma_f32 v2, -v29, v34, v2
.LBB110_539:                            ;   in Loop: Header=BB110_3 Depth=1
	s_or_b32 exec_lo, exec_lo, s38
	s_barrier_signal -1
	s_barrier_wait -1
	s_mov_b32 s38, exec_lo
	v_readlane_b32 s39, v91, 7
	s_and_b32 s39, s38, s39
	s_delay_alu instid0(SALU_CYCLE_1)
	s_mov_b32 exec_lo, s39
; %bb.540:                              ;   in Loop: Header=BB110_3 Depth=1
	v_xor_b32_e32 v29, 0x80000000, v2
	ds_store_b32 v67, v29
; %bb.541:                              ;   in Loop: Header=BB110_3 Depth=1
	s_or_b32 exec_lo, exec_lo, s38
	s_wait_dscnt 0x0
	s_barrier_signal -1
	s_barrier_wait -1
	s_mov_b32 s38, exec_lo
	v_readlane_b32 s39, v91, 8
	s_and_b32 s39, s38, s39
	s_delay_alu instid0(SALU_CYCLE_1)
	s_mov_b32 exec_lo, s39
	s_cbranch_execz .LBB110_543
; %bb.542:                              ;   in Loop: Header=BB110_3 Depth=1
	ds_load_b32 v29, v64 offset:7680
	ds_load_b32 v34, v67
	s_wait_dscnt 0x0
	v_fma_f32 v2, -v29, v34, v2
.LBB110_543:                            ;   in Loop: Header=BB110_3 Depth=1
	s_or_b32 exec_lo, exec_lo, s38
	s_barrier_signal -1
	s_barrier_wait -1
	s_mov_b32 s38, exec_lo
	v_readlane_b32 s39, v91, 9
	s_and_b32 s39, s38, s39
	s_delay_alu instid0(SALU_CYCLE_1)
	s_mov_b32 exec_lo, s39
; %bb.544:                              ;   in Loop: Header=BB110_3 Depth=1
	v_xor_b32_e32 v29, 0x80000000, v2
	ds_store_b32 v67, v29
; %bb.545:                              ;   in Loop: Header=BB110_3 Depth=1
	s_or_b32 exec_lo, exec_lo, s38
	s_wait_dscnt 0x0
	;; [unrolled: 28-line block ×30, first 2 shown]
	s_barrier_signal -1
	s_barrier_wait -1
	s_and_saveexec_b32 s38, s27
	s_cbranch_execz .LBB110_659
; %bb.658:                              ;   in Loop: Header=BB110_3 Depth=1
	ds_load_b32 v29, v3 offset:256
	ds_load_b32 v34, v67
	s_wait_dscnt 0x0
	v_fma_f32 v2, -v29, v34, v2
.LBB110_659:                            ;   in Loop: Header=BB110_3 Depth=1
	s_or_b32 exec_lo, exec_lo, s38
	s_barrier_signal -1
	s_barrier_wait -1
	s_and_saveexec_b32 s38, s27
; %bb.660:                              ;   in Loop: Header=BB110_3 Depth=1
	v_xor_b32_e32 v29, 0x80000000, v2
	ds_store_b32 v67, v29
; %bb.661:                              ;   in Loop: Header=BB110_3 Depth=1
	s_or_b32 exec_lo, exec_lo, s38
	s_wait_dscnt 0x0
	s_barrier_signal -1
	s_barrier_wait -1
	s_barrier_signal -1
	s_barrier_wait -1
	s_and_saveexec_b32 s38, s7
; %bb.662:                              ;   in Loop: Header=BB110_3 Depth=1
	ds_store_b32 v69, v2 offset:16128
; %bb.663:                              ;   in Loop: Header=BB110_3 Depth=1
	s_or_b32 exec_lo, exec_lo, s38
	s_wait_dscnt 0x0
	s_barrier_signal -1
	s_barrier_wait -1
	s_barrier_signal -1
	s_barrier_wait -1
	s_mov_b32 s61, exec_lo
	v_readlane_b32 s38, v89, 2
	s_and_b32 s38, s61, s38
	s_delay_alu instid0(SALU_CYCLE_1)
	s_mov_b32 exec_lo, s38
	s_cbranch_execz .LBB110_665
; %bb.664:                              ;   in Loop: Header=BB110_3 Depth=1
	ds_load_b32 v2, v9 offset:8192
	s_wait_dscnt 0x0
	ds_store_b32 v38, v2 offset:128
	ds_load_b32 v2, v9 offset:8196
	s_wait_dscnt 0x0
	ds_store_b32 v38, v2 offset:384
	;; [unrolled: 3-line block ×32, first 2 shown]
.LBB110_665:                            ;   in Loop: Header=BB110_3 Depth=1
	s_or_b32 exec_lo, exec_lo, s61
	s_wait_dscnt 0x0
	s_barrier_signal -1
	s_barrier_wait -1
	s_and_saveexec_b32 s38, s11
	s_cbranch_execz .LBB110_667
; %bb.666:                              ;   in Loop: Header=BB110_3 Depth=1
	ds_load_b32 v29, v3 offset:8056
	ds_store_b32 v3, v28 offset:8060
	s_wait_dscnt 0x1
	ds_store_b64 v3, v[28:29] offset:7800
.LBB110_667:                            ;   in Loop: Header=BB110_3 Depth=1
	s_or_b32 exec_lo, exec_lo, s38
	v_mov_b32_e32 v2, 0
	s_wait_dscnt 0x0
	s_barrier_signal -1
	s_barrier_wait -1
	global_wb scope:SCOPE_DEV
	s_wait_storecnt 0x0
	global_inv scope:SCOPE_DEV
	s_and_saveexec_b32 s38, s2
	s_cbranch_execz .LBB110_671
; %bb.668:                              ;   in Loop: Header=BB110_3 Depth=1
	ds_load_b32 v2, v46 offset:7792
	ds_load_b32 v29, v48 offset:8056
	s_wait_dscnt 0x0
	v_fma_f32 v2, v2, v29, 0
	s_and_saveexec_b32 s39, s12
	s_cbranch_execz .LBB110_670
; %bb.669:                              ;   in Loop: Header=BB110_3 Depth=1
	ds_load_b32 v29, v7 offset:8048
	ds_load_b32 v34, v3 offset:8060
	s_wait_dscnt 0x0
	v_fmac_f32_e32 v2, v29, v34
.LBB110_670:                            ;   in Loop: Header=BB110_3 Depth=1
	s_or_b32 exec_lo, exec_lo, s39
.LBB110_671:                            ;   in Loop: Header=BB110_3 Depth=1
	s_delay_alu instid0(SALU_CYCLE_1)
	s_or_b32 exec_lo, exec_lo, s38
	s_and_saveexec_b32 s38, s87
; %bb.672:                              ;   in Loop: Header=BB110_3 Depth=1
	s_delay_alu instid0(VALU_DEP_1)
	v_xor_b32_e32 v29, 0x80000000, v2
	ds_store_b32 v44, v29
; %bb.673:                              ;   in Loop: Header=BB110_3 Depth=1
	s_or_b32 exec_lo, exec_lo, s38
	s_wait_loadcnt_dscnt 0x0
	s_barrier_signal -1
	s_barrier_wait -1
	s_and_saveexec_b32 s38, s88
	s_cbranch_execz .LBB110_675
; %bb.674:                              ;   in Loop: Header=BB110_3 Depth=1
	ds_load_b32 v29, v3 offset:7536
	ds_load_b32 v34, v44
	s_wait_dscnt 0x0
	v_fma_f32 v2, -v29, v34, v2
.LBB110_675:                            ;   in Loop: Header=BB110_3 Depth=1
	s_or_b32 exec_lo, exec_lo, s38
	s_barrier_signal -1
	s_barrier_wait -1
	s_and_saveexec_b32 s38, s88
; %bb.676:                              ;   in Loop: Header=BB110_3 Depth=1
	v_xor_b32_e32 v29, 0x80000000, v2
	ds_store_b32 v44, v29
; %bb.677:                              ;   in Loop: Header=BB110_3 Depth=1
	s_or_b32 exec_lo, exec_lo, s38
	s_wait_dscnt 0x0
	s_barrier_signal -1
	s_barrier_wait -1
	s_barrier_signal -1
	s_barrier_wait -1
	s_and_saveexec_b32 s38, s2
; %bb.678:                              ;   in Loop: Header=BB110_3 Depth=1
	ds_store_b32 v49, v2 offset:8048
; %bb.679:                              ;   in Loop: Header=BB110_3 Depth=1
	s_or_b32 exec_lo, exec_lo, s38
	s_wait_dscnt 0x0
	s_barrier_signal -1
	s_barrier_wait -1
	s_barrier_signal -1
	s_barrier_wait -1
	s_and_saveexec_b32 s38, s89
	s_cbranch_execz .LBB110_681
; %bb.680:                              ;   in Loop: Header=BB110_3 Depth=1
	ds_load_b32 v2, v9 offset:7792
	s_wait_dscnt 0x0
	ds_store_b32 v7, v2 offset:7288
	ds_load_b32 v2, v9 offset:7796
	s_wait_dscnt 0x0
	ds_store_b32 v7, v2 offset:7544
.LBB110_681:                            ;   in Loop: Header=BB110_3 Depth=1
	s_or_b32 exec_lo, exec_lo, s38
	s_wait_dscnt 0x0
	s_barrier_signal -1
	s_barrier_wait -1
	s_and_saveexec_b32 s38, s11
	s_cbranch_execz .LBB110_683
; %bb.682:                              ;   in Loop: Header=BB110_3 Depth=1
	ds_load_b32 v29, v3 offset:7536
	ds_store_b32 v3, v28 offset:7540
	s_wait_dscnt 0x1
	ds_store_b64 v3, v[28:29] offset:7280
.LBB110_683:                            ;   in Loop: Header=BB110_3 Depth=1
	s_or_b32 exec_lo, exec_lo, s38
	v_mov_b32_e32 v2, 0
	s_wait_dscnt 0x0
	s_barrier_signal -1
	s_barrier_wait -1
	global_wb scope:SCOPE_DEV
	s_wait_storecnt 0x0
	global_inv scope:SCOPE_DEV
	s_and_saveexec_b32 s61, s4
	s_cbranch_execz .LBB110_689
; %bb.684:                              ;   in Loop: Header=BB110_3 Depth=1
	ds_load_b32 v2, v52 offset:7264
	ds_load_b32 v29, v53 offset:8048
	s_wait_dscnt 0x0
	v_fma_f32 v2, v2, v29, 0
	s_and_saveexec_b32 s38, s13
	s_cbranch_execnz .LBB110_1201
; %bb.685:                              ;   in Loop: Header=BB110_3 Depth=1
	s_or_b32 exec_lo, exec_lo, s38
	s_and_saveexec_b32 s38, s14
	s_cbranch_execnz .LBB110_1202
.LBB110_686:                            ;   in Loop: Header=BB110_3 Depth=1
	s_or_b32 exec_lo, exec_lo, s38
	s_and_saveexec_b32 s38, s2
	s_cbranch_execz .LBB110_688
.LBB110_687:                            ;   in Loop: Header=BB110_3 Depth=1
	ds_load_b32 v29, v38 offset:8032
	ds_load_b32 v34, v3 offset:8060
	s_wait_dscnt 0x0
	v_fmac_f32_e32 v2, v29, v34
.LBB110_688:                            ;   in Loop: Header=BB110_3 Depth=1
	s_or_b32 exec_lo, exec_lo, s38
.LBB110_689:                            ;   in Loop: Header=BB110_3 Depth=1
	s_delay_alu instid0(SALU_CYCLE_1)
	s_or_b32 exec_lo, exec_lo, s61
	s_and_saveexec_b32 s38, s90
; %bb.690:                              ;   in Loop: Header=BB110_3 Depth=1
	s_delay_alu instid0(VALU_DEP_1)
	v_xor_b32_e32 v29, 0x80000000, v2
	ds_store_b32 v50, v29
; %bb.691:                              ;   in Loop: Header=BB110_3 Depth=1
	s_or_b32 exec_lo, exec_lo, s38
	s_wait_loadcnt_dscnt 0x0
	s_barrier_signal -1
	s_barrier_wait -1
	s_and_saveexec_b32 s38, s91
	s_cbranch_execz .LBB110_693
; %bb.692:                              ;   in Loop: Header=BB110_3 Depth=1
	ds_load_b32 v29, v52 offset:7008
	ds_load_b32 v34, v50
	s_wait_dscnt 0x0
	v_fma_f32 v2, -v29, v34, v2
.LBB110_693:                            ;   in Loop: Header=BB110_3 Depth=1
	s_or_b32 exec_lo, exec_lo, s38
	s_barrier_signal -1
	s_barrier_wait -1
	s_and_saveexec_b32 s38, s92
; %bb.694:                              ;   in Loop: Header=BB110_3 Depth=1
	v_xor_b32_e32 v29, 0x80000000, v2
	ds_store_b32 v50, v29
; %bb.695:                              ;   in Loop: Header=BB110_3 Depth=1
	s_or_b32 exec_lo, exec_lo, s38
	s_wait_dscnt 0x0
	s_barrier_signal -1
	s_barrier_wait -1
	s_and_saveexec_b32 s38, s93
	s_cbranch_execz .LBB110_697
; %bb.696:                              ;   in Loop: Header=BB110_3 Depth=1
	ds_load_b32 v29, v52 offset:6752
	ds_load_b32 v34, v50
	s_wait_dscnt 0x0
	v_fma_f32 v2, -v29, v34, v2
.LBB110_697:                            ;   in Loop: Header=BB110_3 Depth=1
	s_or_b32 exec_lo, exec_lo, s38
	s_barrier_signal -1
	s_barrier_wait -1
	s_and_saveexec_b32 s38, s94
; %bb.698:                              ;   in Loop: Header=BB110_3 Depth=1
	v_xor_b32_e32 v29, 0x80000000, v2
	ds_store_b32 v50, v29
; %bb.699:                              ;   in Loop: Header=BB110_3 Depth=1
	s_or_b32 exec_lo, exec_lo, s38
	s_wait_dscnt 0x0
	;; [unrolled: 20-line block ×3, first 2 shown]
	s_barrier_signal -1
	s_barrier_wait -1
	s_barrier_signal -1
	s_barrier_wait -1
	s_and_saveexec_b32 s38, s4
; %bb.704:                              ;   in Loop: Header=BB110_3 Depth=1
	ds_store_b32 v55, v2 offset:8032
; %bb.705:                              ;   in Loop: Header=BB110_3 Depth=1
	s_or_b32 exec_lo, exec_lo, s38
	s_wait_dscnt 0x0
	s_barrier_signal -1
	s_barrier_wait -1
	s_barrier_signal -1
	s_barrier_wait -1
	s_and_saveexec_b32 s38, s96
	s_cbranch_execz .LBB110_707
; %bb.706:                              ;   in Loop: Header=BB110_3 Depth=1
	ds_load_b32 v2, v39 offset:7264
	s_wait_dscnt 0x0
	ds_store_b32 v40, v2 offset:6256
	ds_load_b32 v2, v39 offset:7268
	s_wait_dscnt 0x0
	ds_store_b32 v40, v2 offset:6512
	;; [unrolled: 3-line block ×4, first 2 shown]
.LBB110_707:                            ;   in Loop: Header=BB110_3 Depth=1
	s_or_b32 exec_lo, exec_lo, s38
	s_wait_dscnt 0x0
	s_barrier_signal -1
	s_barrier_wait -1
	s_and_saveexec_b32 s38, s11
	s_cbranch_execz .LBB110_709
; %bb.708:                              ;   in Loop: Header=BB110_3 Depth=1
	ds_load_b32 v29, v3 offset:7016
	ds_store_b32 v3, v28 offset:7020
	s_wait_dscnt 0x1
	ds_store_b64 v3, v[28:29] offset:6760
.LBB110_709:                            ;   in Loop: Header=BB110_3 Depth=1
	s_or_b32 exec_lo, exec_lo, s38
	v_mov_b32_e32 v2, 0
	s_wait_dscnt 0x0
	s_barrier_signal -1
	s_barrier_wait -1
	global_wb scope:SCOPE_DEV
	s_wait_storecnt 0x0
	global_inv scope:SCOPE_DEV
	s_and_saveexec_b32 s38, s2
	s_cbranch_execz .LBB110_713
; %bb.710:                              ;   in Loop: Header=BB110_3 Depth=1
	ds_load_b32 v2, v46 offset:6752
	ds_load_b32 v29, v48 offset:7016
	s_wait_dscnt 0x0
	v_fma_f32 v2, v2, v29, 0
	s_and_saveexec_b32 s39, s12
	s_cbranch_execz .LBB110_712
; %bb.711:                              ;   in Loop: Header=BB110_3 Depth=1
	ds_load_b32 v29, v40 offset:7008
	ds_load_b32 v34, v3 offset:7020
	s_wait_dscnt 0x0
	v_fmac_f32_e32 v2, v29, v34
.LBB110_712:                            ;   in Loop: Header=BB110_3 Depth=1
	s_or_b32 exec_lo, exec_lo, s39
.LBB110_713:                            ;   in Loop: Header=BB110_3 Depth=1
	s_delay_alu instid0(SALU_CYCLE_1)
	s_or_b32 exec_lo, exec_lo, s38
	s_and_saveexec_b32 s38, s87
; %bb.714:                              ;   in Loop: Header=BB110_3 Depth=1
	s_delay_alu instid0(VALU_DEP_1)
	v_xor_b32_e32 v29, 0x80000000, v2
	ds_store_b32 v44, v29
; %bb.715:                              ;   in Loop: Header=BB110_3 Depth=1
	s_or_b32 exec_lo, exec_lo, s38
	s_wait_loadcnt_dscnt 0x0
	s_barrier_signal -1
	s_barrier_wait -1
	s_and_saveexec_b32 s38, s88
	s_cbranch_execz .LBB110_717
; %bb.716:                              ;   in Loop: Header=BB110_3 Depth=1
	ds_load_b32 v29, v3 offset:6496
	ds_load_b32 v34, v44
	s_wait_dscnt 0x0
	v_fma_f32 v2, -v29, v34, v2
.LBB110_717:                            ;   in Loop: Header=BB110_3 Depth=1
	s_or_b32 exec_lo, exec_lo, s38
	s_barrier_signal -1
	s_barrier_wait -1
	s_and_saveexec_b32 s38, s88
; %bb.718:                              ;   in Loop: Header=BB110_3 Depth=1
	v_xor_b32_e32 v29, 0x80000000, v2
	ds_store_b32 v44, v29
; %bb.719:                              ;   in Loop: Header=BB110_3 Depth=1
	s_or_b32 exec_lo, exec_lo, s38
	s_wait_dscnt 0x0
	s_barrier_signal -1
	s_barrier_wait -1
	s_barrier_signal -1
	s_barrier_wait -1
	s_and_saveexec_b32 s38, s2
; %bb.720:                              ;   in Loop: Header=BB110_3 Depth=1
	ds_store_b32 v49, v2 offset:7008
; %bb.721:                              ;   in Loop: Header=BB110_3 Depth=1
	s_or_b32 exec_lo, exec_lo, s38
	s_wait_dscnt 0x0
	s_barrier_signal -1
	s_barrier_wait -1
	s_barrier_signal -1
	s_barrier_wait -1
	s_and_saveexec_b32 s38, s89
	s_cbranch_execz .LBB110_723
; %bb.722:                              ;   in Loop: Header=BB110_3 Depth=1
	ds_load_b32 v2, v41 offset:6752
	s_wait_dscnt 0x0
	ds_store_b32 v40, v2 offset:6248
	ds_load_b32 v2, v41 offset:6756
	s_wait_dscnt 0x0
	ds_store_b32 v40, v2 offset:6504
.LBB110_723:                            ;   in Loop: Header=BB110_3 Depth=1
	s_or_b32 exec_lo, exec_lo, s38
	s_wait_dscnt 0x0
	s_barrier_signal -1
	s_barrier_wait -1
	s_and_saveexec_b32 s38, s11
	s_cbranch_execz .LBB110_725
; %bb.724:                              ;   in Loop: Header=BB110_3 Depth=1
	ds_load_b32 v29, v3 offset:6496
	ds_store_b32 v3, v28 offset:6500
	s_wait_dscnt 0x1
	ds_store_b64 v3, v[28:29] offset:6240
.LBB110_725:                            ;   in Loop: Header=BB110_3 Depth=1
	s_or_b32 exec_lo, exec_lo, s38
	v_mov_b32_e32 v2, 0
	s_wait_dscnt 0x0
	s_barrier_signal -1
	s_barrier_wait -1
	global_wb scope:SCOPE_DEV
	s_wait_storecnt 0x0
	global_inv scope:SCOPE_DEV
	s_and_saveexec_b32 s61, s5
	s_cbranch_execz .LBB110_735
; %bb.726:                              ;   in Loop: Header=BB110_3 Depth=1
	ds_load_b32 v2, v56 offset:6208
	ds_load_b32 v29, v59 offset:8032
	s_wait_dscnt 0x0
	v_fma_f32 v2, v2, v29, 0
	s_and_saveexec_b32 s38, s15
	s_cbranch_execnz .LBB110_1203
; %bb.727:                              ;   in Loop: Header=BB110_3 Depth=1
	s_or_b32 exec_lo, exec_lo, s38
	s_and_saveexec_b32 s38, s16
	s_cbranch_execnz .LBB110_1204
.LBB110_728:                            ;   in Loop: Header=BB110_3 Depth=1
	s_or_b32 exec_lo, exec_lo, s38
	s_and_saveexec_b32 s38, s17
	s_cbranch_execnz .LBB110_1205
.LBB110_729:                            ;   in Loop: Header=BB110_3 Depth=1
	s_or_b32 exec_lo, exec_lo, s38
	s_and_saveexec_b32 s38, s18
	s_cbranch_execnz .LBB110_1206
.LBB110_730:                            ;   in Loop: Header=BB110_3 Depth=1
	s_or_b32 exec_lo, exec_lo, s38
	s_and_saveexec_b32 s38, s19
	s_cbranch_execnz .LBB110_1207
.LBB110_731:                            ;   in Loop: Header=BB110_3 Depth=1
	s_or_b32 exec_lo, exec_lo, s38
	s_and_saveexec_b32 s38, s4
	s_cbranch_execnz .LBB110_1208
.LBB110_732:                            ;   in Loop: Header=BB110_3 Depth=1
	s_or_b32 exec_lo, exec_lo, s38
	s_and_saveexec_b32 s38, s14
	s_cbranch_execz .LBB110_734
.LBB110_733:                            ;   in Loop: Header=BB110_3 Depth=1
	ds_load_b32 v29, v42 offset:8000
	ds_load_b32 v34, v3 offset:8060
	s_wait_dscnt 0x0
	v_fmac_f32_e32 v2, v29, v34
.LBB110_734:                            ;   in Loop: Header=BB110_3 Depth=1
	s_or_b32 exec_lo, exec_lo, s38
.LBB110_735:                            ;   in Loop: Header=BB110_3 Depth=1
	s_delay_alu instid0(SALU_CYCLE_1)
	s_or_b32 exec_lo, exec_lo, s61
	s_and_saveexec_b32 s38, s97
; %bb.736:                              ;   in Loop: Header=BB110_3 Depth=1
	s_delay_alu instid0(VALU_DEP_1)
	v_xor_b32_e32 v29, 0x80000000, v2
	ds_store_b32 v57, v29
; %bb.737:                              ;   in Loop: Header=BB110_3 Depth=1
	s_or_b32 exec_lo, exec_lo, s38
	s_wait_loadcnt_dscnt 0x0
	s_barrier_signal -1
	s_barrier_wait -1
	s_and_saveexec_b32 s38, s98
	s_cbranch_execz .LBB110_739
; %bb.738:                              ;   in Loop: Header=BB110_3 Depth=1
	ds_load_b32 v29, v56 offset:5952
	ds_load_b32 v34, v57
	s_wait_dscnt 0x0
	v_fma_f32 v2, -v29, v34, v2
.LBB110_739:                            ;   in Loop: Header=BB110_3 Depth=1
	s_or_b32 exec_lo, exec_lo, s38
	s_barrier_signal -1
	s_barrier_wait -1
	s_and_saveexec_b32 s38, s99
; %bb.740:                              ;   in Loop: Header=BB110_3 Depth=1
	v_xor_b32_e32 v29, 0x80000000, v2
	ds_store_b32 v57, v29
; %bb.741:                              ;   in Loop: Header=BB110_3 Depth=1
	s_or_b32 exec_lo, exec_lo, s38
	s_wait_dscnt 0x0
	s_barrier_signal -1
	s_barrier_wait -1
	s_and_saveexec_b32 s38, s100
	s_cbranch_execz .LBB110_743
; %bb.742:                              ;   in Loop: Header=BB110_3 Depth=1
	ds_load_b32 v29, v56 offset:5696
	ds_load_b32 v34, v57
	s_wait_dscnt 0x0
	v_fma_f32 v2, -v29, v34, v2
.LBB110_743:                            ;   in Loop: Header=BB110_3 Depth=1
	s_or_b32 exec_lo, exec_lo, s38
	s_barrier_signal -1
	s_barrier_wait -1
	s_and_saveexec_b32 s38, s101
; %bb.744:                              ;   in Loop: Header=BB110_3 Depth=1
	v_xor_b32_e32 v29, 0x80000000, v2
	ds_store_b32 v57, v29
; %bb.745:                              ;   in Loop: Header=BB110_3 Depth=1
	s_or_b32 exec_lo, exec_lo, s38
	s_wait_dscnt 0x0
	;; [unrolled: 20-line block ×3, first 2 shown]
	s_barrier_signal -1
	s_barrier_wait -1
	s_and_saveexec_b32 s38, s104
	s_cbranch_execz .LBB110_751
; %bb.750:                              ;   in Loop: Header=BB110_3 Depth=1
	ds_load_b32 v29, v56 offset:5184
	ds_load_b32 v34, v57
	s_wait_dscnt 0x0
	v_fma_f32 v2, -v29, v34, v2
.LBB110_751:                            ;   in Loop: Header=BB110_3 Depth=1
	s_or_b32 exec_lo, exec_lo, s38
	s_barrier_signal -1
	s_barrier_wait -1
	s_and_saveexec_b32 s38, vcc_hi
; %bb.752:                              ;   in Loop: Header=BB110_3 Depth=1
	v_xor_b32_e32 v29, 0x80000000, v2
	ds_store_b32 v57, v29
; %bb.753:                              ;   in Loop: Header=BB110_3 Depth=1
	s_or_b32 exec_lo, exec_lo, s38
	s_wait_dscnt 0x0
	s_barrier_signal -1
	s_barrier_wait -1
	s_and_saveexec_b32 s38, s31
	s_cbranch_execz .LBB110_755
; %bb.754:                              ;   in Loop: Header=BB110_3 Depth=1
	ds_load_b32 v29, v56 offset:4928
	ds_load_b32 v34, v57
	s_wait_dscnt 0x0
	v_fma_f32 v2, -v29, v34, v2
.LBB110_755:                            ;   in Loop: Header=BB110_3 Depth=1
	s_or_b32 exec_lo, exec_lo, s38
	s_barrier_signal -1
	s_barrier_wait -1
	s_and_saveexec_b32 s38, s33
; %bb.756:                              ;   in Loop: Header=BB110_3 Depth=1
	v_xor_b32_e32 v29, 0x80000000, v2
	ds_store_b32 v57, v29
; %bb.757:                              ;   in Loop: Header=BB110_3 Depth=1
	s_or_b32 exec_lo, exec_lo, s38
	s_wait_dscnt 0x0
	s_barrier_signal -1
	s_barrier_wait -1
	s_and_saveexec_b32 s38, s34
	s_cbranch_execz .LBB110_759
; %bb.758:                              ;   in Loop: Header=BB110_3 Depth=1
	ds_load_b32 v29, v56 offset:4672
	ds_load_b32 v34, v57
	s_wait_dscnt 0x0
	v_fma_f32 v2, -v29, v34, v2
.LBB110_759:                            ;   in Loop: Header=BB110_3 Depth=1
	s_or_b32 exec_lo, exec_lo, s38
	s_barrier_signal -1
	s_barrier_wait -1
	s_and_saveexec_b32 s38, s35
	;; [unrolled: 20-line block ×3, first 2 shown]
; %bb.764:                              ;   in Loop: Header=BB110_3 Depth=1
	v_xor_b32_e32 v29, 0x80000000, v2
	ds_store_b32 v57, v29
; %bb.765:                              ;   in Loop: Header=BB110_3 Depth=1
	s_or_b32 exec_lo, exec_lo, s38
	s_wait_dscnt 0x0
	s_barrier_signal -1
	s_barrier_wait -1
	s_barrier_signal -1
	s_barrier_wait -1
	s_and_saveexec_b32 s38, s5
; %bb.766:                              ;   in Loop: Header=BB110_3 Depth=1
	ds_store_b32 v60, v2 offset:8000
; %bb.767:                              ;   in Loop: Header=BB110_3 Depth=1
	s_or_b32 exec_lo, exec_lo, s38
	s_wait_dscnt 0x0
	s_barrier_signal -1
	s_barrier_wait -1
	s_barrier_signal -1
	s_barrier_wait -1
	s_and_saveexec_b32 s38, s37
	s_cbranch_execz .LBB110_769
; %bb.768:                              ;   in Loop: Header=BB110_3 Depth=1
	ds_load_b32 v2, v43 offset:6208
	s_wait_dscnt 0x0
	ds_store_b32 v45, v2 offset:4192
	ds_load_b32 v2, v43 offset:6212
	s_wait_dscnt 0x0
	ds_store_b32 v45, v2 offset:4448
	;; [unrolled: 3-line block ×8, first 2 shown]
.LBB110_769:                            ;   in Loop: Header=BB110_3 Depth=1
	s_or_b32 exec_lo, exec_lo, s38
	s_wait_dscnt 0x0
	s_barrier_signal -1
	s_barrier_wait -1
	s_and_saveexec_b32 s38, s11
	s_cbranch_execz .LBB110_771
; %bb.770:                              ;   in Loop: Header=BB110_3 Depth=1
	ds_load_b32 v29, v3 offset:5976
	ds_store_b32 v3, v28 offset:5980
	s_wait_dscnt 0x1
	ds_store_b64 v3, v[28:29] offset:5720
.LBB110_771:                            ;   in Loop: Header=BB110_3 Depth=1
	s_or_b32 exec_lo, exec_lo, s38
	v_mov_b32_e32 v2, 0
	s_wait_dscnt 0x0
	s_barrier_signal -1
	s_barrier_wait -1
	global_wb scope:SCOPE_DEV
	s_wait_storecnt 0x0
	global_inv scope:SCOPE_DEV
	s_and_saveexec_b32 s38, s2
	s_cbranch_execz .LBB110_775
; %bb.772:                              ;   in Loop: Header=BB110_3 Depth=1
	ds_load_b32 v2, v46 offset:5712
	ds_load_b32 v29, v48 offset:5976
	s_wait_dscnt 0x0
	v_fma_f32 v2, v2, v29, 0
	s_and_saveexec_b32 s39, s12
	s_cbranch_execz .LBB110_774
; %bb.773:                              ;   in Loop: Header=BB110_3 Depth=1
	ds_load_b32 v29, v45 offset:5968
	ds_load_b32 v34, v3 offset:5980
	s_wait_dscnt 0x0
	v_fmac_f32_e32 v2, v29, v34
.LBB110_774:                            ;   in Loop: Header=BB110_3 Depth=1
	s_or_b32 exec_lo, exec_lo, s39
.LBB110_775:                            ;   in Loop: Header=BB110_3 Depth=1
	s_delay_alu instid0(SALU_CYCLE_1)
	s_or_b32 exec_lo, exec_lo, s38
	s_and_saveexec_b32 s38, s87
; %bb.776:                              ;   in Loop: Header=BB110_3 Depth=1
	s_delay_alu instid0(VALU_DEP_1)
	v_xor_b32_e32 v29, 0x80000000, v2
	ds_store_b32 v44, v29
; %bb.777:                              ;   in Loop: Header=BB110_3 Depth=1
	s_or_b32 exec_lo, exec_lo, s38
	s_wait_loadcnt_dscnt 0x0
	s_barrier_signal -1
	s_barrier_wait -1
	s_and_saveexec_b32 s38, s88
	s_cbranch_execz .LBB110_779
; %bb.778:                              ;   in Loop: Header=BB110_3 Depth=1
	ds_load_b32 v29, v3 offset:5456
	ds_load_b32 v34, v44
	s_wait_dscnt 0x0
	v_fma_f32 v2, -v29, v34, v2
.LBB110_779:                            ;   in Loop: Header=BB110_3 Depth=1
	s_or_b32 exec_lo, exec_lo, s38
	s_barrier_signal -1
	s_barrier_wait -1
	s_and_saveexec_b32 s38, s88
; %bb.780:                              ;   in Loop: Header=BB110_3 Depth=1
	v_xor_b32_e32 v29, 0x80000000, v2
	ds_store_b32 v44, v29
; %bb.781:                              ;   in Loop: Header=BB110_3 Depth=1
	s_or_b32 exec_lo, exec_lo, s38
	s_wait_dscnt 0x0
	s_barrier_signal -1
	s_barrier_wait -1
	s_barrier_signal -1
	s_barrier_wait -1
	s_and_saveexec_b32 s38, s2
; %bb.782:                              ;   in Loop: Header=BB110_3 Depth=1
	ds_store_b32 v49, v2 offset:5968
; %bb.783:                              ;   in Loop: Header=BB110_3 Depth=1
	s_or_b32 exec_lo, exec_lo, s38
	s_wait_dscnt 0x0
	s_barrier_signal -1
	s_barrier_wait -1
	s_barrier_signal -1
	s_barrier_wait -1
	s_and_saveexec_b32 s38, s89
	s_cbranch_execz .LBB110_785
; %bb.784:                              ;   in Loop: Header=BB110_3 Depth=1
	ds_load_b32 v2, v47 offset:5712
	s_wait_dscnt 0x0
	ds_store_b32 v45, v2 offset:5208
	ds_load_b32 v2, v47 offset:5716
	s_wait_dscnt 0x0
	ds_store_b32 v45, v2 offset:5464
.LBB110_785:                            ;   in Loop: Header=BB110_3 Depth=1
	s_or_b32 exec_lo, exec_lo, s38
	s_wait_dscnt 0x0
	s_barrier_signal -1
	s_barrier_wait -1
	s_and_saveexec_b32 s38, s11
	s_cbranch_execz .LBB110_787
; %bb.786:                              ;   in Loop: Header=BB110_3 Depth=1
	ds_load_b32 v29, v3 offset:5456
	ds_store_b32 v3, v28 offset:5460
	s_wait_dscnt 0x1
	ds_store_b64 v3, v[28:29] offset:5200
.LBB110_787:                            ;   in Loop: Header=BB110_3 Depth=1
	s_or_b32 exec_lo, exec_lo, s38
	v_mov_b32_e32 v2, 0
	s_wait_dscnt 0x0
	s_barrier_signal -1
	s_barrier_wait -1
	global_wb scope:SCOPE_DEV
	s_wait_storecnt 0x0
	global_inv scope:SCOPE_DEV
	s_and_saveexec_b32 s61, s4
	s_cbranch_execz .LBB110_793
; %bb.788:                              ;   in Loop: Header=BB110_3 Depth=1
	ds_load_b32 v2, v52 offset:5184
	ds_load_b32 v29, v53 offset:5968
	s_wait_dscnt 0x0
	v_fma_f32 v2, v2, v29, 0
	s_and_saveexec_b32 s38, s13
	s_cbranch_execnz .LBB110_1209
; %bb.789:                              ;   in Loop: Header=BB110_3 Depth=1
	s_or_b32 exec_lo, exec_lo, s38
	s_and_saveexec_b32 s38, s14
	s_cbranch_execnz .LBB110_1210
.LBB110_790:                            ;   in Loop: Header=BB110_3 Depth=1
	s_or_b32 exec_lo, exec_lo, s38
	s_and_saveexec_b32 s38, s2
	s_cbranch_execz .LBB110_792
.LBB110_791:                            ;   in Loop: Header=BB110_3 Depth=1
	ds_load_b32 v29, v51 offset:5952
	ds_load_b32 v34, v3 offset:5980
	s_wait_dscnt 0x0
	v_fmac_f32_e32 v2, v29, v34
.LBB110_792:                            ;   in Loop: Header=BB110_3 Depth=1
	s_or_b32 exec_lo, exec_lo, s38
.LBB110_793:                            ;   in Loop: Header=BB110_3 Depth=1
	s_delay_alu instid0(SALU_CYCLE_1)
	s_or_b32 exec_lo, exec_lo, s61
	s_and_saveexec_b32 s38, s90
; %bb.794:                              ;   in Loop: Header=BB110_3 Depth=1
	s_delay_alu instid0(VALU_DEP_1)
	v_xor_b32_e32 v29, 0x80000000, v2
	ds_store_b32 v50, v29
; %bb.795:                              ;   in Loop: Header=BB110_3 Depth=1
	s_or_b32 exec_lo, exec_lo, s38
	s_wait_loadcnt_dscnt 0x0
	s_barrier_signal -1
	s_barrier_wait -1
	s_and_saveexec_b32 s38, s91
	s_cbranch_execz .LBB110_797
; %bb.796:                              ;   in Loop: Header=BB110_3 Depth=1
	ds_load_b32 v29, v52 offset:4928
	ds_load_b32 v34, v50
	s_wait_dscnt 0x0
	v_fma_f32 v2, -v29, v34, v2
.LBB110_797:                            ;   in Loop: Header=BB110_3 Depth=1
	s_or_b32 exec_lo, exec_lo, s38
	s_barrier_signal -1
	s_barrier_wait -1
	s_and_saveexec_b32 s38, s92
; %bb.798:                              ;   in Loop: Header=BB110_3 Depth=1
	v_xor_b32_e32 v29, 0x80000000, v2
	ds_store_b32 v50, v29
; %bb.799:                              ;   in Loop: Header=BB110_3 Depth=1
	s_or_b32 exec_lo, exec_lo, s38
	s_wait_dscnt 0x0
	s_barrier_signal -1
	s_barrier_wait -1
	s_and_saveexec_b32 s38, s93
	s_cbranch_execz .LBB110_801
; %bb.800:                              ;   in Loop: Header=BB110_3 Depth=1
	ds_load_b32 v29, v52 offset:4672
	ds_load_b32 v34, v50
	s_wait_dscnt 0x0
	v_fma_f32 v2, -v29, v34, v2
.LBB110_801:                            ;   in Loop: Header=BB110_3 Depth=1
	s_or_b32 exec_lo, exec_lo, s38
	s_barrier_signal -1
	s_barrier_wait -1
	s_and_saveexec_b32 s38, s94
; %bb.802:                              ;   in Loop: Header=BB110_3 Depth=1
	v_xor_b32_e32 v29, 0x80000000, v2
	ds_store_b32 v50, v29
; %bb.803:                              ;   in Loop: Header=BB110_3 Depth=1
	s_or_b32 exec_lo, exec_lo, s38
	s_wait_dscnt 0x0
	;; [unrolled: 20-line block ×3, first 2 shown]
	s_barrier_signal -1
	s_barrier_wait -1
	s_barrier_signal -1
	s_barrier_wait -1
	s_and_saveexec_b32 s38, s4
; %bb.808:                              ;   in Loop: Header=BB110_3 Depth=1
	ds_store_b32 v55, v2 offset:5952
; %bb.809:                              ;   in Loop: Header=BB110_3 Depth=1
	s_or_b32 exec_lo, exec_lo, s38
	s_wait_dscnt 0x0
	s_barrier_signal -1
	s_barrier_wait -1
	s_barrier_signal -1
	s_barrier_wait -1
	s_and_saveexec_b32 s38, s96
	s_cbranch_execz .LBB110_811
; %bb.810:                              ;   in Loop: Header=BB110_3 Depth=1
	ds_load_b32 v2, v54 offset:5184
	s_wait_dscnt 0x0
	ds_store_b32 v58, v2 offset:4176
	ds_load_b32 v2, v54 offset:5188
	s_wait_dscnt 0x0
	ds_store_b32 v58, v2 offset:4432
	;; [unrolled: 3-line block ×4, first 2 shown]
.LBB110_811:                            ;   in Loop: Header=BB110_3 Depth=1
	s_or_b32 exec_lo, exec_lo, s38
	s_wait_dscnt 0x0
	s_barrier_signal -1
	s_barrier_wait -1
	s_and_saveexec_b32 s38, s11
	s_cbranch_execz .LBB110_813
; %bb.812:                              ;   in Loop: Header=BB110_3 Depth=1
	ds_load_b32 v29, v3 offset:4936
	ds_store_b32 v3, v28 offset:4940
	s_wait_dscnt 0x1
	ds_store_b64 v3, v[28:29] offset:4680
.LBB110_813:                            ;   in Loop: Header=BB110_3 Depth=1
	s_or_b32 exec_lo, exec_lo, s38
	v_mov_b32_e32 v2, 0
	s_wait_dscnt 0x0
	s_barrier_signal -1
	s_barrier_wait -1
	global_wb scope:SCOPE_DEV
	s_wait_storecnt 0x0
	global_inv scope:SCOPE_DEV
	s_and_saveexec_b32 s38, s2
	s_cbranch_execz .LBB110_817
; %bb.814:                              ;   in Loop: Header=BB110_3 Depth=1
	ds_load_b32 v2, v46 offset:4672
	ds_load_b32 v29, v48 offset:4936
	s_wait_dscnt 0x0
	v_fma_f32 v2, v2, v29, 0
	s_and_saveexec_b32 s39, s12
	s_cbranch_execz .LBB110_816
; %bb.815:                              ;   in Loop: Header=BB110_3 Depth=1
	ds_load_b32 v29, v58 offset:4928
	ds_load_b32 v34, v3 offset:4940
	s_wait_dscnt 0x0
	v_fmac_f32_e32 v2, v29, v34
.LBB110_816:                            ;   in Loop: Header=BB110_3 Depth=1
	s_or_b32 exec_lo, exec_lo, s39
.LBB110_817:                            ;   in Loop: Header=BB110_3 Depth=1
	s_delay_alu instid0(SALU_CYCLE_1)
	s_or_b32 exec_lo, exec_lo, s38
	s_and_saveexec_b32 s38, s87
; %bb.818:                              ;   in Loop: Header=BB110_3 Depth=1
	s_delay_alu instid0(VALU_DEP_1)
	v_xor_b32_e32 v29, 0x80000000, v2
	ds_store_b32 v44, v29
; %bb.819:                              ;   in Loop: Header=BB110_3 Depth=1
	s_or_b32 exec_lo, exec_lo, s38
	s_wait_loadcnt_dscnt 0x0
	s_barrier_signal -1
	s_barrier_wait -1
	s_and_saveexec_b32 s38, s88
	s_cbranch_execz .LBB110_821
; %bb.820:                              ;   in Loop: Header=BB110_3 Depth=1
	ds_load_b32 v29, v3 offset:4416
	ds_load_b32 v34, v44
	s_wait_dscnt 0x0
	v_fma_f32 v2, -v29, v34, v2
.LBB110_821:                            ;   in Loop: Header=BB110_3 Depth=1
	s_or_b32 exec_lo, exec_lo, s38
	s_barrier_signal -1
	s_barrier_wait -1
	s_and_saveexec_b32 s38, s88
; %bb.822:                              ;   in Loop: Header=BB110_3 Depth=1
	v_xor_b32_e32 v29, 0x80000000, v2
	ds_store_b32 v44, v29
; %bb.823:                              ;   in Loop: Header=BB110_3 Depth=1
	s_or_b32 exec_lo, exec_lo, s38
	s_wait_dscnt 0x0
	s_barrier_signal -1
	s_barrier_wait -1
	s_barrier_signal -1
	s_barrier_wait -1
	s_and_saveexec_b32 s38, s2
; %bb.824:                              ;   in Loop: Header=BB110_3 Depth=1
	ds_store_b32 v49, v2 offset:4928
; %bb.825:                              ;   in Loop: Header=BB110_3 Depth=1
	s_or_b32 exec_lo, exec_lo, s38
	s_wait_dscnt 0x0
	s_barrier_signal -1
	s_barrier_wait -1
	s_barrier_signal -1
	s_barrier_wait -1
	s_and_saveexec_b32 s38, s89
	s_cbranch_execz .LBB110_827
; %bb.826:                              ;   in Loop: Header=BB110_3 Depth=1
	ds_load_b32 v2, v61 offset:4672
	s_wait_dscnt 0x0
	ds_store_b32 v58, v2 offset:4168
	ds_load_b32 v2, v61 offset:4676
	s_wait_dscnt 0x0
	ds_store_b32 v58, v2 offset:4424
.LBB110_827:                            ;   in Loop: Header=BB110_3 Depth=1
	s_or_b32 exec_lo, exec_lo, s38
	s_wait_dscnt 0x0
	s_barrier_signal -1
	s_barrier_wait -1
	s_and_saveexec_b32 s38, s11
	s_cbranch_execz .LBB110_829
; %bb.828:                              ;   in Loop: Header=BB110_3 Depth=1
	ds_load_b32 v29, v3 offset:4416
	ds_store_b32 v3, v28 offset:4420
	s_wait_dscnt 0x1
	ds_store_b64 v3, v[28:29] offset:4160
.LBB110_829:                            ;   in Loop: Header=BB110_3 Depth=1
	s_or_b32 exec_lo, exec_lo, s38
	v_mov_b32_e32 v2, 0
	s_wait_dscnt 0x0
	s_barrier_signal -1
	s_barrier_wait -1
	global_wb scope:SCOPE_DEV
	s_wait_storecnt 0x0
	global_inv scope:SCOPE_DEV
	s_and_saveexec_b32 s61, s6
	s_cbranch_execz .LBB110_857
; %bb.830:                              ;   in Loop: Header=BB110_3 Depth=1
	ds_load_b32 v2, v62 offset:4096
	ds_load_b32 v29, v65 offset:8000
	s_wait_dscnt 0x0
	v_fma_f32 v2, v2, v29, 0
	s_mov_b32 s38, exec_lo
	v_readlane_b32 s39, v89, 13
	s_and_b32 s39, s38, s39
	s_delay_alu instid0(SALU_CYCLE_1)
	s_mov_b32 exec_lo, s39
	s_cbranch_execz .LBB110_832
; %bb.831:                              ;   in Loop: Header=BB110_3 Depth=1
	ds_load_b32 v29, v62 offset:4352
	ds_load_b32 v34, v65 offset:8004
	s_wait_dscnt 0x0
	v_fmac_f32_e32 v2, v29, v34
.LBB110_832:                            ;   in Loop: Header=BB110_3 Depth=1
	s_or_b32 exec_lo, exec_lo, s38
	s_delay_alu instid0(SALU_CYCLE_1) | instskip(SKIP_2) | instid1(SALU_CYCLE_1)
	s_mov_b32 s38, exec_lo
	v_readlane_b32 s39, v89, 14
	s_and_b32 s39, s38, s39
	s_mov_b32 exec_lo, s39
	s_cbranch_execz .LBB110_834
; %bb.833:                              ;   in Loop: Header=BB110_3 Depth=1
	ds_load_b32 v29, v62 offset:4608
	ds_load_b32 v34, v65 offset:8008
	s_wait_dscnt 0x0
	v_fmac_f32_e32 v2, v29, v34
.LBB110_834:                            ;   in Loop: Header=BB110_3 Depth=1
	s_or_b32 exec_lo, exec_lo, s38
	s_delay_alu instid0(SALU_CYCLE_1) | instskip(SKIP_2) | instid1(SALU_CYCLE_1)
	s_mov_b32 s38, exec_lo
	v_readlane_b32 s39, v89, 15
	s_and_b32 s39, s38, s39
	;; [unrolled: 13-line block ×10, first 2 shown]
	s_mov_b32 exec_lo, s39
	s_cbranch_execnz .LBB110_1211
; %bb.851:                              ;   in Loop: Header=BB110_3 Depth=1
	s_or_b32 exec_lo, exec_lo, s38
	s_and_saveexec_b32 s38, s5
	s_cbranch_execnz .LBB110_1212
.LBB110_852:                            ;   in Loop: Header=BB110_3 Depth=1
	s_or_b32 exec_lo, exec_lo, s38
	s_and_saveexec_b32 s38, s16
	s_cbranch_execnz .LBB110_1213
.LBB110_853:                            ;   in Loop: Header=BB110_3 Depth=1
	s_or_b32 exec_lo, exec_lo, s38
	s_and_saveexec_b32 s38, s18
	s_cbranch_execnz .LBB110_1214
.LBB110_854:                            ;   in Loop: Header=BB110_3 Depth=1
	s_or_b32 exec_lo, exec_lo, s38
	s_and_saveexec_b32 s38, s4
	s_cbranch_execz .LBB110_856
.LBB110_855:                            ;   in Loop: Header=BB110_3 Depth=1
	ds_load_b32 v29, v7 offset:7936
	ds_load_b32 v34, v3 offset:8060
	s_wait_dscnt 0x0
	v_fmac_f32_e32 v2, v29, v34
.LBB110_856:                            ;   in Loop: Header=BB110_3 Depth=1
	s_or_b32 exec_lo, exec_lo, s38
.LBB110_857:                            ;   in Loop: Header=BB110_3 Depth=1
	s_delay_alu instid0(SALU_CYCLE_1) | instskip(NEXT) | instid1(SALU_CYCLE_1)
	s_or_b32 exec_lo, exec_lo, s61
	s_mov_b32 s38, exec_lo
	v_readlane_b32 s39, v91, 3
	s_and_b32 s39, s38, s39
	s_delay_alu instid0(SALU_CYCLE_1)
	s_mov_b32 exec_lo, s39
; %bb.858:                              ;   in Loop: Header=BB110_3 Depth=1
	v_xor_b32_e32 v29, 0x80000000, v2
	ds_store_b32 v63, v29
; %bb.859:                              ;   in Loop: Header=BB110_3 Depth=1
	s_or_b32 exec_lo, exec_lo, s38
	s_wait_loadcnt_dscnt 0x0
	s_barrier_signal -1
	s_barrier_wait -1
	s_mov_b32 s38, exec_lo
	v_readlane_b32 s39, v91, 4
	s_and_b32 s39, s38, s39
	s_delay_alu instid0(SALU_CYCLE_1)
	s_mov_b32 exec_lo, s39
	s_cbranch_execz .LBB110_861
; %bb.860:                              ;   in Loop: Header=BB110_3 Depth=1
	ds_load_b32 v29, v62 offset:3840
	ds_load_b32 v34, v63
	s_wait_dscnt 0x0
	v_fma_f32 v2, -v29, v34, v2
.LBB110_861:                            ;   in Loop: Header=BB110_3 Depth=1
	s_or_b32 exec_lo, exec_lo, s38
	s_barrier_signal -1
	s_barrier_wait -1
	s_and_saveexec_b32 s38, s40
; %bb.862:                              ;   in Loop: Header=BB110_3 Depth=1
	v_xor_b32_e32 v29, 0x80000000, v2
	ds_store_b32 v63, v29
; %bb.863:                              ;   in Loop: Header=BB110_3 Depth=1
	s_or_b32 exec_lo, exec_lo, s38
	s_wait_dscnt 0x0
	s_barrier_signal -1
	s_barrier_wait -1
	s_and_saveexec_b32 s38, s41
	s_cbranch_execz .LBB110_865
; %bb.864:                              ;   in Loop: Header=BB110_3 Depth=1
	ds_load_b32 v29, v62 offset:3584
	ds_load_b32 v34, v63
	s_wait_dscnt 0x0
	v_fma_f32 v2, -v29, v34, v2
.LBB110_865:                            ;   in Loop: Header=BB110_3 Depth=1
	s_or_b32 exec_lo, exec_lo, s38
	s_barrier_signal -1
	s_barrier_wait -1
	s_and_saveexec_b32 s38, s42
; %bb.866:                              ;   in Loop: Header=BB110_3 Depth=1
	v_xor_b32_e32 v29, 0x80000000, v2
	ds_store_b32 v63, v29
; %bb.867:                              ;   in Loop: Header=BB110_3 Depth=1
	s_or_b32 exec_lo, exec_lo, s38
	s_wait_dscnt 0x0
	s_barrier_signal -1
	s_barrier_wait -1
	s_and_saveexec_b32 s38, s43
	;; [unrolled: 20-line block ×14, first 2 shown]
	s_cbranch_execz .LBB110_917
; %bb.916:                              ;   in Loop: Header=BB110_3 Depth=1
	ds_load_b32 v29, v3 offset:256
	ds_load_b32 v34, v63
	s_wait_dscnt 0x0
	v_fma_f32 v2, -v29, v34, v2
.LBB110_917:                            ;   in Loop: Header=BB110_3 Depth=1
	s_or_b32 exec_lo, exec_lo, s38
	s_barrier_signal -1
	s_barrier_wait -1
	s_and_saveexec_b32 s38, s23
; %bb.918:                              ;   in Loop: Header=BB110_3 Depth=1
	v_xor_b32_e32 v29, 0x80000000, v2
	ds_store_b32 v63, v29
; %bb.919:                              ;   in Loop: Header=BB110_3 Depth=1
	s_or_b32 exec_lo, exec_lo, s38
	s_wait_dscnt 0x0
	s_barrier_signal -1
	s_barrier_wait -1
	s_barrier_signal -1
	s_barrier_wait -1
	s_and_saveexec_b32 s38, s6
; %bb.920:                              ;   in Loop: Header=BB110_3 Depth=1
	ds_store_b32 v66, v2 offset:7936
; %bb.921:                              ;   in Loop: Header=BB110_3 Depth=1
	s_or_b32 exec_lo, exec_lo, s38
	s_wait_dscnt 0x0
	s_barrier_signal -1
	s_barrier_wait -1
	s_barrier_signal -1
	s_barrier_wait -1
	s_and_saveexec_b32 s61, s25
	s_cbranch_execz .LBB110_923
; %bb.922:                              ;   in Loop: Header=BB110_3 Depth=1
	ds_load_b32 v2, v9 offset:4096
	s_wait_dscnt 0x0
	ds_store_b32 v38, v2 offset:64
	ds_load_b32 v2, v9 offset:4100
	s_wait_dscnt 0x0
	ds_store_b32 v38, v2 offset:320
	;; [unrolled: 3-line block ×16, first 2 shown]
.LBB110_923:                            ;   in Loop: Header=BB110_3 Depth=1
	s_or_b32 exec_lo, exec_lo, s61
	s_wait_dscnt 0x0
	s_barrier_signal -1
	s_barrier_wait -1
	s_and_saveexec_b32 s38, s11
	s_cbranch_execz .LBB110_925
; %bb.924:                              ;   in Loop: Header=BB110_3 Depth=1
	ds_load_b32 v29, v3 offset:3896
	ds_store_b32 v3, v28 offset:3900
	s_wait_dscnt 0x1
	ds_store_b64 v3, v[28:29] offset:3640
.LBB110_925:                            ;   in Loop: Header=BB110_3 Depth=1
	s_or_b32 exec_lo, exec_lo, s38
	v_mov_b32_e32 v2, 0
	s_wait_dscnt 0x0
	s_barrier_signal -1
	s_barrier_wait -1
	global_wb scope:SCOPE_DEV
	s_wait_storecnt 0x0
	global_inv scope:SCOPE_DEV
	s_and_saveexec_b32 s38, s2
	s_cbranch_execz .LBB110_929
; %bb.926:                              ;   in Loop: Header=BB110_3 Depth=1
	ds_load_b32 v2, v46 offset:3632
	ds_load_b32 v29, v48 offset:3896
	s_wait_dscnt 0x0
	v_fma_f32 v2, v2, v29, 0
	s_and_saveexec_b32 s39, s12
	s_cbranch_execz .LBB110_928
; %bb.927:                              ;   in Loop: Header=BB110_3 Depth=1
	ds_load_b32 v29, v7 offset:3888
	ds_load_b32 v34, v3 offset:3900
	s_wait_dscnt 0x0
	v_fmac_f32_e32 v2, v29, v34
.LBB110_928:                            ;   in Loop: Header=BB110_3 Depth=1
	s_or_b32 exec_lo, exec_lo, s39
.LBB110_929:                            ;   in Loop: Header=BB110_3 Depth=1
	s_delay_alu instid0(SALU_CYCLE_1)
	s_or_b32 exec_lo, exec_lo, s38
	s_and_saveexec_b32 s38, s87
; %bb.930:                              ;   in Loop: Header=BB110_3 Depth=1
	s_delay_alu instid0(VALU_DEP_1)
	v_xor_b32_e32 v29, 0x80000000, v2
	ds_store_b32 v44, v29
; %bb.931:                              ;   in Loop: Header=BB110_3 Depth=1
	s_or_b32 exec_lo, exec_lo, s38
	s_wait_loadcnt_dscnt 0x0
	s_barrier_signal -1
	s_barrier_wait -1
	s_and_saveexec_b32 s38, s88
	s_cbranch_execz .LBB110_933
; %bb.932:                              ;   in Loop: Header=BB110_3 Depth=1
	ds_load_b32 v29, v3 offset:3376
	ds_load_b32 v34, v44
	s_wait_dscnt 0x0
	v_fma_f32 v2, -v29, v34, v2
.LBB110_933:                            ;   in Loop: Header=BB110_3 Depth=1
	s_or_b32 exec_lo, exec_lo, s38
	s_barrier_signal -1
	s_barrier_wait -1
	s_and_saveexec_b32 s38, s88
; %bb.934:                              ;   in Loop: Header=BB110_3 Depth=1
	v_xor_b32_e32 v29, 0x80000000, v2
	ds_store_b32 v44, v29
; %bb.935:                              ;   in Loop: Header=BB110_3 Depth=1
	s_or_b32 exec_lo, exec_lo, s38
	s_wait_dscnt 0x0
	s_barrier_signal -1
	s_barrier_wait -1
	s_barrier_signal -1
	s_barrier_wait -1
	s_and_saveexec_b32 s38, s2
; %bb.936:                              ;   in Loop: Header=BB110_3 Depth=1
	ds_store_b32 v49, v2 offset:3888
; %bb.937:                              ;   in Loop: Header=BB110_3 Depth=1
	s_or_b32 exec_lo, exec_lo, s38
	s_wait_dscnt 0x0
	s_barrier_signal -1
	s_barrier_wait -1
	s_barrier_signal -1
	s_barrier_wait -1
	s_and_saveexec_b32 s38, s89
	s_cbranch_execz .LBB110_939
; %bb.938:                              ;   in Loop: Header=BB110_3 Depth=1
	ds_load_b32 v2, v9 offset:3632
	s_wait_dscnt 0x0
	ds_store_b32 v7, v2 offset:3128
	ds_load_b32 v2, v9 offset:3636
	s_wait_dscnt 0x0
	ds_store_b32 v7, v2 offset:3384
.LBB110_939:                            ;   in Loop: Header=BB110_3 Depth=1
	s_or_b32 exec_lo, exec_lo, s38
	s_wait_dscnt 0x0
	s_barrier_signal -1
	s_barrier_wait -1
	s_and_saveexec_b32 s38, s11
	s_cbranch_execz .LBB110_941
; %bb.940:                              ;   in Loop: Header=BB110_3 Depth=1
	ds_load_b32 v29, v3 offset:3376
	ds_store_b32 v3, v28 offset:3380
	s_wait_dscnt 0x1
	ds_store_b64 v3, v[28:29] offset:3120
.LBB110_941:                            ;   in Loop: Header=BB110_3 Depth=1
	s_or_b32 exec_lo, exec_lo, s38
	v_mov_b32_e32 v2, 0
	s_wait_dscnt 0x0
	s_barrier_signal -1
	s_barrier_wait -1
	global_wb scope:SCOPE_DEV
	s_wait_storecnt 0x0
	global_inv scope:SCOPE_DEV
	s_and_saveexec_b32 s61, s4
	s_cbranch_execz .LBB110_947
; %bb.942:                              ;   in Loop: Header=BB110_3 Depth=1
	ds_load_b32 v2, v52 offset:3104
	ds_load_b32 v29, v53 offset:3888
	s_wait_dscnt 0x0
	v_fma_f32 v2, v2, v29, 0
	s_and_saveexec_b32 s38, s13
	s_cbranch_execnz .LBB110_1215
; %bb.943:                              ;   in Loop: Header=BB110_3 Depth=1
	s_or_b32 exec_lo, exec_lo, s38
	s_and_saveexec_b32 s38, s14
	s_cbranch_execnz .LBB110_1216
.LBB110_944:                            ;   in Loop: Header=BB110_3 Depth=1
	s_or_b32 exec_lo, exec_lo, s38
	s_and_saveexec_b32 s38, s2
	s_cbranch_execz .LBB110_946
.LBB110_945:                            ;   in Loop: Header=BB110_3 Depth=1
	ds_load_b32 v29, v38 offset:3872
	ds_load_b32 v34, v3 offset:3900
	s_wait_dscnt 0x0
	v_fmac_f32_e32 v2, v29, v34
.LBB110_946:                            ;   in Loop: Header=BB110_3 Depth=1
	s_or_b32 exec_lo, exec_lo, s38
.LBB110_947:                            ;   in Loop: Header=BB110_3 Depth=1
	s_delay_alu instid0(SALU_CYCLE_1)
	s_or_b32 exec_lo, exec_lo, s61
	s_and_saveexec_b32 s38, s90
; %bb.948:                              ;   in Loop: Header=BB110_3 Depth=1
	s_delay_alu instid0(VALU_DEP_1)
	v_xor_b32_e32 v29, 0x80000000, v2
	ds_store_b32 v50, v29
; %bb.949:                              ;   in Loop: Header=BB110_3 Depth=1
	s_or_b32 exec_lo, exec_lo, s38
	s_wait_loadcnt_dscnt 0x0
	s_barrier_signal -1
	s_barrier_wait -1
	s_and_saveexec_b32 s38, s91
	s_cbranch_execz .LBB110_951
; %bb.950:                              ;   in Loop: Header=BB110_3 Depth=1
	ds_load_b32 v29, v52 offset:2848
	ds_load_b32 v34, v50
	s_wait_dscnt 0x0
	v_fma_f32 v2, -v29, v34, v2
.LBB110_951:                            ;   in Loop: Header=BB110_3 Depth=1
	s_or_b32 exec_lo, exec_lo, s38
	s_barrier_signal -1
	s_barrier_wait -1
	s_and_saveexec_b32 s38, s92
; %bb.952:                              ;   in Loop: Header=BB110_3 Depth=1
	v_xor_b32_e32 v29, 0x80000000, v2
	ds_store_b32 v50, v29
; %bb.953:                              ;   in Loop: Header=BB110_3 Depth=1
	s_or_b32 exec_lo, exec_lo, s38
	s_wait_dscnt 0x0
	s_barrier_signal -1
	s_barrier_wait -1
	s_and_saveexec_b32 s38, s93
	s_cbranch_execz .LBB110_955
; %bb.954:                              ;   in Loop: Header=BB110_3 Depth=1
	ds_load_b32 v29, v52 offset:2592
	ds_load_b32 v34, v50
	s_wait_dscnt 0x0
	v_fma_f32 v2, -v29, v34, v2
.LBB110_955:                            ;   in Loop: Header=BB110_3 Depth=1
	s_or_b32 exec_lo, exec_lo, s38
	s_barrier_signal -1
	s_barrier_wait -1
	s_and_saveexec_b32 s38, s94
; %bb.956:                              ;   in Loop: Header=BB110_3 Depth=1
	v_xor_b32_e32 v29, 0x80000000, v2
	ds_store_b32 v50, v29
; %bb.957:                              ;   in Loop: Header=BB110_3 Depth=1
	s_or_b32 exec_lo, exec_lo, s38
	s_wait_dscnt 0x0
	;; [unrolled: 20-line block ×3, first 2 shown]
	s_barrier_signal -1
	s_barrier_wait -1
	s_barrier_signal -1
	s_barrier_wait -1
	s_and_saveexec_b32 s38, s4
; %bb.962:                              ;   in Loop: Header=BB110_3 Depth=1
	ds_store_b32 v55, v2 offset:3872
; %bb.963:                              ;   in Loop: Header=BB110_3 Depth=1
	s_or_b32 exec_lo, exec_lo, s38
	s_wait_dscnt 0x0
	s_barrier_signal -1
	s_barrier_wait -1
	s_barrier_signal -1
	s_barrier_wait -1
	s_and_saveexec_b32 s38, s96
	s_cbranch_execz .LBB110_965
; %bb.964:                              ;   in Loop: Header=BB110_3 Depth=1
	ds_load_b32 v2, v39 offset:3104
	s_wait_dscnt 0x0
	ds_store_b32 v40, v2 offset:2096
	ds_load_b32 v2, v39 offset:3108
	s_wait_dscnt 0x0
	ds_store_b32 v40, v2 offset:2352
	;; [unrolled: 3-line block ×4, first 2 shown]
.LBB110_965:                            ;   in Loop: Header=BB110_3 Depth=1
	s_or_b32 exec_lo, exec_lo, s38
	s_wait_dscnt 0x0
	s_barrier_signal -1
	s_barrier_wait -1
	s_and_saveexec_b32 s38, s11
	s_cbranch_execz .LBB110_967
; %bb.966:                              ;   in Loop: Header=BB110_3 Depth=1
	ds_load_b32 v29, v3 offset:2856
	ds_store_b32 v3, v28 offset:2860
	s_wait_dscnt 0x1
	ds_store_b64 v3, v[28:29] offset:2600
.LBB110_967:                            ;   in Loop: Header=BB110_3 Depth=1
	s_or_b32 exec_lo, exec_lo, s38
	v_mov_b32_e32 v2, 0
	s_wait_dscnt 0x0
	s_barrier_signal -1
	s_barrier_wait -1
	global_wb scope:SCOPE_DEV
	s_wait_storecnt 0x0
	global_inv scope:SCOPE_DEV
	s_and_saveexec_b32 s38, s2
	s_cbranch_execz .LBB110_971
; %bb.968:                              ;   in Loop: Header=BB110_3 Depth=1
	ds_load_b32 v2, v46 offset:2592
	ds_load_b32 v29, v48 offset:2856
	s_wait_dscnt 0x0
	v_fma_f32 v2, v2, v29, 0
	s_and_saveexec_b32 s39, s12
	s_cbranch_execz .LBB110_970
; %bb.969:                              ;   in Loop: Header=BB110_3 Depth=1
	ds_load_b32 v29, v40 offset:2848
	ds_load_b32 v34, v3 offset:2860
	s_wait_dscnt 0x0
	v_fmac_f32_e32 v2, v29, v34
.LBB110_970:                            ;   in Loop: Header=BB110_3 Depth=1
	s_or_b32 exec_lo, exec_lo, s39
.LBB110_971:                            ;   in Loop: Header=BB110_3 Depth=1
	s_delay_alu instid0(SALU_CYCLE_1)
	s_or_b32 exec_lo, exec_lo, s38
	s_and_saveexec_b32 s38, s87
; %bb.972:                              ;   in Loop: Header=BB110_3 Depth=1
	s_delay_alu instid0(VALU_DEP_1)
	v_xor_b32_e32 v29, 0x80000000, v2
	ds_store_b32 v44, v29
; %bb.973:                              ;   in Loop: Header=BB110_3 Depth=1
	s_or_b32 exec_lo, exec_lo, s38
	s_wait_loadcnt_dscnt 0x0
	s_barrier_signal -1
	s_barrier_wait -1
	s_and_saveexec_b32 s38, s88
	s_cbranch_execz .LBB110_975
; %bb.974:                              ;   in Loop: Header=BB110_3 Depth=1
	ds_load_b32 v29, v3 offset:2336
	ds_load_b32 v34, v44
	s_wait_dscnt 0x0
	v_fma_f32 v2, -v29, v34, v2
.LBB110_975:                            ;   in Loop: Header=BB110_3 Depth=1
	s_or_b32 exec_lo, exec_lo, s38
	s_barrier_signal -1
	s_barrier_wait -1
	s_and_saveexec_b32 s38, s88
; %bb.976:                              ;   in Loop: Header=BB110_3 Depth=1
	v_xor_b32_e32 v29, 0x80000000, v2
	ds_store_b32 v44, v29
; %bb.977:                              ;   in Loop: Header=BB110_3 Depth=1
	s_or_b32 exec_lo, exec_lo, s38
	s_wait_dscnt 0x0
	s_barrier_signal -1
	s_barrier_wait -1
	s_barrier_signal -1
	s_barrier_wait -1
	s_and_saveexec_b32 s38, s2
; %bb.978:                              ;   in Loop: Header=BB110_3 Depth=1
	ds_store_b32 v49, v2 offset:2848
; %bb.979:                              ;   in Loop: Header=BB110_3 Depth=1
	s_or_b32 exec_lo, exec_lo, s38
	s_wait_dscnt 0x0
	s_barrier_signal -1
	s_barrier_wait -1
	s_barrier_signal -1
	s_barrier_wait -1
	s_and_saveexec_b32 s38, s89
	s_cbranch_execz .LBB110_981
; %bb.980:                              ;   in Loop: Header=BB110_3 Depth=1
	ds_load_b32 v2, v41 offset:2592
	s_wait_dscnt 0x0
	ds_store_b32 v40, v2 offset:2088
	ds_load_b32 v2, v41 offset:2596
	s_wait_dscnt 0x0
	ds_store_b32 v40, v2 offset:2344
.LBB110_981:                            ;   in Loop: Header=BB110_3 Depth=1
	s_or_b32 exec_lo, exec_lo, s38
	s_wait_dscnt 0x0
	s_barrier_signal -1
	s_barrier_wait -1
	s_and_saveexec_b32 s38, s11
	s_cbranch_execz .LBB110_983
; %bb.982:                              ;   in Loop: Header=BB110_3 Depth=1
	ds_load_b32 v29, v3 offset:2336
	ds_store_b32 v3, v28 offset:2340
	s_wait_dscnt 0x1
	ds_store_b64 v3, v[28:29] offset:2080
.LBB110_983:                            ;   in Loop: Header=BB110_3 Depth=1
	s_or_b32 exec_lo, exec_lo, s38
	v_mov_b32_e32 v2, 0
	s_wait_dscnt 0x0
	s_barrier_signal -1
	s_barrier_wait -1
	global_wb scope:SCOPE_DEV
	s_wait_storecnt 0x0
	global_inv scope:SCOPE_DEV
	s_and_saveexec_b32 s61, s5
	s_cbranch_execz .LBB110_993
; %bb.984:                              ;   in Loop: Header=BB110_3 Depth=1
	ds_load_b32 v2, v56 offset:2048
	ds_load_b32 v29, v59 offset:3872
	s_wait_dscnt 0x0
	v_fma_f32 v2, v2, v29, 0
	s_and_saveexec_b32 s38, s15
	s_cbranch_execnz .LBB110_1217
; %bb.985:                              ;   in Loop: Header=BB110_3 Depth=1
	s_or_b32 exec_lo, exec_lo, s38
	s_and_saveexec_b32 s38, s16
	s_cbranch_execnz .LBB110_1218
.LBB110_986:                            ;   in Loop: Header=BB110_3 Depth=1
	s_or_b32 exec_lo, exec_lo, s38
	s_and_saveexec_b32 s38, s17
	s_cbranch_execnz .LBB110_1219
.LBB110_987:                            ;   in Loop: Header=BB110_3 Depth=1
	s_or_b32 exec_lo, exec_lo, s38
	s_and_saveexec_b32 s38, s18
	s_cbranch_execnz .LBB110_1220
.LBB110_988:                            ;   in Loop: Header=BB110_3 Depth=1
	s_or_b32 exec_lo, exec_lo, s38
	s_and_saveexec_b32 s38, s19
	s_cbranch_execnz .LBB110_1221
.LBB110_989:                            ;   in Loop: Header=BB110_3 Depth=1
	s_or_b32 exec_lo, exec_lo, s38
	s_and_saveexec_b32 s38, s4
	s_cbranch_execnz .LBB110_1222
.LBB110_990:                            ;   in Loop: Header=BB110_3 Depth=1
	s_or_b32 exec_lo, exec_lo, s38
	s_and_saveexec_b32 s38, s14
	s_cbranch_execz .LBB110_992
.LBB110_991:                            ;   in Loop: Header=BB110_3 Depth=1
	ds_load_b32 v29, v42 offset:3840
	ds_load_b32 v34, v3 offset:3900
	s_wait_dscnt 0x0
	v_fmac_f32_e32 v2, v29, v34
.LBB110_992:                            ;   in Loop: Header=BB110_3 Depth=1
	s_or_b32 exec_lo, exec_lo, s38
.LBB110_993:                            ;   in Loop: Header=BB110_3 Depth=1
	s_delay_alu instid0(SALU_CYCLE_1)
	s_or_b32 exec_lo, exec_lo, s61
	s_and_saveexec_b32 s38, s97
; %bb.994:                              ;   in Loop: Header=BB110_3 Depth=1
	s_delay_alu instid0(VALU_DEP_1)
	v_xor_b32_e32 v29, 0x80000000, v2
	ds_store_b32 v57, v29
; %bb.995:                              ;   in Loop: Header=BB110_3 Depth=1
	s_or_b32 exec_lo, exec_lo, s38
	s_wait_loadcnt_dscnt 0x0
	s_barrier_signal -1
	s_barrier_wait -1
	s_and_saveexec_b32 s38, s98
	s_cbranch_execz .LBB110_997
; %bb.996:                              ;   in Loop: Header=BB110_3 Depth=1
	ds_load_b32 v29, v56 offset:1792
	ds_load_b32 v34, v57
	s_wait_dscnt 0x0
	v_fma_f32 v2, -v29, v34, v2
.LBB110_997:                            ;   in Loop: Header=BB110_3 Depth=1
	s_or_b32 exec_lo, exec_lo, s38
	s_barrier_signal -1
	s_barrier_wait -1
	s_and_saveexec_b32 s38, s99
; %bb.998:                              ;   in Loop: Header=BB110_3 Depth=1
	v_xor_b32_e32 v29, 0x80000000, v2
	ds_store_b32 v57, v29
; %bb.999:                              ;   in Loop: Header=BB110_3 Depth=1
	s_or_b32 exec_lo, exec_lo, s38
	s_wait_dscnt 0x0
	s_barrier_signal -1
	s_barrier_wait -1
	s_and_saveexec_b32 s38, s100
	s_cbranch_execz .LBB110_1001
; %bb.1000:                             ;   in Loop: Header=BB110_3 Depth=1
	ds_load_b32 v29, v56 offset:1536
	ds_load_b32 v34, v57
	s_wait_dscnt 0x0
	v_fma_f32 v2, -v29, v34, v2
.LBB110_1001:                           ;   in Loop: Header=BB110_3 Depth=1
	s_or_b32 exec_lo, exec_lo, s38
	s_barrier_signal -1
	s_barrier_wait -1
	s_and_saveexec_b32 s38, s101
; %bb.1002:                             ;   in Loop: Header=BB110_3 Depth=1
	v_xor_b32_e32 v29, 0x80000000, v2
	ds_store_b32 v57, v29
; %bb.1003:                             ;   in Loop: Header=BB110_3 Depth=1
	s_or_b32 exec_lo, exec_lo, s38
	s_wait_dscnt 0x0
	s_barrier_signal -1
	s_barrier_wait -1
	s_and_saveexec_b32 s38, s102
	s_cbranch_execz .LBB110_1005
; %bb.1004:                             ;   in Loop: Header=BB110_3 Depth=1
	ds_load_b32 v29, v56 offset:1280
	ds_load_b32 v34, v57
	s_wait_dscnt 0x0
	v_fma_f32 v2, -v29, v34, v2
.LBB110_1005:                           ;   in Loop: Header=BB110_3 Depth=1
	s_or_b32 exec_lo, exec_lo, s38
	s_barrier_signal -1
	s_barrier_wait -1
	s_and_saveexec_b32 s38, s103
; %bb.1006:                             ;   in Loop: Header=BB110_3 Depth=1
	v_xor_b32_e32 v29, 0x80000000, v2
	ds_store_b32 v57, v29
; %bb.1007:                             ;   in Loop: Header=BB110_3 Depth=1
	s_or_b32 exec_lo, exec_lo, s38
	s_wait_dscnt 0x0
	s_barrier_signal -1
	s_barrier_wait -1
	s_and_saveexec_b32 s38, s104
	s_cbranch_execz .LBB110_1009
; %bb.1008:                             ;   in Loop: Header=BB110_3 Depth=1
	ds_load_b32 v29, v56 offset:1024
	ds_load_b32 v34, v57
	s_wait_dscnt 0x0
	v_fma_f32 v2, -v29, v34, v2
.LBB110_1009:                           ;   in Loop: Header=BB110_3 Depth=1
	s_or_b32 exec_lo, exec_lo, s38
	s_barrier_signal -1
	s_barrier_wait -1
	s_and_saveexec_b32 s38, vcc_hi
; %bb.1010:                             ;   in Loop: Header=BB110_3 Depth=1
	v_xor_b32_e32 v29, 0x80000000, v2
	ds_store_b32 v57, v29
; %bb.1011:                             ;   in Loop: Header=BB110_3 Depth=1
	s_or_b32 exec_lo, exec_lo, s38
	s_wait_dscnt 0x0
	s_barrier_signal -1
	s_barrier_wait -1
	s_and_saveexec_b32 s38, s31
	s_cbranch_execz .LBB110_1013
; %bb.1012:                             ;   in Loop: Header=BB110_3 Depth=1
	ds_load_b32 v29, v56 offset:768
	ds_load_b32 v34, v57
	s_wait_dscnt 0x0
	v_fma_f32 v2, -v29, v34, v2
.LBB110_1013:                           ;   in Loop: Header=BB110_3 Depth=1
	s_or_b32 exec_lo, exec_lo, s38
	s_barrier_signal -1
	s_barrier_wait -1
	s_and_saveexec_b32 s38, s33
; %bb.1014:                             ;   in Loop: Header=BB110_3 Depth=1
	v_xor_b32_e32 v29, 0x80000000, v2
	ds_store_b32 v57, v29
; %bb.1015:                             ;   in Loop: Header=BB110_3 Depth=1
	s_or_b32 exec_lo, exec_lo, s38
	s_wait_dscnt 0x0
	s_barrier_signal -1
	s_barrier_wait -1
	s_and_saveexec_b32 s38, s34
	s_cbranch_execz .LBB110_1017
; %bb.1016:                             ;   in Loop: Header=BB110_3 Depth=1
	ds_load_b32 v29, v56 offset:512
	ds_load_b32 v34, v57
	s_wait_dscnt 0x0
	v_fma_f32 v2, -v29, v34, v2
.LBB110_1017:                           ;   in Loop: Header=BB110_3 Depth=1
	s_or_b32 exec_lo, exec_lo, s38
	s_barrier_signal -1
	s_barrier_wait -1
	s_and_saveexec_b32 s38, s35
	;; [unrolled: 20-line block ×3, first 2 shown]
; %bb.1022:                             ;   in Loop: Header=BB110_3 Depth=1
	v_xor_b32_e32 v29, 0x80000000, v2
	ds_store_b32 v57, v29
; %bb.1023:                             ;   in Loop: Header=BB110_3 Depth=1
	s_or_b32 exec_lo, exec_lo, s38
	s_wait_dscnt 0x0
	s_barrier_signal -1
	s_barrier_wait -1
	s_barrier_signal -1
	s_barrier_wait -1
	s_and_saveexec_b32 s38, s5
; %bb.1024:                             ;   in Loop: Header=BB110_3 Depth=1
	ds_store_b32 v60, v2 offset:3840
; %bb.1025:                             ;   in Loop: Header=BB110_3 Depth=1
	s_or_b32 exec_lo, exec_lo, s38
	s_wait_dscnt 0x0
	s_barrier_signal -1
	s_barrier_wait -1
	s_barrier_signal -1
	s_barrier_wait -1
	s_and_saveexec_b32 s38, s37
	s_cbranch_execz .LBB110_1027
; %bb.1026:                             ;   in Loop: Header=BB110_3 Depth=1
	ds_load_b32 v2, v43 offset:2048
	s_wait_dscnt 0x0
	ds_store_b32 v45, v2 offset:32
	ds_load_b32 v2, v43 offset:2052
	s_wait_dscnt 0x0
	ds_store_b32 v45, v2 offset:288
	;; [unrolled: 3-line block ×8, first 2 shown]
.LBB110_1027:                           ;   in Loop: Header=BB110_3 Depth=1
	s_or_b32 exec_lo, exec_lo, s38
	s_wait_dscnt 0x0
	s_barrier_signal -1
	s_barrier_wait -1
	s_and_saveexec_b32 s38, s11
	s_cbranch_execz .LBB110_1029
; %bb.1028:                             ;   in Loop: Header=BB110_3 Depth=1
	ds_load_b32 v29, v3 offset:1816
	ds_store_b32 v3, v28 offset:1820
	s_wait_dscnt 0x1
	ds_store_b64 v3, v[28:29] offset:1560
.LBB110_1029:                           ;   in Loop: Header=BB110_3 Depth=1
	s_or_b32 exec_lo, exec_lo, s38
	v_mov_b32_e32 v2, 0
	s_wait_dscnt 0x0
	s_barrier_signal -1
	s_barrier_wait -1
	global_wb scope:SCOPE_DEV
	s_wait_storecnt 0x0
	global_inv scope:SCOPE_DEV
	s_and_saveexec_b32 s38, s2
	s_cbranch_execz .LBB110_1033
; %bb.1030:                             ;   in Loop: Header=BB110_3 Depth=1
	ds_load_b32 v2, v46 offset:1552
	ds_load_b32 v29, v48 offset:1816
	s_wait_dscnt 0x0
	v_fma_f32 v2, v2, v29, 0
	s_and_saveexec_b32 s39, s12
	s_cbranch_execz .LBB110_1032
; %bb.1031:                             ;   in Loop: Header=BB110_3 Depth=1
	ds_load_b32 v29, v45 offset:1808
	ds_load_b32 v34, v3 offset:1820
	s_wait_dscnt 0x0
	v_fmac_f32_e32 v2, v29, v34
.LBB110_1032:                           ;   in Loop: Header=BB110_3 Depth=1
	s_or_b32 exec_lo, exec_lo, s39
.LBB110_1033:                           ;   in Loop: Header=BB110_3 Depth=1
	s_delay_alu instid0(SALU_CYCLE_1)
	s_or_b32 exec_lo, exec_lo, s38
	s_and_saveexec_b32 s38, s87
; %bb.1034:                             ;   in Loop: Header=BB110_3 Depth=1
	s_delay_alu instid0(VALU_DEP_1)
	v_xor_b32_e32 v29, 0x80000000, v2
	ds_store_b32 v44, v29
; %bb.1035:                             ;   in Loop: Header=BB110_3 Depth=1
	s_or_b32 exec_lo, exec_lo, s38
	s_wait_loadcnt_dscnt 0x0
	s_barrier_signal -1
	s_barrier_wait -1
	s_and_saveexec_b32 s38, s88
	s_cbranch_execz .LBB110_1037
; %bb.1036:                             ;   in Loop: Header=BB110_3 Depth=1
	ds_load_b32 v29, v3 offset:1296
	ds_load_b32 v34, v44
	s_wait_dscnt 0x0
	v_fma_f32 v2, -v29, v34, v2
.LBB110_1037:                           ;   in Loop: Header=BB110_3 Depth=1
	s_or_b32 exec_lo, exec_lo, s38
	s_barrier_signal -1
	s_barrier_wait -1
	s_and_saveexec_b32 s38, s88
; %bb.1038:                             ;   in Loop: Header=BB110_3 Depth=1
	v_xor_b32_e32 v29, 0x80000000, v2
	ds_store_b32 v44, v29
; %bb.1039:                             ;   in Loop: Header=BB110_3 Depth=1
	s_or_b32 exec_lo, exec_lo, s38
	s_wait_dscnt 0x0
	s_barrier_signal -1
	s_barrier_wait -1
	s_barrier_signal -1
	s_barrier_wait -1
	s_and_saveexec_b32 s38, s2
; %bb.1040:                             ;   in Loop: Header=BB110_3 Depth=1
	ds_store_b32 v49, v2 offset:1808
; %bb.1041:                             ;   in Loop: Header=BB110_3 Depth=1
	s_or_b32 exec_lo, exec_lo, s38
	s_wait_dscnt 0x0
	s_barrier_signal -1
	s_barrier_wait -1
	s_barrier_signal -1
	s_barrier_wait -1
	s_and_saveexec_b32 s38, s89
	s_cbranch_execz .LBB110_1043
; %bb.1042:                             ;   in Loop: Header=BB110_3 Depth=1
	ds_load_b32 v2, v47 offset:1552
	s_wait_dscnt 0x0
	ds_store_b32 v45, v2 offset:1048
	ds_load_b32 v2, v47 offset:1556
	s_wait_dscnt 0x0
	ds_store_b32 v45, v2 offset:1304
.LBB110_1043:                           ;   in Loop: Header=BB110_3 Depth=1
	s_or_b32 exec_lo, exec_lo, s38
	s_wait_dscnt 0x0
	s_barrier_signal -1
	s_barrier_wait -1
	s_and_saveexec_b32 s38, s11
	s_cbranch_execz .LBB110_1045
; %bb.1044:                             ;   in Loop: Header=BB110_3 Depth=1
	ds_load_b32 v29, v3 offset:1296
	ds_store_b32 v3, v28 offset:1300
	s_wait_dscnt 0x1
	ds_store_b64 v3, v[28:29] offset:1040
.LBB110_1045:                           ;   in Loop: Header=BB110_3 Depth=1
	s_or_b32 exec_lo, exec_lo, s38
	v_mov_b32_e32 v2, 0
	s_wait_dscnt 0x0
	s_barrier_signal -1
	s_barrier_wait -1
	global_wb scope:SCOPE_DEV
	s_wait_storecnt 0x0
	global_inv scope:SCOPE_DEV
	s_and_saveexec_b32 s61, s4
	s_cbranch_execz .LBB110_1051
; %bb.1046:                             ;   in Loop: Header=BB110_3 Depth=1
	ds_load_b32 v2, v52 offset:1024
	ds_load_b32 v29, v53 offset:1808
	s_wait_dscnt 0x0
	v_fma_f32 v2, v2, v29, 0
	s_and_saveexec_b32 s38, s13
	s_cbranch_execnz .LBB110_1223
; %bb.1047:                             ;   in Loop: Header=BB110_3 Depth=1
	s_or_b32 exec_lo, exec_lo, s38
	s_and_saveexec_b32 s38, s14
	s_cbranch_execnz .LBB110_1224
.LBB110_1048:                           ;   in Loop: Header=BB110_3 Depth=1
	s_or_b32 exec_lo, exec_lo, s38
	s_and_saveexec_b32 s38, s2
	s_cbranch_execz .LBB110_1050
.LBB110_1049:                           ;   in Loop: Header=BB110_3 Depth=1
	ds_load_b32 v29, v51 offset:1792
	ds_load_b32 v34, v3 offset:1820
	s_wait_dscnt 0x0
	v_fmac_f32_e32 v2, v29, v34
.LBB110_1050:                           ;   in Loop: Header=BB110_3 Depth=1
	s_or_b32 exec_lo, exec_lo, s38
.LBB110_1051:                           ;   in Loop: Header=BB110_3 Depth=1
	s_delay_alu instid0(SALU_CYCLE_1)
	s_or_b32 exec_lo, exec_lo, s61
	s_and_saveexec_b32 s38, s90
; %bb.1052:                             ;   in Loop: Header=BB110_3 Depth=1
	s_delay_alu instid0(VALU_DEP_1)
	v_xor_b32_e32 v29, 0x80000000, v2
	ds_store_b32 v50, v29
; %bb.1053:                             ;   in Loop: Header=BB110_3 Depth=1
	s_or_b32 exec_lo, exec_lo, s38
	s_wait_loadcnt_dscnt 0x0
	s_barrier_signal -1
	s_barrier_wait -1
	s_and_saveexec_b32 s38, s91
	s_cbranch_execz .LBB110_1055
; %bb.1054:                             ;   in Loop: Header=BB110_3 Depth=1
	ds_load_b32 v29, v52 offset:768
	ds_load_b32 v34, v50
	s_wait_dscnt 0x0
	v_fma_f32 v2, -v29, v34, v2
.LBB110_1055:                           ;   in Loop: Header=BB110_3 Depth=1
	s_or_b32 exec_lo, exec_lo, s38
	s_barrier_signal -1
	s_barrier_wait -1
	s_and_saveexec_b32 s38, s92
; %bb.1056:                             ;   in Loop: Header=BB110_3 Depth=1
	v_xor_b32_e32 v29, 0x80000000, v2
	ds_store_b32 v50, v29
; %bb.1057:                             ;   in Loop: Header=BB110_3 Depth=1
	s_or_b32 exec_lo, exec_lo, s38
	s_wait_dscnt 0x0
	s_barrier_signal -1
	s_barrier_wait -1
	s_and_saveexec_b32 s38, s93
	s_cbranch_execz .LBB110_1059
; %bb.1058:                             ;   in Loop: Header=BB110_3 Depth=1
	ds_load_b32 v29, v52 offset:512
	ds_load_b32 v34, v50
	s_wait_dscnt 0x0
	v_fma_f32 v2, -v29, v34, v2
.LBB110_1059:                           ;   in Loop: Header=BB110_3 Depth=1
	s_or_b32 exec_lo, exec_lo, s38
	s_barrier_signal -1
	s_barrier_wait -1
	s_and_saveexec_b32 s38, s94
; %bb.1060:                             ;   in Loop: Header=BB110_3 Depth=1
	v_xor_b32_e32 v29, 0x80000000, v2
	ds_store_b32 v50, v29
; %bb.1061:                             ;   in Loop: Header=BB110_3 Depth=1
	s_or_b32 exec_lo, exec_lo, s38
	s_wait_dscnt 0x0
	;; [unrolled: 20-line block ×3, first 2 shown]
	s_barrier_signal -1
	s_barrier_wait -1
	s_barrier_signal -1
	s_barrier_wait -1
	s_and_saveexec_b32 s38, s4
; %bb.1066:                             ;   in Loop: Header=BB110_3 Depth=1
	ds_store_b32 v55, v2 offset:1792
; %bb.1067:                             ;   in Loop: Header=BB110_3 Depth=1
	s_or_b32 exec_lo, exec_lo, s38
	s_wait_dscnt 0x0
	s_barrier_signal -1
	s_barrier_wait -1
	s_barrier_signal -1
	s_barrier_wait -1
	s_and_saveexec_b32 s38, s96
	s_cbranch_execz .LBB110_1069
; %bb.1068:                             ;   in Loop: Header=BB110_3 Depth=1
	ds_load_b32 v2, v54 offset:1024
	s_wait_dscnt 0x0
	ds_store_b32 v58, v2 offset:16
	ds_load_b32 v2, v54 offset:1028
	s_wait_dscnt 0x0
	ds_store_b32 v58, v2 offset:272
	;; [unrolled: 3-line block ×4, first 2 shown]
.LBB110_1069:                           ;   in Loop: Header=BB110_3 Depth=1
	s_or_b32 exec_lo, exec_lo, s38
	s_wait_dscnt 0x0
	s_barrier_signal -1
	s_barrier_wait -1
	s_and_saveexec_b32 s38, s11
	s_cbranch_execz .LBB110_1071
; %bb.1070:                             ;   in Loop: Header=BB110_3 Depth=1
	ds_load_b32 v29, v3 offset:776
	ds_store_b32 v3, v28 offset:780
	s_wait_dscnt 0x1
	ds_store_b64 v3, v[28:29] offset:520
.LBB110_1071:                           ;   in Loop: Header=BB110_3 Depth=1
	s_or_b32 exec_lo, exec_lo, s38
	v_mov_b32_e32 v2, 0
	s_wait_dscnt 0x0
	s_barrier_signal -1
	s_barrier_wait -1
	global_wb scope:SCOPE_DEV
	s_wait_storecnt 0x0
	global_inv scope:SCOPE_DEV
	s_and_saveexec_b32 s38, s2
	s_cbranch_execz .LBB110_1075
; %bb.1072:                             ;   in Loop: Header=BB110_3 Depth=1
	ds_load_b32 v2, v46 offset:512
	ds_load_b32 v29, v48 offset:776
	s_wait_dscnt 0x0
	v_fma_f32 v2, v2, v29, 0
	s_and_saveexec_b32 s39, s12
	s_cbranch_execz .LBB110_1074
; %bb.1073:                             ;   in Loop: Header=BB110_3 Depth=1
	ds_load_b32 v29, v58 offset:768
	ds_load_b32 v34, v3 offset:780
	s_wait_dscnt 0x0
	v_fmac_f32_e32 v2, v29, v34
.LBB110_1074:                           ;   in Loop: Header=BB110_3 Depth=1
	s_or_b32 exec_lo, exec_lo, s39
.LBB110_1075:                           ;   in Loop: Header=BB110_3 Depth=1
	s_delay_alu instid0(SALU_CYCLE_1)
	s_or_b32 exec_lo, exec_lo, s38
	s_and_saveexec_b32 s38, s87
; %bb.1076:                             ;   in Loop: Header=BB110_3 Depth=1
	s_delay_alu instid0(VALU_DEP_1)
	v_xor_b32_e32 v29, 0x80000000, v2
	ds_store_b32 v44, v29
; %bb.1077:                             ;   in Loop: Header=BB110_3 Depth=1
	s_or_b32 exec_lo, exec_lo, s38
	s_wait_loadcnt_dscnt 0x0
	s_barrier_signal -1
	s_barrier_wait -1
	s_and_saveexec_b32 s38, s88
	s_cbranch_execz .LBB110_1079
; %bb.1078:                             ;   in Loop: Header=BB110_3 Depth=1
	ds_load_b32 v29, v3 offset:256
	ds_load_b32 v34, v44
	s_wait_dscnt 0x0
	v_fma_f32 v2, -v29, v34, v2
.LBB110_1079:                           ;   in Loop: Header=BB110_3 Depth=1
	s_or_b32 exec_lo, exec_lo, s38
	s_barrier_signal -1
	s_barrier_wait -1
	s_and_saveexec_b32 s38, s88
; %bb.1080:                             ;   in Loop: Header=BB110_3 Depth=1
	v_xor_b32_e32 v29, 0x80000000, v2
	ds_store_b32 v44, v29
; %bb.1081:                             ;   in Loop: Header=BB110_3 Depth=1
	s_or_b32 exec_lo, exec_lo, s38
	s_wait_dscnt 0x0
	s_barrier_signal -1
	s_barrier_wait -1
	s_barrier_signal -1
	s_barrier_wait -1
	s_and_saveexec_b32 s38, s2
; %bb.1082:                             ;   in Loop: Header=BB110_3 Depth=1
	ds_store_b32 v49, v2 offset:768
; %bb.1083:                             ;   in Loop: Header=BB110_3 Depth=1
	s_or_b32 exec_lo, exec_lo, s38
	s_wait_dscnt 0x0
	s_barrier_signal -1
	s_barrier_wait -1
	s_barrier_signal -1
	s_barrier_wait -1
	s_and_saveexec_b32 s38, s89
	s_cbranch_execz .LBB110_1085
; %bb.1084:                             ;   in Loop: Header=BB110_3 Depth=1
	ds_load_b32 v2, v61 offset:512
	s_wait_dscnt 0x0
	ds_store_b32 v58, v2 offset:8
	ds_load_b32 v2, v61 offset:516
	s_wait_dscnt 0x0
	ds_store_b32 v58, v2 offset:264
.LBB110_1085:                           ;   in Loop: Header=BB110_3 Depth=1
	s_or_b32 exec_lo, exec_lo, s38
	s_wait_dscnt 0x0
	s_barrier_signal -1
	s_barrier_wait -1
	s_and_saveexec_b32 s38, s11
	s_cbranch_execz .LBB110_1087
; %bb.1086:                             ;   in Loop: Header=BB110_3 Depth=1
	ds_load_b32 v29, v3 offset:256
	ds_store_b32 v3, v28 offset:260
	s_wait_dscnt 0x1
	ds_store_b64 v3, v[28:29]
.LBB110_1087:                           ;   in Loop: Header=BB110_3 Depth=1
	s_or_b32 exec_lo, exec_lo, s38
.LBB110_1088:                           ;   in Loop: Header=BB110_3 Depth=1
	v_add_nc_u64_e32 v[32:33], s[70:71], v[32:33]
	v_mov_b32_e32 v29, 0
	s_wait_dscnt 0x0
	s_barrier_signal -1
	s_barrier_wait -1
	s_wait_xcnt 0x0
	s_and_saveexec_b32 s38, s29
	s_cbranch_execz .LBB110_1090
; %bb.1089:                             ;   in Loop: Header=BB110_3 Depth=1
	v_lshl_add_u64 v[34:35], v[0:1], 2, v[32:33]
	v_readlane_b32 s39, v91, 1
	flat_load_b32 v2, v[34:35]
	s_wait_loadcnt_dscnt 0x0
	v_mul_f32_e64 v29, v2, -s39
.LBB110_1090:                           ;   in Loop: Header=BB110_3 Depth=1
	s_or_b32 exec_lo, exec_lo, s38
	s_delay_alu instid0(SALU_CYCLE_1)
	s_and_not1_b32 vcc_lo, exec_lo, s80
	s_cbranch_vccnz .LBB110_1116
; %bb.1091:                             ;   in Loop: Header=BB110_3 Depth=1
	v_mov_b32_e32 v36, -1
	s_lshl_b64 s[38:39], s[62:63], 2
	s_mov_b32 s84, 0
	s_add_nc_u64 s[78:79], s[72:73], s[38:39]
	s_branch .LBB110_1094
.LBB110_1092:                           ;   in Loop: Header=BB110_1094 Depth=2
	s_wait_xcnt 0x0
	ds_load_b32 v34, v70 offset:192
	s_wait_loadcnt_dscnt 0x0
	v_fmac_f32_e32 v29, v2, v34
.LBB110_1093:                           ;   in Loop: Header=BB110_1094 Depth=2
	s_or_b32 exec_lo, exec_lo, s38
	s_add_co_i32 s84, s84, 1
	s_delay_alu instid0(SALU_CYCLE_1)
	s_cmp_eq_u32 s84, s82
	s_cbranch_scc1 .LBB110_1116
.LBB110_1094:                           ;   Parent Loop BB110_3 Depth=1
                                        ; =>  This Loop Header: Depth=2
                                        ;       Child Loop BB110_1096 Depth 3
	v_cmp_gt_i32_e32 vcc_lo, s84, v36
	s_and_b32 s39, s55, vcc_lo
	s_delay_alu instid0(SALU_CYCLE_1)
	s_and_saveexec_b32 s38, s39
	s_cbranch_execz .LBB110_1097
; %bb.1095:                             ;   in Loop: Header=BB110_1094 Depth=2
	global_load_b32 v36, v3, s[78:79]
	s_wait_loadcnt 0x0
	v_cmp_le_i32_e32 vcc_lo, s84, v36
	s_cbranch_vccnz .LBB110_1097
.LBB110_1096:                           ;   Parent Loop BB110_3 Depth=1
                                        ;     Parent Loop BB110_1094 Depth=2
                                        ; =>    This Inner Loop Header: Depth=3
	global_wb scope:SCOPE_DEV
	s_wait_storecnt 0x0
	global_inv scope:SCOPE_DEV
	global_load_b32 v36, v3, s[78:79]
	s_wait_loadcnt 0x0
	v_cmp_gt_i32_e32 vcc_lo, s84, v36
	s_cbranch_vccnz .LBB110_1096
.LBB110_1097:                           ;   in Loop: Header=BB110_1094 Depth=2
	s_or_b32 exec_lo, exec_lo, s38
	s_lshl_b32 s61, s84, 6
	global_wb scope:SCOPE_DEV
	s_wait_storecnt 0x0
	global_inv scope:SCOPE_DEV
	s_wait_loadcnt 0x0
	s_barrier_signal -1
	s_barrier_wait -1
	s_and_saveexec_b32 s38, s56
	s_cbranch_execz .LBB110_1101
; %bb.1098:                             ;   in Loop: Header=BB110_1094 Depth=2
	v_dual_mov_b32 v34, 0 :: v_dual_bitop2_b32 v2, s61, v8 bitop3:0x54
	s_mov_b32 s39, exec_lo
	s_delay_alu instid0(VALU_DEP_1)
	v_cmpx_gt_i32_e64 s81, v2
	s_cbranch_execz .LBB110_1100
; %bb.1099:                             ;   in Loop: Header=BB110_1094 Depth=2
	v_mul_u64_e32 v[34:35], s[74:75], v[2:3]
	s_delay_alu instid0(VALU_DEP_1)
	v_lshl_add_u64 v[34:35], v[34:35], 2, v[32:33]
	flat_load_b32 v34, v[34:35]
.LBB110_1100:                           ;   in Loop: Header=BB110_1094 Depth=2
	s_wait_xcnt 0x0
	s_or_b32 exec_lo, exec_lo, s39
	s_wait_loadcnt_dscnt 0x0
	ds_store_b32 v71, v34
.LBB110_1101:                           ;   in Loop: Header=BB110_1094 Depth=2
	s_or_b32 exec_lo, exec_lo, s38
	v_add_nc_u32_e32 v2, s61, v6
	v_cmp_ne_u32_e32 vcc_lo, s84, v5
	s_wait_dscnt 0x0
	s_barrier_signal -1
	s_barrier_wait -1
	v_cmp_gt_i32_e64 s61, s81, v2
	v_lshl_add_u64 v[34:35], v[2:3], 2, v[30:31]
	v_cndmask_b32_e64 v37, 0, 1, vcc_lo
	s_and_b32 s39, s61, s0
	s_delay_alu instid0(SALU_CYCLE_1)
	s_and_saveexec_b32 s38, s39
	s_cbranch_execz .LBB110_1105
; %bb.1102:                             ;   in Loop: Header=BB110_1094 Depth=2
	v_mov_b32_e32 v86, v82
	s_and_not1_b32 vcc_lo, exec_lo, vcc_lo
	s_cbranch_vccnz .LBB110_1104
; %bb.1103:                             ;   in Loop: Header=BB110_1094 Depth=2
	flat_load_b32 v86, v[34:35]
.LBB110_1104:                           ;   in Loop: Header=BB110_1094 Depth=2
	ds_load_b32 v87, v70
	s_wait_loadcnt_dscnt 0x0
	v_fmac_f32_e32 v29, v86, v87
.LBB110_1105:                           ;   in Loop: Header=BB110_1094 Depth=2
	s_or_b32 exec_lo, exec_lo, s38
	v_add_nc_u32_e32 v86, 16, v2
	s_delay_alu instid0(VALU_DEP_1) | instskip(SKIP_1) | instid1(SALU_CYCLE_1)
	v_cmp_gt_i32_e32 vcc_lo, s81, v86
	s_and_b32 s39, vcc_lo, s0
	s_and_saveexec_b32 s38, s39
	s_cbranch_execz .LBB110_1109
; %bb.1106:                             ;   in Loop: Header=BB110_1094 Depth=2
	v_cmp_ne_u32_e32 vcc_lo, 1, v37
	v_mov_b32_e32 v86, v83
	s_cbranch_vccnz .LBB110_1108
; %bb.1107:                             ;   in Loop: Header=BB110_1094 Depth=2
	flat_load_b32 v86, v[34:35] offset:64
.LBB110_1108:                           ;   in Loop: Header=BB110_1094 Depth=2
	ds_load_b32 v87, v70 offset:64
	s_wait_loadcnt_dscnt 0x0
	v_fmac_f32_e32 v29, v86, v87
.LBB110_1109:                           ;   in Loop: Header=BB110_1094 Depth=2
	s_or_b32 exec_lo, exec_lo, s38
	v_add_nc_u32_e32 v86, 32, v2
	s_delay_alu instid0(VALU_DEP_1) | instskip(SKIP_1) | instid1(SALU_CYCLE_1)
	v_cmp_gt_i32_e32 vcc_lo, s81, v86
	s_and_b32 s39, vcc_lo, s0
	s_and_saveexec_b32 s38, s39
	s_cbranch_execz .LBB110_1113
; %bb.1110:                             ;   in Loop: Header=BB110_1094 Depth=2
	v_cmp_ne_u32_e32 vcc_lo, 1, v37
	v_mov_b32_e32 v86, v84
	s_cbranch_vccnz .LBB110_1112
; %bb.1111:                             ;   in Loop: Header=BB110_1094 Depth=2
	flat_load_b32 v86, v[34:35] offset:128
.LBB110_1112:                           ;   in Loop: Header=BB110_1094 Depth=2
	ds_load_b32 v87, v70 offset:128
	s_wait_loadcnt_dscnt 0x0
	v_fmac_f32_e32 v29, v86, v87
.LBB110_1113:                           ;   in Loop: Header=BB110_1094 Depth=2
	s_or_b32 exec_lo, exec_lo, s38
	v_add_nc_u32_e32 v2, 48, v2
	s_delay_alu instid0(VALU_DEP_1) | instskip(SKIP_1) | instid1(SALU_CYCLE_1)
	v_cmp_gt_i32_e32 vcc_lo, s81, v2
	s_and_b32 s39, vcc_lo, s0
	s_and_saveexec_b32 s38, s39
	s_cbranch_execz .LBB110_1093
; %bb.1114:                             ;   in Loop: Header=BB110_1094 Depth=2
	v_cmp_ne_u32_e32 vcc_lo, 1, v37
	v_mov_b32_e32 v2, v85
	s_cbranch_vccnz .LBB110_1092
; %bb.1115:                             ;   in Loop: Header=BB110_1094 Depth=2
	flat_load_b32 v2, v[34:35] offset:192
	s_branch .LBB110_1092
.LBB110_1116:                           ;   in Loop: Header=BB110_3 Depth=1
	ds_store_b32 v72, v29
	s_wait_dscnt 0x0
	s_barrier_signal -1
	s_barrier_wait -1
	s_and_saveexec_b32 s61, s3
	s_cbranch_execz .LBB110_1118
; %bb.1117:                             ;   in Loop: Header=BB110_3 Depth=1
	ds_load_2addr_stride64_b32 v[30:31], v73 offset0:1 offset1:2
	ds_load_2addr_stride64_b32 v[34:35], v73 offset0:3 offset1:4
	;; [unrolled: 1-line block ×4, first 2 shown]
	v_readlane_b32 s38, v89, 3
	s_wait_dscnt 0x3
	v_add_f32_e32 v2, v29, v30
	s_delay_alu instid0(VALU_DEP_1) | instskip(SKIP_3) | instid1(VALU_DEP_1)
	v_add_f32_e32 v2, v2, v31
	ds_load_2addr_stride64_b32 v[30:31], v73 offset0:9 offset1:10
	s_wait_dscnt 0x3
	v_add_f32_e32 v2, v2, v34
	v_add_f32_e32 v2, v2, v35
	ds_load_2addr_stride64_b32 v[34:35], v73 offset0:11 offset1:12
	s_wait_dscnt 0x3
	v_add_f32_e32 v2, v2, v36
	s_delay_alu instid0(VALU_DEP_1) | instskip(SKIP_4) | instid1(VALU_DEP_1)
	v_add_f32_e32 v2, v2, v37
	ds_load_2addr_stride64_b32 v[36:37], v73 offset0:13 offset1:14
	ds_load_b32 v29, v73 offset:3840
	s_wait_dscnt 0x4
	v_add_f32_e32 v2, v2, v86
	v_add_f32_e32 v2, v2, v87
	s_wait_dscnt 0x3
	s_delay_alu instid0(VALU_DEP_1) | instskip(NEXT) | instid1(VALU_DEP_1)
	v_add_f32_e32 v2, v2, v30
	v_add_f32_e32 v2, v2, v31
	s_wait_dscnt 0x2
	s_delay_alu instid0(VALU_DEP_1) | instskip(NEXT) | instid1(VALU_DEP_1)
	;; [unrolled: 4-line block ×4, first 2 shown]
	v_add_f32_e32 v2, v2, v29
	v_cndmask_b32_e64 v29, -v2, 0, s38
.LBB110_1118:                           ;   in Loop: Header=BB110_3 Depth=1
	s_or_b32 exec_lo, exec_lo, s61
	s_delay_alu instid0(SALU_CYCLE_1)
	s_and_not1_b32 vcc_lo, exec_lo, s86
	s_cbranch_vccnz .LBB110_1128
; %bb.1119:                             ;   in Loop: Header=BB110_3 Depth=1
	s_and_saveexec_b32 s38, s3
; %bb.1120:                             ;   in Loop: Header=BB110_3 Depth=1
	ds_store_b32 v75, v29
; %bb.1121:                             ;   in Loop: Header=BB110_3 Depth=1
	s_or_b32 exec_lo, exec_lo, s38
	v_mov_b32_e32 v2, 0
	s_wait_dscnt 0x0
	s_barrier_signal -1
	s_barrier_wait -1
	s_and_saveexec_b32 s38, s1
	s_cbranch_execnz .LBB110_1167
; %bb.1122:                             ;   in Loop: Header=BB110_3 Depth=1
	s_or_b32 exec_lo, exec_lo, s38
	s_and_saveexec_b32 s38, s8
	s_cbranch_execnz .LBB110_1168
.LBB110_1123:                           ;   in Loop: Header=BB110_3 Depth=1
	s_or_b32 exec_lo, exec_lo, s38
	s_and_saveexec_b32 s38, s9
	s_cbranch_execnz .LBB110_1169
.LBB110_1124:                           ;   in Loop: Header=BB110_3 Depth=1
	s_or_b32 exec_lo, exec_lo, s38
	s_and_saveexec_b32 s38, s10
	s_cbranch_execz .LBB110_1126
.LBB110_1125:                           ;   in Loop: Header=BB110_3 Depth=1
	ds_load_b32 v30, v74 offset:12288
	ds_load_b32 v31, v70 offset:192
	s_wait_dscnt 0x0
	v_fmac_f32_e32 v2, v30, v31
.LBB110_1126:                           ;   in Loop: Header=BB110_3 Depth=1
	s_or_b32 exec_lo, exec_lo, s38
	s_mov_b32 s78, 0
	s_mov_b32 s61, 0
	ds_store_b32 v72, v2
	s_wait_dscnt 0x0
	s_barrier_signal -1
	s_barrier_wait -1
                                        ; implicit-def: $vgpr30
	s_and_saveexec_b32 s79, s3
	s_cbranch_execz .LBB110_1170
; %bb.1127:                             ;   in Loop: Header=BB110_3 Depth=1
	ds_load_2addr_stride64_b32 v[30:31], v73 offset0:1 offset1:2
	ds_load_2addr_stride64_b32 v[34:35], v73 offset0:3 offset1:4
	;; [unrolled: 1-line block ×4, first 2 shown]
	s_mov_b32 s61, exec_lo
	s_wait_dscnt 0x3
	v_add_f32_e32 v2, v2, v30
	s_delay_alu instid0(VALU_DEP_1) | instskip(SKIP_3) | instid1(VALU_DEP_1)
	v_add_f32_e32 v2, v31, v2
	ds_load_2addr_stride64_b32 v[30:31], v73 offset0:9 offset1:10
	s_wait_dscnt 0x3
	v_add_f32_e32 v2, v34, v2
	v_add_f32_e32 v2, v35, v2
	ds_load_2addr_stride64_b32 v[34:35], v73 offset0:11 offset1:12
	s_wait_dscnt 0x3
	v_add_f32_e32 v2, v36, v2
	s_delay_alu instid0(VALU_DEP_1) | instskip(SKIP_1) | instid1(VALU_DEP_1)
	v_add_f32_e32 v2, v37, v2
	s_wait_dscnt 0x2
	v_add_f32_e32 v2, v86, v2
	ds_load_2addr_stride64_b32 v[36:37], v73 offset0:13 offset1:14
	ds_load_b32 v86, v73 offset:3840
	v_add_f32_e32 v2, v87, v2
	s_wait_dscnt 0x3
	s_delay_alu instid0(VALU_DEP_1) | instskip(NEXT) | instid1(VALU_DEP_1)
	v_add_f32_e32 v2, v30, v2
	v_add_f32_e32 v2, v31, v2
	s_wait_dscnt 0x2
	s_delay_alu instid0(VALU_DEP_1) | instskip(NEXT) | instid1(VALU_DEP_1)
	v_add_f32_e32 v2, v34, v2
	v_add_f32_e32 v2, v35, v2
	s_wait_dscnt 0x1
	s_delay_alu instid0(VALU_DEP_1) | instskip(NEXT) | instid1(VALU_DEP_1)
	v_add_f32_e32 v2, v36, v2
	v_add_f32_e32 v2, v37, v2
	s_wait_dscnt 0x0
	s_delay_alu instid0(VALU_DEP_1) | instskip(SKIP_1) | instid1(SALU_CYCLE_1)
	v_add_f32_e32 v30, v86, v2
	s_or_b32 exec_lo, exec_lo, s79
	s_and_b32 vcc_lo, exec_lo, s78
	s_cbranch_vccnz .LBB110_1129
	s_branch .LBB110_1171
.LBB110_1128:                           ;   in Loop: Header=BB110_3 Depth=1
	s_mov_b32 s61, 0
                                        ; implicit-def: $vgpr30
	s_cbranch_execz .LBB110_1171
.LBB110_1129:                           ;   in Loop: Header=BB110_3 Depth=1
	v_dual_mov_b32 v2, v4 :: v_dual_mov_b32 v30, v81
	s_mov_b32 s78, 0
	s_branch .LBB110_1131
.LBB110_1130:                           ;   in Loop: Header=BB110_1131 Depth=2
	s_or_b32 exec_lo, exec_lo, s38
	v_add_nc_u32_e32 v30, 0x400, v30
	v_add_nc_u32_e32 v2, -4, v2
	s_add_co_i32 s78, s78, 4
	s_delay_alu instid0(SALU_CYCLE_1)
	s_cmp_lg_u32 s78, 64
	s_barrier_signal -1
	s_barrier_wait -1
	s_cbranch_scc0 .LBB110_1147
.LBB110_1131:                           ;   Parent Loop BB110_3 Depth=1
                                        ; =>  This Inner Loop Header: Depth=2
	s_delay_alu instid0(VALU_DEP_1) | instskip(SKIP_1) | instid1(SALU_CYCLE_1)
	v_cmp_eq_u32_e32 vcc_lo, 0, v2
	s_and_b32 s39, s3, vcc_lo
	s_and_saveexec_b32 s38, s39
; %bb.1132:                             ;   in Loop: Header=BB110_1131 Depth=2
	ds_store_b32 v3, v29 offset:20736
; %bb.1133:                             ;   in Loop: Header=BB110_1131 Depth=2
	s_or_b32 exec_lo, exec_lo, s38
	v_cmp_lt_u32_e32 vcc_lo, s78, v4
	s_wait_dscnt 0x0
	s_barrier_signal -1
	s_barrier_wait -1
	s_and_b32 s39, s3, vcc_lo
	s_delay_alu instid0(SALU_CYCLE_1)
	s_and_saveexec_b32 s38, s39
	s_cbranch_execz .LBB110_1135
; %bb.1134:                             ;   in Loop: Header=BB110_1131 Depth=2
	ds_load_b32 v31, v30
	ds_load_b32 v34, v3 offset:20736
	s_wait_dscnt 0x0
	v_fmac_f32_e32 v29, v31, v34
.LBB110_1135:                           ;   in Loop: Header=BB110_1131 Depth=2
	s_or_b32 exec_lo, exec_lo, s38
	s_or_b32 s38, s78, 1
	s_delay_alu instid0(SALU_CYCLE_1) | instskip(SKIP_3) | instid1(SALU_CYCLE_1)
	v_cmp_eq_u32_e32 vcc_lo, s38, v4
	s_barrier_signal -1
	s_barrier_wait -1
	s_and_b32 s79, s3, vcc_lo
	s_and_saveexec_b32 s39, s79
; %bb.1136:                             ;   in Loop: Header=BB110_1131 Depth=2
	ds_store_b32 v3, v29 offset:20736
; %bb.1137:                             ;   in Loop: Header=BB110_1131 Depth=2
	s_or_b32 exec_lo, exec_lo, s39
	v_cmp_lt_u32_e32 vcc_lo, s38, v4
	s_wait_dscnt 0x0
	s_barrier_signal -1
	s_barrier_wait -1
	s_and_b32 s39, s3, vcc_lo
	s_delay_alu instid0(SALU_CYCLE_1)
	s_and_saveexec_b32 s38, s39
	s_cbranch_execz .LBB110_1139
; %bb.1138:                             ;   in Loop: Header=BB110_1131 Depth=2
	ds_load_b32 v31, v30 offset:256
	ds_load_b32 v34, v3 offset:20736
	s_wait_dscnt 0x0
	v_fmac_f32_e32 v29, v31, v34
.LBB110_1139:                           ;   in Loop: Header=BB110_1131 Depth=2
	s_or_b32 exec_lo, exec_lo, s38
	s_or_b32 s38, s78, 2
	s_delay_alu instid0(SALU_CYCLE_1) | instskip(SKIP_3) | instid1(SALU_CYCLE_1)
	v_cmp_eq_u32_e32 vcc_lo, s38, v4
	s_barrier_signal -1
	s_barrier_wait -1
	s_and_b32 s79, s3, vcc_lo
	s_and_saveexec_b32 s39, s79
; %bb.1140:                             ;   in Loop: Header=BB110_1131 Depth=2
	ds_store_b32 v3, v29 offset:20736
; %bb.1141:                             ;   in Loop: Header=BB110_1131 Depth=2
	s_or_b32 exec_lo, exec_lo, s39
	v_cmp_lt_u32_e32 vcc_lo, s38, v4
	s_wait_dscnt 0x0
	s_barrier_signal -1
	s_barrier_wait -1
	s_and_b32 s39, s3, vcc_lo
	s_delay_alu instid0(SALU_CYCLE_1)
	s_and_saveexec_b32 s38, s39
	s_cbranch_execz .LBB110_1143
; %bb.1142:                             ;   in Loop: Header=BB110_1131 Depth=2
	ds_load_b32 v31, v30 offset:512
	ds_load_b32 v34, v3 offset:20736
	s_wait_dscnt 0x0
	v_fmac_f32_e32 v29, v31, v34
.LBB110_1143:                           ;   in Loop: Header=BB110_1131 Depth=2
	s_or_b32 exec_lo, exec_lo, s38
	s_or_b32 s38, s78, 3
	s_delay_alu instid0(SALU_CYCLE_1) | instskip(SKIP_3) | instid1(SALU_CYCLE_1)
	v_cmp_eq_u32_e32 vcc_lo, s38, v4
	s_barrier_signal -1
	s_barrier_wait -1
	s_and_b32 s79, s3, vcc_lo
	s_and_saveexec_b32 s39, s79
; %bb.1144:                             ;   in Loop: Header=BB110_1131 Depth=2
	ds_store_b32 v3, v29 offset:20736
; %bb.1145:                             ;   in Loop: Header=BB110_1131 Depth=2
	s_or_b32 exec_lo, exec_lo, s39
	v_cmp_lt_u32_e32 vcc_lo, s38, v4
	s_wait_dscnt 0x0
	s_barrier_signal -1
	s_barrier_wait -1
	s_and_b32 s39, s3, vcc_lo
	s_delay_alu instid0(SALU_CYCLE_1)
	s_and_saveexec_b32 s38, s39
	s_cbranch_execz .LBB110_1130
; %bb.1146:                             ;   in Loop: Header=BB110_1131 Depth=2
	ds_load_b32 v31, v30 offset:768
	ds_load_b32 v34, v3 offset:20736
	s_wait_dscnt 0x0
	v_fmac_f32_e32 v29, v31, v34
	s_branch .LBB110_1130
.LBB110_1147:                           ;   in Loop: Header=BB110_3 Depth=1
	s_and_b32 vcc_lo, exec_lo, s85
	s_mov_b32 s38, -1
	s_cbranch_vccz .LBB110_1149
; %bb.1148:                             ;   in Loop: Header=BB110_3 Depth=1
	s_and_not1_b32 s39, s61, exec_lo
	s_and_b32 s61, s3, exec_lo
	s_mov_b32 s38, 0
	s_or_b32 s61, s39, s61
.LBB110_1149:                           ;   in Loop: Header=BB110_3 Depth=1
	s_and_not1_b32 vcc_lo, exec_lo, s38
	s_cbranch_vccnz .LBB110_1151
; %bb.1150:                             ;   in Loop: Header=BB110_3 Depth=1
	v_readlane_b32 s39, v89, 4
	s_and_not1_b32 s38, s61, exec_lo
	s_and_b32 s39, s39, exec_lo
	s_delay_alu instid0(SALU_CYCLE_1)
	s_or_b32 s61, s38, s39
.LBB110_1151:                           ;   in Loop: Header=BB110_3 Depth=1
	v_mov_b64_e32 v[30:31], v[24:25]
	s_and_saveexec_b32 s38, s61
	s_cbranch_execnz .LBB110_1172
	s_branch .LBB110_1173
.LBB110_1152:                           ;   in Loop: Header=BB110_3 Depth=1
	s_mov_b32 s39, exec_lo
	v_readlane_b32 s61, v88, 15
	s_and_b32 s61, s39, s61
	s_delay_alu instid0(SALU_CYCLE_1)
	s_mov_b32 exec_lo, s61
; %bb.1153:                             ;   in Loop: Header=BB110_3 Depth=1
	ds_store_b32 v76, v3
; %bb.1154:                             ;   in Loop: Header=BB110_3 Depth=1
	s_or_b32 exec_lo, exec_lo, s39
	s_and_not1_saveexec_b32 s38, s38
	s_cbranch_execz .LBB110_16
.LBB110_1155:                           ;   in Loop: Header=BB110_3 Depth=1
	v_lshl_add_u64 v[36:37], v[12:13], 2, v[34:35]
	flat_load_b32 v2, v[36:37]
	s_wait_loadcnt_dscnt 0x0
	v_xor_b32_e32 v2, 0x80000000, v2
	ds_store_b32 v76, v2
	s_or_b32 exec_lo, exec_lo, s38
	s_and_saveexec_b32 s38, s8
	s_delay_alu instid0(SALU_CYCLE_1)
	s_xor_b32 s38, exec_lo, s38
	s_cbranch_execz .LBB110_17
.LBB110_1156:                           ;   in Loop: Header=BB110_3 Depth=1
	s_mov_b32 s39, exec_lo
	v_readlane_b32 s61, v88, 16
	s_and_b32 s61, s39, s61
	s_delay_alu instid0(SALU_CYCLE_1)
	s_mov_b32 exec_lo, s61
; %bb.1157:                             ;   in Loop: Header=BB110_3 Depth=1
	ds_store_b32 v77, v3
; %bb.1158:                             ;   in Loop: Header=BB110_3 Depth=1
	s_or_b32 exec_lo, exec_lo, s39
	s_and_not1_saveexec_b32 s38, s38
	s_cbranch_execz .LBB110_18
.LBB110_1159:                           ;   in Loop: Header=BB110_3 Depth=1
	v_lshl_add_u64 v[36:37], v[14:15], 2, v[34:35]
	flat_load_b32 v2, v[36:37]
	s_wait_loadcnt_dscnt 0x0
	v_xor_b32_e32 v2, 0x80000000, v2
	ds_store_b32 v77, v2
	s_or_b32 exec_lo, exec_lo, s38
	s_and_saveexec_b32 s38, s9
	s_delay_alu instid0(SALU_CYCLE_1)
	s_xor_b32 s38, exec_lo, s38
	s_cbranch_execz .LBB110_19
.LBB110_1160:                           ;   in Loop: Header=BB110_3 Depth=1
	s_mov_b32 s39, exec_lo
	v_readlane_b32 s61, v88, 17
	s_and_b32 s61, s39, s61
	s_delay_alu instid0(SALU_CYCLE_1)
	s_mov_b32 exec_lo, s61
; %bb.1161:                             ;   in Loop: Header=BB110_3 Depth=1
	ds_store_b32 v78, v3
; %bb.1162:                             ;   in Loop: Header=BB110_3 Depth=1
	s_or_b32 exec_lo, exec_lo, s39
	s_and_not1_saveexec_b32 s38, s38
	s_cbranch_execz .LBB110_20
.LBB110_1163:                           ;   in Loop: Header=BB110_3 Depth=1
	v_lshl_add_u64 v[36:37], v[16:17], 2, v[34:35]
	flat_load_b32 v2, v[36:37]
	s_wait_loadcnt_dscnt 0x0
	v_xor_b32_e32 v2, 0x80000000, v2
	ds_store_b32 v78, v2
	s_or_b32 exec_lo, exec_lo, s38
	s_and_saveexec_b32 s38, s10
	s_delay_alu instid0(SALU_CYCLE_1)
	s_xor_b32 s38, exec_lo, s38
	s_cbranch_execz .LBB110_21
.LBB110_1164:                           ;   in Loop: Header=BB110_3 Depth=1
	s_mov_b32 s39, exec_lo
	v_readlane_b32 s61, v88, 18
	s_and_b32 s61, s39, s61
	s_delay_alu instid0(SALU_CYCLE_1)
	s_mov_b32 exec_lo, s61
; %bb.1165:                             ;   in Loop: Header=BB110_3 Depth=1
	ds_store_b32 v79, v3
; %bb.1166:                             ;   in Loop: Header=BB110_3 Depth=1
	s_or_b32 exec_lo, exec_lo, s39
	s_and_not1_saveexec_b32 s38, s38
	s_cbranch_execnz .LBB110_22
	s_branch .LBB110_23
.LBB110_1167:                           ;   in Loop: Header=BB110_3 Depth=1
	ds_load_b32 v2, v74
	ds_load_b32 v30, v70
	s_wait_dscnt 0x0
	v_fma_f32 v2, v2, v30, 0
	s_or_b32 exec_lo, exec_lo, s38
	s_and_saveexec_b32 s38, s8
	s_cbranch_execz .LBB110_1123
.LBB110_1168:                           ;   in Loop: Header=BB110_3 Depth=1
	ds_load_b32 v30, v74 offset:4096
	ds_load_b32 v31, v70 offset:64
	s_wait_dscnt 0x0
	v_fmac_f32_e32 v2, v30, v31
	s_or_b32 exec_lo, exec_lo, s38
	s_and_saveexec_b32 s38, s9
	s_cbranch_execz .LBB110_1124
.LBB110_1169:                           ;   in Loop: Header=BB110_3 Depth=1
	ds_load_b32 v30, v74 offset:8192
	ds_load_b32 v31, v70 offset:128
	s_wait_dscnt 0x0
	v_fmac_f32_e32 v2, v30, v31
	s_or_b32 exec_lo, exec_lo, s38
	s_and_saveexec_b32 s38, s10
	s_cbranch_execnz .LBB110_1125
	s_branch .LBB110_1126
.LBB110_1170:                           ;   in Loop: Header=BB110_3 Depth=1
	s_or_b32 exec_lo, exec_lo, s79
	s_delay_alu instid0(SALU_CYCLE_1)
	s_and_b32 vcc_lo, exec_lo, s78
	s_cbranch_vccnz .LBB110_1129
.LBB110_1171:                           ;   in Loop: Header=BB110_3 Depth=1
	v_mov_b32_e32 v29, v30
	v_mov_b64_e32 v[30:31], v[22:23]
	s_and_saveexec_b32 s38, s61
	s_cbranch_execz .LBB110_1173
.LBB110_1172:                           ;   in Loop: Header=BB110_3 Depth=1
	s_delay_alu instid0(VALU_DEP_1)
	v_lshl_add_u64 v[30:31], v[30:31], 2, v[32:33]
	flat_store_b32 v[30:31], v29
.LBB110_1173:                           ;   in Loop: Header=BB110_3 Depth=1
	s_wait_xcnt 0x0
	s_or_b32 exec_lo, exec_lo, s38
	global_wb scope:SCOPE_DEV
	s_wait_storecnt_dscnt 0x0
	global_inv scope:SCOPE_DEV
	s_wait_loadcnt 0x0
	s_barrier_signal -1
	s_barrier_wait -1
	s_and_saveexec_b32 s38, s55
	s_cbranch_execz .LBB110_2
; %bb.1174:                             ;   in Loop: Header=BB110_3 Depth=1
	s_lshl_b64 s[78:79], s[62:63], 2
	s_delay_alu instid0(SALU_CYCLE_1)
	s_add_nc_u64 s[78:79], s[72:73], s[78:79]
	global_load_b32 v2, v3, s[78:79]
	s_wait_loadcnt 0x0
	v_add_nc_u32_e32 v2, 1, v2
	global_store_b32 v3, v2, s[78:79]
	s_branch .LBB110_2
.LBB110_1175:                           ;   in Loop: Header=BB110_3 Depth=1
	ds_load_b32 v29, v52 offset:15840
	ds_load_b32 v34, v53 offset:16372
	s_wait_dscnt 0x0
	v_fmac_f32_e32 v2, v29, v34
	s_or_b32 exec_lo, exec_lo, s38
	s_and_saveexec_b32 s38, s14
	s_cbranch_execz .LBB110_72
.LBB110_1176:                           ;   in Loop: Header=BB110_3 Depth=1
	ds_load_b32 v29, v52 offset:16096
	ds_load_b32 v34, v53 offset:16376
	s_wait_dscnt 0x0
	v_fmac_f32_e32 v2, v29, v34
	s_or_b32 exec_lo, exec_lo, s38
	s_and_saveexec_b32 s38, s2
	s_cbranch_execnz .LBB110_73
	s_branch .LBB110_74
.LBB110_1177:                           ;   in Loop: Header=BB110_3 Depth=1
	ds_load_b32 v29, v56 offset:14784
	ds_load_b32 v34, v59 offset:16356
	s_wait_dscnt 0x0
	v_fmac_f32_e32 v2, v29, v34
	s_or_b32 exec_lo, exec_lo, s38
	s_and_saveexec_b32 s38, s16
	s_cbranch_execz .LBB110_114
.LBB110_1178:                           ;   in Loop: Header=BB110_3 Depth=1
	ds_load_b32 v29, v56 offset:15040
	ds_load_b32 v34, v59 offset:16360
	s_wait_dscnt 0x0
	v_fmac_f32_e32 v2, v29, v34
	s_or_b32 exec_lo, exec_lo, s38
	s_and_saveexec_b32 s38, s17
	s_cbranch_execz .LBB110_115
.LBB110_1179:                           ;   in Loop: Header=BB110_3 Depth=1
	ds_load_b32 v29, v56 offset:15296
	ds_load_b32 v34, v59 offset:16364
	s_wait_dscnt 0x0
	v_fmac_f32_e32 v2, v29, v34
	s_or_b32 exec_lo, exec_lo, s38
	s_and_saveexec_b32 s38, s18
	s_cbranch_execz .LBB110_116
.LBB110_1180:                           ;   in Loop: Header=BB110_3 Depth=1
	ds_load_b32 v29, v56 offset:15552
	ds_load_b32 v34, v59 offset:16368
	s_wait_dscnt 0x0
	v_fmac_f32_e32 v2, v29, v34
	s_or_b32 exec_lo, exec_lo, s38
	s_and_saveexec_b32 s38, s19
	s_cbranch_execz .LBB110_117
.LBB110_1181:                           ;   in Loop: Header=BB110_3 Depth=1
	ds_load_b32 v29, v56 offset:15808
	ds_load_b32 v34, v59 offset:16372
	s_wait_dscnt 0x0
	v_fmac_f32_e32 v2, v29, v34
	s_or_b32 exec_lo, exec_lo, s38
	s_and_saveexec_b32 s38, s4
	s_cbranch_execz .LBB110_118
.LBB110_1182:                           ;   in Loop: Header=BB110_3 Depth=1
	ds_load_b32 v29, v56 offset:16064
	ds_load_b32 v34, v59 offset:16376
	s_wait_dscnt 0x0
	v_fmac_f32_e32 v2, v29, v34
	s_or_b32 exec_lo, exec_lo, s38
	s_and_saveexec_b32 s38, s14
	s_cbranch_execnz .LBB110_119
	s_branch .LBB110_120
.LBB110_1183:                           ;   in Loop: Header=BB110_3 Depth=1
	ds_load_b32 v29, v52 offset:13760
	ds_load_b32 v34, v53 offset:14292
	s_wait_dscnt 0x0
	v_fmac_f32_e32 v2, v29, v34
	s_or_b32 exec_lo, exec_lo, s38
	s_and_saveexec_b32 s38, s14
	s_cbranch_execz .LBB110_176
.LBB110_1184:                           ;   in Loop: Header=BB110_3 Depth=1
	ds_load_b32 v29, v52 offset:14016
	ds_load_b32 v34, v53 offset:14296
	s_wait_dscnt 0x0
	v_fmac_f32_e32 v2, v29, v34
	s_or_b32 exec_lo, exec_lo, s38
	s_and_saveexec_b32 s38, s2
	s_cbranch_execnz .LBB110_177
	s_branch .LBB110_178
.LBB110_1185:                           ;   in Loop: Header=BB110_3 Depth=1
	ds_load_b32 v29, v62 offset:15232
	ds_load_b32 v34, v65 offset:16364
	s_wait_dscnt 0x0
	v_fmac_f32_e32 v2, v29, v34
	s_or_b32 exec_lo, exec_lo, s38
	s_and_saveexec_b32 s38, s5
	s_cbranch_execz .LBB110_238
.LBB110_1186:                           ;   in Loop: Header=BB110_3 Depth=1
	ds_load_b32 v29, v62 offset:15488
	ds_load_b32 v34, v65 offset:16368
	s_wait_dscnt 0x0
	v_fmac_f32_e32 v2, v29, v34
	s_or_b32 exec_lo, exec_lo, s38
	s_and_saveexec_b32 s38, s16
	s_cbranch_execz .LBB110_239
.LBB110_1187:                           ;   in Loop: Header=BB110_3 Depth=1
	ds_load_b32 v29, v62 offset:15744
	ds_load_b32 v34, v65 offset:16372
	s_wait_dscnt 0x0
	v_fmac_f32_e32 v2, v29, v34
	s_or_b32 exec_lo, exec_lo, s38
	s_and_saveexec_b32 s38, s18
	s_cbranch_execz .LBB110_240
.LBB110_1188:                           ;   in Loop: Header=BB110_3 Depth=1
	ds_load_b32 v29, v62 offset:16000
	ds_load_b32 v34, v65 offset:16376
	s_wait_dscnt 0x0
	v_fmac_f32_e32 v2, v29, v34
	s_or_b32 exec_lo, exec_lo, s38
	s_and_saveexec_b32 s38, s4
	s_cbranch_execnz .LBB110_241
	s_branch .LBB110_242
.LBB110_1189:                           ;   in Loop: Header=BB110_3 Depth=1
	ds_load_b32 v29, v52 offset:11680
	ds_load_b32 v34, v53 offset:12212
	s_wait_dscnt 0x0
	v_fmac_f32_e32 v2, v29, v34
	s_or_b32 exec_lo, exec_lo, s38
	s_and_saveexec_b32 s38, s14
	s_cbranch_execz .LBB110_330
.LBB110_1190:                           ;   in Loop: Header=BB110_3 Depth=1
	ds_load_b32 v29, v52 offset:11936
	ds_load_b32 v34, v53 offset:12216
	s_wait_dscnt 0x0
	v_fmac_f32_e32 v2, v29, v34
	s_or_b32 exec_lo, exec_lo, s38
	s_and_saveexec_b32 s38, s2
	s_cbranch_execnz .LBB110_331
	s_branch .LBB110_332
.LBB110_1191:                           ;   in Loop: Header=BB110_3 Depth=1
	ds_load_b32 v29, v56 offset:10624
	ds_load_b32 v34, v59 offset:12196
	s_wait_dscnt 0x0
	v_fmac_f32_e32 v2, v29, v34
	s_or_b32 exec_lo, exec_lo, s38
	s_and_saveexec_b32 s38, s16
	s_cbranch_execz .LBB110_372
.LBB110_1192:                           ;   in Loop: Header=BB110_3 Depth=1
	ds_load_b32 v29, v56 offset:10880
	ds_load_b32 v34, v59 offset:12200
	s_wait_dscnt 0x0
	v_fmac_f32_e32 v2, v29, v34
	s_or_b32 exec_lo, exec_lo, s38
	s_and_saveexec_b32 s38, s17
	s_cbranch_execz .LBB110_373
.LBB110_1193:                           ;   in Loop: Header=BB110_3 Depth=1
	ds_load_b32 v29, v56 offset:11136
	ds_load_b32 v34, v59 offset:12204
	s_wait_dscnt 0x0
	v_fmac_f32_e32 v2, v29, v34
	s_or_b32 exec_lo, exec_lo, s38
	s_and_saveexec_b32 s38, s18
	s_cbranch_execz .LBB110_374
.LBB110_1194:                           ;   in Loop: Header=BB110_3 Depth=1
	ds_load_b32 v29, v56 offset:11392
	ds_load_b32 v34, v59 offset:12208
	s_wait_dscnt 0x0
	v_fmac_f32_e32 v2, v29, v34
	s_or_b32 exec_lo, exec_lo, s38
	s_and_saveexec_b32 s38, s19
	s_cbranch_execz .LBB110_375
.LBB110_1195:                           ;   in Loop: Header=BB110_3 Depth=1
	ds_load_b32 v29, v56 offset:11648
	ds_load_b32 v34, v59 offset:12212
	s_wait_dscnt 0x0
	v_fmac_f32_e32 v2, v29, v34
	s_or_b32 exec_lo, exec_lo, s38
	s_and_saveexec_b32 s38, s4
	s_cbranch_execz .LBB110_376
.LBB110_1196:                           ;   in Loop: Header=BB110_3 Depth=1
	ds_load_b32 v29, v56 offset:11904
	ds_load_b32 v34, v59 offset:12216
	s_wait_dscnt 0x0
	v_fmac_f32_e32 v2, v29, v34
	s_or_b32 exec_lo, exec_lo, s38
	s_and_saveexec_b32 s38, s14
	s_cbranch_execnz .LBB110_377
	s_branch .LBB110_378
.LBB110_1197:                           ;   in Loop: Header=BB110_3 Depth=1
	ds_load_b32 v29, v52 offset:9600
	ds_load_b32 v34, v53 offset:10132
	s_wait_dscnt 0x0
	v_fmac_f32_e32 v2, v29, v34
	s_or_b32 exec_lo, exec_lo, s38
	s_and_saveexec_b32 s38, s14
	s_cbranch_execz .LBB110_434
.LBB110_1198:                           ;   in Loop: Header=BB110_3 Depth=1
	ds_load_b32 v29, v52 offset:9856
	ds_load_b32 v34, v53 offset:10136
	s_wait_dscnt 0x0
	v_fmac_f32_e32 v2, v29, v34
	s_or_b32 exec_lo, exec_lo, s38
	s_and_saveexec_b32 s38, s2
	s_cbranch_execnz .LBB110_435
	s_branch .LBB110_436
.LBB110_1199:                           ;   in Loop: Header=BB110_3 Depth=1
	ds_load_b32 v29, v64 offset:15616
	ds_load_b32 v34, v68 offset:16372
	s_wait_dscnt 0x0
	v_fmac_f32_e32 v2, v29, v34
	s_or_b32 exec_lo, exec_lo, s38
	s_and_saveexec_b32 s38, s5
	s_cbranch_execz .LBB110_532
.LBB110_1200:                           ;   in Loop: Header=BB110_3 Depth=1
	ds_load_b32 v29, v64 offset:15872
	ds_load_b32 v34, v68 offset:16376
	s_wait_dscnt 0x0
	v_fmac_f32_e32 v2, v29, v34
	s_or_b32 exec_lo, exec_lo, s38
	s_and_saveexec_b32 s38, s18
	s_cbranch_execnz .LBB110_533
	s_branch .LBB110_534
.LBB110_1201:                           ;   in Loop: Header=BB110_3 Depth=1
	ds_load_b32 v29, v52 offset:7520
	ds_load_b32 v34, v53 offset:8052
	s_wait_dscnt 0x0
	v_fmac_f32_e32 v2, v29, v34
	s_or_b32 exec_lo, exec_lo, s38
	s_and_saveexec_b32 s38, s14
	s_cbranch_execz .LBB110_686
.LBB110_1202:                           ;   in Loop: Header=BB110_3 Depth=1
	ds_load_b32 v29, v52 offset:7776
	ds_load_b32 v34, v53 offset:8056
	s_wait_dscnt 0x0
	v_fmac_f32_e32 v2, v29, v34
	s_or_b32 exec_lo, exec_lo, s38
	s_and_saveexec_b32 s38, s2
	s_cbranch_execnz .LBB110_687
	s_branch .LBB110_688
.LBB110_1203:                           ;   in Loop: Header=BB110_3 Depth=1
	ds_load_b32 v29, v56 offset:6464
	ds_load_b32 v34, v59 offset:8036
	s_wait_dscnt 0x0
	v_fmac_f32_e32 v2, v29, v34
	s_or_b32 exec_lo, exec_lo, s38
	s_and_saveexec_b32 s38, s16
	s_cbranch_execz .LBB110_728
.LBB110_1204:                           ;   in Loop: Header=BB110_3 Depth=1
	ds_load_b32 v29, v56 offset:6720
	ds_load_b32 v34, v59 offset:8040
	s_wait_dscnt 0x0
	v_fmac_f32_e32 v2, v29, v34
	s_or_b32 exec_lo, exec_lo, s38
	s_and_saveexec_b32 s38, s17
	s_cbranch_execz .LBB110_729
.LBB110_1205:                           ;   in Loop: Header=BB110_3 Depth=1
	ds_load_b32 v29, v56 offset:6976
	ds_load_b32 v34, v59 offset:8044
	s_wait_dscnt 0x0
	v_fmac_f32_e32 v2, v29, v34
	s_or_b32 exec_lo, exec_lo, s38
	s_and_saveexec_b32 s38, s18
	s_cbranch_execz .LBB110_730
.LBB110_1206:                           ;   in Loop: Header=BB110_3 Depth=1
	ds_load_b32 v29, v56 offset:7232
	ds_load_b32 v34, v59 offset:8048
	s_wait_dscnt 0x0
	v_fmac_f32_e32 v2, v29, v34
	s_or_b32 exec_lo, exec_lo, s38
	s_and_saveexec_b32 s38, s19
	s_cbranch_execz .LBB110_731
.LBB110_1207:                           ;   in Loop: Header=BB110_3 Depth=1
	ds_load_b32 v29, v56 offset:7488
	ds_load_b32 v34, v59 offset:8052
	s_wait_dscnt 0x0
	v_fmac_f32_e32 v2, v29, v34
	s_or_b32 exec_lo, exec_lo, s38
	s_and_saveexec_b32 s38, s4
	s_cbranch_execz .LBB110_732
.LBB110_1208:                           ;   in Loop: Header=BB110_3 Depth=1
	ds_load_b32 v29, v56 offset:7744
	ds_load_b32 v34, v59 offset:8056
	s_wait_dscnt 0x0
	v_fmac_f32_e32 v2, v29, v34
	s_or_b32 exec_lo, exec_lo, s38
	s_and_saveexec_b32 s38, s14
	s_cbranch_execnz .LBB110_733
	s_branch .LBB110_734
.LBB110_1209:                           ;   in Loop: Header=BB110_3 Depth=1
	ds_load_b32 v29, v52 offset:5440
	ds_load_b32 v34, v53 offset:5972
	s_wait_dscnt 0x0
	v_fmac_f32_e32 v2, v29, v34
	s_or_b32 exec_lo, exec_lo, s38
	s_and_saveexec_b32 s38, s14
	s_cbranch_execz .LBB110_790
.LBB110_1210:                           ;   in Loop: Header=BB110_3 Depth=1
	ds_load_b32 v29, v52 offset:5696
	ds_load_b32 v34, v53 offset:5976
	s_wait_dscnt 0x0
	v_fmac_f32_e32 v2, v29, v34
	s_or_b32 exec_lo, exec_lo, s38
	s_and_saveexec_b32 s38, s2
	s_cbranch_execnz .LBB110_791
	s_branch .LBB110_792
.LBB110_1211:                           ;   in Loop: Header=BB110_3 Depth=1
	ds_load_b32 v29, v62 offset:6912
	ds_load_b32 v34, v65 offset:8044
	s_wait_dscnt 0x0
	v_fmac_f32_e32 v2, v29, v34
	s_or_b32 exec_lo, exec_lo, s38
	s_and_saveexec_b32 s38, s5
	s_cbranch_execz .LBB110_852
.LBB110_1212:                           ;   in Loop: Header=BB110_3 Depth=1
	ds_load_b32 v29, v62 offset:7168
	ds_load_b32 v34, v65 offset:8048
	s_wait_dscnt 0x0
	v_fmac_f32_e32 v2, v29, v34
	s_or_b32 exec_lo, exec_lo, s38
	s_and_saveexec_b32 s38, s16
	s_cbranch_execz .LBB110_853
.LBB110_1213:                           ;   in Loop: Header=BB110_3 Depth=1
	ds_load_b32 v29, v62 offset:7424
	ds_load_b32 v34, v65 offset:8052
	s_wait_dscnt 0x0
	v_fmac_f32_e32 v2, v29, v34
	s_or_b32 exec_lo, exec_lo, s38
	s_and_saveexec_b32 s38, s18
	s_cbranch_execz .LBB110_854
.LBB110_1214:                           ;   in Loop: Header=BB110_3 Depth=1
	ds_load_b32 v29, v62 offset:7680
	ds_load_b32 v34, v65 offset:8056
	s_wait_dscnt 0x0
	v_fmac_f32_e32 v2, v29, v34
	s_or_b32 exec_lo, exec_lo, s38
	s_and_saveexec_b32 s38, s4
	s_cbranch_execnz .LBB110_855
	s_branch .LBB110_856
.LBB110_1215:                           ;   in Loop: Header=BB110_3 Depth=1
	ds_load_b32 v29, v52 offset:3360
	ds_load_b32 v34, v53 offset:3892
	s_wait_dscnt 0x0
	v_fmac_f32_e32 v2, v29, v34
	s_or_b32 exec_lo, exec_lo, s38
	s_and_saveexec_b32 s38, s14
	s_cbranch_execz .LBB110_944
.LBB110_1216:                           ;   in Loop: Header=BB110_3 Depth=1
	ds_load_b32 v29, v52 offset:3616
	ds_load_b32 v34, v53 offset:3896
	s_wait_dscnt 0x0
	v_fmac_f32_e32 v2, v29, v34
	s_or_b32 exec_lo, exec_lo, s38
	s_and_saveexec_b32 s38, s2
	s_cbranch_execnz .LBB110_945
	s_branch .LBB110_946
.LBB110_1217:                           ;   in Loop: Header=BB110_3 Depth=1
	ds_load_b32 v29, v56 offset:2304
	ds_load_b32 v34, v59 offset:3876
	s_wait_dscnt 0x0
	v_fmac_f32_e32 v2, v29, v34
	s_or_b32 exec_lo, exec_lo, s38
	s_and_saveexec_b32 s38, s16
	s_cbranch_execz .LBB110_986
.LBB110_1218:                           ;   in Loop: Header=BB110_3 Depth=1
	ds_load_b32 v29, v56 offset:2560
	ds_load_b32 v34, v59 offset:3880
	s_wait_dscnt 0x0
	v_fmac_f32_e32 v2, v29, v34
	s_or_b32 exec_lo, exec_lo, s38
	s_and_saveexec_b32 s38, s17
	s_cbranch_execz .LBB110_987
.LBB110_1219:                           ;   in Loop: Header=BB110_3 Depth=1
	ds_load_b32 v29, v56 offset:2816
	ds_load_b32 v34, v59 offset:3884
	s_wait_dscnt 0x0
	v_fmac_f32_e32 v2, v29, v34
	s_or_b32 exec_lo, exec_lo, s38
	s_and_saveexec_b32 s38, s18
	s_cbranch_execz .LBB110_988
.LBB110_1220:                           ;   in Loop: Header=BB110_3 Depth=1
	ds_load_b32 v29, v56 offset:3072
	ds_load_b32 v34, v59 offset:3888
	s_wait_dscnt 0x0
	v_fmac_f32_e32 v2, v29, v34
	s_or_b32 exec_lo, exec_lo, s38
	s_and_saveexec_b32 s38, s19
	s_cbranch_execz .LBB110_989
.LBB110_1221:                           ;   in Loop: Header=BB110_3 Depth=1
	ds_load_b32 v29, v56 offset:3328
	ds_load_b32 v34, v59 offset:3892
	s_wait_dscnt 0x0
	v_fmac_f32_e32 v2, v29, v34
	s_or_b32 exec_lo, exec_lo, s38
	s_and_saveexec_b32 s38, s4
	s_cbranch_execz .LBB110_990
.LBB110_1222:                           ;   in Loop: Header=BB110_3 Depth=1
	ds_load_b32 v29, v56 offset:3584
	ds_load_b32 v34, v59 offset:3896
	s_wait_dscnt 0x0
	v_fmac_f32_e32 v2, v29, v34
	s_or_b32 exec_lo, exec_lo, s38
	s_and_saveexec_b32 s38, s14
	s_cbranch_execnz .LBB110_991
	s_branch .LBB110_992
.LBB110_1223:                           ;   in Loop: Header=BB110_3 Depth=1
	ds_load_b32 v29, v52 offset:1280
	ds_load_b32 v34, v53 offset:1812
	s_wait_dscnt 0x0
	v_fmac_f32_e32 v2, v29, v34
	s_or_b32 exec_lo, exec_lo, s38
	s_and_saveexec_b32 s38, s14
	s_cbranch_execz .LBB110_1048
.LBB110_1224:                           ;   in Loop: Header=BB110_3 Depth=1
	ds_load_b32 v29, v52 offset:1536
	ds_load_b32 v34, v53 offset:1816
	s_wait_dscnt 0x0
	v_fmac_f32_e32 v2, v29, v34
	s_or_b32 exec_lo, exec_lo, s38
	s_and_saveexec_b32 s38, s2
	s_cbranch_execnz .LBB110_1049
	s_branch .LBB110_1050
.LBB110_1225:
	s_endpgm
	.section	.rodata,"a",@progbits
	.p2align	6, 0x0
	.amdhsa_kernel _ZL19rocblas_trsv_deviceILi64ELi16ELb0ELb1ELb0ELb1EffPKPKfPKPfEviT7_lllT6_T8_lllPii
		.amdhsa_group_segment_fixed_size 20740
		.amdhsa_private_segment_fixed_size 0
		.amdhsa_kernarg_size 352
		.amdhsa_user_sgpr_count 2
		.amdhsa_user_sgpr_dispatch_ptr 0
		.amdhsa_user_sgpr_queue_ptr 0
		.amdhsa_user_sgpr_kernarg_segment_ptr 1
		.amdhsa_user_sgpr_dispatch_id 0
		.amdhsa_user_sgpr_kernarg_preload_length 0
		.amdhsa_user_sgpr_kernarg_preload_offset 0
		.amdhsa_user_sgpr_private_segment_size 0
		.amdhsa_wavefront_size32 1
		.amdhsa_uses_dynamic_stack 0
		.amdhsa_enable_private_segment 0
		.amdhsa_system_sgpr_workgroup_id_x 1
		.amdhsa_system_sgpr_workgroup_id_y 0
		.amdhsa_system_sgpr_workgroup_id_z 1
		.amdhsa_system_sgpr_workgroup_info 0
		.amdhsa_system_vgpr_workitem_id 1
		.amdhsa_next_free_vgpr 92
		.amdhsa_next_free_sgpr 105
		.amdhsa_named_barrier_count 0
		.amdhsa_reserve_vcc 1
		.amdhsa_float_round_mode_32 0
		.amdhsa_float_round_mode_16_64 0
		.amdhsa_float_denorm_mode_32 3
		.amdhsa_float_denorm_mode_16_64 3
		.amdhsa_fp16_overflow 0
		.amdhsa_memory_ordered 1
		.amdhsa_forward_progress 1
		.amdhsa_inst_pref_size 255
		.amdhsa_round_robin_scheduling 0
		.amdhsa_exception_fp_ieee_invalid_op 0
		.amdhsa_exception_fp_denorm_src 0
		.amdhsa_exception_fp_ieee_div_zero 0
		.amdhsa_exception_fp_ieee_overflow 0
		.amdhsa_exception_fp_ieee_underflow 0
		.amdhsa_exception_fp_ieee_inexact 0
		.amdhsa_exception_int_div_zero 0
	.end_amdhsa_kernel
	.section	.text._ZL19rocblas_trsv_deviceILi64ELi16ELb0ELb1ELb0ELb1EffPKPKfPKPfEviT7_lllT6_T8_lllPii,"axG",@progbits,_ZL19rocblas_trsv_deviceILi64ELi16ELb0ELb1ELb0ELb1EffPKPKfPKPfEviT7_lllT6_T8_lllPii,comdat
.Lfunc_end110:
	.size	_ZL19rocblas_trsv_deviceILi64ELi16ELb0ELb1ELb0ELb1EffPKPKfPKPfEviT7_lllT6_T8_lllPii, .Lfunc_end110-_ZL19rocblas_trsv_deviceILi64ELi16ELb0ELb1ELb0ELb1EffPKPKfPKPfEviT7_lllT6_T8_lllPii
                                        ; -- End function
	.set _ZL19rocblas_trsv_deviceILi64ELi16ELb0ELb1ELb0ELb1EffPKPKfPKPfEviT7_lllT6_T8_lllPii.num_vgpr, 92
	.set _ZL19rocblas_trsv_deviceILi64ELi16ELb0ELb1ELb0ELb1EffPKPKfPKPfEviT7_lllT6_T8_lllPii.num_agpr, 0
	.set _ZL19rocblas_trsv_deviceILi64ELi16ELb0ELb1ELb0ELb1EffPKPKfPKPfEviT7_lllT6_T8_lllPii.numbered_sgpr, 105
	.set _ZL19rocblas_trsv_deviceILi64ELi16ELb0ELb1ELb0ELb1EffPKPKfPKPfEviT7_lllT6_T8_lllPii.num_named_barrier, 0
	.set _ZL19rocblas_trsv_deviceILi64ELi16ELb0ELb1ELb0ELb1EffPKPKfPKPfEviT7_lllT6_T8_lllPii.private_seg_size, 0
	.set _ZL19rocblas_trsv_deviceILi64ELi16ELb0ELb1ELb0ELb1EffPKPKfPKPfEviT7_lllT6_T8_lllPii.uses_vcc, 1
	.set _ZL19rocblas_trsv_deviceILi64ELi16ELb0ELb1ELb0ELb1EffPKPKfPKPfEviT7_lllT6_T8_lllPii.uses_flat_scratch, 0
	.set _ZL19rocblas_trsv_deviceILi64ELi16ELb0ELb1ELb0ELb1EffPKPKfPKPfEviT7_lllT6_T8_lllPii.has_dyn_sized_stack, 0
	.set _ZL19rocblas_trsv_deviceILi64ELi16ELb0ELb1ELb0ELb1EffPKPKfPKPfEviT7_lllT6_T8_lllPii.has_recursion, 0
	.set _ZL19rocblas_trsv_deviceILi64ELi16ELb0ELb1ELb0ELb1EffPKPKfPKPfEviT7_lllT6_T8_lllPii.has_indirect_call, 0
	.section	.AMDGPU.csdata,"",@progbits
; Kernel info:
; codeLenInByte = 36632
; TotalNumSgprs: 107
; NumVgprs: 92
; ScratchSize: 0
; MemoryBound: 0
; FloatMode: 240
; IeeeMode: 1
; LDSByteSize: 20740 bytes/workgroup (compile time only)
; SGPRBlocks: 0
; VGPRBlocks: 5
; NumSGPRsForWavesPerEU: 107
; NumVGPRsForWavesPerEU: 92
; NamedBarCnt: 0
; Occupancy: 10
; WaveLimiterHint : 1
; COMPUTE_PGM_RSRC2:SCRATCH_EN: 0
; COMPUTE_PGM_RSRC2:USER_SGPR: 2
; COMPUTE_PGM_RSRC2:TRAP_HANDLER: 0
; COMPUTE_PGM_RSRC2:TGID_X_EN: 1
; COMPUTE_PGM_RSRC2:TGID_Y_EN: 0
; COMPUTE_PGM_RSRC2:TGID_Z_EN: 1
; COMPUTE_PGM_RSRC2:TIDIG_COMP_CNT: 1
	.section	.text._ZL19rocblas_trsv_deviceILi64ELi16ELb0ELb1ELb1ELb1EffPKPKfPKPfEviT7_lllT6_T8_lllPii,"axG",@progbits,_ZL19rocblas_trsv_deviceILi64ELi16ELb0ELb1ELb1ELb1EffPKPKfPKPfEviT7_lllT6_T8_lllPii,comdat
	.globl	_ZL19rocblas_trsv_deviceILi64ELi16ELb0ELb1ELb1ELb1EffPKPKfPKPfEviT7_lllT6_T8_lllPii ; -- Begin function _ZL19rocblas_trsv_deviceILi64ELi16ELb0ELb1ELb1ELb1EffPKPKfPKPfEviT7_lllT6_T8_lllPii
	.p2align	8
	.type	_ZL19rocblas_trsv_deviceILi64ELi16ELb0ELb1ELb1ELb1EffPKPKfPKPfEviT7_lllT6_T8_lllPii,@function
_ZL19rocblas_trsv_deviceILi64ELi16ELb0ELb1ELb1ELb1EffPKPKfPKPfEviT7_lllT6_T8_lllPii: ; @_ZL19rocblas_trsv_deviceILi64ELi16ELb0ELb1ELb1ELb1EffPKPKfPKPfEviT7_lllT6_T8_lllPii
; %bb.0:
	s_load_b32 s6, s[0:1], 0x58
	s_bfe_u32 s2, ttmp6, 0x40014
	s_lshr_b32 s3, ttmp7, 16
	s_add_co_i32 s2, s2, 1
	s_bfe_u32 s5, ttmp6, 0x40008
	s_mul_i32 s4, s3, s2
	s_getreg_b32 s2, hwreg(HW_REG_IB_STS2, 6, 4)
	s_add_co_i32 s5, s5, s4
	s_cmp_eq_u32 s2, 0
	s_mov_b32 s63, 0
	s_cselect_b32 s62, s3, s5
                                        ; implicit-def: $vgpr91 : SGPR spill to VGPR lane
	s_wait_kmcnt 0x0
	s_cmp_ge_u32 s62, s6
	v_writelane_b32 v91, s6, 0
	s_cbranch_scc1 .LBB111_1225
; %bb.1:
	s_clause 0x2
	s_load_b32 s3, s[0:1], 0x6c
	s_load_b32 s81, s[0:1], 0x0
	s_load_b64 s[14:15], s[0:1], 0x18
	s_bfe_u32 s5, ttmp6, 0x4000c
	s_and_b32 s4, ttmp6, 15
	s_add_co_i32 s5, s5, 1
	s_load_b128 s[64:67], s[0:1], 0x8
	s_mul_i32 s5, ttmp9, s5
	v_and_b32_e32 v4, 0x3ff, v0
	s_add_co_i32 s4, s4, s5
	s_cmp_eq_u32 s2, 0
	v_mov_b32_e32 v3, 0
	s_cselect_b32 s82, ttmp9, s4
	v_bfe_u32 v6, v0, 10, 10
	v_lshlrev_b32_e32 v18, 6, v4
	v_sub_co_u32 v5, s7, s82, 1
	s_delay_alu instid0(VALU_DEP_3)
	v_dual_mov_b32 v9, v3 :: v_dual_add_nc_u32 v26, 16, v6
	v_lshl_add_u32 v34, v6, 6, v4
	s_wait_kmcnt 0x0
	s_and_b32 s4, s3, 0xffff
	s_add_co_i32 s2, s81, -1
	s_ashr_i32 s3, s81, 31
	s_ashr_i32 s5, s2, 31
	s_lshr_b32 s3, s3, 26
	s_lshr_b32 s5, s5, 26
	s_add_co_i32 s3, s81, s3
	s_add_co_i32 s2, s2, s5
	s_and_not1_b32 s3, s3, 63
	s_ashr_i32 s2, s2, 6
	s_sub_co_i32 s13, s81, s3
	s_cmp_eq_u32 s2, s82
	s_load_b32 s2, s[0:1], 0x28
	s_cselect_b32 s5, -1, 0
	s_cmp_lg_u32 s13, 0
	v_mad_u32_u24 v8, v6, s4, v4
	s_cselect_b32 s6, -1, 0
	s_lshl_b32 s18, s82, 6
	s_and_b32 s29, s6, s5
	s_xor_b32 s4, s7, -1
	s_xor_b32 s85, s29, -1
	v_dual_add_nc_u32 v7, v26, v18 :: v_dual_bitop2_b32 v1, 1, v0 bitop3:0x40
	s_cmp_lt_i32 s82, 5
	v_dual_add_nc_u32 v2, v6, v18 :: v_dual_add_nc_u32 v28, s18, v4
	s_cselect_b32 vcc_lo, -1, 0
	s_ashr_i32 s19, s18, 31
	v_lshl_add_u32 v12, v26, 6, v4
	v_cmp_eq_u32_e64 s5, 0, v1
	v_and_b32_e32 v22, 3, v0
	v_cmp_gt_u32_e64 s6, 2, v4
	s_wait_kmcnt 0x0
	v_writelane_b32 v91, s2, 1
	s_add_nc_u64 s[2:3], s[14:15], 1
	v_cndmask_b32_e32 v36, v34, v2, vcc_lo
	s_mul_u64 s[16:17], s[2:3], s[18:19]
	v_cmp_gt_u32_e64 s2, 4, v34
	v_writelane_b32 v91, s4, 2
	v_cmp_eq_u32_e64 s4, 1, v1
	v_cmp_eq_u32_e64 s3, 0, v6
	s_or_b32 vcc_lo, vcc_lo, s29
	s_and_b32 s88, s5, s2
	v_cndmask_b32_e32 v37, v12, v7, vcc_lo
	s_and_b32 s87, s4, s2
	v_cmp_gt_u32_e64 s4, 16, v34
	s_and_b32 s89, s3, s6
	v_mov_b32_e32 v7, v3
	v_cmp_eq_u32_e64 s5, 3, v22
	v_cmp_ne_u32_e64 s6, 3, v22
	v_cmp_eq_u32_e64 s7, 2, v22
	v_dual_mov_b32 v27, v3 :: v_dual_bitop2_b32 v23, 7, v0 bitop3:0x40
	s_and_b32 s90, s5, s4
	v_cmp_eq_u32_e64 s5, 1, v22
	s_and_b32 s91, s6, s4
	v_cmp_eq_u32_e64 s6, 0, v22
	s_and_b32 s92, s7, s4
	v_cmp_gt_u32_e64 s7, 4, v4
	s_and_b32 s94, s5, s4
	v_cmp_gt_u32_e64 s5, 64, v34
	s_and_b32 s95, s6, s4
	v_cmp_eq_u32_e64 s6, 6, v23
	v_cmp_ne_u32_e64 s9, 7, v23
	s_and_b32 s96, s3, s7
	v_cmp_gt_u32_e64 s7, 6, v23
	v_cmp_gt_u32_e64 s8, 2, v22
	s_and_b32 s99, s6, s5
	v_cmp_eq_u32_e64 s6, 5, v23
	s_and_b32 s98, s9, s5
	v_cmp_eq_u32_e64 s9, 4, v23
	s_and_b32 s100, s7, s5
	v_cmp_gt_u32_e64 s7, 4, v23
	s_and_b32 s101, s6, s5
	v_cmp_eq_u32_e64 s6, 3, v23
	s_and_b32 s93, s8, s4
	v_cmp_eq_u32_e64 s8, 7, v23
	s_and_b32 s103, s9, s5
	s_and_b32 s104, s7, s5
	v_cmp_gt_u32_e64 s7, 3, v23
	v_cmp_gt_u32_e64 s9, 2, v23
	s_and_b32 vcc_hi, s6, s5
	v_cmp_eq_u32_e64 s6, 1, v23
	v_dual_add_nc_u32 v32, 32, v6 :: v_dual_bitop2_b32 v62, 15, v0 bitop3:0x40
	s_and_b32 s97, s8, s5
	v_cmp_gt_u32_e64 s8, 5, v23
	s_and_b32 s31, s7, s5
	s_and_b32 s34, s9, s5
	;; [unrolled: 1-line block ×3, first 2 shown]
	v_cmp_eq_u32_e64 s7, 0, v23
	v_cmp_gt_u32_e64 s6, 0x100, v34
	v_cmp_eq_u32_e64 s9, 15, v62
	s_and_b32 s102, s8, s5
	v_cmp_eq_u32_e64 s8, 2, v23
	v_cmp_ne_u32_e64 s10, 15, v62
	s_and_b32 s36, s7, s5
	s_and_b32 s7, s9, s6
	v_cmp_eq_u32_e64 s11, 14, v62
	s_and_b32 s33, s8, s5
	v_cmp_gt_u32_e64 s8, 8, v4
	v_writelane_b32 v91, s7, 3
	s_and_b32 s7, s10, s6
	s_and_b32 s40, s11, s6
	v_cmp_gt_u32_e64 s11, 12, v62
	s_and_b32 s37, s3, s8
	v_writelane_b32 v91, s7, 4
	v_cmp_gt_u32_e64 s7, 14, v62
	v_cmp_eq_u32_e64 s8, 13, v62
	s_and_b32 s45, s11, s6
	v_cmp_eq_u32_e64 s11, 9, v62
	v_cmp_gt_u32_e64 s9, 13, v62
	s_and_b32 s41, s7, s6
	s_and_b32 s42, s8, s6
	v_cmp_eq_u32_e64 s7, 11, v62
	v_cmp_gt_u32_e64 s8, 11, v62
	s_and_b32 s50, s11, s6
	v_cmp_gt_u32_e64 s11, 7, v62
	v_cmp_eq_u32_e64 s10, 12, v62
	s_and_b32 s46, s7, s6
	s_and_b32 s47, s8, s6
	v_cmp_gt_u32_e64 s7, 9, v62
	v_cmp_eq_u32_e64 s8, 8, v62
	s_and_b32 s83, s11, s6
	v_cmp_eq_u32_e64 s11, 4, v62
	s_and_b32 s43, s9, s6
	s_and_b32 s51, s7, s6
	;; [unrolled: 1-line block ×3, first 2 shown]
	v_cmp_eq_u32_e64 s7, 6, v62
	v_cmp_gt_u32_e64 s8, 6, v62
	v_cmp_eq_u32_e64 s9, 10, v62
	s_and_b32 s28, s11, s6
	v_cmp_gt_u32_e64 s11, 2, v62
	s_and_b32 s20, s7, s6
	s_and_b32 s22, s8, s6
	v_cmp_gt_u32_e64 s7, 4, v62
	v_cmp_eq_u32_e64 s8, 3, v62
	v_dual_add_nc_u32 v30, 48, v6 :: v_dual_bitop2_b32 v64, 31, v0 bitop3:0x40
	s_and_b32 s44, s10, s6
	v_cmp_gt_u32_e64 s10, 10, v62
	s_and_b32 s48, s9, s6
	v_cmp_gt_u32_e64 s9, 8, v62
	s_and_b32 s30, s7, s6
	s_and_b32 s57, s8, s6
	s_and_b32 s60, s11, s6
	v_cmp_eq_u32_e64 s8, 1, v62
	v_cmp_gt_u32_e64 s7, 0x400, v34
	v_cmp_eq_u32_e64 s11, 31, v64
	s_and_b32 s49, s10, s6
	v_cmp_eq_u32_e64 s10, 7, v62
	s_and_b32 s53, s9, s6
	v_cmp_eq_u32_e64 s9, 5, v62
	v_cmp_ne_u32_e64 s12, 31, v64
	s_and_b32 s21, s8, s6
	s_and_b32 s8, s11, s7
	;; [unrolled: 1-line block ×3, first 2 shown]
	v_cmp_gt_u32_e64 s10, 5, v62
	s_and_b32 s24, s9, s6
	v_cmp_gt_u32_e64 s9, 3, v62
	v_writelane_b32 v91, s8, 5
	s_and_b32 s8, s12, s7
	s_and_b32 s26, s10, s6
	v_cmp_eq_u32_e64 s10, 2, v62
	s_and_b32 s58, s9, s6
	v_cmp_eq_u32_e64 s9, 0, v62
	v_writelane_b32 v91, s8, 6
	v_cmp_eq_u32_e64 s8, 30, v64
	s_and_b32 s59, s10, s6
	v_cmp_gt_u32_e64 s10, 16, v4
	s_and_b32 s23, s9, s6
	v_cmp_gt_u32_e64 s9, 30, v64
	;; [unrolled: 2-line block ×3, first 2 shown]
	v_writelane_b32 v91, s8, 7
	s_and_b32 s25, s3, s10
	v_cmp_eq_u32_e64 s10, 29, v64
	s_and_b32 s8, s9, s7
	v_cmp_eq_u32_e64 s12, 28, v64
	v_writelane_b32 v91, s8, 8
	v_cmp_eq_u32_e64 s9, 27, v64
	s_and_b32 s8, s10, s7
	v_cmp_gt_u32_e64 s10, 27, v64
	v_add_nc_u64_e32 v[24:25], s[18:19], v[8:9]
	v_writelane_b32 v91, s8, 9
	s_and_b32 s8, s11, s7
	v_cmp_eq_u32_e64 s11, 26, v64
	v_mul_u64_e32 v[12:13], s[14:15], v[6:7]
	v_dual_add_nc_u32 v7, v32, v18 :: v_dual_mov_b32 v31, v3
	v_writelane_b32 v91, s8, 10
	s_and_b32 s8, s12, s7
	v_cmp_gt_u32_e64 s12, 26, v64
	v_lshl_add_u32 v9, v32, 6, v4
	v_add_nc_u32_e32 v20, v30, v18
	v_writelane_b32 v91, s8, 11
	v_cmp_gt_u32_e64 s8, 28, v64
	v_lshl_add_u32 v21, v30, 6, v4
	s_xor_b32 s86, vcc_lo, -1
	v_mul_u64_e32 v[14:15], s[14:15], v[26:27]
	v_mul_u64_e32 v[18:19], s[14:15], v[30:31]
	s_and_b32 s8, s8, s7
	v_cndmask_b32_e32 v27, v9, v7, vcc_lo
	v_writelane_b32 v91, s8, 12
	s_and_b32 s8, s9, s7
	v_cmp_gt_u32_e64 s9, 25, v64
	v_dual_cndmask_b32 v31, v21, v20 :: v_dual_lshrrev_b32 v46, 1, v34
	v_writelane_b32 v91, s8, 13
	s_and_b32 s8, s10, s7
	v_cmp_eq_u32_e64 s10, 24, v64
	v_cmp_gt_u32_e32 vcc_lo, 22, v64
                                        ; implicit-def: $vgpr90 : SGPR spill to VGPR lane
                                        ; implicit-def: $vgpr89 : SGPR spill to VGPR lane
	v_dual_ashrrev_i32 v29, 31, v28 :: v_dual_add_nc_u32 v35, s18, v6
	v_writelane_b32 v91, s8, 14
	s_and_b32 s8, s11, s7
	v_cmp_gt_u32_e64 s11, 24, v64
	v_dual_mov_b32 v33, v3 :: v_dual_add_nc_u32 v2, s18, v8
	v_writelane_b32 v91, s8, 15
	s_and_b32 s8, s12, s7
	v_cmp_eq_u32_e64 s12, 23, v64
	v_subrev_nc_u32_e32 v20, 64, v35
	v_mul_u64_e32 v[16:17], s[14:15], v[32:33]
	v_writelane_b32 v91, s8, 16
	v_cmp_eq_u32_e64 s8, 25, v64
	v_lshrrev_b32_e32 v33, 10, v0
	v_lshlrev_b32_e32 v7, 2, v4
	v_ashrrev_i32_e32 v21, 31, v20
	v_lshl_add_u32 v44, v46, 2, 0x4000
	s_and_b32 s8, s8, s7
	v_bitop3_b32 v33, v0, v33, 0x3ff bitop3:0xa8
	v_writelane_b32 v91, s8, 17
	s_and_b32 s8, s9, s7
	v_cmp_eq_u32_e64 s9, 22, v64
	v_dual_lshlrev_b32 v0, 8, v46 :: v_dual_lshlrev_b32 v46, 2, v1
	v_writelane_b32 v91, s8, 18
	s_and_b32 s8, s10, s7
	s_and_b32 s10, s11, s7
	v_lshlrev_b32_e32 v1, 6, v34
	s_clause 0x1
	s_load_b64 s[74:75], s[0:1], 0x40
	s_load_b128 s[68:71], s[0:1], 0x30
	v_writelane_b32 v91, s8, 19
	v_cmp_gt_u32_e64 s8, 23, v64
	v_dual_sub_nc_u32 v48, 0, v0 :: v_dual_bitop2_b32 v50, -4, v34 bitop3:0x40
	v_dual_sub_nc_u32 v49, v46, v0 :: v_dual_lshlrev_b32 v52, 2, v22
	v_writelane_b32 v91, s10, 20
	s_and_b32 s10, s12, s7
	s_and_b32 s8, s8, s7
	v_and_b32_e32 v0, 0xffffff00, v1
	v_lshrrev_b32_e32 v1, 3, v34
	v_writelane_b32 v91, s10, 21
	v_lshlrev_b32_e32 v56, 2, v23
	s_load_b64 s[72:73], s[0:1], 0x50
	v_dual_sub_nc_u32 v53, 0, v0 :: v_dual_sub_nc_u32 v55, v52, v0
	v_lshlrev_b32_e32 v0, 8, v1
	v_writelane_b32 v91, s8, 22
	s_and_b32 s8, s9, s7
	v_lshl_add_u32 v57, v1, 2, 0x4000
	s_delay_alu instid0(VALU_DEP_3)
	v_dual_lshrrev_b32 v1, 4, v34 :: v_dual_sub_nc_u32 v59, 0, v0
	v_sub_nc_u32_e32 v60, v56, v0
	v_writelane_b32 v91, s8, 23
	s_and_b32 s8, vcc_lo, s7
	v_cmp_eq_u32_e32 vcc_lo, 21, v64
	v_dual_lshrrev_b32 v0, 5, v34 :: v_dual_lshlrev_b32 v22, 8, v1
	v_writelane_b32 v91, s8, 24
	v_lshlrev_b32_e32 v62, 2, v62
	s_and_b32 s8, vcc_lo, s7
	v_cmp_gt_u32_e32 vcc_lo, 21, v64
	v_lshl_add_u32 v63, v1, 2, 0x4000
	v_writelane_b32 v91, s8, 25
	v_dual_lshlrev_b32 v1, 8, v0 :: v_dual_sub_nc_u32 v66, v62, v22
	s_and_b32 s8, vcc_lo, s7
	v_cmp_eq_u32_e32 vcc_lo, 20, v64
	v_writelane_b32 v91, s8, 26
	v_mul_u64_e32 v[10:11], s[14:15], v[28:29]
	v_lshl_add_u32 v67, v0, 2, 0x4000
	v_sub_nc_u32_e32 v68, 0, v1
	s_and_b32 s8, vcc_lo, s7
	v_cmp_gt_u32_e32 vcc_lo, 20, v64
	v_writelane_b32 v91, s8, 27
	v_cmp_gt_u32_e64 s38, 0xf0, v34
                                        ; implicit-def: $vgpr88 : SGPR spill to VGPR lane
	v_mad_u32_u24 v9, 0xfc, v4, v7
	s_wait_kmcnt 0x0
	v_mul_u64_e32 v[24:25], s[74:75], v[24:25]
	s_and_b32 s8, vcc_lo, s7
	v_cmp_eq_u32_e32 vcc_lo, 19, v64
	v_writelane_b32 v91, s8, 28
	v_mad_i32_i24 v38, 0xffffff04, v4, v9
	v_mul_i32_i24_e32 v81, 0xffffff04, v4
	v_add_nc_u32_e32 v50, 0x4000, v50
	s_and_b32 s8, vcc_lo, s7
	v_cmp_gt_u32_e32 vcc_lo, 19, v64
	v_writelane_b32 v91, s8, 29
	v_mad_u32_u24 v39, 0xfc, v4, v38
	v_lshl_add_u32 v71, v8, 2, 0x5000
	v_lshl_add_u32 v72, v34, 2, 0x4000
	s_and_b32 s8, vcc_lo, s7
	v_cmp_eq_u32_e32 vcc_lo, 18, v64
	v_writelane_b32 v91, s8, 30
	v_mad_i32_i24 v40, 0xffffff04, v4, v39
	v_add_nc_u32_e32 v73, 0x4000, v7
	v_cmp_gt_u32_e64 s14, 8, v34
	s_and_b32 s8, vcc_lo, s7
	v_cmp_gt_u32_e32 vcc_lo, 18, v64
	v_writelane_b32 v91, s8, 31
	v_mad_u32_u24 v41, 0xfc, v4, v40
	v_cmp_gt_u32_e64 s15, 56, v34
	v_cmp_gt_u32_e64 s18, 32, v34
	s_and_b32 s8, vcc_lo, s7
	v_cmp_eq_u32_e32 vcc_lo, 17, v64
	v_writelane_b32 v90, s8, 0
	v_mad_i32_i24 v42, 0xffffff04, v4, v41
	v_cmp_gt_u32_e64 s19, 24, v34
	v_cmp_eq_u32_e64 s55, 0, v8
	s_and_b32 s8, vcc_lo, s7
	v_cmp_gt_u32_e32 vcc_lo, 17, v64
	v_writelane_b32 v90, s8, 1
	v_mad_u32_u24 v43, 0xfc, v4, v42
	v_cmp_gt_u32_e64 s56, 64, v8
                                        ; implicit-def: $vgpr82
                                        ; implicit-def: $vgpr83
                                        ; implicit-def: $vgpr84
                                        ; implicit-def: $vgpr85
	v_sub_nc_u32_e32 v65, 0, v22
	s_and_b32 s8, vcc_lo, s7
	v_cmp_eq_u32_e32 vcc_lo, 16, v64
	v_writelane_b32 v90, s8, 2
	v_mul_u64_e32 v[22:23], s[74:75], v[2:3]
	v_subrev_nc_u32_e32 v2, 48, v35
	v_mad_i32_i24 v45, 0xffffff04, v4, v43
	s_and_b32 s8, vcc_lo, s7
	v_cmp_gt_u32_e32 vcc_lo, 16, v64
	v_writelane_b32 v90, s8, 3
	v_lshlrev_b32_e32 v80, 2, v6
	v_mad_u32_u24 v47, 0xfc, v4, v45
	v_lshlrev_b32_e32 v79, 2, v31
	s_and_b32 s8, vcc_lo, s7
	v_cmp_eq_u32_e32 vcc_lo, 15, v64
	v_writelane_b32 v90, s8, 4
	v_mad_i32_i24 v51, 0xffffff04, v4, v47
	v_or_b32_e32 v70, 0x5000, v80
	v_lshlrev_b32_e32 v76, 2, v36
	s_and_b32 s8, vcc_lo, s7
	v_cmp_gt_u32_e32 vcc_lo, 15, v64
	v_writelane_b32 v90, s8, 5
	v_mad_u32_u24 v54, 0xfc, v4, v51
	v_lshl_add_u32 v74, v6, 8, v51
	v_add_nc_u32_e32 v75, v70, v7
	s_and_b32 s8, vcc_lo, s7
	v_cmp_eq_u32_e32 vcc_lo, 14, v64
	v_writelane_b32 v90, s8, 6
	v_mad_i32_i24 v58, 0xffffff04, v4, v54
	v_dual_lshlrev_b32 v77, 2, v37 :: v_dual_lshlrev_b32 v78, 2, v27
	s_and_b32 s8, vcc_lo, s7
	v_cmp_gt_u32_e32 vcc_lo, 14, v64
	v_writelane_b32 v90, s8, 7
	v_mad_u32_u24 v61, 0xfc, v4, v58
	v_mov_b32_e32 v27, v3
	s_and_b32 s8, vcc_lo, s7
	v_cmp_eq_u32_e32 vcc_lo, 13, v64
	v_writelane_b32 v90, s8, 8
	v_add_nc_u32_e32 v80, v61, v80
	s_and_b32 s8, vcc_lo, s7
	v_cmp_gt_u32_e32 vcc_lo, 13, v64
	v_writelane_b32 v90, s8, 9
	s_and_b32 s8, vcc_lo, s7
	v_cmp_eq_u32_e32 vcc_lo, 12, v64
	v_writelane_b32 v90, s8, 10
	s_and_b32 s8, vcc_lo, s7
	v_cmp_gt_u32_e32 vcc_lo, 12, v64
	v_writelane_b32 v90, s8, 11
	s_and_b32 s8, vcc_lo, s7
	v_cmp_eq_u32_e32 vcc_lo, 11, v64
	v_writelane_b32 v90, s8, 12
	;; [unrolled: 6-line block ×12, first 2 shown]
	s_and_b32 s8, vcc_lo, s7
	v_cmp_eq_u32_e32 vcc_lo, 0, v64
	v_writelane_b32 v89, s8, 1
	v_cmp_gt_u32_e64 s8, 32, v4
	v_lshlrev_b32_e32 v64, 2, v64
	s_and_b32 s27, vcc_lo, s7
	v_cmp_le_i32_e32 vcc_lo, s13, v4
	s_and_b32 s8, s3, s8
	s_delay_alu instid0(VALU_DEP_2)
	v_sub_nc_u32_e32 v69, v64, v1
	v_writelane_b32 v89, s8, 2
	v_mul_u64_e32 v[0:1], s[74:75], v[28:29]
	s_and_b32 s9, vcc_lo, s29
	v_or_b32_e32 v29, v32, v4
	s_xor_b32 s8, s9, -1
	v_writelane_b32 v89, s9, 3
	s_and_b32 s29, s3, s8
	v_cmp_le_i32_e64 s8, s13, v6
	s_cmp_gt_i32 s82, 0
	s_cselect_b32 s80, -1, 0
	s_lshl_b64 s[76:77], s[16:17], 2
	s_or_b32 s9, s8, vcc_lo
	v_cmp_le_i32_e64 s8, s13, v26
	v_cmp_gt_u32_e64 s16, 48, v34
	v_cmp_gt_u32_e64 s17, 40, v34
	s_lshl_b64 s[66:67], s[66:67], 2
	s_lshl_b64 s[70:71], s[70:71], 2
	s_or_b32 s10, s8, vcc_lo
	v_cmp_le_i32_e64 s8, s13, v32
	s_or_b32 s11, s8, vcc_lo
	v_cmp_le_i32_e64 s8, s13, v30
	s_or_b32 s12, s8, vcc_lo
	v_cmp_gt_i32_e32 vcc_lo, s13, v4
	v_cmp_gt_u32_e64 s13, 12, v34
	s_and_b32 s0, s3, vcc_lo
	v_cmp_gt_i32_e32 vcc_lo, s81, v20
	v_writelane_b32 v89, s0, 4
	v_cmp_gt_i32_e64 s0, s81, v28
	v_subrev_nc_u32_e32 v28, 32, v35
	s_and_b32 s1, vcc_lo, s0
	v_cmp_gt_i32_e32 vcc_lo, s81, v2
	v_writelane_b32 v89, s1, 5
	v_dual_add_nc_u32 v2, -16, v35 :: v_dual_bitop2_b32 v35, v30, v4 bitop3:0x54
	s_and_b32 s1, vcc_lo, s0
	v_cmp_gt_i32_e32 vcc_lo, s81, v28
	v_writelane_b32 v89, s1, 6
	v_mov_b32_e32 v28, 1.0
	s_and_b32 s1, vcc_lo, s0
	v_cmp_gt_i32_e32 vcc_lo, s81, v2
	v_writelane_b32 v89, s1, 7
	v_or_b32_e32 v2, v26, v4
	s_and_b32 s1, vcc_lo, s0
	s_delay_alu instid0(SALU_CYCLE_1) | instskip(SKIP_2) | instid1(SALU_CYCLE_1)
	v_writelane_b32 v89, s1, 8
	v_cmp_ge_u32_e64 s1, v4, v6
	s_or_b32 s8, s9, s1
	v_writelane_b32 v89, s8, 9
	v_cmp_ge_u32_e64 s8, v4, v26
	v_mad_u32_u24 v26, 0xfc, v4, v81
	s_or_b32 s9, s10, s8
	s_delay_alu instid0(VALU_DEP_1) | instskip(SKIP_4) | instid1(SALU_CYCLE_1)
	v_mad_u32 v81, v26, 7, v7
	v_writelane_b32 v89, s9, 10
	v_cmp_ge_u32_e64 s9, v4, v32
	v_lshlrev_b32_e32 v26, 2, v4
	s_or_b32 s10, s11, s9
	v_writelane_b32 v89, s10, 11
	v_cmp_ge_u32_e64 s10, v4, v30
	s_or_b32 s11, s12, s10
	v_cmp_gt_u32_e64 s12, 2, v34
	v_writelane_b32 v89, s11, 12
	v_cmp_eq_u32_e64 s11, 0, v33
	v_writelane_b32 v89, s38, 13
	v_cmp_gt_u32_e64 s38, 0xe0, v34
	s_delay_alu instid0(VALU_DEP_1) | instskip(SKIP_1) | instid1(VALU_DEP_1)
	v_writelane_b32 v89, s38, 14
	v_cmp_gt_u32_e64 s38, 0xd0, v34
	v_writelane_b32 v89, s38, 15
	v_cmp_gt_u32_e64 s38, 0xc0, v34
	s_delay_alu instid0(VALU_DEP_1) | instskip(SKIP_1) | instid1(VALU_DEP_1)
	v_writelane_b32 v89, s38, 16
	v_cmp_gt_u32_e64 s38, 0xb0, v34
	;; [unrolled: 5-line block ×18, first 2 shown]
	v_writelane_b32 v88, s38, 17
	v_cmp_gt_u32_e64 s38, 64, v35
	s_delay_alu instid0(VALU_DEP_1)
	v_writelane_b32 v88, s38, 18
	s_branch .LBB111_3
.LBB111_2:                              ;   in Loop: Header=BB111_3 Depth=1
	s_wait_xcnt 0x0
	s_or_b32 exec_lo, exec_lo, s38
	v_readlane_b32 s38, v91, 0
	s_add_co_i32 s62, s62, 0x10000
	global_wb scope:SCOPE_DEV
	s_wait_storecnt 0x0
	global_inv scope:SCOPE_DEV
	s_cmp_lt_u32 s62, s38
	s_cbranch_scc0 .LBB111_1225
.LBB111_3:                              ; =>This Loop Header: Depth=1
                                        ;     Child Loop BB111_1094 Depth 2
                                        ;       Child Loop BB111_1096 Depth 3
                                        ;     Child Loop BB111_1131 Depth 2
	v_mov_b32_e32 v2, s62
	v_readlane_b32 s38, v91, 2
	s_clause 0x1
	global_load_b64 v[30:31], v2, s[64:65] scale_offset
	global_load_b64 v[32:33], v2, s[68:69] scale_offset
	s_and_not1_b32 vcc_lo, exec_lo, s38
	s_wait_loadcnt 0x1
	v_add_nc_u64_e32 v[34:35], s[66:67], v[30:31]
	s_delay_alu instid0(VALU_DEP_1)
	v_lshl_add_u64 v[30:31], v[10:11], 2, v[34:35]
	s_cbranch_vccnz .LBB111_13
; %bb.4:                                ;   in Loop: Header=BB111_3 Depth=1
	s_delay_alu instid0(VALU_DEP_1)
	v_lshl_add_u64 v[36:37], v[20:21], 2, v[30:31]
	v_dual_mov_b32 v83, 0 :: v_dual_mov_b32 v82, 0
	s_wait_loadcnt 0x0
	s_barrier_signal -1
	s_barrier_wait -1
	s_wait_xcnt 0x0
	s_mov_b32 s38, exec_lo
	v_readlane_b32 s39, v89, 5
	s_and_b32 s39, s38, s39
	s_delay_alu instid0(SALU_CYCLE_1)
	s_mov_b32 exec_lo, s39
	s_cbranch_execz .LBB111_6
; %bb.5:                                ;   in Loop: Header=BB111_3 Depth=1
	flat_load_b32 v82, v[36:37]
.LBB111_6:                              ;   in Loop: Header=BB111_3 Depth=1
	s_wait_xcnt 0x0
	s_or_b32 exec_lo, exec_lo, s38
	s_wait_loadcnt_dscnt 0x0
	s_barrier_signal -1
	s_barrier_wait -1
	s_mov_b32 s38, exec_lo
	v_readlane_b32 s39, v89, 6
	s_and_b32 s39, s38, s39
	s_delay_alu instid0(SALU_CYCLE_1)
	s_mov_b32 exec_lo, s39
	s_cbranch_execz .LBB111_8
; %bb.7:                                ;   in Loop: Header=BB111_3 Depth=1
	flat_load_b32 v83, v[36:37] offset:64
.LBB111_8:                              ;   in Loop: Header=BB111_3 Depth=1
	s_wait_xcnt 0x0
	s_or_b32 exec_lo, exec_lo, s38
	v_dual_mov_b32 v85, 0 :: v_dual_mov_b32 v84, 0
	s_wait_loadcnt_dscnt 0x0
	s_barrier_signal -1
	s_barrier_wait -1
	s_mov_b32 s38, exec_lo
	v_readlane_b32 s39, v89, 7
	s_and_b32 s39, s38, s39
	s_delay_alu instid0(SALU_CYCLE_1)
	s_mov_b32 exec_lo, s39
	s_cbranch_execz .LBB111_10
; %bb.9:                                ;   in Loop: Header=BB111_3 Depth=1
	flat_load_b32 v84, v[36:37] offset:128
.LBB111_10:                             ;   in Loop: Header=BB111_3 Depth=1
	s_wait_xcnt 0x0
	s_or_b32 exec_lo, exec_lo, s38
	s_wait_loadcnt_dscnt 0x0
	s_barrier_signal -1
	s_barrier_wait -1
	s_mov_b32 s38, exec_lo
	v_readlane_b32 s39, v89, 8
	s_and_b32 s39, s38, s39
	s_delay_alu instid0(SALU_CYCLE_1)
	s_mov_b32 exec_lo, s39
	s_cbranch_execz .LBB111_12
; %bb.11:                               ;   in Loop: Header=BB111_3 Depth=1
	flat_load_b32 v85, v[36:37] offset:192
.LBB111_12:                             ;   in Loop: Header=BB111_3 Depth=1
	s_wait_xcnt 0x0
	s_or_b32 exec_lo, exec_lo, s38
.LBB111_13:                             ;   in Loop: Header=BB111_3 Depth=1
	v_add_nc_u64_e32 v[34:35], s[76:77], v[34:35]
	s_and_not1_b32 vcc_lo, exec_lo, s85
	s_mov_b32 s38, -1
	s_delay_alu instid0(VALU_DEP_1)
	v_add_nc_u64_e32 v[34:35], v[34:35], v[26:27]
	s_cbranch_vccnz .LBB111_24
; %bb.14:                               ;   in Loop: Header=BB111_3 Depth=1
	s_wait_xcnt 0x0
	s_and_saveexec_b32 s38, s1
	s_delay_alu instid0(SALU_CYCLE_1)
	s_xor_b32 s38, exec_lo, s38
	s_cbranch_execnz .LBB111_1152
; %bb.15:                               ;   in Loop: Header=BB111_3 Depth=1
	s_and_not1_saveexec_b32 s38, s38
	s_cbranch_execnz .LBB111_1155
.LBB111_16:                             ;   in Loop: Header=BB111_3 Depth=1
	s_or_b32 exec_lo, exec_lo, s38
	s_and_saveexec_b32 s38, s8
	s_delay_alu instid0(SALU_CYCLE_1)
	s_xor_b32 s38, exec_lo, s38
	s_cbranch_execnz .LBB111_1156
.LBB111_17:                             ;   in Loop: Header=BB111_3 Depth=1
	s_and_not1_saveexec_b32 s38, s38
	s_cbranch_execnz .LBB111_1159
.LBB111_18:                             ;   in Loop: Header=BB111_3 Depth=1
	s_or_b32 exec_lo, exec_lo, s38
	s_and_saveexec_b32 s38, s9
	s_delay_alu instid0(SALU_CYCLE_1)
	s_xor_b32 s38, exec_lo, s38
	s_cbranch_execnz .LBB111_1160
.LBB111_19:                             ;   in Loop: Header=BB111_3 Depth=1
	s_and_not1_saveexec_b32 s38, s38
	s_cbranch_execnz .LBB111_1163
.LBB111_20:                             ;   in Loop: Header=BB111_3 Depth=1
	s_or_b32 exec_lo, exec_lo, s38
	s_and_saveexec_b32 s38, s10
	s_delay_alu instid0(SALU_CYCLE_1)
	s_xor_b32 s38, exec_lo, s38
	s_cbranch_execnz .LBB111_1164
.LBB111_21:                             ;   in Loop: Header=BB111_3 Depth=1
	s_and_not1_saveexec_b32 s38, s38
	s_cbranch_execz .LBB111_23
.LBB111_22:                             ;   in Loop: Header=BB111_3 Depth=1
	v_lshl_add_u64 v[36:37], v[18:19], 2, v[34:35]
	flat_load_b32 v2, v[36:37]
	s_wait_loadcnt_dscnt 0x0
	v_xor_b32_e32 v2, 0x80000000, v2
	ds_store_b32 v79, v2
.LBB111_23:                             ;   in Loop: Header=BB111_3 Depth=1
	s_or_b32 exec_lo, exec_lo, s38
	s_mov_b32 s38, 0
.LBB111_24:                             ;   in Loop: Header=BB111_3 Depth=1
	s_delay_alu instid0(SALU_CYCLE_1)
	s_and_b32 vcc_lo, exec_lo, s38
	s_cbranch_vccz .LBB111_50
; %bb.25:                               ;   in Loop: Header=BB111_3 Depth=1
	s_wait_xcnt 0x0
	s_mov_b32 s38, exec_lo
	v_readlane_b32 s39, v89, 9
	s_and_b32 s39, s38, s39
	s_delay_alu instid0(SALU_CYCLE_1)
	s_xor_b32 s38, s39, s38
	s_mov_b32 exec_lo, s39
	s_cbranch_execz .LBB111_29
; %bb.26:                               ;   in Loop: Header=BB111_3 Depth=1
	s_mov_b32 s39, exec_lo
	v_readlane_b32 s61, v88, 15
	s_and_b32 s61, s39, s61
	s_delay_alu instid0(SALU_CYCLE_1)
	s_mov_b32 exec_lo, s61
; %bb.27:                               ;   in Loop: Header=BB111_3 Depth=1
	ds_store_b32 v80, v3
; %bb.28:                               ;   in Loop: Header=BB111_3 Depth=1
	s_or_b32 exec_lo, exec_lo, s39
.LBB111_29:                             ;   in Loop: Header=BB111_3 Depth=1
	s_and_not1_saveexec_b32 s38, s38
	s_cbranch_execz .LBB111_31
; %bb.30:                               ;   in Loop: Header=BB111_3 Depth=1
	v_lshl_add_u64 v[36:37], v[12:13], 2, v[34:35]
	flat_load_b32 v2, v[36:37]
	s_wait_loadcnt_dscnt 0x0
	v_xor_b32_e32 v2, 0x80000000, v2
	ds_store_b32 v80, v2
.LBB111_31:                             ;   in Loop: Header=BB111_3 Depth=1
	s_or_b32 exec_lo, exec_lo, s38
	s_delay_alu instid0(SALU_CYCLE_1) | instskip(SKIP_2) | instid1(SALU_CYCLE_1)
	s_mov_b32 s38, exec_lo
	v_readlane_b32 s39, v89, 10
	s_and_b32 s39, s38, s39
	s_xor_b32 s38, s39, s38
	s_mov_b32 exec_lo, s39
	s_cbranch_execz .LBB111_35
; %bb.32:                               ;   in Loop: Header=BB111_3 Depth=1
	s_mov_b32 s39, exec_lo
	v_readlane_b32 s61, v88, 16
	s_and_b32 s61, s39, s61
	s_delay_alu instid0(SALU_CYCLE_1)
	s_mov_b32 exec_lo, s61
; %bb.33:                               ;   in Loop: Header=BB111_3 Depth=1
	ds_store_b32 v77, v3
; %bb.34:                               ;   in Loop: Header=BB111_3 Depth=1
	s_or_b32 exec_lo, exec_lo, s39
.LBB111_35:                             ;   in Loop: Header=BB111_3 Depth=1
	s_and_not1_saveexec_b32 s38, s38
	s_cbranch_execz .LBB111_37
; %bb.36:                               ;   in Loop: Header=BB111_3 Depth=1
	v_lshl_add_u64 v[36:37], v[14:15], 2, v[34:35]
	flat_load_b32 v2, v[36:37]
	s_wait_loadcnt_dscnt 0x0
	v_xor_b32_e32 v2, 0x80000000, v2
	ds_store_b32 v77, v2
.LBB111_37:                             ;   in Loop: Header=BB111_3 Depth=1
	s_or_b32 exec_lo, exec_lo, s38
	s_delay_alu instid0(SALU_CYCLE_1) | instskip(SKIP_2) | instid1(SALU_CYCLE_1)
	s_mov_b32 s38, exec_lo
	v_readlane_b32 s39, v89, 11
	s_and_b32 s39, s38, s39
	;; [unrolled: 28-line block ×3, first 2 shown]
	s_xor_b32 s38, s39, s38
	s_mov_b32 exec_lo, s39
	s_cbranch_execz .LBB111_47
; %bb.44:                               ;   in Loop: Header=BB111_3 Depth=1
	s_mov_b32 s39, exec_lo
	v_readlane_b32 s61, v88, 18
	s_and_b32 s61, s39, s61
	s_delay_alu instid0(SALU_CYCLE_1)
	s_mov_b32 exec_lo, s61
; %bb.45:                               ;   in Loop: Header=BB111_3 Depth=1
	ds_store_b32 v79, v3
; %bb.46:                               ;   in Loop: Header=BB111_3 Depth=1
	s_or_b32 exec_lo, exec_lo, s39
                                        ; implicit-def: $vgpr34_vgpr35
.LBB111_47:                             ;   in Loop: Header=BB111_3 Depth=1
	s_and_not1_saveexec_b32 s38, s38
	s_cbranch_execz .LBB111_49
; %bb.48:                               ;   in Loop: Header=BB111_3 Depth=1
	v_lshl_add_u64 v[34:35], v[18:19], 2, v[34:35]
	flat_load_b32 v2, v[34:35]
	s_wait_loadcnt_dscnt 0x0
	v_xor_b32_e32 v2, 0x80000000, v2
	ds_store_b32 v79, v2
.LBB111_49:                             ;   in Loop: Header=BB111_3 Depth=1
	s_or_b32 exec_lo, exec_lo, s38
.LBB111_50:                             ;   in Loop: Header=BB111_3 Depth=1
	s_delay_alu instid0(SALU_CYCLE_1)
	s_and_not1_b32 vcc_lo, exec_lo, s86
	s_wait_loadcnt_dscnt 0x0
	s_barrier_signal -1
	s_barrier_wait -1
	s_cbranch_vccnz .LBB111_1088
; %bb.51:                               ;   in Loop: Header=BB111_3 Depth=1
	s_wait_xcnt 0x0
	s_and_saveexec_b32 s38, s11
	s_cbranch_execz .LBB111_53
; %bb.52:                               ;   in Loop: Header=BB111_3 Depth=1
	ds_load_b32 v29, v3 offset:16376
	ds_store_b32 v3, v28 offset:16380
	s_wait_dscnt 0x1
	ds_store_b64 v3, v[28:29] offset:16120
.LBB111_53:                             ;   in Loop: Header=BB111_3 Depth=1
	s_or_b32 exec_lo, exec_lo, s38
	v_mov_b32_e32 v2, 0
	s_wait_dscnt 0x0
	s_barrier_signal -1
	s_barrier_wait -1
	global_wb scope:SCOPE_DEV
	s_wait_storecnt 0x0
	global_inv scope:SCOPE_DEV
	s_and_saveexec_b32 s38, s2
	s_cbranch_execz .LBB111_57
; %bb.54:                               ;   in Loop: Header=BB111_3 Depth=1
	ds_load_b32 v2, v46 offset:16112
	ds_load_b32 v29, v48 offset:16376
	s_wait_dscnt 0x0
	v_fma_f32 v2, v2, v29, 0
	s_and_saveexec_b32 s39, s12
	s_cbranch_execz .LBB111_56
; %bb.55:                               ;   in Loop: Header=BB111_3 Depth=1
	ds_load_b32 v29, v7 offset:16368
	ds_load_b32 v34, v3 offset:16380
	s_wait_dscnt 0x0
	v_fmac_f32_e32 v2, v29, v34
.LBB111_56:                             ;   in Loop: Header=BB111_3 Depth=1
	s_or_b32 exec_lo, exec_lo, s39
.LBB111_57:                             ;   in Loop: Header=BB111_3 Depth=1
	s_delay_alu instid0(SALU_CYCLE_1)
	s_or_b32 exec_lo, exec_lo, s38
	s_and_saveexec_b32 s38, s87
; %bb.58:                               ;   in Loop: Header=BB111_3 Depth=1
	s_delay_alu instid0(VALU_DEP_1)
	v_xor_b32_e32 v29, 0x80000000, v2
	ds_store_b32 v44, v29
; %bb.59:                               ;   in Loop: Header=BB111_3 Depth=1
	s_or_b32 exec_lo, exec_lo, s38
	s_wait_loadcnt_dscnt 0x0
	s_barrier_signal -1
	s_barrier_wait -1
	s_and_saveexec_b32 s38, s88
	s_cbranch_execz .LBB111_61
; %bb.60:                               ;   in Loop: Header=BB111_3 Depth=1
	ds_load_b32 v29, v3 offset:15856
	ds_load_b32 v34, v44
	s_wait_dscnt 0x0
	v_fma_f32 v2, -v29, v34, v2
.LBB111_61:                             ;   in Loop: Header=BB111_3 Depth=1
	s_or_b32 exec_lo, exec_lo, s38
	s_barrier_signal -1
	s_barrier_wait -1
	s_and_saveexec_b32 s38, s88
; %bb.62:                               ;   in Loop: Header=BB111_3 Depth=1
	v_xor_b32_e32 v29, 0x80000000, v2
	ds_store_b32 v44, v29
; %bb.63:                               ;   in Loop: Header=BB111_3 Depth=1
	s_or_b32 exec_lo, exec_lo, s38
	s_wait_dscnt 0x0
	s_barrier_signal -1
	s_barrier_wait -1
	s_barrier_signal -1
	s_barrier_wait -1
	s_and_saveexec_b32 s38, s2
; %bb.64:                               ;   in Loop: Header=BB111_3 Depth=1
	ds_store_b32 v49, v2 offset:16368
; %bb.65:                               ;   in Loop: Header=BB111_3 Depth=1
	s_or_b32 exec_lo, exec_lo, s38
	s_wait_dscnt 0x0
	s_barrier_signal -1
	s_barrier_wait -1
	s_barrier_signal -1
	s_barrier_wait -1
	s_and_saveexec_b32 s38, s89
	s_cbranch_execz .LBB111_67
; %bb.66:                               ;   in Loop: Header=BB111_3 Depth=1
	ds_load_b32 v2, v9 offset:16112
	s_wait_dscnt 0x0
	ds_store_b32 v7, v2 offset:15608
	ds_load_b32 v2, v9 offset:16116
	s_wait_dscnt 0x0
	ds_store_b32 v7, v2 offset:15864
.LBB111_67:                             ;   in Loop: Header=BB111_3 Depth=1
	s_or_b32 exec_lo, exec_lo, s38
	s_wait_dscnt 0x0
	s_barrier_signal -1
	s_barrier_wait -1
	s_and_saveexec_b32 s38, s11
	s_cbranch_execz .LBB111_69
; %bb.68:                               ;   in Loop: Header=BB111_3 Depth=1
	ds_load_b32 v29, v3 offset:15856
	ds_store_b32 v3, v28 offset:15860
	s_wait_dscnt 0x1
	ds_store_b64 v3, v[28:29] offset:15600
.LBB111_69:                             ;   in Loop: Header=BB111_3 Depth=1
	s_or_b32 exec_lo, exec_lo, s38
	v_mov_b32_e32 v2, 0
	s_wait_dscnt 0x0
	s_barrier_signal -1
	s_barrier_wait -1
	global_wb scope:SCOPE_DEV
	s_wait_storecnt 0x0
	global_inv scope:SCOPE_DEV
	s_and_saveexec_b32 s61, s4
	s_cbranch_execz .LBB111_75
; %bb.70:                               ;   in Loop: Header=BB111_3 Depth=1
	ds_load_b32 v2, v52 offset:15584
	ds_load_b32 v29, v53 offset:16368
	s_wait_dscnt 0x0
	v_fma_f32 v2, v2, v29, 0
	s_and_saveexec_b32 s38, s13
	s_cbranch_execnz .LBB111_1175
; %bb.71:                               ;   in Loop: Header=BB111_3 Depth=1
	s_or_b32 exec_lo, exec_lo, s38
	s_and_saveexec_b32 s38, s14
	s_cbranch_execnz .LBB111_1176
.LBB111_72:                             ;   in Loop: Header=BB111_3 Depth=1
	s_or_b32 exec_lo, exec_lo, s38
	s_and_saveexec_b32 s38, s2
	s_cbranch_execz .LBB111_74
.LBB111_73:                             ;   in Loop: Header=BB111_3 Depth=1
	ds_load_b32 v29, v38 offset:16352
	ds_load_b32 v34, v3 offset:16380
	s_wait_dscnt 0x0
	v_fmac_f32_e32 v2, v29, v34
.LBB111_74:                             ;   in Loop: Header=BB111_3 Depth=1
	s_or_b32 exec_lo, exec_lo, s38
.LBB111_75:                             ;   in Loop: Header=BB111_3 Depth=1
	s_delay_alu instid0(SALU_CYCLE_1)
	s_or_b32 exec_lo, exec_lo, s61
	s_and_saveexec_b32 s38, s90
; %bb.76:                               ;   in Loop: Header=BB111_3 Depth=1
	s_delay_alu instid0(VALU_DEP_1)
	v_xor_b32_e32 v29, 0x80000000, v2
	ds_store_b32 v50, v29
; %bb.77:                               ;   in Loop: Header=BB111_3 Depth=1
	s_or_b32 exec_lo, exec_lo, s38
	s_wait_loadcnt_dscnt 0x0
	s_barrier_signal -1
	s_barrier_wait -1
	s_and_saveexec_b32 s38, s91
	s_cbranch_execz .LBB111_79
; %bb.78:                               ;   in Loop: Header=BB111_3 Depth=1
	ds_load_b32 v29, v52 offset:15328
	ds_load_b32 v34, v50
	s_wait_dscnt 0x0
	v_fma_f32 v2, -v29, v34, v2
.LBB111_79:                             ;   in Loop: Header=BB111_3 Depth=1
	s_or_b32 exec_lo, exec_lo, s38
	s_barrier_signal -1
	s_barrier_wait -1
	s_and_saveexec_b32 s38, s92
; %bb.80:                               ;   in Loop: Header=BB111_3 Depth=1
	v_xor_b32_e32 v29, 0x80000000, v2
	ds_store_b32 v50, v29
; %bb.81:                               ;   in Loop: Header=BB111_3 Depth=1
	s_or_b32 exec_lo, exec_lo, s38
	s_wait_dscnt 0x0
	s_barrier_signal -1
	s_barrier_wait -1
	s_and_saveexec_b32 s38, s93
	s_cbranch_execz .LBB111_83
; %bb.82:                               ;   in Loop: Header=BB111_3 Depth=1
	ds_load_b32 v29, v52 offset:15072
	ds_load_b32 v34, v50
	s_wait_dscnt 0x0
	v_fma_f32 v2, -v29, v34, v2
.LBB111_83:                             ;   in Loop: Header=BB111_3 Depth=1
	s_or_b32 exec_lo, exec_lo, s38
	s_barrier_signal -1
	s_barrier_wait -1
	s_and_saveexec_b32 s38, s94
; %bb.84:                               ;   in Loop: Header=BB111_3 Depth=1
	v_xor_b32_e32 v29, 0x80000000, v2
	ds_store_b32 v50, v29
; %bb.85:                               ;   in Loop: Header=BB111_3 Depth=1
	s_or_b32 exec_lo, exec_lo, s38
	s_wait_dscnt 0x0
	;; [unrolled: 20-line block ×3, first 2 shown]
	s_barrier_signal -1
	s_barrier_wait -1
	s_barrier_signal -1
	s_barrier_wait -1
	s_and_saveexec_b32 s38, s4
; %bb.90:                               ;   in Loop: Header=BB111_3 Depth=1
	ds_store_b32 v55, v2 offset:16352
; %bb.91:                               ;   in Loop: Header=BB111_3 Depth=1
	s_or_b32 exec_lo, exec_lo, s38
	s_wait_dscnt 0x0
	s_barrier_signal -1
	s_barrier_wait -1
	s_barrier_signal -1
	s_barrier_wait -1
	s_and_saveexec_b32 s38, s96
	s_cbranch_execz .LBB111_93
; %bb.92:                               ;   in Loop: Header=BB111_3 Depth=1
	ds_load_b32 v2, v39 offset:15584
	s_wait_dscnt 0x0
	ds_store_b32 v40, v2 offset:14576
	ds_load_b32 v2, v39 offset:15588
	s_wait_dscnt 0x0
	ds_store_b32 v40, v2 offset:14832
	;; [unrolled: 3-line block ×4, first 2 shown]
.LBB111_93:                             ;   in Loop: Header=BB111_3 Depth=1
	s_or_b32 exec_lo, exec_lo, s38
	s_wait_dscnt 0x0
	s_barrier_signal -1
	s_barrier_wait -1
	s_and_saveexec_b32 s38, s11
	s_cbranch_execz .LBB111_95
; %bb.94:                               ;   in Loop: Header=BB111_3 Depth=1
	ds_load_b32 v29, v3 offset:15336
	ds_store_b32 v3, v28 offset:15340
	s_wait_dscnt 0x1
	ds_store_b64 v3, v[28:29] offset:15080
.LBB111_95:                             ;   in Loop: Header=BB111_3 Depth=1
	s_or_b32 exec_lo, exec_lo, s38
	v_mov_b32_e32 v2, 0
	s_wait_dscnt 0x0
	s_barrier_signal -1
	s_barrier_wait -1
	global_wb scope:SCOPE_DEV
	s_wait_storecnt 0x0
	global_inv scope:SCOPE_DEV
	s_and_saveexec_b32 s38, s2
	s_cbranch_execz .LBB111_99
; %bb.96:                               ;   in Loop: Header=BB111_3 Depth=1
	ds_load_b32 v2, v46 offset:15072
	ds_load_b32 v29, v48 offset:15336
	s_wait_dscnt 0x0
	v_fma_f32 v2, v2, v29, 0
	s_and_saveexec_b32 s39, s12
	s_cbranch_execz .LBB111_98
; %bb.97:                               ;   in Loop: Header=BB111_3 Depth=1
	ds_load_b32 v29, v40 offset:15328
	ds_load_b32 v34, v3 offset:15340
	s_wait_dscnt 0x0
	v_fmac_f32_e32 v2, v29, v34
.LBB111_98:                             ;   in Loop: Header=BB111_3 Depth=1
	s_or_b32 exec_lo, exec_lo, s39
.LBB111_99:                             ;   in Loop: Header=BB111_3 Depth=1
	s_delay_alu instid0(SALU_CYCLE_1)
	s_or_b32 exec_lo, exec_lo, s38
	s_and_saveexec_b32 s38, s87
; %bb.100:                              ;   in Loop: Header=BB111_3 Depth=1
	s_delay_alu instid0(VALU_DEP_1)
	v_xor_b32_e32 v29, 0x80000000, v2
	ds_store_b32 v44, v29
; %bb.101:                              ;   in Loop: Header=BB111_3 Depth=1
	s_or_b32 exec_lo, exec_lo, s38
	s_wait_loadcnt_dscnt 0x0
	s_barrier_signal -1
	s_barrier_wait -1
	s_and_saveexec_b32 s38, s88
	s_cbranch_execz .LBB111_103
; %bb.102:                              ;   in Loop: Header=BB111_3 Depth=1
	ds_load_b32 v29, v3 offset:14816
	ds_load_b32 v34, v44
	s_wait_dscnt 0x0
	v_fma_f32 v2, -v29, v34, v2
.LBB111_103:                            ;   in Loop: Header=BB111_3 Depth=1
	s_or_b32 exec_lo, exec_lo, s38
	s_barrier_signal -1
	s_barrier_wait -1
	s_and_saveexec_b32 s38, s88
; %bb.104:                              ;   in Loop: Header=BB111_3 Depth=1
	v_xor_b32_e32 v29, 0x80000000, v2
	ds_store_b32 v44, v29
; %bb.105:                              ;   in Loop: Header=BB111_3 Depth=1
	s_or_b32 exec_lo, exec_lo, s38
	s_wait_dscnt 0x0
	s_barrier_signal -1
	s_barrier_wait -1
	s_barrier_signal -1
	s_barrier_wait -1
	s_and_saveexec_b32 s38, s2
; %bb.106:                              ;   in Loop: Header=BB111_3 Depth=1
	ds_store_b32 v49, v2 offset:15328
; %bb.107:                              ;   in Loop: Header=BB111_3 Depth=1
	s_or_b32 exec_lo, exec_lo, s38
	s_wait_dscnt 0x0
	s_barrier_signal -1
	s_barrier_wait -1
	s_barrier_signal -1
	s_barrier_wait -1
	s_and_saveexec_b32 s38, s89
	s_cbranch_execz .LBB111_109
; %bb.108:                              ;   in Loop: Header=BB111_3 Depth=1
	ds_load_b32 v2, v41 offset:15072
	s_wait_dscnt 0x0
	ds_store_b32 v40, v2 offset:14568
	ds_load_b32 v2, v41 offset:15076
	s_wait_dscnt 0x0
	ds_store_b32 v40, v2 offset:14824
.LBB111_109:                            ;   in Loop: Header=BB111_3 Depth=1
	s_or_b32 exec_lo, exec_lo, s38
	s_wait_dscnt 0x0
	s_barrier_signal -1
	s_barrier_wait -1
	s_and_saveexec_b32 s38, s11
	s_cbranch_execz .LBB111_111
; %bb.110:                              ;   in Loop: Header=BB111_3 Depth=1
	ds_load_b32 v29, v3 offset:14816
	ds_store_b32 v3, v28 offset:14820
	s_wait_dscnt 0x1
	ds_store_b64 v3, v[28:29] offset:14560
.LBB111_111:                            ;   in Loop: Header=BB111_3 Depth=1
	s_or_b32 exec_lo, exec_lo, s38
	v_mov_b32_e32 v2, 0
	s_wait_dscnt 0x0
	s_barrier_signal -1
	s_barrier_wait -1
	global_wb scope:SCOPE_DEV
	s_wait_storecnt 0x0
	global_inv scope:SCOPE_DEV
	s_and_saveexec_b32 s61, s5
	s_cbranch_execz .LBB111_121
; %bb.112:                              ;   in Loop: Header=BB111_3 Depth=1
	ds_load_b32 v2, v56 offset:14528
	ds_load_b32 v29, v59 offset:16352
	s_wait_dscnt 0x0
	v_fma_f32 v2, v2, v29, 0
	s_and_saveexec_b32 s38, s15
	s_cbranch_execnz .LBB111_1177
; %bb.113:                              ;   in Loop: Header=BB111_3 Depth=1
	s_or_b32 exec_lo, exec_lo, s38
	s_and_saveexec_b32 s38, s16
	s_cbranch_execnz .LBB111_1178
.LBB111_114:                            ;   in Loop: Header=BB111_3 Depth=1
	s_or_b32 exec_lo, exec_lo, s38
	s_and_saveexec_b32 s38, s17
	s_cbranch_execnz .LBB111_1179
.LBB111_115:                            ;   in Loop: Header=BB111_3 Depth=1
	s_or_b32 exec_lo, exec_lo, s38
	s_and_saveexec_b32 s38, s18
	s_cbranch_execnz .LBB111_1180
.LBB111_116:                            ;   in Loop: Header=BB111_3 Depth=1
	s_or_b32 exec_lo, exec_lo, s38
	s_and_saveexec_b32 s38, s19
	s_cbranch_execnz .LBB111_1181
.LBB111_117:                            ;   in Loop: Header=BB111_3 Depth=1
	s_or_b32 exec_lo, exec_lo, s38
	s_and_saveexec_b32 s38, s4
	s_cbranch_execnz .LBB111_1182
.LBB111_118:                            ;   in Loop: Header=BB111_3 Depth=1
	s_or_b32 exec_lo, exec_lo, s38
	s_and_saveexec_b32 s38, s14
	s_cbranch_execz .LBB111_120
.LBB111_119:                            ;   in Loop: Header=BB111_3 Depth=1
	ds_load_b32 v29, v42 offset:16320
	ds_load_b32 v34, v3 offset:16380
	s_wait_dscnt 0x0
	v_fmac_f32_e32 v2, v29, v34
.LBB111_120:                            ;   in Loop: Header=BB111_3 Depth=1
	s_or_b32 exec_lo, exec_lo, s38
.LBB111_121:                            ;   in Loop: Header=BB111_3 Depth=1
	s_delay_alu instid0(SALU_CYCLE_1)
	s_or_b32 exec_lo, exec_lo, s61
	s_and_saveexec_b32 s38, s97
; %bb.122:                              ;   in Loop: Header=BB111_3 Depth=1
	s_delay_alu instid0(VALU_DEP_1)
	v_xor_b32_e32 v29, 0x80000000, v2
	ds_store_b32 v57, v29
; %bb.123:                              ;   in Loop: Header=BB111_3 Depth=1
	s_or_b32 exec_lo, exec_lo, s38
	s_wait_loadcnt_dscnt 0x0
	s_barrier_signal -1
	s_barrier_wait -1
	s_and_saveexec_b32 s38, s98
	s_cbranch_execz .LBB111_125
; %bb.124:                              ;   in Loop: Header=BB111_3 Depth=1
	ds_load_b32 v29, v56 offset:14272
	ds_load_b32 v34, v57
	s_wait_dscnt 0x0
	v_fma_f32 v2, -v29, v34, v2
.LBB111_125:                            ;   in Loop: Header=BB111_3 Depth=1
	s_or_b32 exec_lo, exec_lo, s38
	s_barrier_signal -1
	s_barrier_wait -1
	s_and_saveexec_b32 s38, s99
; %bb.126:                              ;   in Loop: Header=BB111_3 Depth=1
	v_xor_b32_e32 v29, 0x80000000, v2
	ds_store_b32 v57, v29
; %bb.127:                              ;   in Loop: Header=BB111_3 Depth=1
	s_or_b32 exec_lo, exec_lo, s38
	s_wait_dscnt 0x0
	s_barrier_signal -1
	s_barrier_wait -1
	s_and_saveexec_b32 s38, s100
	s_cbranch_execz .LBB111_129
; %bb.128:                              ;   in Loop: Header=BB111_3 Depth=1
	ds_load_b32 v29, v56 offset:14016
	ds_load_b32 v34, v57
	s_wait_dscnt 0x0
	v_fma_f32 v2, -v29, v34, v2
.LBB111_129:                            ;   in Loop: Header=BB111_3 Depth=1
	s_or_b32 exec_lo, exec_lo, s38
	s_barrier_signal -1
	s_barrier_wait -1
	s_and_saveexec_b32 s38, s101
; %bb.130:                              ;   in Loop: Header=BB111_3 Depth=1
	v_xor_b32_e32 v29, 0x80000000, v2
	ds_store_b32 v57, v29
; %bb.131:                              ;   in Loop: Header=BB111_3 Depth=1
	s_or_b32 exec_lo, exec_lo, s38
	s_wait_dscnt 0x0
	;; [unrolled: 20-line block ×3, first 2 shown]
	s_barrier_signal -1
	s_barrier_wait -1
	s_and_saveexec_b32 s38, s104
	s_cbranch_execz .LBB111_137
; %bb.136:                              ;   in Loop: Header=BB111_3 Depth=1
	ds_load_b32 v29, v56 offset:13504
	ds_load_b32 v34, v57
	s_wait_dscnt 0x0
	v_fma_f32 v2, -v29, v34, v2
.LBB111_137:                            ;   in Loop: Header=BB111_3 Depth=1
	s_or_b32 exec_lo, exec_lo, s38
	s_barrier_signal -1
	s_barrier_wait -1
	s_and_saveexec_b32 s38, vcc_hi
; %bb.138:                              ;   in Loop: Header=BB111_3 Depth=1
	v_xor_b32_e32 v29, 0x80000000, v2
	ds_store_b32 v57, v29
; %bb.139:                              ;   in Loop: Header=BB111_3 Depth=1
	s_or_b32 exec_lo, exec_lo, s38
	s_wait_dscnt 0x0
	s_barrier_signal -1
	s_barrier_wait -1
	s_and_saveexec_b32 s38, s31
	s_cbranch_execz .LBB111_141
; %bb.140:                              ;   in Loop: Header=BB111_3 Depth=1
	ds_load_b32 v29, v56 offset:13248
	ds_load_b32 v34, v57
	s_wait_dscnt 0x0
	v_fma_f32 v2, -v29, v34, v2
.LBB111_141:                            ;   in Loop: Header=BB111_3 Depth=1
	s_or_b32 exec_lo, exec_lo, s38
	s_barrier_signal -1
	s_barrier_wait -1
	s_and_saveexec_b32 s38, s33
; %bb.142:                              ;   in Loop: Header=BB111_3 Depth=1
	v_xor_b32_e32 v29, 0x80000000, v2
	ds_store_b32 v57, v29
; %bb.143:                              ;   in Loop: Header=BB111_3 Depth=1
	s_or_b32 exec_lo, exec_lo, s38
	s_wait_dscnt 0x0
	s_barrier_signal -1
	s_barrier_wait -1
	s_and_saveexec_b32 s38, s34
	s_cbranch_execz .LBB111_145
; %bb.144:                              ;   in Loop: Header=BB111_3 Depth=1
	ds_load_b32 v29, v56 offset:12992
	ds_load_b32 v34, v57
	s_wait_dscnt 0x0
	v_fma_f32 v2, -v29, v34, v2
.LBB111_145:                            ;   in Loop: Header=BB111_3 Depth=1
	s_or_b32 exec_lo, exec_lo, s38
	s_barrier_signal -1
	s_barrier_wait -1
	s_and_saveexec_b32 s38, s35
	;; [unrolled: 20-line block ×3, first 2 shown]
; %bb.150:                              ;   in Loop: Header=BB111_3 Depth=1
	v_xor_b32_e32 v29, 0x80000000, v2
	ds_store_b32 v57, v29
; %bb.151:                              ;   in Loop: Header=BB111_3 Depth=1
	s_or_b32 exec_lo, exec_lo, s38
	s_wait_dscnt 0x0
	s_barrier_signal -1
	s_barrier_wait -1
	s_barrier_signal -1
	s_barrier_wait -1
	s_and_saveexec_b32 s38, s5
; %bb.152:                              ;   in Loop: Header=BB111_3 Depth=1
	ds_store_b32 v60, v2 offset:16320
; %bb.153:                              ;   in Loop: Header=BB111_3 Depth=1
	s_or_b32 exec_lo, exec_lo, s38
	s_wait_dscnt 0x0
	s_barrier_signal -1
	s_barrier_wait -1
	s_barrier_signal -1
	s_barrier_wait -1
	s_and_saveexec_b32 s38, s37
	s_cbranch_execz .LBB111_155
; %bb.154:                              ;   in Loop: Header=BB111_3 Depth=1
	ds_load_b32 v2, v43 offset:14528
	s_wait_dscnt 0x0
	ds_store_b32 v45, v2 offset:12512
	ds_load_b32 v2, v43 offset:14532
	s_wait_dscnt 0x0
	ds_store_b32 v45, v2 offset:12768
	;; [unrolled: 3-line block ×8, first 2 shown]
.LBB111_155:                            ;   in Loop: Header=BB111_3 Depth=1
	s_or_b32 exec_lo, exec_lo, s38
	s_wait_dscnt 0x0
	s_barrier_signal -1
	s_barrier_wait -1
	s_and_saveexec_b32 s38, s11
	s_cbranch_execz .LBB111_157
; %bb.156:                              ;   in Loop: Header=BB111_3 Depth=1
	ds_load_b32 v29, v3 offset:14296
	ds_store_b32 v3, v28 offset:14300
	s_wait_dscnt 0x1
	ds_store_b64 v3, v[28:29] offset:14040
.LBB111_157:                            ;   in Loop: Header=BB111_3 Depth=1
	s_or_b32 exec_lo, exec_lo, s38
	v_mov_b32_e32 v2, 0
	s_wait_dscnt 0x0
	s_barrier_signal -1
	s_barrier_wait -1
	global_wb scope:SCOPE_DEV
	s_wait_storecnt 0x0
	global_inv scope:SCOPE_DEV
	s_and_saveexec_b32 s38, s2
	s_cbranch_execz .LBB111_161
; %bb.158:                              ;   in Loop: Header=BB111_3 Depth=1
	ds_load_b32 v2, v46 offset:14032
	ds_load_b32 v29, v48 offset:14296
	s_wait_dscnt 0x0
	v_fma_f32 v2, v2, v29, 0
	s_and_saveexec_b32 s39, s12
	s_cbranch_execz .LBB111_160
; %bb.159:                              ;   in Loop: Header=BB111_3 Depth=1
	ds_load_b32 v29, v45 offset:14288
	ds_load_b32 v34, v3 offset:14300
	s_wait_dscnt 0x0
	v_fmac_f32_e32 v2, v29, v34
.LBB111_160:                            ;   in Loop: Header=BB111_3 Depth=1
	s_or_b32 exec_lo, exec_lo, s39
.LBB111_161:                            ;   in Loop: Header=BB111_3 Depth=1
	s_delay_alu instid0(SALU_CYCLE_1)
	s_or_b32 exec_lo, exec_lo, s38
	s_and_saveexec_b32 s38, s87
; %bb.162:                              ;   in Loop: Header=BB111_3 Depth=1
	s_delay_alu instid0(VALU_DEP_1)
	v_xor_b32_e32 v29, 0x80000000, v2
	ds_store_b32 v44, v29
; %bb.163:                              ;   in Loop: Header=BB111_3 Depth=1
	s_or_b32 exec_lo, exec_lo, s38
	s_wait_loadcnt_dscnt 0x0
	s_barrier_signal -1
	s_barrier_wait -1
	s_and_saveexec_b32 s38, s88
	s_cbranch_execz .LBB111_165
; %bb.164:                              ;   in Loop: Header=BB111_3 Depth=1
	ds_load_b32 v29, v3 offset:13776
	ds_load_b32 v34, v44
	s_wait_dscnt 0x0
	v_fma_f32 v2, -v29, v34, v2
.LBB111_165:                            ;   in Loop: Header=BB111_3 Depth=1
	s_or_b32 exec_lo, exec_lo, s38
	s_barrier_signal -1
	s_barrier_wait -1
	s_and_saveexec_b32 s38, s88
; %bb.166:                              ;   in Loop: Header=BB111_3 Depth=1
	v_xor_b32_e32 v29, 0x80000000, v2
	ds_store_b32 v44, v29
; %bb.167:                              ;   in Loop: Header=BB111_3 Depth=1
	s_or_b32 exec_lo, exec_lo, s38
	s_wait_dscnt 0x0
	s_barrier_signal -1
	s_barrier_wait -1
	s_barrier_signal -1
	s_barrier_wait -1
	s_and_saveexec_b32 s38, s2
; %bb.168:                              ;   in Loop: Header=BB111_3 Depth=1
	ds_store_b32 v49, v2 offset:14288
; %bb.169:                              ;   in Loop: Header=BB111_3 Depth=1
	s_or_b32 exec_lo, exec_lo, s38
	s_wait_dscnt 0x0
	s_barrier_signal -1
	s_barrier_wait -1
	s_barrier_signal -1
	s_barrier_wait -1
	s_and_saveexec_b32 s38, s89
	s_cbranch_execz .LBB111_171
; %bb.170:                              ;   in Loop: Header=BB111_3 Depth=1
	ds_load_b32 v2, v47 offset:14032
	s_wait_dscnt 0x0
	ds_store_b32 v45, v2 offset:13528
	ds_load_b32 v2, v47 offset:14036
	s_wait_dscnt 0x0
	ds_store_b32 v45, v2 offset:13784
.LBB111_171:                            ;   in Loop: Header=BB111_3 Depth=1
	s_or_b32 exec_lo, exec_lo, s38
	s_wait_dscnt 0x0
	s_barrier_signal -1
	s_barrier_wait -1
	s_and_saveexec_b32 s38, s11
	s_cbranch_execz .LBB111_173
; %bb.172:                              ;   in Loop: Header=BB111_3 Depth=1
	ds_load_b32 v29, v3 offset:13776
	ds_store_b32 v3, v28 offset:13780
	s_wait_dscnt 0x1
	ds_store_b64 v3, v[28:29] offset:13520
.LBB111_173:                            ;   in Loop: Header=BB111_3 Depth=1
	s_or_b32 exec_lo, exec_lo, s38
	v_mov_b32_e32 v2, 0
	s_wait_dscnt 0x0
	s_barrier_signal -1
	s_barrier_wait -1
	global_wb scope:SCOPE_DEV
	s_wait_storecnt 0x0
	global_inv scope:SCOPE_DEV
	s_and_saveexec_b32 s61, s4
	s_cbranch_execz .LBB111_179
; %bb.174:                              ;   in Loop: Header=BB111_3 Depth=1
	ds_load_b32 v2, v52 offset:13504
	ds_load_b32 v29, v53 offset:14288
	s_wait_dscnt 0x0
	v_fma_f32 v2, v2, v29, 0
	s_and_saveexec_b32 s38, s13
	s_cbranch_execnz .LBB111_1183
; %bb.175:                              ;   in Loop: Header=BB111_3 Depth=1
	s_or_b32 exec_lo, exec_lo, s38
	s_and_saveexec_b32 s38, s14
	s_cbranch_execnz .LBB111_1184
.LBB111_176:                            ;   in Loop: Header=BB111_3 Depth=1
	s_or_b32 exec_lo, exec_lo, s38
	s_and_saveexec_b32 s38, s2
	s_cbranch_execz .LBB111_178
.LBB111_177:                            ;   in Loop: Header=BB111_3 Depth=1
	ds_load_b32 v29, v51 offset:14272
	ds_load_b32 v34, v3 offset:14300
	s_wait_dscnt 0x0
	v_fmac_f32_e32 v2, v29, v34
.LBB111_178:                            ;   in Loop: Header=BB111_3 Depth=1
	s_or_b32 exec_lo, exec_lo, s38
.LBB111_179:                            ;   in Loop: Header=BB111_3 Depth=1
	s_delay_alu instid0(SALU_CYCLE_1)
	s_or_b32 exec_lo, exec_lo, s61
	s_and_saveexec_b32 s38, s90
; %bb.180:                              ;   in Loop: Header=BB111_3 Depth=1
	s_delay_alu instid0(VALU_DEP_1)
	v_xor_b32_e32 v29, 0x80000000, v2
	ds_store_b32 v50, v29
; %bb.181:                              ;   in Loop: Header=BB111_3 Depth=1
	s_or_b32 exec_lo, exec_lo, s38
	s_wait_loadcnt_dscnt 0x0
	s_barrier_signal -1
	s_barrier_wait -1
	s_and_saveexec_b32 s38, s91
	s_cbranch_execz .LBB111_183
; %bb.182:                              ;   in Loop: Header=BB111_3 Depth=1
	ds_load_b32 v29, v52 offset:13248
	ds_load_b32 v34, v50
	s_wait_dscnt 0x0
	v_fma_f32 v2, -v29, v34, v2
.LBB111_183:                            ;   in Loop: Header=BB111_3 Depth=1
	s_or_b32 exec_lo, exec_lo, s38
	s_barrier_signal -1
	s_barrier_wait -1
	s_and_saveexec_b32 s38, s92
; %bb.184:                              ;   in Loop: Header=BB111_3 Depth=1
	v_xor_b32_e32 v29, 0x80000000, v2
	ds_store_b32 v50, v29
; %bb.185:                              ;   in Loop: Header=BB111_3 Depth=1
	s_or_b32 exec_lo, exec_lo, s38
	s_wait_dscnt 0x0
	s_barrier_signal -1
	s_barrier_wait -1
	s_and_saveexec_b32 s38, s93
	s_cbranch_execz .LBB111_187
; %bb.186:                              ;   in Loop: Header=BB111_3 Depth=1
	ds_load_b32 v29, v52 offset:12992
	ds_load_b32 v34, v50
	s_wait_dscnt 0x0
	v_fma_f32 v2, -v29, v34, v2
.LBB111_187:                            ;   in Loop: Header=BB111_3 Depth=1
	s_or_b32 exec_lo, exec_lo, s38
	s_barrier_signal -1
	s_barrier_wait -1
	s_and_saveexec_b32 s38, s94
; %bb.188:                              ;   in Loop: Header=BB111_3 Depth=1
	v_xor_b32_e32 v29, 0x80000000, v2
	ds_store_b32 v50, v29
; %bb.189:                              ;   in Loop: Header=BB111_3 Depth=1
	s_or_b32 exec_lo, exec_lo, s38
	s_wait_dscnt 0x0
	;; [unrolled: 20-line block ×3, first 2 shown]
	s_barrier_signal -1
	s_barrier_wait -1
	s_barrier_signal -1
	s_barrier_wait -1
	s_and_saveexec_b32 s38, s4
; %bb.194:                              ;   in Loop: Header=BB111_3 Depth=1
	ds_store_b32 v55, v2 offset:14272
; %bb.195:                              ;   in Loop: Header=BB111_3 Depth=1
	s_or_b32 exec_lo, exec_lo, s38
	s_wait_dscnt 0x0
	s_barrier_signal -1
	s_barrier_wait -1
	s_barrier_signal -1
	s_barrier_wait -1
	s_and_saveexec_b32 s38, s96
	s_cbranch_execz .LBB111_197
; %bb.196:                              ;   in Loop: Header=BB111_3 Depth=1
	ds_load_b32 v2, v54 offset:13504
	s_wait_dscnt 0x0
	ds_store_b32 v58, v2 offset:12496
	ds_load_b32 v2, v54 offset:13508
	s_wait_dscnt 0x0
	ds_store_b32 v58, v2 offset:12752
	;; [unrolled: 3-line block ×4, first 2 shown]
.LBB111_197:                            ;   in Loop: Header=BB111_3 Depth=1
	s_or_b32 exec_lo, exec_lo, s38
	s_wait_dscnt 0x0
	s_barrier_signal -1
	s_barrier_wait -1
	s_and_saveexec_b32 s38, s11
	s_cbranch_execz .LBB111_199
; %bb.198:                              ;   in Loop: Header=BB111_3 Depth=1
	ds_load_b32 v29, v3 offset:13256
	ds_store_b32 v3, v28 offset:13260
	s_wait_dscnt 0x1
	ds_store_b64 v3, v[28:29] offset:13000
.LBB111_199:                            ;   in Loop: Header=BB111_3 Depth=1
	s_or_b32 exec_lo, exec_lo, s38
	v_mov_b32_e32 v2, 0
	s_wait_dscnt 0x0
	s_barrier_signal -1
	s_barrier_wait -1
	global_wb scope:SCOPE_DEV
	s_wait_storecnt 0x0
	global_inv scope:SCOPE_DEV
	s_and_saveexec_b32 s38, s2
	s_cbranch_execz .LBB111_203
; %bb.200:                              ;   in Loop: Header=BB111_3 Depth=1
	ds_load_b32 v2, v46 offset:12992
	ds_load_b32 v29, v48 offset:13256
	s_wait_dscnt 0x0
	v_fma_f32 v2, v2, v29, 0
	s_and_saveexec_b32 s39, s12
	s_cbranch_execz .LBB111_202
; %bb.201:                              ;   in Loop: Header=BB111_3 Depth=1
	ds_load_b32 v29, v58 offset:13248
	ds_load_b32 v34, v3 offset:13260
	s_wait_dscnt 0x0
	v_fmac_f32_e32 v2, v29, v34
.LBB111_202:                            ;   in Loop: Header=BB111_3 Depth=1
	s_or_b32 exec_lo, exec_lo, s39
.LBB111_203:                            ;   in Loop: Header=BB111_3 Depth=1
	s_delay_alu instid0(SALU_CYCLE_1)
	s_or_b32 exec_lo, exec_lo, s38
	s_and_saveexec_b32 s38, s87
; %bb.204:                              ;   in Loop: Header=BB111_3 Depth=1
	s_delay_alu instid0(VALU_DEP_1)
	v_xor_b32_e32 v29, 0x80000000, v2
	ds_store_b32 v44, v29
; %bb.205:                              ;   in Loop: Header=BB111_3 Depth=1
	s_or_b32 exec_lo, exec_lo, s38
	s_wait_loadcnt_dscnt 0x0
	s_barrier_signal -1
	s_barrier_wait -1
	s_and_saveexec_b32 s38, s88
	s_cbranch_execz .LBB111_207
; %bb.206:                              ;   in Loop: Header=BB111_3 Depth=1
	ds_load_b32 v29, v3 offset:12736
	ds_load_b32 v34, v44
	s_wait_dscnt 0x0
	v_fma_f32 v2, -v29, v34, v2
.LBB111_207:                            ;   in Loop: Header=BB111_3 Depth=1
	s_or_b32 exec_lo, exec_lo, s38
	s_barrier_signal -1
	s_barrier_wait -1
	s_and_saveexec_b32 s38, s88
; %bb.208:                              ;   in Loop: Header=BB111_3 Depth=1
	v_xor_b32_e32 v29, 0x80000000, v2
	ds_store_b32 v44, v29
; %bb.209:                              ;   in Loop: Header=BB111_3 Depth=1
	s_or_b32 exec_lo, exec_lo, s38
	s_wait_dscnt 0x0
	s_barrier_signal -1
	s_barrier_wait -1
	s_barrier_signal -1
	s_barrier_wait -1
	s_and_saveexec_b32 s38, s2
; %bb.210:                              ;   in Loop: Header=BB111_3 Depth=1
	ds_store_b32 v49, v2 offset:13248
; %bb.211:                              ;   in Loop: Header=BB111_3 Depth=1
	s_or_b32 exec_lo, exec_lo, s38
	s_wait_dscnt 0x0
	s_barrier_signal -1
	s_barrier_wait -1
	s_barrier_signal -1
	s_barrier_wait -1
	s_and_saveexec_b32 s38, s89
	s_cbranch_execz .LBB111_213
; %bb.212:                              ;   in Loop: Header=BB111_3 Depth=1
	ds_load_b32 v2, v61 offset:12992
	s_wait_dscnt 0x0
	ds_store_b32 v58, v2 offset:12488
	ds_load_b32 v2, v61 offset:12996
	s_wait_dscnt 0x0
	ds_store_b32 v58, v2 offset:12744
.LBB111_213:                            ;   in Loop: Header=BB111_3 Depth=1
	s_or_b32 exec_lo, exec_lo, s38
	s_wait_dscnt 0x0
	s_barrier_signal -1
	s_barrier_wait -1
	s_and_saveexec_b32 s38, s11
	s_cbranch_execz .LBB111_215
; %bb.214:                              ;   in Loop: Header=BB111_3 Depth=1
	ds_load_b32 v29, v3 offset:12736
	ds_store_b32 v3, v28 offset:12740
	s_wait_dscnt 0x1
	ds_store_b64 v3, v[28:29] offset:12480
.LBB111_215:                            ;   in Loop: Header=BB111_3 Depth=1
	s_or_b32 exec_lo, exec_lo, s38
	v_mov_b32_e32 v2, 0
	s_wait_dscnt 0x0
	s_barrier_signal -1
	s_barrier_wait -1
	global_wb scope:SCOPE_DEV
	s_wait_storecnt 0x0
	global_inv scope:SCOPE_DEV
	s_and_saveexec_b32 s61, s6
	s_cbranch_execz .LBB111_243
; %bb.216:                              ;   in Loop: Header=BB111_3 Depth=1
	ds_load_b32 v2, v62 offset:12416
	ds_load_b32 v29, v65 offset:16320
	s_wait_dscnt 0x0
	v_fma_f32 v2, v2, v29, 0
	s_mov_b32 s38, exec_lo
	v_readlane_b32 s39, v89, 13
	s_and_b32 s39, s38, s39
	s_delay_alu instid0(SALU_CYCLE_1)
	s_mov_b32 exec_lo, s39
	s_cbranch_execz .LBB111_218
; %bb.217:                              ;   in Loop: Header=BB111_3 Depth=1
	ds_load_b32 v29, v62 offset:12672
	ds_load_b32 v34, v65 offset:16324
	s_wait_dscnt 0x0
	v_fmac_f32_e32 v2, v29, v34
.LBB111_218:                            ;   in Loop: Header=BB111_3 Depth=1
	s_or_b32 exec_lo, exec_lo, s38
	s_delay_alu instid0(SALU_CYCLE_1) | instskip(SKIP_2) | instid1(SALU_CYCLE_1)
	s_mov_b32 s38, exec_lo
	v_readlane_b32 s39, v89, 14
	s_and_b32 s39, s38, s39
	s_mov_b32 exec_lo, s39
	s_cbranch_execz .LBB111_220
; %bb.219:                              ;   in Loop: Header=BB111_3 Depth=1
	ds_load_b32 v29, v62 offset:12928
	ds_load_b32 v34, v65 offset:16328
	s_wait_dscnt 0x0
	v_fmac_f32_e32 v2, v29, v34
.LBB111_220:                            ;   in Loop: Header=BB111_3 Depth=1
	s_or_b32 exec_lo, exec_lo, s38
	s_delay_alu instid0(SALU_CYCLE_1) | instskip(SKIP_2) | instid1(SALU_CYCLE_1)
	s_mov_b32 s38, exec_lo
	v_readlane_b32 s39, v89, 15
	s_and_b32 s39, s38, s39
	;; [unrolled: 13-line block ×10, first 2 shown]
	s_mov_b32 exec_lo, s39
	s_cbranch_execnz .LBB111_1185
; %bb.237:                              ;   in Loop: Header=BB111_3 Depth=1
	s_or_b32 exec_lo, exec_lo, s38
	s_and_saveexec_b32 s38, s5
	s_cbranch_execnz .LBB111_1186
.LBB111_238:                            ;   in Loop: Header=BB111_3 Depth=1
	s_or_b32 exec_lo, exec_lo, s38
	s_and_saveexec_b32 s38, s16
	s_cbranch_execnz .LBB111_1187
.LBB111_239:                            ;   in Loop: Header=BB111_3 Depth=1
	s_or_b32 exec_lo, exec_lo, s38
	s_and_saveexec_b32 s38, s18
	s_cbranch_execnz .LBB111_1188
.LBB111_240:                            ;   in Loop: Header=BB111_3 Depth=1
	s_or_b32 exec_lo, exec_lo, s38
	s_and_saveexec_b32 s38, s4
	s_cbranch_execz .LBB111_242
.LBB111_241:                            ;   in Loop: Header=BB111_3 Depth=1
	ds_load_b32 v29, v7 offset:16256
	ds_load_b32 v34, v3 offset:16380
	s_wait_dscnt 0x0
	v_fmac_f32_e32 v2, v29, v34
.LBB111_242:                            ;   in Loop: Header=BB111_3 Depth=1
	s_or_b32 exec_lo, exec_lo, s38
.LBB111_243:                            ;   in Loop: Header=BB111_3 Depth=1
	s_delay_alu instid0(SALU_CYCLE_1) | instskip(NEXT) | instid1(SALU_CYCLE_1)
	s_or_b32 exec_lo, exec_lo, s61
	s_mov_b32 s38, exec_lo
	v_readlane_b32 s39, v91, 3
	s_and_b32 s39, s38, s39
	s_delay_alu instid0(SALU_CYCLE_1)
	s_mov_b32 exec_lo, s39
; %bb.244:                              ;   in Loop: Header=BB111_3 Depth=1
	v_xor_b32_e32 v29, 0x80000000, v2
	ds_store_b32 v63, v29
; %bb.245:                              ;   in Loop: Header=BB111_3 Depth=1
	s_or_b32 exec_lo, exec_lo, s38
	s_wait_loadcnt_dscnt 0x0
	s_barrier_signal -1
	s_barrier_wait -1
	s_mov_b32 s38, exec_lo
	v_readlane_b32 s39, v91, 4
	s_and_b32 s39, s38, s39
	s_delay_alu instid0(SALU_CYCLE_1)
	s_mov_b32 exec_lo, s39
	s_cbranch_execz .LBB111_247
; %bb.246:                              ;   in Loop: Header=BB111_3 Depth=1
	ds_load_b32 v29, v62 offset:12160
	ds_load_b32 v34, v63
	s_wait_dscnt 0x0
	v_fma_f32 v2, -v29, v34, v2
.LBB111_247:                            ;   in Loop: Header=BB111_3 Depth=1
	s_or_b32 exec_lo, exec_lo, s38
	s_barrier_signal -1
	s_barrier_wait -1
	s_and_saveexec_b32 s38, s40
; %bb.248:                              ;   in Loop: Header=BB111_3 Depth=1
	v_xor_b32_e32 v29, 0x80000000, v2
	ds_store_b32 v63, v29
; %bb.249:                              ;   in Loop: Header=BB111_3 Depth=1
	s_or_b32 exec_lo, exec_lo, s38
	s_wait_dscnt 0x0
	s_barrier_signal -1
	s_barrier_wait -1
	s_and_saveexec_b32 s38, s41
	s_cbranch_execz .LBB111_251
; %bb.250:                              ;   in Loop: Header=BB111_3 Depth=1
	ds_load_b32 v29, v62 offset:11904
	ds_load_b32 v34, v63
	s_wait_dscnt 0x0
	v_fma_f32 v2, -v29, v34, v2
.LBB111_251:                            ;   in Loop: Header=BB111_3 Depth=1
	s_or_b32 exec_lo, exec_lo, s38
	s_barrier_signal -1
	s_barrier_wait -1
	s_and_saveexec_b32 s38, s42
; %bb.252:                              ;   in Loop: Header=BB111_3 Depth=1
	v_xor_b32_e32 v29, 0x80000000, v2
	ds_store_b32 v63, v29
; %bb.253:                              ;   in Loop: Header=BB111_3 Depth=1
	s_or_b32 exec_lo, exec_lo, s38
	s_wait_dscnt 0x0
	s_barrier_signal -1
	s_barrier_wait -1
	s_and_saveexec_b32 s38, s43
	;; [unrolled: 20-line block ×14, first 2 shown]
	s_cbranch_execz .LBB111_303
; %bb.302:                              ;   in Loop: Header=BB111_3 Depth=1
	ds_load_b32 v29, v3 offset:8576
	ds_load_b32 v34, v63
	s_wait_dscnt 0x0
	v_fma_f32 v2, -v29, v34, v2
.LBB111_303:                            ;   in Loop: Header=BB111_3 Depth=1
	s_or_b32 exec_lo, exec_lo, s38
	s_barrier_signal -1
	s_barrier_wait -1
	s_and_saveexec_b32 s38, s23
; %bb.304:                              ;   in Loop: Header=BB111_3 Depth=1
	v_xor_b32_e32 v29, 0x80000000, v2
	ds_store_b32 v63, v29
; %bb.305:                              ;   in Loop: Header=BB111_3 Depth=1
	s_or_b32 exec_lo, exec_lo, s38
	s_wait_dscnt 0x0
	s_barrier_signal -1
	s_barrier_wait -1
	s_barrier_signal -1
	s_barrier_wait -1
	s_and_saveexec_b32 s38, s6
; %bb.306:                              ;   in Loop: Header=BB111_3 Depth=1
	ds_store_b32 v66, v2 offset:16256
; %bb.307:                              ;   in Loop: Header=BB111_3 Depth=1
	s_or_b32 exec_lo, exec_lo, s38
	s_wait_dscnt 0x0
	s_barrier_signal -1
	s_barrier_wait -1
	s_barrier_signal -1
	s_barrier_wait -1
	s_and_saveexec_b32 s61, s25
	s_cbranch_execz .LBB111_309
; %bb.308:                              ;   in Loop: Header=BB111_3 Depth=1
	ds_load_b32 v2, v9 offset:12416
	s_wait_dscnt 0x0
	ds_store_b32 v38, v2 offset:8384
	ds_load_b32 v2, v9 offset:12420
	s_wait_dscnt 0x0
	ds_store_b32 v38, v2 offset:8640
	;; [unrolled: 3-line block ×16, first 2 shown]
.LBB111_309:                            ;   in Loop: Header=BB111_3 Depth=1
	s_or_b32 exec_lo, exec_lo, s61
	s_wait_dscnt 0x0
	s_barrier_signal -1
	s_barrier_wait -1
	s_and_saveexec_b32 s38, s11
	s_cbranch_execz .LBB111_311
; %bb.310:                              ;   in Loop: Header=BB111_3 Depth=1
	ds_load_b32 v29, v3 offset:12216
	ds_store_b32 v3, v28 offset:12220
	s_wait_dscnt 0x1
	ds_store_b64 v3, v[28:29] offset:11960
.LBB111_311:                            ;   in Loop: Header=BB111_3 Depth=1
	s_or_b32 exec_lo, exec_lo, s38
	v_mov_b32_e32 v2, 0
	s_wait_dscnt 0x0
	s_barrier_signal -1
	s_barrier_wait -1
	global_wb scope:SCOPE_DEV
	s_wait_storecnt 0x0
	global_inv scope:SCOPE_DEV
	s_and_saveexec_b32 s38, s2
	s_cbranch_execz .LBB111_315
; %bb.312:                              ;   in Loop: Header=BB111_3 Depth=1
	ds_load_b32 v2, v46 offset:11952
	ds_load_b32 v29, v48 offset:12216
	s_wait_dscnt 0x0
	v_fma_f32 v2, v2, v29, 0
	s_and_saveexec_b32 s39, s12
	s_cbranch_execz .LBB111_314
; %bb.313:                              ;   in Loop: Header=BB111_3 Depth=1
	ds_load_b32 v29, v7 offset:12208
	ds_load_b32 v34, v3 offset:12220
	s_wait_dscnt 0x0
	v_fmac_f32_e32 v2, v29, v34
.LBB111_314:                            ;   in Loop: Header=BB111_3 Depth=1
	s_or_b32 exec_lo, exec_lo, s39
.LBB111_315:                            ;   in Loop: Header=BB111_3 Depth=1
	s_delay_alu instid0(SALU_CYCLE_1)
	s_or_b32 exec_lo, exec_lo, s38
	s_and_saveexec_b32 s38, s87
; %bb.316:                              ;   in Loop: Header=BB111_3 Depth=1
	s_delay_alu instid0(VALU_DEP_1)
	v_xor_b32_e32 v29, 0x80000000, v2
	ds_store_b32 v44, v29
; %bb.317:                              ;   in Loop: Header=BB111_3 Depth=1
	s_or_b32 exec_lo, exec_lo, s38
	s_wait_loadcnt_dscnt 0x0
	s_barrier_signal -1
	s_barrier_wait -1
	s_and_saveexec_b32 s38, s88
	s_cbranch_execz .LBB111_319
; %bb.318:                              ;   in Loop: Header=BB111_3 Depth=1
	ds_load_b32 v29, v3 offset:11696
	ds_load_b32 v34, v44
	s_wait_dscnt 0x0
	v_fma_f32 v2, -v29, v34, v2
.LBB111_319:                            ;   in Loop: Header=BB111_3 Depth=1
	s_or_b32 exec_lo, exec_lo, s38
	s_barrier_signal -1
	s_barrier_wait -1
	s_and_saveexec_b32 s38, s88
; %bb.320:                              ;   in Loop: Header=BB111_3 Depth=1
	v_xor_b32_e32 v29, 0x80000000, v2
	ds_store_b32 v44, v29
; %bb.321:                              ;   in Loop: Header=BB111_3 Depth=1
	s_or_b32 exec_lo, exec_lo, s38
	s_wait_dscnt 0x0
	s_barrier_signal -1
	s_barrier_wait -1
	s_barrier_signal -1
	s_barrier_wait -1
	s_and_saveexec_b32 s38, s2
; %bb.322:                              ;   in Loop: Header=BB111_3 Depth=1
	ds_store_b32 v49, v2 offset:12208
; %bb.323:                              ;   in Loop: Header=BB111_3 Depth=1
	s_or_b32 exec_lo, exec_lo, s38
	s_wait_dscnt 0x0
	s_barrier_signal -1
	s_barrier_wait -1
	s_barrier_signal -1
	s_barrier_wait -1
	s_and_saveexec_b32 s38, s89
	s_cbranch_execz .LBB111_325
; %bb.324:                              ;   in Loop: Header=BB111_3 Depth=1
	ds_load_b32 v2, v9 offset:11952
	s_wait_dscnt 0x0
	ds_store_b32 v7, v2 offset:11448
	ds_load_b32 v2, v9 offset:11956
	s_wait_dscnt 0x0
	ds_store_b32 v7, v2 offset:11704
.LBB111_325:                            ;   in Loop: Header=BB111_3 Depth=1
	s_or_b32 exec_lo, exec_lo, s38
	s_wait_dscnt 0x0
	s_barrier_signal -1
	s_barrier_wait -1
	s_and_saveexec_b32 s38, s11
	s_cbranch_execz .LBB111_327
; %bb.326:                              ;   in Loop: Header=BB111_3 Depth=1
	ds_load_b32 v29, v3 offset:11696
	ds_store_b32 v3, v28 offset:11700
	s_wait_dscnt 0x1
	ds_store_b64 v3, v[28:29] offset:11440
.LBB111_327:                            ;   in Loop: Header=BB111_3 Depth=1
	s_or_b32 exec_lo, exec_lo, s38
	v_mov_b32_e32 v2, 0
	s_wait_dscnt 0x0
	s_barrier_signal -1
	s_barrier_wait -1
	global_wb scope:SCOPE_DEV
	s_wait_storecnt 0x0
	global_inv scope:SCOPE_DEV
	s_and_saveexec_b32 s61, s4
	s_cbranch_execz .LBB111_333
; %bb.328:                              ;   in Loop: Header=BB111_3 Depth=1
	ds_load_b32 v2, v52 offset:11424
	ds_load_b32 v29, v53 offset:12208
	s_wait_dscnt 0x0
	v_fma_f32 v2, v2, v29, 0
	s_and_saveexec_b32 s38, s13
	s_cbranch_execnz .LBB111_1189
; %bb.329:                              ;   in Loop: Header=BB111_3 Depth=1
	s_or_b32 exec_lo, exec_lo, s38
	s_and_saveexec_b32 s38, s14
	s_cbranch_execnz .LBB111_1190
.LBB111_330:                            ;   in Loop: Header=BB111_3 Depth=1
	s_or_b32 exec_lo, exec_lo, s38
	s_and_saveexec_b32 s38, s2
	s_cbranch_execz .LBB111_332
.LBB111_331:                            ;   in Loop: Header=BB111_3 Depth=1
	ds_load_b32 v29, v38 offset:12192
	ds_load_b32 v34, v3 offset:12220
	s_wait_dscnt 0x0
	v_fmac_f32_e32 v2, v29, v34
.LBB111_332:                            ;   in Loop: Header=BB111_3 Depth=1
	s_or_b32 exec_lo, exec_lo, s38
.LBB111_333:                            ;   in Loop: Header=BB111_3 Depth=1
	s_delay_alu instid0(SALU_CYCLE_1)
	s_or_b32 exec_lo, exec_lo, s61
	s_and_saveexec_b32 s38, s90
; %bb.334:                              ;   in Loop: Header=BB111_3 Depth=1
	s_delay_alu instid0(VALU_DEP_1)
	v_xor_b32_e32 v29, 0x80000000, v2
	ds_store_b32 v50, v29
; %bb.335:                              ;   in Loop: Header=BB111_3 Depth=1
	s_or_b32 exec_lo, exec_lo, s38
	s_wait_loadcnt_dscnt 0x0
	s_barrier_signal -1
	s_barrier_wait -1
	s_and_saveexec_b32 s38, s91
	s_cbranch_execz .LBB111_337
; %bb.336:                              ;   in Loop: Header=BB111_3 Depth=1
	ds_load_b32 v29, v52 offset:11168
	ds_load_b32 v34, v50
	s_wait_dscnt 0x0
	v_fma_f32 v2, -v29, v34, v2
.LBB111_337:                            ;   in Loop: Header=BB111_3 Depth=1
	s_or_b32 exec_lo, exec_lo, s38
	s_barrier_signal -1
	s_barrier_wait -1
	s_and_saveexec_b32 s38, s92
; %bb.338:                              ;   in Loop: Header=BB111_3 Depth=1
	v_xor_b32_e32 v29, 0x80000000, v2
	ds_store_b32 v50, v29
; %bb.339:                              ;   in Loop: Header=BB111_3 Depth=1
	s_or_b32 exec_lo, exec_lo, s38
	s_wait_dscnt 0x0
	s_barrier_signal -1
	s_barrier_wait -1
	s_and_saveexec_b32 s38, s93
	s_cbranch_execz .LBB111_341
; %bb.340:                              ;   in Loop: Header=BB111_3 Depth=1
	ds_load_b32 v29, v52 offset:10912
	ds_load_b32 v34, v50
	s_wait_dscnt 0x0
	v_fma_f32 v2, -v29, v34, v2
.LBB111_341:                            ;   in Loop: Header=BB111_3 Depth=1
	s_or_b32 exec_lo, exec_lo, s38
	s_barrier_signal -1
	s_barrier_wait -1
	s_and_saveexec_b32 s38, s94
; %bb.342:                              ;   in Loop: Header=BB111_3 Depth=1
	v_xor_b32_e32 v29, 0x80000000, v2
	ds_store_b32 v50, v29
; %bb.343:                              ;   in Loop: Header=BB111_3 Depth=1
	s_or_b32 exec_lo, exec_lo, s38
	s_wait_dscnt 0x0
	;; [unrolled: 20-line block ×3, first 2 shown]
	s_barrier_signal -1
	s_barrier_wait -1
	s_barrier_signal -1
	s_barrier_wait -1
	s_and_saveexec_b32 s38, s4
; %bb.348:                              ;   in Loop: Header=BB111_3 Depth=1
	ds_store_b32 v55, v2 offset:12192
; %bb.349:                              ;   in Loop: Header=BB111_3 Depth=1
	s_or_b32 exec_lo, exec_lo, s38
	s_wait_dscnt 0x0
	s_barrier_signal -1
	s_barrier_wait -1
	s_barrier_signal -1
	s_barrier_wait -1
	s_and_saveexec_b32 s38, s96
	s_cbranch_execz .LBB111_351
; %bb.350:                              ;   in Loop: Header=BB111_3 Depth=1
	ds_load_b32 v2, v39 offset:11424
	s_wait_dscnt 0x0
	ds_store_b32 v40, v2 offset:10416
	ds_load_b32 v2, v39 offset:11428
	s_wait_dscnt 0x0
	ds_store_b32 v40, v2 offset:10672
	;; [unrolled: 3-line block ×4, first 2 shown]
.LBB111_351:                            ;   in Loop: Header=BB111_3 Depth=1
	s_or_b32 exec_lo, exec_lo, s38
	s_wait_dscnt 0x0
	s_barrier_signal -1
	s_barrier_wait -1
	s_and_saveexec_b32 s38, s11
	s_cbranch_execz .LBB111_353
; %bb.352:                              ;   in Loop: Header=BB111_3 Depth=1
	ds_load_b32 v29, v3 offset:11176
	ds_store_b32 v3, v28 offset:11180
	s_wait_dscnt 0x1
	ds_store_b64 v3, v[28:29] offset:10920
.LBB111_353:                            ;   in Loop: Header=BB111_3 Depth=1
	s_or_b32 exec_lo, exec_lo, s38
	v_mov_b32_e32 v2, 0
	s_wait_dscnt 0x0
	s_barrier_signal -1
	s_barrier_wait -1
	global_wb scope:SCOPE_DEV
	s_wait_storecnt 0x0
	global_inv scope:SCOPE_DEV
	s_and_saveexec_b32 s38, s2
	s_cbranch_execz .LBB111_357
; %bb.354:                              ;   in Loop: Header=BB111_3 Depth=1
	ds_load_b32 v2, v46 offset:10912
	ds_load_b32 v29, v48 offset:11176
	s_wait_dscnt 0x0
	v_fma_f32 v2, v2, v29, 0
	s_and_saveexec_b32 s39, s12
	s_cbranch_execz .LBB111_356
; %bb.355:                              ;   in Loop: Header=BB111_3 Depth=1
	ds_load_b32 v29, v40 offset:11168
	ds_load_b32 v34, v3 offset:11180
	s_wait_dscnt 0x0
	v_fmac_f32_e32 v2, v29, v34
.LBB111_356:                            ;   in Loop: Header=BB111_3 Depth=1
	s_or_b32 exec_lo, exec_lo, s39
.LBB111_357:                            ;   in Loop: Header=BB111_3 Depth=1
	s_delay_alu instid0(SALU_CYCLE_1)
	s_or_b32 exec_lo, exec_lo, s38
	s_and_saveexec_b32 s38, s87
; %bb.358:                              ;   in Loop: Header=BB111_3 Depth=1
	s_delay_alu instid0(VALU_DEP_1)
	v_xor_b32_e32 v29, 0x80000000, v2
	ds_store_b32 v44, v29
; %bb.359:                              ;   in Loop: Header=BB111_3 Depth=1
	s_or_b32 exec_lo, exec_lo, s38
	s_wait_loadcnt_dscnt 0x0
	s_barrier_signal -1
	s_barrier_wait -1
	s_and_saveexec_b32 s38, s88
	s_cbranch_execz .LBB111_361
; %bb.360:                              ;   in Loop: Header=BB111_3 Depth=1
	ds_load_b32 v29, v3 offset:10656
	ds_load_b32 v34, v44
	s_wait_dscnt 0x0
	v_fma_f32 v2, -v29, v34, v2
.LBB111_361:                            ;   in Loop: Header=BB111_3 Depth=1
	s_or_b32 exec_lo, exec_lo, s38
	s_barrier_signal -1
	s_barrier_wait -1
	s_and_saveexec_b32 s38, s88
; %bb.362:                              ;   in Loop: Header=BB111_3 Depth=1
	v_xor_b32_e32 v29, 0x80000000, v2
	ds_store_b32 v44, v29
; %bb.363:                              ;   in Loop: Header=BB111_3 Depth=1
	s_or_b32 exec_lo, exec_lo, s38
	s_wait_dscnt 0x0
	s_barrier_signal -1
	s_barrier_wait -1
	s_barrier_signal -1
	s_barrier_wait -1
	s_and_saveexec_b32 s38, s2
; %bb.364:                              ;   in Loop: Header=BB111_3 Depth=1
	ds_store_b32 v49, v2 offset:11168
; %bb.365:                              ;   in Loop: Header=BB111_3 Depth=1
	s_or_b32 exec_lo, exec_lo, s38
	s_wait_dscnt 0x0
	s_barrier_signal -1
	s_barrier_wait -1
	s_barrier_signal -1
	s_barrier_wait -1
	s_and_saveexec_b32 s38, s89
	s_cbranch_execz .LBB111_367
; %bb.366:                              ;   in Loop: Header=BB111_3 Depth=1
	ds_load_b32 v2, v41 offset:10912
	s_wait_dscnt 0x0
	ds_store_b32 v40, v2 offset:10408
	ds_load_b32 v2, v41 offset:10916
	s_wait_dscnt 0x0
	ds_store_b32 v40, v2 offset:10664
.LBB111_367:                            ;   in Loop: Header=BB111_3 Depth=1
	s_or_b32 exec_lo, exec_lo, s38
	s_wait_dscnt 0x0
	s_barrier_signal -1
	s_barrier_wait -1
	s_and_saveexec_b32 s38, s11
	s_cbranch_execz .LBB111_369
; %bb.368:                              ;   in Loop: Header=BB111_3 Depth=1
	ds_load_b32 v29, v3 offset:10656
	ds_store_b32 v3, v28 offset:10660
	s_wait_dscnt 0x1
	ds_store_b64 v3, v[28:29] offset:10400
.LBB111_369:                            ;   in Loop: Header=BB111_3 Depth=1
	s_or_b32 exec_lo, exec_lo, s38
	v_mov_b32_e32 v2, 0
	s_wait_dscnt 0x0
	s_barrier_signal -1
	s_barrier_wait -1
	global_wb scope:SCOPE_DEV
	s_wait_storecnt 0x0
	global_inv scope:SCOPE_DEV
	s_and_saveexec_b32 s61, s5
	s_cbranch_execz .LBB111_379
; %bb.370:                              ;   in Loop: Header=BB111_3 Depth=1
	ds_load_b32 v2, v56 offset:10368
	ds_load_b32 v29, v59 offset:12192
	s_wait_dscnt 0x0
	v_fma_f32 v2, v2, v29, 0
	s_and_saveexec_b32 s38, s15
	s_cbranch_execnz .LBB111_1191
; %bb.371:                              ;   in Loop: Header=BB111_3 Depth=1
	s_or_b32 exec_lo, exec_lo, s38
	s_and_saveexec_b32 s38, s16
	s_cbranch_execnz .LBB111_1192
.LBB111_372:                            ;   in Loop: Header=BB111_3 Depth=1
	s_or_b32 exec_lo, exec_lo, s38
	s_and_saveexec_b32 s38, s17
	s_cbranch_execnz .LBB111_1193
.LBB111_373:                            ;   in Loop: Header=BB111_3 Depth=1
	s_or_b32 exec_lo, exec_lo, s38
	s_and_saveexec_b32 s38, s18
	s_cbranch_execnz .LBB111_1194
.LBB111_374:                            ;   in Loop: Header=BB111_3 Depth=1
	s_or_b32 exec_lo, exec_lo, s38
	s_and_saveexec_b32 s38, s19
	s_cbranch_execnz .LBB111_1195
.LBB111_375:                            ;   in Loop: Header=BB111_3 Depth=1
	s_or_b32 exec_lo, exec_lo, s38
	s_and_saveexec_b32 s38, s4
	s_cbranch_execnz .LBB111_1196
.LBB111_376:                            ;   in Loop: Header=BB111_3 Depth=1
	s_or_b32 exec_lo, exec_lo, s38
	s_and_saveexec_b32 s38, s14
	s_cbranch_execz .LBB111_378
.LBB111_377:                            ;   in Loop: Header=BB111_3 Depth=1
	ds_load_b32 v29, v42 offset:12160
	ds_load_b32 v34, v3 offset:12220
	s_wait_dscnt 0x0
	v_fmac_f32_e32 v2, v29, v34
.LBB111_378:                            ;   in Loop: Header=BB111_3 Depth=1
	s_or_b32 exec_lo, exec_lo, s38
.LBB111_379:                            ;   in Loop: Header=BB111_3 Depth=1
	s_delay_alu instid0(SALU_CYCLE_1)
	s_or_b32 exec_lo, exec_lo, s61
	s_and_saveexec_b32 s38, s97
; %bb.380:                              ;   in Loop: Header=BB111_3 Depth=1
	s_delay_alu instid0(VALU_DEP_1)
	v_xor_b32_e32 v29, 0x80000000, v2
	ds_store_b32 v57, v29
; %bb.381:                              ;   in Loop: Header=BB111_3 Depth=1
	s_or_b32 exec_lo, exec_lo, s38
	s_wait_loadcnt_dscnt 0x0
	s_barrier_signal -1
	s_barrier_wait -1
	s_and_saveexec_b32 s38, s98
	s_cbranch_execz .LBB111_383
; %bb.382:                              ;   in Loop: Header=BB111_3 Depth=1
	ds_load_b32 v29, v56 offset:10112
	ds_load_b32 v34, v57
	s_wait_dscnt 0x0
	v_fma_f32 v2, -v29, v34, v2
.LBB111_383:                            ;   in Loop: Header=BB111_3 Depth=1
	s_or_b32 exec_lo, exec_lo, s38
	s_barrier_signal -1
	s_barrier_wait -1
	s_and_saveexec_b32 s38, s99
; %bb.384:                              ;   in Loop: Header=BB111_3 Depth=1
	v_xor_b32_e32 v29, 0x80000000, v2
	ds_store_b32 v57, v29
; %bb.385:                              ;   in Loop: Header=BB111_3 Depth=1
	s_or_b32 exec_lo, exec_lo, s38
	s_wait_dscnt 0x0
	s_barrier_signal -1
	s_barrier_wait -1
	s_and_saveexec_b32 s38, s100
	s_cbranch_execz .LBB111_387
; %bb.386:                              ;   in Loop: Header=BB111_3 Depth=1
	ds_load_b32 v29, v56 offset:9856
	ds_load_b32 v34, v57
	s_wait_dscnt 0x0
	v_fma_f32 v2, -v29, v34, v2
.LBB111_387:                            ;   in Loop: Header=BB111_3 Depth=1
	s_or_b32 exec_lo, exec_lo, s38
	s_barrier_signal -1
	s_barrier_wait -1
	s_and_saveexec_b32 s38, s101
; %bb.388:                              ;   in Loop: Header=BB111_3 Depth=1
	v_xor_b32_e32 v29, 0x80000000, v2
	ds_store_b32 v57, v29
; %bb.389:                              ;   in Loop: Header=BB111_3 Depth=1
	s_or_b32 exec_lo, exec_lo, s38
	s_wait_dscnt 0x0
	;; [unrolled: 20-line block ×3, first 2 shown]
	s_barrier_signal -1
	s_barrier_wait -1
	s_and_saveexec_b32 s38, s104
	s_cbranch_execz .LBB111_395
; %bb.394:                              ;   in Loop: Header=BB111_3 Depth=1
	ds_load_b32 v29, v56 offset:9344
	ds_load_b32 v34, v57
	s_wait_dscnt 0x0
	v_fma_f32 v2, -v29, v34, v2
.LBB111_395:                            ;   in Loop: Header=BB111_3 Depth=1
	s_or_b32 exec_lo, exec_lo, s38
	s_barrier_signal -1
	s_barrier_wait -1
	s_and_saveexec_b32 s38, vcc_hi
; %bb.396:                              ;   in Loop: Header=BB111_3 Depth=1
	v_xor_b32_e32 v29, 0x80000000, v2
	ds_store_b32 v57, v29
; %bb.397:                              ;   in Loop: Header=BB111_3 Depth=1
	s_or_b32 exec_lo, exec_lo, s38
	s_wait_dscnt 0x0
	s_barrier_signal -1
	s_barrier_wait -1
	s_and_saveexec_b32 s38, s31
	s_cbranch_execz .LBB111_399
; %bb.398:                              ;   in Loop: Header=BB111_3 Depth=1
	ds_load_b32 v29, v56 offset:9088
	ds_load_b32 v34, v57
	s_wait_dscnt 0x0
	v_fma_f32 v2, -v29, v34, v2
.LBB111_399:                            ;   in Loop: Header=BB111_3 Depth=1
	s_or_b32 exec_lo, exec_lo, s38
	s_barrier_signal -1
	s_barrier_wait -1
	s_and_saveexec_b32 s38, s33
; %bb.400:                              ;   in Loop: Header=BB111_3 Depth=1
	v_xor_b32_e32 v29, 0x80000000, v2
	ds_store_b32 v57, v29
; %bb.401:                              ;   in Loop: Header=BB111_3 Depth=1
	s_or_b32 exec_lo, exec_lo, s38
	s_wait_dscnt 0x0
	s_barrier_signal -1
	s_barrier_wait -1
	s_and_saveexec_b32 s38, s34
	s_cbranch_execz .LBB111_403
; %bb.402:                              ;   in Loop: Header=BB111_3 Depth=1
	ds_load_b32 v29, v56 offset:8832
	ds_load_b32 v34, v57
	s_wait_dscnt 0x0
	v_fma_f32 v2, -v29, v34, v2
.LBB111_403:                            ;   in Loop: Header=BB111_3 Depth=1
	s_or_b32 exec_lo, exec_lo, s38
	s_barrier_signal -1
	s_barrier_wait -1
	s_and_saveexec_b32 s38, s35
	;; [unrolled: 20-line block ×3, first 2 shown]
; %bb.408:                              ;   in Loop: Header=BB111_3 Depth=1
	v_xor_b32_e32 v29, 0x80000000, v2
	ds_store_b32 v57, v29
; %bb.409:                              ;   in Loop: Header=BB111_3 Depth=1
	s_or_b32 exec_lo, exec_lo, s38
	s_wait_dscnt 0x0
	s_barrier_signal -1
	s_barrier_wait -1
	s_barrier_signal -1
	s_barrier_wait -1
	s_and_saveexec_b32 s38, s5
; %bb.410:                              ;   in Loop: Header=BB111_3 Depth=1
	ds_store_b32 v60, v2 offset:12160
; %bb.411:                              ;   in Loop: Header=BB111_3 Depth=1
	s_or_b32 exec_lo, exec_lo, s38
	s_wait_dscnt 0x0
	s_barrier_signal -1
	s_barrier_wait -1
	s_barrier_signal -1
	s_barrier_wait -1
	s_and_saveexec_b32 s38, s37
	s_cbranch_execz .LBB111_413
; %bb.412:                              ;   in Loop: Header=BB111_3 Depth=1
	ds_load_b32 v2, v43 offset:10368
	s_wait_dscnt 0x0
	ds_store_b32 v45, v2 offset:8352
	ds_load_b32 v2, v43 offset:10372
	s_wait_dscnt 0x0
	ds_store_b32 v45, v2 offset:8608
	;; [unrolled: 3-line block ×8, first 2 shown]
.LBB111_413:                            ;   in Loop: Header=BB111_3 Depth=1
	s_or_b32 exec_lo, exec_lo, s38
	s_wait_dscnt 0x0
	s_barrier_signal -1
	s_barrier_wait -1
	s_and_saveexec_b32 s38, s11
	s_cbranch_execz .LBB111_415
; %bb.414:                              ;   in Loop: Header=BB111_3 Depth=1
	ds_load_b32 v29, v3 offset:10136
	ds_store_b32 v3, v28 offset:10140
	s_wait_dscnt 0x1
	ds_store_b64 v3, v[28:29] offset:9880
.LBB111_415:                            ;   in Loop: Header=BB111_3 Depth=1
	s_or_b32 exec_lo, exec_lo, s38
	v_mov_b32_e32 v2, 0
	s_wait_dscnt 0x0
	s_barrier_signal -1
	s_barrier_wait -1
	global_wb scope:SCOPE_DEV
	s_wait_storecnt 0x0
	global_inv scope:SCOPE_DEV
	s_and_saveexec_b32 s38, s2
	s_cbranch_execz .LBB111_419
; %bb.416:                              ;   in Loop: Header=BB111_3 Depth=1
	ds_load_b32 v2, v46 offset:9872
	ds_load_b32 v29, v48 offset:10136
	s_wait_dscnt 0x0
	v_fma_f32 v2, v2, v29, 0
	s_and_saveexec_b32 s39, s12
	s_cbranch_execz .LBB111_418
; %bb.417:                              ;   in Loop: Header=BB111_3 Depth=1
	ds_load_b32 v29, v45 offset:10128
	ds_load_b32 v34, v3 offset:10140
	s_wait_dscnt 0x0
	v_fmac_f32_e32 v2, v29, v34
.LBB111_418:                            ;   in Loop: Header=BB111_3 Depth=1
	s_or_b32 exec_lo, exec_lo, s39
.LBB111_419:                            ;   in Loop: Header=BB111_3 Depth=1
	s_delay_alu instid0(SALU_CYCLE_1)
	s_or_b32 exec_lo, exec_lo, s38
	s_and_saveexec_b32 s38, s87
; %bb.420:                              ;   in Loop: Header=BB111_3 Depth=1
	s_delay_alu instid0(VALU_DEP_1)
	v_xor_b32_e32 v29, 0x80000000, v2
	ds_store_b32 v44, v29
; %bb.421:                              ;   in Loop: Header=BB111_3 Depth=1
	s_or_b32 exec_lo, exec_lo, s38
	s_wait_loadcnt_dscnt 0x0
	s_barrier_signal -1
	s_barrier_wait -1
	s_and_saveexec_b32 s38, s88
	s_cbranch_execz .LBB111_423
; %bb.422:                              ;   in Loop: Header=BB111_3 Depth=1
	ds_load_b32 v29, v3 offset:9616
	ds_load_b32 v34, v44
	s_wait_dscnt 0x0
	v_fma_f32 v2, -v29, v34, v2
.LBB111_423:                            ;   in Loop: Header=BB111_3 Depth=1
	s_or_b32 exec_lo, exec_lo, s38
	s_barrier_signal -1
	s_barrier_wait -1
	s_and_saveexec_b32 s38, s88
; %bb.424:                              ;   in Loop: Header=BB111_3 Depth=1
	v_xor_b32_e32 v29, 0x80000000, v2
	ds_store_b32 v44, v29
; %bb.425:                              ;   in Loop: Header=BB111_3 Depth=1
	s_or_b32 exec_lo, exec_lo, s38
	s_wait_dscnt 0x0
	s_barrier_signal -1
	s_barrier_wait -1
	s_barrier_signal -1
	s_barrier_wait -1
	s_and_saveexec_b32 s38, s2
; %bb.426:                              ;   in Loop: Header=BB111_3 Depth=1
	ds_store_b32 v49, v2 offset:10128
; %bb.427:                              ;   in Loop: Header=BB111_3 Depth=1
	s_or_b32 exec_lo, exec_lo, s38
	s_wait_dscnt 0x0
	s_barrier_signal -1
	s_barrier_wait -1
	s_barrier_signal -1
	s_barrier_wait -1
	s_and_saveexec_b32 s38, s89
	s_cbranch_execz .LBB111_429
; %bb.428:                              ;   in Loop: Header=BB111_3 Depth=1
	ds_load_b32 v2, v47 offset:9872
	s_wait_dscnt 0x0
	ds_store_b32 v45, v2 offset:9368
	ds_load_b32 v2, v47 offset:9876
	s_wait_dscnt 0x0
	ds_store_b32 v45, v2 offset:9624
.LBB111_429:                            ;   in Loop: Header=BB111_3 Depth=1
	s_or_b32 exec_lo, exec_lo, s38
	s_wait_dscnt 0x0
	s_barrier_signal -1
	s_barrier_wait -1
	s_and_saveexec_b32 s38, s11
	s_cbranch_execz .LBB111_431
; %bb.430:                              ;   in Loop: Header=BB111_3 Depth=1
	ds_load_b32 v29, v3 offset:9616
	ds_store_b32 v3, v28 offset:9620
	s_wait_dscnt 0x1
	ds_store_b64 v3, v[28:29] offset:9360
.LBB111_431:                            ;   in Loop: Header=BB111_3 Depth=1
	s_or_b32 exec_lo, exec_lo, s38
	v_mov_b32_e32 v2, 0
	s_wait_dscnt 0x0
	s_barrier_signal -1
	s_barrier_wait -1
	global_wb scope:SCOPE_DEV
	s_wait_storecnt 0x0
	global_inv scope:SCOPE_DEV
	s_and_saveexec_b32 s61, s4
	s_cbranch_execz .LBB111_437
; %bb.432:                              ;   in Loop: Header=BB111_3 Depth=1
	ds_load_b32 v2, v52 offset:9344
	ds_load_b32 v29, v53 offset:10128
	s_wait_dscnt 0x0
	v_fma_f32 v2, v2, v29, 0
	s_and_saveexec_b32 s38, s13
	s_cbranch_execnz .LBB111_1197
; %bb.433:                              ;   in Loop: Header=BB111_3 Depth=1
	s_or_b32 exec_lo, exec_lo, s38
	s_and_saveexec_b32 s38, s14
	s_cbranch_execnz .LBB111_1198
.LBB111_434:                            ;   in Loop: Header=BB111_3 Depth=1
	s_or_b32 exec_lo, exec_lo, s38
	s_and_saveexec_b32 s38, s2
	s_cbranch_execz .LBB111_436
.LBB111_435:                            ;   in Loop: Header=BB111_3 Depth=1
	ds_load_b32 v29, v51 offset:10112
	ds_load_b32 v34, v3 offset:10140
	s_wait_dscnt 0x0
	v_fmac_f32_e32 v2, v29, v34
.LBB111_436:                            ;   in Loop: Header=BB111_3 Depth=1
	s_or_b32 exec_lo, exec_lo, s38
.LBB111_437:                            ;   in Loop: Header=BB111_3 Depth=1
	s_delay_alu instid0(SALU_CYCLE_1)
	s_or_b32 exec_lo, exec_lo, s61
	s_and_saveexec_b32 s38, s90
; %bb.438:                              ;   in Loop: Header=BB111_3 Depth=1
	s_delay_alu instid0(VALU_DEP_1)
	v_xor_b32_e32 v29, 0x80000000, v2
	ds_store_b32 v50, v29
; %bb.439:                              ;   in Loop: Header=BB111_3 Depth=1
	s_or_b32 exec_lo, exec_lo, s38
	s_wait_loadcnt_dscnt 0x0
	s_barrier_signal -1
	s_barrier_wait -1
	s_and_saveexec_b32 s38, s91
	s_cbranch_execz .LBB111_441
; %bb.440:                              ;   in Loop: Header=BB111_3 Depth=1
	ds_load_b32 v29, v52 offset:9088
	ds_load_b32 v34, v50
	s_wait_dscnt 0x0
	v_fma_f32 v2, -v29, v34, v2
.LBB111_441:                            ;   in Loop: Header=BB111_3 Depth=1
	s_or_b32 exec_lo, exec_lo, s38
	s_barrier_signal -1
	s_barrier_wait -1
	s_and_saveexec_b32 s38, s92
; %bb.442:                              ;   in Loop: Header=BB111_3 Depth=1
	v_xor_b32_e32 v29, 0x80000000, v2
	ds_store_b32 v50, v29
; %bb.443:                              ;   in Loop: Header=BB111_3 Depth=1
	s_or_b32 exec_lo, exec_lo, s38
	s_wait_dscnt 0x0
	s_barrier_signal -1
	s_barrier_wait -1
	s_and_saveexec_b32 s38, s93
	s_cbranch_execz .LBB111_445
; %bb.444:                              ;   in Loop: Header=BB111_3 Depth=1
	ds_load_b32 v29, v52 offset:8832
	ds_load_b32 v34, v50
	s_wait_dscnt 0x0
	v_fma_f32 v2, -v29, v34, v2
.LBB111_445:                            ;   in Loop: Header=BB111_3 Depth=1
	s_or_b32 exec_lo, exec_lo, s38
	s_barrier_signal -1
	s_barrier_wait -1
	s_and_saveexec_b32 s38, s94
; %bb.446:                              ;   in Loop: Header=BB111_3 Depth=1
	v_xor_b32_e32 v29, 0x80000000, v2
	ds_store_b32 v50, v29
; %bb.447:                              ;   in Loop: Header=BB111_3 Depth=1
	s_or_b32 exec_lo, exec_lo, s38
	s_wait_dscnt 0x0
	;; [unrolled: 20-line block ×3, first 2 shown]
	s_barrier_signal -1
	s_barrier_wait -1
	s_barrier_signal -1
	s_barrier_wait -1
	s_and_saveexec_b32 s38, s4
; %bb.452:                              ;   in Loop: Header=BB111_3 Depth=1
	ds_store_b32 v55, v2 offset:10112
; %bb.453:                              ;   in Loop: Header=BB111_3 Depth=1
	s_or_b32 exec_lo, exec_lo, s38
	s_wait_dscnt 0x0
	s_barrier_signal -1
	s_barrier_wait -1
	s_barrier_signal -1
	s_barrier_wait -1
	s_and_saveexec_b32 s38, s96
	s_cbranch_execz .LBB111_455
; %bb.454:                              ;   in Loop: Header=BB111_3 Depth=1
	ds_load_b32 v2, v54 offset:9344
	s_wait_dscnt 0x0
	ds_store_b32 v58, v2 offset:8336
	ds_load_b32 v2, v54 offset:9348
	s_wait_dscnt 0x0
	ds_store_b32 v58, v2 offset:8592
	ds_load_b32 v2, v54 offset:9352
	s_wait_dscnt 0x0
	ds_store_b32 v58, v2 offset:8848
	ds_load_b32 v2, v54 offset:9356
	s_wait_dscnt 0x0
	ds_store_b32 v58, v2 offset:9104
.LBB111_455:                            ;   in Loop: Header=BB111_3 Depth=1
	s_or_b32 exec_lo, exec_lo, s38
	s_wait_dscnt 0x0
	s_barrier_signal -1
	s_barrier_wait -1
	s_and_saveexec_b32 s38, s11
	s_cbranch_execz .LBB111_457
; %bb.456:                              ;   in Loop: Header=BB111_3 Depth=1
	ds_load_b32 v29, v3 offset:9096
	ds_store_b32 v3, v28 offset:9100
	s_wait_dscnt 0x1
	ds_store_b64 v3, v[28:29] offset:8840
.LBB111_457:                            ;   in Loop: Header=BB111_3 Depth=1
	s_or_b32 exec_lo, exec_lo, s38
	v_mov_b32_e32 v2, 0
	s_wait_dscnt 0x0
	s_barrier_signal -1
	s_barrier_wait -1
	global_wb scope:SCOPE_DEV
	s_wait_storecnt 0x0
	global_inv scope:SCOPE_DEV
	s_and_saveexec_b32 s38, s2
	s_cbranch_execz .LBB111_461
; %bb.458:                              ;   in Loop: Header=BB111_3 Depth=1
	ds_load_b32 v2, v46 offset:8832
	ds_load_b32 v29, v48 offset:9096
	s_wait_dscnt 0x0
	v_fma_f32 v2, v2, v29, 0
	s_and_saveexec_b32 s39, s12
	s_cbranch_execz .LBB111_460
; %bb.459:                              ;   in Loop: Header=BB111_3 Depth=1
	ds_load_b32 v29, v58 offset:9088
	ds_load_b32 v34, v3 offset:9100
	s_wait_dscnt 0x0
	v_fmac_f32_e32 v2, v29, v34
.LBB111_460:                            ;   in Loop: Header=BB111_3 Depth=1
	s_or_b32 exec_lo, exec_lo, s39
.LBB111_461:                            ;   in Loop: Header=BB111_3 Depth=1
	s_delay_alu instid0(SALU_CYCLE_1)
	s_or_b32 exec_lo, exec_lo, s38
	s_and_saveexec_b32 s38, s87
; %bb.462:                              ;   in Loop: Header=BB111_3 Depth=1
	s_delay_alu instid0(VALU_DEP_1)
	v_xor_b32_e32 v29, 0x80000000, v2
	ds_store_b32 v44, v29
; %bb.463:                              ;   in Loop: Header=BB111_3 Depth=1
	s_or_b32 exec_lo, exec_lo, s38
	s_wait_loadcnt_dscnt 0x0
	s_barrier_signal -1
	s_barrier_wait -1
	s_and_saveexec_b32 s38, s88
	s_cbranch_execz .LBB111_465
; %bb.464:                              ;   in Loop: Header=BB111_3 Depth=1
	ds_load_b32 v29, v3 offset:8576
	ds_load_b32 v34, v44
	s_wait_dscnt 0x0
	v_fma_f32 v2, -v29, v34, v2
.LBB111_465:                            ;   in Loop: Header=BB111_3 Depth=1
	s_or_b32 exec_lo, exec_lo, s38
	s_barrier_signal -1
	s_barrier_wait -1
	s_and_saveexec_b32 s38, s88
; %bb.466:                              ;   in Loop: Header=BB111_3 Depth=1
	v_xor_b32_e32 v29, 0x80000000, v2
	ds_store_b32 v44, v29
; %bb.467:                              ;   in Loop: Header=BB111_3 Depth=1
	s_or_b32 exec_lo, exec_lo, s38
	s_wait_dscnt 0x0
	s_barrier_signal -1
	s_barrier_wait -1
	s_barrier_signal -1
	s_barrier_wait -1
	s_and_saveexec_b32 s38, s2
; %bb.468:                              ;   in Loop: Header=BB111_3 Depth=1
	ds_store_b32 v49, v2 offset:9088
; %bb.469:                              ;   in Loop: Header=BB111_3 Depth=1
	s_or_b32 exec_lo, exec_lo, s38
	s_wait_dscnt 0x0
	s_barrier_signal -1
	s_barrier_wait -1
	s_barrier_signal -1
	s_barrier_wait -1
	s_and_saveexec_b32 s38, s89
	s_cbranch_execz .LBB111_471
; %bb.470:                              ;   in Loop: Header=BB111_3 Depth=1
	ds_load_b32 v2, v61 offset:8832
	s_wait_dscnt 0x0
	ds_store_b32 v58, v2 offset:8328
	ds_load_b32 v2, v61 offset:8836
	s_wait_dscnt 0x0
	ds_store_b32 v58, v2 offset:8584
.LBB111_471:                            ;   in Loop: Header=BB111_3 Depth=1
	s_or_b32 exec_lo, exec_lo, s38
	s_wait_dscnt 0x0
	s_barrier_signal -1
	s_barrier_wait -1
	s_and_saveexec_b32 s38, s11
	s_cbranch_execz .LBB111_473
; %bb.472:                              ;   in Loop: Header=BB111_3 Depth=1
	ds_load_b32 v29, v3 offset:8576
	ds_store_b32 v3, v28 offset:8580
	s_wait_dscnt 0x1
	ds_store_b64 v3, v[28:29] offset:8320
.LBB111_473:                            ;   in Loop: Header=BB111_3 Depth=1
	s_or_b32 exec_lo, exec_lo, s38
	v_mov_b32_e32 v2, 0
	s_wait_dscnt 0x0
	s_barrier_signal -1
	s_barrier_wait -1
	global_wb scope:SCOPE_DEV
	s_wait_storecnt 0x0
	global_inv scope:SCOPE_DEV
	s_and_saveexec_b32 s61, s7
	s_cbranch_execz .LBB111_535
; %bb.474:                              ;   in Loop: Header=BB111_3 Depth=1
	ds_load_b32 v2, v64 offset:8192
	ds_load_b32 v29, v68 offset:16256
	s_wait_dscnt 0x0
	v_fma_f32 v2, v2, v29, 0
	s_mov_b32 s38, exec_lo
	v_readlane_b32 s39, v89, 24
	s_and_b32 s39, s38, s39
	s_delay_alu instid0(SALU_CYCLE_1)
	s_mov_b32 exec_lo, s39
	s_cbranch_execz .LBB111_476
; %bb.475:                              ;   in Loop: Header=BB111_3 Depth=1
	ds_load_b32 v29, v64 offset:8448
	ds_load_b32 v34, v68 offset:16260
	s_wait_dscnt 0x0
	v_fmac_f32_e32 v2, v29, v34
.LBB111_476:                            ;   in Loop: Header=BB111_3 Depth=1
	s_or_b32 exec_lo, exec_lo, s38
	s_delay_alu instid0(SALU_CYCLE_1) | instskip(SKIP_2) | instid1(SALU_CYCLE_1)
	s_mov_b32 s38, exec_lo
	v_readlane_b32 s39, v89, 25
	s_and_b32 s39, s38, s39
	s_mov_b32 exec_lo, s39
	s_cbranch_execz .LBB111_478
; %bb.477:                              ;   in Loop: Header=BB111_3 Depth=1
	ds_load_b32 v29, v64 offset:8704
	ds_load_b32 v34, v68 offset:16264
	s_wait_dscnt 0x0
	v_fmac_f32_e32 v2, v29, v34
.LBB111_478:                            ;   in Loop: Header=BB111_3 Depth=1
	s_or_b32 exec_lo, exec_lo, s38
	s_delay_alu instid0(SALU_CYCLE_1) | instskip(SKIP_2) | instid1(SALU_CYCLE_1)
	s_mov_b32 s38, exec_lo
	v_readlane_b32 s39, v89, 26
	s_and_b32 s39, s38, s39
	;; [unrolled: 13-line block ×22, first 2 shown]
	s_mov_b32 exec_lo, s39
	s_cbranch_execz .LBB111_520
; %bb.519:                              ;   in Loop: Header=BB111_3 Depth=1
	ds_load_b32 v29, v64 offset:14080
	ds_load_b32 v34, v68 offset:16348
	s_wait_dscnt 0x0
	v_fmac_f32_e32 v2, v29, v34
.LBB111_520:                            ;   in Loop: Header=BB111_3 Depth=1
	s_or_b32 exec_lo, exec_lo, s38
	s_and_saveexec_b32 s38, s6
	s_cbranch_execz .LBB111_522
; %bb.521:                              ;   in Loop: Header=BB111_3 Depth=1
	ds_load_b32 v29, v64 offset:14336
	ds_load_b32 v34, v68 offset:16352
	s_wait_dscnt 0x0
	v_fmac_f32_e32 v2, v29, v34
.LBB111_522:                            ;   in Loop: Header=BB111_3 Depth=1
	s_or_b32 exec_lo, exec_lo, s38
	s_delay_alu instid0(SALU_CYCLE_1) | instskip(SKIP_2) | instid1(SALU_CYCLE_1)
	s_mov_b32 s38, exec_lo
	v_readlane_b32 s39, v89, 14
	s_and_b32 s39, s38, s39
	s_mov_b32 exec_lo, s39
	s_cbranch_execz .LBB111_524
; %bb.523:                              ;   in Loop: Header=BB111_3 Depth=1
	ds_load_b32 v29, v64 offset:14592
	ds_load_b32 v34, v68 offset:16356
	s_wait_dscnt 0x0
	v_fmac_f32_e32 v2, v29, v34
.LBB111_524:                            ;   in Loop: Header=BB111_3 Depth=1
	s_or_b32 exec_lo, exec_lo, s38
	s_delay_alu instid0(SALU_CYCLE_1) | instskip(SKIP_2) | instid1(SALU_CYCLE_1)
	s_mov_b32 s38, exec_lo
	v_readlane_b32 s39, v89, 16
	s_and_b32 s39, s38, s39
	s_mov_b32 exec_lo, s39
	;; [unrolled: 13-line block ×5, first 2 shown]
	s_cbranch_execnz .LBB111_1199
; %bb.531:                              ;   in Loop: Header=BB111_3 Depth=1
	s_or_b32 exec_lo, exec_lo, s38
	s_and_saveexec_b32 s38, s5
	s_cbranch_execnz .LBB111_1200
.LBB111_532:                            ;   in Loop: Header=BB111_3 Depth=1
	s_or_b32 exec_lo, exec_lo, s38
	s_and_saveexec_b32 s38, s18
	s_cbranch_execz .LBB111_534
.LBB111_533:                            ;   in Loop: Header=BB111_3 Depth=1
	ds_load_b32 v29, v7 offset:16128
	ds_load_b32 v34, v3 offset:16380
	s_wait_dscnt 0x0
	v_fmac_f32_e32 v2, v29, v34
.LBB111_534:                            ;   in Loop: Header=BB111_3 Depth=1
	s_or_b32 exec_lo, exec_lo, s38
.LBB111_535:                            ;   in Loop: Header=BB111_3 Depth=1
	s_delay_alu instid0(SALU_CYCLE_1) | instskip(NEXT) | instid1(SALU_CYCLE_1)
	s_or_b32 exec_lo, exec_lo, s61
	s_mov_b32 s38, exec_lo
	v_readlane_b32 s39, v91, 5
	s_and_b32 s39, s38, s39
	s_delay_alu instid0(SALU_CYCLE_1)
	s_mov_b32 exec_lo, s39
; %bb.536:                              ;   in Loop: Header=BB111_3 Depth=1
	v_xor_b32_e32 v29, 0x80000000, v2
	ds_store_b32 v67, v29
; %bb.537:                              ;   in Loop: Header=BB111_3 Depth=1
	s_or_b32 exec_lo, exec_lo, s38
	s_wait_loadcnt_dscnt 0x0
	s_barrier_signal -1
	s_barrier_wait -1
	s_mov_b32 s38, exec_lo
	v_readlane_b32 s39, v91, 6
	s_and_b32 s39, s38, s39
	s_delay_alu instid0(SALU_CYCLE_1)
	s_mov_b32 exec_lo, s39
	s_cbranch_execz .LBB111_539
; %bb.538:                              ;   in Loop: Header=BB111_3 Depth=1
	ds_load_b32 v29, v64 offset:7936
	ds_load_b32 v34, v67
	s_wait_dscnt 0x0
	v_fma_f32 v2, -v29, v34, v2
.LBB111_539:                            ;   in Loop: Header=BB111_3 Depth=1
	s_or_b32 exec_lo, exec_lo, s38
	s_barrier_signal -1
	s_barrier_wait -1
	s_mov_b32 s38, exec_lo
	v_readlane_b32 s39, v91, 7
	s_and_b32 s39, s38, s39
	s_delay_alu instid0(SALU_CYCLE_1)
	s_mov_b32 exec_lo, s39
; %bb.540:                              ;   in Loop: Header=BB111_3 Depth=1
	v_xor_b32_e32 v29, 0x80000000, v2
	ds_store_b32 v67, v29
; %bb.541:                              ;   in Loop: Header=BB111_3 Depth=1
	s_or_b32 exec_lo, exec_lo, s38
	s_wait_dscnt 0x0
	s_barrier_signal -1
	s_barrier_wait -1
	s_mov_b32 s38, exec_lo
	v_readlane_b32 s39, v91, 8
	s_and_b32 s39, s38, s39
	s_delay_alu instid0(SALU_CYCLE_1)
	s_mov_b32 exec_lo, s39
	s_cbranch_execz .LBB111_543
; %bb.542:                              ;   in Loop: Header=BB111_3 Depth=1
	ds_load_b32 v29, v64 offset:7680
	ds_load_b32 v34, v67
	s_wait_dscnt 0x0
	v_fma_f32 v2, -v29, v34, v2
.LBB111_543:                            ;   in Loop: Header=BB111_3 Depth=1
	s_or_b32 exec_lo, exec_lo, s38
	s_barrier_signal -1
	s_barrier_wait -1
	s_mov_b32 s38, exec_lo
	v_readlane_b32 s39, v91, 9
	s_and_b32 s39, s38, s39
	s_delay_alu instid0(SALU_CYCLE_1)
	s_mov_b32 exec_lo, s39
; %bb.544:                              ;   in Loop: Header=BB111_3 Depth=1
	v_xor_b32_e32 v29, 0x80000000, v2
	ds_store_b32 v67, v29
; %bb.545:                              ;   in Loop: Header=BB111_3 Depth=1
	s_or_b32 exec_lo, exec_lo, s38
	s_wait_dscnt 0x0
	;; [unrolled: 28-line block ×30, first 2 shown]
	s_barrier_signal -1
	s_barrier_wait -1
	s_and_saveexec_b32 s38, s27
	s_cbranch_execz .LBB111_659
; %bb.658:                              ;   in Loop: Header=BB111_3 Depth=1
	ds_load_b32 v29, v3 offset:256
	ds_load_b32 v34, v67
	s_wait_dscnt 0x0
	v_fma_f32 v2, -v29, v34, v2
.LBB111_659:                            ;   in Loop: Header=BB111_3 Depth=1
	s_or_b32 exec_lo, exec_lo, s38
	s_barrier_signal -1
	s_barrier_wait -1
	s_and_saveexec_b32 s38, s27
; %bb.660:                              ;   in Loop: Header=BB111_3 Depth=1
	v_xor_b32_e32 v29, 0x80000000, v2
	ds_store_b32 v67, v29
; %bb.661:                              ;   in Loop: Header=BB111_3 Depth=1
	s_or_b32 exec_lo, exec_lo, s38
	s_wait_dscnt 0x0
	s_barrier_signal -1
	s_barrier_wait -1
	s_barrier_signal -1
	s_barrier_wait -1
	s_and_saveexec_b32 s38, s7
; %bb.662:                              ;   in Loop: Header=BB111_3 Depth=1
	ds_store_b32 v69, v2 offset:16128
; %bb.663:                              ;   in Loop: Header=BB111_3 Depth=1
	s_or_b32 exec_lo, exec_lo, s38
	s_wait_dscnt 0x0
	s_barrier_signal -1
	s_barrier_wait -1
	s_barrier_signal -1
	s_barrier_wait -1
	s_mov_b32 s61, exec_lo
	v_readlane_b32 s38, v89, 2
	s_and_b32 s38, s61, s38
	s_delay_alu instid0(SALU_CYCLE_1)
	s_mov_b32 exec_lo, s38
	s_cbranch_execz .LBB111_665
; %bb.664:                              ;   in Loop: Header=BB111_3 Depth=1
	ds_load_b32 v2, v9 offset:8192
	s_wait_dscnt 0x0
	ds_store_b32 v38, v2 offset:128
	ds_load_b32 v2, v9 offset:8196
	s_wait_dscnt 0x0
	ds_store_b32 v38, v2 offset:384
	;; [unrolled: 3-line block ×32, first 2 shown]
.LBB111_665:                            ;   in Loop: Header=BB111_3 Depth=1
	s_or_b32 exec_lo, exec_lo, s61
	s_wait_dscnt 0x0
	s_barrier_signal -1
	s_barrier_wait -1
	s_and_saveexec_b32 s38, s11
	s_cbranch_execz .LBB111_667
; %bb.666:                              ;   in Loop: Header=BB111_3 Depth=1
	ds_load_b32 v29, v3 offset:8056
	ds_store_b32 v3, v28 offset:8060
	s_wait_dscnt 0x1
	ds_store_b64 v3, v[28:29] offset:7800
.LBB111_667:                            ;   in Loop: Header=BB111_3 Depth=1
	s_or_b32 exec_lo, exec_lo, s38
	v_mov_b32_e32 v2, 0
	s_wait_dscnt 0x0
	s_barrier_signal -1
	s_barrier_wait -1
	global_wb scope:SCOPE_DEV
	s_wait_storecnt 0x0
	global_inv scope:SCOPE_DEV
	s_and_saveexec_b32 s38, s2
	s_cbranch_execz .LBB111_671
; %bb.668:                              ;   in Loop: Header=BB111_3 Depth=1
	ds_load_b32 v2, v46 offset:7792
	ds_load_b32 v29, v48 offset:8056
	s_wait_dscnt 0x0
	v_fma_f32 v2, v2, v29, 0
	s_and_saveexec_b32 s39, s12
	s_cbranch_execz .LBB111_670
; %bb.669:                              ;   in Loop: Header=BB111_3 Depth=1
	ds_load_b32 v29, v7 offset:8048
	ds_load_b32 v34, v3 offset:8060
	s_wait_dscnt 0x0
	v_fmac_f32_e32 v2, v29, v34
.LBB111_670:                            ;   in Loop: Header=BB111_3 Depth=1
	s_or_b32 exec_lo, exec_lo, s39
.LBB111_671:                            ;   in Loop: Header=BB111_3 Depth=1
	s_delay_alu instid0(SALU_CYCLE_1)
	s_or_b32 exec_lo, exec_lo, s38
	s_and_saveexec_b32 s38, s87
; %bb.672:                              ;   in Loop: Header=BB111_3 Depth=1
	s_delay_alu instid0(VALU_DEP_1)
	v_xor_b32_e32 v29, 0x80000000, v2
	ds_store_b32 v44, v29
; %bb.673:                              ;   in Loop: Header=BB111_3 Depth=1
	s_or_b32 exec_lo, exec_lo, s38
	s_wait_loadcnt_dscnt 0x0
	s_barrier_signal -1
	s_barrier_wait -1
	s_and_saveexec_b32 s38, s88
	s_cbranch_execz .LBB111_675
; %bb.674:                              ;   in Loop: Header=BB111_3 Depth=1
	ds_load_b32 v29, v3 offset:7536
	ds_load_b32 v34, v44
	s_wait_dscnt 0x0
	v_fma_f32 v2, -v29, v34, v2
.LBB111_675:                            ;   in Loop: Header=BB111_3 Depth=1
	s_or_b32 exec_lo, exec_lo, s38
	s_barrier_signal -1
	s_barrier_wait -1
	s_and_saveexec_b32 s38, s88
; %bb.676:                              ;   in Loop: Header=BB111_3 Depth=1
	v_xor_b32_e32 v29, 0x80000000, v2
	ds_store_b32 v44, v29
; %bb.677:                              ;   in Loop: Header=BB111_3 Depth=1
	s_or_b32 exec_lo, exec_lo, s38
	s_wait_dscnt 0x0
	s_barrier_signal -1
	s_barrier_wait -1
	s_barrier_signal -1
	s_barrier_wait -1
	s_and_saveexec_b32 s38, s2
; %bb.678:                              ;   in Loop: Header=BB111_3 Depth=1
	ds_store_b32 v49, v2 offset:8048
; %bb.679:                              ;   in Loop: Header=BB111_3 Depth=1
	s_or_b32 exec_lo, exec_lo, s38
	s_wait_dscnt 0x0
	s_barrier_signal -1
	s_barrier_wait -1
	s_barrier_signal -1
	s_barrier_wait -1
	s_and_saveexec_b32 s38, s89
	s_cbranch_execz .LBB111_681
; %bb.680:                              ;   in Loop: Header=BB111_3 Depth=1
	ds_load_b32 v2, v9 offset:7792
	s_wait_dscnt 0x0
	ds_store_b32 v7, v2 offset:7288
	ds_load_b32 v2, v9 offset:7796
	s_wait_dscnt 0x0
	ds_store_b32 v7, v2 offset:7544
.LBB111_681:                            ;   in Loop: Header=BB111_3 Depth=1
	s_or_b32 exec_lo, exec_lo, s38
	s_wait_dscnt 0x0
	s_barrier_signal -1
	s_barrier_wait -1
	s_and_saveexec_b32 s38, s11
	s_cbranch_execz .LBB111_683
; %bb.682:                              ;   in Loop: Header=BB111_3 Depth=1
	ds_load_b32 v29, v3 offset:7536
	ds_store_b32 v3, v28 offset:7540
	s_wait_dscnt 0x1
	ds_store_b64 v3, v[28:29] offset:7280
.LBB111_683:                            ;   in Loop: Header=BB111_3 Depth=1
	s_or_b32 exec_lo, exec_lo, s38
	v_mov_b32_e32 v2, 0
	s_wait_dscnt 0x0
	s_barrier_signal -1
	s_barrier_wait -1
	global_wb scope:SCOPE_DEV
	s_wait_storecnt 0x0
	global_inv scope:SCOPE_DEV
	s_and_saveexec_b32 s61, s4
	s_cbranch_execz .LBB111_689
; %bb.684:                              ;   in Loop: Header=BB111_3 Depth=1
	ds_load_b32 v2, v52 offset:7264
	ds_load_b32 v29, v53 offset:8048
	s_wait_dscnt 0x0
	v_fma_f32 v2, v2, v29, 0
	s_and_saveexec_b32 s38, s13
	s_cbranch_execnz .LBB111_1201
; %bb.685:                              ;   in Loop: Header=BB111_3 Depth=1
	s_or_b32 exec_lo, exec_lo, s38
	s_and_saveexec_b32 s38, s14
	s_cbranch_execnz .LBB111_1202
.LBB111_686:                            ;   in Loop: Header=BB111_3 Depth=1
	s_or_b32 exec_lo, exec_lo, s38
	s_and_saveexec_b32 s38, s2
	s_cbranch_execz .LBB111_688
.LBB111_687:                            ;   in Loop: Header=BB111_3 Depth=1
	ds_load_b32 v29, v38 offset:8032
	ds_load_b32 v34, v3 offset:8060
	s_wait_dscnt 0x0
	v_fmac_f32_e32 v2, v29, v34
.LBB111_688:                            ;   in Loop: Header=BB111_3 Depth=1
	s_or_b32 exec_lo, exec_lo, s38
.LBB111_689:                            ;   in Loop: Header=BB111_3 Depth=1
	s_delay_alu instid0(SALU_CYCLE_1)
	s_or_b32 exec_lo, exec_lo, s61
	s_and_saveexec_b32 s38, s90
; %bb.690:                              ;   in Loop: Header=BB111_3 Depth=1
	s_delay_alu instid0(VALU_DEP_1)
	v_xor_b32_e32 v29, 0x80000000, v2
	ds_store_b32 v50, v29
; %bb.691:                              ;   in Loop: Header=BB111_3 Depth=1
	s_or_b32 exec_lo, exec_lo, s38
	s_wait_loadcnt_dscnt 0x0
	s_barrier_signal -1
	s_barrier_wait -1
	s_and_saveexec_b32 s38, s91
	s_cbranch_execz .LBB111_693
; %bb.692:                              ;   in Loop: Header=BB111_3 Depth=1
	ds_load_b32 v29, v52 offset:7008
	ds_load_b32 v34, v50
	s_wait_dscnt 0x0
	v_fma_f32 v2, -v29, v34, v2
.LBB111_693:                            ;   in Loop: Header=BB111_3 Depth=1
	s_or_b32 exec_lo, exec_lo, s38
	s_barrier_signal -1
	s_barrier_wait -1
	s_and_saveexec_b32 s38, s92
; %bb.694:                              ;   in Loop: Header=BB111_3 Depth=1
	v_xor_b32_e32 v29, 0x80000000, v2
	ds_store_b32 v50, v29
; %bb.695:                              ;   in Loop: Header=BB111_3 Depth=1
	s_or_b32 exec_lo, exec_lo, s38
	s_wait_dscnt 0x0
	s_barrier_signal -1
	s_barrier_wait -1
	s_and_saveexec_b32 s38, s93
	s_cbranch_execz .LBB111_697
; %bb.696:                              ;   in Loop: Header=BB111_3 Depth=1
	ds_load_b32 v29, v52 offset:6752
	ds_load_b32 v34, v50
	s_wait_dscnt 0x0
	v_fma_f32 v2, -v29, v34, v2
.LBB111_697:                            ;   in Loop: Header=BB111_3 Depth=1
	s_or_b32 exec_lo, exec_lo, s38
	s_barrier_signal -1
	s_barrier_wait -1
	s_and_saveexec_b32 s38, s94
; %bb.698:                              ;   in Loop: Header=BB111_3 Depth=1
	v_xor_b32_e32 v29, 0x80000000, v2
	ds_store_b32 v50, v29
; %bb.699:                              ;   in Loop: Header=BB111_3 Depth=1
	s_or_b32 exec_lo, exec_lo, s38
	s_wait_dscnt 0x0
	;; [unrolled: 20-line block ×3, first 2 shown]
	s_barrier_signal -1
	s_barrier_wait -1
	s_barrier_signal -1
	s_barrier_wait -1
	s_and_saveexec_b32 s38, s4
; %bb.704:                              ;   in Loop: Header=BB111_3 Depth=1
	ds_store_b32 v55, v2 offset:8032
; %bb.705:                              ;   in Loop: Header=BB111_3 Depth=1
	s_or_b32 exec_lo, exec_lo, s38
	s_wait_dscnt 0x0
	s_barrier_signal -1
	s_barrier_wait -1
	s_barrier_signal -1
	s_barrier_wait -1
	s_and_saveexec_b32 s38, s96
	s_cbranch_execz .LBB111_707
; %bb.706:                              ;   in Loop: Header=BB111_3 Depth=1
	ds_load_b32 v2, v39 offset:7264
	s_wait_dscnt 0x0
	ds_store_b32 v40, v2 offset:6256
	ds_load_b32 v2, v39 offset:7268
	s_wait_dscnt 0x0
	ds_store_b32 v40, v2 offset:6512
	;; [unrolled: 3-line block ×4, first 2 shown]
.LBB111_707:                            ;   in Loop: Header=BB111_3 Depth=1
	s_or_b32 exec_lo, exec_lo, s38
	s_wait_dscnt 0x0
	s_barrier_signal -1
	s_barrier_wait -1
	s_and_saveexec_b32 s38, s11
	s_cbranch_execz .LBB111_709
; %bb.708:                              ;   in Loop: Header=BB111_3 Depth=1
	ds_load_b32 v29, v3 offset:7016
	ds_store_b32 v3, v28 offset:7020
	s_wait_dscnt 0x1
	ds_store_b64 v3, v[28:29] offset:6760
.LBB111_709:                            ;   in Loop: Header=BB111_3 Depth=1
	s_or_b32 exec_lo, exec_lo, s38
	v_mov_b32_e32 v2, 0
	s_wait_dscnt 0x0
	s_barrier_signal -1
	s_barrier_wait -1
	global_wb scope:SCOPE_DEV
	s_wait_storecnt 0x0
	global_inv scope:SCOPE_DEV
	s_and_saveexec_b32 s38, s2
	s_cbranch_execz .LBB111_713
; %bb.710:                              ;   in Loop: Header=BB111_3 Depth=1
	ds_load_b32 v2, v46 offset:6752
	ds_load_b32 v29, v48 offset:7016
	s_wait_dscnt 0x0
	v_fma_f32 v2, v2, v29, 0
	s_and_saveexec_b32 s39, s12
	s_cbranch_execz .LBB111_712
; %bb.711:                              ;   in Loop: Header=BB111_3 Depth=1
	ds_load_b32 v29, v40 offset:7008
	ds_load_b32 v34, v3 offset:7020
	s_wait_dscnt 0x0
	v_fmac_f32_e32 v2, v29, v34
.LBB111_712:                            ;   in Loop: Header=BB111_3 Depth=1
	s_or_b32 exec_lo, exec_lo, s39
.LBB111_713:                            ;   in Loop: Header=BB111_3 Depth=1
	s_delay_alu instid0(SALU_CYCLE_1)
	s_or_b32 exec_lo, exec_lo, s38
	s_and_saveexec_b32 s38, s87
; %bb.714:                              ;   in Loop: Header=BB111_3 Depth=1
	s_delay_alu instid0(VALU_DEP_1)
	v_xor_b32_e32 v29, 0x80000000, v2
	ds_store_b32 v44, v29
; %bb.715:                              ;   in Loop: Header=BB111_3 Depth=1
	s_or_b32 exec_lo, exec_lo, s38
	s_wait_loadcnt_dscnt 0x0
	s_barrier_signal -1
	s_barrier_wait -1
	s_and_saveexec_b32 s38, s88
	s_cbranch_execz .LBB111_717
; %bb.716:                              ;   in Loop: Header=BB111_3 Depth=1
	ds_load_b32 v29, v3 offset:6496
	ds_load_b32 v34, v44
	s_wait_dscnt 0x0
	v_fma_f32 v2, -v29, v34, v2
.LBB111_717:                            ;   in Loop: Header=BB111_3 Depth=1
	s_or_b32 exec_lo, exec_lo, s38
	s_barrier_signal -1
	s_barrier_wait -1
	s_and_saveexec_b32 s38, s88
; %bb.718:                              ;   in Loop: Header=BB111_3 Depth=1
	v_xor_b32_e32 v29, 0x80000000, v2
	ds_store_b32 v44, v29
; %bb.719:                              ;   in Loop: Header=BB111_3 Depth=1
	s_or_b32 exec_lo, exec_lo, s38
	s_wait_dscnt 0x0
	s_barrier_signal -1
	s_barrier_wait -1
	s_barrier_signal -1
	s_barrier_wait -1
	s_and_saveexec_b32 s38, s2
; %bb.720:                              ;   in Loop: Header=BB111_3 Depth=1
	ds_store_b32 v49, v2 offset:7008
; %bb.721:                              ;   in Loop: Header=BB111_3 Depth=1
	s_or_b32 exec_lo, exec_lo, s38
	s_wait_dscnt 0x0
	s_barrier_signal -1
	s_barrier_wait -1
	s_barrier_signal -1
	s_barrier_wait -1
	s_and_saveexec_b32 s38, s89
	s_cbranch_execz .LBB111_723
; %bb.722:                              ;   in Loop: Header=BB111_3 Depth=1
	ds_load_b32 v2, v41 offset:6752
	s_wait_dscnt 0x0
	ds_store_b32 v40, v2 offset:6248
	ds_load_b32 v2, v41 offset:6756
	s_wait_dscnt 0x0
	ds_store_b32 v40, v2 offset:6504
.LBB111_723:                            ;   in Loop: Header=BB111_3 Depth=1
	s_or_b32 exec_lo, exec_lo, s38
	s_wait_dscnt 0x0
	s_barrier_signal -1
	s_barrier_wait -1
	s_and_saveexec_b32 s38, s11
	s_cbranch_execz .LBB111_725
; %bb.724:                              ;   in Loop: Header=BB111_3 Depth=1
	ds_load_b32 v29, v3 offset:6496
	ds_store_b32 v3, v28 offset:6500
	s_wait_dscnt 0x1
	ds_store_b64 v3, v[28:29] offset:6240
.LBB111_725:                            ;   in Loop: Header=BB111_3 Depth=1
	s_or_b32 exec_lo, exec_lo, s38
	v_mov_b32_e32 v2, 0
	s_wait_dscnt 0x0
	s_barrier_signal -1
	s_barrier_wait -1
	global_wb scope:SCOPE_DEV
	s_wait_storecnt 0x0
	global_inv scope:SCOPE_DEV
	s_and_saveexec_b32 s61, s5
	s_cbranch_execz .LBB111_735
; %bb.726:                              ;   in Loop: Header=BB111_3 Depth=1
	ds_load_b32 v2, v56 offset:6208
	ds_load_b32 v29, v59 offset:8032
	s_wait_dscnt 0x0
	v_fma_f32 v2, v2, v29, 0
	s_and_saveexec_b32 s38, s15
	s_cbranch_execnz .LBB111_1203
; %bb.727:                              ;   in Loop: Header=BB111_3 Depth=1
	s_or_b32 exec_lo, exec_lo, s38
	s_and_saveexec_b32 s38, s16
	s_cbranch_execnz .LBB111_1204
.LBB111_728:                            ;   in Loop: Header=BB111_3 Depth=1
	s_or_b32 exec_lo, exec_lo, s38
	s_and_saveexec_b32 s38, s17
	s_cbranch_execnz .LBB111_1205
.LBB111_729:                            ;   in Loop: Header=BB111_3 Depth=1
	s_or_b32 exec_lo, exec_lo, s38
	s_and_saveexec_b32 s38, s18
	s_cbranch_execnz .LBB111_1206
.LBB111_730:                            ;   in Loop: Header=BB111_3 Depth=1
	s_or_b32 exec_lo, exec_lo, s38
	s_and_saveexec_b32 s38, s19
	s_cbranch_execnz .LBB111_1207
.LBB111_731:                            ;   in Loop: Header=BB111_3 Depth=1
	s_or_b32 exec_lo, exec_lo, s38
	s_and_saveexec_b32 s38, s4
	s_cbranch_execnz .LBB111_1208
.LBB111_732:                            ;   in Loop: Header=BB111_3 Depth=1
	s_or_b32 exec_lo, exec_lo, s38
	s_and_saveexec_b32 s38, s14
	s_cbranch_execz .LBB111_734
.LBB111_733:                            ;   in Loop: Header=BB111_3 Depth=1
	ds_load_b32 v29, v42 offset:8000
	ds_load_b32 v34, v3 offset:8060
	s_wait_dscnt 0x0
	v_fmac_f32_e32 v2, v29, v34
.LBB111_734:                            ;   in Loop: Header=BB111_3 Depth=1
	s_or_b32 exec_lo, exec_lo, s38
.LBB111_735:                            ;   in Loop: Header=BB111_3 Depth=1
	s_delay_alu instid0(SALU_CYCLE_1)
	s_or_b32 exec_lo, exec_lo, s61
	s_and_saveexec_b32 s38, s97
; %bb.736:                              ;   in Loop: Header=BB111_3 Depth=1
	s_delay_alu instid0(VALU_DEP_1)
	v_xor_b32_e32 v29, 0x80000000, v2
	ds_store_b32 v57, v29
; %bb.737:                              ;   in Loop: Header=BB111_3 Depth=1
	s_or_b32 exec_lo, exec_lo, s38
	s_wait_loadcnt_dscnt 0x0
	s_barrier_signal -1
	s_barrier_wait -1
	s_and_saveexec_b32 s38, s98
	s_cbranch_execz .LBB111_739
; %bb.738:                              ;   in Loop: Header=BB111_3 Depth=1
	ds_load_b32 v29, v56 offset:5952
	ds_load_b32 v34, v57
	s_wait_dscnt 0x0
	v_fma_f32 v2, -v29, v34, v2
.LBB111_739:                            ;   in Loop: Header=BB111_3 Depth=1
	s_or_b32 exec_lo, exec_lo, s38
	s_barrier_signal -1
	s_barrier_wait -1
	s_and_saveexec_b32 s38, s99
; %bb.740:                              ;   in Loop: Header=BB111_3 Depth=1
	v_xor_b32_e32 v29, 0x80000000, v2
	ds_store_b32 v57, v29
; %bb.741:                              ;   in Loop: Header=BB111_3 Depth=1
	s_or_b32 exec_lo, exec_lo, s38
	s_wait_dscnt 0x0
	s_barrier_signal -1
	s_barrier_wait -1
	s_and_saveexec_b32 s38, s100
	s_cbranch_execz .LBB111_743
; %bb.742:                              ;   in Loop: Header=BB111_3 Depth=1
	ds_load_b32 v29, v56 offset:5696
	ds_load_b32 v34, v57
	s_wait_dscnt 0x0
	v_fma_f32 v2, -v29, v34, v2
.LBB111_743:                            ;   in Loop: Header=BB111_3 Depth=1
	s_or_b32 exec_lo, exec_lo, s38
	s_barrier_signal -1
	s_barrier_wait -1
	s_and_saveexec_b32 s38, s101
; %bb.744:                              ;   in Loop: Header=BB111_3 Depth=1
	v_xor_b32_e32 v29, 0x80000000, v2
	ds_store_b32 v57, v29
; %bb.745:                              ;   in Loop: Header=BB111_3 Depth=1
	s_or_b32 exec_lo, exec_lo, s38
	s_wait_dscnt 0x0
	;; [unrolled: 20-line block ×3, first 2 shown]
	s_barrier_signal -1
	s_barrier_wait -1
	s_and_saveexec_b32 s38, s104
	s_cbranch_execz .LBB111_751
; %bb.750:                              ;   in Loop: Header=BB111_3 Depth=1
	ds_load_b32 v29, v56 offset:5184
	ds_load_b32 v34, v57
	s_wait_dscnt 0x0
	v_fma_f32 v2, -v29, v34, v2
.LBB111_751:                            ;   in Loop: Header=BB111_3 Depth=1
	s_or_b32 exec_lo, exec_lo, s38
	s_barrier_signal -1
	s_barrier_wait -1
	s_and_saveexec_b32 s38, vcc_hi
; %bb.752:                              ;   in Loop: Header=BB111_3 Depth=1
	v_xor_b32_e32 v29, 0x80000000, v2
	ds_store_b32 v57, v29
; %bb.753:                              ;   in Loop: Header=BB111_3 Depth=1
	s_or_b32 exec_lo, exec_lo, s38
	s_wait_dscnt 0x0
	s_barrier_signal -1
	s_barrier_wait -1
	s_and_saveexec_b32 s38, s31
	s_cbranch_execz .LBB111_755
; %bb.754:                              ;   in Loop: Header=BB111_3 Depth=1
	ds_load_b32 v29, v56 offset:4928
	ds_load_b32 v34, v57
	s_wait_dscnt 0x0
	v_fma_f32 v2, -v29, v34, v2
.LBB111_755:                            ;   in Loop: Header=BB111_3 Depth=1
	s_or_b32 exec_lo, exec_lo, s38
	s_barrier_signal -1
	s_barrier_wait -1
	s_and_saveexec_b32 s38, s33
; %bb.756:                              ;   in Loop: Header=BB111_3 Depth=1
	v_xor_b32_e32 v29, 0x80000000, v2
	ds_store_b32 v57, v29
; %bb.757:                              ;   in Loop: Header=BB111_3 Depth=1
	s_or_b32 exec_lo, exec_lo, s38
	s_wait_dscnt 0x0
	s_barrier_signal -1
	s_barrier_wait -1
	s_and_saveexec_b32 s38, s34
	s_cbranch_execz .LBB111_759
; %bb.758:                              ;   in Loop: Header=BB111_3 Depth=1
	ds_load_b32 v29, v56 offset:4672
	ds_load_b32 v34, v57
	s_wait_dscnt 0x0
	v_fma_f32 v2, -v29, v34, v2
.LBB111_759:                            ;   in Loop: Header=BB111_3 Depth=1
	s_or_b32 exec_lo, exec_lo, s38
	s_barrier_signal -1
	s_barrier_wait -1
	s_and_saveexec_b32 s38, s35
	;; [unrolled: 20-line block ×3, first 2 shown]
; %bb.764:                              ;   in Loop: Header=BB111_3 Depth=1
	v_xor_b32_e32 v29, 0x80000000, v2
	ds_store_b32 v57, v29
; %bb.765:                              ;   in Loop: Header=BB111_3 Depth=1
	s_or_b32 exec_lo, exec_lo, s38
	s_wait_dscnt 0x0
	s_barrier_signal -1
	s_barrier_wait -1
	s_barrier_signal -1
	s_barrier_wait -1
	s_and_saveexec_b32 s38, s5
; %bb.766:                              ;   in Loop: Header=BB111_3 Depth=1
	ds_store_b32 v60, v2 offset:8000
; %bb.767:                              ;   in Loop: Header=BB111_3 Depth=1
	s_or_b32 exec_lo, exec_lo, s38
	s_wait_dscnt 0x0
	s_barrier_signal -1
	s_barrier_wait -1
	s_barrier_signal -1
	s_barrier_wait -1
	s_and_saveexec_b32 s38, s37
	s_cbranch_execz .LBB111_769
; %bb.768:                              ;   in Loop: Header=BB111_3 Depth=1
	ds_load_b32 v2, v43 offset:6208
	s_wait_dscnt 0x0
	ds_store_b32 v45, v2 offset:4192
	ds_load_b32 v2, v43 offset:6212
	s_wait_dscnt 0x0
	ds_store_b32 v45, v2 offset:4448
	;; [unrolled: 3-line block ×8, first 2 shown]
.LBB111_769:                            ;   in Loop: Header=BB111_3 Depth=1
	s_or_b32 exec_lo, exec_lo, s38
	s_wait_dscnt 0x0
	s_barrier_signal -1
	s_barrier_wait -1
	s_and_saveexec_b32 s38, s11
	s_cbranch_execz .LBB111_771
; %bb.770:                              ;   in Loop: Header=BB111_3 Depth=1
	ds_load_b32 v29, v3 offset:5976
	ds_store_b32 v3, v28 offset:5980
	s_wait_dscnt 0x1
	ds_store_b64 v3, v[28:29] offset:5720
.LBB111_771:                            ;   in Loop: Header=BB111_3 Depth=1
	s_or_b32 exec_lo, exec_lo, s38
	v_mov_b32_e32 v2, 0
	s_wait_dscnt 0x0
	s_barrier_signal -1
	s_barrier_wait -1
	global_wb scope:SCOPE_DEV
	s_wait_storecnt 0x0
	global_inv scope:SCOPE_DEV
	s_and_saveexec_b32 s38, s2
	s_cbranch_execz .LBB111_775
; %bb.772:                              ;   in Loop: Header=BB111_3 Depth=1
	ds_load_b32 v2, v46 offset:5712
	ds_load_b32 v29, v48 offset:5976
	s_wait_dscnt 0x0
	v_fma_f32 v2, v2, v29, 0
	s_and_saveexec_b32 s39, s12
	s_cbranch_execz .LBB111_774
; %bb.773:                              ;   in Loop: Header=BB111_3 Depth=1
	ds_load_b32 v29, v45 offset:5968
	ds_load_b32 v34, v3 offset:5980
	s_wait_dscnt 0x0
	v_fmac_f32_e32 v2, v29, v34
.LBB111_774:                            ;   in Loop: Header=BB111_3 Depth=1
	s_or_b32 exec_lo, exec_lo, s39
.LBB111_775:                            ;   in Loop: Header=BB111_3 Depth=1
	s_delay_alu instid0(SALU_CYCLE_1)
	s_or_b32 exec_lo, exec_lo, s38
	s_and_saveexec_b32 s38, s87
; %bb.776:                              ;   in Loop: Header=BB111_3 Depth=1
	s_delay_alu instid0(VALU_DEP_1)
	v_xor_b32_e32 v29, 0x80000000, v2
	ds_store_b32 v44, v29
; %bb.777:                              ;   in Loop: Header=BB111_3 Depth=1
	s_or_b32 exec_lo, exec_lo, s38
	s_wait_loadcnt_dscnt 0x0
	s_barrier_signal -1
	s_barrier_wait -1
	s_and_saveexec_b32 s38, s88
	s_cbranch_execz .LBB111_779
; %bb.778:                              ;   in Loop: Header=BB111_3 Depth=1
	ds_load_b32 v29, v3 offset:5456
	ds_load_b32 v34, v44
	s_wait_dscnt 0x0
	v_fma_f32 v2, -v29, v34, v2
.LBB111_779:                            ;   in Loop: Header=BB111_3 Depth=1
	s_or_b32 exec_lo, exec_lo, s38
	s_barrier_signal -1
	s_barrier_wait -1
	s_and_saveexec_b32 s38, s88
; %bb.780:                              ;   in Loop: Header=BB111_3 Depth=1
	v_xor_b32_e32 v29, 0x80000000, v2
	ds_store_b32 v44, v29
; %bb.781:                              ;   in Loop: Header=BB111_3 Depth=1
	s_or_b32 exec_lo, exec_lo, s38
	s_wait_dscnt 0x0
	s_barrier_signal -1
	s_barrier_wait -1
	s_barrier_signal -1
	s_barrier_wait -1
	s_and_saveexec_b32 s38, s2
; %bb.782:                              ;   in Loop: Header=BB111_3 Depth=1
	ds_store_b32 v49, v2 offset:5968
; %bb.783:                              ;   in Loop: Header=BB111_3 Depth=1
	s_or_b32 exec_lo, exec_lo, s38
	s_wait_dscnt 0x0
	s_barrier_signal -1
	s_barrier_wait -1
	s_barrier_signal -1
	s_barrier_wait -1
	s_and_saveexec_b32 s38, s89
	s_cbranch_execz .LBB111_785
; %bb.784:                              ;   in Loop: Header=BB111_3 Depth=1
	ds_load_b32 v2, v47 offset:5712
	s_wait_dscnt 0x0
	ds_store_b32 v45, v2 offset:5208
	ds_load_b32 v2, v47 offset:5716
	s_wait_dscnt 0x0
	ds_store_b32 v45, v2 offset:5464
.LBB111_785:                            ;   in Loop: Header=BB111_3 Depth=1
	s_or_b32 exec_lo, exec_lo, s38
	s_wait_dscnt 0x0
	s_barrier_signal -1
	s_barrier_wait -1
	s_and_saveexec_b32 s38, s11
	s_cbranch_execz .LBB111_787
; %bb.786:                              ;   in Loop: Header=BB111_3 Depth=1
	ds_load_b32 v29, v3 offset:5456
	ds_store_b32 v3, v28 offset:5460
	s_wait_dscnt 0x1
	ds_store_b64 v3, v[28:29] offset:5200
.LBB111_787:                            ;   in Loop: Header=BB111_3 Depth=1
	s_or_b32 exec_lo, exec_lo, s38
	v_mov_b32_e32 v2, 0
	s_wait_dscnt 0x0
	s_barrier_signal -1
	s_barrier_wait -1
	global_wb scope:SCOPE_DEV
	s_wait_storecnt 0x0
	global_inv scope:SCOPE_DEV
	s_and_saveexec_b32 s61, s4
	s_cbranch_execz .LBB111_793
; %bb.788:                              ;   in Loop: Header=BB111_3 Depth=1
	ds_load_b32 v2, v52 offset:5184
	ds_load_b32 v29, v53 offset:5968
	s_wait_dscnt 0x0
	v_fma_f32 v2, v2, v29, 0
	s_and_saveexec_b32 s38, s13
	s_cbranch_execnz .LBB111_1209
; %bb.789:                              ;   in Loop: Header=BB111_3 Depth=1
	s_or_b32 exec_lo, exec_lo, s38
	s_and_saveexec_b32 s38, s14
	s_cbranch_execnz .LBB111_1210
.LBB111_790:                            ;   in Loop: Header=BB111_3 Depth=1
	s_or_b32 exec_lo, exec_lo, s38
	s_and_saveexec_b32 s38, s2
	s_cbranch_execz .LBB111_792
.LBB111_791:                            ;   in Loop: Header=BB111_3 Depth=1
	ds_load_b32 v29, v51 offset:5952
	ds_load_b32 v34, v3 offset:5980
	s_wait_dscnt 0x0
	v_fmac_f32_e32 v2, v29, v34
.LBB111_792:                            ;   in Loop: Header=BB111_3 Depth=1
	s_or_b32 exec_lo, exec_lo, s38
.LBB111_793:                            ;   in Loop: Header=BB111_3 Depth=1
	s_delay_alu instid0(SALU_CYCLE_1)
	s_or_b32 exec_lo, exec_lo, s61
	s_and_saveexec_b32 s38, s90
; %bb.794:                              ;   in Loop: Header=BB111_3 Depth=1
	s_delay_alu instid0(VALU_DEP_1)
	v_xor_b32_e32 v29, 0x80000000, v2
	ds_store_b32 v50, v29
; %bb.795:                              ;   in Loop: Header=BB111_3 Depth=1
	s_or_b32 exec_lo, exec_lo, s38
	s_wait_loadcnt_dscnt 0x0
	s_barrier_signal -1
	s_barrier_wait -1
	s_and_saveexec_b32 s38, s91
	s_cbranch_execz .LBB111_797
; %bb.796:                              ;   in Loop: Header=BB111_3 Depth=1
	ds_load_b32 v29, v52 offset:4928
	ds_load_b32 v34, v50
	s_wait_dscnt 0x0
	v_fma_f32 v2, -v29, v34, v2
.LBB111_797:                            ;   in Loop: Header=BB111_3 Depth=1
	s_or_b32 exec_lo, exec_lo, s38
	s_barrier_signal -1
	s_barrier_wait -1
	s_and_saveexec_b32 s38, s92
; %bb.798:                              ;   in Loop: Header=BB111_3 Depth=1
	v_xor_b32_e32 v29, 0x80000000, v2
	ds_store_b32 v50, v29
; %bb.799:                              ;   in Loop: Header=BB111_3 Depth=1
	s_or_b32 exec_lo, exec_lo, s38
	s_wait_dscnt 0x0
	s_barrier_signal -1
	s_barrier_wait -1
	s_and_saveexec_b32 s38, s93
	s_cbranch_execz .LBB111_801
; %bb.800:                              ;   in Loop: Header=BB111_3 Depth=1
	ds_load_b32 v29, v52 offset:4672
	ds_load_b32 v34, v50
	s_wait_dscnt 0x0
	v_fma_f32 v2, -v29, v34, v2
.LBB111_801:                            ;   in Loop: Header=BB111_3 Depth=1
	s_or_b32 exec_lo, exec_lo, s38
	s_barrier_signal -1
	s_barrier_wait -1
	s_and_saveexec_b32 s38, s94
; %bb.802:                              ;   in Loop: Header=BB111_3 Depth=1
	v_xor_b32_e32 v29, 0x80000000, v2
	ds_store_b32 v50, v29
; %bb.803:                              ;   in Loop: Header=BB111_3 Depth=1
	s_or_b32 exec_lo, exec_lo, s38
	s_wait_dscnt 0x0
	;; [unrolled: 20-line block ×3, first 2 shown]
	s_barrier_signal -1
	s_barrier_wait -1
	s_barrier_signal -1
	s_barrier_wait -1
	s_and_saveexec_b32 s38, s4
; %bb.808:                              ;   in Loop: Header=BB111_3 Depth=1
	ds_store_b32 v55, v2 offset:5952
; %bb.809:                              ;   in Loop: Header=BB111_3 Depth=1
	s_or_b32 exec_lo, exec_lo, s38
	s_wait_dscnt 0x0
	s_barrier_signal -1
	s_barrier_wait -1
	s_barrier_signal -1
	s_barrier_wait -1
	s_and_saveexec_b32 s38, s96
	s_cbranch_execz .LBB111_811
; %bb.810:                              ;   in Loop: Header=BB111_3 Depth=1
	ds_load_b32 v2, v54 offset:5184
	s_wait_dscnt 0x0
	ds_store_b32 v58, v2 offset:4176
	ds_load_b32 v2, v54 offset:5188
	s_wait_dscnt 0x0
	ds_store_b32 v58, v2 offset:4432
	;; [unrolled: 3-line block ×4, first 2 shown]
.LBB111_811:                            ;   in Loop: Header=BB111_3 Depth=1
	s_or_b32 exec_lo, exec_lo, s38
	s_wait_dscnt 0x0
	s_barrier_signal -1
	s_barrier_wait -1
	s_and_saveexec_b32 s38, s11
	s_cbranch_execz .LBB111_813
; %bb.812:                              ;   in Loop: Header=BB111_3 Depth=1
	ds_load_b32 v29, v3 offset:4936
	ds_store_b32 v3, v28 offset:4940
	s_wait_dscnt 0x1
	ds_store_b64 v3, v[28:29] offset:4680
.LBB111_813:                            ;   in Loop: Header=BB111_3 Depth=1
	s_or_b32 exec_lo, exec_lo, s38
	v_mov_b32_e32 v2, 0
	s_wait_dscnt 0x0
	s_barrier_signal -1
	s_barrier_wait -1
	global_wb scope:SCOPE_DEV
	s_wait_storecnt 0x0
	global_inv scope:SCOPE_DEV
	s_and_saveexec_b32 s38, s2
	s_cbranch_execz .LBB111_817
; %bb.814:                              ;   in Loop: Header=BB111_3 Depth=1
	ds_load_b32 v2, v46 offset:4672
	ds_load_b32 v29, v48 offset:4936
	s_wait_dscnt 0x0
	v_fma_f32 v2, v2, v29, 0
	s_and_saveexec_b32 s39, s12
	s_cbranch_execz .LBB111_816
; %bb.815:                              ;   in Loop: Header=BB111_3 Depth=1
	ds_load_b32 v29, v58 offset:4928
	ds_load_b32 v34, v3 offset:4940
	s_wait_dscnt 0x0
	v_fmac_f32_e32 v2, v29, v34
.LBB111_816:                            ;   in Loop: Header=BB111_3 Depth=1
	s_or_b32 exec_lo, exec_lo, s39
.LBB111_817:                            ;   in Loop: Header=BB111_3 Depth=1
	s_delay_alu instid0(SALU_CYCLE_1)
	s_or_b32 exec_lo, exec_lo, s38
	s_and_saveexec_b32 s38, s87
; %bb.818:                              ;   in Loop: Header=BB111_3 Depth=1
	s_delay_alu instid0(VALU_DEP_1)
	v_xor_b32_e32 v29, 0x80000000, v2
	ds_store_b32 v44, v29
; %bb.819:                              ;   in Loop: Header=BB111_3 Depth=1
	s_or_b32 exec_lo, exec_lo, s38
	s_wait_loadcnt_dscnt 0x0
	s_barrier_signal -1
	s_barrier_wait -1
	s_and_saveexec_b32 s38, s88
	s_cbranch_execz .LBB111_821
; %bb.820:                              ;   in Loop: Header=BB111_3 Depth=1
	ds_load_b32 v29, v3 offset:4416
	ds_load_b32 v34, v44
	s_wait_dscnt 0x0
	v_fma_f32 v2, -v29, v34, v2
.LBB111_821:                            ;   in Loop: Header=BB111_3 Depth=1
	s_or_b32 exec_lo, exec_lo, s38
	s_barrier_signal -1
	s_barrier_wait -1
	s_and_saveexec_b32 s38, s88
; %bb.822:                              ;   in Loop: Header=BB111_3 Depth=1
	v_xor_b32_e32 v29, 0x80000000, v2
	ds_store_b32 v44, v29
; %bb.823:                              ;   in Loop: Header=BB111_3 Depth=1
	s_or_b32 exec_lo, exec_lo, s38
	s_wait_dscnt 0x0
	s_barrier_signal -1
	s_barrier_wait -1
	s_barrier_signal -1
	s_barrier_wait -1
	s_and_saveexec_b32 s38, s2
; %bb.824:                              ;   in Loop: Header=BB111_3 Depth=1
	ds_store_b32 v49, v2 offset:4928
; %bb.825:                              ;   in Loop: Header=BB111_3 Depth=1
	s_or_b32 exec_lo, exec_lo, s38
	s_wait_dscnt 0x0
	s_barrier_signal -1
	s_barrier_wait -1
	s_barrier_signal -1
	s_barrier_wait -1
	s_and_saveexec_b32 s38, s89
	s_cbranch_execz .LBB111_827
; %bb.826:                              ;   in Loop: Header=BB111_3 Depth=1
	ds_load_b32 v2, v61 offset:4672
	s_wait_dscnt 0x0
	ds_store_b32 v58, v2 offset:4168
	ds_load_b32 v2, v61 offset:4676
	s_wait_dscnt 0x0
	ds_store_b32 v58, v2 offset:4424
.LBB111_827:                            ;   in Loop: Header=BB111_3 Depth=1
	s_or_b32 exec_lo, exec_lo, s38
	s_wait_dscnt 0x0
	s_barrier_signal -1
	s_barrier_wait -1
	s_and_saveexec_b32 s38, s11
	s_cbranch_execz .LBB111_829
; %bb.828:                              ;   in Loop: Header=BB111_3 Depth=1
	ds_load_b32 v29, v3 offset:4416
	ds_store_b32 v3, v28 offset:4420
	s_wait_dscnt 0x1
	ds_store_b64 v3, v[28:29] offset:4160
.LBB111_829:                            ;   in Loop: Header=BB111_3 Depth=1
	s_or_b32 exec_lo, exec_lo, s38
	v_mov_b32_e32 v2, 0
	s_wait_dscnt 0x0
	s_barrier_signal -1
	s_barrier_wait -1
	global_wb scope:SCOPE_DEV
	s_wait_storecnt 0x0
	global_inv scope:SCOPE_DEV
	s_and_saveexec_b32 s61, s6
	s_cbranch_execz .LBB111_857
; %bb.830:                              ;   in Loop: Header=BB111_3 Depth=1
	ds_load_b32 v2, v62 offset:4096
	ds_load_b32 v29, v65 offset:8000
	s_wait_dscnt 0x0
	v_fma_f32 v2, v2, v29, 0
	s_mov_b32 s38, exec_lo
	v_readlane_b32 s39, v89, 13
	s_and_b32 s39, s38, s39
	s_delay_alu instid0(SALU_CYCLE_1)
	s_mov_b32 exec_lo, s39
	s_cbranch_execz .LBB111_832
; %bb.831:                              ;   in Loop: Header=BB111_3 Depth=1
	ds_load_b32 v29, v62 offset:4352
	ds_load_b32 v34, v65 offset:8004
	s_wait_dscnt 0x0
	v_fmac_f32_e32 v2, v29, v34
.LBB111_832:                            ;   in Loop: Header=BB111_3 Depth=1
	s_or_b32 exec_lo, exec_lo, s38
	s_delay_alu instid0(SALU_CYCLE_1) | instskip(SKIP_2) | instid1(SALU_CYCLE_1)
	s_mov_b32 s38, exec_lo
	v_readlane_b32 s39, v89, 14
	s_and_b32 s39, s38, s39
	s_mov_b32 exec_lo, s39
	s_cbranch_execz .LBB111_834
; %bb.833:                              ;   in Loop: Header=BB111_3 Depth=1
	ds_load_b32 v29, v62 offset:4608
	ds_load_b32 v34, v65 offset:8008
	s_wait_dscnt 0x0
	v_fmac_f32_e32 v2, v29, v34
.LBB111_834:                            ;   in Loop: Header=BB111_3 Depth=1
	s_or_b32 exec_lo, exec_lo, s38
	s_delay_alu instid0(SALU_CYCLE_1) | instskip(SKIP_2) | instid1(SALU_CYCLE_1)
	s_mov_b32 s38, exec_lo
	v_readlane_b32 s39, v89, 15
	s_and_b32 s39, s38, s39
	;; [unrolled: 13-line block ×10, first 2 shown]
	s_mov_b32 exec_lo, s39
	s_cbranch_execnz .LBB111_1211
; %bb.851:                              ;   in Loop: Header=BB111_3 Depth=1
	s_or_b32 exec_lo, exec_lo, s38
	s_and_saveexec_b32 s38, s5
	s_cbranch_execnz .LBB111_1212
.LBB111_852:                            ;   in Loop: Header=BB111_3 Depth=1
	s_or_b32 exec_lo, exec_lo, s38
	s_and_saveexec_b32 s38, s16
	s_cbranch_execnz .LBB111_1213
.LBB111_853:                            ;   in Loop: Header=BB111_3 Depth=1
	s_or_b32 exec_lo, exec_lo, s38
	s_and_saveexec_b32 s38, s18
	s_cbranch_execnz .LBB111_1214
.LBB111_854:                            ;   in Loop: Header=BB111_3 Depth=1
	s_or_b32 exec_lo, exec_lo, s38
	s_and_saveexec_b32 s38, s4
	s_cbranch_execz .LBB111_856
.LBB111_855:                            ;   in Loop: Header=BB111_3 Depth=1
	ds_load_b32 v29, v7 offset:7936
	ds_load_b32 v34, v3 offset:8060
	s_wait_dscnt 0x0
	v_fmac_f32_e32 v2, v29, v34
.LBB111_856:                            ;   in Loop: Header=BB111_3 Depth=1
	s_or_b32 exec_lo, exec_lo, s38
.LBB111_857:                            ;   in Loop: Header=BB111_3 Depth=1
	s_delay_alu instid0(SALU_CYCLE_1) | instskip(NEXT) | instid1(SALU_CYCLE_1)
	s_or_b32 exec_lo, exec_lo, s61
	s_mov_b32 s38, exec_lo
	v_readlane_b32 s39, v91, 3
	s_and_b32 s39, s38, s39
	s_delay_alu instid0(SALU_CYCLE_1)
	s_mov_b32 exec_lo, s39
; %bb.858:                              ;   in Loop: Header=BB111_3 Depth=1
	v_xor_b32_e32 v29, 0x80000000, v2
	ds_store_b32 v63, v29
; %bb.859:                              ;   in Loop: Header=BB111_3 Depth=1
	s_or_b32 exec_lo, exec_lo, s38
	s_wait_loadcnt_dscnt 0x0
	s_barrier_signal -1
	s_barrier_wait -1
	s_mov_b32 s38, exec_lo
	v_readlane_b32 s39, v91, 4
	s_and_b32 s39, s38, s39
	s_delay_alu instid0(SALU_CYCLE_1)
	s_mov_b32 exec_lo, s39
	s_cbranch_execz .LBB111_861
; %bb.860:                              ;   in Loop: Header=BB111_3 Depth=1
	ds_load_b32 v29, v62 offset:3840
	ds_load_b32 v34, v63
	s_wait_dscnt 0x0
	v_fma_f32 v2, -v29, v34, v2
.LBB111_861:                            ;   in Loop: Header=BB111_3 Depth=1
	s_or_b32 exec_lo, exec_lo, s38
	s_barrier_signal -1
	s_barrier_wait -1
	s_and_saveexec_b32 s38, s40
; %bb.862:                              ;   in Loop: Header=BB111_3 Depth=1
	v_xor_b32_e32 v29, 0x80000000, v2
	ds_store_b32 v63, v29
; %bb.863:                              ;   in Loop: Header=BB111_3 Depth=1
	s_or_b32 exec_lo, exec_lo, s38
	s_wait_dscnt 0x0
	s_barrier_signal -1
	s_barrier_wait -1
	s_and_saveexec_b32 s38, s41
	s_cbranch_execz .LBB111_865
; %bb.864:                              ;   in Loop: Header=BB111_3 Depth=1
	ds_load_b32 v29, v62 offset:3584
	ds_load_b32 v34, v63
	s_wait_dscnt 0x0
	v_fma_f32 v2, -v29, v34, v2
.LBB111_865:                            ;   in Loop: Header=BB111_3 Depth=1
	s_or_b32 exec_lo, exec_lo, s38
	s_barrier_signal -1
	s_barrier_wait -1
	s_and_saveexec_b32 s38, s42
; %bb.866:                              ;   in Loop: Header=BB111_3 Depth=1
	v_xor_b32_e32 v29, 0x80000000, v2
	ds_store_b32 v63, v29
; %bb.867:                              ;   in Loop: Header=BB111_3 Depth=1
	s_or_b32 exec_lo, exec_lo, s38
	s_wait_dscnt 0x0
	s_barrier_signal -1
	s_barrier_wait -1
	s_and_saveexec_b32 s38, s43
	;; [unrolled: 20-line block ×14, first 2 shown]
	s_cbranch_execz .LBB111_917
; %bb.916:                              ;   in Loop: Header=BB111_3 Depth=1
	ds_load_b32 v29, v3 offset:256
	ds_load_b32 v34, v63
	s_wait_dscnt 0x0
	v_fma_f32 v2, -v29, v34, v2
.LBB111_917:                            ;   in Loop: Header=BB111_3 Depth=1
	s_or_b32 exec_lo, exec_lo, s38
	s_barrier_signal -1
	s_barrier_wait -1
	s_and_saveexec_b32 s38, s23
; %bb.918:                              ;   in Loop: Header=BB111_3 Depth=1
	v_xor_b32_e32 v29, 0x80000000, v2
	ds_store_b32 v63, v29
; %bb.919:                              ;   in Loop: Header=BB111_3 Depth=1
	s_or_b32 exec_lo, exec_lo, s38
	s_wait_dscnt 0x0
	s_barrier_signal -1
	s_barrier_wait -1
	s_barrier_signal -1
	s_barrier_wait -1
	s_and_saveexec_b32 s38, s6
; %bb.920:                              ;   in Loop: Header=BB111_3 Depth=1
	ds_store_b32 v66, v2 offset:7936
; %bb.921:                              ;   in Loop: Header=BB111_3 Depth=1
	s_or_b32 exec_lo, exec_lo, s38
	s_wait_dscnt 0x0
	s_barrier_signal -1
	s_barrier_wait -1
	s_barrier_signal -1
	s_barrier_wait -1
	s_and_saveexec_b32 s61, s25
	s_cbranch_execz .LBB111_923
; %bb.922:                              ;   in Loop: Header=BB111_3 Depth=1
	ds_load_b32 v2, v9 offset:4096
	s_wait_dscnt 0x0
	ds_store_b32 v38, v2 offset:64
	ds_load_b32 v2, v9 offset:4100
	s_wait_dscnt 0x0
	ds_store_b32 v38, v2 offset:320
	;; [unrolled: 3-line block ×16, first 2 shown]
.LBB111_923:                            ;   in Loop: Header=BB111_3 Depth=1
	s_or_b32 exec_lo, exec_lo, s61
	s_wait_dscnt 0x0
	s_barrier_signal -1
	s_barrier_wait -1
	s_and_saveexec_b32 s38, s11
	s_cbranch_execz .LBB111_925
; %bb.924:                              ;   in Loop: Header=BB111_3 Depth=1
	ds_load_b32 v29, v3 offset:3896
	ds_store_b32 v3, v28 offset:3900
	s_wait_dscnt 0x1
	ds_store_b64 v3, v[28:29] offset:3640
.LBB111_925:                            ;   in Loop: Header=BB111_3 Depth=1
	s_or_b32 exec_lo, exec_lo, s38
	v_mov_b32_e32 v2, 0
	s_wait_dscnt 0x0
	s_barrier_signal -1
	s_barrier_wait -1
	global_wb scope:SCOPE_DEV
	s_wait_storecnt 0x0
	global_inv scope:SCOPE_DEV
	s_and_saveexec_b32 s38, s2
	s_cbranch_execz .LBB111_929
; %bb.926:                              ;   in Loop: Header=BB111_3 Depth=1
	ds_load_b32 v2, v46 offset:3632
	ds_load_b32 v29, v48 offset:3896
	s_wait_dscnt 0x0
	v_fma_f32 v2, v2, v29, 0
	s_and_saveexec_b32 s39, s12
	s_cbranch_execz .LBB111_928
; %bb.927:                              ;   in Loop: Header=BB111_3 Depth=1
	ds_load_b32 v29, v7 offset:3888
	ds_load_b32 v34, v3 offset:3900
	s_wait_dscnt 0x0
	v_fmac_f32_e32 v2, v29, v34
.LBB111_928:                            ;   in Loop: Header=BB111_3 Depth=1
	s_or_b32 exec_lo, exec_lo, s39
.LBB111_929:                            ;   in Loop: Header=BB111_3 Depth=1
	s_delay_alu instid0(SALU_CYCLE_1)
	s_or_b32 exec_lo, exec_lo, s38
	s_and_saveexec_b32 s38, s87
; %bb.930:                              ;   in Loop: Header=BB111_3 Depth=1
	s_delay_alu instid0(VALU_DEP_1)
	v_xor_b32_e32 v29, 0x80000000, v2
	ds_store_b32 v44, v29
; %bb.931:                              ;   in Loop: Header=BB111_3 Depth=1
	s_or_b32 exec_lo, exec_lo, s38
	s_wait_loadcnt_dscnt 0x0
	s_barrier_signal -1
	s_barrier_wait -1
	s_and_saveexec_b32 s38, s88
	s_cbranch_execz .LBB111_933
; %bb.932:                              ;   in Loop: Header=BB111_3 Depth=1
	ds_load_b32 v29, v3 offset:3376
	ds_load_b32 v34, v44
	s_wait_dscnt 0x0
	v_fma_f32 v2, -v29, v34, v2
.LBB111_933:                            ;   in Loop: Header=BB111_3 Depth=1
	s_or_b32 exec_lo, exec_lo, s38
	s_barrier_signal -1
	s_barrier_wait -1
	s_and_saveexec_b32 s38, s88
; %bb.934:                              ;   in Loop: Header=BB111_3 Depth=1
	v_xor_b32_e32 v29, 0x80000000, v2
	ds_store_b32 v44, v29
; %bb.935:                              ;   in Loop: Header=BB111_3 Depth=1
	s_or_b32 exec_lo, exec_lo, s38
	s_wait_dscnt 0x0
	s_barrier_signal -1
	s_barrier_wait -1
	s_barrier_signal -1
	s_barrier_wait -1
	s_and_saveexec_b32 s38, s2
; %bb.936:                              ;   in Loop: Header=BB111_3 Depth=1
	ds_store_b32 v49, v2 offset:3888
; %bb.937:                              ;   in Loop: Header=BB111_3 Depth=1
	s_or_b32 exec_lo, exec_lo, s38
	s_wait_dscnt 0x0
	s_barrier_signal -1
	s_barrier_wait -1
	s_barrier_signal -1
	s_barrier_wait -1
	s_and_saveexec_b32 s38, s89
	s_cbranch_execz .LBB111_939
; %bb.938:                              ;   in Loop: Header=BB111_3 Depth=1
	ds_load_b32 v2, v9 offset:3632
	s_wait_dscnt 0x0
	ds_store_b32 v7, v2 offset:3128
	ds_load_b32 v2, v9 offset:3636
	s_wait_dscnt 0x0
	ds_store_b32 v7, v2 offset:3384
.LBB111_939:                            ;   in Loop: Header=BB111_3 Depth=1
	s_or_b32 exec_lo, exec_lo, s38
	s_wait_dscnt 0x0
	s_barrier_signal -1
	s_barrier_wait -1
	s_and_saveexec_b32 s38, s11
	s_cbranch_execz .LBB111_941
; %bb.940:                              ;   in Loop: Header=BB111_3 Depth=1
	ds_load_b32 v29, v3 offset:3376
	ds_store_b32 v3, v28 offset:3380
	s_wait_dscnt 0x1
	ds_store_b64 v3, v[28:29] offset:3120
.LBB111_941:                            ;   in Loop: Header=BB111_3 Depth=1
	s_or_b32 exec_lo, exec_lo, s38
	v_mov_b32_e32 v2, 0
	s_wait_dscnt 0x0
	s_barrier_signal -1
	s_barrier_wait -1
	global_wb scope:SCOPE_DEV
	s_wait_storecnt 0x0
	global_inv scope:SCOPE_DEV
	s_and_saveexec_b32 s61, s4
	s_cbranch_execz .LBB111_947
; %bb.942:                              ;   in Loop: Header=BB111_3 Depth=1
	ds_load_b32 v2, v52 offset:3104
	ds_load_b32 v29, v53 offset:3888
	s_wait_dscnt 0x0
	v_fma_f32 v2, v2, v29, 0
	s_and_saveexec_b32 s38, s13
	s_cbranch_execnz .LBB111_1215
; %bb.943:                              ;   in Loop: Header=BB111_3 Depth=1
	s_or_b32 exec_lo, exec_lo, s38
	s_and_saveexec_b32 s38, s14
	s_cbranch_execnz .LBB111_1216
.LBB111_944:                            ;   in Loop: Header=BB111_3 Depth=1
	s_or_b32 exec_lo, exec_lo, s38
	s_and_saveexec_b32 s38, s2
	s_cbranch_execz .LBB111_946
.LBB111_945:                            ;   in Loop: Header=BB111_3 Depth=1
	ds_load_b32 v29, v38 offset:3872
	ds_load_b32 v34, v3 offset:3900
	s_wait_dscnt 0x0
	v_fmac_f32_e32 v2, v29, v34
.LBB111_946:                            ;   in Loop: Header=BB111_3 Depth=1
	s_or_b32 exec_lo, exec_lo, s38
.LBB111_947:                            ;   in Loop: Header=BB111_3 Depth=1
	s_delay_alu instid0(SALU_CYCLE_1)
	s_or_b32 exec_lo, exec_lo, s61
	s_and_saveexec_b32 s38, s90
; %bb.948:                              ;   in Loop: Header=BB111_3 Depth=1
	s_delay_alu instid0(VALU_DEP_1)
	v_xor_b32_e32 v29, 0x80000000, v2
	ds_store_b32 v50, v29
; %bb.949:                              ;   in Loop: Header=BB111_3 Depth=1
	s_or_b32 exec_lo, exec_lo, s38
	s_wait_loadcnt_dscnt 0x0
	s_barrier_signal -1
	s_barrier_wait -1
	s_and_saveexec_b32 s38, s91
	s_cbranch_execz .LBB111_951
; %bb.950:                              ;   in Loop: Header=BB111_3 Depth=1
	ds_load_b32 v29, v52 offset:2848
	ds_load_b32 v34, v50
	s_wait_dscnt 0x0
	v_fma_f32 v2, -v29, v34, v2
.LBB111_951:                            ;   in Loop: Header=BB111_3 Depth=1
	s_or_b32 exec_lo, exec_lo, s38
	s_barrier_signal -1
	s_barrier_wait -1
	s_and_saveexec_b32 s38, s92
; %bb.952:                              ;   in Loop: Header=BB111_3 Depth=1
	v_xor_b32_e32 v29, 0x80000000, v2
	ds_store_b32 v50, v29
; %bb.953:                              ;   in Loop: Header=BB111_3 Depth=1
	s_or_b32 exec_lo, exec_lo, s38
	s_wait_dscnt 0x0
	s_barrier_signal -1
	s_barrier_wait -1
	s_and_saveexec_b32 s38, s93
	s_cbranch_execz .LBB111_955
; %bb.954:                              ;   in Loop: Header=BB111_3 Depth=1
	ds_load_b32 v29, v52 offset:2592
	ds_load_b32 v34, v50
	s_wait_dscnt 0x0
	v_fma_f32 v2, -v29, v34, v2
.LBB111_955:                            ;   in Loop: Header=BB111_3 Depth=1
	s_or_b32 exec_lo, exec_lo, s38
	s_barrier_signal -1
	s_barrier_wait -1
	s_and_saveexec_b32 s38, s94
; %bb.956:                              ;   in Loop: Header=BB111_3 Depth=1
	v_xor_b32_e32 v29, 0x80000000, v2
	ds_store_b32 v50, v29
; %bb.957:                              ;   in Loop: Header=BB111_3 Depth=1
	s_or_b32 exec_lo, exec_lo, s38
	s_wait_dscnt 0x0
	s_barrier_signal -1
	s_barrier_wait -1
	s_and_saveexec_b32 s38, s95
	s_cbranch_execz .LBB111_959
; %bb.958:                              ;   in Loop: Header=BB111_3 Depth=1
	ds_load_b32 v29, v3 offset:2336
	ds_load_b32 v34, v50
	s_wait_dscnt 0x0
	v_fma_f32 v2, -v29, v34, v2
.LBB111_959:                            ;   in Loop: Header=BB111_3 Depth=1
	s_or_b32 exec_lo, exec_lo, s38
	s_barrier_signal -1
	s_barrier_wait -1
	s_and_saveexec_b32 s38, s95
; %bb.960:                              ;   in Loop: Header=BB111_3 Depth=1
	v_xor_b32_e32 v29, 0x80000000, v2
	ds_store_b32 v50, v29
; %bb.961:                              ;   in Loop: Header=BB111_3 Depth=1
	s_or_b32 exec_lo, exec_lo, s38
	s_wait_dscnt 0x0
	s_barrier_signal -1
	s_barrier_wait -1
	s_barrier_signal -1
	s_barrier_wait -1
	s_and_saveexec_b32 s38, s4
; %bb.962:                              ;   in Loop: Header=BB111_3 Depth=1
	ds_store_b32 v55, v2 offset:3872
; %bb.963:                              ;   in Loop: Header=BB111_3 Depth=1
	s_or_b32 exec_lo, exec_lo, s38
	s_wait_dscnt 0x0
	s_barrier_signal -1
	s_barrier_wait -1
	s_barrier_signal -1
	s_barrier_wait -1
	s_and_saveexec_b32 s38, s96
	s_cbranch_execz .LBB111_965
; %bb.964:                              ;   in Loop: Header=BB111_3 Depth=1
	ds_load_b32 v2, v39 offset:3104
	s_wait_dscnt 0x0
	ds_store_b32 v40, v2 offset:2096
	ds_load_b32 v2, v39 offset:3108
	s_wait_dscnt 0x0
	ds_store_b32 v40, v2 offset:2352
	;; [unrolled: 3-line block ×4, first 2 shown]
.LBB111_965:                            ;   in Loop: Header=BB111_3 Depth=1
	s_or_b32 exec_lo, exec_lo, s38
	s_wait_dscnt 0x0
	s_barrier_signal -1
	s_barrier_wait -1
	s_and_saveexec_b32 s38, s11
	s_cbranch_execz .LBB111_967
; %bb.966:                              ;   in Loop: Header=BB111_3 Depth=1
	ds_load_b32 v29, v3 offset:2856
	ds_store_b32 v3, v28 offset:2860
	s_wait_dscnt 0x1
	ds_store_b64 v3, v[28:29] offset:2600
.LBB111_967:                            ;   in Loop: Header=BB111_3 Depth=1
	s_or_b32 exec_lo, exec_lo, s38
	v_mov_b32_e32 v2, 0
	s_wait_dscnt 0x0
	s_barrier_signal -1
	s_barrier_wait -1
	global_wb scope:SCOPE_DEV
	s_wait_storecnt 0x0
	global_inv scope:SCOPE_DEV
	s_and_saveexec_b32 s38, s2
	s_cbranch_execz .LBB111_971
; %bb.968:                              ;   in Loop: Header=BB111_3 Depth=1
	ds_load_b32 v2, v46 offset:2592
	ds_load_b32 v29, v48 offset:2856
	s_wait_dscnt 0x0
	v_fma_f32 v2, v2, v29, 0
	s_and_saveexec_b32 s39, s12
	s_cbranch_execz .LBB111_970
; %bb.969:                              ;   in Loop: Header=BB111_3 Depth=1
	ds_load_b32 v29, v40 offset:2848
	ds_load_b32 v34, v3 offset:2860
	s_wait_dscnt 0x0
	v_fmac_f32_e32 v2, v29, v34
.LBB111_970:                            ;   in Loop: Header=BB111_3 Depth=1
	s_or_b32 exec_lo, exec_lo, s39
.LBB111_971:                            ;   in Loop: Header=BB111_3 Depth=1
	s_delay_alu instid0(SALU_CYCLE_1)
	s_or_b32 exec_lo, exec_lo, s38
	s_and_saveexec_b32 s38, s87
; %bb.972:                              ;   in Loop: Header=BB111_3 Depth=1
	s_delay_alu instid0(VALU_DEP_1)
	v_xor_b32_e32 v29, 0x80000000, v2
	ds_store_b32 v44, v29
; %bb.973:                              ;   in Loop: Header=BB111_3 Depth=1
	s_or_b32 exec_lo, exec_lo, s38
	s_wait_loadcnt_dscnt 0x0
	s_barrier_signal -1
	s_barrier_wait -1
	s_and_saveexec_b32 s38, s88
	s_cbranch_execz .LBB111_975
; %bb.974:                              ;   in Loop: Header=BB111_3 Depth=1
	ds_load_b32 v29, v3 offset:2336
	ds_load_b32 v34, v44
	s_wait_dscnt 0x0
	v_fma_f32 v2, -v29, v34, v2
.LBB111_975:                            ;   in Loop: Header=BB111_3 Depth=1
	s_or_b32 exec_lo, exec_lo, s38
	s_barrier_signal -1
	s_barrier_wait -1
	s_and_saveexec_b32 s38, s88
; %bb.976:                              ;   in Loop: Header=BB111_3 Depth=1
	v_xor_b32_e32 v29, 0x80000000, v2
	ds_store_b32 v44, v29
; %bb.977:                              ;   in Loop: Header=BB111_3 Depth=1
	s_or_b32 exec_lo, exec_lo, s38
	s_wait_dscnt 0x0
	s_barrier_signal -1
	s_barrier_wait -1
	s_barrier_signal -1
	s_barrier_wait -1
	s_and_saveexec_b32 s38, s2
; %bb.978:                              ;   in Loop: Header=BB111_3 Depth=1
	ds_store_b32 v49, v2 offset:2848
; %bb.979:                              ;   in Loop: Header=BB111_3 Depth=1
	s_or_b32 exec_lo, exec_lo, s38
	s_wait_dscnt 0x0
	s_barrier_signal -1
	s_barrier_wait -1
	s_barrier_signal -1
	s_barrier_wait -1
	s_and_saveexec_b32 s38, s89
	s_cbranch_execz .LBB111_981
; %bb.980:                              ;   in Loop: Header=BB111_3 Depth=1
	ds_load_b32 v2, v41 offset:2592
	s_wait_dscnt 0x0
	ds_store_b32 v40, v2 offset:2088
	ds_load_b32 v2, v41 offset:2596
	s_wait_dscnt 0x0
	ds_store_b32 v40, v2 offset:2344
.LBB111_981:                            ;   in Loop: Header=BB111_3 Depth=1
	s_or_b32 exec_lo, exec_lo, s38
	s_wait_dscnt 0x0
	s_barrier_signal -1
	s_barrier_wait -1
	s_and_saveexec_b32 s38, s11
	s_cbranch_execz .LBB111_983
; %bb.982:                              ;   in Loop: Header=BB111_3 Depth=1
	ds_load_b32 v29, v3 offset:2336
	ds_store_b32 v3, v28 offset:2340
	s_wait_dscnt 0x1
	ds_store_b64 v3, v[28:29] offset:2080
.LBB111_983:                            ;   in Loop: Header=BB111_3 Depth=1
	s_or_b32 exec_lo, exec_lo, s38
	v_mov_b32_e32 v2, 0
	s_wait_dscnt 0x0
	s_barrier_signal -1
	s_barrier_wait -1
	global_wb scope:SCOPE_DEV
	s_wait_storecnt 0x0
	global_inv scope:SCOPE_DEV
	s_and_saveexec_b32 s61, s5
	s_cbranch_execz .LBB111_993
; %bb.984:                              ;   in Loop: Header=BB111_3 Depth=1
	ds_load_b32 v2, v56 offset:2048
	ds_load_b32 v29, v59 offset:3872
	s_wait_dscnt 0x0
	v_fma_f32 v2, v2, v29, 0
	s_and_saveexec_b32 s38, s15
	s_cbranch_execnz .LBB111_1217
; %bb.985:                              ;   in Loop: Header=BB111_3 Depth=1
	s_or_b32 exec_lo, exec_lo, s38
	s_and_saveexec_b32 s38, s16
	s_cbranch_execnz .LBB111_1218
.LBB111_986:                            ;   in Loop: Header=BB111_3 Depth=1
	s_or_b32 exec_lo, exec_lo, s38
	s_and_saveexec_b32 s38, s17
	s_cbranch_execnz .LBB111_1219
.LBB111_987:                            ;   in Loop: Header=BB111_3 Depth=1
	s_or_b32 exec_lo, exec_lo, s38
	s_and_saveexec_b32 s38, s18
	s_cbranch_execnz .LBB111_1220
.LBB111_988:                            ;   in Loop: Header=BB111_3 Depth=1
	s_or_b32 exec_lo, exec_lo, s38
	s_and_saveexec_b32 s38, s19
	s_cbranch_execnz .LBB111_1221
.LBB111_989:                            ;   in Loop: Header=BB111_3 Depth=1
	s_or_b32 exec_lo, exec_lo, s38
	s_and_saveexec_b32 s38, s4
	s_cbranch_execnz .LBB111_1222
.LBB111_990:                            ;   in Loop: Header=BB111_3 Depth=1
	s_or_b32 exec_lo, exec_lo, s38
	s_and_saveexec_b32 s38, s14
	s_cbranch_execz .LBB111_992
.LBB111_991:                            ;   in Loop: Header=BB111_3 Depth=1
	ds_load_b32 v29, v42 offset:3840
	ds_load_b32 v34, v3 offset:3900
	s_wait_dscnt 0x0
	v_fmac_f32_e32 v2, v29, v34
.LBB111_992:                            ;   in Loop: Header=BB111_3 Depth=1
	s_or_b32 exec_lo, exec_lo, s38
.LBB111_993:                            ;   in Loop: Header=BB111_3 Depth=1
	s_delay_alu instid0(SALU_CYCLE_1)
	s_or_b32 exec_lo, exec_lo, s61
	s_and_saveexec_b32 s38, s97
; %bb.994:                              ;   in Loop: Header=BB111_3 Depth=1
	s_delay_alu instid0(VALU_DEP_1)
	v_xor_b32_e32 v29, 0x80000000, v2
	ds_store_b32 v57, v29
; %bb.995:                              ;   in Loop: Header=BB111_3 Depth=1
	s_or_b32 exec_lo, exec_lo, s38
	s_wait_loadcnt_dscnt 0x0
	s_barrier_signal -1
	s_barrier_wait -1
	s_and_saveexec_b32 s38, s98
	s_cbranch_execz .LBB111_997
; %bb.996:                              ;   in Loop: Header=BB111_3 Depth=1
	ds_load_b32 v29, v56 offset:1792
	ds_load_b32 v34, v57
	s_wait_dscnt 0x0
	v_fma_f32 v2, -v29, v34, v2
.LBB111_997:                            ;   in Loop: Header=BB111_3 Depth=1
	s_or_b32 exec_lo, exec_lo, s38
	s_barrier_signal -1
	s_barrier_wait -1
	s_and_saveexec_b32 s38, s99
; %bb.998:                              ;   in Loop: Header=BB111_3 Depth=1
	v_xor_b32_e32 v29, 0x80000000, v2
	ds_store_b32 v57, v29
; %bb.999:                              ;   in Loop: Header=BB111_3 Depth=1
	s_or_b32 exec_lo, exec_lo, s38
	s_wait_dscnt 0x0
	s_barrier_signal -1
	s_barrier_wait -1
	s_and_saveexec_b32 s38, s100
	s_cbranch_execz .LBB111_1001
; %bb.1000:                             ;   in Loop: Header=BB111_3 Depth=1
	ds_load_b32 v29, v56 offset:1536
	ds_load_b32 v34, v57
	s_wait_dscnt 0x0
	v_fma_f32 v2, -v29, v34, v2
.LBB111_1001:                           ;   in Loop: Header=BB111_3 Depth=1
	s_or_b32 exec_lo, exec_lo, s38
	s_barrier_signal -1
	s_barrier_wait -1
	s_and_saveexec_b32 s38, s101
; %bb.1002:                             ;   in Loop: Header=BB111_3 Depth=1
	v_xor_b32_e32 v29, 0x80000000, v2
	ds_store_b32 v57, v29
; %bb.1003:                             ;   in Loop: Header=BB111_3 Depth=1
	s_or_b32 exec_lo, exec_lo, s38
	s_wait_dscnt 0x0
	s_barrier_signal -1
	s_barrier_wait -1
	s_and_saveexec_b32 s38, s102
	s_cbranch_execz .LBB111_1005
; %bb.1004:                             ;   in Loop: Header=BB111_3 Depth=1
	ds_load_b32 v29, v56 offset:1280
	ds_load_b32 v34, v57
	s_wait_dscnt 0x0
	v_fma_f32 v2, -v29, v34, v2
.LBB111_1005:                           ;   in Loop: Header=BB111_3 Depth=1
	s_or_b32 exec_lo, exec_lo, s38
	s_barrier_signal -1
	s_barrier_wait -1
	s_and_saveexec_b32 s38, s103
; %bb.1006:                             ;   in Loop: Header=BB111_3 Depth=1
	v_xor_b32_e32 v29, 0x80000000, v2
	ds_store_b32 v57, v29
; %bb.1007:                             ;   in Loop: Header=BB111_3 Depth=1
	s_or_b32 exec_lo, exec_lo, s38
	s_wait_dscnt 0x0
	s_barrier_signal -1
	s_barrier_wait -1
	s_and_saveexec_b32 s38, s104
	s_cbranch_execz .LBB111_1009
; %bb.1008:                             ;   in Loop: Header=BB111_3 Depth=1
	ds_load_b32 v29, v56 offset:1024
	ds_load_b32 v34, v57
	s_wait_dscnt 0x0
	v_fma_f32 v2, -v29, v34, v2
.LBB111_1009:                           ;   in Loop: Header=BB111_3 Depth=1
	s_or_b32 exec_lo, exec_lo, s38
	s_barrier_signal -1
	s_barrier_wait -1
	s_and_saveexec_b32 s38, vcc_hi
; %bb.1010:                             ;   in Loop: Header=BB111_3 Depth=1
	v_xor_b32_e32 v29, 0x80000000, v2
	ds_store_b32 v57, v29
; %bb.1011:                             ;   in Loop: Header=BB111_3 Depth=1
	s_or_b32 exec_lo, exec_lo, s38
	s_wait_dscnt 0x0
	s_barrier_signal -1
	s_barrier_wait -1
	s_and_saveexec_b32 s38, s31
	s_cbranch_execz .LBB111_1013
; %bb.1012:                             ;   in Loop: Header=BB111_3 Depth=1
	ds_load_b32 v29, v56 offset:768
	ds_load_b32 v34, v57
	s_wait_dscnt 0x0
	v_fma_f32 v2, -v29, v34, v2
.LBB111_1013:                           ;   in Loop: Header=BB111_3 Depth=1
	s_or_b32 exec_lo, exec_lo, s38
	s_barrier_signal -1
	s_barrier_wait -1
	s_and_saveexec_b32 s38, s33
; %bb.1014:                             ;   in Loop: Header=BB111_3 Depth=1
	v_xor_b32_e32 v29, 0x80000000, v2
	ds_store_b32 v57, v29
; %bb.1015:                             ;   in Loop: Header=BB111_3 Depth=1
	s_or_b32 exec_lo, exec_lo, s38
	s_wait_dscnt 0x0
	s_barrier_signal -1
	s_barrier_wait -1
	s_and_saveexec_b32 s38, s34
	s_cbranch_execz .LBB111_1017
; %bb.1016:                             ;   in Loop: Header=BB111_3 Depth=1
	ds_load_b32 v29, v56 offset:512
	ds_load_b32 v34, v57
	s_wait_dscnt 0x0
	v_fma_f32 v2, -v29, v34, v2
.LBB111_1017:                           ;   in Loop: Header=BB111_3 Depth=1
	s_or_b32 exec_lo, exec_lo, s38
	s_barrier_signal -1
	s_barrier_wait -1
	s_and_saveexec_b32 s38, s35
	;; [unrolled: 20-line block ×3, first 2 shown]
; %bb.1022:                             ;   in Loop: Header=BB111_3 Depth=1
	v_xor_b32_e32 v29, 0x80000000, v2
	ds_store_b32 v57, v29
; %bb.1023:                             ;   in Loop: Header=BB111_3 Depth=1
	s_or_b32 exec_lo, exec_lo, s38
	s_wait_dscnt 0x0
	s_barrier_signal -1
	s_barrier_wait -1
	s_barrier_signal -1
	s_barrier_wait -1
	s_and_saveexec_b32 s38, s5
; %bb.1024:                             ;   in Loop: Header=BB111_3 Depth=1
	ds_store_b32 v60, v2 offset:3840
; %bb.1025:                             ;   in Loop: Header=BB111_3 Depth=1
	s_or_b32 exec_lo, exec_lo, s38
	s_wait_dscnt 0x0
	s_barrier_signal -1
	s_barrier_wait -1
	s_barrier_signal -1
	s_barrier_wait -1
	s_and_saveexec_b32 s38, s37
	s_cbranch_execz .LBB111_1027
; %bb.1026:                             ;   in Loop: Header=BB111_3 Depth=1
	ds_load_b32 v2, v43 offset:2048
	s_wait_dscnt 0x0
	ds_store_b32 v45, v2 offset:32
	ds_load_b32 v2, v43 offset:2052
	s_wait_dscnt 0x0
	ds_store_b32 v45, v2 offset:288
	;; [unrolled: 3-line block ×8, first 2 shown]
.LBB111_1027:                           ;   in Loop: Header=BB111_3 Depth=1
	s_or_b32 exec_lo, exec_lo, s38
	s_wait_dscnt 0x0
	s_barrier_signal -1
	s_barrier_wait -1
	s_and_saveexec_b32 s38, s11
	s_cbranch_execz .LBB111_1029
; %bb.1028:                             ;   in Loop: Header=BB111_3 Depth=1
	ds_load_b32 v29, v3 offset:1816
	ds_store_b32 v3, v28 offset:1820
	s_wait_dscnt 0x1
	ds_store_b64 v3, v[28:29] offset:1560
.LBB111_1029:                           ;   in Loop: Header=BB111_3 Depth=1
	s_or_b32 exec_lo, exec_lo, s38
	v_mov_b32_e32 v2, 0
	s_wait_dscnt 0x0
	s_barrier_signal -1
	s_barrier_wait -1
	global_wb scope:SCOPE_DEV
	s_wait_storecnt 0x0
	global_inv scope:SCOPE_DEV
	s_and_saveexec_b32 s38, s2
	s_cbranch_execz .LBB111_1033
; %bb.1030:                             ;   in Loop: Header=BB111_3 Depth=1
	ds_load_b32 v2, v46 offset:1552
	ds_load_b32 v29, v48 offset:1816
	s_wait_dscnt 0x0
	v_fma_f32 v2, v2, v29, 0
	s_and_saveexec_b32 s39, s12
	s_cbranch_execz .LBB111_1032
; %bb.1031:                             ;   in Loop: Header=BB111_3 Depth=1
	ds_load_b32 v29, v45 offset:1808
	ds_load_b32 v34, v3 offset:1820
	s_wait_dscnt 0x0
	v_fmac_f32_e32 v2, v29, v34
.LBB111_1032:                           ;   in Loop: Header=BB111_3 Depth=1
	s_or_b32 exec_lo, exec_lo, s39
.LBB111_1033:                           ;   in Loop: Header=BB111_3 Depth=1
	s_delay_alu instid0(SALU_CYCLE_1)
	s_or_b32 exec_lo, exec_lo, s38
	s_and_saveexec_b32 s38, s87
; %bb.1034:                             ;   in Loop: Header=BB111_3 Depth=1
	s_delay_alu instid0(VALU_DEP_1)
	v_xor_b32_e32 v29, 0x80000000, v2
	ds_store_b32 v44, v29
; %bb.1035:                             ;   in Loop: Header=BB111_3 Depth=1
	s_or_b32 exec_lo, exec_lo, s38
	s_wait_loadcnt_dscnt 0x0
	s_barrier_signal -1
	s_barrier_wait -1
	s_and_saveexec_b32 s38, s88
	s_cbranch_execz .LBB111_1037
; %bb.1036:                             ;   in Loop: Header=BB111_3 Depth=1
	ds_load_b32 v29, v3 offset:1296
	ds_load_b32 v34, v44
	s_wait_dscnt 0x0
	v_fma_f32 v2, -v29, v34, v2
.LBB111_1037:                           ;   in Loop: Header=BB111_3 Depth=1
	s_or_b32 exec_lo, exec_lo, s38
	s_barrier_signal -1
	s_barrier_wait -1
	s_and_saveexec_b32 s38, s88
; %bb.1038:                             ;   in Loop: Header=BB111_3 Depth=1
	v_xor_b32_e32 v29, 0x80000000, v2
	ds_store_b32 v44, v29
; %bb.1039:                             ;   in Loop: Header=BB111_3 Depth=1
	s_or_b32 exec_lo, exec_lo, s38
	s_wait_dscnt 0x0
	s_barrier_signal -1
	s_barrier_wait -1
	s_barrier_signal -1
	s_barrier_wait -1
	s_and_saveexec_b32 s38, s2
; %bb.1040:                             ;   in Loop: Header=BB111_3 Depth=1
	ds_store_b32 v49, v2 offset:1808
; %bb.1041:                             ;   in Loop: Header=BB111_3 Depth=1
	s_or_b32 exec_lo, exec_lo, s38
	s_wait_dscnt 0x0
	s_barrier_signal -1
	s_barrier_wait -1
	s_barrier_signal -1
	s_barrier_wait -1
	s_and_saveexec_b32 s38, s89
	s_cbranch_execz .LBB111_1043
; %bb.1042:                             ;   in Loop: Header=BB111_3 Depth=1
	ds_load_b32 v2, v47 offset:1552
	s_wait_dscnt 0x0
	ds_store_b32 v45, v2 offset:1048
	ds_load_b32 v2, v47 offset:1556
	s_wait_dscnt 0x0
	ds_store_b32 v45, v2 offset:1304
.LBB111_1043:                           ;   in Loop: Header=BB111_3 Depth=1
	s_or_b32 exec_lo, exec_lo, s38
	s_wait_dscnt 0x0
	s_barrier_signal -1
	s_barrier_wait -1
	s_and_saveexec_b32 s38, s11
	s_cbranch_execz .LBB111_1045
; %bb.1044:                             ;   in Loop: Header=BB111_3 Depth=1
	ds_load_b32 v29, v3 offset:1296
	ds_store_b32 v3, v28 offset:1300
	s_wait_dscnt 0x1
	ds_store_b64 v3, v[28:29] offset:1040
.LBB111_1045:                           ;   in Loop: Header=BB111_3 Depth=1
	s_or_b32 exec_lo, exec_lo, s38
	v_mov_b32_e32 v2, 0
	s_wait_dscnt 0x0
	s_barrier_signal -1
	s_barrier_wait -1
	global_wb scope:SCOPE_DEV
	s_wait_storecnt 0x0
	global_inv scope:SCOPE_DEV
	s_and_saveexec_b32 s61, s4
	s_cbranch_execz .LBB111_1051
; %bb.1046:                             ;   in Loop: Header=BB111_3 Depth=1
	ds_load_b32 v2, v52 offset:1024
	ds_load_b32 v29, v53 offset:1808
	s_wait_dscnt 0x0
	v_fma_f32 v2, v2, v29, 0
	s_and_saveexec_b32 s38, s13
	s_cbranch_execnz .LBB111_1223
; %bb.1047:                             ;   in Loop: Header=BB111_3 Depth=1
	s_or_b32 exec_lo, exec_lo, s38
	s_and_saveexec_b32 s38, s14
	s_cbranch_execnz .LBB111_1224
.LBB111_1048:                           ;   in Loop: Header=BB111_3 Depth=1
	s_or_b32 exec_lo, exec_lo, s38
	s_and_saveexec_b32 s38, s2
	s_cbranch_execz .LBB111_1050
.LBB111_1049:                           ;   in Loop: Header=BB111_3 Depth=1
	ds_load_b32 v29, v51 offset:1792
	ds_load_b32 v34, v3 offset:1820
	s_wait_dscnt 0x0
	v_fmac_f32_e32 v2, v29, v34
.LBB111_1050:                           ;   in Loop: Header=BB111_3 Depth=1
	s_or_b32 exec_lo, exec_lo, s38
.LBB111_1051:                           ;   in Loop: Header=BB111_3 Depth=1
	s_delay_alu instid0(SALU_CYCLE_1)
	s_or_b32 exec_lo, exec_lo, s61
	s_and_saveexec_b32 s38, s90
; %bb.1052:                             ;   in Loop: Header=BB111_3 Depth=1
	s_delay_alu instid0(VALU_DEP_1)
	v_xor_b32_e32 v29, 0x80000000, v2
	ds_store_b32 v50, v29
; %bb.1053:                             ;   in Loop: Header=BB111_3 Depth=1
	s_or_b32 exec_lo, exec_lo, s38
	s_wait_loadcnt_dscnt 0x0
	s_barrier_signal -1
	s_barrier_wait -1
	s_and_saveexec_b32 s38, s91
	s_cbranch_execz .LBB111_1055
; %bb.1054:                             ;   in Loop: Header=BB111_3 Depth=1
	ds_load_b32 v29, v52 offset:768
	ds_load_b32 v34, v50
	s_wait_dscnt 0x0
	v_fma_f32 v2, -v29, v34, v2
.LBB111_1055:                           ;   in Loop: Header=BB111_3 Depth=1
	s_or_b32 exec_lo, exec_lo, s38
	s_barrier_signal -1
	s_barrier_wait -1
	s_and_saveexec_b32 s38, s92
; %bb.1056:                             ;   in Loop: Header=BB111_3 Depth=1
	v_xor_b32_e32 v29, 0x80000000, v2
	ds_store_b32 v50, v29
; %bb.1057:                             ;   in Loop: Header=BB111_3 Depth=1
	s_or_b32 exec_lo, exec_lo, s38
	s_wait_dscnt 0x0
	s_barrier_signal -1
	s_barrier_wait -1
	s_and_saveexec_b32 s38, s93
	s_cbranch_execz .LBB111_1059
; %bb.1058:                             ;   in Loop: Header=BB111_3 Depth=1
	ds_load_b32 v29, v52 offset:512
	ds_load_b32 v34, v50
	s_wait_dscnt 0x0
	v_fma_f32 v2, -v29, v34, v2
.LBB111_1059:                           ;   in Loop: Header=BB111_3 Depth=1
	s_or_b32 exec_lo, exec_lo, s38
	s_barrier_signal -1
	s_barrier_wait -1
	s_and_saveexec_b32 s38, s94
; %bb.1060:                             ;   in Loop: Header=BB111_3 Depth=1
	v_xor_b32_e32 v29, 0x80000000, v2
	ds_store_b32 v50, v29
; %bb.1061:                             ;   in Loop: Header=BB111_3 Depth=1
	s_or_b32 exec_lo, exec_lo, s38
	s_wait_dscnt 0x0
	;; [unrolled: 20-line block ×3, first 2 shown]
	s_barrier_signal -1
	s_barrier_wait -1
	s_barrier_signal -1
	s_barrier_wait -1
	s_and_saveexec_b32 s38, s4
; %bb.1066:                             ;   in Loop: Header=BB111_3 Depth=1
	ds_store_b32 v55, v2 offset:1792
; %bb.1067:                             ;   in Loop: Header=BB111_3 Depth=1
	s_or_b32 exec_lo, exec_lo, s38
	s_wait_dscnt 0x0
	s_barrier_signal -1
	s_barrier_wait -1
	s_barrier_signal -1
	s_barrier_wait -1
	s_and_saveexec_b32 s38, s96
	s_cbranch_execz .LBB111_1069
; %bb.1068:                             ;   in Loop: Header=BB111_3 Depth=1
	ds_load_b32 v2, v54 offset:1024
	s_wait_dscnt 0x0
	ds_store_b32 v58, v2 offset:16
	ds_load_b32 v2, v54 offset:1028
	s_wait_dscnt 0x0
	ds_store_b32 v58, v2 offset:272
	;; [unrolled: 3-line block ×4, first 2 shown]
.LBB111_1069:                           ;   in Loop: Header=BB111_3 Depth=1
	s_or_b32 exec_lo, exec_lo, s38
	s_wait_dscnt 0x0
	s_barrier_signal -1
	s_barrier_wait -1
	s_and_saveexec_b32 s38, s11
	s_cbranch_execz .LBB111_1071
; %bb.1070:                             ;   in Loop: Header=BB111_3 Depth=1
	ds_load_b32 v29, v3 offset:776
	ds_store_b32 v3, v28 offset:780
	s_wait_dscnt 0x1
	ds_store_b64 v3, v[28:29] offset:520
.LBB111_1071:                           ;   in Loop: Header=BB111_3 Depth=1
	s_or_b32 exec_lo, exec_lo, s38
	v_mov_b32_e32 v2, 0
	s_wait_dscnt 0x0
	s_barrier_signal -1
	s_barrier_wait -1
	global_wb scope:SCOPE_DEV
	s_wait_storecnt 0x0
	global_inv scope:SCOPE_DEV
	s_and_saveexec_b32 s38, s2
	s_cbranch_execz .LBB111_1075
; %bb.1072:                             ;   in Loop: Header=BB111_3 Depth=1
	ds_load_b32 v2, v46 offset:512
	ds_load_b32 v29, v48 offset:776
	s_wait_dscnt 0x0
	v_fma_f32 v2, v2, v29, 0
	s_and_saveexec_b32 s39, s12
	s_cbranch_execz .LBB111_1074
; %bb.1073:                             ;   in Loop: Header=BB111_3 Depth=1
	ds_load_b32 v29, v58 offset:768
	ds_load_b32 v34, v3 offset:780
	s_wait_dscnt 0x0
	v_fmac_f32_e32 v2, v29, v34
.LBB111_1074:                           ;   in Loop: Header=BB111_3 Depth=1
	s_or_b32 exec_lo, exec_lo, s39
.LBB111_1075:                           ;   in Loop: Header=BB111_3 Depth=1
	s_delay_alu instid0(SALU_CYCLE_1)
	s_or_b32 exec_lo, exec_lo, s38
	s_and_saveexec_b32 s38, s87
; %bb.1076:                             ;   in Loop: Header=BB111_3 Depth=1
	s_delay_alu instid0(VALU_DEP_1)
	v_xor_b32_e32 v29, 0x80000000, v2
	ds_store_b32 v44, v29
; %bb.1077:                             ;   in Loop: Header=BB111_3 Depth=1
	s_or_b32 exec_lo, exec_lo, s38
	s_wait_loadcnt_dscnt 0x0
	s_barrier_signal -1
	s_barrier_wait -1
	s_and_saveexec_b32 s38, s88
	s_cbranch_execz .LBB111_1079
; %bb.1078:                             ;   in Loop: Header=BB111_3 Depth=1
	ds_load_b32 v29, v3 offset:256
	ds_load_b32 v34, v44
	s_wait_dscnt 0x0
	v_fma_f32 v2, -v29, v34, v2
.LBB111_1079:                           ;   in Loop: Header=BB111_3 Depth=1
	s_or_b32 exec_lo, exec_lo, s38
	s_barrier_signal -1
	s_barrier_wait -1
	s_and_saveexec_b32 s38, s88
; %bb.1080:                             ;   in Loop: Header=BB111_3 Depth=1
	v_xor_b32_e32 v29, 0x80000000, v2
	ds_store_b32 v44, v29
; %bb.1081:                             ;   in Loop: Header=BB111_3 Depth=1
	s_or_b32 exec_lo, exec_lo, s38
	s_wait_dscnt 0x0
	s_barrier_signal -1
	s_barrier_wait -1
	s_barrier_signal -1
	s_barrier_wait -1
	s_and_saveexec_b32 s38, s2
; %bb.1082:                             ;   in Loop: Header=BB111_3 Depth=1
	ds_store_b32 v49, v2 offset:768
; %bb.1083:                             ;   in Loop: Header=BB111_3 Depth=1
	s_or_b32 exec_lo, exec_lo, s38
	s_wait_dscnt 0x0
	s_barrier_signal -1
	s_barrier_wait -1
	s_barrier_signal -1
	s_barrier_wait -1
	s_and_saveexec_b32 s38, s89
	s_cbranch_execz .LBB111_1085
; %bb.1084:                             ;   in Loop: Header=BB111_3 Depth=1
	ds_load_b32 v2, v61 offset:512
	s_wait_dscnt 0x0
	ds_store_b32 v58, v2 offset:8
	ds_load_b32 v2, v61 offset:516
	s_wait_dscnt 0x0
	ds_store_b32 v58, v2 offset:264
.LBB111_1085:                           ;   in Loop: Header=BB111_3 Depth=1
	s_or_b32 exec_lo, exec_lo, s38
	s_wait_dscnt 0x0
	s_barrier_signal -1
	s_barrier_wait -1
	s_and_saveexec_b32 s38, s11
	s_cbranch_execz .LBB111_1087
; %bb.1086:                             ;   in Loop: Header=BB111_3 Depth=1
	ds_load_b32 v29, v3 offset:256
	ds_store_b32 v3, v28 offset:260
	s_wait_dscnt 0x1
	ds_store_b64 v3, v[28:29]
.LBB111_1087:                           ;   in Loop: Header=BB111_3 Depth=1
	s_or_b32 exec_lo, exec_lo, s38
.LBB111_1088:                           ;   in Loop: Header=BB111_3 Depth=1
	v_add_nc_u64_e32 v[32:33], s[70:71], v[32:33]
	v_mov_b32_e32 v29, 0
	s_wait_dscnt 0x0
	s_barrier_signal -1
	s_barrier_wait -1
	s_wait_xcnt 0x0
	s_and_saveexec_b32 s38, s29
	s_cbranch_execz .LBB111_1090
; %bb.1089:                             ;   in Loop: Header=BB111_3 Depth=1
	v_lshl_add_u64 v[34:35], v[0:1], 2, v[32:33]
	v_readlane_b32 s39, v91, 1
	flat_load_b32 v2, v[34:35]
	s_wait_loadcnt_dscnt 0x0
	v_mul_f32_e64 v29, v2, -s39
.LBB111_1090:                           ;   in Loop: Header=BB111_3 Depth=1
	s_or_b32 exec_lo, exec_lo, s38
	s_delay_alu instid0(SALU_CYCLE_1)
	s_and_not1_b32 vcc_lo, exec_lo, s80
	s_cbranch_vccnz .LBB111_1116
; %bb.1091:                             ;   in Loop: Header=BB111_3 Depth=1
	v_mov_b32_e32 v36, -1
	s_lshl_b64 s[38:39], s[62:63], 2
	s_mov_b32 s84, 0
	s_add_nc_u64 s[78:79], s[72:73], s[38:39]
	s_branch .LBB111_1094
.LBB111_1092:                           ;   in Loop: Header=BB111_1094 Depth=2
	s_wait_xcnt 0x0
	ds_load_b32 v34, v70 offset:192
	s_wait_loadcnt_dscnt 0x0
	v_fmac_f32_e32 v29, v2, v34
.LBB111_1093:                           ;   in Loop: Header=BB111_1094 Depth=2
	s_or_b32 exec_lo, exec_lo, s38
	s_add_co_i32 s84, s84, 1
	s_delay_alu instid0(SALU_CYCLE_1)
	s_cmp_eq_u32 s84, s82
	s_cbranch_scc1 .LBB111_1116
.LBB111_1094:                           ;   Parent Loop BB111_3 Depth=1
                                        ; =>  This Loop Header: Depth=2
                                        ;       Child Loop BB111_1096 Depth 3
	v_cmp_gt_i32_e32 vcc_lo, s84, v36
	s_and_b32 s39, s55, vcc_lo
	s_delay_alu instid0(SALU_CYCLE_1)
	s_and_saveexec_b32 s38, s39
	s_cbranch_execz .LBB111_1097
; %bb.1095:                             ;   in Loop: Header=BB111_1094 Depth=2
	global_load_b32 v36, v3, s[78:79]
	s_wait_loadcnt 0x0
	v_cmp_le_i32_e32 vcc_lo, s84, v36
	s_cbranch_vccnz .LBB111_1097
.LBB111_1096:                           ;   Parent Loop BB111_3 Depth=1
                                        ;     Parent Loop BB111_1094 Depth=2
                                        ; =>    This Inner Loop Header: Depth=3
	global_wb scope:SCOPE_DEV
	s_wait_storecnt 0x0
	global_inv scope:SCOPE_DEV
	global_load_b32 v36, v3, s[78:79]
	s_wait_loadcnt 0x0
	v_cmp_gt_i32_e32 vcc_lo, s84, v36
	s_cbranch_vccnz .LBB111_1096
.LBB111_1097:                           ;   in Loop: Header=BB111_1094 Depth=2
	s_or_b32 exec_lo, exec_lo, s38
	s_lshl_b32 s61, s84, 6
	global_wb scope:SCOPE_DEV
	s_wait_storecnt 0x0
	global_inv scope:SCOPE_DEV
	s_wait_loadcnt 0x0
	s_barrier_signal -1
	s_barrier_wait -1
	s_and_saveexec_b32 s38, s56
	s_cbranch_execz .LBB111_1101
; %bb.1098:                             ;   in Loop: Header=BB111_1094 Depth=2
	v_dual_mov_b32 v34, 0 :: v_dual_bitop2_b32 v2, s61, v8 bitop3:0x54
	s_mov_b32 s39, exec_lo
	s_delay_alu instid0(VALU_DEP_1)
	v_cmpx_gt_i32_e64 s81, v2
	s_cbranch_execz .LBB111_1100
; %bb.1099:                             ;   in Loop: Header=BB111_1094 Depth=2
	v_mul_u64_e32 v[34:35], s[74:75], v[2:3]
	s_delay_alu instid0(VALU_DEP_1)
	v_lshl_add_u64 v[34:35], v[34:35], 2, v[32:33]
	flat_load_b32 v34, v[34:35]
.LBB111_1100:                           ;   in Loop: Header=BB111_1094 Depth=2
	s_wait_xcnt 0x0
	s_or_b32 exec_lo, exec_lo, s39
	s_wait_loadcnt_dscnt 0x0
	ds_store_b32 v71, v34
.LBB111_1101:                           ;   in Loop: Header=BB111_1094 Depth=2
	s_or_b32 exec_lo, exec_lo, s38
	v_add_nc_u32_e32 v2, s61, v6
	v_cmp_ne_u32_e32 vcc_lo, s84, v5
	s_wait_dscnt 0x0
	s_barrier_signal -1
	s_barrier_wait -1
	v_cmp_gt_i32_e64 s61, s81, v2
	v_lshl_add_u64 v[34:35], v[2:3], 2, v[30:31]
	v_cndmask_b32_e64 v37, 0, 1, vcc_lo
	s_and_b32 s39, s61, s0
	s_delay_alu instid0(SALU_CYCLE_1)
	s_and_saveexec_b32 s38, s39
	s_cbranch_execz .LBB111_1105
; %bb.1102:                             ;   in Loop: Header=BB111_1094 Depth=2
	v_mov_b32_e32 v86, v82
	s_and_not1_b32 vcc_lo, exec_lo, vcc_lo
	s_cbranch_vccnz .LBB111_1104
; %bb.1103:                             ;   in Loop: Header=BB111_1094 Depth=2
	flat_load_b32 v86, v[34:35]
.LBB111_1104:                           ;   in Loop: Header=BB111_1094 Depth=2
	ds_load_b32 v87, v70
	s_wait_loadcnt_dscnt 0x0
	v_fmac_f32_e32 v29, v86, v87
.LBB111_1105:                           ;   in Loop: Header=BB111_1094 Depth=2
	s_or_b32 exec_lo, exec_lo, s38
	v_add_nc_u32_e32 v86, 16, v2
	s_delay_alu instid0(VALU_DEP_1) | instskip(SKIP_1) | instid1(SALU_CYCLE_1)
	v_cmp_gt_i32_e32 vcc_lo, s81, v86
	s_and_b32 s39, vcc_lo, s0
	s_and_saveexec_b32 s38, s39
	s_cbranch_execz .LBB111_1109
; %bb.1106:                             ;   in Loop: Header=BB111_1094 Depth=2
	v_cmp_ne_u32_e32 vcc_lo, 1, v37
	v_mov_b32_e32 v86, v83
	s_cbranch_vccnz .LBB111_1108
; %bb.1107:                             ;   in Loop: Header=BB111_1094 Depth=2
	flat_load_b32 v86, v[34:35] offset:64
.LBB111_1108:                           ;   in Loop: Header=BB111_1094 Depth=2
	ds_load_b32 v87, v70 offset:64
	s_wait_loadcnt_dscnt 0x0
	v_fmac_f32_e32 v29, v86, v87
.LBB111_1109:                           ;   in Loop: Header=BB111_1094 Depth=2
	s_or_b32 exec_lo, exec_lo, s38
	v_add_nc_u32_e32 v86, 32, v2
	s_delay_alu instid0(VALU_DEP_1) | instskip(SKIP_1) | instid1(SALU_CYCLE_1)
	v_cmp_gt_i32_e32 vcc_lo, s81, v86
	s_and_b32 s39, vcc_lo, s0
	s_and_saveexec_b32 s38, s39
	s_cbranch_execz .LBB111_1113
; %bb.1110:                             ;   in Loop: Header=BB111_1094 Depth=2
	v_cmp_ne_u32_e32 vcc_lo, 1, v37
	v_mov_b32_e32 v86, v84
	s_cbranch_vccnz .LBB111_1112
; %bb.1111:                             ;   in Loop: Header=BB111_1094 Depth=2
	flat_load_b32 v86, v[34:35] offset:128
.LBB111_1112:                           ;   in Loop: Header=BB111_1094 Depth=2
	ds_load_b32 v87, v70 offset:128
	s_wait_loadcnt_dscnt 0x0
	v_fmac_f32_e32 v29, v86, v87
.LBB111_1113:                           ;   in Loop: Header=BB111_1094 Depth=2
	s_or_b32 exec_lo, exec_lo, s38
	v_add_nc_u32_e32 v2, 48, v2
	s_delay_alu instid0(VALU_DEP_1) | instskip(SKIP_1) | instid1(SALU_CYCLE_1)
	v_cmp_gt_i32_e32 vcc_lo, s81, v2
	s_and_b32 s39, vcc_lo, s0
	s_and_saveexec_b32 s38, s39
	s_cbranch_execz .LBB111_1093
; %bb.1114:                             ;   in Loop: Header=BB111_1094 Depth=2
	v_cmp_ne_u32_e32 vcc_lo, 1, v37
	v_mov_b32_e32 v2, v85
	s_cbranch_vccnz .LBB111_1092
; %bb.1115:                             ;   in Loop: Header=BB111_1094 Depth=2
	flat_load_b32 v2, v[34:35] offset:192
	s_branch .LBB111_1092
.LBB111_1116:                           ;   in Loop: Header=BB111_3 Depth=1
	ds_store_b32 v72, v29
	s_wait_dscnt 0x0
	s_barrier_signal -1
	s_barrier_wait -1
	s_and_saveexec_b32 s61, s3
	s_cbranch_execz .LBB111_1118
; %bb.1117:                             ;   in Loop: Header=BB111_3 Depth=1
	ds_load_2addr_stride64_b32 v[30:31], v73 offset0:1 offset1:2
	ds_load_2addr_stride64_b32 v[34:35], v73 offset0:3 offset1:4
	;; [unrolled: 1-line block ×4, first 2 shown]
	v_readlane_b32 s38, v89, 3
	s_wait_dscnt 0x3
	v_add_f32_e32 v2, v29, v30
	s_delay_alu instid0(VALU_DEP_1) | instskip(SKIP_3) | instid1(VALU_DEP_1)
	v_add_f32_e32 v2, v2, v31
	ds_load_2addr_stride64_b32 v[30:31], v73 offset0:9 offset1:10
	s_wait_dscnt 0x3
	v_add_f32_e32 v2, v2, v34
	v_add_f32_e32 v2, v2, v35
	ds_load_2addr_stride64_b32 v[34:35], v73 offset0:11 offset1:12
	s_wait_dscnt 0x3
	v_add_f32_e32 v2, v2, v36
	s_delay_alu instid0(VALU_DEP_1) | instskip(SKIP_4) | instid1(VALU_DEP_1)
	v_add_f32_e32 v2, v2, v37
	ds_load_2addr_stride64_b32 v[36:37], v73 offset0:13 offset1:14
	ds_load_b32 v29, v73 offset:3840
	s_wait_dscnt 0x4
	v_add_f32_e32 v2, v2, v86
	v_add_f32_e32 v2, v2, v87
	s_wait_dscnt 0x3
	s_delay_alu instid0(VALU_DEP_1) | instskip(NEXT) | instid1(VALU_DEP_1)
	v_add_f32_e32 v2, v2, v30
	v_add_f32_e32 v2, v2, v31
	s_wait_dscnt 0x2
	s_delay_alu instid0(VALU_DEP_1) | instskip(NEXT) | instid1(VALU_DEP_1)
	;; [unrolled: 4-line block ×4, first 2 shown]
	v_add_f32_e32 v2, v2, v29
	v_cndmask_b32_e64 v29, -v2, 0, s38
.LBB111_1118:                           ;   in Loop: Header=BB111_3 Depth=1
	s_or_b32 exec_lo, exec_lo, s61
	s_delay_alu instid0(SALU_CYCLE_1)
	s_and_not1_b32 vcc_lo, exec_lo, s86
	s_cbranch_vccnz .LBB111_1128
; %bb.1119:                             ;   in Loop: Header=BB111_3 Depth=1
	s_and_saveexec_b32 s38, s3
; %bb.1120:                             ;   in Loop: Header=BB111_3 Depth=1
	ds_store_b32 v75, v29
; %bb.1121:                             ;   in Loop: Header=BB111_3 Depth=1
	s_or_b32 exec_lo, exec_lo, s38
	v_mov_b32_e32 v2, 0
	s_wait_dscnt 0x0
	s_barrier_signal -1
	s_barrier_wait -1
	s_and_saveexec_b32 s38, s1
	s_cbranch_execnz .LBB111_1167
; %bb.1122:                             ;   in Loop: Header=BB111_3 Depth=1
	s_or_b32 exec_lo, exec_lo, s38
	s_and_saveexec_b32 s38, s8
	s_cbranch_execnz .LBB111_1168
.LBB111_1123:                           ;   in Loop: Header=BB111_3 Depth=1
	s_or_b32 exec_lo, exec_lo, s38
	s_and_saveexec_b32 s38, s9
	s_cbranch_execnz .LBB111_1169
.LBB111_1124:                           ;   in Loop: Header=BB111_3 Depth=1
	s_or_b32 exec_lo, exec_lo, s38
	s_and_saveexec_b32 s38, s10
	s_cbranch_execz .LBB111_1126
.LBB111_1125:                           ;   in Loop: Header=BB111_3 Depth=1
	ds_load_b32 v30, v74 offset:12288
	ds_load_b32 v31, v70 offset:192
	s_wait_dscnt 0x0
	v_fmac_f32_e32 v2, v30, v31
.LBB111_1126:                           ;   in Loop: Header=BB111_3 Depth=1
	s_or_b32 exec_lo, exec_lo, s38
	s_mov_b32 s78, 0
	s_mov_b32 s61, 0
	ds_store_b32 v72, v2
	s_wait_dscnt 0x0
	s_barrier_signal -1
	s_barrier_wait -1
                                        ; implicit-def: $vgpr30
	s_and_saveexec_b32 s79, s3
	s_cbranch_execz .LBB111_1170
; %bb.1127:                             ;   in Loop: Header=BB111_3 Depth=1
	ds_load_2addr_stride64_b32 v[30:31], v73 offset0:1 offset1:2
	ds_load_2addr_stride64_b32 v[34:35], v73 offset0:3 offset1:4
	;; [unrolled: 1-line block ×4, first 2 shown]
	s_mov_b32 s61, exec_lo
	s_wait_dscnt 0x3
	v_add_f32_e32 v2, v2, v30
	s_delay_alu instid0(VALU_DEP_1) | instskip(SKIP_3) | instid1(VALU_DEP_1)
	v_add_f32_e32 v2, v31, v2
	ds_load_2addr_stride64_b32 v[30:31], v73 offset0:9 offset1:10
	s_wait_dscnt 0x3
	v_add_f32_e32 v2, v34, v2
	v_add_f32_e32 v2, v35, v2
	ds_load_2addr_stride64_b32 v[34:35], v73 offset0:11 offset1:12
	s_wait_dscnt 0x3
	v_add_f32_e32 v2, v36, v2
	s_delay_alu instid0(VALU_DEP_1) | instskip(SKIP_1) | instid1(VALU_DEP_1)
	v_add_f32_e32 v2, v37, v2
	s_wait_dscnt 0x2
	v_add_f32_e32 v2, v86, v2
	ds_load_2addr_stride64_b32 v[36:37], v73 offset0:13 offset1:14
	ds_load_b32 v86, v73 offset:3840
	v_add_f32_e32 v2, v87, v2
	s_wait_dscnt 0x3
	s_delay_alu instid0(VALU_DEP_1) | instskip(NEXT) | instid1(VALU_DEP_1)
	v_add_f32_e32 v2, v30, v2
	v_add_f32_e32 v2, v31, v2
	s_wait_dscnt 0x2
	s_delay_alu instid0(VALU_DEP_1) | instskip(NEXT) | instid1(VALU_DEP_1)
	v_add_f32_e32 v2, v34, v2
	;; [unrolled: 4-line block ×3, first 2 shown]
	v_add_f32_e32 v2, v37, v2
	s_wait_dscnt 0x0
	s_delay_alu instid0(VALU_DEP_1) | instskip(SKIP_1) | instid1(SALU_CYCLE_1)
	v_add_f32_e32 v30, v86, v2
	s_or_b32 exec_lo, exec_lo, s79
	s_and_b32 vcc_lo, exec_lo, s78
	s_cbranch_vccnz .LBB111_1129
	s_branch .LBB111_1171
.LBB111_1128:                           ;   in Loop: Header=BB111_3 Depth=1
	s_mov_b32 s61, 0
                                        ; implicit-def: $vgpr30
	s_cbranch_execz .LBB111_1171
.LBB111_1129:                           ;   in Loop: Header=BB111_3 Depth=1
	v_dual_mov_b32 v2, v4 :: v_dual_mov_b32 v30, v81
	s_mov_b32 s78, 0
	s_branch .LBB111_1131
.LBB111_1130:                           ;   in Loop: Header=BB111_1131 Depth=2
	s_or_b32 exec_lo, exec_lo, s38
	v_add_nc_u32_e32 v30, 0x400, v30
	v_add_nc_u32_e32 v2, -4, v2
	s_add_co_i32 s78, s78, 4
	s_delay_alu instid0(SALU_CYCLE_1)
	s_cmp_lg_u32 s78, 64
	s_barrier_signal -1
	s_barrier_wait -1
	s_cbranch_scc0 .LBB111_1147
.LBB111_1131:                           ;   Parent Loop BB111_3 Depth=1
                                        ; =>  This Inner Loop Header: Depth=2
	s_delay_alu instid0(VALU_DEP_1) | instskip(SKIP_1) | instid1(SALU_CYCLE_1)
	v_cmp_eq_u32_e32 vcc_lo, 0, v2
	s_and_b32 s39, s3, vcc_lo
	s_and_saveexec_b32 s38, s39
; %bb.1132:                             ;   in Loop: Header=BB111_1131 Depth=2
	ds_store_b32 v3, v29 offset:20736
; %bb.1133:                             ;   in Loop: Header=BB111_1131 Depth=2
	s_or_b32 exec_lo, exec_lo, s38
	v_cmp_lt_u32_e32 vcc_lo, s78, v4
	s_wait_dscnt 0x0
	s_barrier_signal -1
	s_barrier_wait -1
	s_and_b32 s39, s3, vcc_lo
	s_delay_alu instid0(SALU_CYCLE_1)
	s_and_saveexec_b32 s38, s39
	s_cbranch_execz .LBB111_1135
; %bb.1134:                             ;   in Loop: Header=BB111_1131 Depth=2
	ds_load_b32 v31, v30
	ds_load_b32 v34, v3 offset:20736
	s_wait_dscnt 0x0
	v_fmac_f32_e32 v29, v31, v34
.LBB111_1135:                           ;   in Loop: Header=BB111_1131 Depth=2
	s_or_b32 exec_lo, exec_lo, s38
	s_or_b32 s38, s78, 1
	s_delay_alu instid0(SALU_CYCLE_1) | instskip(SKIP_3) | instid1(SALU_CYCLE_1)
	v_cmp_eq_u32_e32 vcc_lo, s38, v4
	s_barrier_signal -1
	s_barrier_wait -1
	s_and_b32 s79, s3, vcc_lo
	s_and_saveexec_b32 s39, s79
; %bb.1136:                             ;   in Loop: Header=BB111_1131 Depth=2
	ds_store_b32 v3, v29 offset:20736
; %bb.1137:                             ;   in Loop: Header=BB111_1131 Depth=2
	s_or_b32 exec_lo, exec_lo, s39
	v_cmp_lt_u32_e32 vcc_lo, s38, v4
	s_wait_dscnt 0x0
	s_barrier_signal -1
	s_barrier_wait -1
	s_and_b32 s39, s3, vcc_lo
	s_delay_alu instid0(SALU_CYCLE_1)
	s_and_saveexec_b32 s38, s39
	s_cbranch_execz .LBB111_1139
; %bb.1138:                             ;   in Loop: Header=BB111_1131 Depth=2
	ds_load_b32 v31, v30 offset:256
	ds_load_b32 v34, v3 offset:20736
	s_wait_dscnt 0x0
	v_fmac_f32_e32 v29, v31, v34
.LBB111_1139:                           ;   in Loop: Header=BB111_1131 Depth=2
	s_or_b32 exec_lo, exec_lo, s38
	s_or_b32 s38, s78, 2
	s_delay_alu instid0(SALU_CYCLE_1) | instskip(SKIP_3) | instid1(SALU_CYCLE_1)
	v_cmp_eq_u32_e32 vcc_lo, s38, v4
	s_barrier_signal -1
	s_barrier_wait -1
	s_and_b32 s79, s3, vcc_lo
	s_and_saveexec_b32 s39, s79
; %bb.1140:                             ;   in Loop: Header=BB111_1131 Depth=2
	ds_store_b32 v3, v29 offset:20736
; %bb.1141:                             ;   in Loop: Header=BB111_1131 Depth=2
	s_or_b32 exec_lo, exec_lo, s39
	v_cmp_lt_u32_e32 vcc_lo, s38, v4
	s_wait_dscnt 0x0
	s_barrier_signal -1
	s_barrier_wait -1
	s_and_b32 s39, s3, vcc_lo
	s_delay_alu instid0(SALU_CYCLE_1)
	s_and_saveexec_b32 s38, s39
	s_cbranch_execz .LBB111_1143
; %bb.1142:                             ;   in Loop: Header=BB111_1131 Depth=2
	ds_load_b32 v31, v30 offset:512
	ds_load_b32 v34, v3 offset:20736
	s_wait_dscnt 0x0
	v_fmac_f32_e32 v29, v31, v34
.LBB111_1143:                           ;   in Loop: Header=BB111_1131 Depth=2
	s_or_b32 exec_lo, exec_lo, s38
	s_or_b32 s38, s78, 3
	s_delay_alu instid0(SALU_CYCLE_1) | instskip(SKIP_3) | instid1(SALU_CYCLE_1)
	v_cmp_eq_u32_e32 vcc_lo, s38, v4
	s_barrier_signal -1
	s_barrier_wait -1
	s_and_b32 s79, s3, vcc_lo
	s_and_saveexec_b32 s39, s79
; %bb.1144:                             ;   in Loop: Header=BB111_1131 Depth=2
	ds_store_b32 v3, v29 offset:20736
; %bb.1145:                             ;   in Loop: Header=BB111_1131 Depth=2
	s_or_b32 exec_lo, exec_lo, s39
	v_cmp_lt_u32_e32 vcc_lo, s38, v4
	s_wait_dscnt 0x0
	s_barrier_signal -1
	s_barrier_wait -1
	s_and_b32 s39, s3, vcc_lo
	s_delay_alu instid0(SALU_CYCLE_1)
	s_and_saveexec_b32 s38, s39
	s_cbranch_execz .LBB111_1130
; %bb.1146:                             ;   in Loop: Header=BB111_1131 Depth=2
	ds_load_b32 v31, v30 offset:768
	ds_load_b32 v34, v3 offset:20736
	s_wait_dscnt 0x0
	v_fmac_f32_e32 v29, v31, v34
	s_branch .LBB111_1130
.LBB111_1147:                           ;   in Loop: Header=BB111_3 Depth=1
	s_and_b32 vcc_lo, exec_lo, s85
	s_mov_b32 s38, -1
	s_cbranch_vccz .LBB111_1149
; %bb.1148:                             ;   in Loop: Header=BB111_3 Depth=1
	s_and_not1_b32 s39, s61, exec_lo
	s_and_b32 s61, s3, exec_lo
	s_mov_b32 s38, 0
	s_or_b32 s61, s39, s61
.LBB111_1149:                           ;   in Loop: Header=BB111_3 Depth=1
	s_and_not1_b32 vcc_lo, exec_lo, s38
	s_cbranch_vccnz .LBB111_1151
; %bb.1150:                             ;   in Loop: Header=BB111_3 Depth=1
	v_readlane_b32 s39, v89, 4
	s_and_not1_b32 s38, s61, exec_lo
	s_and_b32 s39, s39, exec_lo
	s_delay_alu instid0(SALU_CYCLE_1)
	s_or_b32 s61, s38, s39
.LBB111_1151:                           ;   in Loop: Header=BB111_3 Depth=1
	v_mov_b64_e32 v[30:31], v[24:25]
	s_and_saveexec_b32 s38, s61
	s_cbranch_execnz .LBB111_1172
	s_branch .LBB111_1173
.LBB111_1152:                           ;   in Loop: Header=BB111_3 Depth=1
	s_mov_b32 s39, exec_lo
	v_readlane_b32 s61, v88, 15
	s_and_b32 s61, s39, s61
	s_delay_alu instid0(SALU_CYCLE_1)
	s_mov_b32 exec_lo, s61
; %bb.1153:                             ;   in Loop: Header=BB111_3 Depth=1
	ds_store_b32 v76, v3
; %bb.1154:                             ;   in Loop: Header=BB111_3 Depth=1
	s_or_b32 exec_lo, exec_lo, s39
	s_and_not1_saveexec_b32 s38, s38
	s_cbranch_execz .LBB111_16
.LBB111_1155:                           ;   in Loop: Header=BB111_3 Depth=1
	v_lshl_add_u64 v[36:37], v[12:13], 2, v[34:35]
	flat_load_b32 v2, v[36:37]
	s_wait_loadcnt_dscnt 0x0
	v_xor_b32_e32 v2, 0x80000000, v2
	ds_store_b32 v76, v2
	s_or_b32 exec_lo, exec_lo, s38
	s_and_saveexec_b32 s38, s8
	s_delay_alu instid0(SALU_CYCLE_1)
	s_xor_b32 s38, exec_lo, s38
	s_cbranch_execz .LBB111_17
.LBB111_1156:                           ;   in Loop: Header=BB111_3 Depth=1
	s_mov_b32 s39, exec_lo
	v_readlane_b32 s61, v88, 16
	s_and_b32 s61, s39, s61
	s_delay_alu instid0(SALU_CYCLE_1)
	s_mov_b32 exec_lo, s61
; %bb.1157:                             ;   in Loop: Header=BB111_3 Depth=1
	ds_store_b32 v77, v3
; %bb.1158:                             ;   in Loop: Header=BB111_3 Depth=1
	s_or_b32 exec_lo, exec_lo, s39
	s_and_not1_saveexec_b32 s38, s38
	s_cbranch_execz .LBB111_18
.LBB111_1159:                           ;   in Loop: Header=BB111_3 Depth=1
	v_lshl_add_u64 v[36:37], v[14:15], 2, v[34:35]
	flat_load_b32 v2, v[36:37]
	s_wait_loadcnt_dscnt 0x0
	v_xor_b32_e32 v2, 0x80000000, v2
	ds_store_b32 v77, v2
	s_or_b32 exec_lo, exec_lo, s38
	s_and_saveexec_b32 s38, s9
	s_delay_alu instid0(SALU_CYCLE_1)
	s_xor_b32 s38, exec_lo, s38
	s_cbranch_execz .LBB111_19
.LBB111_1160:                           ;   in Loop: Header=BB111_3 Depth=1
	s_mov_b32 s39, exec_lo
	v_readlane_b32 s61, v88, 17
	s_and_b32 s61, s39, s61
	s_delay_alu instid0(SALU_CYCLE_1)
	s_mov_b32 exec_lo, s61
; %bb.1161:                             ;   in Loop: Header=BB111_3 Depth=1
	ds_store_b32 v78, v3
; %bb.1162:                             ;   in Loop: Header=BB111_3 Depth=1
	s_or_b32 exec_lo, exec_lo, s39
	s_and_not1_saveexec_b32 s38, s38
	s_cbranch_execz .LBB111_20
.LBB111_1163:                           ;   in Loop: Header=BB111_3 Depth=1
	v_lshl_add_u64 v[36:37], v[16:17], 2, v[34:35]
	flat_load_b32 v2, v[36:37]
	s_wait_loadcnt_dscnt 0x0
	v_xor_b32_e32 v2, 0x80000000, v2
	ds_store_b32 v78, v2
	s_or_b32 exec_lo, exec_lo, s38
	s_and_saveexec_b32 s38, s10
	s_delay_alu instid0(SALU_CYCLE_1)
	s_xor_b32 s38, exec_lo, s38
	s_cbranch_execz .LBB111_21
.LBB111_1164:                           ;   in Loop: Header=BB111_3 Depth=1
	s_mov_b32 s39, exec_lo
	v_readlane_b32 s61, v88, 18
	s_and_b32 s61, s39, s61
	s_delay_alu instid0(SALU_CYCLE_1)
	s_mov_b32 exec_lo, s61
; %bb.1165:                             ;   in Loop: Header=BB111_3 Depth=1
	ds_store_b32 v79, v3
; %bb.1166:                             ;   in Loop: Header=BB111_3 Depth=1
	s_or_b32 exec_lo, exec_lo, s39
	s_and_not1_saveexec_b32 s38, s38
	s_cbranch_execnz .LBB111_22
	s_branch .LBB111_23
.LBB111_1167:                           ;   in Loop: Header=BB111_3 Depth=1
	ds_load_b32 v2, v74
	ds_load_b32 v30, v70
	s_wait_dscnt 0x0
	v_fma_f32 v2, v2, v30, 0
	s_or_b32 exec_lo, exec_lo, s38
	s_and_saveexec_b32 s38, s8
	s_cbranch_execz .LBB111_1123
.LBB111_1168:                           ;   in Loop: Header=BB111_3 Depth=1
	ds_load_b32 v30, v74 offset:4096
	ds_load_b32 v31, v70 offset:64
	s_wait_dscnt 0x0
	v_fmac_f32_e32 v2, v30, v31
	s_or_b32 exec_lo, exec_lo, s38
	s_and_saveexec_b32 s38, s9
	s_cbranch_execz .LBB111_1124
.LBB111_1169:                           ;   in Loop: Header=BB111_3 Depth=1
	ds_load_b32 v30, v74 offset:8192
	ds_load_b32 v31, v70 offset:128
	s_wait_dscnt 0x0
	v_fmac_f32_e32 v2, v30, v31
	s_or_b32 exec_lo, exec_lo, s38
	s_and_saveexec_b32 s38, s10
	s_cbranch_execnz .LBB111_1125
	s_branch .LBB111_1126
.LBB111_1170:                           ;   in Loop: Header=BB111_3 Depth=1
	s_or_b32 exec_lo, exec_lo, s79
	s_delay_alu instid0(SALU_CYCLE_1)
	s_and_b32 vcc_lo, exec_lo, s78
	s_cbranch_vccnz .LBB111_1129
.LBB111_1171:                           ;   in Loop: Header=BB111_3 Depth=1
	v_mov_b32_e32 v29, v30
	v_mov_b64_e32 v[30:31], v[22:23]
	s_and_saveexec_b32 s38, s61
	s_cbranch_execz .LBB111_1173
.LBB111_1172:                           ;   in Loop: Header=BB111_3 Depth=1
	s_delay_alu instid0(VALU_DEP_1)
	v_lshl_add_u64 v[30:31], v[30:31], 2, v[32:33]
	flat_store_b32 v[30:31], v29
.LBB111_1173:                           ;   in Loop: Header=BB111_3 Depth=1
	s_wait_xcnt 0x0
	s_or_b32 exec_lo, exec_lo, s38
	global_wb scope:SCOPE_DEV
	s_wait_storecnt_dscnt 0x0
	global_inv scope:SCOPE_DEV
	s_wait_loadcnt 0x0
	s_barrier_signal -1
	s_barrier_wait -1
	s_and_saveexec_b32 s38, s55
	s_cbranch_execz .LBB111_2
; %bb.1174:                             ;   in Loop: Header=BB111_3 Depth=1
	s_lshl_b64 s[78:79], s[62:63], 2
	s_delay_alu instid0(SALU_CYCLE_1)
	s_add_nc_u64 s[78:79], s[72:73], s[78:79]
	global_load_b32 v2, v3, s[78:79]
	s_wait_loadcnt 0x0
	v_add_nc_u32_e32 v2, 1, v2
	global_store_b32 v3, v2, s[78:79]
	s_branch .LBB111_2
.LBB111_1175:                           ;   in Loop: Header=BB111_3 Depth=1
	ds_load_b32 v29, v52 offset:15840
	ds_load_b32 v34, v53 offset:16372
	s_wait_dscnt 0x0
	v_fmac_f32_e32 v2, v29, v34
	s_or_b32 exec_lo, exec_lo, s38
	s_and_saveexec_b32 s38, s14
	s_cbranch_execz .LBB111_72
.LBB111_1176:                           ;   in Loop: Header=BB111_3 Depth=1
	ds_load_b32 v29, v52 offset:16096
	ds_load_b32 v34, v53 offset:16376
	s_wait_dscnt 0x0
	v_fmac_f32_e32 v2, v29, v34
	s_or_b32 exec_lo, exec_lo, s38
	s_and_saveexec_b32 s38, s2
	s_cbranch_execnz .LBB111_73
	s_branch .LBB111_74
.LBB111_1177:                           ;   in Loop: Header=BB111_3 Depth=1
	ds_load_b32 v29, v56 offset:14784
	ds_load_b32 v34, v59 offset:16356
	s_wait_dscnt 0x0
	v_fmac_f32_e32 v2, v29, v34
	s_or_b32 exec_lo, exec_lo, s38
	s_and_saveexec_b32 s38, s16
	s_cbranch_execz .LBB111_114
.LBB111_1178:                           ;   in Loop: Header=BB111_3 Depth=1
	ds_load_b32 v29, v56 offset:15040
	ds_load_b32 v34, v59 offset:16360
	s_wait_dscnt 0x0
	v_fmac_f32_e32 v2, v29, v34
	s_or_b32 exec_lo, exec_lo, s38
	s_and_saveexec_b32 s38, s17
	s_cbranch_execz .LBB111_115
.LBB111_1179:                           ;   in Loop: Header=BB111_3 Depth=1
	ds_load_b32 v29, v56 offset:15296
	ds_load_b32 v34, v59 offset:16364
	s_wait_dscnt 0x0
	v_fmac_f32_e32 v2, v29, v34
	s_or_b32 exec_lo, exec_lo, s38
	s_and_saveexec_b32 s38, s18
	s_cbranch_execz .LBB111_116
.LBB111_1180:                           ;   in Loop: Header=BB111_3 Depth=1
	ds_load_b32 v29, v56 offset:15552
	ds_load_b32 v34, v59 offset:16368
	s_wait_dscnt 0x0
	v_fmac_f32_e32 v2, v29, v34
	s_or_b32 exec_lo, exec_lo, s38
	s_and_saveexec_b32 s38, s19
	s_cbranch_execz .LBB111_117
.LBB111_1181:                           ;   in Loop: Header=BB111_3 Depth=1
	ds_load_b32 v29, v56 offset:15808
	ds_load_b32 v34, v59 offset:16372
	s_wait_dscnt 0x0
	v_fmac_f32_e32 v2, v29, v34
	s_or_b32 exec_lo, exec_lo, s38
	s_and_saveexec_b32 s38, s4
	s_cbranch_execz .LBB111_118
.LBB111_1182:                           ;   in Loop: Header=BB111_3 Depth=1
	ds_load_b32 v29, v56 offset:16064
	ds_load_b32 v34, v59 offset:16376
	s_wait_dscnt 0x0
	v_fmac_f32_e32 v2, v29, v34
	s_or_b32 exec_lo, exec_lo, s38
	s_and_saveexec_b32 s38, s14
	s_cbranch_execnz .LBB111_119
	s_branch .LBB111_120
.LBB111_1183:                           ;   in Loop: Header=BB111_3 Depth=1
	ds_load_b32 v29, v52 offset:13760
	ds_load_b32 v34, v53 offset:14292
	s_wait_dscnt 0x0
	v_fmac_f32_e32 v2, v29, v34
	s_or_b32 exec_lo, exec_lo, s38
	s_and_saveexec_b32 s38, s14
	s_cbranch_execz .LBB111_176
.LBB111_1184:                           ;   in Loop: Header=BB111_3 Depth=1
	ds_load_b32 v29, v52 offset:14016
	ds_load_b32 v34, v53 offset:14296
	s_wait_dscnt 0x0
	v_fmac_f32_e32 v2, v29, v34
	s_or_b32 exec_lo, exec_lo, s38
	s_and_saveexec_b32 s38, s2
	s_cbranch_execnz .LBB111_177
	s_branch .LBB111_178
.LBB111_1185:                           ;   in Loop: Header=BB111_3 Depth=1
	ds_load_b32 v29, v62 offset:15232
	ds_load_b32 v34, v65 offset:16364
	s_wait_dscnt 0x0
	v_fmac_f32_e32 v2, v29, v34
	s_or_b32 exec_lo, exec_lo, s38
	s_and_saveexec_b32 s38, s5
	s_cbranch_execz .LBB111_238
.LBB111_1186:                           ;   in Loop: Header=BB111_3 Depth=1
	ds_load_b32 v29, v62 offset:15488
	ds_load_b32 v34, v65 offset:16368
	s_wait_dscnt 0x0
	v_fmac_f32_e32 v2, v29, v34
	s_or_b32 exec_lo, exec_lo, s38
	s_and_saveexec_b32 s38, s16
	s_cbranch_execz .LBB111_239
.LBB111_1187:                           ;   in Loop: Header=BB111_3 Depth=1
	ds_load_b32 v29, v62 offset:15744
	ds_load_b32 v34, v65 offset:16372
	s_wait_dscnt 0x0
	v_fmac_f32_e32 v2, v29, v34
	s_or_b32 exec_lo, exec_lo, s38
	s_and_saveexec_b32 s38, s18
	s_cbranch_execz .LBB111_240
.LBB111_1188:                           ;   in Loop: Header=BB111_3 Depth=1
	ds_load_b32 v29, v62 offset:16000
	ds_load_b32 v34, v65 offset:16376
	s_wait_dscnt 0x0
	v_fmac_f32_e32 v2, v29, v34
	s_or_b32 exec_lo, exec_lo, s38
	s_and_saveexec_b32 s38, s4
	s_cbranch_execnz .LBB111_241
	s_branch .LBB111_242
.LBB111_1189:                           ;   in Loop: Header=BB111_3 Depth=1
	ds_load_b32 v29, v52 offset:11680
	ds_load_b32 v34, v53 offset:12212
	s_wait_dscnt 0x0
	v_fmac_f32_e32 v2, v29, v34
	s_or_b32 exec_lo, exec_lo, s38
	s_and_saveexec_b32 s38, s14
	s_cbranch_execz .LBB111_330
.LBB111_1190:                           ;   in Loop: Header=BB111_3 Depth=1
	ds_load_b32 v29, v52 offset:11936
	ds_load_b32 v34, v53 offset:12216
	s_wait_dscnt 0x0
	v_fmac_f32_e32 v2, v29, v34
	s_or_b32 exec_lo, exec_lo, s38
	s_and_saveexec_b32 s38, s2
	s_cbranch_execnz .LBB111_331
	s_branch .LBB111_332
.LBB111_1191:                           ;   in Loop: Header=BB111_3 Depth=1
	ds_load_b32 v29, v56 offset:10624
	ds_load_b32 v34, v59 offset:12196
	s_wait_dscnt 0x0
	v_fmac_f32_e32 v2, v29, v34
	s_or_b32 exec_lo, exec_lo, s38
	s_and_saveexec_b32 s38, s16
	s_cbranch_execz .LBB111_372
.LBB111_1192:                           ;   in Loop: Header=BB111_3 Depth=1
	ds_load_b32 v29, v56 offset:10880
	ds_load_b32 v34, v59 offset:12200
	s_wait_dscnt 0x0
	v_fmac_f32_e32 v2, v29, v34
	s_or_b32 exec_lo, exec_lo, s38
	s_and_saveexec_b32 s38, s17
	s_cbranch_execz .LBB111_373
.LBB111_1193:                           ;   in Loop: Header=BB111_3 Depth=1
	ds_load_b32 v29, v56 offset:11136
	ds_load_b32 v34, v59 offset:12204
	s_wait_dscnt 0x0
	v_fmac_f32_e32 v2, v29, v34
	s_or_b32 exec_lo, exec_lo, s38
	s_and_saveexec_b32 s38, s18
	s_cbranch_execz .LBB111_374
.LBB111_1194:                           ;   in Loop: Header=BB111_3 Depth=1
	ds_load_b32 v29, v56 offset:11392
	ds_load_b32 v34, v59 offset:12208
	s_wait_dscnt 0x0
	v_fmac_f32_e32 v2, v29, v34
	s_or_b32 exec_lo, exec_lo, s38
	s_and_saveexec_b32 s38, s19
	s_cbranch_execz .LBB111_375
.LBB111_1195:                           ;   in Loop: Header=BB111_3 Depth=1
	ds_load_b32 v29, v56 offset:11648
	ds_load_b32 v34, v59 offset:12212
	s_wait_dscnt 0x0
	v_fmac_f32_e32 v2, v29, v34
	s_or_b32 exec_lo, exec_lo, s38
	s_and_saveexec_b32 s38, s4
	s_cbranch_execz .LBB111_376
.LBB111_1196:                           ;   in Loop: Header=BB111_3 Depth=1
	ds_load_b32 v29, v56 offset:11904
	ds_load_b32 v34, v59 offset:12216
	s_wait_dscnt 0x0
	v_fmac_f32_e32 v2, v29, v34
	s_or_b32 exec_lo, exec_lo, s38
	s_and_saveexec_b32 s38, s14
	s_cbranch_execnz .LBB111_377
	s_branch .LBB111_378
.LBB111_1197:                           ;   in Loop: Header=BB111_3 Depth=1
	ds_load_b32 v29, v52 offset:9600
	ds_load_b32 v34, v53 offset:10132
	s_wait_dscnt 0x0
	v_fmac_f32_e32 v2, v29, v34
	s_or_b32 exec_lo, exec_lo, s38
	s_and_saveexec_b32 s38, s14
	s_cbranch_execz .LBB111_434
.LBB111_1198:                           ;   in Loop: Header=BB111_3 Depth=1
	ds_load_b32 v29, v52 offset:9856
	ds_load_b32 v34, v53 offset:10136
	s_wait_dscnt 0x0
	v_fmac_f32_e32 v2, v29, v34
	s_or_b32 exec_lo, exec_lo, s38
	s_and_saveexec_b32 s38, s2
	s_cbranch_execnz .LBB111_435
	s_branch .LBB111_436
.LBB111_1199:                           ;   in Loop: Header=BB111_3 Depth=1
	ds_load_b32 v29, v64 offset:15616
	ds_load_b32 v34, v68 offset:16372
	s_wait_dscnt 0x0
	v_fmac_f32_e32 v2, v29, v34
	s_or_b32 exec_lo, exec_lo, s38
	s_and_saveexec_b32 s38, s5
	s_cbranch_execz .LBB111_532
.LBB111_1200:                           ;   in Loop: Header=BB111_3 Depth=1
	ds_load_b32 v29, v64 offset:15872
	ds_load_b32 v34, v68 offset:16376
	s_wait_dscnt 0x0
	v_fmac_f32_e32 v2, v29, v34
	s_or_b32 exec_lo, exec_lo, s38
	s_and_saveexec_b32 s38, s18
	s_cbranch_execnz .LBB111_533
	s_branch .LBB111_534
.LBB111_1201:                           ;   in Loop: Header=BB111_3 Depth=1
	ds_load_b32 v29, v52 offset:7520
	ds_load_b32 v34, v53 offset:8052
	s_wait_dscnt 0x0
	v_fmac_f32_e32 v2, v29, v34
	s_or_b32 exec_lo, exec_lo, s38
	s_and_saveexec_b32 s38, s14
	s_cbranch_execz .LBB111_686
.LBB111_1202:                           ;   in Loop: Header=BB111_3 Depth=1
	ds_load_b32 v29, v52 offset:7776
	ds_load_b32 v34, v53 offset:8056
	s_wait_dscnt 0x0
	v_fmac_f32_e32 v2, v29, v34
	s_or_b32 exec_lo, exec_lo, s38
	s_and_saveexec_b32 s38, s2
	s_cbranch_execnz .LBB111_687
	s_branch .LBB111_688
.LBB111_1203:                           ;   in Loop: Header=BB111_3 Depth=1
	ds_load_b32 v29, v56 offset:6464
	ds_load_b32 v34, v59 offset:8036
	s_wait_dscnt 0x0
	v_fmac_f32_e32 v2, v29, v34
	s_or_b32 exec_lo, exec_lo, s38
	s_and_saveexec_b32 s38, s16
	s_cbranch_execz .LBB111_728
.LBB111_1204:                           ;   in Loop: Header=BB111_3 Depth=1
	ds_load_b32 v29, v56 offset:6720
	ds_load_b32 v34, v59 offset:8040
	s_wait_dscnt 0x0
	v_fmac_f32_e32 v2, v29, v34
	s_or_b32 exec_lo, exec_lo, s38
	s_and_saveexec_b32 s38, s17
	s_cbranch_execz .LBB111_729
.LBB111_1205:                           ;   in Loop: Header=BB111_3 Depth=1
	ds_load_b32 v29, v56 offset:6976
	ds_load_b32 v34, v59 offset:8044
	s_wait_dscnt 0x0
	v_fmac_f32_e32 v2, v29, v34
	s_or_b32 exec_lo, exec_lo, s38
	s_and_saveexec_b32 s38, s18
	s_cbranch_execz .LBB111_730
.LBB111_1206:                           ;   in Loop: Header=BB111_3 Depth=1
	ds_load_b32 v29, v56 offset:7232
	ds_load_b32 v34, v59 offset:8048
	s_wait_dscnt 0x0
	v_fmac_f32_e32 v2, v29, v34
	s_or_b32 exec_lo, exec_lo, s38
	s_and_saveexec_b32 s38, s19
	s_cbranch_execz .LBB111_731
.LBB111_1207:                           ;   in Loop: Header=BB111_3 Depth=1
	ds_load_b32 v29, v56 offset:7488
	ds_load_b32 v34, v59 offset:8052
	s_wait_dscnt 0x0
	v_fmac_f32_e32 v2, v29, v34
	s_or_b32 exec_lo, exec_lo, s38
	s_and_saveexec_b32 s38, s4
	s_cbranch_execz .LBB111_732
.LBB111_1208:                           ;   in Loop: Header=BB111_3 Depth=1
	ds_load_b32 v29, v56 offset:7744
	ds_load_b32 v34, v59 offset:8056
	s_wait_dscnt 0x0
	v_fmac_f32_e32 v2, v29, v34
	s_or_b32 exec_lo, exec_lo, s38
	s_and_saveexec_b32 s38, s14
	s_cbranch_execnz .LBB111_733
	s_branch .LBB111_734
.LBB111_1209:                           ;   in Loop: Header=BB111_3 Depth=1
	ds_load_b32 v29, v52 offset:5440
	ds_load_b32 v34, v53 offset:5972
	s_wait_dscnt 0x0
	v_fmac_f32_e32 v2, v29, v34
	s_or_b32 exec_lo, exec_lo, s38
	s_and_saveexec_b32 s38, s14
	s_cbranch_execz .LBB111_790
.LBB111_1210:                           ;   in Loop: Header=BB111_3 Depth=1
	ds_load_b32 v29, v52 offset:5696
	ds_load_b32 v34, v53 offset:5976
	s_wait_dscnt 0x0
	v_fmac_f32_e32 v2, v29, v34
	s_or_b32 exec_lo, exec_lo, s38
	s_and_saveexec_b32 s38, s2
	s_cbranch_execnz .LBB111_791
	s_branch .LBB111_792
.LBB111_1211:                           ;   in Loop: Header=BB111_3 Depth=1
	ds_load_b32 v29, v62 offset:6912
	ds_load_b32 v34, v65 offset:8044
	s_wait_dscnt 0x0
	v_fmac_f32_e32 v2, v29, v34
	s_or_b32 exec_lo, exec_lo, s38
	s_and_saveexec_b32 s38, s5
	s_cbranch_execz .LBB111_852
.LBB111_1212:                           ;   in Loop: Header=BB111_3 Depth=1
	ds_load_b32 v29, v62 offset:7168
	ds_load_b32 v34, v65 offset:8048
	s_wait_dscnt 0x0
	v_fmac_f32_e32 v2, v29, v34
	s_or_b32 exec_lo, exec_lo, s38
	s_and_saveexec_b32 s38, s16
	s_cbranch_execz .LBB111_853
.LBB111_1213:                           ;   in Loop: Header=BB111_3 Depth=1
	ds_load_b32 v29, v62 offset:7424
	ds_load_b32 v34, v65 offset:8052
	s_wait_dscnt 0x0
	v_fmac_f32_e32 v2, v29, v34
	s_or_b32 exec_lo, exec_lo, s38
	s_and_saveexec_b32 s38, s18
	s_cbranch_execz .LBB111_854
.LBB111_1214:                           ;   in Loop: Header=BB111_3 Depth=1
	ds_load_b32 v29, v62 offset:7680
	ds_load_b32 v34, v65 offset:8056
	s_wait_dscnt 0x0
	v_fmac_f32_e32 v2, v29, v34
	s_or_b32 exec_lo, exec_lo, s38
	s_and_saveexec_b32 s38, s4
	s_cbranch_execnz .LBB111_855
	s_branch .LBB111_856
.LBB111_1215:                           ;   in Loop: Header=BB111_3 Depth=1
	ds_load_b32 v29, v52 offset:3360
	ds_load_b32 v34, v53 offset:3892
	s_wait_dscnt 0x0
	v_fmac_f32_e32 v2, v29, v34
	s_or_b32 exec_lo, exec_lo, s38
	s_and_saveexec_b32 s38, s14
	s_cbranch_execz .LBB111_944
.LBB111_1216:                           ;   in Loop: Header=BB111_3 Depth=1
	ds_load_b32 v29, v52 offset:3616
	ds_load_b32 v34, v53 offset:3896
	s_wait_dscnt 0x0
	v_fmac_f32_e32 v2, v29, v34
	s_or_b32 exec_lo, exec_lo, s38
	s_and_saveexec_b32 s38, s2
	s_cbranch_execnz .LBB111_945
	s_branch .LBB111_946
.LBB111_1217:                           ;   in Loop: Header=BB111_3 Depth=1
	ds_load_b32 v29, v56 offset:2304
	ds_load_b32 v34, v59 offset:3876
	s_wait_dscnt 0x0
	v_fmac_f32_e32 v2, v29, v34
	s_or_b32 exec_lo, exec_lo, s38
	s_and_saveexec_b32 s38, s16
	s_cbranch_execz .LBB111_986
.LBB111_1218:                           ;   in Loop: Header=BB111_3 Depth=1
	ds_load_b32 v29, v56 offset:2560
	ds_load_b32 v34, v59 offset:3880
	s_wait_dscnt 0x0
	v_fmac_f32_e32 v2, v29, v34
	s_or_b32 exec_lo, exec_lo, s38
	s_and_saveexec_b32 s38, s17
	s_cbranch_execz .LBB111_987
.LBB111_1219:                           ;   in Loop: Header=BB111_3 Depth=1
	ds_load_b32 v29, v56 offset:2816
	ds_load_b32 v34, v59 offset:3884
	s_wait_dscnt 0x0
	v_fmac_f32_e32 v2, v29, v34
	s_or_b32 exec_lo, exec_lo, s38
	s_and_saveexec_b32 s38, s18
	s_cbranch_execz .LBB111_988
.LBB111_1220:                           ;   in Loop: Header=BB111_3 Depth=1
	ds_load_b32 v29, v56 offset:3072
	ds_load_b32 v34, v59 offset:3888
	s_wait_dscnt 0x0
	v_fmac_f32_e32 v2, v29, v34
	s_or_b32 exec_lo, exec_lo, s38
	s_and_saveexec_b32 s38, s19
	s_cbranch_execz .LBB111_989
.LBB111_1221:                           ;   in Loop: Header=BB111_3 Depth=1
	ds_load_b32 v29, v56 offset:3328
	ds_load_b32 v34, v59 offset:3892
	s_wait_dscnt 0x0
	v_fmac_f32_e32 v2, v29, v34
	s_or_b32 exec_lo, exec_lo, s38
	s_and_saveexec_b32 s38, s4
	s_cbranch_execz .LBB111_990
.LBB111_1222:                           ;   in Loop: Header=BB111_3 Depth=1
	ds_load_b32 v29, v56 offset:3584
	ds_load_b32 v34, v59 offset:3896
	s_wait_dscnt 0x0
	v_fmac_f32_e32 v2, v29, v34
	s_or_b32 exec_lo, exec_lo, s38
	s_and_saveexec_b32 s38, s14
	s_cbranch_execnz .LBB111_991
	s_branch .LBB111_992
.LBB111_1223:                           ;   in Loop: Header=BB111_3 Depth=1
	ds_load_b32 v29, v52 offset:1280
	ds_load_b32 v34, v53 offset:1812
	s_wait_dscnt 0x0
	v_fmac_f32_e32 v2, v29, v34
	s_or_b32 exec_lo, exec_lo, s38
	s_and_saveexec_b32 s38, s14
	s_cbranch_execz .LBB111_1048
.LBB111_1224:                           ;   in Loop: Header=BB111_3 Depth=1
	ds_load_b32 v29, v52 offset:1536
	ds_load_b32 v34, v53 offset:1816
	s_wait_dscnt 0x0
	v_fmac_f32_e32 v2, v29, v34
	s_or_b32 exec_lo, exec_lo, s38
	s_and_saveexec_b32 s38, s2
	s_cbranch_execnz .LBB111_1049
	s_branch .LBB111_1050
.LBB111_1225:
	s_endpgm
	.section	.rodata,"a",@progbits
	.p2align	6, 0x0
	.amdhsa_kernel _ZL19rocblas_trsv_deviceILi64ELi16ELb0ELb1ELb1ELb1EffPKPKfPKPfEviT7_lllT6_T8_lllPii
		.amdhsa_group_segment_fixed_size 20740
		.amdhsa_private_segment_fixed_size 0
		.amdhsa_kernarg_size 352
		.amdhsa_user_sgpr_count 2
		.amdhsa_user_sgpr_dispatch_ptr 0
		.amdhsa_user_sgpr_queue_ptr 0
		.amdhsa_user_sgpr_kernarg_segment_ptr 1
		.amdhsa_user_sgpr_dispatch_id 0
		.amdhsa_user_sgpr_kernarg_preload_length 0
		.amdhsa_user_sgpr_kernarg_preload_offset 0
		.amdhsa_user_sgpr_private_segment_size 0
		.amdhsa_wavefront_size32 1
		.amdhsa_uses_dynamic_stack 0
		.amdhsa_enable_private_segment 0
		.amdhsa_system_sgpr_workgroup_id_x 1
		.amdhsa_system_sgpr_workgroup_id_y 0
		.amdhsa_system_sgpr_workgroup_id_z 1
		.amdhsa_system_sgpr_workgroup_info 0
		.amdhsa_system_vgpr_workitem_id 1
		.amdhsa_next_free_vgpr 92
		.amdhsa_next_free_sgpr 105
		.amdhsa_named_barrier_count 0
		.amdhsa_reserve_vcc 1
		.amdhsa_float_round_mode_32 0
		.amdhsa_float_round_mode_16_64 0
		.amdhsa_float_denorm_mode_32 3
		.amdhsa_float_denorm_mode_16_64 3
		.amdhsa_fp16_overflow 0
		.amdhsa_memory_ordered 1
		.amdhsa_forward_progress 1
		.amdhsa_inst_pref_size 255
		.amdhsa_round_robin_scheduling 0
		.amdhsa_exception_fp_ieee_invalid_op 0
		.amdhsa_exception_fp_denorm_src 0
		.amdhsa_exception_fp_ieee_div_zero 0
		.amdhsa_exception_fp_ieee_overflow 0
		.amdhsa_exception_fp_ieee_underflow 0
		.amdhsa_exception_fp_ieee_inexact 0
		.amdhsa_exception_int_div_zero 0
	.end_amdhsa_kernel
	.section	.text._ZL19rocblas_trsv_deviceILi64ELi16ELb0ELb1ELb1ELb1EffPKPKfPKPfEviT7_lllT6_T8_lllPii,"axG",@progbits,_ZL19rocblas_trsv_deviceILi64ELi16ELb0ELb1ELb1ELb1EffPKPKfPKPfEviT7_lllT6_T8_lllPii,comdat
.Lfunc_end111:
	.size	_ZL19rocblas_trsv_deviceILi64ELi16ELb0ELb1ELb1ELb1EffPKPKfPKPfEviT7_lllT6_T8_lllPii, .Lfunc_end111-_ZL19rocblas_trsv_deviceILi64ELi16ELb0ELb1ELb1ELb1EffPKPKfPKPfEviT7_lllT6_T8_lllPii
                                        ; -- End function
	.set _ZL19rocblas_trsv_deviceILi64ELi16ELb0ELb1ELb1ELb1EffPKPKfPKPfEviT7_lllT6_T8_lllPii.num_vgpr, 92
	.set _ZL19rocblas_trsv_deviceILi64ELi16ELb0ELb1ELb1ELb1EffPKPKfPKPfEviT7_lllT6_T8_lllPii.num_agpr, 0
	.set _ZL19rocblas_trsv_deviceILi64ELi16ELb0ELb1ELb1ELb1EffPKPKfPKPfEviT7_lllT6_T8_lllPii.numbered_sgpr, 105
	.set _ZL19rocblas_trsv_deviceILi64ELi16ELb0ELb1ELb1ELb1EffPKPKfPKPfEviT7_lllT6_T8_lllPii.num_named_barrier, 0
	.set _ZL19rocblas_trsv_deviceILi64ELi16ELb0ELb1ELb1ELb1EffPKPKfPKPfEviT7_lllT6_T8_lllPii.private_seg_size, 0
	.set _ZL19rocblas_trsv_deviceILi64ELi16ELb0ELb1ELb1ELb1EffPKPKfPKPfEviT7_lllT6_T8_lllPii.uses_vcc, 1
	.set _ZL19rocblas_trsv_deviceILi64ELi16ELb0ELb1ELb1ELb1EffPKPKfPKPfEviT7_lllT6_T8_lllPii.uses_flat_scratch, 0
	.set _ZL19rocblas_trsv_deviceILi64ELi16ELb0ELb1ELb1ELb1EffPKPKfPKPfEviT7_lllT6_T8_lllPii.has_dyn_sized_stack, 0
	.set _ZL19rocblas_trsv_deviceILi64ELi16ELb0ELb1ELb1ELb1EffPKPKfPKPfEviT7_lllT6_T8_lllPii.has_recursion, 0
	.set _ZL19rocblas_trsv_deviceILi64ELi16ELb0ELb1ELb1ELb1EffPKPKfPKPfEviT7_lllT6_T8_lllPii.has_indirect_call, 0
	.section	.AMDGPU.csdata,"",@progbits
; Kernel info:
; codeLenInByte = 36632
; TotalNumSgprs: 107
; NumVgprs: 92
; ScratchSize: 0
; MemoryBound: 0
; FloatMode: 240
; IeeeMode: 1
; LDSByteSize: 20740 bytes/workgroup (compile time only)
; SGPRBlocks: 0
; VGPRBlocks: 5
; NumSGPRsForWavesPerEU: 107
; NumVGPRsForWavesPerEU: 92
; NamedBarCnt: 0
; Occupancy: 10
; WaveLimiterHint : 1
; COMPUTE_PGM_RSRC2:SCRATCH_EN: 0
; COMPUTE_PGM_RSRC2:USER_SGPR: 2
; COMPUTE_PGM_RSRC2:TRAP_HANDLER: 0
; COMPUTE_PGM_RSRC2:TGID_X_EN: 1
; COMPUTE_PGM_RSRC2:TGID_Y_EN: 0
; COMPUTE_PGM_RSRC2:TGID_Z_EN: 1
; COMPUTE_PGM_RSRC2:TIDIG_COMP_CNT: 1
	.section	.text._ZL19rocblas_trsv_deviceILi64ELi16ELb0ELb0ELb0ELb0EffPKPKfPKPfEviT7_lllT6_T8_lllPii,"axG",@progbits,_ZL19rocblas_trsv_deviceILi64ELi16ELb0ELb0ELb0ELb0EffPKPKfPKPfEviT7_lllT6_T8_lllPii,comdat
	.globl	_ZL19rocblas_trsv_deviceILi64ELi16ELb0ELb0ELb0ELb0EffPKPKfPKPfEviT7_lllT6_T8_lllPii ; -- Begin function _ZL19rocblas_trsv_deviceILi64ELi16ELb0ELb0ELb0ELb0EffPKPKfPKPfEviT7_lllT6_T8_lllPii
	.p2align	8
	.type	_ZL19rocblas_trsv_deviceILi64ELi16ELb0ELb0ELb0ELb0EffPKPKfPKPfEviT7_lllT6_T8_lllPii,@function
_ZL19rocblas_trsv_deviceILi64ELi16ELb0ELb0ELb0ELb0EffPKPKfPKPfEviT7_lllT6_T8_lllPii: ; @_ZL19rocblas_trsv_deviceILi64ELi16ELb0ELb0ELb0ELb0EffPKPKfPKPfEviT7_lllT6_T8_lllPii
; %bb.0:
	s_load_b32 s6, s[0:1], 0x58
	s_bfe_u32 s2, ttmp6, 0x40014
	s_lshr_b32 s3, ttmp7, 16
	s_add_co_i32 s2, s2, 1
	s_bfe_u32 s5, ttmp6, 0x40008
	s_mul_i32 s4, s3, s2
	s_getreg_b32 s2, hwreg(HW_REG_IB_STS2, 6, 4)
	s_add_co_i32 s5, s5, s4
	s_cmp_eq_u32 s2, 0
	s_mov_b32 s71, 0
	s_cselect_b32 s70, s3, s5
                                        ; implicit-def: $vgpr74 : SGPR spill to VGPR lane
	s_wait_kmcnt 0x0
	s_cmp_ge_u32 s70, s6
	v_writelane_b32 v74, s6, 0
	s_cbranch_scc1 .LBB112_1195
; %bb.1:
	s_clause 0x2
	s_load_b32 s3, s[0:1], 0x6c
	s_load_b32 s97, s[0:1], 0x60
	;; [unrolled: 1-line block ×3, first 2 shown]
	s_bfe_u32 s5, ttmp6, 0x4000c
	s_and_b32 s4, ttmp6, 15
	s_add_co_i32 s5, s5, 1
	s_clause 0x1
	s_load_b64 s[82:83], s[0:1], 0x18
	s_load_b128 s[72:75], s[0:1], 0x8
	s_mul_i32 s5, ttmp9, s5
	s_load_b64 s[84:85], s[0:1], 0x50
	s_add_co_i32 s4, s4, s5
	s_cmp_eq_u32 s2, 0
	v_dual_mov_b32 v5, 0 :: v_dual_lshrrev_b32 v1, 10, v0
	s_cselect_b32 s96, ttmp9, s4
	v_and_b32_e32 v2, 0x3ff, v0
	s_delay_alu instid0(VALU_DEP_2)
	v_dual_mov_b32 v3, v5 :: v_dual_bitop2_b32 v10, 1, v0 bitop3:0x40
	v_bfe_u32 v28, v0, 10, 10
	v_bitop3_b32 v21, v0, v1, 0x3ff bitop3:0xa8
	s_wait_kmcnt 0x0
	s_and_b32 s4, s3, 0xffff
	s_add_co_i32 s97, s97, -1
	s_add_co_i32 s2, s80, -1
	s_ashr_i32 s81, s80, 31
	s_ashr_i32 s3, s2, 31
	s_lshr_b32 s5, s81, 26
	s_lshr_b32 s3, s3, 26
	s_add_co_i32 s5, s80, s5
	s_add_co_i32 s2, s2, s3
	s_and_not1_b32 s5, s5, 63
	s_sub_co_i32 s56, s97, s96
	s_ashr_i32 s2, s2, 6
	s_sub_co_i32 s15, s80, s5
	s_cmp_eq_u32 s2, s56
	v_lshl_add_u32 v20, v28, 6, v2
	s_cselect_b32 s2, -1, 0
	s_cmp_lg_u32 s15, 0
	v_cmp_eq_u32_e32 vcc_lo, 1, v10
	s_cselect_b32 s3, -1, 0
	v_dual_lshlrev_b32 v30, 2, v10 :: v_dual_lshlrev_b32 v1, 6, v20
	s_and_b32 s16, s3, s2
	v_lshlrev_b32_e32 v31, 2, v2
	s_xor_b32 s98, s16, -1
	s_cmp_lg_u32 s96, 0
	v_mad_u32_u24 v4, v28, s4, v2
	s_cselect_b32 s2, -1, 0
	s_lshl_b32 s12, s56, 6
	v_writelane_b32 v74, s2, 1
	s_load_b32 s2, s[0:1], 0x28
	v_dual_lshrrev_b32 v11, 1, v20 :: v_dual_add_nc_u32 v6, s12, v2
	s_ashr_i32 s13, s12, 31
	v_add_nc_u32_e32 v14, s12, v28
	s_cmp_gt_i32 s96, 4
	s_delay_alu instid0(VALU_DEP_2)
	v_lshlrev_b32_e32 v15, 8, v11
	s_cselect_b32 s4, -1, 0
	v_and_b32_e32 v1, 0xffffff00, v1
	v_add_nc_u32_e32 v12, 64, v14
	s_and_b32 s101, s4, s98
	v_dual_sub_nc_u32 v29, 0, v15 :: v_dual_ashrrev_i32 v7, 31, v6
	s_delay_alu instid0(VALU_DEP_3) | instskip(NEXT) | instid1(VALU_DEP_3)
	v_dual_sub_nc_u32 v32, v30, v15 :: v_dual_sub_nc_u32 v34, 0, v1
	v_ashrrev_i32_e32 v13, 31, v12
                                        ; implicit-def: $vgpr73 : SGPR spill to VGPR lane
                                        ; implicit-def: $vgpr72 : SGPR spill to VGPR lane
	s_clause 0x1
	s_load_b64 s[86:87], s[0:1], 0x40
	s_load_b128 s[76:79], s[0:1], 0x30
	s_wait_xcnt 0x0
	v_cmp_gt_i32_e64 s0, s15, v2
	v_lshl_add_u32 v50, v28, 2, 0x5000
	v_cmp_gt_i32_e64 s1, s80, v12
	s_wait_kmcnt 0x0
	v_writelane_b32 v74, s2, 2
	s_add_nc_u64 s[2:3], s[82:83], 1
	v_mul_u64_e32 v[8:9], s[82:83], v[12:13]
	v_mad_nc_u64_u32 v[18:19], s2, s12, v[2:3]
	s_mul_i32 s3, s3, s12
	s_mul_i32 s2, s2, s13
	v_lshl_add_u32 v3, v11, 2, 0x4000
	v_and_b32_e32 v11, 0x1fffc, v20
	v_add_nc_u32_e32 v16, 0x60, v14
	v_add_nc_u32_e32 v25, 0x70, v14
	v_dual_add_nc_u32 v23, 32, v28 :: v_dual_add_nc_u32 v24, 48, v28
	s_delay_alu instid0(VALU_DEP_4)
	v_add_nc_u32_e32 v33, 0x4000, v11
                                        ; implicit-def: $vgpr71 : SGPR spill to VGPR lane
                                        ; implicit-def: $vgpr70 : SGPR spill to VGPR lane
	v_lshl_add_u32 v49, v4, 2, 0x5000
	v_add3_u32 v19, s2, s3, v19
	v_cmp_gt_u32_e64 s2, 4, v20
	v_cmp_eq_u32_e64 s3, 0, v10
	v_and_b32_e32 v10, 3, v0
	v_or_b32_e32 v26, v23, v2
	v_or_b32_e32 v27, v24, v2
	s_and_b32 s102, vcc_lo, s2
	s_and_b32 s103, s3, s2
	v_cmp_gt_u32_e64 s3, 16, v20
	v_cmp_eq_u32_e32 vcc_lo, 3, v10
	v_cmp_ne_u32_e64 s4, 3, v10
	v_lshlrev_b32_e32 v35, 2, v10
	v_cmp_eq_u32_e64 s5, 1, v10
	v_cmp_eq_u32_e64 s6, 0, v10
	s_and_b32 s104, vcc_lo, s3
	v_cmp_eq_u32_e32 vcc_lo, 2, v10
	s_and_b32 vcc_hi, s4, s3
	v_cmp_gt_u32_e64 s4, 2, v10
	v_lshrrev_b32_e32 v10, 3, v20
	v_and_b32_e32 v11, 7, v0
	s_and_b32 s36, vcc_lo, s3
	s_and_b32 s38, s5, s3
	s_and_b32 s37, s4, s3
	v_lshlrev_b32_e32 v13, 8, v10
	v_cmp_gt_u32_e64 s4, 64, v20
	v_cmp_eq_u32_e32 vcc_lo, 7, v11
	v_cmp_ne_u32_e64 s5, 7, v11
	s_and_b32 s39, s6, s3
	v_cmp_eq_u32_e64 s6, 6, v11
	v_dual_sub_nc_u32 v36, v35, v1 :: v_dual_lshlrev_b32 v39, 2, v11
	s_and_b32 s40, vcc_lo, s4
	v_cmp_gt_u32_e32 vcc_lo, 6, v11
	s_and_b32 s41, s5, s4
	v_cmp_gt_u32_e64 s5, 5, v11
	v_lshl_add_u32 v37, v10, 2, 0x4000
	v_dual_sub_nc_u32 v38, 0, v13 :: v_dual_lshrrev_b32 v1, 4, v20
	s_and_b32 s43, vcc_lo, s4
	v_cmp_eq_u32_e32 vcc_lo, 4, v11
	s_and_b32 s45, s5, s4
	v_cmp_eq_u32_e64 s5, 3, v11
	v_cmp_eq_u32_e64 s7, 5, v11
	s_and_b32 s42, s6, s4
	s_and_b32 s46, vcc_lo, s4
	v_cmp_eq_u32_e32 vcc_lo, 2, v11
	v_cmp_gt_u32_e64 s6, 4, v11
	s_and_b32 s48, s5, s4
	v_cmp_gt_u32_e64 s5, 2, v11
	v_and_b32_e32 v10, 15, v0
	s_and_b32 s50, vcc_lo, s4
	v_cmp_eq_u32_e32 vcc_lo, 0, v11
	s_and_b32 s44, s7, s4
	v_cmp_gt_u32_e64 s7, 3, v11
	s_and_b32 s47, s6, s4
	v_cmp_eq_u32_e64 s6, 1, v11
	s_and_b32 s51, s5, s4
	s_and_b32 s53, vcc_lo, s4
	v_lshlrev_b32_e32 v11, 8, v1
	v_cmp_gt_u32_e64 s5, 0x100, v20
	v_cmp_eq_u32_e32 vcc_lo, 15, v10
	s_and_b32 s49, s7, s4
	s_and_b32 s52, s6, s4
	v_cmp_ne_u32_e64 s6, 15, v10
	v_cmp_eq_u32_e64 s8, 13, v10
	s_and_b32 s7, vcc_lo, s5
	v_cmp_eq_u32_e32 vcc_lo, 14, v10
	v_writelane_b32 v74, s7, 3
	s_and_b32 s6, s6, s5
	v_cmp_gt_u32_e64 s7, 14, v10
	s_and_b32 s58, s8, s5
	v_cmp_gt_u32_e64 s8, 11, v10
	v_writelane_b32 v74, s6, 4
	s_and_b32 s6, vcc_lo, s5
	v_cmp_eq_u32_e32 vcc_lo, 12, v10
	v_lshl_add_u32 v41, v1, 2, 0x4000
	v_dual_lshlrev_b32 v43, 2, v10 :: v_dual_lshrrev_b32 v1, 5, v20
	v_writelane_b32 v74, s6, 5
	s_and_b32 s6, s7, s5
	v_cmp_eq_u32_e64 s7, 11, v10
	s_and_b32 s66, vcc_lo, s5
	v_cmp_gt_u32_e32 vcc_lo, 10, v10
	v_writelane_b32 v74, s6, 6
	v_cmp_gt_u32_e64 s6, 12, v10
	s_and_b32 s68, s7, s5
	v_cmp_gt_u32_e64 s7, 9, v10
	s_and_b32 s100, vcc_lo, s5
	v_cmp_eq_u32_e32 vcc_lo, 7, v10
	s_and_b32 s67, s6, s5
	v_cmp_eq_u32_e64 s6, 9, v10
	v_cmp_gt_u32_e64 s9, 13, v10
	s_and_b32 s11, s8, s5
	v_cmp_eq_u32_e64 s8, 8, v10
	s_and_b32 s26, s7, s5
	s_and_b32 s24, s6, s5
	v_cmp_gt_u32_e64 s6, 7, v10
	v_cmp_eq_u32_e64 s7, 6, v10
	s_and_b32 s33, vcc_lo, s5
	v_cmp_gt_u32_e32 vcc_lo, 5, v10
	v_dual_sub_nc_u32 v40, v39, v13 :: v_dual_sub_nc_u32 v42, 0, v11
	s_and_b32 s35, s6, s5
	v_cmp_eq_u32_e64 s6, 4, v10
	s_and_b32 s65, s9, s5
	v_cmp_eq_u32_e64 s9, 10, v10
	s_and_b32 s28, s8, s5
	v_cmp_gt_u32_e64 s8, 6, v10
	s_and_b32 s61, s7, s5
	v_cmp_gt_u32_e64 s7, 4, v10
	s_and_b32 s64, vcc_lo, s5
	s_and_b32 s25, s6, s5
	v_cmp_eq_u32_e32 vcc_lo, 2, v10
	v_cmp_gt_u32_e64 s6, 2, v10
	v_dual_lshlrev_b32 v13, 8, v1 :: v_dual_bitop2_b32 v0, 31, v0 bitop3:0x40
	s_and_b32 s14, s9, s5
	v_cmp_gt_u32_e64 s9, 8, v10
	s_and_b32 s62, s8, s5
	v_cmp_eq_u32_e64 s8, 3, v10
	s_and_b32 s27, s7, s5
	v_cmp_eq_u32_e64 s7, 1, v10
	s_and_b32 s34, vcc_lo, s5
	s_and_b32 s69, s6, s5
	v_cmp_gt_u32_e64 s6, 0x400, v20
	v_cmp_eq_u32_e32 vcc_lo, 31, v0
	s_and_b32 s30, s9, s5
	v_cmp_eq_u32_e64 s9, 5, v10
	s_and_b32 s29, s8, s5
	v_cmp_eq_u32_e64 s8, 0, v10
	s_and_b32 s99, s7, s5
	v_cmp_ne_u32_e64 s7, 31, v0
	s_and_b32 s17, vcc_lo, s6
	s_and_b32 s63, s9, s5
	v_writelane_b32 v74, s17, 7
	v_cmp_gt_u32_e64 s9, 3, v10
	s_and_b32 s54, s8, s5
	v_cmp_eq_u32_e64 s8, 30, v0
	s_and_b32 s7, s7, s6
	v_cmp_eq_u32_e64 s10, 29, v0
	v_writelane_b32 v74, s7, 8
	s_and_b32 s31, s9, s5
	v_cmp_gt_u32_e64 s9, 30, v0
	s_and_b32 s7, s8, s6
	v_cmp_gt_u32_e32 vcc_lo, 29, v0
	v_writelane_b32 v74, s7, 9
	v_cmp_gt_u32_e64 s8, 28, v0
	s_and_b32 s7, s9, s6
	v_cmp_eq_u32_e64 s9, 27, v0
	s_and_b32 s17, vcc_lo, s6
	v_writelane_b32 v74, s7, 10
	s_and_b32 s7, s10, s6
	v_cmp_gt_u32_e64 s10, 27, v0
	v_cmp_eq_u32_e32 vcc_lo, 26, v0
	v_dual_sub_nc_u32 v44, v43, v11 :: v_dual_sub_nc_u32 v46, 0, v13
	v_writelane_b32 v74, s7, 11
	v_cmp_eq_u32_e64 s7, 28, v0
	v_add_nc_u64_e32 v[10:11], s[12:13], v[4:5]
	v_dual_lshlrev_b32 v47, 2, v0 :: v_dual_add_nc_u32 v54, v50, v31
	v_writelane_b32 v74, s17, 12
	s_and_b32 s7, s7, s6
	s_and_b32 s17, vcc_lo, s6
	v_cmp_gt_u32_e32 vcc_lo, 24, v0
	v_dual_sub_nc_u32 v48, v47, v13 :: v_dual_add_nc_u32 v22, 16, v28
	v_writelane_b32 v74, s7, 13
	s_and_b32 s7, s8, s6
	v_cmp_eq_u32_e64 s8, 25, v0
	v_add_nc_u32_e32 v13, 0x50, v14
	v_lshl_add_u32 v45, v1, 2, 0x4000
	v_writelane_b32 v74, s7, 14
	s_and_b32 s7, s9, s6
	v_cmp_gt_u32_e64 s9, 25, v0
	v_mul_u64_e32 v[10:11], s[86:87], v[10:11]
	v_mad_nc_u64_u32 v[14:15], s82, v22, v[18:19]
	v_writelane_b32 v74, s7, 15
	s_and_b32 s7, s10, s6
	v_cmp_eq_u32_e64 s10, 24, v0
	v_lshl_add_u32 v51, v20, 2, 0x4000
	v_add_nc_u32_e32 v52, 0x4000, v31
	v_writelane_b32 v74, s7, 16
	v_cmp_gt_u32_e64 s7, 26, v0
	v_lshl_add_u32 v53, v28, 8, v31
	v_lshl_add_u32 v55, v2, 8, v31
	;; [unrolled: 1-line block ×3, first 2 shown]
	v_writelane_b32 v74, s17, 17
	s_and_b32 s7, s7, s6
	s_and_b32 s17, vcc_lo, s6
	v_cmp_eq_u32_e32 vcc_lo, 21, v0
	v_mad_u32 v15, s83, v22, v15
	v_writelane_b32 v74, s7, 18
	s_and_b32 s7, s8, s6
	v_cmp_gt_u32_e64 s8, 23, v0
	v_lshl_add_u32 v57, v23, 8, v31
	v_lshl_add_u32 v58, v24, 8, v31
	v_writelane_b32 v74, s7, 19
	s_and_b32 s7, s9, s6
	v_cmp_eq_u32_e64 s9, 22, v0
	v_add_nc_u32_e32 v59, 0x3c00, v31
	v_subrev_nc_u32_e32 v60, 63, v2
	v_writelane_b32 v74, s7, 20
	s_and_b32 s7, s10, s6
	v_cmp_gt_u32_e64 s10, 22, v0
	s_and_b32 s9, s9, s6
	v_cmp_gt_u32_e64 s18, 8, v20
	v_writelane_b32 v74, s7, 21
	v_cmp_eq_u32_e64 s7, 23, v0
	v_cmp_gt_u32_e64 s19, 56, v20
	v_cmp_gt_u32_e64 s20, 48, v20
	;; [unrolled: 1-line block ×3, first 2 shown]
	v_writelane_b32 v74, s17, 22
	s_and_b32 s7, s7, s6
	v_cmp_gt_u32_e64 s17, 12, v20
	v_cmp_gt_u32_e64 s22, 32, v20
	;; [unrolled: 1-line block ×3, first 2 shown]
	v_writelane_b32 v74, s7, 23
	s_and_b32 s7, s8, s6
	v_cmp_eq_u32_e64 s8, 20, v0
	v_cmp_eq_u32_e64 s59, 0, v4
	v_cmp_gt_u32_e64 s60, 64, v4
	v_writelane_b32 v74, s7, 24
	v_cmp_gt_u32_e64 s7, 21, v0
	s_mul_u64 s[92:93], s[82:83], 0xc0
                                        ; implicit-def: $vgpr61
                                        ; implicit-def: $vgpr62
                                        ; implicit-def: $vgpr63
                                        ; implicit-def: $vgpr64
	v_writelane_b32 v74, s9, 25
	s_and_b32 s9, s10, s6
	s_and_b32 s7, s7, s6
	v_cmp_le_i32_e64 s10, s15, v24
	v_writelane_b32 v74, s9, 26
	s_and_b32 s9, vcc_lo, s6
	v_cmp_gt_u32_e32 vcc_lo, 20, v0
	v_writelane_b32 v74, s9, 27
	v_cmp_le_i32_e64 s9, s15, v23
	v_writelane_b32 v74, s7, 28
	s_and_b32 s7, s8, s6
	s_delay_alu instid0(SALU_CYCLE_1)
	v_writelane_b32 v74, s7, 29
	s_and_b32 s7, vcc_lo, s6
	v_cmp_eq_u32_e32 vcc_lo, 19, v0
	v_writelane_b32 v74, s7, 30
	s_and_b32 s7, vcc_lo, s6
	v_cmp_gt_u32_e32 vcc_lo, 19, v0
	v_writelane_b32 v74, s7, 31
	s_and_b32 s7, vcc_lo, s6
	v_cmp_eq_u32_e32 vcc_lo, 18, v0
	v_writelane_b32 v73, s7, 0
	s_and_b32 s7, vcc_lo, s6
	v_cmp_gt_u32_e32 vcc_lo, 18, v0
	v_writelane_b32 v73, s7, 1
	s_and_b32 s7, vcc_lo, s6
	v_cmp_eq_u32_e32 vcc_lo, 17, v0
	v_writelane_b32 v73, s7, 2
	s_and_b32 s7, vcc_lo, s6
	v_cmp_gt_u32_e32 vcc_lo, 17, v0
	v_writelane_b32 v73, s7, 3
	s_and_b32 s7, vcc_lo, s6
	v_cmp_eq_u32_e32 vcc_lo, 16, v0
	v_writelane_b32 v73, s7, 4
	s_and_b32 s7, vcc_lo, s6
	v_cmp_gt_u32_e32 vcc_lo, 16, v0
	v_writelane_b32 v73, s7, 5
	s_and_b32 s7, vcc_lo, s6
	v_cmp_eq_u32_e32 vcc_lo, 15, v0
	v_writelane_b32 v73, s7, 6
	s_and_b32 s7, vcc_lo, s6
	v_cmp_gt_u32_e32 vcc_lo, 15, v0
	v_writelane_b32 v73, s7, 7
	s_and_b32 s7, vcc_lo, s6
	v_cmp_eq_u32_e32 vcc_lo, 14, v0
	v_writelane_b32 v73, s7, 8
	s_and_b32 s7, vcc_lo, s6
	v_cmp_gt_u32_e32 vcc_lo, 14, v0
	v_writelane_b32 v73, s7, 9
	s_and_b32 s7, vcc_lo, s6
	v_cmp_eq_u32_e32 vcc_lo, 13, v0
	v_writelane_b32 v73, s7, 10
	s_and_b32 s7, vcc_lo, s6
	v_cmp_gt_u32_e32 vcc_lo, 13, v0
	v_writelane_b32 v73, s7, 11
	s_and_b32 s7, vcc_lo, s6
	v_cmp_eq_u32_e32 vcc_lo, 12, v0
	v_writelane_b32 v73, s7, 12
	s_and_b32 s7, vcc_lo, s6
	v_cmp_gt_u32_e32 vcc_lo, 12, v0
	v_writelane_b32 v73, s7, 13
	s_and_b32 s7, vcc_lo, s6
	v_cmp_eq_u32_e32 vcc_lo, 11, v0
	v_writelane_b32 v73, s7, 14
	s_and_b32 s7, vcc_lo, s6
	v_cmp_gt_u32_e32 vcc_lo, 11, v0
	v_writelane_b32 v73, s7, 15
	s_and_b32 s7, vcc_lo, s6
	v_cmp_eq_u32_e32 vcc_lo, 10, v0
	v_writelane_b32 v73, s7, 16
	s_and_b32 s7, vcc_lo, s6
	v_cmp_gt_u32_e32 vcc_lo, 10, v0
	v_writelane_b32 v73, s7, 17
	s_and_b32 s7, vcc_lo, s6
	v_cmp_eq_u32_e32 vcc_lo, 9, v0
	v_writelane_b32 v73, s7, 18
	s_and_b32 s7, vcc_lo, s6
	v_cmp_gt_u32_e32 vcc_lo, 9, v0
	v_writelane_b32 v73, s7, 19
	s_and_b32 s7, vcc_lo, s6
	v_cmp_eq_u32_e32 vcc_lo, 8, v0
	v_writelane_b32 v73, s7, 20
	s_and_b32 s7, vcc_lo, s6
	v_cmp_gt_u32_e32 vcc_lo, 8, v0
	v_writelane_b32 v73, s7, 21
	s_and_b32 s7, vcc_lo, s6
	v_cmp_eq_u32_e32 vcc_lo, 7, v0
	v_writelane_b32 v73, s7, 22
	s_and_b32 s7, vcc_lo, s6
	v_cmp_gt_u32_e32 vcc_lo, 7, v0
	v_writelane_b32 v73, s7, 23
	s_and_b32 s7, vcc_lo, s6
	v_cmp_eq_u32_e32 vcc_lo, 6, v0
	v_writelane_b32 v73, s7, 24
	s_and_b32 s7, vcc_lo, s6
	v_cmp_gt_u32_e32 vcc_lo, 6, v0
	v_writelane_b32 v73, s7, 25
	s_and_b32 s7, vcc_lo, s6
	v_cmp_eq_u32_e32 vcc_lo, 5, v0
	v_writelane_b32 v73, s7, 26
	s_and_b32 s7, vcc_lo, s6
	v_cmp_gt_u32_e32 vcc_lo, 5, v0
	v_writelane_b32 v73, s7, 27
	s_and_b32 s7, vcc_lo, s6
	v_cmp_eq_u32_e32 vcc_lo, 4, v0
	v_writelane_b32 v73, s7, 28
	s_and_b32 s7, vcc_lo, s6
	v_cmp_gt_u32_e32 vcc_lo, 4, v0
	v_writelane_b32 v73, s7, 29
	s_and_b32 s7, vcc_lo, s6
	v_cmp_eq_u32_e32 vcc_lo, 3, v0
	v_writelane_b32 v73, s7, 30
	s_and_b32 s7, vcc_lo, s6
	v_cmp_gt_u32_e32 vcc_lo, 3, v0
	v_writelane_b32 v73, s7, 31
	s_and_b32 s7, vcc_lo, s6
	v_cmp_eq_u32_e32 vcc_lo, 2, v0
	v_writelane_b32 v72, s7, 0
	s_and_b32 s7, vcc_lo, s6
	v_cmp_gt_u32_e32 vcc_lo, 2, v0
	v_writelane_b32 v72, s7, 1
	s_and_b32 s7, vcc_lo, s6
	v_cmp_eq_u32_e32 vcc_lo, 1, v0
	v_writelane_b32 v72, s7, 2
	s_and_b32 s7, vcc_lo, s6
	v_cmp_eq_u32_e32 vcc_lo, 0, v0
	v_writelane_b32 v72, s7, 3
	v_cmp_eq_u32_e64 s7, 0, v28
	v_mul_u64_e32 v[0:1], s[86:87], v[6:7]
	s_and_b32 s13, vcc_lo, s6
	v_cmp_le_i32_e32 vcc_lo, s15, v2
	s_and_b32 s8, vcc_lo, s16
	v_cmp_gt_u32_e64 s16, 2, v20
	v_writelane_b32 v72, s8, 4
	s_xor_b32 s8, s8, -1
	s_delay_alu instid0(SALU_CYCLE_1)
	s_and_b32 s12, s7, s8
	s_cmp_gt_i32 s96, 0
	v_cmp_le_u32_e64 s8, v28, v2
	s_cselect_b32 s55, -1, 0
	s_and_b32 s0, s7, s0
	s_add_co_i32 s56, s56, 1
	v_writelane_b32 v72, s0, 5
	v_cmp_gt_i32_e64 s0, s80, v6
	s_lshl_b64 s[88:89], s[82:83], 6
	s_lshl_b64 s[90:91], s[82:83], 7
	;; [unrolled: 1-line block ×4, first 2 shown]
	s_and_b32 s1, s0, s1
	s_delay_alu instid0(SALU_CYCLE_1) | instskip(SKIP_3) | instid1(SALU_CYCLE_1)
	v_writelane_b32 v72, s1, 6
	v_cmp_gt_i32_e64 s1, s80, v13
	v_mad_nc_u64_u32 v[12:13], s82, v28, v[18:19]
	s_and_b32 s1, s0, s1
	v_writelane_b32 v72, s1, 7
	v_cmp_gt_i32_e64 s1, s80, v16
	v_mad_nc_u64_u32 v[16:17], s82, v23, v[18:19]
	v_mad_nc_u64_u32 v[18:19], s82, v24, v[18:19]
	v_mad_u32 v13, s83, v28, v13
	s_and_b32 s1, s0, s1
	s_delay_alu instid0(SALU_CYCLE_1)
	v_writelane_b32 v72, s1, 8
	v_cmp_gt_i32_e64 s1, s80, v25
	v_or_b32_e32 v25, v22, v2
	v_mad_u32 v17, s83, v23, v17
	s_and_b32 s1, s0, s1
	v_mad_u32 v19, s83, v24, v19
	v_writelane_b32 v72, s1, 9
	v_cmp_le_i32_e64 s1, s15, v28
	v_writelane_b32 v72, s8, 10
	s_or_b32 s1, s1, vcc_lo
	s_delay_alu instid0(SALU_CYCLE_1)
	s_or_b32 s1, s1, s8
	v_cmp_le_i32_e64 s8, s15, v22
	v_writelane_b32 v72, s1, 11
	v_cmp_eq_u32_e64 s15, 0, v21
	s_or_b32 s1, s8, vcc_lo
	v_cmp_le_u32_e64 s8, v22, v2
	s_delay_alu instid0(VALU_DEP_1)
	v_writelane_b32 v72, s8, 12
	s_or_b32 s1, s1, s8
	v_cmp_le_u32_e64 s8, v23, v2
	v_writelane_b32 v72, s1, 13
	s_or_b32 s1, s9, vcc_lo
	v_cmp_ne_u32_e64 s9, v2, v23
	s_or_b32 s1, s1, s8
	v_writelane_b32 v72, s8, 14
	v_cmp_le_u32_e64 s8, v24, v2
	v_writelane_b32 v72, s1, 15
	s_or_b32 s1, s10, vcc_lo
	v_cmp_ne_u32_e64 s10, v2, v24
	s_or_b32 s1, s1, s8
	v_writelane_b32 v72, s8, 16
	v_cmp_ne_u32_e64 s8, v2, v22
	v_writelane_b32 v72, s1, 17
	v_cmp_ne_u32_e64 s1, v2, v28
	s_delay_alu instid0(VALU_DEP_1) | instskip(SKIP_1) | instid1(SALU_CYCLE_1)
	v_writelane_b32 v72, s1, 18
	s_or_b32 s1, vcc_lo, s1
	v_writelane_b32 v72, s1, 19
	s_or_b32 s1, vcc_lo, s8
	v_writelane_b32 v72, s8, 20
	v_writelane_b32 v72, s1, 21
	s_or_b32 s1, vcc_lo, s9
	v_writelane_b32 v72, s9, 22
	;; [unrolled: 3-line block ×3, first 2 shown]
	v_writelane_b32 v72, s1, 25
	v_cmp_gt_u32_e64 s1, 0xf0, v20
	s_delay_alu instid0(VALU_DEP_1) | instskip(SKIP_1) | instid1(VALU_DEP_1)
	v_writelane_b32 v72, s1, 26
	v_cmp_gt_u32_e64 s1, 0xe0, v20
	v_writelane_b32 v72, s1, 27
	v_cmp_gt_u32_e64 s1, 0xd0, v20
	s_delay_alu instid0(VALU_DEP_1) | instskip(SKIP_1) | instid1(VALU_DEP_1)
	v_writelane_b32 v72, s1, 28
	v_cmp_gt_u32_e64 s1, 0xc0, v20
	;; [unrolled: 5-line block ×17, first 2 shown]
	v_writelane_b32 v71, s1, 27
	v_cmp_le_u32_e64 s1, v2, v28
	s_delay_alu instid0(VALU_DEP_1) | instskip(SKIP_1) | instid1(VALU_DEP_1)
	v_writelane_b32 v71, s1, 28
	v_cmp_le_u32_e64 s1, v2, v22
	v_writelane_b32 v71, s1, 29
	v_cmp_le_u32_e64 s1, v2, v23
	s_delay_alu instid0(VALU_DEP_1) | instskip(SKIP_1) | instid1(VALU_DEP_1)
	v_writelane_b32 v71, s1, 30
	v_cmp_le_u32_e64 s1, v2, v24
	v_writelane_b32 v71, s1, 31
	v_cmp_gt_u32_e64 s1, 64, v21
	s_delay_alu instid0(VALU_DEP_1) | instskip(SKIP_1) | instid1(VALU_DEP_1)
	v_writelane_b32 v70, s1, 0
	v_cmp_gt_u32_e64 s1, 64, v25
	v_writelane_b32 v70, s1, 1
	v_cmp_gt_u32_e64 s1, 64, v26
	s_delay_alu instid0(VALU_DEP_1) | instskip(SKIP_1) | instid1(VALU_DEP_1)
	v_writelane_b32 v70, s1, 2
	v_cmp_gt_u32_e64 s1, 64, v27
	v_writelane_b32 v70, s1, 3
	s_branch .LBB112_3
.LBB112_2:                              ;   in Loop: Header=BB112_3 Depth=1
	s_wait_xcnt 0x0
	s_or_b32 exec_lo, exec_lo, s1
	v_readlane_b32 s1, v74, 0
	s_add_co_i32 s70, s70, 0x10000
	global_wb scope:SCOPE_DEV
	s_wait_storecnt 0x0
	global_inv scope:SCOPE_DEV
	s_cmp_lt_u32 s70, s1
	s_cbranch_scc0 .LBB112_1195
.LBB112_3:                              ; =>This Loop Header: Depth=1
                                        ;     Child Loop BB112_1067 Depth 2
                                        ;       Child Loop BB112_1069 Depth 3
                                        ;     Child Loop BB112_1107 Depth 2
	v_mov_b32_e32 v22, s70
	v_readlane_b32 s1, v74, 1
	s_clause 0x1
	global_load_b64 v[20:21], v22, s[72:73] scale_offset
	global_load_b64 v[22:23], v22, s[76:77] scale_offset
	s_and_not1_b32 vcc_lo, exec_lo, s1
	s_wait_loadcnt 0x1
	v_add_nc_u64_e32 v[20:21], s[74:75], v[20:21]
	s_cbranch_vccnz .LBB112_13
; %bb.4:                                ;   in Loop: Header=BB112_3 Depth=1
	s_delay_alu instid0(VALU_DEP_1) | instskip(SKIP_3) | instid1(VALU_DEP_2)
	v_lshl_add_u64 v[24:25], v[8:9], 2, v[20:21]
	v_dual_mov_b32 v62, 0 :: v_dual_mov_b32 v61, 0
	s_wait_loadcnt 0x0
	s_barrier_signal -1
	v_lshl_add_u64 v[24:25], v[6:7], 2, v[24:25]
	s_barrier_wait -1
	s_wait_xcnt 0x0
	s_mov_b32 s1, exec_lo
	v_readlane_b32 s8, v72, 6
	s_and_b32 s8, s1, s8
	s_delay_alu instid0(SALU_CYCLE_1)
	s_mov_b32 exec_lo, s8
	s_cbranch_execz .LBB112_6
; %bb.5:                                ;   in Loop: Header=BB112_3 Depth=1
	flat_load_b32 v61, v[24:25]
.LBB112_6:                              ;   in Loop: Header=BB112_3 Depth=1
	s_wait_xcnt 0x0
	s_or_b32 exec_lo, exec_lo, s1
	s_wait_loadcnt_dscnt 0x0
	s_barrier_signal -1
	s_barrier_wait -1
	s_mov_b32 s1, exec_lo
	v_readlane_b32 s8, v72, 7
	s_and_b32 s8, s1, s8
	s_delay_alu instid0(SALU_CYCLE_1)
	s_mov_b32 exec_lo, s8
	s_cbranch_execz .LBB112_8
; %bb.7:                                ;   in Loop: Header=BB112_3 Depth=1
	v_add_nc_u64_e32 v[26:27], s[88:89], v[24:25]
	flat_load_b32 v62, v[26:27]
.LBB112_8:                              ;   in Loop: Header=BB112_3 Depth=1
	s_wait_xcnt 0x0
	s_or_b32 exec_lo, exec_lo, s1
	v_dual_mov_b32 v64, 0 :: v_dual_mov_b32 v63, 0
	s_wait_loadcnt_dscnt 0x0
	s_barrier_signal -1
	s_barrier_wait -1
	s_mov_b32 s1, exec_lo
	v_readlane_b32 s8, v72, 8
	s_and_b32 s8, s1, s8
	s_delay_alu instid0(SALU_CYCLE_1)
	s_mov_b32 exec_lo, s8
	s_cbranch_execz .LBB112_10
; %bb.9:                                ;   in Loop: Header=BB112_3 Depth=1
	v_add_nc_u64_e32 v[26:27], s[90:91], v[24:25]
	flat_load_b32 v63, v[26:27]
.LBB112_10:                             ;   in Loop: Header=BB112_3 Depth=1
	s_wait_xcnt 0x0
	s_or_b32 exec_lo, exec_lo, s1
	s_wait_loadcnt_dscnt 0x0
	s_barrier_signal -1
	s_barrier_wait -1
	s_mov_b32 s1, exec_lo
	v_readlane_b32 s8, v72, 9
	s_and_b32 s8, s1, s8
	s_delay_alu instid0(SALU_CYCLE_1)
	s_mov_b32 exec_lo, s8
	s_cbranch_execz .LBB112_12
; %bb.11:                               ;   in Loop: Header=BB112_3 Depth=1
	v_add_nc_u64_e32 v[24:25], s[92:93], v[24:25]
	flat_load_b32 v64, v[24:25]
.LBB112_12:                             ;   in Loop: Header=BB112_3 Depth=1
	s_wait_xcnt 0x0
	s_or_b32 exec_lo, exec_lo, s1
.LBB112_13:                             ;   in Loop: Header=BB112_3 Depth=1
	s_delay_alu instid0(SALU_CYCLE_1)
	s_and_not1_b32 vcc_lo, exec_lo, s98
	s_mov_b32 s1, -1
	s_cbranch_vccnz .LBB112_49
; %bb.14:                               ;   in Loop: Header=BB112_3 Depth=1
	s_mov_b32 s1, 0
                                        ; implicit-def: $vgpr24
	s_wait_xcnt 0x0
	s_mov_b32 s8, exec_lo
	v_readlane_b32 s9, v72, 10
	s_and_b32 s9, s8, s9
	s_delay_alu instid0(SALU_CYCLE_1)
	s_xor_b32 s10, s9, s8
	s_mov_b32 exec_lo, s9
	s_cbranch_execnz .LBB112_1129
; %bb.15:                               ;   in Loop: Header=BB112_3 Depth=1
	s_and_not1_saveexec_b32 s8, s10
	s_cbranch_execnz .LBB112_1134
.LBB112_16:                             ;   in Loop: Header=BB112_3 Depth=1
	s_or_b32 exec_lo, exec_lo, s8
	s_and_saveexec_b32 s8, s1
.LBB112_17:                             ;   in Loop: Header=BB112_3 Depth=1
	ds_store_b32 v53, v24
.LBB112_18:                             ;   in Loop: Header=BB112_3 Depth=1
	s_or_b32 exec_lo, exec_lo, s8
	s_delay_alu instid0(SALU_CYCLE_1) | instskip(SKIP_2) | instid1(SALU_CYCLE_1)
	s_mov_b32 s1, exec_lo
	v_readlane_b32 s8, v72, 12
	s_and_b32 s8, s1, s8
	s_xor_b32 s10, s8, s1
	s_mov_b32 exec_lo, s8
	s_cbranch_execz .LBB112_26
; %bb.19:                               ;   in Loop: Header=BB112_3 Depth=1
	s_mov_b32 s1, exec_lo
	v_readlane_b32 s8, v72, 20
	s_and_b32 s8, s1, s8
	s_delay_alu instid0(SALU_CYCLE_1)
	s_xor_b32 s1, s8, s1
	s_mov_b32 exec_lo, s8
	s_cbranch_execz .LBB112_23
; %bb.20:                               ;   in Loop: Header=BB112_3 Depth=1
	s_mov_b32 s8, exec_lo
	v_readlane_b32 s9, v70, 1
	s_and_b32 s9, s8, s9
	s_delay_alu instid0(SALU_CYCLE_1)
	s_mov_b32 exec_lo, s9
; %bb.21:                               ;   in Loop: Header=BB112_3 Depth=1
	ds_store_b32 v56, v5
; %bb.22:                               ;   in Loop: Header=BB112_3 Depth=1
	s_or_b32 exec_lo, exec_lo, s8
.LBB112_23:                             ;   in Loop: Header=BB112_3 Depth=1
	s_and_not1_saveexec_b32 s1, s1
	s_cbranch_execz .LBB112_25
; %bb.24:                               ;   in Loop: Header=BB112_3 Depth=1
	v_lshl_add_u64 v[24:25], v[14:15], 2, v[20:21]
	flat_load_b32 v24, v[24:25]
	s_wait_loadcnt_dscnt 0x0
	v_div_scale_f32 v25, null, v24, v24, 1.0
	s_delay_alu instid0(VALU_DEP_1) | instskip(SKIP_1) | instid1(TRANS32_DEP_1)
	v_rcp_f32_e32 v26, v25
	v_nop
	v_fma_f32 v27, -v25, v26, 1.0
	s_delay_alu instid0(VALU_DEP_1) | instskip(SKIP_1) | instid1(VALU_DEP_1)
	v_fmac_f32_e32 v26, v27, v26
	v_div_scale_f32 v27, vcc_lo, 1.0, v24, 1.0
	v_mul_f32_e32 v65, v27, v26
	s_delay_alu instid0(VALU_DEP_1) | instskip(NEXT) | instid1(VALU_DEP_1)
	v_fma_f32 v66, -v25, v65, v27
	v_fmac_f32_e32 v65, v66, v26
	s_delay_alu instid0(VALU_DEP_1) | instskip(NEXT) | instid1(VALU_DEP_1)
	v_fma_f32 v25, -v25, v65, v27
	v_div_fmas_f32 v25, v25, v26, v65
	s_delay_alu instid0(VALU_DEP_1)
	v_div_fixup_f32 v24, v25, v24, 1.0
	ds_store_b32 v56, v24
.LBB112_25:                             ;   in Loop: Header=BB112_3 Depth=1
	s_or_b32 exec_lo, exec_lo, s1
.LBB112_26:                             ;   in Loop: Header=BB112_3 Depth=1
	s_and_not1_saveexec_b32 s1, s10
	s_cbranch_execz .LBB112_28
; %bb.27:                               ;   in Loop: Header=BB112_3 Depth=1
	v_lshl_add_u64 v[24:25], v[14:15], 2, v[20:21]
	flat_load_b32 v24, v[24:25]
	s_wait_loadcnt_dscnt 0x0
	v_xor_b32_e32 v24, 0x80000000, v24
	ds_store_b32 v56, v24
.LBB112_28:                             ;   in Loop: Header=BB112_3 Depth=1
	s_or_b32 exec_lo, exec_lo, s1
	s_delay_alu instid0(SALU_CYCLE_1) | instskip(SKIP_2) | instid1(SALU_CYCLE_1)
	s_mov_b32 s1, exec_lo
	v_readlane_b32 s8, v72, 14
	s_and_b32 s8, s1, s8
	s_xor_b32 s10, s8, s1
	s_mov_b32 exec_lo, s8
	s_cbranch_execz .LBB112_36
; %bb.29:                               ;   in Loop: Header=BB112_3 Depth=1
	s_mov_b32 s1, exec_lo
	v_readlane_b32 s8, v72, 22
	s_and_b32 s8, s1, s8
	s_delay_alu instid0(SALU_CYCLE_1)
	s_xor_b32 s1, s8, s1
	s_mov_b32 exec_lo, s8
	s_cbranch_execz .LBB112_33
; %bb.30:                               ;   in Loop: Header=BB112_3 Depth=1
	s_mov_b32 s8, exec_lo
	v_readlane_b32 s9, v70, 2
	s_and_b32 s9, s8, s9
	s_delay_alu instid0(SALU_CYCLE_1)
	s_mov_b32 exec_lo, s9
; %bb.31:                               ;   in Loop: Header=BB112_3 Depth=1
	ds_store_b32 v57, v5
; %bb.32:                               ;   in Loop: Header=BB112_3 Depth=1
	s_or_b32 exec_lo, exec_lo, s8
.LBB112_33:                             ;   in Loop: Header=BB112_3 Depth=1
	s_and_not1_saveexec_b32 s1, s1
	s_cbranch_execz .LBB112_35
; %bb.34:                               ;   in Loop: Header=BB112_3 Depth=1
	v_lshl_add_u64 v[24:25], v[16:17], 2, v[20:21]
	flat_load_b32 v24, v[24:25]
	s_wait_loadcnt_dscnt 0x0
	v_div_scale_f32 v25, null, v24, v24, 1.0
	s_delay_alu instid0(VALU_DEP_1) | instskip(SKIP_1) | instid1(TRANS32_DEP_1)
	v_rcp_f32_e32 v26, v25
	v_nop
	v_fma_f32 v27, -v25, v26, 1.0
	s_delay_alu instid0(VALU_DEP_1) | instskip(SKIP_1) | instid1(VALU_DEP_1)
	v_fmac_f32_e32 v26, v27, v26
	v_div_scale_f32 v27, vcc_lo, 1.0, v24, 1.0
	v_mul_f32_e32 v65, v27, v26
	s_delay_alu instid0(VALU_DEP_1) | instskip(NEXT) | instid1(VALU_DEP_1)
	v_fma_f32 v66, -v25, v65, v27
	v_fmac_f32_e32 v65, v66, v26
	s_delay_alu instid0(VALU_DEP_1) | instskip(NEXT) | instid1(VALU_DEP_1)
	v_fma_f32 v25, -v25, v65, v27
	v_div_fmas_f32 v25, v25, v26, v65
	s_delay_alu instid0(VALU_DEP_1)
	v_div_fixup_f32 v24, v25, v24, 1.0
	ds_store_b32 v57, v24
.LBB112_35:                             ;   in Loop: Header=BB112_3 Depth=1
	s_or_b32 exec_lo, exec_lo, s1
.LBB112_36:                             ;   in Loop: Header=BB112_3 Depth=1
	s_and_not1_saveexec_b32 s1, s10
	s_cbranch_execz .LBB112_38
; %bb.37:                               ;   in Loop: Header=BB112_3 Depth=1
	v_lshl_add_u64 v[24:25], v[16:17], 2, v[20:21]
	flat_load_b32 v24, v[24:25]
	s_wait_loadcnt_dscnt 0x0
	v_xor_b32_e32 v24, 0x80000000, v24
	ds_store_b32 v57, v24
.LBB112_38:                             ;   in Loop: Header=BB112_3 Depth=1
	;; [unrolled: 63-line block ×3, first 2 shown]
	s_or_b32 exec_lo, exec_lo, s1
	s_mov_b32 s1, 0
.LBB112_49:                             ;   in Loop: Header=BB112_3 Depth=1
	s_delay_alu instid0(SALU_CYCLE_1)
	s_and_b32 vcc_lo, exec_lo, s1
	s_cbranch_vccz .LBB112_85
; %bb.50:                               ;   in Loop: Header=BB112_3 Depth=1
	s_mov_b32 s1, 0
                                        ; implicit-def: $vgpr24
	s_wait_xcnt 0x0
	s_mov_b32 s8, exec_lo
	v_readlane_b32 s9, v72, 11
	s_and_b32 s9, s8, s9
	s_delay_alu instid0(SALU_CYCLE_1)
	s_xor_b32 s10, s9, s8
	s_mov_b32 exec_lo, s9
	s_cbranch_execnz .LBB112_1135
; %bb.51:                               ;   in Loop: Header=BB112_3 Depth=1
	s_and_not1_saveexec_b32 s8, s10
	s_cbranch_execnz .LBB112_1140
.LBB112_52:                             ;   in Loop: Header=BB112_3 Depth=1
	s_or_b32 exec_lo, exec_lo, s8
	s_and_saveexec_b32 s8, s1
.LBB112_53:                             ;   in Loop: Header=BB112_3 Depth=1
	ds_store_b32 v53, v24
.LBB112_54:                             ;   in Loop: Header=BB112_3 Depth=1
	s_or_b32 exec_lo, exec_lo, s8
	s_delay_alu instid0(SALU_CYCLE_1) | instskip(SKIP_2) | instid1(SALU_CYCLE_1)
	s_mov_b32 s1, exec_lo
	v_readlane_b32 s8, v72, 13
	s_and_b32 s8, s1, s8
	s_xor_b32 s10, s8, s1
	s_mov_b32 exec_lo, s8
	s_cbranch_execz .LBB112_62
; %bb.55:                               ;   in Loop: Header=BB112_3 Depth=1
	s_mov_b32 s1, exec_lo
	v_readlane_b32 s8, v72, 21
	s_and_b32 s8, s1, s8
	s_delay_alu instid0(SALU_CYCLE_1)
	s_xor_b32 s1, s8, s1
	s_mov_b32 exec_lo, s8
	s_cbranch_execz .LBB112_59
; %bb.56:                               ;   in Loop: Header=BB112_3 Depth=1
	s_mov_b32 s8, exec_lo
	v_readlane_b32 s9, v70, 1
	s_and_b32 s9, s8, s9
	s_delay_alu instid0(SALU_CYCLE_1)
	s_mov_b32 exec_lo, s9
; %bb.57:                               ;   in Loop: Header=BB112_3 Depth=1
	ds_store_b32 v56, v5
; %bb.58:                               ;   in Loop: Header=BB112_3 Depth=1
	s_or_b32 exec_lo, exec_lo, s8
.LBB112_59:                             ;   in Loop: Header=BB112_3 Depth=1
	s_and_not1_saveexec_b32 s1, s1
	s_cbranch_execz .LBB112_61
; %bb.60:                               ;   in Loop: Header=BB112_3 Depth=1
	v_lshl_add_u64 v[24:25], v[14:15], 2, v[20:21]
	flat_load_b32 v24, v[24:25]
	s_wait_loadcnt_dscnt 0x0
	v_div_scale_f32 v25, null, v24, v24, 1.0
	s_delay_alu instid0(VALU_DEP_1) | instskip(SKIP_1) | instid1(TRANS32_DEP_1)
	v_rcp_f32_e32 v26, v25
	v_nop
	v_fma_f32 v27, -v25, v26, 1.0
	s_delay_alu instid0(VALU_DEP_1) | instskip(SKIP_1) | instid1(VALU_DEP_1)
	v_fmac_f32_e32 v26, v27, v26
	v_div_scale_f32 v27, vcc_lo, 1.0, v24, 1.0
	v_mul_f32_e32 v65, v27, v26
	s_delay_alu instid0(VALU_DEP_1) | instskip(NEXT) | instid1(VALU_DEP_1)
	v_fma_f32 v66, -v25, v65, v27
	v_fmac_f32_e32 v65, v66, v26
	s_delay_alu instid0(VALU_DEP_1) | instskip(NEXT) | instid1(VALU_DEP_1)
	v_fma_f32 v25, -v25, v65, v27
	v_div_fmas_f32 v25, v25, v26, v65
	s_delay_alu instid0(VALU_DEP_1)
	v_div_fixup_f32 v24, v25, v24, 1.0
	ds_store_b32 v56, v24
.LBB112_61:                             ;   in Loop: Header=BB112_3 Depth=1
	s_or_b32 exec_lo, exec_lo, s1
.LBB112_62:                             ;   in Loop: Header=BB112_3 Depth=1
	s_and_not1_saveexec_b32 s1, s10
	s_cbranch_execz .LBB112_64
; %bb.63:                               ;   in Loop: Header=BB112_3 Depth=1
	v_lshl_add_u64 v[24:25], v[14:15], 2, v[20:21]
	flat_load_b32 v24, v[24:25]
	s_wait_loadcnt_dscnt 0x0
	v_xor_b32_e32 v24, 0x80000000, v24
	ds_store_b32 v56, v24
.LBB112_64:                             ;   in Loop: Header=BB112_3 Depth=1
	s_or_b32 exec_lo, exec_lo, s1
	s_delay_alu instid0(SALU_CYCLE_1) | instskip(SKIP_2) | instid1(SALU_CYCLE_1)
	s_mov_b32 s1, exec_lo
	v_readlane_b32 s8, v72, 15
	s_and_b32 s8, s1, s8
	s_xor_b32 s10, s8, s1
	s_mov_b32 exec_lo, s8
	s_cbranch_execz .LBB112_72
; %bb.65:                               ;   in Loop: Header=BB112_3 Depth=1
	s_mov_b32 s1, exec_lo
	v_readlane_b32 s8, v72, 23
	s_and_b32 s8, s1, s8
	s_delay_alu instid0(SALU_CYCLE_1)
	s_xor_b32 s1, s8, s1
	s_mov_b32 exec_lo, s8
	s_cbranch_execz .LBB112_69
; %bb.66:                               ;   in Loop: Header=BB112_3 Depth=1
	s_mov_b32 s8, exec_lo
	v_readlane_b32 s9, v70, 2
	s_and_b32 s9, s8, s9
	s_delay_alu instid0(SALU_CYCLE_1)
	s_mov_b32 exec_lo, s9
; %bb.67:                               ;   in Loop: Header=BB112_3 Depth=1
	ds_store_b32 v57, v5
; %bb.68:                               ;   in Loop: Header=BB112_3 Depth=1
	s_or_b32 exec_lo, exec_lo, s8
.LBB112_69:                             ;   in Loop: Header=BB112_3 Depth=1
	s_and_not1_saveexec_b32 s1, s1
	s_cbranch_execz .LBB112_71
; %bb.70:                               ;   in Loop: Header=BB112_3 Depth=1
	v_lshl_add_u64 v[24:25], v[16:17], 2, v[20:21]
	flat_load_b32 v24, v[24:25]
	s_wait_loadcnt_dscnt 0x0
	v_div_scale_f32 v25, null, v24, v24, 1.0
	s_delay_alu instid0(VALU_DEP_1) | instskip(SKIP_1) | instid1(TRANS32_DEP_1)
	v_rcp_f32_e32 v26, v25
	v_nop
	v_fma_f32 v27, -v25, v26, 1.0
	s_delay_alu instid0(VALU_DEP_1) | instskip(SKIP_1) | instid1(VALU_DEP_1)
	v_fmac_f32_e32 v26, v27, v26
	v_div_scale_f32 v27, vcc_lo, 1.0, v24, 1.0
	v_mul_f32_e32 v65, v27, v26
	s_delay_alu instid0(VALU_DEP_1) | instskip(NEXT) | instid1(VALU_DEP_1)
	v_fma_f32 v66, -v25, v65, v27
	v_fmac_f32_e32 v65, v66, v26
	s_delay_alu instid0(VALU_DEP_1) | instskip(NEXT) | instid1(VALU_DEP_1)
	v_fma_f32 v25, -v25, v65, v27
	v_div_fmas_f32 v25, v25, v26, v65
	s_delay_alu instid0(VALU_DEP_1)
	v_div_fixup_f32 v24, v25, v24, 1.0
	ds_store_b32 v57, v24
.LBB112_71:                             ;   in Loop: Header=BB112_3 Depth=1
	s_or_b32 exec_lo, exec_lo, s1
.LBB112_72:                             ;   in Loop: Header=BB112_3 Depth=1
	s_and_not1_saveexec_b32 s1, s10
	s_cbranch_execz .LBB112_74
; %bb.73:                               ;   in Loop: Header=BB112_3 Depth=1
	v_lshl_add_u64 v[24:25], v[16:17], 2, v[20:21]
	flat_load_b32 v24, v[24:25]
	s_wait_loadcnt_dscnt 0x0
	v_xor_b32_e32 v24, 0x80000000, v24
	ds_store_b32 v57, v24
.LBB112_74:                             ;   in Loop: Header=BB112_3 Depth=1
	;; [unrolled: 63-line block ×3, first 2 shown]
	s_or_b32 exec_lo, exec_lo, s1
.LBB112_85:                             ;   in Loop: Header=BB112_3 Depth=1
	s_delay_alu instid0(SALU_CYCLE_1)
	s_and_not1_b32 vcc_lo, exec_lo, s101
	s_wait_loadcnt_dscnt 0x0
	s_barrier_signal -1
	s_barrier_wait -1
	s_cbranch_vccnz .LBB112_1061
; %bb.86:                               ;   in Loop: Header=BB112_3 Depth=1
	s_and_saveexec_b32 s1, s15
	s_cbranch_execz .LBB112_88
; %bb.87:                               ;   in Loop: Header=BB112_3 Depth=1
	ds_load_b64 v[24:25], v5 offset:16376
	ds_load_b32 v26, v5 offset:16120
	s_wait_dscnt 0x0
	v_mul_f32_e32 v25, v26, v25
	s_delay_alu instid0(VALU_DEP_1)
	v_mul_f32_e32 v24, v24, v25
	ds_store_b32 v5, v24 offset:16376
.LBB112_88:                             ;   in Loop: Header=BB112_3 Depth=1
	s_or_b32 exec_lo, exec_lo, s1
	v_mov_b32_e32 v24, 0
	s_wait_dscnt 0x0
	s_barrier_signal -1
	s_barrier_wait -1
	global_wb scope:SCOPE_DEV
	s_wait_storecnt 0x0
	global_inv scope:SCOPE_DEV
	s_and_saveexec_b32 s1, s2
	s_cbranch_execz .LBB112_92
; %bb.89:                               ;   in Loop: Header=BB112_3 Depth=1
	ds_load_b32 v24, v30 offset:16112
	ds_load_b32 v25, v29 offset:16376
	s_wait_dscnt 0x0
	v_fma_f32 v24, v24, v25, 0
	s_and_saveexec_b32 s8, s16
	s_cbranch_execz .LBB112_91
; %bb.90:                               ;   in Loop: Header=BB112_3 Depth=1
	ds_load_b32 v25, v31 offset:16368
	ds_load_b32 v26, v5 offset:16380
	s_wait_dscnt 0x0
	v_fmac_f32_e32 v24, v25, v26
.LBB112_91:                             ;   in Loop: Header=BB112_3 Depth=1
	s_or_b32 exec_lo, exec_lo, s8
.LBB112_92:                             ;   in Loop: Header=BB112_3 Depth=1
	s_delay_alu instid0(SALU_CYCLE_1)
	s_or_b32 exec_lo, exec_lo, s1
	s_and_saveexec_b32 s1, s102
	s_cbranch_execz .LBB112_94
; %bb.93:                               ;   in Loop: Header=BB112_3 Depth=1
	ds_load_b32 v25, v5 offset:15860
	s_wait_dscnt 0x0
	v_mul_f32_e32 v24, v24, v25
	s_delay_alu instid0(VALU_DEP_1)
	v_xor_b32_e32 v25, 0x80000000, v24
	ds_store_b32 v3, v25
.LBB112_94:                             ;   in Loop: Header=BB112_3 Depth=1
	s_or_b32 exec_lo, exec_lo, s1
	s_wait_loadcnt_dscnt 0x0
	s_barrier_signal -1
	s_barrier_wait -1
	s_and_saveexec_b32 s1, s103
	s_cbranch_execz .LBB112_96
; %bb.95:                               ;   in Loop: Header=BB112_3 Depth=1
	ds_load_b32 v25, v5 offset:15856
	ds_load_b32 v26, v3
	s_wait_dscnt 0x0
	v_fma_f32 v24, -v25, v26, v24
.LBB112_96:                             ;   in Loop: Header=BB112_3 Depth=1
	s_or_b32 exec_lo, exec_lo, s1
	s_barrier_signal -1
	s_barrier_wait -1
	s_and_saveexec_b32 s1, s103
	s_cbranch_execz .LBB112_98
; %bb.97:                               ;   in Loop: Header=BB112_3 Depth=1
	ds_load_b32 v25, v5 offset:15600
	s_wait_dscnt 0x0
	v_mul_f32_e32 v24, v24, v25
	s_delay_alu instid0(VALU_DEP_1)
	v_xor_b32_e32 v25, 0x80000000, v24
	ds_store_b32 v3, v25
.LBB112_98:                             ;   in Loop: Header=BB112_3 Depth=1
	s_or_b32 exec_lo, exec_lo, s1
	s_wait_dscnt 0x0
	s_barrier_signal -1
	s_barrier_wait -1
	s_barrier_signal -1
	s_barrier_wait -1
	s_and_saveexec_b32 s1, s2
; %bb.99:                               ;   in Loop: Header=BB112_3 Depth=1
	ds_store_b32 v32, v24 offset:16368
; %bb.100:                              ;   in Loop: Header=BB112_3 Depth=1
	s_or_b32 exec_lo, exec_lo, s1
	s_wait_dscnt 0x0
	s_barrier_signal -1
	s_barrier_wait -1
	s_barrier_signal -1
	s_barrier_wait -1
	s_and_saveexec_b32 s1, s15
	s_cbranch_execz .LBB112_102
; %bb.101:                              ;   in Loop: Header=BB112_3 Depth=1
	ds_load_b64 v[24:25], v5 offset:15856
	ds_load_b32 v26, v5 offset:15600
	s_wait_dscnt 0x0
	v_mul_f32_e32 v25, v26, v25
	s_delay_alu instid0(VALU_DEP_1)
	v_mul_f32_e32 v24, v24, v25
	ds_store_b32 v5, v24 offset:15856
.LBB112_102:                            ;   in Loop: Header=BB112_3 Depth=1
	s_or_b32 exec_lo, exec_lo, s1
	v_mov_b32_e32 v24, 0
	s_wait_dscnt 0x0
	s_barrier_signal -1
	s_barrier_wait -1
	global_wb scope:SCOPE_DEV
	s_wait_storecnt 0x0
	global_inv scope:SCOPE_DEV
	s_and_saveexec_b32 s10, s3
	s_cbranch_execz .LBB112_108
; %bb.103:                              ;   in Loop: Header=BB112_3 Depth=1
	ds_load_b32 v24, v35 offset:15584
	ds_load_b32 v25, v34 offset:16368
	s_wait_dscnt 0x0
	v_fma_f32 v24, v24, v25, 0
	s_and_saveexec_b32 s1, s17
	s_cbranch_execnz .LBB112_1145
; %bb.104:                              ;   in Loop: Header=BB112_3 Depth=1
	s_or_b32 exec_lo, exec_lo, s1
	s_and_saveexec_b32 s1, s18
	s_cbranch_execnz .LBB112_1146
.LBB112_105:                            ;   in Loop: Header=BB112_3 Depth=1
	s_or_b32 exec_lo, exec_lo, s1
	s_and_saveexec_b32 s1, s2
	s_cbranch_execz .LBB112_107
.LBB112_106:                            ;   in Loop: Header=BB112_3 Depth=1
	ds_load_b32 v25, v31 offset:16352
	ds_load_b32 v26, v5 offset:16380
	s_wait_dscnt 0x0
	v_fmac_f32_e32 v24, v25, v26
.LBB112_107:                            ;   in Loop: Header=BB112_3 Depth=1
	s_or_b32 exec_lo, exec_lo, s1
.LBB112_108:                            ;   in Loop: Header=BB112_3 Depth=1
	s_delay_alu instid0(SALU_CYCLE_1)
	s_or_b32 exec_lo, exec_lo, s10
	s_and_saveexec_b32 s1, s104
	s_cbranch_execz .LBB112_110
; %bb.109:                              ;   in Loop: Header=BB112_3 Depth=1
	ds_load_b32 v25, v5 offset:15340
	s_wait_dscnt 0x0
	v_mul_f32_e32 v24, v24, v25
	s_delay_alu instid0(VALU_DEP_1)
	v_xor_b32_e32 v25, 0x80000000, v24
	ds_store_b32 v33, v25
.LBB112_110:                            ;   in Loop: Header=BB112_3 Depth=1
	s_or_b32 exec_lo, exec_lo, s1
	s_wait_loadcnt_dscnt 0x0
	s_barrier_signal -1
	s_barrier_wait -1
	s_and_saveexec_b32 s1, vcc_hi
	s_cbranch_execz .LBB112_112
; %bb.111:                              ;   in Loop: Header=BB112_3 Depth=1
	ds_load_b32 v25, v35 offset:15328
	ds_load_b32 v26, v33
	s_wait_dscnt 0x0
	v_fma_f32 v24, -v25, v26, v24
.LBB112_112:                            ;   in Loop: Header=BB112_3 Depth=1
	s_or_b32 exec_lo, exec_lo, s1
	s_barrier_signal -1
	s_barrier_wait -1
	s_and_saveexec_b32 s1, s36
	s_cbranch_execz .LBB112_114
; %bb.113:                              ;   in Loop: Header=BB112_3 Depth=1
	ds_load_b32 v25, v5 offset:15080
	s_wait_dscnt 0x0
	v_mul_f32_e32 v24, v24, v25
	s_delay_alu instid0(VALU_DEP_1)
	v_xor_b32_e32 v25, 0x80000000, v24
	ds_store_b32 v33, v25
.LBB112_114:                            ;   in Loop: Header=BB112_3 Depth=1
	s_or_b32 exec_lo, exec_lo, s1
	s_wait_dscnt 0x0
	s_barrier_signal -1
	s_barrier_wait -1
	s_and_saveexec_b32 s1, s37
	s_cbranch_execz .LBB112_116
; %bb.115:                              ;   in Loop: Header=BB112_3 Depth=1
	ds_load_b32 v25, v35 offset:15072
	ds_load_b32 v26, v33
	s_wait_dscnt 0x0
	v_fma_f32 v24, -v25, v26, v24
.LBB112_116:                            ;   in Loop: Header=BB112_3 Depth=1
	s_or_b32 exec_lo, exec_lo, s1
	s_barrier_signal -1
	s_barrier_wait -1
	s_and_saveexec_b32 s1, s38
	s_cbranch_execz .LBB112_118
; %bb.117:                              ;   in Loop: Header=BB112_3 Depth=1
	ds_load_b32 v25, v5 offset:14820
	s_wait_dscnt 0x0
	v_mul_f32_e32 v24, v24, v25
	s_delay_alu instid0(VALU_DEP_1)
	v_xor_b32_e32 v25, 0x80000000, v24
	ds_store_b32 v33, v25
.LBB112_118:                            ;   in Loop: Header=BB112_3 Depth=1
	s_or_b32 exec_lo, exec_lo, s1
	s_wait_dscnt 0x0
	s_barrier_signal -1
	s_barrier_wait -1
	s_and_saveexec_b32 s1, s39
	s_cbranch_execz .LBB112_120
; %bb.119:                              ;   in Loop: Header=BB112_3 Depth=1
	ds_load_b32 v25, v5 offset:14816
	ds_load_b32 v26, v33
	s_wait_dscnt 0x0
	v_fma_f32 v24, -v25, v26, v24
.LBB112_120:                            ;   in Loop: Header=BB112_3 Depth=1
	s_or_b32 exec_lo, exec_lo, s1
	s_barrier_signal -1
	s_barrier_wait -1
	s_and_saveexec_b32 s1, s39
	s_cbranch_execz .LBB112_122
; %bb.121:                              ;   in Loop: Header=BB112_3 Depth=1
	ds_load_b32 v25, v5 offset:14560
	s_wait_dscnt 0x0
	v_mul_f32_e32 v24, v24, v25
	s_delay_alu instid0(VALU_DEP_1)
	v_xor_b32_e32 v25, 0x80000000, v24
	ds_store_b32 v33, v25
.LBB112_122:                            ;   in Loop: Header=BB112_3 Depth=1
	s_or_b32 exec_lo, exec_lo, s1
	s_wait_dscnt 0x0
	s_barrier_signal -1
	s_barrier_wait -1
	s_barrier_signal -1
	s_barrier_wait -1
	s_and_saveexec_b32 s1, s3
; %bb.123:                              ;   in Loop: Header=BB112_3 Depth=1
	ds_store_b32 v36, v24 offset:16352
; %bb.124:                              ;   in Loop: Header=BB112_3 Depth=1
	s_or_b32 exec_lo, exec_lo, s1
	s_wait_dscnt 0x0
	s_barrier_signal -1
	s_barrier_wait -1
	s_barrier_signal -1
	s_barrier_wait -1
	s_and_saveexec_b32 s1, s15
	s_cbranch_execz .LBB112_126
; %bb.125:                              ;   in Loop: Header=BB112_3 Depth=1
	ds_load_b64 v[24:25], v5 offset:15336
	ds_load_b32 v26, v5 offset:15080
	s_wait_dscnt 0x0
	v_mul_f32_e32 v25, v26, v25
	s_delay_alu instid0(VALU_DEP_1)
	v_mul_f32_e32 v24, v24, v25
	ds_store_b32 v5, v24 offset:15336
.LBB112_126:                            ;   in Loop: Header=BB112_3 Depth=1
	s_or_b32 exec_lo, exec_lo, s1
	v_mov_b32_e32 v24, 0
	s_wait_dscnt 0x0
	s_barrier_signal -1
	s_barrier_wait -1
	global_wb scope:SCOPE_DEV
	s_wait_storecnt 0x0
	global_inv scope:SCOPE_DEV
	s_and_saveexec_b32 s1, s2
	s_cbranch_execz .LBB112_130
; %bb.127:                              ;   in Loop: Header=BB112_3 Depth=1
	ds_load_b32 v24, v30 offset:15072
	ds_load_b32 v25, v29 offset:15336
	s_wait_dscnt 0x0
	v_fma_f32 v24, v24, v25, 0
	s_and_saveexec_b32 s8, s16
	s_cbranch_execz .LBB112_129
; %bb.128:                              ;   in Loop: Header=BB112_3 Depth=1
	ds_load_b32 v25, v31 offset:15328
	ds_load_b32 v26, v5 offset:15340
	s_wait_dscnt 0x0
	v_fmac_f32_e32 v24, v25, v26
.LBB112_129:                            ;   in Loop: Header=BB112_3 Depth=1
	s_or_b32 exec_lo, exec_lo, s8
.LBB112_130:                            ;   in Loop: Header=BB112_3 Depth=1
	s_delay_alu instid0(SALU_CYCLE_1)
	s_or_b32 exec_lo, exec_lo, s1
	s_and_saveexec_b32 s1, s102
	s_cbranch_execz .LBB112_132
; %bb.131:                              ;   in Loop: Header=BB112_3 Depth=1
	ds_load_b32 v25, v5 offset:14820
	s_wait_dscnt 0x0
	v_mul_f32_e32 v24, v24, v25
	s_delay_alu instid0(VALU_DEP_1)
	v_xor_b32_e32 v25, 0x80000000, v24
	ds_store_b32 v3, v25
.LBB112_132:                            ;   in Loop: Header=BB112_3 Depth=1
	s_or_b32 exec_lo, exec_lo, s1
	s_wait_loadcnt_dscnt 0x0
	s_barrier_signal -1
	s_barrier_wait -1
	s_and_saveexec_b32 s1, s103
	s_cbranch_execz .LBB112_134
; %bb.133:                              ;   in Loop: Header=BB112_3 Depth=1
	ds_load_b32 v25, v5 offset:14816
	ds_load_b32 v26, v3
	s_wait_dscnt 0x0
	v_fma_f32 v24, -v25, v26, v24
.LBB112_134:                            ;   in Loop: Header=BB112_3 Depth=1
	s_or_b32 exec_lo, exec_lo, s1
	s_barrier_signal -1
	s_barrier_wait -1
	s_and_saveexec_b32 s1, s103
	s_cbranch_execz .LBB112_136
; %bb.135:                              ;   in Loop: Header=BB112_3 Depth=1
	ds_load_b32 v25, v5 offset:14560
	s_wait_dscnt 0x0
	v_mul_f32_e32 v24, v24, v25
	s_delay_alu instid0(VALU_DEP_1)
	v_xor_b32_e32 v25, 0x80000000, v24
	ds_store_b32 v3, v25
.LBB112_136:                            ;   in Loop: Header=BB112_3 Depth=1
	s_or_b32 exec_lo, exec_lo, s1
	s_wait_dscnt 0x0
	s_barrier_signal -1
	s_barrier_wait -1
	s_barrier_signal -1
	s_barrier_wait -1
	s_and_saveexec_b32 s1, s2
; %bb.137:                              ;   in Loop: Header=BB112_3 Depth=1
	ds_store_b32 v32, v24 offset:15328
; %bb.138:                              ;   in Loop: Header=BB112_3 Depth=1
	s_or_b32 exec_lo, exec_lo, s1
	s_wait_dscnt 0x0
	s_barrier_signal -1
	s_barrier_wait -1
	s_barrier_signal -1
	s_barrier_wait -1
	s_and_saveexec_b32 s1, s15
	s_cbranch_execz .LBB112_140
; %bb.139:                              ;   in Loop: Header=BB112_3 Depth=1
	ds_load_b64 v[24:25], v5 offset:14816
	ds_load_b32 v26, v5 offset:14560
	s_wait_dscnt 0x0
	v_mul_f32_e32 v25, v26, v25
	s_delay_alu instid0(VALU_DEP_1)
	v_mul_f32_e32 v24, v24, v25
	ds_store_b32 v5, v24 offset:14816
.LBB112_140:                            ;   in Loop: Header=BB112_3 Depth=1
	s_or_b32 exec_lo, exec_lo, s1
	v_mov_b32_e32 v24, 0
	s_wait_dscnt 0x0
	s_barrier_signal -1
	s_barrier_wait -1
	global_wb scope:SCOPE_DEV
	s_wait_storecnt 0x0
	global_inv scope:SCOPE_DEV
	s_and_saveexec_b32 s10, s4
	s_cbranch_execz .LBB112_150
; %bb.141:                              ;   in Loop: Header=BB112_3 Depth=1
	ds_load_b32 v24, v39 offset:14528
	ds_load_b32 v25, v38 offset:16352
	s_wait_dscnt 0x0
	v_fma_f32 v24, v24, v25, 0
	s_and_saveexec_b32 s1, s19
	s_cbranch_execnz .LBB112_1147
; %bb.142:                              ;   in Loop: Header=BB112_3 Depth=1
	s_or_b32 exec_lo, exec_lo, s1
	s_and_saveexec_b32 s1, s20
	s_cbranch_execnz .LBB112_1148
.LBB112_143:                            ;   in Loop: Header=BB112_3 Depth=1
	s_or_b32 exec_lo, exec_lo, s1
	s_and_saveexec_b32 s1, s21
	s_cbranch_execnz .LBB112_1149
.LBB112_144:                            ;   in Loop: Header=BB112_3 Depth=1
	s_or_b32 exec_lo, exec_lo, s1
	s_and_saveexec_b32 s1, s22
	s_cbranch_execnz .LBB112_1150
.LBB112_145:                            ;   in Loop: Header=BB112_3 Depth=1
	s_or_b32 exec_lo, exec_lo, s1
	s_and_saveexec_b32 s1, s23
	s_cbranch_execnz .LBB112_1151
.LBB112_146:                            ;   in Loop: Header=BB112_3 Depth=1
	s_or_b32 exec_lo, exec_lo, s1
	s_and_saveexec_b32 s1, s3
	s_cbranch_execnz .LBB112_1152
.LBB112_147:                            ;   in Loop: Header=BB112_3 Depth=1
	s_or_b32 exec_lo, exec_lo, s1
	s_and_saveexec_b32 s1, s18
	s_cbranch_execz .LBB112_149
.LBB112_148:                            ;   in Loop: Header=BB112_3 Depth=1
	ds_load_b32 v25, v31 offset:16320
	ds_load_b32 v26, v5 offset:16380
	s_wait_dscnt 0x0
	v_fmac_f32_e32 v24, v25, v26
.LBB112_149:                            ;   in Loop: Header=BB112_3 Depth=1
	s_or_b32 exec_lo, exec_lo, s1
.LBB112_150:                            ;   in Loop: Header=BB112_3 Depth=1
	s_delay_alu instid0(SALU_CYCLE_1)
	s_or_b32 exec_lo, exec_lo, s10
	s_and_saveexec_b32 s1, s40
	s_cbranch_execz .LBB112_152
; %bb.151:                              ;   in Loop: Header=BB112_3 Depth=1
	ds_load_b32 v25, v5 offset:14300
	s_wait_dscnt 0x0
	v_mul_f32_e32 v24, v24, v25
	s_delay_alu instid0(VALU_DEP_1)
	v_xor_b32_e32 v25, 0x80000000, v24
	ds_store_b32 v37, v25
.LBB112_152:                            ;   in Loop: Header=BB112_3 Depth=1
	s_or_b32 exec_lo, exec_lo, s1
	s_wait_loadcnt_dscnt 0x0
	s_barrier_signal -1
	s_barrier_wait -1
	s_and_saveexec_b32 s1, s41
	s_cbranch_execz .LBB112_154
; %bb.153:                              ;   in Loop: Header=BB112_3 Depth=1
	ds_load_b32 v25, v39 offset:14272
	ds_load_b32 v26, v37
	s_wait_dscnt 0x0
	v_fma_f32 v24, -v25, v26, v24
.LBB112_154:                            ;   in Loop: Header=BB112_3 Depth=1
	s_or_b32 exec_lo, exec_lo, s1
	s_barrier_signal -1
	s_barrier_wait -1
	s_and_saveexec_b32 s1, s42
	s_cbranch_execz .LBB112_156
; %bb.155:                              ;   in Loop: Header=BB112_3 Depth=1
	ds_load_b32 v25, v5 offset:14040
	s_wait_dscnt 0x0
	v_mul_f32_e32 v24, v24, v25
	s_delay_alu instid0(VALU_DEP_1)
	v_xor_b32_e32 v25, 0x80000000, v24
	ds_store_b32 v37, v25
.LBB112_156:                            ;   in Loop: Header=BB112_3 Depth=1
	s_or_b32 exec_lo, exec_lo, s1
	s_wait_dscnt 0x0
	s_barrier_signal -1
	s_barrier_wait -1
	s_and_saveexec_b32 s1, s43
	s_cbranch_execz .LBB112_158
; %bb.157:                              ;   in Loop: Header=BB112_3 Depth=1
	ds_load_b32 v25, v39 offset:14016
	ds_load_b32 v26, v37
	s_wait_dscnt 0x0
	v_fma_f32 v24, -v25, v26, v24
.LBB112_158:                            ;   in Loop: Header=BB112_3 Depth=1
	s_or_b32 exec_lo, exec_lo, s1
	s_barrier_signal -1
	s_barrier_wait -1
	s_and_saveexec_b32 s1, s44
	s_cbranch_execz .LBB112_160
; %bb.159:                              ;   in Loop: Header=BB112_3 Depth=1
	ds_load_b32 v25, v5 offset:13780
	s_wait_dscnt 0x0
	v_mul_f32_e32 v24, v24, v25
	s_delay_alu instid0(VALU_DEP_1)
	v_xor_b32_e32 v25, 0x80000000, v24
	ds_store_b32 v37, v25
.LBB112_160:                            ;   in Loop: Header=BB112_3 Depth=1
	s_or_b32 exec_lo, exec_lo, s1
	s_wait_dscnt 0x0
	;; [unrolled: 25-line block ×7, first 2 shown]
	s_barrier_signal -1
	s_barrier_wait -1
	s_barrier_signal -1
	s_barrier_wait -1
	s_and_saveexec_b32 s1, s4
; %bb.181:                              ;   in Loop: Header=BB112_3 Depth=1
	ds_store_b32 v40, v24 offset:16320
; %bb.182:                              ;   in Loop: Header=BB112_3 Depth=1
	s_or_b32 exec_lo, exec_lo, s1
	s_wait_dscnt 0x0
	s_barrier_signal -1
	s_barrier_wait -1
	s_barrier_signal -1
	s_barrier_wait -1
	s_and_saveexec_b32 s1, s15
	s_cbranch_execz .LBB112_184
; %bb.183:                              ;   in Loop: Header=BB112_3 Depth=1
	ds_load_b64 v[24:25], v5 offset:14296
	ds_load_b32 v26, v5 offset:14040
	s_wait_dscnt 0x0
	v_mul_f32_e32 v25, v26, v25
	s_delay_alu instid0(VALU_DEP_1)
	v_mul_f32_e32 v24, v24, v25
	ds_store_b32 v5, v24 offset:14296
.LBB112_184:                            ;   in Loop: Header=BB112_3 Depth=1
	s_or_b32 exec_lo, exec_lo, s1
	v_mov_b32_e32 v24, 0
	s_wait_dscnt 0x0
	s_barrier_signal -1
	s_barrier_wait -1
	global_wb scope:SCOPE_DEV
	s_wait_storecnt 0x0
	global_inv scope:SCOPE_DEV
	s_and_saveexec_b32 s1, s2
	s_cbranch_execz .LBB112_188
; %bb.185:                              ;   in Loop: Header=BB112_3 Depth=1
	ds_load_b32 v24, v30 offset:14032
	ds_load_b32 v25, v29 offset:14296
	s_wait_dscnt 0x0
	v_fma_f32 v24, v24, v25, 0
	s_and_saveexec_b32 s8, s16
	s_cbranch_execz .LBB112_187
; %bb.186:                              ;   in Loop: Header=BB112_3 Depth=1
	ds_load_b32 v25, v31 offset:14288
	ds_load_b32 v26, v5 offset:14300
	s_wait_dscnt 0x0
	v_fmac_f32_e32 v24, v25, v26
.LBB112_187:                            ;   in Loop: Header=BB112_3 Depth=1
	s_or_b32 exec_lo, exec_lo, s8
.LBB112_188:                            ;   in Loop: Header=BB112_3 Depth=1
	s_delay_alu instid0(SALU_CYCLE_1)
	s_or_b32 exec_lo, exec_lo, s1
	s_and_saveexec_b32 s1, s102
	s_cbranch_execz .LBB112_190
; %bb.189:                              ;   in Loop: Header=BB112_3 Depth=1
	ds_load_b32 v25, v5 offset:13780
	s_wait_dscnt 0x0
	v_mul_f32_e32 v24, v24, v25
	s_delay_alu instid0(VALU_DEP_1)
	v_xor_b32_e32 v25, 0x80000000, v24
	ds_store_b32 v3, v25
.LBB112_190:                            ;   in Loop: Header=BB112_3 Depth=1
	s_or_b32 exec_lo, exec_lo, s1
	s_wait_loadcnt_dscnt 0x0
	s_barrier_signal -1
	s_barrier_wait -1
	s_and_saveexec_b32 s1, s103
	s_cbranch_execz .LBB112_192
; %bb.191:                              ;   in Loop: Header=BB112_3 Depth=1
	ds_load_b32 v25, v5 offset:13776
	ds_load_b32 v26, v3
	s_wait_dscnt 0x0
	v_fma_f32 v24, -v25, v26, v24
.LBB112_192:                            ;   in Loop: Header=BB112_3 Depth=1
	s_or_b32 exec_lo, exec_lo, s1
	s_barrier_signal -1
	s_barrier_wait -1
	s_and_saveexec_b32 s1, s103
	s_cbranch_execz .LBB112_194
; %bb.193:                              ;   in Loop: Header=BB112_3 Depth=1
	ds_load_b32 v25, v5 offset:13520
	s_wait_dscnt 0x0
	v_mul_f32_e32 v24, v24, v25
	s_delay_alu instid0(VALU_DEP_1)
	v_xor_b32_e32 v25, 0x80000000, v24
	ds_store_b32 v3, v25
.LBB112_194:                            ;   in Loop: Header=BB112_3 Depth=1
	s_or_b32 exec_lo, exec_lo, s1
	s_wait_dscnt 0x0
	s_barrier_signal -1
	s_barrier_wait -1
	s_barrier_signal -1
	s_barrier_wait -1
	s_and_saveexec_b32 s1, s2
; %bb.195:                              ;   in Loop: Header=BB112_3 Depth=1
	ds_store_b32 v32, v24 offset:14288
; %bb.196:                              ;   in Loop: Header=BB112_3 Depth=1
	s_or_b32 exec_lo, exec_lo, s1
	s_wait_dscnt 0x0
	s_barrier_signal -1
	s_barrier_wait -1
	s_barrier_signal -1
	s_barrier_wait -1
	s_and_saveexec_b32 s1, s15
	s_cbranch_execz .LBB112_198
; %bb.197:                              ;   in Loop: Header=BB112_3 Depth=1
	ds_load_b64 v[24:25], v5 offset:13776
	ds_load_b32 v26, v5 offset:13520
	s_wait_dscnt 0x0
	v_mul_f32_e32 v25, v26, v25
	s_delay_alu instid0(VALU_DEP_1)
	v_mul_f32_e32 v24, v24, v25
	ds_store_b32 v5, v24 offset:13776
.LBB112_198:                            ;   in Loop: Header=BB112_3 Depth=1
	s_or_b32 exec_lo, exec_lo, s1
	v_mov_b32_e32 v24, 0
	s_wait_dscnt 0x0
	s_barrier_signal -1
	s_barrier_wait -1
	global_wb scope:SCOPE_DEV
	s_wait_storecnt 0x0
	global_inv scope:SCOPE_DEV
	s_and_saveexec_b32 s10, s3
	s_cbranch_execz .LBB112_204
; %bb.199:                              ;   in Loop: Header=BB112_3 Depth=1
	ds_load_b32 v24, v35 offset:13504
	ds_load_b32 v25, v34 offset:14288
	s_wait_dscnt 0x0
	v_fma_f32 v24, v24, v25, 0
	s_and_saveexec_b32 s1, s17
	s_cbranch_execnz .LBB112_1153
; %bb.200:                              ;   in Loop: Header=BB112_3 Depth=1
	s_or_b32 exec_lo, exec_lo, s1
	s_and_saveexec_b32 s1, s18
	s_cbranch_execnz .LBB112_1154
.LBB112_201:                            ;   in Loop: Header=BB112_3 Depth=1
	s_or_b32 exec_lo, exec_lo, s1
	s_and_saveexec_b32 s1, s2
	s_cbranch_execz .LBB112_203
.LBB112_202:                            ;   in Loop: Header=BB112_3 Depth=1
	ds_load_b32 v25, v31 offset:14272
	ds_load_b32 v26, v5 offset:14300
	s_wait_dscnt 0x0
	v_fmac_f32_e32 v24, v25, v26
.LBB112_203:                            ;   in Loop: Header=BB112_3 Depth=1
	s_or_b32 exec_lo, exec_lo, s1
.LBB112_204:                            ;   in Loop: Header=BB112_3 Depth=1
	s_delay_alu instid0(SALU_CYCLE_1)
	s_or_b32 exec_lo, exec_lo, s10
	s_and_saveexec_b32 s1, s104
	s_cbranch_execz .LBB112_206
; %bb.205:                              ;   in Loop: Header=BB112_3 Depth=1
	ds_load_b32 v25, v5 offset:13260
	s_wait_dscnt 0x0
	v_mul_f32_e32 v24, v24, v25
	s_delay_alu instid0(VALU_DEP_1)
	v_xor_b32_e32 v25, 0x80000000, v24
	ds_store_b32 v33, v25
.LBB112_206:                            ;   in Loop: Header=BB112_3 Depth=1
	s_or_b32 exec_lo, exec_lo, s1
	s_wait_loadcnt_dscnt 0x0
	s_barrier_signal -1
	s_barrier_wait -1
	s_and_saveexec_b32 s1, vcc_hi
	s_cbranch_execz .LBB112_208
; %bb.207:                              ;   in Loop: Header=BB112_3 Depth=1
	ds_load_b32 v25, v35 offset:13248
	ds_load_b32 v26, v33
	s_wait_dscnt 0x0
	v_fma_f32 v24, -v25, v26, v24
.LBB112_208:                            ;   in Loop: Header=BB112_3 Depth=1
	s_or_b32 exec_lo, exec_lo, s1
	s_barrier_signal -1
	s_barrier_wait -1
	s_and_saveexec_b32 s1, s36
	s_cbranch_execz .LBB112_210
; %bb.209:                              ;   in Loop: Header=BB112_3 Depth=1
	ds_load_b32 v25, v5 offset:13000
	s_wait_dscnt 0x0
	v_mul_f32_e32 v24, v24, v25
	s_delay_alu instid0(VALU_DEP_1)
	v_xor_b32_e32 v25, 0x80000000, v24
	ds_store_b32 v33, v25
.LBB112_210:                            ;   in Loop: Header=BB112_3 Depth=1
	s_or_b32 exec_lo, exec_lo, s1
	s_wait_dscnt 0x0
	s_barrier_signal -1
	s_barrier_wait -1
	s_and_saveexec_b32 s1, s37
	s_cbranch_execz .LBB112_212
; %bb.211:                              ;   in Loop: Header=BB112_3 Depth=1
	ds_load_b32 v25, v35 offset:12992
	ds_load_b32 v26, v33
	s_wait_dscnt 0x0
	v_fma_f32 v24, -v25, v26, v24
.LBB112_212:                            ;   in Loop: Header=BB112_3 Depth=1
	s_or_b32 exec_lo, exec_lo, s1
	s_barrier_signal -1
	s_barrier_wait -1
	s_and_saveexec_b32 s1, s38
	s_cbranch_execz .LBB112_214
; %bb.213:                              ;   in Loop: Header=BB112_3 Depth=1
	ds_load_b32 v25, v5 offset:12740
	s_wait_dscnt 0x0
	v_mul_f32_e32 v24, v24, v25
	s_delay_alu instid0(VALU_DEP_1)
	v_xor_b32_e32 v25, 0x80000000, v24
	ds_store_b32 v33, v25
.LBB112_214:                            ;   in Loop: Header=BB112_3 Depth=1
	s_or_b32 exec_lo, exec_lo, s1
	s_wait_dscnt 0x0
	s_barrier_signal -1
	s_barrier_wait -1
	s_and_saveexec_b32 s1, s39
	s_cbranch_execz .LBB112_216
; %bb.215:                              ;   in Loop: Header=BB112_3 Depth=1
	ds_load_b32 v25, v5 offset:12736
	ds_load_b32 v26, v33
	s_wait_dscnt 0x0
	v_fma_f32 v24, -v25, v26, v24
.LBB112_216:                            ;   in Loop: Header=BB112_3 Depth=1
	s_or_b32 exec_lo, exec_lo, s1
	s_barrier_signal -1
	s_barrier_wait -1
	s_and_saveexec_b32 s1, s39
	s_cbranch_execz .LBB112_218
; %bb.217:                              ;   in Loop: Header=BB112_3 Depth=1
	ds_load_b32 v25, v5 offset:12480
	s_wait_dscnt 0x0
	v_mul_f32_e32 v24, v24, v25
	s_delay_alu instid0(VALU_DEP_1)
	v_xor_b32_e32 v25, 0x80000000, v24
	ds_store_b32 v33, v25
.LBB112_218:                            ;   in Loop: Header=BB112_3 Depth=1
	s_or_b32 exec_lo, exec_lo, s1
	s_wait_dscnt 0x0
	s_barrier_signal -1
	s_barrier_wait -1
	s_barrier_signal -1
	s_barrier_wait -1
	s_and_saveexec_b32 s1, s3
; %bb.219:                              ;   in Loop: Header=BB112_3 Depth=1
	ds_store_b32 v36, v24 offset:14272
; %bb.220:                              ;   in Loop: Header=BB112_3 Depth=1
	s_or_b32 exec_lo, exec_lo, s1
	s_wait_dscnt 0x0
	s_barrier_signal -1
	s_barrier_wait -1
	s_barrier_signal -1
	s_barrier_wait -1
	s_and_saveexec_b32 s1, s15
	s_cbranch_execz .LBB112_222
; %bb.221:                              ;   in Loop: Header=BB112_3 Depth=1
	ds_load_b64 v[24:25], v5 offset:13256
	ds_load_b32 v26, v5 offset:13000
	s_wait_dscnt 0x0
	v_mul_f32_e32 v25, v26, v25
	s_delay_alu instid0(VALU_DEP_1)
	v_mul_f32_e32 v24, v24, v25
	ds_store_b32 v5, v24 offset:13256
.LBB112_222:                            ;   in Loop: Header=BB112_3 Depth=1
	s_or_b32 exec_lo, exec_lo, s1
	v_mov_b32_e32 v24, 0
	s_wait_dscnt 0x0
	s_barrier_signal -1
	s_barrier_wait -1
	global_wb scope:SCOPE_DEV
	s_wait_storecnt 0x0
	global_inv scope:SCOPE_DEV
	s_and_saveexec_b32 s1, s2
	s_cbranch_execz .LBB112_226
; %bb.223:                              ;   in Loop: Header=BB112_3 Depth=1
	ds_load_b32 v24, v30 offset:12992
	ds_load_b32 v25, v29 offset:13256
	s_wait_dscnt 0x0
	v_fma_f32 v24, v24, v25, 0
	s_and_saveexec_b32 s8, s16
	s_cbranch_execz .LBB112_225
; %bb.224:                              ;   in Loop: Header=BB112_3 Depth=1
	ds_load_b32 v25, v31 offset:13248
	ds_load_b32 v26, v5 offset:13260
	s_wait_dscnt 0x0
	v_fmac_f32_e32 v24, v25, v26
.LBB112_225:                            ;   in Loop: Header=BB112_3 Depth=1
	s_or_b32 exec_lo, exec_lo, s8
.LBB112_226:                            ;   in Loop: Header=BB112_3 Depth=1
	s_delay_alu instid0(SALU_CYCLE_1)
	s_or_b32 exec_lo, exec_lo, s1
	s_and_saveexec_b32 s1, s102
	s_cbranch_execz .LBB112_228
; %bb.227:                              ;   in Loop: Header=BB112_3 Depth=1
	ds_load_b32 v25, v5 offset:12740
	s_wait_dscnt 0x0
	v_mul_f32_e32 v24, v24, v25
	s_delay_alu instid0(VALU_DEP_1)
	v_xor_b32_e32 v25, 0x80000000, v24
	ds_store_b32 v3, v25
.LBB112_228:                            ;   in Loop: Header=BB112_3 Depth=1
	s_or_b32 exec_lo, exec_lo, s1
	s_wait_loadcnt_dscnt 0x0
	s_barrier_signal -1
	s_barrier_wait -1
	s_and_saveexec_b32 s1, s103
	s_cbranch_execz .LBB112_230
; %bb.229:                              ;   in Loop: Header=BB112_3 Depth=1
	ds_load_b32 v25, v5 offset:12736
	ds_load_b32 v26, v3
	s_wait_dscnt 0x0
	v_fma_f32 v24, -v25, v26, v24
.LBB112_230:                            ;   in Loop: Header=BB112_3 Depth=1
	s_or_b32 exec_lo, exec_lo, s1
	s_barrier_signal -1
	s_barrier_wait -1
	s_and_saveexec_b32 s1, s103
	s_cbranch_execz .LBB112_232
; %bb.231:                              ;   in Loop: Header=BB112_3 Depth=1
	ds_load_b32 v25, v5 offset:12480
	s_wait_dscnt 0x0
	v_mul_f32_e32 v24, v24, v25
	s_delay_alu instid0(VALU_DEP_1)
	v_xor_b32_e32 v25, 0x80000000, v24
	ds_store_b32 v3, v25
.LBB112_232:                            ;   in Loop: Header=BB112_3 Depth=1
	s_or_b32 exec_lo, exec_lo, s1
	s_wait_dscnt 0x0
	s_barrier_signal -1
	s_barrier_wait -1
	s_barrier_signal -1
	s_barrier_wait -1
	s_and_saveexec_b32 s1, s2
; %bb.233:                              ;   in Loop: Header=BB112_3 Depth=1
	ds_store_b32 v32, v24 offset:13248
; %bb.234:                              ;   in Loop: Header=BB112_3 Depth=1
	s_or_b32 exec_lo, exec_lo, s1
	s_wait_dscnt 0x0
	s_barrier_signal -1
	s_barrier_wait -1
	s_barrier_signal -1
	s_barrier_wait -1
	s_and_saveexec_b32 s1, s15
	s_cbranch_execz .LBB112_236
; %bb.235:                              ;   in Loop: Header=BB112_3 Depth=1
	ds_load_b64 v[24:25], v5 offset:12736
	ds_load_b32 v26, v5 offset:12480
	s_wait_dscnt 0x0
	v_mul_f32_e32 v25, v26, v25
	s_delay_alu instid0(VALU_DEP_1)
	v_mul_f32_e32 v24, v24, v25
	ds_store_b32 v5, v24 offset:12736
.LBB112_236:                            ;   in Loop: Header=BB112_3 Depth=1
	s_or_b32 exec_lo, exec_lo, s1
	v_mov_b32_e32 v24, 0
	s_wait_dscnt 0x0
	s_barrier_signal -1
	s_barrier_wait -1
	global_wb scope:SCOPE_DEV
	s_wait_storecnt 0x0
	global_inv scope:SCOPE_DEV
	s_and_saveexec_b32 s10, s5
	s_cbranch_execz .LBB112_264
; %bb.237:                              ;   in Loop: Header=BB112_3 Depth=1
	ds_load_b32 v24, v43 offset:12416
	ds_load_b32 v25, v42 offset:16320
	s_wait_dscnt 0x0
	v_fma_f32 v24, v24, v25, 0
	s_mov_b32 s1, exec_lo
	v_readlane_b32 s8, v72, 26
	s_and_b32 s8, s1, s8
	s_delay_alu instid0(SALU_CYCLE_1)
	s_mov_b32 exec_lo, s8
	s_cbranch_execz .LBB112_239
; %bb.238:                              ;   in Loop: Header=BB112_3 Depth=1
	ds_load_b32 v25, v43 offset:12672
	ds_load_b32 v26, v42 offset:16324
	s_wait_dscnt 0x0
	v_fmac_f32_e32 v24, v25, v26
.LBB112_239:                            ;   in Loop: Header=BB112_3 Depth=1
	s_or_b32 exec_lo, exec_lo, s1
	s_delay_alu instid0(SALU_CYCLE_1) | instskip(SKIP_2) | instid1(SALU_CYCLE_1)
	s_mov_b32 s1, exec_lo
	v_readlane_b32 s8, v72, 27
	s_and_b32 s8, s1, s8
	s_mov_b32 exec_lo, s8
	s_cbranch_execz .LBB112_241
; %bb.240:                              ;   in Loop: Header=BB112_3 Depth=1
	ds_load_b32 v25, v43 offset:12928
	ds_load_b32 v26, v42 offset:16328
	s_wait_dscnt 0x0
	v_fmac_f32_e32 v24, v25, v26
.LBB112_241:                            ;   in Loop: Header=BB112_3 Depth=1
	s_or_b32 exec_lo, exec_lo, s1
	s_delay_alu instid0(SALU_CYCLE_1) | instskip(SKIP_2) | instid1(SALU_CYCLE_1)
	s_mov_b32 s1, exec_lo
	v_readlane_b32 s8, v72, 28
	s_and_b32 s8, s1, s8
	;; [unrolled: 13-line block ×10, first 2 shown]
	s_mov_b32 exec_lo, s8
	s_cbranch_execnz .LBB112_1155
; %bb.258:                              ;   in Loop: Header=BB112_3 Depth=1
	s_or_b32 exec_lo, exec_lo, s1
	s_and_saveexec_b32 s1, s4
	s_cbranch_execnz .LBB112_1156
.LBB112_259:                            ;   in Loop: Header=BB112_3 Depth=1
	s_or_b32 exec_lo, exec_lo, s1
	s_and_saveexec_b32 s1, s20
	s_cbranch_execnz .LBB112_1157
.LBB112_260:                            ;   in Loop: Header=BB112_3 Depth=1
	s_or_b32 exec_lo, exec_lo, s1
	s_and_saveexec_b32 s1, s22
	s_cbranch_execnz .LBB112_1158
.LBB112_261:                            ;   in Loop: Header=BB112_3 Depth=1
	s_or_b32 exec_lo, exec_lo, s1
	s_and_saveexec_b32 s1, s3
	s_cbranch_execz .LBB112_263
.LBB112_262:                            ;   in Loop: Header=BB112_3 Depth=1
	ds_load_b32 v25, v31 offset:16256
	ds_load_b32 v26, v5 offset:16380
	s_wait_dscnt 0x0
	v_fmac_f32_e32 v24, v25, v26
.LBB112_263:                            ;   in Loop: Header=BB112_3 Depth=1
	s_or_b32 exec_lo, exec_lo, s1
.LBB112_264:                            ;   in Loop: Header=BB112_3 Depth=1
	s_delay_alu instid0(SALU_CYCLE_1) | instskip(NEXT) | instid1(SALU_CYCLE_1)
	s_or_b32 exec_lo, exec_lo, s10
	s_mov_b32 s1, exec_lo
	v_readlane_b32 s8, v74, 3
	s_and_b32 s8, s1, s8
	s_delay_alu instid0(SALU_CYCLE_1)
	s_mov_b32 exec_lo, s8
	s_cbranch_execz .LBB112_266
; %bb.265:                              ;   in Loop: Header=BB112_3 Depth=1
	ds_load_b32 v25, v5 offset:12220
	s_wait_dscnt 0x0
	v_mul_f32_e32 v24, v24, v25
	s_delay_alu instid0(VALU_DEP_1)
	v_xor_b32_e32 v25, 0x80000000, v24
	ds_store_b32 v41, v25
.LBB112_266:                            ;   in Loop: Header=BB112_3 Depth=1
	s_or_b32 exec_lo, exec_lo, s1
	s_wait_loadcnt_dscnt 0x0
	s_barrier_signal -1
	s_barrier_wait -1
	s_mov_b32 s1, exec_lo
	v_readlane_b32 s8, v74, 4
	s_and_b32 s8, s1, s8
	s_delay_alu instid0(SALU_CYCLE_1)
	s_mov_b32 exec_lo, s8
	s_cbranch_execz .LBB112_268
; %bb.267:                              ;   in Loop: Header=BB112_3 Depth=1
	ds_load_b32 v25, v43 offset:12160
	ds_load_b32 v26, v41
	s_wait_dscnt 0x0
	v_fma_f32 v24, -v25, v26, v24
.LBB112_268:                            ;   in Loop: Header=BB112_3 Depth=1
	s_or_b32 exec_lo, exec_lo, s1
	s_barrier_signal -1
	s_barrier_wait -1
	s_mov_b32 s1, exec_lo
	v_readlane_b32 s8, v74, 5
	s_and_b32 s8, s1, s8
	s_delay_alu instid0(SALU_CYCLE_1)
	s_mov_b32 exec_lo, s8
	s_cbranch_execz .LBB112_270
; %bb.269:                              ;   in Loop: Header=BB112_3 Depth=1
	ds_load_b32 v25, v5 offset:11960
	s_wait_dscnt 0x0
	v_mul_f32_e32 v24, v24, v25
	s_delay_alu instid0(VALU_DEP_1)
	v_xor_b32_e32 v25, 0x80000000, v24
	ds_store_b32 v41, v25
.LBB112_270:                            ;   in Loop: Header=BB112_3 Depth=1
	s_or_b32 exec_lo, exec_lo, s1
	s_wait_dscnt 0x0
	s_barrier_signal -1
	s_barrier_wait -1
	s_mov_b32 s1, exec_lo
	v_readlane_b32 s8, v74, 6
	s_and_b32 s8, s1, s8
	s_delay_alu instid0(SALU_CYCLE_1)
	s_mov_b32 exec_lo, s8
	s_cbranch_execz .LBB112_272
; %bb.271:                              ;   in Loop: Header=BB112_3 Depth=1
	ds_load_b32 v25, v43 offset:11904
	ds_load_b32 v26, v41
	s_wait_dscnt 0x0
	v_fma_f32 v24, -v25, v26, v24
.LBB112_272:                            ;   in Loop: Header=BB112_3 Depth=1
	s_or_b32 exec_lo, exec_lo, s1
	s_barrier_signal -1
	s_barrier_wait -1
	s_and_saveexec_b32 s1, s58
	s_cbranch_execz .LBB112_274
; %bb.273:                              ;   in Loop: Header=BB112_3 Depth=1
	ds_load_b32 v25, v5 offset:11700
	s_wait_dscnt 0x0
	v_mul_f32_e32 v24, v24, v25
	s_delay_alu instid0(VALU_DEP_1)
	v_xor_b32_e32 v25, 0x80000000, v24
	ds_store_b32 v41, v25
.LBB112_274:                            ;   in Loop: Header=BB112_3 Depth=1
	s_or_b32 exec_lo, exec_lo, s1
	s_wait_dscnt 0x0
	s_barrier_signal -1
	s_barrier_wait -1
	s_and_saveexec_b32 s1, s65
	s_cbranch_execz .LBB112_276
; %bb.275:                              ;   in Loop: Header=BB112_3 Depth=1
	ds_load_b32 v25, v43 offset:11648
	ds_load_b32 v26, v41
	s_wait_dscnt 0x0
	v_fma_f32 v24, -v25, v26, v24
.LBB112_276:                            ;   in Loop: Header=BB112_3 Depth=1
	s_or_b32 exec_lo, exec_lo, s1
	s_barrier_signal -1
	s_barrier_wait -1
	s_and_saveexec_b32 s1, s66
	s_cbranch_execz .LBB112_278
; %bb.277:                              ;   in Loop: Header=BB112_3 Depth=1
	ds_load_b32 v25, v5 offset:11440
	s_wait_dscnt 0x0
	v_mul_f32_e32 v24, v24, v25
	s_delay_alu instid0(VALU_DEP_1)
	v_xor_b32_e32 v25, 0x80000000, v24
	ds_store_b32 v41, v25
.LBB112_278:                            ;   in Loop: Header=BB112_3 Depth=1
	s_or_b32 exec_lo, exec_lo, s1
	s_wait_dscnt 0x0
	s_barrier_signal -1
	s_barrier_wait -1
	s_and_saveexec_b32 s1, s67
	;; [unrolled: 25-line block ×13, first 2 shown]
	s_cbranch_execz .LBB112_324
; %bb.323:                              ;   in Loop: Header=BB112_3 Depth=1
	ds_load_b32 v25, v5 offset:8576
	ds_load_b32 v26, v41
	s_wait_dscnt 0x0
	v_fma_f32 v24, -v25, v26, v24
.LBB112_324:                            ;   in Loop: Header=BB112_3 Depth=1
	s_or_b32 exec_lo, exec_lo, s1
	s_barrier_signal -1
	s_barrier_wait -1
	s_and_saveexec_b32 s1, s54
	s_cbranch_execz .LBB112_326
; %bb.325:                              ;   in Loop: Header=BB112_3 Depth=1
	ds_load_b32 v25, v5 offset:8320
	s_wait_dscnt 0x0
	v_mul_f32_e32 v24, v24, v25
	s_delay_alu instid0(VALU_DEP_1)
	v_xor_b32_e32 v25, 0x80000000, v24
	ds_store_b32 v41, v25
.LBB112_326:                            ;   in Loop: Header=BB112_3 Depth=1
	s_or_b32 exec_lo, exec_lo, s1
	s_wait_dscnt 0x0
	s_barrier_signal -1
	s_barrier_wait -1
	s_barrier_signal -1
	s_barrier_wait -1
	s_and_saveexec_b32 s1, s5
; %bb.327:                              ;   in Loop: Header=BB112_3 Depth=1
	ds_store_b32 v44, v24 offset:16256
; %bb.328:                              ;   in Loop: Header=BB112_3 Depth=1
	s_or_b32 exec_lo, exec_lo, s1
	s_wait_dscnt 0x0
	s_barrier_signal -1
	s_barrier_wait -1
	s_barrier_signal -1
	s_barrier_wait -1
	s_and_saveexec_b32 s1, s15
	s_cbranch_execz .LBB112_330
; %bb.329:                              ;   in Loop: Header=BB112_3 Depth=1
	ds_load_b64 v[24:25], v5 offset:12216
	ds_load_b32 v26, v5 offset:11960
	s_wait_dscnt 0x0
	v_mul_f32_e32 v25, v26, v25
	s_delay_alu instid0(VALU_DEP_1)
	v_mul_f32_e32 v24, v24, v25
	ds_store_b32 v5, v24 offset:12216
.LBB112_330:                            ;   in Loop: Header=BB112_3 Depth=1
	s_or_b32 exec_lo, exec_lo, s1
	v_mov_b32_e32 v24, 0
	s_wait_dscnt 0x0
	s_barrier_signal -1
	s_barrier_wait -1
	global_wb scope:SCOPE_DEV
	s_wait_storecnt 0x0
	global_inv scope:SCOPE_DEV
	s_and_saveexec_b32 s1, s2
	s_cbranch_execz .LBB112_334
; %bb.331:                              ;   in Loop: Header=BB112_3 Depth=1
	ds_load_b32 v24, v30 offset:11952
	ds_load_b32 v25, v29 offset:12216
	s_wait_dscnt 0x0
	v_fma_f32 v24, v24, v25, 0
	s_and_saveexec_b32 s8, s16
	s_cbranch_execz .LBB112_333
; %bb.332:                              ;   in Loop: Header=BB112_3 Depth=1
	ds_load_b32 v25, v31 offset:12208
	ds_load_b32 v26, v5 offset:12220
	s_wait_dscnt 0x0
	v_fmac_f32_e32 v24, v25, v26
.LBB112_333:                            ;   in Loop: Header=BB112_3 Depth=1
	s_or_b32 exec_lo, exec_lo, s8
.LBB112_334:                            ;   in Loop: Header=BB112_3 Depth=1
	s_delay_alu instid0(SALU_CYCLE_1)
	s_or_b32 exec_lo, exec_lo, s1
	s_and_saveexec_b32 s1, s102
	s_cbranch_execz .LBB112_336
; %bb.335:                              ;   in Loop: Header=BB112_3 Depth=1
	ds_load_b32 v25, v5 offset:11700
	s_wait_dscnt 0x0
	v_mul_f32_e32 v24, v24, v25
	s_delay_alu instid0(VALU_DEP_1)
	v_xor_b32_e32 v25, 0x80000000, v24
	ds_store_b32 v3, v25
.LBB112_336:                            ;   in Loop: Header=BB112_3 Depth=1
	s_or_b32 exec_lo, exec_lo, s1
	s_wait_loadcnt_dscnt 0x0
	s_barrier_signal -1
	s_barrier_wait -1
	s_and_saveexec_b32 s1, s103
	s_cbranch_execz .LBB112_338
; %bb.337:                              ;   in Loop: Header=BB112_3 Depth=1
	ds_load_b32 v25, v5 offset:11696
	ds_load_b32 v26, v3
	s_wait_dscnt 0x0
	v_fma_f32 v24, -v25, v26, v24
.LBB112_338:                            ;   in Loop: Header=BB112_3 Depth=1
	s_or_b32 exec_lo, exec_lo, s1
	s_barrier_signal -1
	s_barrier_wait -1
	s_and_saveexec_b32 s1, s103
	s_cbranch_execz .LBB112_340
; %bb.339:                              ;   in Loop: Header=BB112_3 Depth=1
	ds_load_b32 v25, v5 offset:11440
	s_wait_dscnt 0x0
	v_mul_f32_e32 v24, v24, v25
	s_delay_alu instid0(VALU_DEP_1)
	v_xor_b32_e32 v25, 0x80000000, v24
	ds_store_b32 v3, v25
.LBB112_340:                            ;   in Loop: Header=BB112_3 Depth=1
	s_or_b32 exec_lo, exec_lo, s1
	s_wait_dscnt 0x0
	s_barrier_signal -1
	s_barrier_wait -1
	s_barrier_signal -1
	s_barrier_wait -1
	s_and_saveexec_b32 s1, s2
; %bb.341:                              ;   in Loop: Header=BB112_3 Depth=1
	ds_store_b32 v32, v24 offset:12208
; %bb.342:                              ;   in Loop: Header=BB112_3 Depth=1
	s_or_b32 exec_lo, exec_lo, s1
	s_wait_dscnt 0x0
	s_barrier_signal -1
	s_barrier_wait -1
	s_barrier_signal -1
	s_barrier_wait -1
	s_and_saveexec_b32 s1, s15
	s_cbranch_execz .LBB112_344
; %bb.343:                              ;   in Loop: Header=BB112_3 Depth=1
	ds_load_b64 v[24:25], v5 offset:11696
	ds_load_b32 v26, v5 offset:11440
	s_wait_dscnt 0x0
	v_mul_f32_e32 v25, v26, v25
	s_delay_alu instid0(VALU_DEP_1)
	v_mul_f32_e32 v24, v24, v25
	ds_store_b32 v5, v24 offset:11696
.LBB112_344:                            ;   in Loop: Header=BB112_3 Depth=1
	s_or_b32 exec_lo, exec_lo, s1
	v_mov_b32_e32 v24, 0
	s_wait_dscnt 0x0
	s_barrier_signal -1
	s_barrier_wait -1
	global_wb scope:SCOPE_DEV
	s_wait_storecnt 0x0
	global_inv scope:SCOPE_DEV
	s_and_saveexec_b32 s10, s3
	s_cbranch_execz .LBB112_350
; %bb.345:                              ;   in Loop: Header=BB112_3 Depth=1
	ds_load_b32 v24, v35 offset:11424
	ds_load_b32 v25, v34 offset:12208
	s_wait_dscnt 0x0
	v_fma_f32 v24, v24, v25, 0
	s_and_saveexec_b32 s1, s17
	s_cbranch_execnz .LBB112_1159
; %bb.346:                              ;   in Loop: Header=BB112_3 Depth=1
	s_or_b32 exec_lo, exec_lo, s1
	s_and_saveexec_b32 s1, s18
	s_cbranch_execnz .LBB112_1160
.LBB112_347:                            ;   in Loop: Header=BB112_3 Depth=1
	s_or_b32 exec_lo, exec_lo, s1
	s_and_saveexec_b32 s1, s2
	s_cbranch_execz .LBB112_349
.LBB112_348:                            ;   in Loop: Header=BB112_3 Depth=1
	ds_load_b32 v25, v31 offset:12192
	ds_load_b32 v26, v5 offset:12220
	s_wait_dscnt 0x0
	v_fmac_f32_e32 v24, v25, v26
.LBB112_349:                            ;   in Loop: Header=BB112_3 Depth=1
	s_or_b32 exec_lo, exec_lo, s1
.LBB112_350:                            ;   in Loop: Header=BB112_3 Depth=1
	s_delay_alu instid0(SALU_CYCLE_1)
	s_or_b32 exec_lo, exec_lo, s10
	s_and_saveexec_b32 s1, s104
	s_cbranch_execz .LBB112_352
; %bb.351:                              ;   in Loop: Header=BB112_3 Depth=1
	ds_load_b32 v25, v5 offset:11180
	s_wait_dscnt 0x0
	v_mul_f32_e32 v24, v24, v25
	s_delay_alu instid0(VALU_DEP_1)
	v_xor_b32_e32 v25, 0x80000000, v24
	ds_store_b32 v33, v25
.LBB112_352:                            ;   in Loop: Header=BB112_3 Depth=1
	s_or_b32 exec_lo, exec_lo, s1
	s_wait_loadcnt_dscnt 0x0
	s_barrier_signal -1
	s_barrier_wait -1
	s_and_saveexec_b32 s1, vcc_hi
	s_cbranch_execz .LBB112_354
; %bb.353:                              ;   in Loop: Header=BB112_3 Depth=1
	ds_load_b32 v25, v35 offset:11168
	ds_load_b32 v26, v33
	s_wait_dscnt 0x0
	v_fma_f32 v24, -v25, v26, v24
.LBB112_354:                            ;   in Loop: Header=BB112_3 Depth=1
	s_or_b32 exec_lo, exec_lo, s1
	s_barrier_signal -1
	s_barrier_wait -1
	s_and_saveexec_b32 s1, s36
	s_cbranch_execz .LBB112_356
; %bb.355:                              ;   in Loop: Header=BB112_3 Depth=1
	ds_load_b32 v25, v5 offset:10920
	s_wait_dscnt 0x0
	v_mul_f32_e32 v24, v24, v25
	s_delay_alu instid0(VALU_DEP_1)
	v_xor_b32_e32 v25, 0x80000000, v24
	ds_store_b32 v33, v25
.LBB112_356:                            ;   in Loop: Header=BB112_3 Depth=1
	s_or_b32 exec_lo, exec_lo, s1
	s_wait_dscnt 0x0
	s_barrier_signal -1
	s_barrier_wait -1
	s_and_saveexec_b32 s1, s37
	s_cbranch_execz .LBB112_358
; %bb.357:                              ;   in Loop: Header=BB112_3 Depth=1
	ds_load_b32 v25, v35 offset:10912
	ds_load_b32 v26, v33
	s_wait_dscnt 0x0
	v_fma_f32 v24, -v25, v26, v24
.LBB112_358:                            ;   in Loop: Header=BB112_3 Depth=1
	s_or_b32 exec_lo, exec_lo, s1
	s_barrier_signal -1
	s_barrier_wait -1
	s_and_saveexec_b32 s1, s38
	s_cbranch_execz .LBB112_360
; %bb.359:                              ;   in Loop: Header=BB112_3 Depth=1
	ds_load_b32 v25, v5 offset:10660
	s_wait_dscnt 0x0
	v_mul_f32_e32 v24, v24, v25
	s_delay_alu instid0(VALU_DEP_1)
	v_xor_b32_e32 v25, 0x80000000, v24
	ds_store_b32 v33, v25
.LBB112_360:                            ;   in Loop: Header=BB112_3 Depth=1
	s_or_b32 exec_lo, exec_lo, s1
	s_wait_dscnt 0x0
	s_barrier_signal -1
	s_barrier_wait -1
	s_and_saveexec_b32 s1, s39
	s_cbranch_execz .LBB112_362
; %bb.361:                              ;   in Loop: Header=BB112_3 Depth=1
	ds_load_b32 v25, v5 offset:10656
	ds_load_b32 v26, v33
	s_wait_dscnt 0x0
	v_fma_f32 v24, -v25, v26, v24
.LBB112_362:                            ;   in Loop: Header=BB112_3 Depth=1
	s_or_b32 exec_lo, exec_lo, s1
	s_barrier_signal -1
	s_barrier_wait -1
	s_and_saveexec_b32 s1, s39
	s_cbranch_execz .LBB112_364
; %bb.363:                              ;   in Loop: Header=BB112_3 Depth=1
	ds_load_b32 v25, v5 offset:10400
	s_wait_dscnt 0x0
	v_mul_f32_e32 v24, v24, v25
	s_delay_alu instid0(VALU_DEP_1)
	v_xor_b32_e32 v25, 0x80000000, v24
	ds_store_b32 v33, v25
.LBB112_364:                            ;   in Loop: Header=BB112_3 Depth=1
	s_or_b32 exec_lo, exec_lo, s1
	s_wait_dscnt 0x0
	s_barrier_signal -1
	s_barrier_wait -1
	s_barrier_signal -1
	s_barrier_wait -1
	s_and_saveexec_b32 s1, s3
; %bb.365:                              ;   in Loop: Header=BB112_3 Depth=1
	ds_store_b32 v36, v24 offset:12192
; %bb.366:                              ;   in Loop: Header=BB112_3 Depth=1
	s_or_b32 exec_lo, exec_lo, s1
	s_wait_dscnt 0x0
	s_barrier_signal -1
	s_barrier_wait -1
	s_barrier_signal -1
	s_barrier_wait -1
	s_and_saveexec_b32 s1, s15
	s_cbranch_execz .LBB112_368
; %bb.367:                              ;   in Loop: Header=BB112_3 Depth=1
	ds_load_b64 v[24:25], v5 offset:11176
	ds_load_b32 v26, v5 offset:10920
	s_wait_dscnt 0x0
	v_mul_f32_e32 v25, v26, v25
	s_delay_alu instid0(VALU_DEP_1)
	v_mul_f32_e32 v24, v24, v25
	ds_store_b32 v5, v24 offset:11176
.LBB112_368:                            ;   in Loop: Header=BB112_3 Depth=1
	s_or_b32 exec_lo, exec_lo, s1
	v_mov_b32_e32 v24, 0
	s_wait_dscnt 0x0
	s_barrier_signal -1
	s_barrier_wait -1
	global_wb scope:SCOPE_DEV
	s_wait_storecnt 0x0
	global_inv scope:SCOPE_DEV
	s_and_saveexec_b32 s1, s2
	s_cbranch_execz .LBB112_372
; %bb.369:                              ;   in Loop: Header=BB112_3 Depth=1
	ds_load_b32 v24, v30 offset:10912
	ds_load_b32 v25, v29 offset:11176
	s_wait_dscnt 0x0
	v_fma_f32 v24, v24, v25, 0
	s_and_saveexec_b32 s8, s16
	s_cbranch_execz .LBB112_371
; %bb.370:                              ;   in Loop: Header=BB112_3 Depth=1
	ds_load_b32 v25, v31 offset:11168
	ds_load_b32 v26, v5 offset:11180
	s_wait_dscnt 0x0
	v_fmac_f32_e32 v24, v25, v26
.LBB112_371:                            ;   in Loop: Header=BB112_3 Depth=1
	s_or_b32 exec_lo, exec_lo, s8
.LBB112_372:                            ;   in Loop: Header=BB112_3 Depth=1
	s_delay_alu instid0(SALU_CYCLE_1)
	s_or_b32 exec_lo, exec_lo, s1
	s_and_saveexec_b32 s1, s102
	s_cbranch_execz .LBB112_374
; %bb.373:                              ;   in Loop: Header=BB112_3 Depth=1
	ds_load_b32 v25, v5 offset:10660
	s_wait_dscnt 0x0
	v_mul_f32_e32 v24, v24, v25
	s_delay_alu instid0(VALU_DEP_1)
	v_xor_b32_e32 v25, 0x80000000, v24
	ds_store_b32 v3, v25
.LBB112_374:                            ;   in Loop: Header=BB112_3 Depth=1
	s_or_b32 exec_lo, exec_lo, s1
	s_wait_loadcnt_dscnt 0x0
	s_barrier_signal -1
	s_barrier_wait -1
	s_and_saveexec_b32 s1, s103
	s_cbranch_execz .LBB112_376
; %bb.375:                              ;   in Loop: Header=BB112_3 Depth=1
	ds_load_b32 v25, v5 offset:10656
	ds_load_b32 v26, v3
	s_wait_dscnt 0x0
	v_fma_f32 v24, -v25, v26, v24
.LBB112_376:                            ;   in Loop: Header=BB112_3 Depth=1
	s_or_b32 exec_lo, exec_lo, s1
	s_barrier_signal -1
	s_barrier_wait -1
	s_and_saveexec_b32 s1, s103
	s_cbranch_execz .LBB112_378
; %bb.377:                              ;   in Loop: Header=BB112_3 Depth=1
	ds_load_b32 v25, v5 offset:10400
	s_wait_dscnt 0x0
	v_mul_f32_e32 v24, v24, v25
	s_delay_alu instid0(VALU_DEP_1)
	v_xor_b32_e32 v25, 0x80000000, v24
	ds_store_b32 v3, v25
.LBB112_378:                            ;   in Loop: Header=BB112_3 Depth=1
	s_or_b32 exec_lo, exec_lo, s1
	s_wait_dscnt 0x0
	s_barrier_signal -1
	s_barrier_wait -1
	s_barrier_signal -1
	s_barrier_wait -1
	s_and_saveexec_b32 s1, s2
; %bb.379:                              ;   in Loop: Header=BB112_3 Depth=1
	ds_store_b32 v32, v24 offset:11168
; %bb.380:                              ;   in Loop: Header=BB112_3 Depth=1
	s_or_b32 exec_lo, exec_lo, s1
	s_wait_dscnt 0x0
	s_barrier_signal -1
	s_barrier_wait -1
	s_barrier_signal -1
	s_barrier_wait -1
	s_and_saveexec_b32 s1, s15
	s_cbranch_execz .LBB112_382
; %bb.381:                              ;   in Loop: Header=BB112_3 Depth=1
	ds_load_b64 v[24:25], v5 offset:10656
	ds_load_b32 v26, v5 offset:10400
	s_wait_dscnt 0x0
	v_mul_f32_e32 v25, v26, v25
	s_delay_alu instid0(VALU_DEP_1)
	v_mul_f32_e32 v24, v24, v25
	ds_store_b32 v5, v24 offset:10656
.LBB112_382:                            ;   in Loop: Header=BB112_3 Depth=1
	s_or_b32 exec_lo, exec_lo, s1
	v_mov_b32_e32 v24, 0
	s_wait_dscnt 0x0
	s_barrier_signal -1
	s_barrier_wait -1
	global_wb scope:SCOPE_DEV
	s_wait_storecnt 0x0
	global_inv scope:SCOPE_DEV
	s_and_saveexec_b32 s10, s4
	s_cbranch_execz .LBB112_392
; %bb.383:                              ;   in Loop: Header=BB112_3 Depth=1
	ds_load_b32 v24, v39 offset:10368
	ds_load_b32 v25, v38 offset:12192
	s_wait_dscnt 0x0
	v_fma_f32 v24, v24, v25, 0
	s_and_saveexec_b32 s1, s19
	s_cbranch_execnz .LBB112_1161
; %bb.384:                              ;   in Loop: Header=BB112_3 Depth=1
	s_or_b32 exec_lo, exec_lo, s1
	s_and_saveexec_b32 s1, s20
	s_cbranch_execnz .LBB112_1162
.LBB112_385:                            ;   in Loop: Header=BB112_3 Depth=1
	s_or_b32 exec_lo, exec_lo, s1
	s_and_saveexec_b32 s1, s21
	s_cbranch_execnz .LBB112_1163
.LBB112_386:                            ;   in Loop: Header=BB112_3 Depth=1
	s_or_b32 exec_lo, exec_lo, s1
	s_and_saveexec_b32 s1, s22
	s_cbranch_execnz .LBB112_1164
.LBB112_387:                            ;   in Loop: Header=BB112_3 Depth=1
	s_or_b32 exec_lo, exec_lo, s1
	s_and_saveexec_b32 s1, s23
	s_cbranch_execnz .LBB112_1165
.LBB112_388:                            ;   in Loop: Header=BB112_3 Depth=1
	s_or_b32 exec_lo, exec_lo, s1
	s_and_saveexec_b32 s1, s3
	s_cbranch_execnz .LBB112_1166
.LBB112_389:                            ;   in Loop: Header=BB112_3 Depth=1
	s_or_b32 exec_lo, exec_lo, s1
	s_and_saveexec_b32 s1, s18
	s_cbranch_execz .LBB112_391
.LBB112_390:                            ;   in Loop: Header=BB112_3 Depth=1
	ds_load_b32 v25, v31 offset:12160
	ds_load_b32 v26, v5 offset:12220
	s_wait_dscnt 0x0
	v_fmac_f32_e32 v24, v25, v26
.LBB112_391:                            ;   in Loop: Header=BB112_3 Depth=1
	s_or_b32 exec_lo, exec_lo, s1
.LBB112_392:                            ;   in Loop: Header=BB112_3 Depth=1
	s_delay_alu instid0(SALU_CYCLE_1)
	s_or_b32 exec_lo, exec_lo, s10
	s_and_saveexec_b32 s1, s40
	s_cbranch_execz .LBB112_394
; %bb.393:                              ;   in Loop: Header=BB112_3 Depth=1
	ds_load_b32 v25, v5 offset:10140
	s_wait_dscnt 0x0
	v_mul_f32_e32 v24, v24, v25
	s_delay_alu instid0(VALU_DEP_1)
	v_xor_b32_e32 v25, 0x80000000, v24
	ds_store_b32 v37, v25
.LBB112_394:                            ;   in Loop: Header=BB112_3 Depth=1
	s_or_b32 exec_lo, exec_lo, s1
	s_wait_loadcnt_dscnt 0x0
	s_barrier_signal -1
	s_barrier_wait -1
	s_and_saveexec_b32 s1, s41
	s_cbranch_execz .LBB112_396
; %bb.395:                              ;   in Loop: Header=BB112_3 Depth=1
	ds_load_b32 v25, v39 offset:10112
	ds_load_b32 v26, v37
	s_wait_dscnt 0x0
	v_fma_f32 v24, -v25, v26, v24
.LBB112_396:                            ;   in Loop: Header=BB112_3 Depth=1
	s_or_b32 exec_lo, exec_lo, s1
	s_barrier_signal -1
	s_barrier_wait -1
	s_and_saveexec_b32 s1, s42
	s_cbranch_execz .LBB112_398
; %bb.397:                              ;   in Loop: Header=BB112_3 Depth=1
	ds_load_b32 v25, v5 offset:9880
	s_wait_dscnt 0x0
	v_mul_f32_e32 v24, v24, v25
	s_delay_alu instid0(VALU_DEP_1)
	v_xor_b32_e32 v25, 0x80000000, v24
	ds_store_b32 v37, v25
.LBB112_398:                            ;   in Loop: Header=BB112_3 Depth=1
	s_or_b32 exec_lo, exec_lo, s1
	s_wait_dscnt 0x0
	s_barrier_signal -1
	s_barrier_wait -1
	s_and_saveexec_b32 s1, s43
	s_cbranch_execz .LBB112_400
; %bb.399:                              ;   in Loop: Header=BB112_3 Depth=1
	ds_load_b32 v25, v39 offset:9856
	ds_load_b32 v26, v37
	s_wait_dscnt 0x0
	v_fma_f32 v24, -v25, v26, v24
.LBB112_400:                            ;   in Loop: Header=BB112_3 Depth=1
	s_or_b32 exec_lo, exec_lo, s1
	s_barrier_signal -1
	s_barrier_wait -1
	s_and_saveexec_b32 s1, s44
	s_cbranch_execz .LBB112_402
; %bb.401:                              ;   in Loop: Header=BB112_3 Depth=1
	ds_load_b32 v25, v5 offset:9620
	s_wait_dscnt 0x0
	v_mul_f32_e32 v24, v24, v25
	s_delay_alu instid0(VALU_DEP_1)
	v_xor_b32_e32 v25, 0x80000000, v24
	ds_store_b32 v37, v25
.LBB112_402:                            ;   in Loop: Header=BB112_3 Depth=1
	s_or_b32 exec_lo, exec_lo, s1
	s_wait_dscnt 0x0
	;; [unrolled: 25-line block ×7, first 2 shown]
	s_barrier_signal -1
	s_barrier_wait -1
	s_barrier_signal -1
	s_barrier_wait -1
	s_and_saveexec_b32 s1, s4
; %bb.423:                              ;   in Loop: Header=BB112_3 Depth=1
	ds_store_b32 v40, v24 offset:12160
; %bb.424:                              ;   in Loop: Header=BB112_3 Depth=1
	s_or_b32 exec_lo, exec_lo, s1
	s_wait_dscnt 0x0
	s_barrier_signal -1
	s_barrier_wait -1
	s_barrier_signal -1
	s_barrier_wait -1
	s_and_saveexec_b32 s1, s15
	s_cbranch_execz .LBB112_426
; %bb.425:                              ;   in Loop: Header=BB112_3 Depth=1
	ds_load_b64 v[24:25], v5 offset:10136
	ds_load_b32 v26, v5 offset:9880
	s_wait_dscnt 0x0
	v_mul_f32_e32 v25, v26, v25
	s_delay_alu instid0(VALU_DEP_1)
	v_mul_f32_e32 v24, v24, v25
	ds_store_b32 v5, v24 offset:10136
.LBB112_426:                            ;   in Loop: Header=BB112_3 Depth=1
	s_or_b32 exec_lo, exec_lo, s1
	v_mov_b32_e32 v24, 0
	s_wait_dscnt 0x0
	s_barrier_signal -1
	s_barrier_wait -1
	global_wb scope:SCOPE_DEV
	s_wait_storecnt 0x0
	global_inv scope:SCOPE_DEV
	s_and_saveexec_b32 s1, s2
	s_cbranch_execz .LBB112_430
; %bb.427:                              ;   in Loop: Header=BB112_3 Depth=1
	ds_load_b32 v24, v30 offset:9872
	ds_load_b32 v25, v29 offset:10136
	s_wait_dscnt 0x0
	v_fma_f32 v24, v24, v25, 0
	s_and_saveexec_b32 s8, s16
	s_cbranch_execz .LBB112_429
; %bb.428:                              ;   in Loop: Header=BB112_3 Depth=1
	ds_load_b32 v25, v31 offset:10128
	ds_load_b32 v26, v5 offset:10140
	s_wait_dscnt 0x0
	v_fmac_f32_e32 v24, v25, v26
.LBB112_429:                            ;   in Loop: Header=BB112_3 Depth=1
	s_or_b32 exec_lo, exec_lo, s8
.LBB112_430:                            ;   in Loop: Header=BB112_3 Depth=1
	s_delay_alu instid0(SALU_CYCLE_1)
	s_or_b32 exec_lo, exec_lo, s1
	s_and_saveexec_b32 s1, s102
	s_cbranch_execz .LBB112_432
; %bb.431:                              ;   in Loop: Header=BB112_3 Depth=1
	ds_load_b32 v25, v5 offset:9620
	s_wait_dscnt 0x0
	v_mul_f32_e32 v24, v24, v25
	s_delay_alu instid0(VALU_DEP_1)
	v_xor_b32_e32 v25, 0x80000000, v24
	ds_store_b32 v3, v25
.LBB112_432:                            ;   in Loop: Header=BB112_3 Depth=1
	s_or_b32 exec_lo, exec_lo, s1
	s_wait_loadcnt_dscnt 0x0
	s_barrier_signal -1
	s_barrier_wait -1
	s_and_saveexec_b32 s1, s103
	s_cbranch_execz .LBB112_434
; %bb.433:                              ;   in Loop: Header=BB112_3 Depth=1
	ds_load_b32 v25, v5 offset:9616
	ds_load_b32 v26, v3
	s_wait_dscnt 0x0
	v_fma_f32 v24, -v25, v26, v24
.LBB112_434:                            ;   in Loop: Header=BB112_3 Depth=1
	s_or_b32 exec_lo, exec_lo, s1
	s_barrier_signal -1
	s_barrier_wait -1
	s_and_saveexec_b32 s1, s103
	s_cbranch_execz .LBB112_436
; %bb.435:                              ;   in Loop: Header=BB112_3 Depth=1
	ds_load_b32 v25, v5 offset:9360
	s_wait_dscnt 0x0
	v_mul_f32_e32 v24, v24, v25
	s_delay_alu instid0(VALU_DEP_1)
	v_xor_b32_e32 v25, 0x80000000, v24
	ds_store_b32 v3, v25
.LBB112_436:                            ;   in Loop: Header=BB112_3 Depth=1
	s_or_b32 exec_lo, exec_lo, s1
	s_wait_dscnt 0x0
	s_barrier_signal -1
	s_barrier_wait -1
	s_barrier_signal -1
	s_barrier_wait -1
	s_and_saveexec_b32 s1, s2
; %bb.437:                              ;   in Loop: Header=BB112_3 Depth=1
	ds_store_b32 v32, v24 offset:10128
; %bb.438:                              ;   in Loop: Header=BB112_3 Depth=1
	s_or_b32 exec_lo, exec_lo, s1
	s_wait_dscnt 0x0
	s_barrier_signal -1
	s_barrier_wait -1
	s_barrier_signal -1
	s_barrier_wait -1
	s_and_saveexec_b32 s1, s15
	s_cbranch_execz .LBB112_440
; %bb.439:                              ;   in Loop: Header=BB112_3 Depth=1
	ds_load_b64 v[24:25], v5 offset:9616
	ds_load_b32 v26, v5 offset:9360
	s_wait_dscnt 0x0
	v_mul_f32_e32 v25, v26, v25
	s_delay_alu instid0(VALU_DEP_1)
	v_mul_f32_e32 v24, v24, v25
	ds_store_b32 v5, v24 offset:9616
.LBB112_440:                            ;   in Loop: Header=BB112_3 Depth=1
	s_or_b32 exec_lo, exec_lo, s1
	v_mov_b32_e32 v24, 0
	s_wait_dscnt 0x0
	s_barrier_signal -1
	s_barrier_wait -1
	global_wb scope:SCOPE_DEV
	s_wait_storecnt 0x0
	global_inv scope:SCOPE_DEV
	s_and_saveexec_b32 s10, s3
	s_cbranch_execz .LBB112_446
; %bb.441:                              ;   in Loop: Header=BB112_3 Depth=1
	ds_load_b32 v24, v35 offset:9344
	ds_load_b32 v25, v34 offset:10128
	s_wait_dscnt 0x0
	v_fma_f32 v24, v24, v25, 0
	s_and_saveexec_b32 s1, s17
	s_cbranch_execnz .LBB112_1167
; %bb.442:                              ;   in Loop: Header=BB112_3 Depth=1
	s_or_b32 exec_lo, exec_lo, s1
	s_and_saveexec_b32 s1, s18
	s_cbranch_execnz .LBB112_1168
.LBB112_443:                            ;   in Loop: Header=BB112_3 Depth=1
	s_or_b32 exec_lo, exec_lo, s1
	s_and_saveexec_b32 s1, s2
	s_cbranch_execz .LBB112_445
.LBB112_444:                            ;   in Loop: Header=BB112_3 Depth=1
	ds_load_b32 v25, v31 offset:10112
	ds_load_b32 v26, v5 offset:10140
	s_wait_dscnt 0x0
	v_fmac_f32_e32 v24, v25, v26
.LBB112_445:                            ;   in Loop: Header=BB112_3 Depth=1
	s_or_b32 exec_lo, exec_lo, s1
.LBB112_446:                            ;   in Loop: Header=BB112_3 Depth=1
	s_delay_alu instid0(SALU_CYCLE_1)
	s_or_b32 exec_lo, exec_lo, s10
	s_and_saveexec_b32 s1, s104
	s_cbranch_execz .LBB112_448
; %bb.447:                              ;   in Loop: Header=BB112_3 Depth=1
	ds_load_b32 v25, v5 offset:9100
	s_wait_dscnt 0x0
	v_mul_f32_e32 v24, v24, v25
	s_delay_alu instid0(VALU_DEP_1)
	v_xor_b32_e32 v25, 0x80000000, v24
	ds_store_b32 v33, v25
.LBB112_448:                            ;   in Loop: Header=BB112_3 Depth=1
	s_or_b32 exec_lo, exec_lo, s1
	s_wait_loadcnt_dscnt 0x0
	s_barrier_signal -1
	s_barrier_wait -1
	s_and_saveexec_b32 s1, vcc_hi
	s_cbranch_execz .LBB112_450
; %bb.449:                              ;   in Loop: Header=BB112_3 Depth=1
	ds_load_b32 v25, v35 offset:9088
	ds_load_b32 v26, v33
	s_wait_dscnt 0x0
	v_fma_f32 v24, -v25, v26, v24
.LBB112_450:                            ;   in Loop: Header=BB112_3 Depth=1
	s_or_b32 exec_lo, exec_lo, s1
	s_barrier_signal -1
	s_barrier_wait -1
	s_and_saveexec_b32 s1, s36
	s_cbranch_execz .LBB112_452
; %bb.451:                              ;   in Loop: Header=BB112_3 Depth=1
	ds_load_b32 v25, v5 offset:8840
	s_wait_dscnt 0x0
	v_mul_f32_e32 v24, v24, v25
	s_delay_alu instid0(VALU_DEP_1)
	v_xor_b32_e32 v25, 0x80000000, v24
	ds_store_b32 v33, v25
.LBB112_452:                            ;   in Loop: Header=BB112_3 Depth=1
	s_or_b32 exec_lo, exec_lo, s1
	s_wait_dscnt 0x0
	s_barrier_signal -1
	s_barrier_wait -1
	s_and_saveexec_b32 s1, s37
	s_cbranch_execz .LBB112_454
; %bb.453:                              ;   in Loop: Header=BB112_3 Depth=1
	ds_load_b32 v25, v35 offset:8832
	ds_load_b32 v26, v33
	s_wait_dscnt 0x0
	v_fma_f32 v24, -v25, v26, v24
.LBB112_454:                            ;   in Loop: Header=BB112_3 Depth=1
	s_or_b32 exec_lo, exec_lo, s1
	s_barrier_signal -1
	s_barrier_wait -1
	s_and_saveexec_b32 s1, s38
	s_cbranch_execz .LBB112_456
; %bb.455:                              ;   in Loop: Header=BB112_3 Depth=1
	ds_load_b32 v25, v5 offset:8580
	s_wait_dscnt 0x0
	v_mul_f32_e32 v24, v24, v25
	s_delay_alu instid0(VALU_DEP_1)
	v_xor_b32_e32 v25, 0x80000000, v24
	ds_store_b32 v33, v25
.LBB112_456:                            ;   in Loop: Header=BB112_3 Depth=1
	s_or_b32 exec_lo, exec_lo, s1
	s_wait_dscnt 0x0
	s_barrier_signal -1
	s_barrier_wait -1
	s_and_saveexec_b32 s1, s39
	s_cbranch_execz .LBB112_458
; %bb.457:                              ;   in Loop: Header=BB112_3 Depth=1
	ds_load_b32 v25, v5 offset:8576
	ds_load_b32 v26, v33
	s_wait_dscnt 0x0
	v_fma_f32 v24, -v25, v26, v24
.LBB112_458:                            ;   in Loop: Header=BB112_3 Depth=1
	s_or_b32 exec_lo, exec_lo, s1
	s_barrier_signal -1
	s_barrier_wait -1
	s_and_saveexec_b32 s1, s39
	s_cbranch_execz .LBB112_460
; %bb.459:                              ;   in Loop: Header=BB112_3 Depth=1
	ds_load_b32 v25, v5 offset:8320
	s_wait_dscnt 0x0
	v_mul_f32_e32 v24, v24, v25
	s_delay_alu instid0(VALU_DEP_1)
	v_xor_b32_e32 v25, 0x80000000, v24
	ds_store_b32 v33, v25
.LBB112_460:                            ;   in Loop: Header=BB112_3 Depth=1
	s_or_b32 exec_lo, exec_lo, s1
	s_wait_dscnt 0x0
	s_barrier_signal -1
	s_barrier_wait -1
	s_barrier_signal -1
	s_barrier_wait -1
	s_and_saveexec_b32 s1, s3
; %bb.461:                              ;   in Loop: Header=BB112_3 Depth=1
	ds_store_b32 v36, v24 offset:10112
; %bb.462:                              ;   in Loop: Header=BB112_3 Depth=1
	s_or_b32 exec_lo, exec_lo, s1
	s_wait_dscnt 0x0
	s_barrier_signal -1
	s_barrier_wait -1
	s_barrier_signal -1
	s_barrier_wait -1
	s_and_saveexec_b32 s1, s15
	s_cbranch_execz .LBB112_464
; %bb.463:                              ;   in Loop: Header=BB112_3 Depth=1
	ds_load_b64 v[24:25], v5 offset:9096
	ds_load_b32 v26, v5 offset:8840
	s_wait_dscnt 0x0
	v_mul_f32_e32 v25, v26, v25
	s_delay_alu instid0(VALU_DEP_1)
	v_mul_f32_e32 v24, v24, v25
	ds_store_b32 v5, v24 offset:9096
.LBB112_464:                            ;   in Loop: Header=BB112_3 Depth=1
	s_or_b32 exec_lo, exec_lo, s1
	v_mov_b32_e32 v24, 0
	s_wait_dscnt 0x0
	s_barrier_signal -1
	s_barrier_wait -1
	global_wb scope:SCOPE_DEV
	s_wait_storecnt 0x0
	global_inv scope:SCOPE_DEV
	s_and_saveexec_b32 s1, s2
	s_cbranch_execz .LBB112_468
; %bb.465:                              ;   in Loop: Header=BB112_3 Depth=1
	ds_load_b32 v24, v30 offset:8832
	ds_load_b32 v25, v29 offset:9096
	s_wait_dscnt 0x0
	v_fma_f32 v24, v24, v25, 0
	s_and_saveexec_b32 s8, s16
	s_cbranch_execz .LBB112_467
; %bb.466:                              ;   in Loop: Header=BB112_3 Depth=1
	ds_load_b32 v25, v31 offset:9088
	ds_load_b32 v26, v5 offset:9100
	s_wait_dscnt 0x0
	v_fmac_f32_e32 v24, v25, v26
.LBB112_467:                            ;   in Loop: Header=BB112_3 Depth=1
	s_or_b32 exec_lo, exec_lo, s8
.LBB112_468:                            ;   in Loop: Header=BB112_3 Depth=1
	s_delay_alu instid0(SALU_CYCLE_1)
	s_or_b32 exec_lo, exec_lo, s1
	s_and_saveexec_b32 s1, s102
	s_cbranch_execz .LBB112_470
; %bb.469:                              ;   in Loop: Header=BB112_3 Depth=1
	ds_load_b32 v25, v5 offset:8580
	s_wait_dscnt 0x0
	v_mul_f32_e32 v24, v24, v25
	s_delay_alu instid0(VALU_DEP_1)
	v_xor_b32_e32 v25, 0x80000000, v24
	ds_store_b32 v3, v25
.LBB112_470:                            ;   in Loop: Header=BB112_3 Depth=1
	s_or_b32 exec_lo, exec_lo, s1
	s_wait_loadcnt_dscnt 0x0
	s_barrier_signal -1
	s_barrier_wait -1
	s_and_saveexec_b32 s1, s103
	s_cbranch_execz .LBB112_472
; %bb.471:                              ;   in Loop: Header=BB112_3 Depth=1
	ds_load_b32 v25, v5 offset:8576
	ds_load_b32 v26, v3
	s_wait_dscnt 0x0
	v_fma_f32 v24, -v25, v26, v24
.LBB112_472:                            ;   in Loop: Header=BB112_3 Depth=1
	s_or_b32 exec_lo, exec_lo, s1
	s_barrier_signal -1
	s_barrier_wait -1
	s_and_saveexec_b32 s1, s103
	s_cbranch_execz .LBB112_474
; %bb.473:                              ;   in Loop: Header=BB112_3 Depth=1
	ds_load_b32 v25, v5 offset:8320
	s_wait_dscnt 0x0
	v_mul_f32_e32 v24, v24, v25
	s_delay_alu instid0(VALU_DEP_1)
	v_xor_b32_e32 v25, 0x80000000, v24
	ds_store_b32 v3, v25
.LBB112_474:                            ;   in Loop: Header=BB112_3 Depth=1
	s_or_b32 exec_lo, exec_lo, s1
	s_wait_dscnt 0x0
	s_barrier_signal -1
	s_barrier_wait -1
	s_barrier_signal -1
	s_barrier_wait -1
	s_and_saveexec_b32 s1, s2
; %bb.475:                              ;   in Loop: Header=BB112_3 Depth=1
	ds_store_b32 v32, v24 offset:9088
; %bb.476:                              ;   in Loop: Header=BB112_3 Depth=1
	s_or_b32 exec_lo, exec_lo, s1
	s_wait_dscnt 0x0
	s_barrier_signal -1
	s_barrier_wait -1
	s_barrier_signal -1
	s_barrier_wait -1
	s_and_saveexec_b32 s1, s15
	s_cbranch_execz .LBB112_478
; %bb.477:                              ;   in Loop: Header=BB112_3 Depth=1
	ds_load_b64 v[24:25], v5 offset:8576
	ds_load_b32 v26, v5 offset:8320
	s_wait_dscnt 0x0
	v_mul_f32_e32 v25, v26, v25
	s_delay_alu instid0(VALU_DEP_1)
	v_mul_f32_e32 v24, v24, v25
	ds_store_b32 v5, v24 offset:8576
.LBB112_478:                            ;   in Loop: Header=BB112_3 Depth=1
	s_or_b32 exec_lo, exec_lo, s1
	v_mov_b32_e32 v24, 0
	s_wait_dscnt 0x0
	s_barrier_signal -1
	s_barrier_wait -1
	global_wb scope:SCOPE_DEV
	s_wait_storecnt 0x0
	global_inv scope:SCOPE_DEV
	s_and_saveexec_b32 s94, s6
	s_cbranch_execz .LBB112_540
; %bb.479:                              ;   in Loop: Header=BB112_3 Depth=1
	ds_load_b32 v24, v47 offset:8192
	ds_load_b32 v25, v46 offset:16256
	s_wait_dscnt 0x0
	v_fma_f32 v24, v24, v25, 0
	s_mov_b32 s1, exec_lo
	v_readlane_b32 s8, v71, 5
	s_and_b32 s8, s1, s8
	s_delay_alu instid0(SALU_CYCLE_1)
	s_mov_b32 exec_lo, s8
	s_cbranch_execz .LBB112_481
; %bb.480:                              ;   in Loop: Header=BB112_3 Depth=1
	ds_load_b32 v25, v47 offset:8448
	ds_load_b32 v26, v46 offset:16260
	s_wait_dscnt 0x0
	v_fmac_f32_e32 v24, v25, v26
.LBB112_481:                            ;   in Loop: Header=BB112_3 Depth=1
	s_or_b32 exec_lo, exec_lo, s1
	s_delay_alu instid0(SALU_CYCLE_1) | instskip(SKIP_2) | instid1(SALU_CYCLE_1)
	s_mov_b32 s1, exec_lo
	v_readlane_b32 s8, v71, 6
	s_and_b32 s8, s1, s8
	s_mov_b32 exec_lo, s8
	s_cbranch_execz .LBB112_483
; %bb.482:                              ;   in Loop: Header=BB112_3 Depth=1
	ds_load_b32 v25, v47 offset:8704
	ds_load_b32 v26, v46 offset:16264
	s_wait_dscnt 0x0
	v_fmac_f32_e32 v24, v25, v26
.LBB112_483:                            ;   in Loop: Header=BB112_3 Depth=1
	s_or_b32 exec_lo, exec_lo, s1
	s_delay_alu instid0(SALU_CYCLE_1) | instskip(SKIP_2) | instid1(SALU_CYCLE_1)
	s_mov_b32 s1, exec_lo
	v_readlane_b32 s8, v71, 7
	s_and_b32 s8, s1, s8
	;; [unrolled: 13-line block ×22, first 2 shown]
	s_mov_b32 exec_lo, s8
	s_cbranch_execz .LBB112_525
; %bb.524:                              ;   in Loop: Header=BB112_3 Depth=1
	ds_load_b32 v25, v47 offset:14080
	ds_load_b32 v26, v46 offset:16348
	s_wait_dscnt 0x0
	v_fmac_f32_e32 v24, v25, v26
.LBB112_525:                            ;   in Loop: Header=BB112_3 Depth=1
	s_or_b32 exec_lo, exec_lo, s1
	s_and_saveexec_b32 s1, s5
	s_cbranch_execz .LBB112_527
; %bb.526:                              ;   in Loop: Header=BB112_3 Depth=1
	ds_load_b32 v25, v47 offset:14336
	ds_load_b32 v26, v46 offset:16352
	s_wait_dscnt 0x0
	v_fmac_f32_e32 v24, v25, v26
.LBB112_527:                            ;   in Loop: Header=BB112_3 Depth=1
	s_or_b32 exec_lo, exec_lo, s1
	s_delay_alu instid0(SALU_CYCLE_1) | instskip(SKIP_2) | instid1(SALU_CYCLE_1)
	s_mov_b32 s1, exec_lo
	v_readlane_b32 s8, v72, 27
	s_and_b32 s8, s1, s8
	s_mov_b32 exec_lo, s8
	s_cbranch_execz .LBB112_529
; %bb.528:                              ;   in Loop: Header=BB112_3 Depth=1
	ds_load_b32 v25, v47 offset:14592
	ds_load_b32 v26, v46 offset:16356
	s_wait_dscnt 0x0
	v_fmac_f32_e32 v24, v25, v26
.LBB112_529:                            ;   in Loop: Header=BB112_3 Depth=1
	s_or_b32 exec_lo, exec_lo, s1
	s_delay_alu instid0(SALU_CYCLE_1) | instskip(SKIP_2) | instid1(SALU_CYCLE_1)
	s_mov_b32 s1, exec_lo
	v_readlane_b32 s8, v72, 29
	s_and_b32 s8, s1, s8
	s_mov_b32 exec_lo, s8
	;; [unrolled: 13-line block ×5, first 2 shown]
	s_cbranch_execnz .LBB112_1169
; %bb.536:                              ;   in Loop: Header=BB112_3 Depth=1
	s_or_b32 exec_lo, exec_lo, s1
	s_and_saveexec_b32 s1, s4
	s_cbranch_execnz .LBB112_1170
.LBB112_537:                            ;   in Loop: Header=BB112_3 Depth=1
	s_or_b32 exec_lo, exec_lo, s1
	s_and_saveexec_b32 s1, s22
	s_cbranch_execz .LBB112_539
.LBB112_538:                            ;   in Loop: Header=BB112_3 Depth=1
	ds_load_b32 v25, v31 offset:16128
	ds_load_b32 v26, v5 offset:16380
	s_wait_dscnt 0x0
	v_fmac_f32_e32 v24, v25, v26
.LBB112_539:                            ;   in Loop: Header=BB112_3 Depth=1
	s_or_b32 exec_lo, exec_lo, s1
.LBB112_540:                            ;   in Loop: Header=BB112_3 Depth=1
	s_delay_alu instid0(SALU_CYCLE_1) | instskip(NEXT) | instid1(SALU_CYCLE_1)
	s_or_b32 exec_lo, exec_lo, s94
	s_mov_b32 s1, exec_lo
	v_readlane_b32 s8, v74, 7
	s_and_b32 s8, s1, s8
	s_delay_alu instid0(SALU_CYCLE_1)
	s_mov_b32 exec_lo, s8
	s_cbranch_execz .LBB112_542
; %bb.541:                              ;   in Loop: Header=BB112_3 Depth=1
	ds_load_b32 v25, v5 offset:8060
	s_wait_dscnt 0x0
	v_mul_f32_e32 v24, v24, v25
	s_delay_alu instid0(VALU_DEP_1)
	v_xor_b32_e32 v25, 0x80000000, v24
	ds_store_b32 v45, v25
.LBB112_542:                            ;   in Loop: Header=BB112_3 Depth=1
	s_or_b32 exec_lo, exec_lo, s1
	s_wait_loadcnt_dscnt 0x0
	s_barrier_signal -1
	s_barrier_wait -1
	s_mov_b32 s1, exec_lo
	v_readlane_b32 s8, v74, 8
	s_and_b32 s8, s1, s8
	s_delay_alu instid0(SALU_CYCLE_1)
	s_mov_b32 exec_lo, s8
	s_cbranch_execz .LBB112_544
; %bb.543:                              ;   in Loop: Header=BB112_3 Depth=1
	ds_load_b32 v25, v47 offset:7936
	ds_load_b32 v26, v45
	s_wait_dscnt 0x0
	v_fma_f32 v24, -v25, v26, v24
.LBB112_544:                            ;   in Loop: Header=BB112_3 Depth=1
	s_or_b32 exec_lo, exec_lo, s1
	s_barrier_signal -1
	s_barrier_wait -1
	s_mov_b32 s1, exec_lo
	v_readlane_b32 s8, v74, 9
	s_and_b32 s8, s1, s8
	s_delay_alu instid0(SALU_CYCLE_1)
	s_mov_b32 exec_lo, s8
	s_cbranch_execz .LBB112_546
; %bb.545:                              ;   in Loop: Header=BB112_3 Depth=1
	ds_load_b32 v25, v5 offset:7800
	s_wait_dscnt 0x0
	v_mul_f32_e32 v24, v24, v25
	s_delay_alu instid0(VALU_DEP_1)
	v_xor_b32_e32 v25, 0x80000000, v24
	ds_store_b32 v45, v25
.LBB112_546:                            ;   in Loop: Header=BB112_3 Depth=1
	s_or_b32 exec_lo, exec_lo, s1
	s_wait_dscnt 0x0
	s_barrier_signal -1
	s_barrier_wait -1
	s_mov_b32 s1, exec_lo
	v_readlane_b32 s8, v74, 10
	s_and_b32 s8, s1, s8
	s_delay_alu instid0(SALU_CYCLE_1)
	s_mov_b32 exec_lo, s8
	s_cbranch_execz .LBB112_548
; %bb.547:                              ;   in Loop: Header=BB112_3 Depth=1
	ds_load_b32 v25, v47 offset:7680
	ds_load_b32 v26, v45
	s_wait_dscnt 0x0
	v_fma_f32 v24, -v25, v26, v24
.LBB112_548:                            ;   in Loop: Header=BB112_3 Depth=1
	s_or_b32 exec_lo, exec_lo, s1
	s_barrier_signal -1
	s_barrier_wait -1
	s_mov_b32 s1, exec_lo
	v_readlane_b32 s8, v74, 11
	s_and_b32 s8, s1, s8
	s_delay_alu instid0(SALU_CYCLE_1)
	s_mov_b32 exec_lo, s8
	s_cbranch_execz .LBB112_550
; %bb.549:                              ;   in Loop: Header=BB112_3 Depth=1
	ds_load_b32 v25, v5 offset:7540
	s_wait_dscnt 0x0
	v_mul_f32_e32 v24, v24, v25
	s_delay_alu instid0(VALU_DEP_1)
	v_xor_b32_e32 v25, 0x80000000, v24
	ds_store_b32 v45, v25
.LBB112_550:                            ;   in Loop: Header=BB112_3 Depth=1
	s_or_b32 exec_lo, exec_lo, s1
	s_wait_dscnt 0x0
	;; [unrolled: 33-line block ×30, first 2 shown]
	s_barrier_signal -1
	s_barrier_wait -1
	s_and_saveexec_b32 s1, s13
	s_cbranch_execz .LBB112_664
; %bb.663:                              ;   in Loop: Header=BB112_3 Depth=1
	ds_load_b32 v25, v5 offset:256
	ds_load_b32 v26, v45
	s_wait_dscnt 0x0
	v_fma_f32 v24, -v25, v26, v24
.LBB112_664:                            ;   in Loop: Header=BB112_3 Depth=1
	s_or_b32 exec_lo, exec_lo, s1
	s_barrier_signal -1
	s_barrier_wait -1
	s_and_saveexec_b32 s1, s13
	s_cbranch_execz .LBB112_666
; %bb.665:                              ;   in Loop: Header=BB112_3 Depth=1
	ds_load_b32 v25, v5
	s_wait_dscnt 0x0
	v_mul_f32_e32 v24, v24, v25
	s_delay_alu instid0(VALU_DEP_1)
	v_xor_b32_e32 v25, 0x80000000, v24
	ds_store_b32 v45, v25
.LBB112_666:                            ;   in Loop: Header=BB112_3 Depth=1
	s_or_b32 exec_lo, exec_lo, s1
	s_wait_dscnt 0x0
	s_barrier_signal -1
	s_barrier_wait -1
	s_barrier_signal -1
	s_barrier_wait -1
	s_and_saveexec_b32 s1, s6
; %bb.667:                              ;   in Loop: Header=BB112_3 Depth=1
	ds_store_b32 v48, v24 offset:16128
; %bb.668:                              ;   in Loop: Header=BB112_3 Depth=1
	s_or_b32 exec_lo, exec_lo, s1
	s_wait_dscnt 0x0
	s_barrier_signal -1
	s_barrier_wait -1
	s_barrier_signal -1
	s_barrier_wait -1
	s_and_saveexec_b32 s1, s15
	s_cbranch_execz .LBB112_670
; %bb.669:                              ;   in Loop: Header=BB112_3 Depth=1
	ds_load_b64 v[24:25], v5 offset:8056
	ds_load_b32 v26, v5 offset:7800
	s_wait_dscnt 0x0
	v_mul_f32_e32 v25, v26, v25
	s_delay_alu instid0(VALU_DEP_1)
	v_mul_f32_e32 v24, v24, v25
	ds_store_b32 v5, v24 offset:8056
.LBB112_670:                            ;   in Loop: Header=BB112_3 Depth=1
	s_or_b32 exec_lo, exec_lo, s1
	v_mov_b32_e32 v24, 0
	s_wait_dscnt 0x0
	s_barrier_signal -1
	s_barrier_wait -1
	global_wb scope:SCOPE_DEV
	s_wait_storecnt 0x0
	global_inv scope:SCOPE_DEV
	s_and_saveexec_b32 s1, s2
	s_cbranch_execz .LBB112_674
; %bb.671:                              ;   in Loop: Header=BB112_3 Depth=1
	ds_load_b32 v24, v30 offset:7792
	ds_load_b32 v25, v29 offset:8056
	s_wait_dscnt 0x0
	v_fma_f32 v24, v24, v25, 0
	s_and_saveexec_b32 s8, s16
	s_cbranch_execz .LBB112_673
; %bb.672:                              ;   in Loop: Header=BB112_3 Depth=1
	ds_load_b32 v25, v31 offset:8048
	ds_load_b32 v26, v5 offset:8060
	s_wait_dscnt 0x0
	v_fmac_f32_e32 v24, v25, v26
.LBB112_673:                            ;   in Loop: Header=BB112_3 Depth=1
	s_or_b32 exec_lo, exec_lo, s8
.LBB112_674:                            ;   in Loop: Header=BB112_3 Depth=1
	s_delay_alu instid0(SALU_CYCLE_1)
	s_or_b32 exec_lo, exec_lo, s1
	s_and_saveexec_b32 s1, s102
	s_cbranch_execz .LBB112_676
; %bb.675:                              ;   in Loop: Header=BB112_3 Depth=1
	ds_load_b32 v25, v5 offset:7540
	s_wait_dscnt 0x0
	v_mul_f32_e32 v24, v24, v25
	s_delay_alu instid0(VALU_DEP_1)
	v_xor_b32_e32 v25, 0x80000000, v24
	ds_store_b32 v3, v25
.LBB112_676:                            ;   in Loop: Header=BB112_3 Depth=1
	s_or_b32 exec_lo, exec_lo, s1
	s_wait_loadcnt_dscnt 0x0
	s_barrier_signal -1
	s_barrier_wait -1
	s_and_saveexec_b32 s1, s103
	s_cbranch_execz .LBB112_678
; %bb.677:                              ;   in Loop: Header=BB112_3 Depth=1
	ds_load_b32 v25, v5 offset:7536
	ds_load_b32 v26, v3
	s_wait_dscnt 0x0
	v_fma_f32 v24, -v25, v26, v24
.LBB112_678:                            ;   in Loop: Header=BB112_3 Depth=1
	s_or_b32 exec_lo, exec_lo, s1
	s_barrier_signal -1
	s_barrier_wait -1
	s_and_saveexec_b32 s1, s103
	s_cbranch_execz .LBB112_680
; %bb.679:                              ;   in Loop: Header=BB112_3 Depth=1
	ds_load_b32 v25, v5 offset:7280
	s_wait_dscnt 0x0
	v_mul_f32_e32 v24, v24, v25
	s_delay_alu instid0(VALU_DEP_1)
	v_xor_b32_e32 v25, 0x80000000, v24
	ds_store_b32 v3, v25
.LBB112_680:                            ;   in Loop: Header=BB112_3 Depth=1
	s_or_b32 exec_lo, exec_lo, s1
	s_wait_dscnt 0x0
	s_barrier_signal -1
	s_barrier_wait -1
	s_barrier_signal -1
	s_barrier_wait -1
	s_and_saveexec_b32 s1, s2
; %bb.681:                              ;   in Loop: Header=BB112_3 Depth=1
	ds_store_b32 v32, v24 offset:8048
; %bb.682:                              ;   in Loop: Header=BB112_3 Depth=1
	s_or_b32 exec_lo, exec_lo, s1
	s_wait_dscnt 0x0
	s_barrier_signal -1
	s_barrier_wait -1
	s_barrier_signal -1
	s_barrier_wait -1
	s_and_saveexec_b32 s1, s15
	s_cbranch_execz .LBB112_684
; %bb.683:                              ;   in Loop: Header=BB112_3 Depth=1
	ds_load_b64 v[24:25], v5 offset:7536
	ds_load_b32 v26, v5 offset:7280
	s_wait_dscnt 0x0
	v_mul_f32_e32 v25, v26, v25
	s_delay_alu instid0(VALU_DEP_1)
	v_mul_f32_e32 v24, v24, v25
	ds_store_b32 v5, v24 offset:7536
.LBB112_684:                            ;   in Loop: Header=BB112_3 Depth=1
	s_or_b32 exec_lo, exec_lo, s1
	v_mov_b32_e32 v24, 0
	s_wait_dscnt 0x0
	s_barrier_signal -1
	s_barrier_wait -1
	global_wb scope:SCOPE_DEV
	s_wait_storecnt 0x0
	global_inv scope:SCOPE_DEV
	s_and_saveexec_b32 s10, s3
	s_cbranch_execz .LBB112_690
; %bb.685:                              ;   in Loop: Header=BB112_3 Depth=1
	ds_load_b32 v24, v35 offset:7264
	ds_load_b32 v25, v34 offset:8048
	s_wait_dscnt 0x0
	v_fma_f32 v24, v24, v25, 0
	s_and_saveexec_b32 s1, s17
	s_cbranch_execnz .LBB112_1171
; %bb.686:                              ;   in Loop: Header=BB112_3 Depth=1
	s_or_b32 exec_lo, exec_lo, s1
	s_and_saveexec_b32 s1, s18
	s_cbranch_execnz .LBB112_1172
.LBB112_687:                            ;   in Loop: Header=BB112_3 Depth=1
	s_or_b32 exec_lo, exec_lo, s1
	s_and_saveexec_b32 s1, s2
	s_cbranch_execz .LBB112_689
.LBB112_688:                            ;   in Loop: Header=BB112_3 Depth=1
	ds_load_b32 v25, v31 offset:8032
	ds_load_b32 v26, v5 offset:8060
	s_wait_dscnt 0x0
	v_fmac_f32_e32 v24, v25, v26
.LBB112_689:                            ;   in Loop: Header=BB112_3 Depth=1
	s_or_b32 exec_lo, exec_lo, s1
.LBB112_690:                            ;   in Loop: Header=BB112_3 Depth=1
	s_delay_alu instid0(SALU_CYCLE_1)
	s_or_b32 exec_lo, exec_lo, s10
	s_and_saveexec_b32 s1, s104
	s_cbranch_execz .LBB112_692
; %bb.691:                              ;   in Loop: Header=BB112_3 Depth=1
	ds_load_b32 v25, v5 offset:7020
	s_wait_dscnt 0x0
	v_mul_f32_e32 v24, v24, v25
	s_delay_alu instid0(VALU_DEP_1)
	v_xor_b32_e32 v25, 0x80000000, v24
	ds_store_b32 v33, v25
.LBB112_692:                            ;   in Loop: Header=BB112_3 Depth=1
	s_or_b32 exec_lo, exec_lo, s1
	s_wait_loadcnt_dscnt 0x0
	s_barrier_signal -1
	s_barrier_wait -1
	s_and_saveexec_b32 s1, vcc_hi
	s_cbranch_execz .LBB112_694
; %bb.693:                              ;   in Loop: Header=BB112_3 Depth=1
	ds_load_b32 v25, v35 offset:7008
	ds_load_b32 v26, v33
	s_wait_dscnt 0x0
	v_fma_f32 v24, -v25, v26, v24
.LBB112_694:                            ;   in Loop: Header=BB112_3 Depth=1
	s_or_b32 exec_lo, exec_lo, s1
	s_barrier_signal -1
	s_barrier_wait -1
	s_and_saveexec_b32 s1, s36
	s_cbranch_execz .LBB112_696
; %bb.695:                              ;   in Loop: Header=BB112_3 Depth=1
	ds_load_b32 v25, v5 offset:6760
	s_wait_dscnt 0x0
	v_mul_f32_e32 v24, v24, v25
	s_delay_alu instid0(VALU_DEP_1)
	v_xor_b32_e32 v25, 0x80000000, v24
	ds_store_b32 v33, v25
.LBB112_696:                            ;   in Loop: Header=BB112_3 Depth=1
	s_or_b32 exec_lo, exec_lo, s1
	s_wait_dscnt 0x0
	s_barrier_signal -1
	s_barrier_wait -1
	s_and_saveexec_b32 s1, s37
	s_cbranch_execz .LBB112_698
; %bb.697:                              ;   in Loop: Header=BB112_3 Depth=1
	ds_load_b32 v25, v35 offset:6752
	ds_load_b32 v26, v33
	s_wait_dscnt 0x0
	v_fma_f32 v24, -v25, v26, v24
.LBB112_698:                            ;   in Loop: Header=BB112_3 Depth=1
	s_or_b32 exec_lo, exec_lo, s1
	s_barrier_signal -1
	s_barrier_wait -1
	s_and_saveexec_b32 s1, s38
	s_cbranch_execz .LBB112_700
; %bb.699:                              ;   in Loop: Header=BB112_3 Depth=1
	ds_load_b32 v25, v5 offset:6500
	s_wait_dscnt 0x0
	v_mul_f32_e32 v24, v24, v25
	s_delay_alu instid0(VALU_DEP_1)
	v_xor_b32_e32 v25, 0x80000000, v24
	ds_store_b32 v33, v25
.LBB112_700:                            ;   in Loop: Header=BB112_3 Depth=1
	s_or_b32 exec_lo, exec_lo, s1
	s_wait_dscnt 0x0
	s_barrier_signal -1
	s_barrier_wait -1
	s_and_saveexec_b32 s1, s39
	s_cbranch_execz .LBB112_702
; %bb.701:                              ;   in Loop: Header=BB112_3 Depth=1
	ds_load_b32 v25, v5 offset:6496
	ds_load_b32 v26, v33
	s_wait_dscnt 0x0
	v_fma_f32 v24, -v25, v26, v24
.LBB112_702:                            ;   in Loop: Header=BB112_3 Depth=1
	s_or_b32 exec_lo, exec_lo, s1
	s_barrier_signal -1
	s_barrier_wait -1
	s_and_saveexec_b32 s1, s39
	s_cbranch_execz .LBB112_704
; %bb.703:                              ;   in Loop: Header=BB112_3 Depth=1
	ds_load_b32 v25, v5 offset:6240
	s_wait_dscnt 0x0
	v_mul_f32_e32 v24, v24, v25
	s_delay_alu instid0(VALU_DEP_1)
	v_xor_b32_e32 v25, 0x80000000, v24
	ds_store_b32 v33, v25
.LBB112_704:                            ;   in Loop: Header=BB112_3 Depth=1
	s_or_b32 exec_lo, exec_lo, s1
	s_wait_dscnt 0x0
	s_barrier_signal -1
	s_barrier_wait -1
	s_barrier_signal -1
	s_barrier_wait -1
	s_and_saveexec_b32 s1, s3
; %bb.705:                              ;   in Loop: Header=BB112_3 Depth=1
	ds_store_b32 v36, v24 offset:8032
; %bb.706:                              ;   in Loop: Header=BB112_3 Depth=1
	s_or_b32 exec_lo, exec_lo, s1
	s_wait_dscnt 0x0
	s_barrier_signal -1
	s_barrier_wait -1
	s_barrier_signal -1
	s_barrier_wait -1
	s_and_saveexec_b32 s1, s15
	s_cbranch_execz .LBB112_708
; %bb.707:                              ;   in Loop: Header=BB112_3 Depth=1
	ds_load_b64 v[24:25], v5 offset:7016
	ds_load_b32 v26, v5 offset:6760
	s_wait_dscnt 0x0
	v_mul_f32_e32 v25, v26, v25
	s_delay_alu instid0(VALU_DEP_1)
	v_mul_f32_e32 v24, v24, v25
	ds_store_b32 v5, v24 offset:7016
.LBB112_708:                            ;   in Loop: Header=BB112_3 Depth=1
	s_or_b32 exec_lo, exec_lo, s1
	v_mov_b32_e32 v24, 0
	s_wait_dscnt 0x0
	s_barrier_signal -1
	s_barrier_wait -1
	global_wb scope:SCOPE_DEV
	s_wait_storecnt 0x0
	global_inv scope:SCOPE_DEV
	s_and_saveexec_b32 s1, s2
	s_cbranch_execz .LBB112_712
; %bb.709:                              ;   in Loop: Header=BB112_3 Depth=1
	ds_load_b32 v24, v30 offset:6752
	ds_load_b32 v25, v29 offset:7016
	s_wait_dscnt 0x0
	v_fma_f32 v24, v24, v25, 0
	s_and_saveexec_b32 s8, s16
	s_cbranch_execz .LBB112_711
; %bb.710:                              ;   in Loop: Header=BB112_3 Depth=1
	ds_load_b32 v25, v31 offset:7008
	ds_load_b32 v26, v5 offset:7020
	s_wait_dscnt 0x0
	v_fmac_f32_e32 v24, v25, v26
.LBB112_711:                            ;   in Loop: Header=BB112_3 Depth=1
	s_or_b32 exec_lo, exec_lo, s8
.LBB112_712:                            ;   in Loop: Header=BB112_3 Depth=1
	s_delay_alu instid0(SALU_CYCLE_1)
	s_or_b32 exec_lo, exec_lo, s1
	s_and_saveexec_b32 s1, s102
	s_cbranch_execz .LBB112_714
; %bb.713:                              ;   in Loop: Header=BB112_3 Depth=1
	ds_load_b32 v25, v5 offset:6500
	s_wait_dscnt 0x0
	v_mul_f32_e32 v24, v24, v25
	s_delay_alu instid0(VALU_DEP_1)
	v_xor_b32_e32 v25, 0x80000000, v24
	ds_store_b32 v3, v25
.LBB112_714:                            ;   in Loop: Header=BB112_3 Depth=1
	s_or_b32 exec_lo, exec_lo, s1
	s_wait_loadcnt_dscnt 0x0
	s_barrier_signal -1
	s_barrier_wait -1
	s_and_saveexec_b32 s1, s103
	s_cbranch_execz .LBB112_716
; %bb.715:                              ;   in Loop: Header=BB112_3 Depth=1
	ds_load_b32 v25, v5 offset:6496
	ds_load_b32 v26, v3
	s_wait_dscnt 0x0
	v_fma_f32 v24, -v25, v26, v24
.LBB112_716:                            ;   in Loop: Header=BB112_3 Depth=1
	s_or_b32 exec_lo, exec_lo, s1
	s_barrier_signal -1
	s_barrier_wait -1
	s_and_saveexec_b32 s1, s103
	s_cbranch_execz .LBB112_718
; %bb.717:                              ;   in Loop: Header=BB112_3 Depth=1
	ds_load_b32 v25, v5 offset:6240
	s_wait_dscnt 0x0
	v_mul_f32_e32 v24, v24, v25
	s_delay_alu instid0(VALU_DEP_1)
	v_xor_b32_e32 v25, 0x80000000, v24
	ds_store_b32 v3, v25
.LBB112_718:                            ;   in Loop: Header=BB112_3 Depth=1
	s_or_b32 exec_lo, exec_lo, s1
	s_wait_dscnt 0x0
	s_barrier_signal -1
	s_barrier_wait -1
	s_barrier_signal -1
	s_barrier_wait -1
	s_and_saveexec_b32 s1, s2
; %bb.719:                              ;   in Loop: Header=BB112_3 Depth=1
	ds_store_b32 v32, v24 offset:7008
; %bb.720:                              ;   in Loop: Header=BB112_3 Depth=1
	s_or_b32 exec_lo, exec_lo, s1
	s_wait_dscnt 0x0
	s_barrier_signal -1
	s_barrier_wait -1
	s_barrier_signal -1
	s_barrier_wait -1
	s_and_saveexec_b32 s1, s15
	s_cbranch_execz .LBB112_722
; %bb.721:                              ;   in Loop: Header=BB112_3 Depth=1
	ds_load_b64 v[24:25], v5 offset:6496
	ds_load_b32 v26, v5 offset:6240
	s_wait_dscnt 0x0
	v_mul_f32_e32 v25, v26, v25
	s_delay_alu instid0(VALU_DEP_1)
	v_mul_f32_e32 v24, v24, v25
	ds_store_b32 v5, v24 offset:6496
.LBB112_722:                            ;   in Loop: Header=BB112_3 Depth=1
	s_or_b32 exec_lo, exec_lo, s1
	v_mov_b32_e32 v24, 0
	s_wait_dscnt 0x0
	s_barrier_signal -1
	s_barrier_wait -1
	global_wb scope:SCOPE_DEV
	s_wait_storecnt 0x0
	global_inv scope:SCOPE_DEV
	s_and_saveexec_b32 s10, s4
	s_cbranch_execz .LBB112_732
; %bb.723:                              ;   in Loop: Header=BB112_3 Depth=1
	ds_load_b32 v24, v39 offset:6208
	ds_load_b32 v25, v38 offset:8032
	s_wait_dscnt 0x0
	v_fma_f32 v24, v24, v25, 0
	s_and_saveexec_b32 s1, s19
	s_cbranch_execnz .LBB112_1173
; %bb.724:                              ;   in Loop: Header=BB112_3 Depth=1
	s_or_b32 exec_lo, exec_lo, s1
	s_and_saveexec_b32 s1, s20
	s_cbranch_execnz .LBB112_1174
.LBB112_725:                            ;   in Loop: Header=BB112_3 Depth=1
	s_or_b32 exec_lo, exec_lo, s1
	s_and_saveexec_b32 s1, s21
	s_cbranch_execnz .LBB112_1175
.LBB112_726:                            ;   in Loop: Header=BB112_3 Depth=1
	s_or_b32 exec_lo, exec_lo, s1
	s_and_saveexec_b32 s1, s22
	s_cbranch_execnz .LBB112_1176
.LBB112_727:                            ;   in Loop: Header=BB112_3 Depth=1
	s_or_b32 exec_lo, exec_lo, s1
	s_and_saveexec_b32 s1, s23
	s_cbranch_execnz .LBB112_1177
.LBB112_728:                            ;   in Loop: Header=BB112_3 Depth=1
	s_or_b32 exec_lo, exec_lo, s1
	s_and_saveexec_b32 s1, s3
	s_cbranch_execnz .LBB112_1178
.LBB112_729:                            ;   in Loop: Header=BB112_3 Depth=1
	s_or_b32 exec_lo, exec_lo, s1
	s_and_saveexec_b32 s1, s18
	s_cbranch_execz .LBB112_731
.LBB112_730:                            ;   in Loop: Header=BB112_3 Depth=1
	ds_load_b32 v25, v31 offset:8000
	ds_load_b32 v26, v5 offset:8060
	s_wait_dscnt 0x0
	v_fmac_f32_e32 v24, v25, v26
.LBB112_731:                            ;   in Loop: Header=BB112_3 Depth=1
	s_or_b32 exec_lo, exec_lo, s1
.LBB112_732:                            ;   in Loop: Header=BB112_3 Depth=1
	s_delay_alu instid0(SALU_CYCLE_1)
	s_or_b32 exec_lo, exec_lo, s10
	s_and_saveexec_b32 s1, s40
	s_cbranch_execz .LBB112_734
; %bb.733:                              ;   in Loop: Header=BB112_3 Depth=1
	ds_load_b32 v25, v5 offset:5980
	s_wait_dscnt 0x0
	v_mul_f32_e32 v24, v24, v25
	s_delay_alu instid0(VALU_DEP_1)
	v_xor_b32_e32 v25, 0x80000000, v24
	ds_store_b32 v37, v25
.LBB112_734:                            ;   in Loop: Header=BB112_3 Depth=1
	s_or_b32 exec_lo, exec_lo, s1
	s_wait_loadcnt_dscnt 0x0
	s_barrier_signal -1
	s_barrier_wait -1
	s_and_saveexec_b32 s1, s41
	s_cbranch_execz .LBB112_736
; %bb.735:                              ;   in Loop: Header=BB112_3 Depth=1
	ds_load_b32 v25, v39 offset:5952
	ds_load_b32 v26, v37
	s_wait_dscnt 0x0
	v_fma_f32 v24, -v25, v26, v24
.LBB112_736:                            ;   in Loop: Header=BB112_3 Depth=1
	s_or_b32 exec_lo, exec_lo, s1
	s_barrier_signal -1
	s_barrier_wait -1
	s_and_saveexec_b32 s1, s42
	s_cbranch_execz .LBB112_738
; %bb.737:                              ;   in Loop: Header=BB112_3 Depth=1
	ds_load_b32 v25, v5 offset:5720
	s_wait_dscnt 0x0
	v_mul_f32_e32 v24, v24, v25
	s_delay_alu instid0(VALU_DEP_1)
	v_xor_b32_e32 v25, 0x80000000, v24
	ds_store_b32 v37, v25
.LBB112_738:                            ;   in Loop: Header=BB112_3 Depth=1
	s_or_b32 exec_lo, exec_lo, s1
	s_wait_dscnt 0x0
	s_barrier_signal -1
	s_barrier_wait -1
	s_and_saveexec_b32 s1, s43
	s_cbranch_execz .LBB112_740
; %bb.739:                              ;   in Loop: Header=BB112_3 Depth=1
	ds_load_b32 v25, v39 offset:5696
	ds_load_b32 v26, v37
	s_wait_dscnt 0x0
	v_fma_f32 v24, -v25, v26, v24
.LBB112_740:                            ;   in Loop: Header=BB112_3 Depth=1
	s_or_b32 exec_lo, exec_lo, s1
	s_barrier_signal -1
	s_barrier_wait -1
	s_and_saveexec_b32 s1, s44
	s_cbranch_execz .LBB112_742
; %bb.741:                              ;   in Loop: Header=BB112_3 Depth=1
	ds_load_b32 v25, v5 offset:5460
	s_wait_dscnt 0x0
	v_mul_f32_e32 v24, v24, v25
	s_delay_alu instid0(VALU_DEP_1)
	v_xor_b32_e32 v25, 0x80000000, v24
	ds_store_b32 v37, v25
.LBB112_742:                            ;   in Loop: Header=BB112_3 Depth=1
	s_or_b32 exec_lo, exec_lo, s1
	s_wait_dscnt 0x0
	;; [unrolled: 25-line block ×7, first 2 shown]
	s_barrier_signal -1
	s_barrier_wait -1
	s_barrier_signal -1
	s_barrier_wait -1
	s_and_saveexec_b32 s1, s4
; %bb.763:                              ;   in Loop: Header=BB112_3 Depth=1
	ds_store_b32 v40, v24 offset:8000
; %bb.764:                              ;   in Loop: Header=BB112_3 Depth=1
	s_or_b32 exec_lo, exec_lo, s1
	s_wait_dscnt 0x0
	s_barrier_signal -1
	s_barrier_wait -1
	s_barrier_signal -1
	s_barrier_wait -1
	s_and_saveexec_b32 s1, s15
	s_cbranch_execz .LBB112_766
; %bb.765:                              ;   in Loop: Header=BB112_3 Depth=1
	ds_load_b64 v[24:25], v5 offset:5976
	ds_load_b32 v26, v5 offset:5720
	s_wait_dscnt 0x0
	v_mul_f32_e32 v25, v26, v25
	s_delay_alu instid0(VALU_DEP_1)
	v_mul_f32_e32 v24, v24, v25
	ds_store_b32 v5, v24 offset:5976
.LBB112_766:                            ;   in Loop: Header=BB112_3 Depth=1
	s_or_b32 exec_lo, exec_lo, s1
	v_mov_b32_e32 v24, 0
	s_wait_dscnt 0x0
	s_barrier_signal -1
	s_barrier_wait -1
	global_wb scope:SCOPE_DEV
	s_wait_storecnt 0x0
	global_inv scope:SCOPE_DEV
	s_and_saveexec_b32 s1, s2
	s_cbranch_execz .LBB112_770
; %bb.767:                              ;   in Loop: Header=BB112_3 Depth=1
	ds_load_b32 v24, v30 offset:5712
	ds_load_b32 v25, v29 offset:5976
	s_wait_dscnt 0x0
	v_fma_f32 v24, v24, v25, 0
	s_and_saveexec_b32 s8, s16
	s_cbranch_execz .LBB112_769
; %bb.768:                              ;   in Loop: Header=BB112_3 Depth=1
	ds_load_b32 v25, v31 offset:5968
	ds_load_b32 v26, v5 offset:5980
	s_wait_dscnt 0x0
	v_fmac_f32_e32 v24, v25, v26
.LBB112_769:                            ;   in Loop: Header=BB112_3 Depth=1
	s_or_b32 exec_lo, exec_lo, s8
.LBB112_770:                            ;   in Loop: Header=BB112_3 Depth=1
	s_delay_alu instid0(SALU_CYCLE_1)
	s_or_b32 exec_lo, exec_lo, s1
	s_and_saveexec_b32 s1, s102
	s_cbranch_execz .LBB112_772
; %bb.771:                              ;   in Loop: Header=BB112_3 Depth=1
	ds_load_b32 v25, v5 offset:5460
	s_wait_dscnt 0x0
	v_mul_f32_e32 v24, v24, v25
	s_delay_alu instid0(VALU_DEP_1)
	v_xor_b32_e32 v25, 0x80000000, v24
	ds_store_b32 v3, v25
.LBB112_772:                            ;   in Loop: Header=BB112_3 Depth=1
	s_or_b32 exec_lo, exec_lo, s1
	s_wait_loadcnt_dscnt 0x0
	s_barrier_signal -1
	s_barrier_wait -1
	s_and_saveexec_b32 s1, s103
	s_cbranch_execz .LBB112_774
; %bb.773:                              ;   in Loop: Header=BB112_3 Depth=1
	ds_load_b32 v25, v5 offset:5456
	ds_load_b32 v26, v3
	s_wait_dscnt 0x0
	v_fma_f32 v24, -v25, v26, v24
.LBB112_774:                            ;   in Loop: Header=BB112_3 Depth=1
	s_or_b32 exec_lo, exec_lo, s1
	s_barrier_signal -1
	s_barrier_wait -1
	s_and_saveexec_b32 s1, s103
	s_cbranch_execz .LBB112_776
; %bb.775:                              ;   in Loop: Header=BB112_3 Depth=1
	ds_load_b32 v25, v5 offset:5200
	s_wait_dscnt 0x0
	v_mul_f32_e32 v24, v24, v25
	s_delay_alu instid0(VALU_DEP_1)
	v_xor_b32_e32 v25, 0x80000000, v24
	ds_store_b32 v3, v25
.LBB112_776:                            ;   in Loop: Header=BB112_3 Depth=1
	s_or_b32 exec_lo, exec_lo, s1
	s_wait_dscnt 0x0
	s_barrier_signal -1
	s_barrier_wait -1
	s_barrier_signal -1
	s_barrier_wait -1
	s_and_saveexec_b32 s1, s2
; %bb.777:                              ;   in Loop: Header=BB112_3 Depth=1
	ds_store_b32 v32, v24 offset:5968
; %bb.778:                              ;   in Loop: Header=BB112_3 Depth=1
	s_or_b32 exec_lo, exec_lo, s1
	s_wait_dscnt 0x0
	s_barrier_signal -1
	s_barrier_wait -1
	s_barrier_signal -1
	s_barrier_wait -1
	s_and_saveexec_b32 s1, s15
	s_cbranch_execz .LBB112_780
; %bb.779:                              ;   in Loop: Header=BB112_3 Depth=1
	ds_load_b64 v[24:25], v5 offset:5456
	ds_load_b32 v26, v5 offset:5200
	s_wait_dscnt 0x0
	v_mul_f32_e32 v25, v26, v25
	s_delay_alu instid0(VALU_DEP_1)
	v_mul_f32_e32 v24, v24, v25
	ds_store_b32 v5, v24 offset:5456
.LBB112_780:                            ;   in Loop: Header=BB112_3 Depth=1
	s_or_b32 exec_lo, exec_lo, s1
	v_mov_b32_e32 v24, 0
	s_wait_dscnt 0x0
	s_barrier_signal -1
	s_barrier_wait -1
	global_wb scope:SCOPE_DEV
	s_wait_storecnt 0x0
	global_inv scope:SCOPE_DEV
	s_and_saveexec_b32 s10, s3
	s_cbranch_execz .LBB112_786
; %bb.781:                              ;   in Loop: Header=BB112_3 Depth=1
	ds_load_b32 v24, v35 offset:5184
	ds_load_b32 v25, v34 offset:5968
	s_wait_dscnt 0x0
	v_fma_f32 v24, v24, v25, 0
	s_and_saveexec_b32 s1, s17
	s_cbranch_execnz .LBB112_1179
; %bb.782:                              ;   in Loop: Header=BB112_3 Depth=1
	s_or_b32 exec_lo, exec_lo, s1
	s_and_saveexec_b32 s1, s18
	s_cbranch_execnz .LBB112_1180
.LBB112_783:                            ;   in Loop: Header=BB112_3 Depth=1
	s_or_b32 exec_lo, exec_lo, s1
	s_and_saveexec_b32 s1, s2
	s_cbranch_execz .LBB112_785
.LBB112_784:                            ;   in Loop: Header=BB112_3 Depth=1
	ds_load_b32 v25, v31 offset:5952
	ds_load_b32 v26, v5 offset:5980
	s_wait_dscnt 0x0
	v_fmac_f32_e32 v24, v25, v26
.LBB112_785:                            ;   in Loop: Header=BB112_3 Depth=1
	s_or_b32 exec_lo, exec_lo, s1
.LBB112_786:                            ;   in Loop: Header=BB112_3 Depth=1
	s_delay_alu instid0(SALU_CYCLE_1)
	s_or_b32 exec_lo, exec_lo, s10
	s_and_saveexec_b32 s1, s104
	s_cbranch_execz .LBB112_788
; %bb.787:                              ;   in Loop: Header=BB112_3 Depth=1
	ds_load_b32 v25, v5 offset:4940
	s_wait_dscnt 0x0
	v_mul_f32_e32 v24, v24, v25
	s_delay_alu instid0(VALU_DEP_1)
	v_xor_b32_e32 v25, 0x80000000, v24
	ds_store_b32 v33, v25
.LBB112_788:                            ;   in Loop: Header=BB112_3 Depth=1
	s_or_b32 exec_lo, exec_lo, s1
	s_wait_loadcnt_dscnt 0x0
	s_barrier_signal -1
	s_barrier_wait -1
	s_and_saveexec_b32 s1, vcc_hi
	s_cbranch_execz .LBB112_790
; %bb.789:                              ;   in Loop: Header=BB112_3 Depth=1
	ds_load_b32 v25, v35 offset:4928
	ds_load_b32 v26, v33
	s_wait_dscnt 0x0
	v_fma_f32 v24, -v25, v26, v24
.LBB112_790:                            ;   in Loop: Header=BB112_3 Depth=1
	s_or_b32 exec_lo, exec_lo, s1
	s_barrier_signal -1
	s_barrier_wait -1
	s_and_saveexec_b32 s1, s36
	s_cbranch_execz .LBB112_792
; %bb.791:                              ;   in Loop: Header=BB112_3 Depth=1
	ds_load_b32 v25, v5 offset:4680
	s_wait_dscnt 0x0
	v_mul_f32_e32 v24, v24, v25
	s_delay_alu instid0(VALU_DEP_1)
	v_xor_b32_e32 v25, 0x80000000, v24
	ds_store_b32 v33, v25
.LBB112_792:                            ;   in Loop: Header=BB112_3 Depth=1
	s_or_b32 exec_lo, exec_lo, s1
	s_wait_dscnt 0x0
	s_barrier_signal -1
	s_barrier_wait -1
	s_and_saveexec_b32 s1, s37
	s_cbranch_execz .LBB112_794
; %bb.793:                              ;   in Loop: Header=BB112_3 Depth=1
	ds_load_b32 v25, v35 offset:4672
	ds_load_b32 v26, v33
	s_wait_dscnt 0x0
	v_fma_f32 v24, -v25, v26, v24
.LBB112_794:                            ;   in Loop: Header=BB112_3 Depth=1
	s_or_b32 exec_lo, exec_lo, s1
	s_barrier_signal -1
	s_barrier_wait -1
	s_and_saveexec_b32 s1, s38
	s_cbranch_execz .LBB112_796
; %bb.795:                              ;   in Loop: Header=BB112_3 Depth=1
	ds_load_b32 v25, v5 offset:4420
	s_wait_dscnt 0x0
	v_mul_f32_e32 v24, v24, v25
	s_delay_alu instid0(VALU_DEP_1)
	v_xor_b32_e32 v25, 0x80000000, v24
	ds_store_b32 v33, v25
.LBB112_796:                            ;   in Loop: Header=BB112_3 Depth=1
	s_or_b32 exec_lo, exec_lo, s1
	s_wait_dscnt 0x0
	s_barrier_signal -1
	s_barrier_wait -1
	s_and_saveexec_b32 s1, s39
	s_cbranch_execz .LBB112_798
; %bb.797:                              ;   in Loop: Header=BB112_3 Depth=1
	ds_load_b32 v25, v5 offset:4416
	ds_load_b32 v26, v33
	s_wait_dscnt 0x0
	v_fma_f32 v24, -v25, v26, v24
.LBB112_798:                            ;   in Loop: Header=BB112_3 Depth=1
	s_or_b32 exec_lo, exec_lo, s1
	s_barrier_signal -1
	s_barrier_wait -1
	s_and_saveexec_b32 s1, s39
	s_cbranch_execz .LBB112_800
; %bb.799:                              ;   in Loop: Header=BB112_3 Depth=1
	ds_load_b32 v25, v5 offset:4160
	s_wait_dscnt 0x0
	v_mul_f32_e32 v24, v24, v25
	s_delay_alu instid0(VALU_DEP_1)
	v_xor_b32_e32 v25, 0x80000000, v24
	ds_store_b32 v33, v25
.LBB112_800:                            ;   in Loop: Header=BB112_3 Depth=1
	s_or_b32 exec_lo, exec_lo, s1
	s_wait_dscnt 0x0
	s_barrier_signal -1
	s_barrier_wait -1
	s_barrier_signal -1
	s_barrier_wait -1
	s_and_saveexec_b32 s1, s3
; %bb.801:                              ;   in Loop: Header=BB112_3 Depth=1
	ds_store_b32 v36, v24 offset:5952
; %bb.802:                              ;   in Loop: Header=BB112_3 Depth=1
	s_or_b32 exec_lo, exec_lo, s1
	s_wait_dscnt 0x0
	s_barrier_signal -1
	s_barrier_wait -1
	s_barrier_signal -1
	s_barrier_wait -1
	s_and_saveexec_b32 s1, s15
	s_cbranch_execz .LBB112_804
; %bb.803:                              ;   in Loop: Header=BB112_3 Depth=1
	ds_load_b64 v[24:25], v5 offset:4936
	ds_load_b32 v26, v5 offset:4680
	s_wait_dscnt 0x0
	v_mul_f32_e32 v25, v26, v25
	s_delay_alu instid0(VALU_DEP_1)
	v_mul_f32_e32 v24, v24, v25
	ds_store_b32 v5, v24 offset:4936
.LBB112_804:                            ;   in Loop: Header=BB112_3 Depth=1
	s_or_b32 exec_lo, exec_lo, s1
	v_mov_b32_e32 v24, 0
	s_wait_dscnt 0x0
	s_barrier_signal -1
	s_barrier_wait -1
	global_wb scope:SCOPE_DEV
	s_wait_storecnt 0x0
	global_inv scope:SCOPE_DEV
	s_and_saveexec_b32 s1, s2
	s_cbranch_execz .LBB112_808
; %bb.805:                              ;   in Loop: Header=BB112_3 Depth=1
	ds_load_b32 v24, v30 offset:4672
	ds_load_b32 v25, v29 offset:4936
	s_wait_dscnt 0x0
	v_fma_f32 v24, v24, v25, 0
	s_and_saveexec_b32 s8, s16
	s_cbranch_execz .LBB112_807
; %bb.806:                              ;   in Loop: Header=BB112_3 Depth=1
	ds_load_b32 v25, v31 offset:4928
	ds_load_b32 v26, v5 offset:4940
	s_wait_dscnt 0x0
	v_fmac_f32_e32 v24, v25, v26
.LBB112_807:                            ;   in Loop: Header=BB112_3 Depth=1
	s_or_b32 exec_lo, exec_lo, s8
.LBB112_808:                            ;   in Loop: Header=BB112_3 Depth=1
	s_delay_alu instid0(SALU_CYCLE_1)
	s_or_b32 exec_lo, exec_lo, s1
	s_and_saveexec_b32 s1, s102
	s_cbranch_execz .LBB112_810
; %bb.809:                              ;   in Loop: Header=BB112_3 Depth=1
	ds_load_b32 v25, v5 offset:4420
	s_wait_dscnt 0x0
	v_mul_f32_e32 v24, v24, v25
	s_delay_alu instid0(VALU_DEP_1)
	v_xor_b32_e32 v25, 0x80000000, v24
	ds_store_b32 v3, v25
.LBB112_810:                            ;   in Loop: Header=BB112_3 Depth=1
	s_or_b32 exec_lo, exec_lo, s1
	s_wait_loadcnt_dscnt 0x0
	s_barrier_signal -1
	s_barrier_wait -1
	s_and_saveexec_b32 s1, s103
	s_cbranch_execz .LBB112_812
; %bb.811:                              ;   in Loop: Header=BB112_3 Depth=1
	ds_load_b32 v25, v5 offset:4416
	ds_load_b32 v26, v3
	s_wait_dscnt 0x0
	v_fma_f32 v24, -v25, v26, v24
.LBB112_812:                            ;   in Loop: Header=BB112_3 Depth=1
	s_or_b32 exec_lo, exec_lo, s1
	s_barrier_signal -1
	s_barrier_wait -1
	s_and_saveexec_b32 s1, s103
	s_cbranch_execz .LBB112_814
; %bb.813:                              ;   in Loop: Header=BB112_3 Depth=1
	ds_load_b32 v25, v5 offset:4160
	s_wait_dscnt 0x0
	v_mul_f32_e32 v24, v24, v25
	s_delay_alu instid0(VALU_DEP_1)
	v_xor_b32_e32 v25, 0x80000000, v24
	ds_store_b32 v3, v25
.LBB112_814:                            ;   in Loop: Header=BB112_3 Depth=1
	s_or_b32 exec_lo, exec_lo, s1
	s_wait_dscnt 0x0
	s_barrier_signal -1
	s_barrier_wait -1
	s_barrier_signal -1
	s_barrier_wait -1
	s_and_saveexec_b32 s1, s2
; %bb.815:                              ;   in Loop: Header=BB112_3 Depth=1
	ds_store_b32 v32, v24 offset:4928
; %bb.816:                              ;   in Loop: Header=BB112_3 Depth=1
	s_or_b32 exec_lo, exec_lo, s1
	s_wait_dscnt 0x0
	s_barrier_signal -1
	s_barrier_wait -1
	s_barrier_signal -1
	s_barrier_wait -1
	s_and_saveexec_b32 s1, s15
	s_cbranch_execz .LBB112_818
; %bb.817:                              ;   in Loop: Header=BB112_3 Depth=1
	ds_load_b64 v[24:25], v5 offset:4416
	ds_load_b32 v26, v5 offset:4160
	s_wait_dscnt 0x0
	v_mul_f32_e32 v25, v26, v25
	s_delay_alu instid0(VALU_DEP_1)
	v_mul_f32_e32 v24, v24, v25
	ds_store_b32 v5, v24 offset:4416
.LBB112_818:                            ;   in Loop: Header=BB112_3 Depth=1
	s_or_b32 exec_lo, exec_lo, s1
	v_mov_b32_e32 v24, 0
	s_wait_dscnt 0x0
	s_barrier_signal -1
	s_barrier_wait -1
	global_wb scope:SCOPE_DEV
	s_wait_storecnt 0x0
	global_inv scope:SCOPE_DEV
	s_and_saveexec_b32 s10, s5
	s_cbranch_execz .LBB112_846
; %bb.819:                              ;   in Loop: Header=BB112_3 Depth=1
	ds_load_b32 v24, v43 offset:4096
	ds_load_b32 v25, v42 offset:8000
	s_wait_dscnt 0x0
	v_fma_f32 v24, v24, v25, 0
	s_mov_b32 s1, exec_lo
	v_readlane_b32 s8, v72, 26
	s_and_b32 s8, s1, s8
	s_delay_alu instid0(SALU_CYCLE_1)
	s_mov_b32 exec_lo, s8
	s_cbranch_execz .LBB112_821
; %bb.820:                              ;   in Loop: Header=BB112_3 Depth=1
	ds_load_b32 v25, v43 offset:4352
	ds_load_b32 v26, v42 offset:8004
	s_wait_dscnt 0x0
	v_fmac_f32_e32 v24, v25, v26
.LBB112_821:                            ;   in Loop: Header=BB112_3 Depth=1
	s_or_b32 exec_lo, exec_lo, s1
	s_delay_alu instid0(SALU_CYCLE_1) | instskip(SKIP_2) | instid1(SALU_CYCLE_1)
	s_mov_b32 s1, exec_lo
	v_readlane_b32 s8, v72, 27
	s_and_b32 s8, s1, s8
	s_mov_b32 exec_lo, s8
	s_cbranch_execz .LBB112_823
; %bb.822:                              ;   in Loop: Header=BB112_3 Depth=1
	ds_load_b32 v25, v43 offset:4608
	ds_load_b32 v26, v42 offset:8008
	s_wait_dscnt 0x0
	v_fmac_f32_e32 v24, v25, v26
.LBB112_823:                            ;   in Loop: Header=BB112_3 Depth=1
	s_or_b32 exec_lo, exec_lo, s1
	s_delay_alu instid0(SALU_CYCLE_1) | instskip(SKIP_2) | instid1(SALU_CYCLE_1)
	s_mov_b32 s1, exec_lo
	v_readlane_b32 s8, v72, 28
	s_and_b32 s8, s1, s8
	;; [unrolled: 13-line block ×10, first 2 shown]
	s_mov_b32 exec_lo, s8
	s_cbranch_execnz .LBB112_1181
; %bb.840:                              ;   in Loop: Header=BB112_3 Depth=1
	s_or_b32 exec_lo, exec_lo, s1
	s_and_saveexec_b32 s1, s4
	s_cbranch_execnz .LBB112_1182
.LBB112_841:                            ;   in Loop: Header=BB112_3 Depth=1
	s_or_b32 exec_lo, exec_lo, s1
	s_and_saveexec_b32 s1, s20
	s_cbranch_execnz .LBB112_1183
.LBB112_842:                            ;   in Loop: Header=BB112_3 Depth=1
	s_or_b32 exec_lo, exec_lo, s1
	s_and_saveexec_b32 s1, s22
	s_cbranch_execnz .LBB112_1184
.LBB112_843:                            ;   in Loop: Header=BB112_3 Depth=1
	s_or_b32 exec_lo, exec_lo, s1
	s_and_saveexec_b32 s1, s3
	s_cbranch_execz .LBB112_845
.LBB112_844:                            ;   in Loop: Header=BB112_3 Depth=1
	ds_load_b32 v25, v31 offset:7936
	ds_load_b32 v26, v5 offset:8060
	s_wait_dscnt 0x0
	v_fmac_f32_e32 v24, v25, v26
.LBB112_845:                            ;   in Loop: Header=BB112_3 Depth=1
	s_or_b32 exec_lo, exec_lo, s1
.LBB112_846:                            ;   in Loop: Header=BB112_3 Depth=1
	s_delay_alu instid0(SALU_CYCLE_1) | instskip(NEXT) | instid1(SALU_CYCLE_1)
	s_or_b32 exec_lo, exec_lo, s10
	s_mov_b32 s1, exec_lo
	v_readlane_b32 s8, v74, 3
	s_and_b32 s8, s1, s8
	s_delay_alu instid0(SALU_CYCLE_1)
	s_mov_b32 exec_lo, s8
	s_cbranch_execz .LBB112_848
; %bb.847:                              ;   in Loop: Header=BB112_3 Depth=1
	ds_load_b32 v25, v5 offset:3900
	s_wait_dscnt 0x0
	v_mul_f32_e32 v24, v24, v25
	s_delay_alu instid0(VALU_DEP_1)
	v_xor_b32_e32 v25, 0x80000000, v24
	ds_store_b32 v41, v25
.LBB112_848:                            ;   in Loop: Header=BB112_3 Depth=1
	s_or_b32 exec_lo, exec_lo, s1
	s_wait_loadcnt_dscnt 0x0
	s_barrier_signal -1
	s_barrier_wait -1
	s_mov_b32 s1, exec_lo
	v_readlane_b32 s8, v74, 4
	s_and_b32 s8, s1, s8
	s_delay_alu instid0(SALU_CYCLE_1)
	s_mov_b32 exec_lo, s8
	s_cbranch_execz .LBB112_850
; %bb.849:                              ;   in Loop: Header=BB112_3 Depth=1
	ds_load_b32 v25, v43 offset:3840
	ds_load_b32 v26, v41
	s_wait_dscnt 0x0
	v_fma_f32 v24, -v25, v26, v24
.LBB112_850:                            ;   in Loop: Header=BB112_3 Depth=1
	s_or_b32 exec_lo, exec_lo, s1
	s_barrier_signal -1
	s_barrier_wait -1
	s_mov_b32 s1, exec_lo
	v_readlane_b32 s8, v74, 5
	s_and_b32 s8, s1, s8
	s_delay_alu instid0(SALU_CYCLE_1)
	s_mov_b32 exec_lo, s8
	s_cbranch_execz .LBB112_852
; %bb.851:                              ;   in Loop: Header=BB112_3 Depth=1
	ds_load_b32 v25, v5 offset:3640
	s_wait_dscnt 0x0
	v_mul_f32_e32 v24, v24, v25
	s_delay_alu instid0(VALU_DEP_1)
	v_xor_b32_e32 v25, 0x80000000, v24
	ds_store_b32 v41, v25
.LBB112_852:                            ;   in Loop: Header=BB112_3 Depth=1
	s_or_b32 exec_lo, exec_lo, s1
	s_wait_dscnt 0x0
	s_barrier_signal -1
	s_barrier_wait -1
	s_mov_b32 s1, exec_lo
	v_readlane_b32 s8, v74, 6
	s_and_b32 s8, s1, s8
	s_delay_alu instid0(SALU_CYCLE_1)
	s_mov_b32 exec_lo, s8
	s_cbranch_execz .LBB112_854
; %bb.853:                              ;   in Loop: Header=BB112_3 Depth=1
	ds_load_b32 v25, v43 offset:3584
	ds_load_b32 v26, v41
	s_wait_dscnt 0x0
	v_fma_f32 v24, -v25, v26, v24
.LBB112_854:                            ;   in Loop: Header=BB112_3 Depth=1
	s_or_b32 exec_lo, exec_lo, s1
	s_barrier_signal -1
	s_barrier_wait -1
	s_and_saveexec_b32 s1, s58
	s_cbranch_execz .LBB112_856
; %bb.855:                              ;   in Loop: Header=BB112_3 Depth=1
	ds_load_b32 v25, v5 offset:3380
	s_wait_dscnt 0x0
	v_mul_f32_e32 v24, v24, v25
	s_delay_alu instid0(VALU_DEP_1)
	v_xor_b32_e32 v25, 0x80000000, v24
	ds_store_b32 v41, v25
.LBB112_856:                            ;   in Loop: Header=BB112_3 Depth=1
	s_or_b32 exec_lo, exec_lo, s1
	s_wait_dscnt 0x0
	s_barrier_signal -1
	s_barrier_wait -1
	s_and_saveexec_b32 s1, s65
	s_cbranch_execz .LBB112_858
; %bb.857:                              ;   in Loop: Header=BB112_3 Depth=1
	ds_load_b32 v25, v43 offset:3328
	ds_load_b32 v26, v41
	s_wait_dscnt 0x0
	v_fma_f32 v24, -v25, v26, v24
.LBB112_858:                            ;   in Loop: Header=BB112_3 Depth=1
	s_or_b32 exec_lo, exec_lo, s1
	s_barrier_signal -1
	s_barrier_wait -1
	s_and_saveexec_b32 s1, s66
	s_cbranch_execz .LBB112_860
; %bb.859:                              ;   in Loop: Header=BB112_3 Depth=1
	ds_load_b32 v25, v5 offset:3120
	s_wait_dscnt 0x0
	v_mul_f32_e32 v24, v24, v25
	s_delay_alu instid0(VALU_DEP_1)
	v_xor_b32_e32 v25, 0x80000000, v24
	ds_store_b32 v41, v25
.LBB112_860:                            ;   in Loop: Header=BB112_3 Depth=1
	s_or_b32 exec_lo, exec_lo, s1
	s_wait_dscnt 0x0
	s_barrier_signal -1
	s_barrier_wait -1
	s_and_saveexec_b32 s1, s67
	;; [unrolled: 25-line block ×13, first 2 shown]
	s_cbranch_execz .LBB112_906
; %bb.905:                              ;   in Loop: Header=BB112_3 Depth=1
	ds_load_b32 v25, v5 offset:256
	ds_load_b32 v26, v41
	s_wait_dscnt 0x0
	v_fma_f32 v24, -v25, v26, v24
.LBB112_906:                            ;   in Loop: Header=BB112_3 Depth=1
	s_or_b32 exec_lo, exec_lo, s1
	s_barrier_signal -1
	s_barrier_wait -1
	s_and_saveexec_b32 s1, s54
	s_cbranch_execz .LBB112_908
; %bb.907:                              ;   in Loop: Header=BB112_3 Depth=1
	ds_load_b32 v25, v5
	s_wait_dscnt 0x0
	v_mul_f32_e32 v24, v24, v25
	s_delay_alu instid0(VALU_DEP_1)
	v_xor_b32_e32 v25, 0x80000000, v24
	ds_store_b32 v41, v25
.LBB112_908:                            ;   in Loop: Header=BB112_3 Depth=1
	s_or_b32 exec_lo, exec_lo, s1
	s_wait_dscnt 0x0
	s_barrier_signal -1
	s_barrier_wait -1
	s_barrier_signal -1
	s_barrier_wait -1
	s_and_saveexec_b32 s1, s5
; %bb.909:                              ;   in Loop: Header=BB112_3 Depth=1
	ds_store_b32 v44, v24 offset:7936
; %bb.910:                              ;   in Loop: Header=BB112_3 Depth=1
	s_or_b32 exec_lo, exec_lo, s1
	s_wait_dscnt 0x0
	s_barrier_signal -1
	s_barrier_wait -1
	s_barrier_signal -1
	s_barrier_wait -1
	s_and_saveexec_b32 s1, s15
	s_cbranch_execz .LBB112_912
; %bb.911:                              ;   in Loop: Header=BB112_3 Depth=1
	ds_load_b64 v[24:25], v5 offset:3896
	ds_load_b32 v26, v5 offset:3640
	s_wait_dscnt 0x0
	v_mul_f32_e32 v25, v26, v25
	s_delay_alu instid0(VALU_DEP_1)
	v_mul_f32_e32 v24, v24, v25
	ds_store_b32 v5, v24 offset:3896
.LBB112_912:                            ;   in Loop: Header=BB112_3 Depth=1
	s_or_b32 exec_lo, exec_lo, s1
	v_mov_b32_e32 v24, 0
	s_wait_dscnt 0x0
	s_barrier_signal -1
	s_barrier_wait -1
	global_wb scope:SCOPE_DEV
	s_wait_storecnt 0x0
	global_inv scope:SCOPE_DEV
	s_and_saveexec_b32 s1, s2
	s_cbranch_execz .LBB112_916
; %bb.913:                              ;   in Loop: Header=BB112_3 Depth=1
	ds_load_b32 v24, v30 offset:3632
	ds_load_b32 v25, v29 offset:3896
	s_wait_dscnt 0x0
	v_fma_f32 v24, v24, v25, 0
	s_and_saveexec_b32 s8, s16
	s_cbranch_execz .LBB112_915
; %bb.914:                              ;   in Loop: Header=BB112_3 Depth=1
	ds_load_b32 v25, v31 offset:3888
	ds_load_b32 v26, v5 offset:3900
	s_wait_dscnt 0x0
	v_fmac_f32_e32 v24, v25, v26
.LBB112_915:                            ;   in Loop: Header=BB112_3 Depth=1
	s_or_b32 exec_lo, exec_lo, s8
.LBB112_916:                            ;   in Loop: Header=BB112_3 Depth=1
	s_delay_alu instid0(SALU_CYCLE_1)
	s_or_b32 exec_lo, exec_lo, s1
	s_and_saveexec_b32 s1, s102
	s_cbranch_execz .LBB112_918
; %bb.917:                              ;   in Loop: Header=BB112_3 Depth=1
	ds_load_b32 v25, v5 offset:3380
	s_wait_dscnt 0x0
	v_mul_f32_e32 v24, v24, v25
	s_delay_alu instid0(VALU_DEP_1)
	v_xor_b32_e32 v25, 0x80000000, v24
	ds_store_b32 v3, v25
.LBB112_918:                            ;   in Loop: Header=BB112_3 Depth=1
	s_or_b32 exec_lo, exec_lo, s1
	s_wait_loadcnt_dscnt 0x0
	s_barrier_signal -1
	s_barrier_wait -1
	s_and_saveexec_b32 s1, s103
	s_cbranch_execz .LBB112_920
; %bb.919:                              ;   in Loop: Header=BB112_3 Depth=1
	ds_load_b32 v25, v5 offset:3376
	ds_load_b32 v26, v3
	s_wait_dscnt 0x0
	v_fma_f32 v24, -v25, v26, v24
.LBB112_920:                            ;   in Loop: Header=BB112_3 Depth=1
	s_or_b32 exec_lo, exec_lo, s1
	s_barrier_signal -1
	s_barrier_wait -1
	s_and_saveexec_b32 s1, s103
	s_cbranch_execz .LBB112_922
; %bb.921:                              ;   in Loop: Header=BB112_3 Depth=1
	ds_load_b32 v25, v5 offset:3120
	s_wait_dscnt 0x0
	v_mul_f32_e32 v24, v24, v25
	s_delay_alu instid0(VALU_DEP_1)
	v_xor_b32_e32 v25, 0x80000000, v24
	ds_store_b32 v3, v25
.LBB112_922:                            ;   in Loop: Header=BB112_3 Depth=1
	s_or_b32 exec_lo, exec_lo, s1
	s_wait_dscnt 0x0
	s_barrier_signal -1
	s_barrier_wait -1
	s_barrier_signal -1
	s_barrier_wait -1
	s_and_saveexec_b32 s1, s2
; %bb.923:                              ;   in Loop: Header=BB112_3 Depth=1
	ds_store_b32 v32, v24 offset:3888
; %bb.924:                              ;   in Loop: Header=BB112_3 Depth=1
	s_or_b32 exec_lo, exec_lo, s1
	s_wait_dscnt 0x0
	s_barrier_signal -1
	s_barrier_wait -1
	s_barrier_signal -1
	s_barrier_wait -1
	s_and_saveexec_b32 s1, s15
	s_cbranch_execz .LBB112_926
; %bb.925:                              ;   in Loop: Header=BB112_3 Depth=1
	ds_load_b64 v[24:25], v5 offset:3376
	ds_load_b32 v26, v5 offset:3120
	s_wait_dscnt 0x0
	v_mul_f32_e32 v25, v26, v25
	s_delay_alu instid0(VALU_DEP_1)
	v_mul_f32_e32 v24, v24, v25
	ds_store_b32 v5, v24 offset:3376
.LBB112_926:                            ;   in Loop: Header=BB112_3 Depth=1
	s_or_b32 exec_lo, exec_lo, s1
	v_mov_b32_e32 v24, 0
	s_wait_dscnt 0x0
	s_barrier_signal -1
	s_barrier_wait -1
	global_wb scope:SCOPE_DEV
	s_wait_storecnt 0x0
	global_inv scope:SCOPE_DEV
	s_and_saveexec_b32 s10, s3
	s_cbranch_execz .LBB112_932
; %bb.927:                              ;   in Loop: Header=BB112_3 Depth=1
	ds_load_b32 v24, v35 offset:3104
	ds_load_b32 v25, v34 offset:3888
	s_wait_dscnt 0x0
	v_fma_f32 v24, v24, v25, 0
	s_and_saveexec_b32 s1, s17
	s_cbranch_execnz .LBB112_1185
; %bb.928:                              ;   in Loop: Header=BB112_3 Depth=1
	s_or_b32 exec_lo, exec_lo, s1
	s_and_saveexec_b32 s1, s18
	s_cbranch_execnz .LBB112_1186
.LBB112_929:                            ;   in Loop: Header=BB112_3 Depth=1
	s_or_b32 exec_lo, exec_lo, s1
	s_and_saveexec_b32 s1, s2
	s_cbranch_execz .LBB112_931
.LBB112_930:                            ;   in Loop: Header=BB112_3 Depth=1
	ds_load_b32 v25, v31 offset:3872
	ds_load_b32 v26, v5 offset:3900
	s_wait_dscnt 0x0
	v_fmac_f32_e32 v24, v25, v26
.LBB112_931:                            ;   in Loop: Header=BB112_3 Depth=1
	s_or_b32 exec_lo, exec_lo, s1
.LBB112_932:                            ;   in Loop: Header=BB112_3 Depth=1
	s_delay_alu instid0(SALU_CYCLE_1)
	s_or_b32 exec_lo, exec_lo, s10
	s_and_saveexec_b32 s1, s104
	s_cbranch_execz .LBB112_934
; %bb.933:                              ;   in Loop: Header=BB112_3 Depth=1
	ds_load_b32 v25, v5 offset:2860
	s_wait_dscnt 0x0
	v_mul_f32_e32 v24, v24, v25
	s_delay_alu instid0(VALU_DEP_1)
	v_xor_b32_e32 v25, 0x80000000, v24
	ds_store_b32 v33, v25
.LBB112_934:                            ;   in Loop: Header=BB112_3 Depth=1
	s_or_b32 exec_lo, exec_lo, s1
	s_wait_loadcnt_dscnt 0x0
	s_barrier_signal -1
	s_barrier_wait -1
	s_and_saveexec_b32 s1, vcc_hi
	s_cbranch_execz .LBB112_936
; %bb.935:                              ;   in Loop: Header=BB112_3 Depth=1
	ds_load_b32 v25, v35 offset:2848
	ds_load_b32 v26, v33
	s_wait_dscnt 0x0
	v_fma_f32 v24, -v25, v26, v24
.LBB112_936:                            ;   in Loop: Header=BB112_3 Depth=1
	s_or_b32 exec_lo, exec_lo, s1
	s_barrier_signal -1
	s_barrier_wait -1
	s_and_saveexec_b32 s1, s36
	s_cbranch_execz .LBB112_938
; %bb.937:                              ;   in Loop: Header=BB112_3 Depth=1
	ds_load_b32 v25, v5 offset:2600
	s_wait_dscnt 0x0
	v_mul_f32_e32 v24, v24, v25
	s_delay_alu instid0(VALU_DEP_1)
	v_xor_b32_e32 v25, 0x80000000, v24
	ds_store_b32 v33, v25
.LBB112_938:                            ;   in Loop: Header=BB112_3 Depth=1
	s_or_b32 exec_lo, exec_lo, s1
	s_wait_dscnt 0x0
	s_barrier_signal -1
	s_barrier_wait -1
	s_and_saveexec_b32 s1, s37
	s_cbranch_execz .LBB112_940
; %bb.939:                              ;   in Loop: Header=BB112_3 Depth=1
	ds_load_b32 v25, v35 offset:2592
	ds_load_b32 v26, v33
	s_wait_dscnt 0x0
	v_fma_f32 v24, -v25, v26, v24
.LBB112_940:                            ;   in Loop: Header=BB112_3 Depth=1
	s_or_b32 exec_lo, exec_lo, s1
	s_barrier_signal -1
	s_barrier_wait -1
	s_and_saveexec_b32 s1, s38
	s_cbranch_execz .LBB112_942
; %bb.941:                              ;   in Loop: Header=BB112_3 Depth=1
	ds_load_b32 v25, v5 offset:2340
	s_wait_dscnt 0x0
	v_mul_f32_e32 v24, v24, v25
	s_delay_alu instid0(VALU_DEP_1)
	v_xor_b32_e32 v25, 0x80000000, v24
	ds_store_b32 v33, v25
.LBB112_942:                            ;   in Loop: Header=BB112_3 Depth=1
	s_or_b32 exec_lo, exec_lo, s1
	s_wait_dscnt 0x0
	s_barrier_signal -1
	s_barrier_wait -1
	s_and_saveexec_b32 s1, s39
	s_cbranch_execz .LBB112_944
; %bb.943:                              ;   in Loop: Header=BB112_3 Depth=1
	ds_load_b32 v25, v5 offset:2336
	ds_load_b32 v26, v33
	s_wait_dscnt 0x0
	v_fma_f32 v24, -v25, v26, v24
.LBB112_944:                            ;   in Loop: Header=BB112_3 Depth=1
	s_or_b32 exec_lo, exec_lo, s1
	s_barrier_signal -1
	s_barrier_wait -1
	s_and_saveexec_b32 s1, s39
	s_cbranch_execz .LBB112_946
; %bb.945:                              ;   in Loop: Header=BB112_3 Depth=1
	ds_load_b32 v25, v5 offset:2080
	s_wait_dscnt 0x0
	v_mul_f32_e32 v24, v24, v25
	s_delay_alu instid0(VALU_DEP_1)
	v_xor_b32_e32 v25, 0x80000000, v24
	ds_store_b32 v33, v25
.LBB112_946:                            ;   in Loop: Header=BB112_3 Depth=1
	s_or_b32 exec_lo, exec_lo, s1
	s_wait_dscnt 0x0
	s_barrier_signal -1
	s_barrier_wait -1
	s_barrier_signal -1
	s_barrier_wait -1
	s_and_saveexec_b32 s1, s3
; %bb.947:                              ;   in Loop: Header=BB112_3 Depth=1
	ds_store_b32 v36, v24 offset:3872
; %bb.948:                              ;   in Loop: Header=BB112_3 Depth=1
	s_or_b32 exec_lo, exec_lo, s1
	s_wait_dscnt 0x0
	s_barrier_signal -1
	s_barrier_wait -1
	s_barrier_signal -1
	s_barrier_wait -1
	s_and_saveexec_b32 s1, s15
	s_cbranch_execz .LBB112_950
; %bb.949:                              ;   in Loop: Header=BB112_3 Depth=1
	ds_load_b64 v[24:25], v5 offset:2856
	ds_load_b32 v26, v5 offset:2600
	s_wait_dscnt 0x0
	v_mul_f32_e32 v25, v26, v25
	s_delay_alu instid0(VALU_DEP_1)
	v_mul_f32_e32 v24, v24, v25
	ds_store_b32 v5, v24 offset:2856
.LBB112_950:                            ;   in Loop: Header=BB112_3 Depth=1
	s_or_b32 exec_lo, exec_lo, s1
	v_mov_b32_e32 v24, 0
	s_wait_dscnt 0x0
	s_barrier_signal -1
	s_barrier_wait -1
	global_wb scope:SCOPE_DEV
	s_wait_storecnt 0x0
	global_inv scope:SCOPE_DEV
	s_and_saveexec_b32 s1, s2
	s_cbranch_execz .LBB112_954
; %bb.951:                              ;   in Loop: Header=BB112_3 Depth=1
	ds_load_b32 v24, v30 offset:2592
	ds_load_b32 v25, v29 offset:2856
	s_wait_dscnt 0x0
	v_fma_f32 v24, v24, v25, 0
	s_and_saveexec_b32 s8, s16
	s_cbranch_execz .LBB112_953
; %bb.952:                              ;   in Loop: Header=BB112_3 Depth=1
	ds_load_b32 v25, v31 offset:2848
	ds_load_b32 v26, v5 offset:2860
	s_wait_dscnt 0x0
	v_fmac_f32_e32 v24, v25, v26
.LBB112_953:                            ;   in Loop: Header=BB112_3 Depth=1
	s_or_b32 exec_lo, exec_lo, s8
.LBB112_954:                            ;   in Loop: Header=BB112_3 Depth=1
	s_delay_alu instid0(SALU_CYCLE_1)
	s_or_b32 exec_lo, exec_lo, s1
	s_and_saveexec_b32 s1, s102
	s_cbranch_execz .LBB112_956
; %bb.955:                              ;   in Loop: Header=BB112_3 Depth=1
	ds_load_b32 v25, v5 offset:2340
	s_wait_dscnt 0x0
	v_mul_f32_e32 v24, v24, v25
	s_delay_alu instid0(VALU_DEP_1)
	v_xor_b32_e32 v25, 0x80000000, v24
	ds_store_b32 v3, v25
.LBB112_956:                            ;   in Loop: Header=BB112_3 Depth=1
	s_or_b32 exec_lo, exec_lo, s1
	s_wait_loadcnt_dscnt 0x0
	s_barrier_signal -1
	s_barrier_wait -1
	s_and_saveexec_b32 s1, s103
	s_cbranch_execz .LBB112_958
; %bb.957:                              ;   in Loop: Header=BB112_3 Depth=1
	ds_load_b32 v25, v5 offset:2336
	ds_load_b32 v26, v3
	s_wait_dscnt 0x0
	v_fma_f32 v24, -v25, v26, v24
.LBB112_958:                            ;   in Loop: Header=BB112_3 Depth=1
	s_or_b32 exec_lo, exec_lo, s1
	s_barrier_signal -1
	s_barrier_wait -1
	s_and_saveexec_b32 s1, s103
	s_cbranch_execz .LBB112_960
; %bb.959:                              ;   in Loop: Header=BB112_3 Depth=1
	ds_load_b32 v25, v5 offset:2080
	s_wait_dscnt 0x0
	v_mul_f32_e32 v24, v24, v25
	s_delay_alu instid0(VALU_DEP_1)
	v_xor_b32_e32 v25, 0x80000000, v24
	ds_store_b32 v3, v25
.LBB112_960:                            ;   in Loop: Header=BB112_3 Depth=1
	s_or_b32 exec_lo, exec_lo, s1
	s_wait_dscnt 0x0
	s_barrier_signal -1
	s_barrier_wait -1
	s_barrier_signal -1
	s_barrier_wait -1
	s_and_saveexec_b32 s1, s2
; %bb.961:                              ;   in Loop: Header=BB112_3 Depth=1
	ds_store_b32 v32, v24 offset:2848
; %bb.962:                              ;   in Loop: Header=BB112_3 Depth=1
	s_or_b32 exec_lo, exec_lo, s1
	s_wait_dscnt 0x0
	s_barrier_signal -1
	s_barrier_wait -1
	s_barrier_signal -1
	s_barrier_wait -1
	s_and_saveexec_b32 s1, s15
	s_cbranch_execz .LBB112_964
; %bb.963:                              ;   in Loop: Header=BB112_3 Depth=1
	ds_load_b64 v[24:25], v5 offset:2336
	ds_load_b32 v26, v5 offset:2080
	s_wait_dscnt 0x0
	v_mul_f32_e32 v25, v26, v25
	s_delay_alu instid0(VALU_DEP_1)
	v_mul_f32_e32 v24, v24, v25
	ds_store_b32 v5, v24 offset:2336
.LBB112_964:                            ;   in Loop: Header=BB112_3 Depth=1
	s_or_b32 exec_lo, exec_lo, s1
	v_mov_b32_e32 v24, 0
	s_wait_dscnt 0x0
	s_barrier_signal -1
	s_barrier_wait -1
	global_wb scope:SCOPE_DEV
	s_wait_storecnt 0x0
	global_inv scope:SCOPE_DEV
	s_and_saveexec_b32 s10, s4
	s_cbranch_execz .LBB112_974
; %bb.965:                              ;   in Loop: Header=BB112_3 Depth=1
	ds_load_b32 v24, v39 offset:2048
	ds_load_b32 v25, v38 offset:3872
	s_wait_dscnt 0x0
	v_fma_f32 v24, v24, v25, 0
	s_and_saveexec_b32 s1, s19
	s_cbranch_execnz .LBB112_1187
; %bb.966:                              ;   in Loop: Header=BB112_3 Depth=1
	s_or_b32 exec_lo, exec_lo, s1
	s_and_saveexec_b32 s1, s20
	s_cbranch_execnz .LBB112_1188
.LBB112_967:                            ;   in Loop: Header=BB112_3 Depth=1
	s_or_b32 exec_lo, exec_lo, s1
	s_and_saveexec_b32 s1, s21
	s_cbranch_execnz .LBB112_1189
.LBB112_968:                            ;   in Loop: Header=BB112_3 Depth=1
	s_or_b32 exec_lo, exec_lo, s1
	s_and_saveexec_b32 s1, s22
	s_cbranch_execnz .LBB112_1190
.LBB112_969:                            ;   in Loop: Header=BB112_3 Depth=1
	s_or_b32 exec_lo, exec_lo, s1
	s_and_saveexec_b32 s1, s23
	s_cbranch_execnz .LBB112_1191
.LBB112_970:                            ;   in Loop: Header=BB112_3 Depth=1
	s_or_b32 exec_lo, exec_lo, s1
	s_and_saveexec_b32 s1, s3
	s_cbranch_execnz .LBB112_1192
.LBB112_971:                            ;   in Loop: Header=BB112_3 Depth=1
	s_or_b32 exec_lo, exec_lo, s1
	s_and_saveexec_b32 s1, s18
	s_cbranch_execz .LBB112_973
.LBB112_972:                            ;   in Loop: Header=BB112_3 Depth=1
	ds_load_b32 v25, v31 offset:3840
	ds_load_b32 v26, v5 offset:3900
	s_wait_dscnt 0x0
	v_fmac_f32_e32 v24, v25, v26
.LBB112_973:                            ;   in Loop: Header=BB112_3 Depth=1
	s_or_b32 exec_lo, exec_lo, s1
.LBB112_974:                            ;   in Loop: Header=BB112_3 Depth=1
	s_delay_alu instid0(SALU_CYCLE_1)
	s_or_b32 exec_lo, exec_lo, s10
	s_and_saveexec_b32 s1, s40
	s_cbranch_execz .LBB112_976
; %bb.975:                              ;   in Loop: Header=BB112_3 Depth=1
	ds_load_b32 v25, v5 offset:1820
	s_wait_dscnt 0x0
	v_mul_f32_e32 v24, v24, v25
	s_delay_alu instid0(VALU_DEP_1)
	v_xor_b32_e32 v25, 0x80000000, v24
	ds_store_b32 v37, v25
.LBB112_976:                            ;   in Loop: Header=BB112_3 Depth=1
	s_or_b32 exec_lo, exec_lo, s1
	s_wait_loadcnt_dscnt 0x0
	s_barrier_signal -1
	s_barrier_wait -1
	s_and_saveexec_b32 s1, s41
	s_cbranch_execz .LBB112_978
; %bb.977:                              ;   in Loop: Header=BB112_3 Depth=1
	ds_load_b32 v25, v39 offset:1792
	ds_load_b32 v26, v37
	s_wait_dscnt 0x0
	v_fma_f32 v24, -v25, v26, v24
.LBB112_978:                            ;   in Loop: Header=BB112_3 Depth=1
	s_or_b32 exec_lo, exec_lo, s1
	s_barrier_signal -1
	s_barrier_wait -1
	s_and_saveexec_b32 s1, s42
	s_cbranch_execz .LBB112_980
; %bb.979:                              ;   in Loop: Header=BB112_3 Depth=1
	ds_load_b32 v25, v5 offset:1560
	s_wait_dscnt 0x0
	v_mul_f32_e32 v24, v24, v25
	s_delay_alu instid0(VALU_DEP_1)
	v_xor_b32_e32 v25, 0x80000000, v24
	ds_store_b32 v37, v25
.LBB112_980:                            ;   in Loop: Header=BB112_3 Depth=1
	s_or_b32 exec_lo, exec_lo, s1
	s_wait_dscnt 0x0
	s_barrier_signal -1
	s_barrier_wait -1
	s_and_saveexec_b32 s1, s43
	s_cbranch_execz .LBB112_982
; %bb.981:                              ;   in Loop: Header=BB112_3 Depth=1
	ds_load_b32 v25, v39 offset:1536
	ds_load_b32 v26, v37
	s_wait_dscnt 0x0
	v_fma_f32 v24, -v25, v26, v24
.LBB112_982:                            ;   in Loop: Header=BB112_3 Depth=1
	s_or_b32 exec_lo, exec_lo, s1
	s_barrier_signal -1
	s_barrier_wait -1
	s_and_saveexec_b32 s1, s44
	s_cbranch_execz .LBB112_984
; %bb.983:                              ;   in Loop: Header=BB112_3 Depth=1
	ds_load_b32 v25, v5 offset:1300
	s_wait_dscnt 0x0
	v_mul_f32_e32 v24, v24, v25
	s_delay_alu instid0(VALU_DEP_1)
	v_xor_b32_e32 v25, 0x80000000, v24
	ds_store_b32 v37, v25
.LBB112_984:                            ;   in Loop: Header=BB112_3 Depth=1
	s_or_b32 exec_lo, exec_lo, s1
	s_wait_dscnt 0x0
	;; [unrolled: 25-line block ×5, first 2 shown]
	s_barrier_signal -1
	s_barrier_wait -1
	s_and_saveexec_b32 s1, s51
	s_cbranch_execz .LBB112_998
; %bb.997:                              ;   in Loop: Header=BB112_3 Depth=1
	ds_load_b32 v25, v39 offset:512
	ds_load_b32 v26, v37
	s_wait_dscnt 0x0
	v_fma_f32 v24, -v25, v26, v24
.LBB112_998:                            ;   in Loop: Header=BB112_3 Depth=1
	s_or_b32 exec_lo, exec_lo, s1
	s_barrier_signal -1
	s_barrier_wait -1
	s_and_saveexec_b32 s1, s52
	s_cbranch_execz .LBB112_1000
; %bb.999:                              ;   in Loop: Header=BB112_3 Depth=1
	ds_load_b32 v25, v5 offset:260
	s_wait_dscnt 0x0
	v_mul_f32_e32 v24, v24, v25
	s_delay_alu instid0(VALU_DEP_1)
	v_xor_b32_e32 v25, 0x80000000, v24
	ds_store_b32 v37, v25
.LBB112_1000:                           ;   in Loop: Header=BB112_3 Depth=1
	s_or_b32 exec_lo, exec_lo, s1
	s_wait_dscnt 0x0
	s_barrier_signal -1
	s_barrier_wait -1
	s_and_saveexec_b32 s1, s53
	s_cbranch_execz .LBB112_1002
; %bb.1001:                             ;   in Loop: Header=BB112_3 Depth=1
	ds_load_b32 v25, v5 offset:256
	ds_load_b32 v26, v37
	s_wait_dscnt 0x0
	v_fma_f32 v24, -v25, v26, v24
.LBB112_1002:                           ;   in Loop: Header=BB112_3 Depth=1
	s_or_b32 exec_lo, exec_lo, s1
	s_barrier_signal -1
	s_barrier_wait -1
	s_and_saveexec_b32 s1, s53
	s_cbranch_execz .LBB112_1004
; %bb.1003:                             ;   in Loop: Header=BB112_3 Depth=1
	ds_load_b32 v25, v5
	s_wait_dscnt 0x0
	v_mul_f32_e32 v24, v24, v25
	s_delay_alu instid0(VALU_DEP_1)
	v_xor_b32_e32 v25, 0x80000000, v24
	ds_store_b32 v37, v25
.LBB112_1004:                           ;   in Loop: Header=BB112_3 Depth=1
	s_or_b32 exec_lo, exec_lo, s1
	s_wait_dscnt 0x0
	s_barrier_signal -1
	s_barrier_wait -1
	s_barrier_signal -1
	s_barrier_wait -1
	s_and_saveexec_b32 s1, s4
; %bb.1005:                             ;   in Loop: Header=BB112_3 Depth=1
	ds_store_b32 v40, v24 offset:3840
; %bb.1006:                             ;   in Loop: Header=BB112_3 Depth=1
	s_or_b32 exec_lo, exec_lo, s1
	s_wait_dscnt 0x0
	s_barrier_signal -1
	s_barrier_wait -1
	s_barrier_signal -1
	s_barrier_wait -1
	s_and_saveexec_b32 s1, s15
	s_cbranch_execz .LBB112_1008
; %bb.1007:                             ;   in Loop: Header=BB112_3 Depth=1
	ds_load_b64 v[24:25], v5 offset:1816
	ds_load_b32 v26, v5 offset:1560
	s_wait_dscnt 0x0
	v_mul_f32_e32 v25, v26, v25
	s_delay_alu instid0(VALU_DEP_1)
	v_mul_f32_e32 v24, v24, v25
	ds_store_b32 v5, v24 offset:1816
.LBB112_1008:                           ;   in Loop: Header=BB112_3 Depth=1
	s_or_b32 exec_lo, exec_lo, s1
	v_mov_b32_e32 v24, 0
	s_wait_dscnt 0x0
	s_barrier_signal -1
	s_barrier_wait -1
	global_wb scope:SCOPE_DEV
	s_wait_storecnt 0x0
	global_inv scope:SCOPE_DEV
	s_and_saveexec_b32 s1, s2
	s_cbranch_execz .LBB112_1012
; %bb.1009:                             ;   in Loop: Header=BB112_3 Depth=1
	ds_load_b32 v24, v30 offset:1552
	ds_load_b32 v25, v29 offset:1816
	s_wait_dscnt 0x0
	v_fma_f32 v24, v24, v25, 0
	s_and_saveexec_b32 s8, s16
	s_cbranch_execz .LBB112_1011
; %bb.1010:                             ;   in Loop: Header=BB112_3 Depth=1
	ds_load_b32 v25, v31 offset:1808
	ds_load_b32 v26, v5 offset:1820
	s_wait_dscnt 0x0
	v_fmac_f32_e32 v24, v25, v26
.LBB112_1011:                           ;   in Loop: Header=BB112_3 Depth=1
	s_or_b32 exec_lo, exec_lo, s8
.LBB112_1012:                           ;   in Loop: Header=BB112_3 Depth=1
	s_delay_alu instid0(SALU_CYCLE_1)
	s_or_b32 exec_lo, exec_lo, s1
	s_and_saveexec_b32 s1, s102
	s_cbranch_execz .LBB112_1014
; %bb.1013:                             ;   in Loop: Header=BB112_3 Depth=1
	ds_load_b32 v25, v5 offset:1300
	s_wait_dscnt 0x0
	v_mul_f32_e32 v24, v24, v25
	s_delay_alu instid0(VALU_DEP_1)
	v_xor_b32_e32 v25, 0x80000000, v24
	ds_store_b32 v3, v25
.LBB112_1014:                           ;   in Loop: Header=BB112_3 Depth=1
	s_or_b32 exec_lo, exec_lo, s1
	s_wait_loadcnt_dscnt 0x0
	s_barrier_signal -1
	s_barrier_wait -1
	s_and_saveexec_b32 s1, s103
	s_cbranch_execz .LBB112_1016
; %bb.1015:                             ;   in Loop: Header=BB112_3 Depth=1
	ds_load_b32 v25, v5 offset:1296
	ds_load_b32 v26, v3
	s_wait_dscnt 0x0
	v_fma_f32 v24, -v25, v26, v24
.LBB112_1016:                           ;   in Loop: Header=BB112_3 Depth=1
	s_or_b32 exec_lo, exec_lo, s1
	s_barrier_signal -1
	s_barrier_wait -1
	s_and_saveexec_b32 s1, s103
	s_cbranch_execz .LBB112_1018
; %bb.1017:                             ;   in Loop: Header=BB112_3 Depth=1
	ds_load_b32 v25, v5 offset:1040
	s_wait_dscnt 0x0
	v_mul_f32_e32 v24, v24, v25
	s_delay_alu instid0(VALU_DEP_1)
	v_xor_b32_e32 v25, 0x80000000, v24
	ds_store_b32 v3, v25
.LBB112_1018:                           ;   in Loop: Header=BB112_3 Depth=1
	s_or_b32 exec_lo, exec_lo, s1
	s_wait_dscnt 0x0
	s_barrier_signal -1
	s_barrier_wait -1
	s_barrier_signal -1
	s_barrier_wait -1
	s_and_saveexec_b32 s1, s2
; %bb.1019:                             ;   in Loop: Header=BB112_3 Depth=1
	ds_store_b32 v32, v24 offset:1808
; %bb.1020:                             ;   in Loop: Header=BB112_3 Depth=1
	s_or_b32 exec_lo, exec_lo, s1
	s_wait_dscnt 0x0
	s_barrier_signal -1
	s_barrier_wait -1
	s_barrier_signal -1
	s_barrier_wait -1
	s_and_saveexec_b32 s1, s15
	s_cbranch_execz .LBB112_1022
; %bb.1021:                             ;   in Loop: Header=BB112_3 Depth=1
	ds_load_b64 v[24:25], v5 offset:1296
	ds_load_b32 v26, v5 offset:1040
	s_wait_dscnt 0x0
	v_mul_f32_e32 v25, v26, v25
	s_delay_alu instid0(VALU_DEP_1)
	v_mul_f32_e32 v24, v24, v25
	ds_store_b32 v5, v24 offset:1296
.LBB112_1022:                           ;   in Loop: Header=BB112_3 Depth=1
	s_or_b32 exec_lo, exec_lo, s1
	v_mov_b32_e32 v24, 0
	s_wait_dscnt 0x0
	s_barrier_signal -1
	s_barrier_wait -1
	global_wb scope:SCOPE_DEV
	s_wait_storecnt 0x0
	global_inv scope:SCOPE_DEV
	s_and_saveexec_b32 s10, s3
	s_cbranch_execz .LBB112_1028
; %bb.1023:                             ;   in Loop: Header=BB112_3 Depth=1
	ds_load_b32 v24, v35 offset:1024
	ds_load_b32 v25, v34 offset:1808
	s_wait_dscnt 0x0
	v_fma_f32 v24, v24, v25, 0
	s_and_saveexec_b32 s1, s17
	s_cbranch_execnz .LBB112_1193
; %bb.1024:                             ;   in Loop: Header=BB112_3 Depth=1
	s_or_b32 exec_lo, exec_lo, s1
	s_and_saveexec_b32 s1, s18
	s_cbranch_execnz .LBB112_1194
.LBB112_1025:                           ;   in Loop: Header=BB112_3 Depth=1
	s_or_b32 exec_lo, exec_lo, s1
	s_and_saveexec_b32 s1, s2
	s_cbranch_execz .LBB112_1027
.LBB112_1026:                           ;   in Loop: Header=BB112_3 Depth=1
	ds_load_b32 v25, v31 offset:1792
	ds_load_b32 v26, v5 offset:1820
	s_wait_dscnt 0x0
	v_fmac_f32_e32 v24, v25, v26
.LBB112_1027:                           ;   in Loop: Header=BB112_3 Depth=1
	s_or_b32 exec_lo, exec_lo, s1
.LBB112_1028:                           ;   in Loop: Header=BB112_3 Depth=1
	s_delay_alu instid0(SALU_CYCLE_1)
	s_or_b32 exec_lo, exec_lo, s10
	s_and_saveexec_b32 s1, s104
	s_cbranch_execz .LBB112_1030
; %bb.1029:                             ;   in Loop: Header=BB112_3 Depth=1
	ds_load_b32 v25, v5 offset:780
	s_wait_dscnt 0x0
	v_mul_f32_e32 v24, v24, v25
	s_delay_alu instid0(VALU_DEP_1)
	v_xor_b32_e32 v25, 0x80000000, v24
	ds_store_b32 v33, v25
.LBB112_1030:                           ;   in Loop: Header=BB112_3 Depth=1
	s_or_b32 exec_lo, exec_lo, s1
	s_wait_loadcnt_dscnt 0x0
	s_barrier_signal -1
	s_barrier_wait -1
	s_and_saveexec_b32 s1, vcc_hi
	s_cbranch_execz .LBB112_1032
; %bb.1031:                             ;   in Loop: Header=BB112_3 Depth=1
	ds_load_b32 v25, v35 offset:768
	ds_load_b32 v26, v33
	s_wait_dscnt 0x0
	v_fma_f32 v24, -v25, v26, v24
.LBB112_1032:                           ;   in Loop: Header=BB112_3 Depth=1
	s_or_b32 exec_lo, exec_lo, s1
	s_barrier_signal -1
	s_barrier_wait -1
	s_and_saveexec_b32 s1, s36
	s_cbranch_execz .LBB112_1034
; %bb.1033:                             ;   in Loop: Header=BB112_3 Depth=1
	ds_load_b32 v25, v5 offset:520
	s_wait_dscnt 0x0
	v_mul_f32_e32 v24, v24, v25
	s_delay_alu instid0(VALU_DEP_1)
	v_xor_b32_e32 v25, 0x80000000, v24
	ds_store_b32 v33, v25
.LBB112_1034:                           ;   in Loop: Header=BB112_3 Depth=1
	s_or_b32 exec_lo, exec_lo, s1
	s_wait_dscnt 0x0
	s_barrier_signal -1
	s_barrier_wait -1
	s_and_saveexec_b32 s1, s37
	s_cbranch_execz .LBB112_1036
; %bb.1035:                             ;   in Loop: Header=BB112_3 Depth=1
	ds_load_b32 v25, v35 offset:512
	ds_load_b32 v26, v33
	s_wait_dscnt 0x0
	v_fma_f32 v24, -v25, v26, v24
.LBB112_1036:                           ;   in Loop: Header=BB112_3 Depth=1
	s_or_b32 exec_lo, exec_lo, s1
	s_barrier_signal -1
	s_barrier_wait -1
	s_and_saveexec_b32 s1, s38
	s_cbranch_execz .LBB112_1038
; %bb.1037:                             ;   in Loop: Header=BB112_3 Depth=1
	ds_load_b32 v25, v5 offset:260
	s_wait_dscnt 0x0
	v_mul_f32_e32 v24, v24, v25
	s_delay_alu instid0(VALU_DEP_1)
	v_xor_b32_e32 v25, 0x80000000, v24
	ds_store_b32 v33, v25
.LBB112_1038:                           ;   in Loop: Header=BB112_3 Depth=1
	s_or_b32 exec_lo, exec_lo, s1
	s_wait_dscnt 0x0
	s_barrier_signal -1
	s_barrier_wait -1
	s_and_saveexec_b32 s1, s39
	s_cbranch_execz .LBB112_1040
; %bb.1039:                             ;   in Loop: Header=BB112_3 Depth=1
	ds_load_b32 v25, v5 offset:256
	ds_load_b32 v26, v33
	s_wait_dscnt 0x0
	v_fma_f32 v24, -v25, v26, v24
.LBB112_1040:                           ;   in Loop: Header=BB112_3 Depth=1
	s_or_b32 exec_lo, exec_lo, s1
	s_barrier_signal -1
	s_barrier_wait -1
	s_and_saveexec_b32 s1, s39
	s_cbranch_execz .LBB112_1042
; %bb.1041:                             ;   in Loop: Header=BB112_3 Depth=1
	ds_load_b32 v25, v5
	s_wait_dscnt 0x0
	v_mul_f32_e32 v24, v24, v25
	s_delay_alu instid0(VALU_DEP_1)
	v_xor_b32_e32 v25, 0x80000000, v24
	ds_store_b32 v33, v25
.LBB112_1042:                           ;   in Loop: Header=BB112_3 Depth=1
	s_or_b32 exec_lo, exec_lo, s1
	s_wait_dscnt 0x0
	s_barrier_signal -1
	s_barrier_wait -1
	s_barrier_signal -1
	s_barrier_wait -1
	s_and_saveexec_b32 s1, s3
; %bb.1043:                             ;   in Loop: Header=BB112_3 Depth=1
	ds_store_b32 v36, v24 offset:1792
; %bb.1044:                             ;   in Loop: Header=BB112_3 Depth=1
	s_or_b32 exec_lo, exec_lo, s1
	s_wait_dscnt 0x0
	s_barrier_signal -1
	s_barrier_wait -1
	s_barrier_signal -1
	s_barrier_wait -1
	s_and_saveexec_b32 s1, s15
	s_cbranch_execz .LBB112_1046
; %bb.1045:                             ;   in Loop: Header=BB112_3 Depth=1
	ds_load_b64 v[24:25], v5 offset:776
	ds_load_b32 v26, v5 offset:520
	s_wait_dscnt 0x0
	v_mul_f32_e32 v25, v26, v25
	s_delay_alu instid0(VALU_DEP_1)
	v_mul_f32_e32 v24, v24, v25
	ds_store_b32 v5, v24 offset:776
.LBB112_1046:                           ;   in Loop: Header=BB112_3 Depth=1
	s_or_b32 exec_lo, exec_lo, s1
	v_mov_b32_e32 v24, 0
	s_wait_dscnt 0x0
	s_barrier_signal -1
	s_barrier_wait -1
	global_wb scope:SCOPE_DEV
	s_wait_storecnt 0x0
	global_inv scope:SCOPE_DEV
	s_and_saveexec_b32 s1, s2
	s_cbranch_execz .LBB112_1050
; %bb.1047:                             ;   in Loop: Header=BB112_3 Depth=1
	ds_load_b32 v24, v30 offset:512
	ds_load_b32 v25, v29 offset:776
	s_wait_dscnt 0x0
	v_fma_f32 v24, v24, v25, 0
	s_and_saveexec_b32 s8, s16
	s_cbranch_execz .LBB112_1049
; %bb.1048:                             ;   in Loop: Header=BB112_3 Depth=1
	ds_load_b32 v25, v31 offset:768
	ds_load_b32 v26, v5 offset:780
	s_wait_dscnt 0x0
	v_fmac_f32_e32 v24, v25, v26
.LBB112_1049:                           ;   in Loop: Header=BB112_3 Depth=1
	s_or_b32 exec_lo, exec_lo, s8
.LBB112_1050:                           ;   in Loop: Header=BB112_3 Depth=1
	s_delay_alu instid0(SALU_CYCLE_1)
	s_or_b32 exec_lo, exec_lo, s1
	s_and_saveexec_b32 s1, s102
	s_cbranch_execz .LBB112_1052
; %bb.1051:                             ;   in Loop: Header=BB112_3 Depth=1
	ds_load_b32 v25, v5 offset:260
	s_wait_dscnt 0x0
	v_mul_f32_e32 v24, v24, v25
	s_delay_alu instid0(VALU_DEP_1)
	v_xor_b32_e32 v25, 0x80000000, v24
	ds_store_b32 v3, v25
.LBB112_1052:                           ;   in Loop: Header=BB112_3 Depth=1
	s_or_b32 exec_lo, exec_lo, s1
	s_wait_loadcnt_dscnt 0x0
	s_barrier_signal -1
	s_barrier_wait -1
	s_and_saveexec_b32 s1, s103
	s_cbranch_execz .LBB112_1054
; %bb.1053:                             ;   in Loop: Header=BB112_3 Depth=1
	ds_load_b32 v25, v5 offset:256
	ds_load_b32 v26, v3
	s_wait_dscnt 0x0
	v_fma_f32 v24, -v25, v26, v24
.LBB112_1054:                           ;   in Loop: Header=BB112_3 Depth=1
	s_or_b32 exec_lo, exec_lo, s1
	s_barrier_signal -1
	s_barrier_wait -1
	s_and_saveexec_b32 s1, s103
	s_cbranch_execz .LBB112_1056
; %bb.1055:                             ;   in Loop: Header=BB112_3 Depth=1
	ds_load_b32 v25, v5
	s_wait_dscnt 0x0
	v_mul_f32_e32 v24, v24, v25
	s_delay_alu instid0(VALU_DEP_1)
	v_xor_b32_e32 v25, 0x80000000, v24
	ds_store_b32 v3, v25
.LBB112_1056:                           ;   in Loop: Header=BB112_3 Depth=1
	s_or_b32 exec_lo, exec_lo, s1
	s_wait_dscnt 0x0
	s_barrier_signal -1
	s_barrier_wait -1
	s_barrier_signal -1
	s_barrier_wait -1
	s_and_saveexec_b32 s1, s2
; %bb.1057:                             ;   in Loop: Header=BB112_3 Depth=1
	ds_store_b32 v32, v24 offset:768
; %bb.1058:                             ;   in Loop: Header=BB112_3 Depth=1
	s_or_b32 exec_lo, exec_lo, s1
	s_wait_dscnt 0x0
	s_barrier_signal -1
	s_barrier_wait -1
	s_barrier_signal -1
	s_barrier_wait -1
	s_and_saveexec_b32 s1, s15
	s_cbranch_execz .LBB112_1060
; %bb.1059:                             ;   in Loop: Header=BB112_3 Depth=1
	ds_load_b64 v[24:25], v5 offset:256
	ds_load_b32 v26, v5
	s_wait_dscnt 0x0
	v_mul_f32_e32 v25, v26, v25
	s_delay_alu instid0(VALU_DEP_1)
	v_mul_f32_e32 v24, v24, v25
	ds_store_b32 v5, v24 offset:256
.LBB112_1060:                           ;   in Loop: Header=BB112_3 Depth=1
	s_or_b32 exec_lo, exec_lo, s1
.LBB112_1061:                           ;   in Loop: Header=BB112_3 Depth=1
	v_add_nc_u64_e32 v[22:23], s[78:79], v[22:23]
	v_mov_b32_e32 v65, 0
	s_wait_dscnt 0x0
	s_barrier_signal -1
	s_barrier_wait -1
	s_and_saveexec_b32 s1, s12
	s_cbranch_execz .LBB112_1063
; %bb.1062:                             ;   in Loop: Header=BB112_3 Depth=1
	v_lshl_add_u64 v[24:25], v[0:1], 2, v[22:23]
	v_readlane_b32 s8, v74, 2
	flat_load_b32 v24, v[24:25]
	s_wait_loadcnt_dscnt 0x0
	v_mul_f32_e64 v65, v24, -s8
.LBB112_1063:                           ;   in Loop: Header=BB112_3 Depth=1
	s_or_b32 exec_lo, exec_lo, s1
	s_delay_alu instid0(SALU_CYCLE_1)
	s_and_not1_b32 vcc_lo, exec_lo, s55
	s_cbranch_vccnz .LBB112_1089
; %bb.1064:                             ;   in Loop: Header=BB112_3 Depth=1
	v_lshl_add_u64 v[20:21], v[6:7], 2, v[20:21]
	v_mov_b32_e32 v66, -1
	s_lshl_b64 s[8:9], s[70:71], 2
	s_mov_b32 s10, 0
	s_add_nc_u64 s[94:95], s[84:85], s[8:9]
	s_branch .LBB112_1067
.LBB112_1065:                           ;   in Loop: Header=BB112_1067 Depth=2
	s_wait_xcnt 0x0
	ds_load_b32 v24, v50 offset:192
	s_wait_loadcnt_dscnt 0x0
	v_fmac_f32_e32 v65, v26, v24
.LBB112_1066:                           ;   in Loop: Header=BB112_1067 Depth=2
	s_or_b32 exec_lo, exec_lo, s1
	s_add_co_i32 s10, s10, 1
	s_delay_alu instid0(SALU_CYCLE_1)
	s_cmp_eq_u32 s10, s96
	s_cbranch_scc1 .LBB112_1089
.LBB112_1067:                           ;   Parent Loop BB112_3 Depth=1
                                        ; =>  This Loop Header: Depth=2
                                        ;       Child Loop BB112_1069 Depth 3
	v_cmp_gt_i32_e32 vcc_lo, s10, v66
	s_and_b32 s8, s59, vcc_lo
	s_delay_alu instid0(SALU_CYCLE_1)
	s_and_saveexec_b32 s1, s8
	s_cbranch_execz .LBB112_1070
; %bb.1068:                             ;   in Loop: Header=BB112_1067 Depth=2
	global_load_b32 v66, v5, s[94:95]
	s_wait_loadcnt 0x0
	v_cmp_le_i32_e32 vcc_lo, s10, v66
	s_cbranch_vccnz .LBB112_1070
.LBB112_1069:                           ;   Parent Loop BB112_3 Depth=1
                                        ;     Parent Loop BB112_1067 Depth=2
                                        ; =>    This Inner Loop Header: Depth=3
	global_wb scope:SCOPE_DEV
	s_wait_storecnt 0x0
	global_inv scope:SCOPE_DEV
	global_load_b32 v66, v5, s[94:95]
	s_wait_loadcnt 0x0
	v_cmp_gt_i32_e32 vcc_lo, s10, v66
	s_cbranch_vccnz .LBB112_1069
.LBB112_1070:                           ;   in Loop: Header=BB112_1067 Depth=2
	s_or_b32 exec_lo, exec_lo, s1
	s_sub_co_i32 s1, s97, s10
	global_wb scope:SCOPE_DEV
	s_wait_storecnt 0x0
	global_inv scope:SCOPE_DEV
	s_lshl_b32 s8, s1, 6
	s_wait_loadcnt 0x0
	s_barrier_signal -1
	s_barrier_wait -1
	s_and_saveexec_b32 s9, s60
	s_cbranch_execz .LBB112_1074
; %bb.1071:                             ;   in Loop: Header=BB112_1067 Depth=2
	s_ashr_i32 s57, s8, 31
	s_delay_alu instid0(SALU_CYCLE_1) | instskip(SKIP_2) | instid1(VALU_DEP_1)
	v_dual_mov_b32 v26, 0 :: v_dual_mov_b32 v25, s57
	v_or_b32_e32 v24, s8, v4
	s_mov_b32 s57, exec_lo
	v_cmpx_gt_i64_e64 s[80:81], v[24:25]
	s_cbranch_execz .LBB112_1073
; %bb.1072:                             ;   in Loop: Header=BB112_1067 Depth=2
	v_mul_u64_e32 v[24:25], s[86:87], v[24:25]
	s_delay_alu instid0(VALU_DEP_1)
	v_lshl_add_u64 v[24:25], v[24:25], 2, v[22:23]
	flat_load_b32 v26, v[24:25]
.LBB112_1073:                           ;   in Loop: Header=BB112_1067 Depth=2
	s_wait_xcnt 0x0
	s_or_b32 exec_lo, exec_lo, s57
	s_wait_loadcnt_dscnt 0x0
	ds_store_b32 v49, v26
.LBB112_1074:                           ;   in Loop: Header=BB112_1067 Depth=2
	s_or_b32 exec_lo, exec_lo, s9
	v_add_nc_u32_e32 v26, s8, v28
	s_cmp_lg_u32 s1, s56
	s_wait_dscnt 0x0
	s_cselect_b32 s8, -1, 0
	s_barrier_signal -1
	v_ashrrev_i32_e32 v27, 31, v26
	v_cmp_gt_i32_e32 vcc_lo, s80, v26
	s_barrier_wait -1
	s_delay_alu instid0(VALU_DEP_2) | instskip(SKIP_2) | instid1(VALU_DEP_2)
	v_mul_u64_e32 v[24:25], s[82:83], v[26:27]
	v_cndmask_b32_e64 v27, 0, 1, s8
	s_and_b32 s9, s0, vcc_lo
	v_lshl_add_u64 v[24:25], v[24:25], 2, v[20:21]
	s_and_saveexec_b32 s1, s9
	s_cbranch_execz .LBB112_1078
; %bb.1075:                             ;   in Loop: Header=BB112_1067 Depth=2
	v_mov_b32_e32 v67, v61
	s_and_not1_b32 vcc_lo, exec_lo, s8
	s_cbranch_vccnz .LBB112_1077
; %bb.1076:                             ;   in Loop: Header=BB112_1067 Depth=2
	flat_load_b32 v67, v[24:25]
.LBB112_1077:                           ;   in Loop: Header=BB112_1067 Depth=2
	ds_load_b32 v68, v50
	s_wait_loadcnt_dscnt 0x0
	v_fmac_f32_e32 v65, v67, v68
.LBB112_1078:                           ;   in Loop: Header=BB112_1067 Depth=2
	s_or_b32 exec_lo, exec_lo, s1
	v_add_nc_u32_e32 v67, 16, v26
	s_delay_alu instid0(VALU_DEP_1) | instskip(SKIP_1) | instid1(SALU_CYCLE_1)
	v_cmp_gt_i32_e32 vcc_lo, s80, v67
	s_and_b32 s8, s0, vcc_lo
	s_and_saveexec_b32 s1, s8
	s_cbranch_execz .LBB112_1082
; %bb.1079:                             ;   in Loop: Header=BB112_1067 Depth=2
	v_cmp_ne_u32_e32 vcc_lo, 1, v27
	v_mov_b32_e32 v67, v62
	s_cbranch_vccnz .LBB112_1081
; %bb.1080:                             ;   in Loop: Header=BB112_1067 Depth=2
	v_add_nc_u64_e32 v[68:69], s[88:89], v[24:25]
	flat_load_b32 v67, v[68:69]
.LBB112_1081:                           ;   in Loop: Header=BB112_1067 Depth=2
	s_wait_xcnt 0x0
	ds_load_b32 v68, v50 offset:64
	s_wait_loadcnt_dscnt 0x0
	v_fmac_f32_e32 v65, v67, v68
.LBB112_1082:                           ;   in Loop: Header=BB112_1067 Depth=2
	s_or_b32 exec_lo, exec_lo, s1
	v_add_nc_u32_e32 v67, 32, v26
	s_delay_alu instid0(VALU_DEP_1) | instskip(SKIP_1) | instid1(SALU_CYCLE_1)
	v_cmp_gt_i32_e32 vcc_lo, s80, v67
	s_and_b32 s8, s0, vcc_lo
	s_and_saveexec_b32 s1, s8
	s_cbranch_execz .LBB112_1086
; %bb.1083:                             ;   in Loop: Header=BB112_1067 Depth=2
	v_cmp_ne_u32_e32 vcc_lo, 1, v27
	v_mov_b32_e32 v67, v63
	s_cbranch_vccnz .LBB112_1085
; %bb.1084:                             ;   in Loop: Header=BB112_1067 Depth=2
	v_add_nc_u64_e32 v[68:69], s[90:91], v[24:25]
	flat_load_b32 v67, v[68:69]
.LBB112_1085:                           ;   in Loop: Header=BB112_1067 Depth=2
	s_wait_xcnt 0x0
	ds_load_b32 v68, v50 offset:128
	s_wait_loadcnt_dscnt 0x0
	v_fmac_f32_e32 v65, v67, v68
.LBB112_1086:                           ;   in Loop: Header=BB112_1067 Depth=2
	s_or_b32 exec_lo, exec_lo, s1
	v_add_nc_u32_e32 v26, 48, v26
	s_delay_alu instid0(VALU_DEP_1) | instskip(SKIP_1) | instid1(SALU_CYCLE_1)
	v_cmp_gt_i32_e32 vcc_lo, s80, v26
	s_and_b32 s8, s0, vcc_lo
	s_and_saveexec_b32 s1, s8
	s_cbranch_execz .LBB112_1066
; %bb.1087:                             ;   in Loop: Header=BB112_1067 Depth=2
	v_cmp_ne_u32_e32 vcc_lo, 1, v27
	v_mov_b32_e32 v26, v64
	s_cbranch_vccnz .LBB112_1065
; %bb.1088:                             ;   in Loop: Header=BB112_1067 Depth=2
	v_add_nc_u64_e32 v[24:25], s[92:93], v[24:25]
	flat_load_b32 v26, v[24:25]
	s_branch .LBB112_1065
.LBB112_1089:                           ;   in Loop: Header=BB112_3 Depth=1
	ds_store_b32 v51, v65
	s_wait_dscnt 0x0
	s_barrier_signal -1
	s_barrier_wait -1
	s_and_saveexec_b32 s10, s7
	s_cbranch_execz .LBB112_1091
; %bb.1090:                             ;   in Loop: Header=BB112_3 Depth=1
	ds_load_2addr_stride64_b32 v[20:21], v52 offset0:1 offset1:2
	ds_load_2addr_stride64_b32 v[24:25], v52 offset0:3 offset1:4
	;; [unrolled: 1-line block ×4, first 2 shown]
	v_readlane_b32 s1, v72, 4
	s_wait_dscnt 0x3
	v_add_f32_e32 v20, v65, v20
	s_delay_alu instid0(VALU_DEP_1) | instskip(SKIP_1) | instid1(VALU_DEP_1)
	v_add_f32_e32 v20, v20, v21
	s_wait_dscnt 0x2
	v_add_f32_e32 v20, v20, v24
	s_delay_alu instid0(VALU_DEP_1) | instskip(SKIP_1) | instid1(VALU_DEP_1)
	v_add_f32_e32 v20, v20, v25
	s_wait_dscnt 0x1
	v_add_f32_e32 v24, v20, v26
	ds_load_2addr_stride64_b32 v[20:21], v52 offset0:9 offset1:10
	v_add_f32_e32 v24, v24, v27
	s_wait_dscnt 0x1
	s_delay_alu instid0(VALU_DEP_1)
	v_add_f32_e32 v26, v24, v66
	ds_load_2addr_stride64_b32 v[24:25], v52 offset0:11 offset1:12
	v_add_f32_e32 v65, v26, v67
	ds_load_2addr_stride64_b32 v[26:27], v52 offset0:13 offset1:14
	ds_load_b32 v66, v52 offset:3840
	s_wait_dscnt 0x3
	v_add_f32_e32 v20, v65, v20
	s_delay_alu instid0(VALU_DEP_1) | instskip(SKIP_1) | instid1(VALU_DEP_1)
	v_add_f32_e32 v20, v20, v21
	s_wait_dscnt 0x2
	v_add_f32_e32 v20, v20, v24
	s_delay_alu instid0(VALU_DEP_1) | instskip(SKIP_1) | instid1(VALU_DEP_1)
	v_add_f32_e32 v20, v20, v25
	s_wait_dscnt 0x1
	v_add_f32_e32 v20, v20, v26
	s_delay_alu instid0(VALU_DEP_1) | instskip(SKIP_1) | instid1(VALU_DEP_1)
	v_add_f32_e32 v20, v20, v27
	s_wait_dscnt 0x0
	v_add_f32_e32 v20, v20, v66
	s_delay_alu instid0(VALU_DEP_1)
	v_cndmask_b32_e64 v65, -v20, 0, s1
.LBB112_1091:                           ;   in Loop: Header=BB112_3 Depth=1
	s_or_b32 exec_lo, exec_lo, s10
	s_delay_alu instid0(SALU_CYCLE_1)
	s_and_not1_b32 vcc_lo, exec_lo, s101
	s_cbranch_vccnz .LBB112_1104
; %bb.1092:                             ;   in Loop: Header=BB112_3 Depth=1
	s_and_saveexec_b32 s1, s7
; %bb.1093:                             ;   in Loop: Header=BB112_3 Depth=1
	ds_store_b32 v54, v65
; %bb.1094:                             ;   in Loop: Header=BB112_3 Depth=1
	s_or_b32 exec_lo, exec_lo, s1
	v_mov_b32_e32 v20, 0
	s_wait_dscnt 0x0
	s_barrier_signal -1
	s_barrier_wait -1
	s_mov_b32 s1, exec_lo
	v_readlane_b32 s8, v71, 28
	s_and_b32 s8, s1, s8
	s_delay_alu instid0(SALU_CYCLE_1)
	s_mov_b32 exec_lo, s8
	s_cbranch_execz .LBB112_1096
; %bb.1095:                             ;   in Loop: Header=BB112_3 Depth=1
	ds_load_b32 v20, v53
	ds_load_b32 v21, v50
	s_wait_dscnt 0x0
	v_fma_f32 v20, v20, v21, 0
.LBB112_1096:                           ;   in Loop: Header=BB112_3 Depth=1
	s_or_b32 exec_lo, exec_lo, s1
	s_delay_alu instid0(SALU_CYCLE_1) | instskip(SKIP_2) | instid1(SALU_CYCLE_1)
	s_mov_b32 s1, exec_lo
	v_readlane_b32 s8, v71, 29
	s_and_b32 s8, s1, s8
	s_mov_b32 exec_lo, s8
	s_cbranch_execz .LBB112_1098
; %bb.1097:                             ;   in Loop: Header=BB112_3 Depth=1
	ds_load_b32 v21, v53 offset:4096
	ds_load_b32 v24, v50 offset:64
	s_wait_dscnt 0x0
	v_fmac_f32_e32 v20, v21, v24
.LBB112_1098:                           ;   in Loop: Header=BB112_3 Depth=1
	s_or_b32 exec_lo, exec_lo, s1
	s_delay_alu instid0(SALU_CYCLE_1) | instskip(SKIP_2) | instid1(SALU_CYCLE_1)
	s_mov_b32 s1, exec_lo
	v_readlane_b32 s8, v71, 30
	s_and_b32 s8, s1, s8
	s_mov_b32 exec_lo, s8
	s_cbranch_execz .LBB112_1100
; %bb.1099:                             ;   in Loop: Header=BB112_3 Depth=1
	ds_load_b32 v21, v53 offset:8192
	ds_load_b32 v24, v50 offset:128
	s_wait_dscnt 0x0
	v_fmac_f32_e32 v20, v21, v24
.LBB112_1100:                           ;   in Loop: Header=BB112_3 Depth=1
	;; [unrolled: 13-line block ×3, first 2 shown]
	s_or_b32 exec_lo, exec_lo, s1
	s_mov_b32 s10, 0
	s_mov_b32 s94, 0
	ds_store_b32 v51, v20
	s_wait_dscnt 0x0
	s_barrier_signal -1
	s_barrier_wait -1
                                        ; implicit-def: $vgpr21
	s_and_saveexec_b32 s95, s7
	s_cbranch_execz .LBB112_1141
; %bb.1103:                             ;   in Loop: Header=BB112_3 Depth=1
	ds_load_2addr_stride64_b32 v[24:25], v52 offset0:1 offset1:2
	ds_load_2addr_stride64_b32 v[26:27], v52 offset0:3 offset1:4
	;; [unrolled: 1-line block ×4, first 2 shown]
	s_mov_b32 s94, exec_lo
	s_wait_dscnt 0x3
	v_add_f32_e32 v20, v20, v24
	s_delay_alu instid0(VALU_DEP_1) | instskip(SKIP_1) | instid1(VALU_DEP_1)
	v_add_f32_e32 v20, v25, v20
	s_wait_dscnt 0x2
	v_add_f32_e32 v20, v26, v20
	s_delay_alu instid0(VALU_DEP_1) | instskip(SKIP_1) | instid1(VALU_DEP_1)
	v_add_f32_e32 v20, v27, v20
	s_wait_dscnt 0x1
	v_add_f32_e32 v24, v66, v20
	ds_load_2addr_stride64_b32 v[20:21], v52 offset0:9 offset1:10
	v_add_f32_e32 v24, v67, v24
	s_wait_dscnt 0x1
	s_delay_alu instid0(VALU_DEP_1)
	v_add_f32_e32 v26, v68, v24
	ds_load_2addr_stride64_b32 v[24:25], v52 offset0:11 offset1:12
	v_add_f32_e32 v66, v69, v26
	ds_load_2addr_stride64_b32 v[26:27], v52 offset0:13 offset1:14
	ds_load_b32 v67, v52 offset:3840
	s_wait_dscnt 0x3
	v_add_f32_e32 v20, v20, v66
	s_delay_alu instid0(VALU_DEP_1) | instskip(SKIP_1) | instid1(VALU_DEP_1)
	v_add_f32_e32 v20, v21, v20
	s_wait_dscnt 0x2
	v_add_f32_e32 v20, v24, v20
	s_delay_alu instid0(VALU_DEP_1) | instskip(SKIP_1) | instid1(VALU_DEP_1)
	v_add_f32_e32 v20, v25, v20
	;; [unrolled: 4-line block ×3, first 2 shown]
	s_wait_dscnt 0x0
	v_add_f32_e32 v21, v67, v20
	s_or_b32 exec_lo, exec_lo, s95
	s_delay_alu instid0(SALU_CYCLE_1)
	s_and_b32 vcc_lo, exec_lo, s10
	s_cbranch_vccnz .LBB112_1105
	s_branch .LBB112_1142
.LBB112_1104:                           ;   in Loop: Header=BB112_3 Depth=1
	s_mov_b32 s94, 0
                                        ; implicit-def: $vgpr21
	s_cbranch_execz .LBB112_1142
.LBB112_1105:                           ;   in Loop: Header=BB112_3 Depth=1
	v_dual_mov_b32 v20, v60 :: v_dual_mov_b32 v21, v59
	s_mov_b32 s10, 63
	s_branch .LBB112_1107
.LBB112_1106:                           ;   in Loop: Header=BB112_1107 Depth=2
	s_or_b32 exec_lo, exec_lo, s1
	v_add_nc_u32_e32 v21, 0xfffffc00, v21
	v_add_nc_u32_e32 v20, 4, v20
	s_add_co_i32 s10, s10, -4
	s_cmp_lg_u32 s95, 0
	s_barrier_signal -1
	s_barrier_wait -1
	s_cbranch_scc0 .LBB112_1123
.LBB112_1107:                           ;   Parent Loop BB112_3 Depth=1
                                        ; =>  This Inner Loop Header: Depth=2
	s_delay_alu instid0(VALU_DEP_1) | instskip(SKIP_1) | instid1(SALU_CYCLE_1)
	v_cmp_eq_u32_e32 vcc_lo, 0, v20
	s_and_b32 s8, s7, vcc_lo
	s_and_saveexec_b32 s1, s8
	s_cbranch_execz .LBB112_1109
; %bb.1108:                             ;   in Loop: Header=BB112_1107 Depth=2
	ds_load_b32 v24, v55
	s_wait_dscnt 0x0
	v_mul_f32_e32 v65, v65, v24
	ds_store_b32 v5, v65 offset:20736
.LBB112_1109:                           ;   in Loop: Header=BB112_1107 Depth=2
	s_or_b32 exec_lo, exec_lo, s1
	v_cmp_gt_u32_e32 vcc_lo, s10, v2
	s_wait_dscnt 0x0
	s_barrier_signal -1
	s_barrier_wait -1
	s_and_b32 s8, s7, vcc_lo
	s_delay_alu instid0(SALU_CYCLE_1)
	s_and_saveexec_b32 s1, s8
	s_cbranch_execz .LBB112_1111
; %bb.1110:                             ;   in Loop: Header=BB112_1107 Depth=2
	ds_load_b32 v24, v21 offset:768
	ds_load_b32 v25, v5 offset:20736
	s_wait_dscnt 0x0
	v_fmac_f32_e32 v65, v24, v25
.LBB112_1111:                           ;   in Loop: Header=BB112_1107 Depth=2
	s_or_b32 exec_lo, exec_lo, s1
	s_add_co_i32 s1, s10, -1
	s_delay_alu instid0(SALU_CYCLE_1) | instskip(SKIP_3) | instid1(SALU_CYCLE_1)
	v_cmp_eq_u32_e32 vcc_lo, s1, v2
	s_barrier_signal -1
	s_barrier_wait -1
	s_and_b32 s9, s7, vcc_lo
	s_and_saveexec_b32 s8, s9
	s_cbranch_execz .LBB112_1113
; %bb.1112:                             ;   in Loop: Header=BB112_1107 Depth=2
	ds_load_b32 v24, v55
	s_wait_dscnt 0x0
	v_mul_f32_e32 v65, v65, v24
	ds_store_b32 v5, v65 offset:20736
.LBB112_1113:                           ;   in Loop: Header=BB112_1107 Depth=2
	s_or_b32 exec_lo, exec_lo, s8
	v_cmp_gt_u32_e32 vcc_lo, s1, v2
	s_wait_dscnt 0x0
	s_barrier_signal -1
	s_barrier_wait -1
	s_and_b32 s8, s7, vcc_lo
	s_delay_alu instid0(SALU_CYCLE_1)
	s_and_saveexec_b32 s1, s8
	s_cbranch_execz .LBB112_1115
; %bb.1114:                             ;   in Loop: Header=BB112_1107 Depth=2
	ds_load_b32 v24, v21 offset:512
	ds_load_b32 v25, v5 offset:20736
	s_wait_dscnt 0x0
	v_fmac_f32_e32 v65, v24, v25
.LBB112_1115:                           ;   in Loop: Header=BB112_1107 Depth=2
	s_or_b32 exec_lo, exec_lo, s1
	s_add_co_i32 s1, s10, -2
	s_delay_alu instid0(SALU_CYCLE_1) | instskip(SKIP_3) | instid1(SALU_CYCLE_1)
	v_cmp_eq_u32_e32 vcc_lo, s1, v2
	s_barrier_signal -1
	s_barrier_wait -1
	;; [unrolled: 30-line block ×3, first 2 shown]
	s_and_b32 s8, s7, vcc_lo
	s_and_saveexec_b32 s1, s8
	s_cbranch_execz .LBB112_1121
; %bb.1120:                             ;   in Loop: Header=BB112_1107 Depth=2
	ds_load_b32 v24, v55
	s_wait_dscnt 0x0
	v_mul_f32_e32 v65, v65, v24
	ds_store_b32 v5, v65 offset:20736
.LBB112_1121:                           ;   in Loop: Header=BB112_1107 Depth=2
	s_or_b32 exec_lo, exec_lo, s1
	v_cmp_gt_u32_e32 vcc_lo, s95, v2
	s_wait_dscnt 0x0
	s_barrier_signal -1
	s_barrier_wait -1
	s_and_b32 s8, s7, vcc_lo
	s_delay_alu instid0(SALU_CYCLE_1)
	s_and_saveexec_b32 s1, s8
	s_cbranch_execz .LBB112_1106
; %bb.1122:                             ;   in Loop: Header=BB112_1107 Depth=2
	ds_load_b32 v24, v21
	ds_load_b32 v25, v5 offset:20736
	s_wait_dscnt 0x0
	v_fmac_f32_e32 v65, v24, v25
	s_branch .LBB112_1106
.LBB112_1123:                           ;   in Loop: Header=BB112_3 Depth=1
	s_and_b32 vcc_lo, exec_lo, s98
	s_mov_b32 s1, -1
	s_cbranch_vccnz .LBB112_1143
; %bb.1124:                             ;   in Loop: Header=BB112_3 Depth=1
	s_and_not1_b32 vcc_lo, exec_lo, s1
	s_cbranch_vccz .LBB112_1144
.LBB112_1125:                           ;   in Loop: Header=BB112_3 Depth=1
	s_and_saveexec_b32 s1, s94
	s_cbranch_execz .LBB112_1127
.LBB112_1126:                           ;   in Loop: Header=BB112_3 Depth=1
	v_lshl_add_u64 v[20:21], v[10:11], 2, v[22:23]
	flat_store_b32 v[20:21], v65
.LBB112_1127:                           ;   in Loop: Header=BB112_3 Depth=1
	s_wait_xcnt 0x0
	s_or_b32 exec_lo, exec_lo, s1
	global_wb scope:SCOPE_DEV
	s_wait_storecnt_dscnt 0x0
	global_inv scope:SCOPE_DEV
	s_wait_loadcnt 0x0
	s_barrier_signal -1
	s_barrier_wait -1
	s_and_saveexec_b32 s1, s59
	s_cbranch_execz .LBB112_2
; %bb.1128:                             ;   in Loop: Header=BB112_3 Depth=1
	s_lshl_b64 s[8:9], s[70:71], 2
	s_delay_alu instid0(SALU_CYCLE_1)
	s_add_nc_u64 s[8:9], s[84:85], s[8:9]
	global_load_b32 v20, v5, s[8:9]
	s_wait_loadcnt 0x0
	v_add_nc_u32_e32 v20, 1, v20
	global_store_b32 v5, v20, s[8:9]
	s_branch .LBB112_2
.LBB112_1129:                           ;   in Loop: Header=BB112_3 Depth=1
	s_mov_b32 s8, exec_lo
	v_readlane_b32 s9, v72, 18
	s_and_b32 s9, s8, s9
	s_delay_alu instid0(SALU_CYCLE_1)
	s_xor_b32 s8, s9, s8
	s_mov_b32 exec_lo, s9
	s_cbranch_execz .LBB112_1131
; %bb.1130:                             ;   in Loop: Header=BB112_3 Depth=1
	v_readlane_b32 s1, v70, 0
	s_and_b32 s1, s1, exec_lo
.LBB112_1131:                           ;   in Loop: Header=BB112_3 Depth=1
	s_or_saveexec_b32 s8, s8
	v_mov_b32_e32 v24, 0
	s_xor_b32 exec_lo, exec_lo, s8
	s_cbranch_execz .LBB112_1133
; %bb.1132:                             ;   in Loop: Header=BB112_3 Depth=1
	v_lshl_add_u64 v[24:25], v[12:13], 2, v[20:21]
	s_or_b32 s1, s1, exec_lo
	flat_load_b32 v24, v[24:25]
	s_wait_loadcnt_dscnt 0x0
	v_div_scale_f32 v25, null, v24, v24, 1.0
	s_delay_alu instid0(VALU_DEP_1) | instskip(SKIP_1) | instid1(TRANS32_DEP_1)
	v_rcp_f32_e32 v26, v25
	v_nop
	v_fma_f32 v27, -v25, v26, 1.0
	s_delay_alu instid0(VALU_DEP_1) | instskip(SKIP_1) | instid1(VALU_DEP_1)
	v_fmac_f32_e32 v26, v27, v26
	v_div_scale_f32 v27, vcc_lo, 1.0, v24, 1.0
	v_mul_f32_e32 v65, v27, v26
	s_delay_alu instid0(VALU_DEP_1) | instskip(NEXT) | instid1(VALU_DEP_1)
	v_fma_f32 v66, -v25, v65, v27
	v_fmac_f32_e32 v65, v66, v26
	s_delay_alu instid0(VALU_DEP_1) | instskip(NEXT) | instid1(VALU_DEP_1)
	v_fma_f32 v25, -v25, v65, v27
	v_div_fmas_f32 v25, v25, v26, v65
	s_delay_alu instid0(VALU_DEP_1)
	v_div_fixup_f32 v24, v25, v24, 1.0
.LBB112_1133:                           ;   in Loop: Header=BB112_3 Depth=1
	s_or_b32 exec_lo, exec_lo, s8
	s_delay_alu instid0(SALU_CYCLE_1)
	s_and_b32 s1, s1, exec_lo
	s_and_not1_saveexec_b32 s8, s10
	s_cbranch_execz .LBB112_16
.LBB112_1134:                           ;   in Loop: Header=BB112_3 Depth=1
	v_lshl_add_u64 v[24:25], v[12:13], 2, v[20:21]
	s_or_b32 s1, s1, exec_lo
	flat_load_b32 v24, v[24:25]
	s_wait_loadcnt_dscnt 0x0
	v_xor_b32_e32 v24, 0x80000000, v24
	s_or_b32 exec_lo, exec_lo, s8
	s_and_saveexec_b32 s8, s1
	s_cbranch_execnz .LBB112_17
	s_branch .LBB112_18
.LBB112_1135:                           ;   in Loop: Header=BB112_3 Depth=1
	s_mov_b32 s8, exec_lo
	v_readlane_b32 s9, v72, 19
	s_and_b32 s9, s8, s9
	s_delay_alu instid0(SALU_CYCLE_1)
	s_xor_b32 s8, s9, s8
	s_mov_b32 exec_lo, s9
	s_cbranch_execz .LBB112_1137
; %bb.1136:                             ;   in Loop: Header=BB112_3 Depth=1
	v_readlane_b32 s1, v70, 0
	s_and_b32 s1, s1, exec_lo
.LBB112_1137:                           ;   in Loop: Header=BB112_3 Depth=1
	s_or_saveexec_b32 s8, s8
	v_mov_b32_e32 v24, 0
	s_xor_b32 exec_lo, exec_lo, s8
	s_cbranch_execz .LBB112_1139
; %bb.1138:                             ;   in Loop: Header=BB112_3 Depth=1
	v_lshl_add_u64 v[24:25], v[12:13], 2, v[20:21]
	s_or_b32 s1, s1, exec_lo
	flat_load_b32 v24, v[24:25]
	s_wait_loadcnt_dscnt 0x0
	v_div_scale_f32 v25, null, v24, v24, 1.0
	s_delay_alu instid0(VALU_DEP_1) | instskip(SKIP_1) | instid1(TRANS32_DEP_1)
	v_rcp_f32_e32 v26, v25
	v_nop
	v_fma_f32 v27, -v25, v26, 1.0
	s_delay_alu instid0(VALU_DEP_1) | instskip(SKIP_1) | instid1(VALU_DEP_1)
	v_fmac_f32_e32 v26, v27, v26
	v_div_scale_f32 v27, vcc_lo, 1.0, v24, 1.0
	v_mul_f32_e32 v65, v27, v26
	s_delay_alu instid0(VALU_DEP_1) | instskip(NEXT) | instid1(VALU_DEP_1)
	v_fma_f32 v66, -v25, v65, v27
	v_fmac_f32_e32 v65, v66, v26
	s_delay_alu instid0(VALU_DEP_1) | instskip(NEXT) | instid1(VALU_DEP_1)
	v_fma_f32 v25, -v25, v65, v27
	v_div_fmas_f32 v25, v25, v26, v65
	s_delay_alu instid0(VALU_DEP_1)
	v_div_fixup_f32 v24, v25, v24, 1.0
.LBB112_1139:                           ;   in Loop: Header=BB112_3 Depth=1
	s_or_b32 exec_lo, exec_lo, s8
	s_delay_alu instid0(SALU_CYCLE_1)
	s_and_b32 s1, s1, exec_lo
	s_and_not1_saveexec_b32 s8, s10
	s_cbranch_execz .LBB112_52
.LBB112_1140:                           ;   in Loop: Header=BB112_3 Depth=1
	v_lshl_add_u64 v[24:25], v[12:13], 2, v[20:21]
	s_or_b32 s1, s1, exec_lo
	flat_load_b32 v24, v[24:25]
	s_wait_loadcnt_dscnt 0x0
	v_xor_b32_e32 v24, 0x80000000, v24
	s_or_b32 exec_lo, exec_lo, s8
	s_and_saveexec_b32 s8, s1
	s_cbranch_execnz .LBB112_53
	s_branch .LBB112_54
.LBB112_1141:                           ;   in Loop: Header=BB112_3 Depth=1
	s_or_b32 exec_lo, exec_lo, s95
	s_delay_alu instid0(SALU_CYCLE_1)
	s_and_b32 vcc_lo, exec_lo, s10
	s_cbranch_vccnz .LBB112_1105
.LBB112_1142:                           ;   in Loop: Header=BB112_3 Depth=1
	v_mov_b32_e32 v65, v21
	s_and_saveexec_b32 s1, s94
	s_cbranch_execnz .LBB112_1126
	s_branch .LBB112_1127
.LBB112_1143:                           ;   in Loop: Header=BB112_3 Depth=1
	s_and_not1_b32 s8, s94, exec_lo
	s_and_b32 s9, s7, exec_lo
	s_delay_alu instid0(SALU_CYCLE_1)
	s_or_b32 s94, s8, s9
	s_cbranch_execnz .LBB112_1125
.LBB112_1144:                           ;   in Loop: Header=BB112_3 Depth=1
	v_readlane_b32 s8, v72, 5
	s_and_not1_b32 s1, s94, exec_lo
	s_and_b32 s8, s8, exec_lo
	s_delay_alu instid0(SALU_CYCLE_1) | instskip(NEXT) | instid1(SALU_CYCLE_1)
	s_or_b32 s94, s1, s8
	s_and_saveexec_b32 s1, s94
	s_cbranch_execnz .LBB112_1126
	s_branch .LBB112_1127
.LBB112_1145:                           ;   in Loop: Header=BB112_3 Depth=1
	ds_load_b32 v25, v35 offset:15840
	ds_load_b32 v26, v34 offset:16372
	s_wait_dscnt 0x0
	v_fmac_f32_e32 v24, v25, v26
	s_or_b32 exec_lo, exec_lo, s1
	s_and_saveexec_b32 s1, s18
	s_cbranch_execz .LBB112_105
.LBB112_1146:                           ;   in Loop: Header=BB112_3 Depth=1
	ds_load_b32 v25, v35 offset:16096
	ds_load_b32 v26, v34 offset:16376
	s_wait_dscnt 0x0
	v_fmac_f32_e32 v24, v25, v26
	s_or_b32 exec_lo, exec_lo, s1
	s_and_saveexec_b32 s1, s2
	s_cbranch_execnz .LBB112_106
	s_branch .LBB112_107
.LBB112_1147:                           ;   in Loop: Header=BB112_3 Depth=1
	ds_load_b32 v25, v39 offset:14784
	ds_load_b32 v26, v38 offset:16356
	s_wait_dscnt 0x0
	v_fmac_f32_e32 v24, v25, v26
	s_or_b32 exec_lo, exec_lo, s1
	s_and_saveexec_b32 s1, s20
	s_cbranch_execz .LBB112_143
.LBB112_1148:                           ;   in Loop: Header=BB112_3 Depth=1
	ds_load_b32 v25, v39 offset:15040
	ds_load_b32 v26, v38 offset:16360
	s_wait_dscnt 0x0
	v_fmac_f32_e32 v24, v25, v26
	s_or_b32 exec_lo, exec_lo, s1
	s_and_saveexec_b32 s1, s21
	s_cbranch_execz .LBB112_144
.LBB112_1149:                           ;   in Loop: Header=BB112_3 Depth=1
	ds_load_b32 v25, v39 offset:15296
	ds_load_b32 v26, v38 offset:16364
	s_wait_dscnt 0x0
	v_fmac_f32_e32 v24, v25, v26
	s_or_b32 exec_lo, exec_lo, s1
	s_and_saveexec_b32 s1, s22
	s_cbranch_execz .LBB112_145
.LBB112_1150:                           ;   in Loop: Header=BB112_3 Depth=1
	ds_load_b32 v25, v39 offset:15552
	ds_load_b32 v26, v38 offset:16368
	s_wait_dscnt 0x0
	v_fmac_f32_e32 v24, v25, v26
	s_or_b32 exec_lo, exec_lo, s1
	s_and_saveexec_b32 s1, s23
	s_cbranch_execz .LBB112_146
.LBB112_1151:                           ;   in Loop: Header=BB112_3 Depth=1
	ds_load_b32 v25, v39 offset:15808
	ds_load_b32 v26, v38 offset:16372
	s_wait_dscnt 0x0
	v_fmac_f32_e32 v24, v25, v26
	s_or_b32 exec_lo, exec_lo, s1
	s_and_saveexec_b32 s1, s3
	s_cbranch_execz .LBB112_147
.LBB112_1152:                           ;   in Loop: Header=BB112_3 Depth=1
	ds_load_b32 v25, v39 offset:16064
	ds_load_b32 v26, v38 offset:16376
	s_wait_dscnt 0x0
	v_fmac_f32_e32 v24, v25, v26
	s_or_b32 exec_lo, exec_lo, s1
	s_and_saveexec_b32 s1, s18
	s_cbranch_execnz .LBB112_148
	s_branch .LBB112_149
.LBB112_1153:                           ;   in Loop: Header=BB112_3 Depth=1
	ds_load_b32 v25, v35 offset:13760
	ds_load_b32 v26, v34 offset:14292
	s_wait_dscnt 0x0
	v_fmac_f32_e32 v24, v25, v26
	s_or_b32 exec_lo, exec_lo, s1
	s_and_saveexec_b32 s1, s18
	s_cbranch_execz .LBB112_201
.LBB112_1154:                           ;   in Loop: Header=BB112_3 Depth=1
	ds_load_b32 v25, v35 offset:14016
	ds_load_b32 v26, v34 offset:14296
	s_wait_dscnt 0x0
	v_fmac_f32_e32 v24, v25, v26
	s_or_b32 exec_lo, exec_lo, s1
	s_and_saveexec_b32 s1, s2
	s_cbranch_execnz .LBB112_202
	s_branch .LBB112_203
.LBB112_1155:                           ;   in Loop: Header=BB112_3 Depth=1
	ds_load_b32 v25, v43 offset:15232
	ds_load_b32 v26, v42 offset:16364
	s_wait_dscnt 0x0
	v_fmac_f32_e32 v24, v25, v26
	s_or_b32 exec_lo, exec_lo, s1
	s_and_saveexec_b32 s1, s4
	s_cbranch_execz .LBB112_259
.LBB112_1156:                           ;   in Loop: Header=BB112_3 Depth=1
	ds_load_b32 v25, v43 offset:15488
	ds_load_b32 v26, v42 offset:16368
	s_wait_dscnt 0x0
	v_fmac_f32_e32 v24, v25, v26
	s_or_b32 exec_lo, exec_lo, s1
	s_and_saveexec_b32 s1, s20
	s_cbranch_execz .LBB112_260
.LBB112_1157:                           ;   in Loop: Header=BB112_3 Depth=1
	ds_load_b32 v25, v43 offset:15744
	ds_load_b32 v26, v42 offset:16372
	s_wait_dscnt 0x0
	v_fmac_f32_e32 v24, v25, v26
	s_or_b32 exec_lo, exec_lo, s1
	s_and_saveexec_b32 s1, s22
	s_cbranch_execz .LBB112_261
.LBB112_1158:                           ;   in Loop: Header=BB112_3 Depth=1
	ds_load_b32 v25, v43 offset:16000
	ds_load_b32 v26, v42 offset:16376
	s_wait_dscnt 0x0
	v_fmac_f32_e32 v24, v25, v26
	s_or_b32 exec_lo, exec_lo, s1
	s_and_saveexec_b32 s1, s3
	s_cbranch_execnz .LBB112_262
	s_branch .LBB112_263
.LBB112_1159:                           ;   in Loop: Header=BB112_3 Depth=1
	ds_load_b32 v25, v35 offset:11680
	ds_load_b32 v26, v34 offset:12212
	s_wait_dscnt 0x0
	v_fmac_f32_e32 v24, v25, v26
	s_or_b32 exec_lo, exec_lo, s1
	s_and_saveexec_b32 s1, s18
	s_cbranch_execz .LBB112_347
.LBB112_1160:                           ;   in Loop: Header=BB112_3 Depth=1
	ds_load_b32 v25, v35 offset:11936
	ds_load_b32 v26, v34 offset:12216
	s_wait_dscnt 0x0
	v_fmac_f32_e32 v24, v25, v26
	s_or_b32 exec_lo, exec_lo, s1
	s_and_saveexec_b32 s1, s2
	s_cbranch_execnz .LBB112_348
	s_branch .LBB112_349
.LBB112_1161:                           ;   in Loop: Header=BB112_3 Depth=1
	ds_load_b32 v25, v39 offset:10624
	ds_load_b32 v26, v38 offset:12196
	s_wait_dscnt 0x0
	v_fmac_f32_e32 v24, v25, v26
	s_or_b32 exec_lo, exec_lo, s1
	s_and_saveexec_b32 s1, s20
	s_cbranch_execz .LBB112_385
.LBB112_1162:                           ;   in Loop: Header=BB112_3 Depth=1
	ds_load_b32 v25, v39 offset:10880
	ds_load_b32 v26, v38 offset:12200
	s_wait_dscnt 0x0
	v_fmac_f32_e32 v24, v25, v26
	s_or_b32 exec_lo, exec_lo, s1
	s_and_saveexec_b32 s1, s21
	s_cbranch_execz .LBB112_386
.LBB112_1163:                           ;   in Loop: Header=BB112_3 Depth=1
	ds_load_b32 v25, v39 offset:11136
	ds_load_b32 v26, v38 offset:12204
	s_wait_dscnt 0x0
	v_fmac_f32_e32 v24, v25, v26
	s_or_b32 exec_lo, exec_lo, s1
	s_and_saveexec_b32 s1, s22
	s_cbranch_execz .LBB112_387
.LBB112_1164:                           ;   in Loop: Header=BB112_3 Depth=1
	ds_load_b32 v25, v39 offset:11392
	ds_load_b32 v26, v38 offset:12208
	s_wait_dscnt 0x0
	v_fmac_f32_e32 v24, v25, v26
	s_or_b32 exec_lo, exec_lo, s1
	s_and_saveexec_b32 s1, s23
	s_cbranch_execz .LBB112_388
.LBB112_1165:                           ;   in Loop: Header=BB112_3 Depth=1
	ds_load_b32 v25, v39 offset:11648
	ds_load_b32 v26, v38 offset:12212
	s_wait_dscnt 0x0
	v_fmac_f32_e32 v24, v25, v26
	s_or_b32 exec_lo, exec_lo, s1
	s_and_saveexec_b32 s1, s3
	s_cbranch_execz .LBB112_389
.LBB112_1166:                           ;   in Loop: Header=BB112_3 Depth=1
	ds_load_b32 v25, v39 offset:11904
	ds_load_b32 v26, v38 offset:12216
	s_wait_dscnt 0x0
	v_fmac_f32_e32 v24, v25, v26
	s_or_b32 exec_lo, exec_lo, s1
	s_and_saveexec_b32 s1, s18
	s_cbranch_execnz .LBB112_390
	s_branch .LBB112_391
.LBB112_1167:                           ;   in Loop: Header=BB112_3 Depth=1
	ds_load_b32 v25, v35 offset:9600
	ds_load_b32 v26, v34 offset:10132
	s_wait_dscnt 0x0
	v_fmac_f32_e32 v24, v25, v26
	s_or_b32 exec_lo, exec_lo, s1
	s_and_saveexec_b32 s1, s18
	s_cbranch_execz .LBB112_443
.LBB112_1168:                           ;   in Loop: Header=BB112_3 Depth=1
	ds_load_b32 v25, v35 offset:9856
	ds_load_b32 v26, v34 offset:10136
	s_wait_dscnt 0x0
	v_fmac_f32_e32 v24, v25, v26
	s_or_b32 exec_lo, exec_lo, s1
	s_and_saveexec_b32 s1, s2
	s_cbranch_execnz .LBB112_444
	s_branch .LBB112_445
.LBB112_1169:                           ;   in Loop: Header=BB112_3 Depth=1
	ds_load_b32 v25, v47 offset:15616
	ds_load_b32 v26, v46 offset:16372
	s_wait_dscnt 0x0
	v_fmac_f32_e32 v24, v25, v26
	s_or_b32 exec_lo, exec_lo, s1
	s_and_saveexec_b32 s1, s4
	s_cbranch_execz .LBB112_537
.LBB112_1170:                           ;   in Loop: Header=BB112_3 Depth=1
	ds_load_b32 v25, v47 offset:15872
	ds_load_b32 v26, v46 offset:16376
	s_wait_dscnt 0x0
	v_fmac_f32_e32 v24, v25, v26
	s_or_b32 exec_lo, exec_lo, s1
	s_and_saveexec_b32 s1, s22
	s_cbranch_execnz .LBB112_538
	s_branch .LBB112_539
.LBB112_1171:                           ;   in Loop: Header=BB112_3 Depth=1
	ds_load_b32 v25, v35 offset:7520
	ds_load_b32 v26, v34 offset:8052
	s_wait_dscnt 0x0
	v_fmac_f32_e32 v24, v25, v26
	s_or_b32 exec_lo, exec_lo, s1
	s_and_saveexec_b32 s1, s18
	s_cbranch_execz .LBB112_687
.LBB112_1172:                           ;   in Loop: Header=BB112_3 Depth=1
	ds_load_b32 v25, v35 offset:7776
	ds_load_b32 v26, v34 offset:8056
	s_wait_dscnt 0x0
	v_fmac_f32_e32 v24, v25, v26
	s_or_b32 exec_lo, exec_lo, s1
	s_and_saveexec_b32 s1, s2
	s_cbranch_execnz .LBB112_688
	s_branch .LBB112_689
.LBB112_1173:                           ;   in Loop: Header=BB112_3 Depth=1
	ds_load_b32 v25, v39 offset:6464
	ds_load_b32 v26, v38 offset:8036
	s_wait_dscnt 0x0
	v_fmac_f32_e32 v24, v25, v26
	s_or_b32 exec_lo, exec_lo, s1
	s_and_saveexec_b32 s1, s20
	s_cbranch_execz .LBB112_725
.LBB112_1174:                           ;   in Loop: Header=BB112_3 Depth=1
	ds_load_b32 v25, v39 offset:6720
	ds_load_b32 v26, v38 offset:8040
	s_wait_dscnt 0x0
	v_fmac_f32_e32 v24, v25, v26
	s_or_b32 exec_lo, exec_lo, s1
	s_and_saveexec_b32 s1, s21
	s_cbranch_execz .LBB112_726
.LBB112_1175:                           ;   in Loop: Header=BB112_3 Depth=1
	ds_load_b32 v25, v39 offset:6976
	ds_load_b32 v26, v38 offset:8044
	s_wait_dscnt 0x0
	v_fmac_f32_e32 v24, v25, v26
	s_or_b32 exec_lo, exec_lo, s1
	s_and_saveexec_b32 s1, s22
	s_cbranch_execz .LBB112_727
.LBB112_1176:                           ;   in Loop: Header=BB112_3 Depth=1
	ds_load_b32 v25, v39 offset:7232
	ds_load_b32 v26, v38 offset:8048
	s_wait_dscnt 0x0
	v_fmac_f32_e32 v24, v25, v26
	s_or_b32 exec_lo, exec_lo, s1
	s_and_saveexec_b32 s1, s23
	s_cbranch_execz .LBB112_728
.LBB112_1177:                           ;   in Loop: Header=BB112_3 Depth=1
	ds_load_b32 v25, v39 offset:7488
	ds_load_b32 v26, v38 offset:8052
	s_wait_dscnt 0x0
	v_fmac_f32_e32 v24, v25, v26
	s_or_b32 exec_lo, exec_lo, s1
	s_and_saveexec_b32 s1, s3
	s_cbranch_execz .LBB112_729
.LBB112_1178:                           ;   in Loop: Header=BB112_3 Depth=1
	ds_load_b32 v25, v39 offset:7744
	ds_load_b32 v26, v38 offset:8056
	s_wait_dscnt 0x0
	v_fmac_f32_e32 v24, v25, v26
	s_or_b32 exec_lo, exec_lo, s1
	s_and_saveexec_b32 s1, s18
	s_cbranch_execnz .LBB112_730
	s_branch .LBB112_731
.LBB112_1179:                           ;   in Loop: Header=BB112_3 Depth=1
	ds_load_b32 v25, v35 offset:5440
	ds_load_b32 v26, v34 offset:5972
	s_wait_dscnt 0x0
	v_fmac_f32_e32 v24, v25, v26
	s_or_b32 exec_lo, exec_lo, s1
	s_and_saveexec_b32 s1, s18
	s_cbranch_execz .LBB112_783
.LBB112_1180:                           ;   in Loop: Header=BB112_3 Depth=1
	ds_load_b32 v25, v35 offset:5696
	ds_load_b32 v26, v34 offset:5976
	s_wait_dscnt 0x0
	v_fmac_f32_e32 v24, v25, v26
	s_or_b32 exec_lo, exec_lo, s1
	s_and_saveexec_b32 s1, s2
	s_cbranch_execnz .LBB112_784
	s_branch .LBB112_785
.LBB112_1181:                           ;   in Loop: Header=BB112_3 Depth=1
	ds_load_b32 v25, v43 offset:6912
	ds_load_b32 v26, v42 offset:8044
	s_wait_dscnt 0x0
	v_fmac_f32_e32 v24, v25, v26
	s_or_b32 exec_lo, exec_lo, s1
	s_and_saveexec_b32 s1, s4
	s_cbranch_execz .LBB112_841
.LBB112_1182:                           ;   in Loop: Header=BB112_3 Depth=1
	ds_load_b32 v25, v43 offset:7168
	ds_load_b32 v26, v42 offset:8048
	s_wait_dscnt 0x0
	v_fmac_f32_e32 v24, v25, v26
	s_or_b32 exec_lo, exec_lo, s1
	s_and_saveexec_b32 s1, s20
	s_cbranch_execz .LBB112_842
.LBB112_1183:                           ;   in Loop: Header=BB112_3 Depth=1
	ds_load_b32 v25, v43 offset:7424
	ds_load_b32 v26, v42 offset:8052
	s_wait_dscnt 0x0
	v_fmac_f32_e32 v24, v25, v26
	s_or_b32 exec_lo, exec_lo, s1
	s_and_saveexec_b32 s1, s22
	s_cbranch_execz .LBB112_843
.LBB112_1184:                           ;   in Loop: Header=BB112_3 Depth=1
	ds_load_b32 v25, v43 offset:7680
	ds_load_b32 v26, v42 offset:8056
	s_wait_dscnt 0x0
	v_fmac_f32_e32 v24, v25, v26
	s_or_b32 exec_lo, exec_lo, s1
	s_and_saveexec_b32 s1, s3
	s_cbranch_execnz .LBB112_844
	s_branch .LBB112_845
.LBB112_1185:                           ;   in Loop: Header=BB112_3 Depth=1
	ds_load_b32 v25, v35 offset:3360
	ds_load_b32 v26, v34 offset:3892
	s_wait_dscnt 0x0
	v_fmac_f32_e32 v24, v25, v26
	s_or_b32 exec_lo, exec_lo, s1
	s_and_saveexec_b32 s1, s18
	s_cbranch_execz .LBB112_929
.LBB112_1186:                           ;   in Loop: Header=BB112_3 Depth=1
	ds_load_b32 v25, v35 offset:3616
	ds_load_b32 v26, v34 offset:3896
	s_wait_dscnt 0x0
	v_fmac_f32_e32 v24, v25, v26
	s_or_b32 exec_lo, exec_lo, s1
	s_and_saveexec_b32 s1, s2
	s_cbranch_execnz .LBB112_930
	s_branch .LBB112_931
.LBB112_1187:                           ;   in Loop: Header=BB112_3 Depth=1
	ds_load_b32 v25, v39 offset:2304
	ds_load_b32 v26, v38 offset:3876
	s_wait_dscnt 0x0
	v_fmac_f32_e32 v24, v25, v26
	s_or_b32 exec_lo, exec_lo, s1
	s_and_saveexec_b32 s1, s20
	s_cbranch_execz .LBB112_967
.LBB112_1188:                           ;   in Loop: Header=BB112_3 Depth=1
	ds_load_b32 v25, v39 offset:2560
	ds_load_b32 v26, v38 offset:3880
	s_wait_dscnt 0x0
	v_fmac_f32_e32 v24, v25, v26
	s_or_b32 exec_lo, exec_lo, s1
	s_and_saveexec_b32 s1, s21
	s_cbranch_execz .LBB112_968
.LBB112_1189:                           ;   in Loop: Header=BB112_3 Depth=1
	ds_load_b32 v25, v39 offset:2816
	ds_load_b32 v26, v38 offset:3884
	s_wait_dscnt 0x0
	v_fmac_f32_e32 v24, v25, v26
	s_or_b32 exec_lo, exec_lo, s1
	s_and_saveexec_b32 s1, s22
	s_cbranch_execz .LBB112_969
.LBB112_1190:                           ;   in Loop: Header=BB112_3 Depth=1
	ds_load_b32 v25, v39 offset:3072
	ds_load_b32 v26, v38 offset:3888
	s_wait_dscnt 0x0
	v_fmac_f32_e32 v24, v25, v26
	s_or_b32 exec_lo, exec_lo, s1
	s_and_saveexec_b32 s1, s23
	s_cbranch_execz .LBB112_970
.LBB112_1191:                           ;   in Loop: Header=BB112_3 Depth=1
	ds_load_b32 v25, v39 offset:3328
	ds_load_b32 v26, v38 offset:3892
	s_wait_dscnt 0x0
	v_fmac_f32_e32 v24, v25, v26
	s_or_b32 exec_lo, exec_lo, s1
	s_and_saveexec_b32 s1, s3
	s_cbranch_execz .LBB112_971
.LBB112_1192:                           ;   in Loop: Header=BB112_3 Depth=1
	ds_load_b32 v25, v39 offset:3584
	ds_load_b32 v26, v38 offset:3896
	s_wait_dscnt 0x0
	v_fmac_f32_e32 v24, v25, v26
	s_or_b32 exec_lo, exec_lo, s1
	s_and_saveexec_b32 s1, s18
	s_cbranch_execnz .LBB112_972
	s_branch .LBB112_973
.LBB112_1193:                           ;   in Loop: Header=BB112_3 Depth=1
	ds_load_b32 v25, v35 offset:1280
	ds_load_b32 v26, v34 offset:1812
	s_wait_dscnt 0x0
	v_fmac_f32_e32 v24, v25, v26
	s_or_b32 exec_lo, exec_lo, s1
	s_and_saveexec_b32 s1, s18
	s_cbranch_execz .LBB112_1025
.LBB112_1194:                           ;   in Loop: Header=BB112_3 Depth=1
	ds_load_b32 v25, v35 offset:1536
	ds_load_b32 v26, v34 offset:1816
	s_wait_dscnt 0x0
	v_fmac_f32_e32 v24, v25, v26
	s_or_b32 exec_lo, exec_lo, s1
	s_and_saveexec_b32 s1, s2
	s_cbranch_execnz .LBB112_1026
	s_branch .LBB112_1027
.LBB112_1195:
	s_endpgm
	.section	.rodata,"a",@progbits
	.p2align	6, 0x0
	.amdhsa_kernel _ZL19rocblas_trsv_deviceILi64ELi16ELb0ELb0ELb0ELb0EffPKPKfPKPfEviT7_lllT6_T8_lllPii
		.amdhsa_group_segment_fixed_size 20740
		.amdhsa_private_segment_fixed_size 0
		.amdhsa_kernarg_size 352
		.amdhsa_user_sgpr_count 2
		.amdhsa_user_sgpr_dispatch_ptr 0
		.amdhsa_user_sgpr_queue_ptr 0
		.amdhsa_user_sgpr_kernarg_segment_ptr 1
		.amdhsa_user_sgpr_dispatch_id 0
		.amdhsa_user_sgpr_kernarg_preload_length 0
		.amdhsa_user_sgpr_kernarg_preload_offset 0
		.amdhsa_user_sgpr_private_segment_size 0
		.amdhsa_wavefront_size32 1
		.amdhsa_uses_dynamic_stack 0
		.amdhsa_enable_private_segment 0
		.amdhsa_system_sgpr_workgroup_id_x 1
		.amdhsa_system_sgpr_workgroup_id_y 0
		.amdhsa_system_sgpr_workgroup_id_z 1
		.amdhsa_system_sgpr_workgroup_info 0
		.amdhsa_system_vgpr_workitem_id 1
		.amdhsa_next_free_vgpr 75
		.amdhsa_next_free_sgpr 105
		.amdhsa_named_barrier_count 0
		.amdhsa_reserve_vcc 1
		.amdhsa_float_round_mode_32 0
		.amdhsa_float_round_mode_16_64 0
		.amdhsa_float_denorm_mode_32 3
		.amdhsa_float_denorm_mode_16_64 3
		.amdhsa_fp16_overflow 0
		.amdhsa_memory_ordered 1
		.amdhsa_forward_progress 1
		.amdhsa_inst_pref_size 255
		.amdhsa_round_robin_scheduling 0
		.amdhsa_exception_fp_ieee_invalid_op 0
		.amdhsa_exception_fp_denorm_src 0
		.amdhsa_exception_fp_ieee_div_zero 0
		.amdhsa_exception_fp_ieee_overflow 0
		.amdhsa_exception_fp_ieee_underflow 0
		.amdhsa_exception_fp_ieee_inexact 0
		.amdhsa_exception_int_div_zero 0
	.end_amdhsa_kernel
	.section	.text._ZL19rocblas_trsv_deviceILi64ELi16ELb0ELb0ELb0ELb0EffPKPKfPKPfEviT7_lllT6_T8_lllPii,"axG",@progbits,_ZL19rocblas_trsv_deviceILi64ELi16ELb0ELb0ELb0ELb0EffPKPKfPKPfEviT7_lllT6_T8_lllPii,comdat
.Lfunc_end112:
	.size	_ZL19rocblas_trsv_deviceILi64ELi16ELb0ELb0ELb0ELb0EffPKPKfPKPfEviT7_lllT6_T8_lllPii, .Lfunc_end112-_ZL19rocblas_trsv_deviceILi64ELi16ELb0ELb0ELb0ELb0EffPKPKfPKPfEviT7_lllT6_T8_lllPii
                                        ; -- End function
	.set _ZL19rocblas_trsv_deviceILi64ELi16ELb0ELb0ELb0ELb0EffPKPKfPKPfEviT7_lllT6_T8_lllPii.num_vgpr, 75
	.set _ZL19rocblas_trsv_deviceILi64ELi16ELb0ELb0ELb0ELb0EffPKPKfPKPfEviT7_lllT6_T8_lllPii.num_agpr, 0
	.set _ZL19rocblas_trsv_deviceILi64ELi16ELb0ELb0ELb0ELb0EffPKPKfPKPfEviT7_lllT6_T8_lllPii.numbered_sgpr, 105
	.set _ZL19rocblas_trsv_deviceILi64ELi16ELb0ELb0ELb0ELb0EffPKPKfPKPfEviT7_lllT6_T8_lllPii.num_named_barrier, 0
	.set _ZL19rocblas_trsv_deviceILi64ELi16ELb0ELb0ELb0ELb0EffPKPKfPKPfEviT7_lllT6_T8_lllPii.private_seg_size, 0
	.set _ZL19rocblas_trsv_deviceILi64ELi16ELb0ELb0ELb0ELb0EffPKPKfPKPfEviT7_lllT6_T8_lllPii.uses_vcc, 1
	.set _ZL19rocblas_trsv_deviceILi64ELi16ELb0ELb0ELb0ELb0EffPKPKfPKPfEviT7_lllT6_T8_lllPii.uses_flat_scratch, 0
	.set _ZL19rocblas_trsv_deviceILi64ELi16ELb0ELb0ELb0ELb0EffPKPKfPKPfEviT7_lllT6_T8_lllPii.has_dyn_sized_stack, 0
	.set _ZL19rocblas_trsv_deviceILi64ELi16ELb0ELb0ELb0ELb0EffPKPKfPKPfEviT7_lllT6_T8_lllPii.has_recursion, 0
	.set _ZL19rocblas_trsv_deviceILi64ELi16ELb0ELb0ELb0ELb0EffPKPKfPKPfEviT7_lllT6_T8_lllPii.has_indirect_call, 0
	.section	.AMDGPU.csdata,"",@progbits
; Kernel info:
; codeLenInByte = 38416
; TotalNumSgprs: 107
; NumVgprs: 75
; ScratchSize: 0
; MemoryBound: 0
; FloatMode: 240
; IeeeMode: 1
; LDSByteSize: 20740 bytes/workgroup (compile time only)
; SGPRBlocks: 0
; VGPRBlocks: 4
; NumSGPRsForWavesPerEU: 107
; NumVGPRsForWavesPerEU: 75
; NamedBarCnt: 0
; Occupancy: 12
; WaveLimiterHint : 1
; COMPUTE_PGM_RSRC2:SCRATCH_EN: 0
; COMPUTE_PGM_RSRC2:USER_SGPR: 2
; COMPUTE_PGM_RSRC2:TRAP_HANDLER: 0
; COMPUTE_PGM_RSRC2:TGID_X_EN: 1
; COMPUTE_PGM_RSRC2:TGID_Y_EN: 0
; COMPUTE_PGM_RSRC2:TGID_Z_EN: 1
; COMPUTE_PGM_RSRC2:TIDIG_COMP_CNT: 1
	.section	.text._ZL19rocblas_trsv_deviceILi64ELi16ELb0ELb1ELb0ELb0EffPKPKfPKPfEviT7_lllT6_T8_lllPii,"axG",@progbits,_ZL19rocblas_trsv_deviceILi64ELi16ELb0ELb1ELb0ELb0EffPKPKfPKPfEviT7_lllT6_T8_lllPii,comdat
	.globl	_ZL19rocblas_trsv_deviceILi64ELi16ELb0ELb1ELb0ELb0EffPKPKfPKPfEviT7_lllT6_T8_lllPii ; -- Begin function _ZL19rocblas_trsv_deviceILi64ELi16ELb0ELb1ELb0ELb0EffPKPKfPKPfEviT7_lllT6_T8_lllPii
	.p2align	8
	.type	_ZL19rocblas_trsv_deviceILi64ELi16ELb0ELb1ELb0ELb0EffPKPKfPKPfEviT7_lllT6_T8_lllPii,@function
_ZL19rocblas_trsv_deviceILi64ELi16ELb0ELb1ELb0ELb0EffPKPKfPKPfEviT7_lllT6_T8_lllPii: ; @_ZL19rocblas_trsv_deviceILi64ELi16ELb0ELb1ELb0ELb0EffPKPKfPKPfEviT7_lllT6_T8_lllPii
; %bb.0:
	s_load_b32 s6, s[0:1], 0x58
	s_bfe_u32 s2, ttmp6, 0x40014
	s_lshr_b32 s3, ttmp7, 16
	s_add_co_i32 s2, s2, 1
	s_bfe_u32 s5, ttmp6, 0x40008
	s_mul_i32 s4, s3, s2
	s_getreg_b32 s2, hwreg(HW_REG_IB_STS2, 6, 4)
	s_add_co_i32 s5, s5, s4
	s_cmp_eq_u32 s2, 0
	s_mov_b32 s67, 0
	s_cselect_b32 s66, s3, s5
                                        ; implicit-def: $vgpr89 : SGPR spill to VGPR lane
	s_wait_kmcnt 0x0
	s_cmp_ge_u32 s66, s6
	v_writelane_b32 v89, s6, 0
	s_cbranch_scc1 .LBB113_1257
; %bb.1:
	s_clause 0x2
	s_load_b32 s3, s[0:1], 0x6c
	s_load_b32 s83, s[0:1], 0x0
	s_load_b64 s[14:15], s[0:1], 0x18
	s_bfe_u32 s5, ttmp6, 0x4000c
	s_and_b32 s4, ttmp6, 15
	s_add_co_i32 s5, s5, 1
	v_and_b32_e32 v4, 0x3ff, v0
	s_mul_i32 s5, ttmp9, s5
	v_bfe_u32 v32, v0, 10, 10
	s_add_co_i32 s4, s4, s5
	s_cmp_eq_u32 s2, 0
	s_load_b128 s[68:71], s[0:1], 0x8
	s_cselect_b32 s84, ttmp9, s4
	v_dual_mov_b32 v3, 0 :: v_dual_lshlrev_b32 v20, 6, v4
	v_lshl_add_u32 v26, v32, 6, v4
	v_and_b32_e32 v13, 1, v0
	v_cmp_gt_u32_e64 s6, 2, v4
	s_delay_alu instid0(VALU_DEP_4)
	v_dual_mov_b32 v7, v3 :: v_dual_mov_b32 v5, v3
	s_wait_kmcnt 0x0
	s_and_b32 s2, s3, 0xffff
	s_add_co_i32 s3, s83, -1
	s_ashr_i32 s4, s83, 31
	s_ashr_i32 s5, s3, 31
	s_lshr_b32 s4, s4, 26
	s_lshr_b32 s5, s5, 26
	s_add_co_i32 s4, s83, s4
	s_add_co_i32 s3, s3, s5
	s_and_not1_b32 s4, s4, 63
	s_ashr_i32 s3, s3, 6
	s_sub_co_i32 s18, s83, s4
	s_cmp_eq_u32 s3, s84
	v_sub_co_u32 v33, s5, s84, 1
	s_cselect_b32 s3, -1, 0
	s_cmp_lg_u32 s18, 0
	v_mad_u32_u24 v6, v32, s2, v4
	s_cselect_b32 s4, -1, 0
	s_xor_b32 s2, s5, -1
	s_lshl_b32 s16, s84, 6
	v_writelane_b32 v89, s2, 1
	s_load_b32 s2, s[0:1], 0x28
	v_dual_add_nc_u32 v28, s16, v32 :: v_dual_add_nc_u32 v27, 16, v32
	s_and_b32 s19, s4, s3
	v_add_nc_u32_e32 v1, v32, v20
	v_dual_add_nc_u32 v24, s16, v4 :: v_dual_lshrrev_b32 v12, 1, v26
	s_xor_b32 s86, s19, -1
	s_cmp_lt_i32 s84, 5
	v_subrev_nc_u32_e32 v8, 64, v28
	v_add_nc_u32_e32 v2, v27, v20
	s_cselect_b32 vcc_lo, -1, 0
	v_dual_cndmask_b32 v30, v26, v1 :: v_dual_ashrrev_i32 v25, 31, v24
	s_or_b32 vcc_lo, vcc_lo, s19
	v_lshrrev_b32_e32 v1, 10, v0
	s_ashr_i32 s17, s16, 31
	v_cmp_eq_u32_e64 s4, 1, v13
	v_cmp_eq_u32_e64 s5, 0, v13
	v_add_nc_u32_e32 v78, 32, v32
	s_wait_kmcnt 0x0
	v_writelane_b32 v89, s2, 2
	s_add_nc_u64 s[2:3], s[14:15], 1
	v_add_nc_u64_e32 v[22:23], s[16:17], v[6:7]
	v_mad_nc_u64_u32 v[18:19], s2, s16, v[4:5]
	v_lshl_add_u32 v5, v27, 6, v4
	v_dual_ashrrev_i32 v9, 31, v8 :: v_dual_lshlrev_b32 v35, 2, v13
	s_mul_i32 s2, s2, s17
	s_mul_i32 s3, s3, s16
	s_delay_alu instid0(VALU_DEP_2)
	v_dual_cndmask_b32 v31, v5, v2 :: v_dual_lshlrev_b32 v2, 8, v12
	v_lshl_add_u32 v5, v12, 2, 0x4000
	v_dual_lshlrev_b32 v12, 6, v26 :: v_dual_bitop2_b32 v13, 3, v0 bitop3:0x40
	v_add3_u32 v19, s2, s3, v19
	v_cmp_gt_u32_e64 s2, 4, v26
	v_dual_sub_nc_u32 v37, v35, v2 :: v_dual_sub_nc_u32 v34, 0, v2
	v_lshlrev_b32_e32 v36, 2, v4
	v_cmp_eq_u32_e64 s3, 0, v32
	s_and_b32 s89, s4, s2
	s_and_b32 s90, s5, s2
	v_and_b32_e32 v2, -4, v26
	v_and_b32_e32 v12, 0xffffff00, v12
	v_cmp_gt_u32_e64 s4, 16, v26
	v_cmp_eq_u32_e64 s5, 3, v13
	s_and_b32 s91, s3, s6
	v_dual_lshlrev_b32 v41, 2, v13 :: v_dual_sub_nc_u32 v40, 0, v12
	v_cmp_ne_u32_e64 s6, 3, v13
	s_and_b32 s92, s5, s4
	v_cmp_gt_u32_e64 s5, 2, v13
	v_sub_nc_u32_e32 v43, v41, v12
	v_add_nc_u32_e32 v7, v78, v20
	s_and_b32 s93, s6, s4
	v_cmp_eq_u32_e64 s6, 0, v13
	s_and_b32 s95, s5, s4
	v_cmp_gt_u32_e64 s5, 4, v4
	v_lshl_add_u32 v53, v78, 6, v4
	v_add_nc_u32_e32 v39, 0x4000, v2
	v_dual_lshrrev_b32 v2, 3, v26 :: v_dual_bitop2_b32 v12, 7, v0 bitop3:0x40
	v_cmp_eq_u32_e64 s7, 2, v13
	v_cmp_eq_u32_e64 s8, 1, v13
	s_and_b32 s97, s6, s4
	v_lshlrev_b32_e32 v13, 8, v2
	s_and_b32 s98, s3, s5
	v_cmp_gt_u32_e64 s5, 64, v26
	v_cmp_eq_u32_e64 s6, 7, v12
	s_and_b32 s94, s7, s4
	v_cmp_ne_u32_e64 s7, 7, v12
	s_and_b32 s96, s8, s4
	v_cmp_eq_u32_e64 s8, 6, v12
	s_and_b32 s99, s6, s5
	v_cmp_gt_u32_e64 s6, 6, v12
	s_and_b32 s100, s7, s5
	v_cmp_eq_u32_e64 s7, 5, v12
	s_and_b32 s101, s8, s5
	v_cmp_gt_u32_e64 s8, 5, v12
	;; [unrolled: 4-line block ×3, first 2 shown]
	v_lshl_add_u32 v44, v2, 2, 0x4000
	v_dual_sub_nc_u32 v45, 0, v13 :: v_dual_lshlrev_b32 v46, 2, v12
	s_and_b32 vcc_hi, s6, s5
	v_cmp_gt_u32_e64 s6, 3, v12
	s_and_b32 s104, s8, s5
	v_cmp_eq_u32_e64 s8, 3, v12
	s_and_b32 s36, s7, s5
	v_cmp_eq_u32_e64 s7, 2, v12
	s_and_b32 s38, s6, s5
	v_cmp_eq_u32_e64 s6, 1, v12
	v_dual_lshrrev_b32 v2, 4, v26 :: v_dual_sub_nc_u32 v47, v46, v13
	s_and_b32 s37, s8, s5
	v_cmp_gt_u32_e64 s8, 2, v12
	s_and_b32 s39, s7, s5
	v_cmp_eq_u32_e64 s7, 0, v12
	s_and_b32 s41, s6, s5
	v_cmp_gt_u32_e64 s6, 8, v4
	v_dual_lshlrev_b32 v12, 8, v2 :: v_dual_bitop2_b32 v13, 15, v0 bitop3:0x40
	s_and_b32 s42, s7, s5
	s_and_b32 s40, s8, s5
	;; [unrolled: 1-line block ×3, first 2 shown]
	v_cmp_gt_u32_e64 s6, 0x100, v26
	v_cmp_eq_u32_e64 s7, 15, v13
	v_cmp_ne_u32_e64 s8, 15, v13
	v_cmp_eq_u32_e64 s9, 14, v13
	v_cmp_gt_u32_e64 s10, 14, v13
	v_lshl_add_u32 v48, v2, 2, 0x4000
	s_and_b32 s44, s7, s6
	v_cmp_eq_u32_e64 s7, 13, v13
	s_and_b32 s45, s8, s6
	v_cmp_gt_u32_e64 s8, 13, v13
	s_and_b32 s46, s9, s6
	v_cmp_eq_u32_e64 s9, 12, v13
	s_and_b32 s48, s7, s6
	v_cmp_gt_u32_e64 s7, 12, v13
	s_and_b32 s49, s8, s6
	v_cmp_gt_u32_e64 s8, 11, v13
	s_and_b32 s47, s10, s6
	v_cmp_eq_u32_e64 s10, 11, v13
	s_and_b32 s51, s7, s6
	v_cmp_eq_u32_e64 s7, 10, v13
	;; [unrolled: 2-line block ×3, first 2 shown]
	s_and_b32 s50, s9, s6
	v_cmp_gt_u32_e64 s9, 10, v13
	s_and_b32 s54, s7, s6
	v_cmp_eq_u32_e64 s7, 8, v13
	s_and_b32 s56, s8, s6
	v_cmp_gt_u32_e64 s8, 8, v13
	s_and_b32 s52, s10, s6
	v_cmp_gt_u32_e64 s10, 9, v13
	;; [unrolled: 2-line block ×4, first 2 shown]
	s_and_b32 s55, s9, s6
	v_cmp_eq_u32_e64 s9, 7, v13
	s_and_b32 s63, s7, s6
	v_cmp_eq_u32_e64 s7, 5, v13
	;; [unrolled: 2-line block ×5, first 2 shown]
	s_and_b32 s26, s8, s6
	v_cmp_gt_u32_e64 s8, 3, v13
	s_and_b32 s62, s9, s6
	v_cmp_gt_u32_e64 s9, 5, v13
	;; [unrolled: 2-line block ×3, first 2 shown]
	s_and_b32 s33, s8, s6
	v_cmp_eq_u32_e64 s8, 0, v13
	v_dual_lshrrev_b32 v2, 5, v26 :: v_dual_bitop2_b32 v21, 31, v0 bitop3:0x40
	s_and_b32 s25, s7, s6
	v_cmp_gt_u32_e64 s7, 16, v4
	s_and_b32 s64, s10, s6
	v_cmp_gt_u32_e64 s10, 4, v13
	s_and_b32 s24, s9, s6
	v_cmp_eq_u32_e64 s9, 2, v13
	s_and_b32 s29, s8, s6
	s_and_b32 s31, s3, s7
	v_cmp_gt_u32_e64 s7, 0x400, v26
	v_cmp_eq_u32_e64 s8, 31, v21
	s_and_b32 s28, s10, s6
	v_cmp_eq_u32_e64 s10, 1, v13
	s_and_b32 s35, s9, s6
	v_cmp_ne_u32_e64 s9, 31, v21
	s_and_b32 s8, s8, s7
	v_cmp_gt_u32_e64 s11, 30, v21
	v_writelane_b32 v89, s8, 3
	s_and_b32 s27, s10, s6
	v_cmp_eq_u32_e64 s10, 30, v21
	s_and_b32 s8, s9, s7
	v_cmp_gt_u32_e64 s9, 29, v21
	v_writelane_b32 v89, s8, 4
	v_cmp_eq_u32_e64 s12, 27, v21
	s_and_b32 s8, s10, s7
	v_cmp_eq_u32_e64 s10, 28, v21
	v_dual_sub_nc_u32 v49, 0, v12 :: v_dual_lshlrev_b32 v50, 2, v13
	v_writelane_b32 v89, s8, 5
	s_and_b32 s8, s11, s7
	v_cmp_gt_u32_e64 s11, 28, v21
	v_lshl_add_u32 v52, v2, 2, 0x4000
	v_dual_sub_nc_u32 v51, v50, v12 :: v_dual_lshlrev_b32 v65, 8, v2
	v_writelane_b32 v89, s8, 6
	v_cmp_eq_u32_e64 s8, 29, v21
	v_dual_add_nc_u32 v2, s16, v6 :: v_dual_add_nc_u32 v79, 48, v32
	s_xor_b32 s88, vcc_lo, -1
                                        ; implicit-def: $vgpr88 : SGPR spill to VGPR lane
	s_clause 0x1
	s_load_b64 s[78:79], s[0:1], 0x40
	s_load_b128 s[72:75], s[0:1], 0x30
	s_and_b32 s8, s8, s7
                                        ; implicit-def: $vgpr87 : SGPR spill to VGPR lane
	s_load_b64 s[76:77], s[0:1], 0x50
	v_writelane_b32 v89, s8, 7
	s_and_b32 s8, s9, s7
	v_cmp_eq_u32_e64 s9, 26, v21
	v_add_nc_u32_e32 v20, v79, v20
	v_lshl_add_u32 v54, v79, 6, v4
	v_writelane_b32 v89, s8, 8
	s_and_b32 s8, s10, s7
	v_cmp_gt_u32_e64 s10, 26, v21
	s_delay_alu instid0(VALU_DEP_3)
	v_dual_cndmask_b32 v74, v53, v7 :: v_dual_cndmask_b32 v75, v54, v20
	v_lshlrev_b32_e32 v64, 2, v21
	v_writelane_b32 v89, s8, 9
	s_and_b32 s8, s11, s7
	v_cmp_eq_u32_e64 s11, 25, v21
	v_cmp_gt_u32_e32 vcc_lo, 21, v21
	s_wait_xcnt 0x0
	v_cmp_gt_i32_e64 s0, s18, v4
	v_writelane_b32 v89, s8, 10
	s_and_b32 s8, s12, s7
	v_cmp_gt_u32_e64 s12, 25, v21
	v_mul_u64_e32 v[10:11], s[14:15], v[24:25]
	v_mad_nc_u64_u32 v[12:13], s14, v32, v[18:19]
	v_writelane_b32 v89, s8, 11
	v_cmp_gt_u32_e64 s8, 27, v21
	v_mad_nc_u64_u32 v[14:15], s14, v27, v[18:19]
	v_sub_nc_u32_e32 v63, 0, v65
	v_mad_nc_u64_u32 v[16:17], s14, v78, v[18:19]
	v_mad_nc_u64_u32 v[18:19], s14, v79, v[18:19]
	s_and_b32 s8, s8, s7
	v_cmp_gt_i32_e64 s1, s83, v8
	v_writelane_b32 v89, s8, 12
	s_and_b32 s8, s9, s7
	v_cmp_gt_u32_e64 s9, 24, v21
	v_bitop3_b32 v82, v0, v1, 0x3ff bitop3:0xa8
	s_wait_kmcnt 0x0
	v_mul_u64_e32 v[0:1], s[78:79], v[24:25]
	v_writelane_b32 v89, s8, 13
	s_and_b32 s8, s10, s7
	v_cmp_eq_u32_e64 s10, 23, v21
	v_mad_u32 v13, s15, v32, v13
	v_mad_u32 v15, s15, v27, v15
	v_writelane_b32 v89, s8, 14
	s_and_b32 s8, s11, s7
	v_cmp_gt_u32_e64 s11, 23, v21
	v_mad_u32 v17, s15, v78, v17
	v_mad_u32 v19, s15, v79, v19
	v_writelane_b32 v89, s8, 15
	s_and_b32 s8, s12, s7
	v_cmp_eq_u32_e64 s12, 22, v21
	v_cmp_ne_u32_e64 s16, v4, v27
	v_cmp_ne_u32_e64 s17, v4, v78
	v_writelane_b32 v89, s8, 16
	v_cmp_eq_u32_e64 s8, 24, v21
	v_cmp_gt_u32_e64 s34, 0xf0, v26
                                        ; implicit-def: $vgpr86 : SGPR spill to VGPR lane
	v_mad_u32_u24 v38, 0xfc, v4, v36
	v_mul_i32_i24_e32 v77, 0xffffff04, v4
	v_mul_u64_e32 v[22:23], s[78:79], v[22:23]
	s_and_b32 s8, s8, s7
	v_mul_u32_u24_e32 v29, 0xfc, v4
	v_writelane_b32 v89, s8, 17
	s_and_b32 s8, s9, s7
	v_cmp_eq_u32_e64 s9, 21, v21
	v_mad_i32_i24 v42, 0xffffff04, v4, v38
	v_dual_sub_nc_u32 v65, v64, v65 :: v_dual_lshlrev_b32 v76, 2, v32
	v_writelane_b32 v89, s8, 18
	s_and_b32 s8, s10, s7
	v_cmp_eq_u32_e64 s10, 20, v21
	v_mad_u32_u24 v7, 0xfc, v4, v42
	v_or_b32_e32 v66, 0x5000, v76
	v_writelane_b32 v89, s8, 19
	s_and_b32 s8, s11, s7
	s_and_b32 s11, s12, s7
	v_mad_i32_i24 v53, 0xffffff04, v4, v7
	v_lshl_add_u32 v67, v6, 2, 0x5000
	v_writelane_b32 v89, s8, 20
	v_cmp_gt_u32_e64 s8, 22, v21
	v_lshl_add_u32 v68, v26, 2, 0x4000
	v_mad_u32_u24 v54, 0xfc, v4, v53
	v_add_nc_u32_e32 v69, 0x4000, v36
	v_writelane_b32 v89, s11, 21
	s_and_b32 s8, s8, s7
	v_dual_add_nc_u32 v71, v66, v36 :: v_dual_lshlrev_b32 v72, 2, v30
	v_mad_i32_i24 v55, 0xffffff04, v4, v54
	v_writelane_b32 v89, s8, 22
	s_and_b32 s8, s9, s7
	v_cmp_gt_u32_e64 s20, 48, v26
	v_cmp_gt_u32_e64 s21, 40, v26
	v_mad_u32_u24 v56, 0xfc, v4, v55
	v_writelane_b32 v89, s8, 23
	s_and_b32 s8, vcc_lo, s7
	v_cmp_gt_u32_e32 vcc_lo, 20, v21
	v_cmp_gt_u32_e64 s22, 32, v26
	v_mad_i32_i24 v57, 0xffffff04, v4, v56
	v_writelane_b32 v89, s8, 24
	s_and_b32 s8, s10, s7
	v_cmp_le_i32_e64 s10, s18, v79
	v_cmp_gt_u32_e64 s23, 24, v26
	v_mad_u32_u24 v58, 0xfc, v4, v57
	v_writelane_b32 v89, s8, 25
	s_and_b32 s8, vcc_lo, s7
	v_cmp_eq_u32_e32 vcc_lo, 19, v21
	v_cmp_eq_u32_e64 s59, 0, v6
	v_mad_i32_i24 v59, 0xffffff04, v4, v58
	v_writelane_b32 v89, s8, 26
	v_cmp_gt_u32_e64 s60, 64, v6
	s_and_b32 s8, vcc_lo, s7
	v_cmp_gt_u32_e32 vcc_lo, 19, v21
	v_mad_u32_u24 v60, 0xfc, v4, v59
	v_writelane_b32 v89, s8, 27
	v_lshl_add_u32 v70, v32, 8, v59
                                        ; implicit-def: $vgpr80
                                        ; implicit-def: $vgpr81
	v_lshlrev_b32_e32 v73, 2, v31
	s_and_b32 s8, vcc_lo, s7
	v_cmp_eq_u32_e32 vcc_lo, 18, v21
	v_writelane_b32 v89, s8, 28
	v_mad_i32_i24 v61, 0xffffff04, v4, v60
	v_dual_lshlrev_b32 v75, 2, v75 :: v_dual_lshlrev_b32 v74, 2, v74
	s_and_b32 s8, vcc_lo, s7
	v_cmp_gt_u32_e32 vcc_lo, 18, v21
	v_writelane_b32 v89, s8, 29
	v_mad_u32_u24 v62, 0xfc, v4, v61
	s_and_b32 s8, vcc_lo, s7
	v_cmp_eq_u32_e32 vcc_lo, 17, v21
	v_writelane_b32 v89, s8, 30
	s_delay_alu instid0(VALU_DEP_3)
	v_add_nc_u32_e32 v76, v62, v76
	s_and_b32 s8, vcc_lo, s7
	v_cmp_gt_u32_e32 vcc_lo, 17, v21
	v_writelane_b32 v89, s8, 31
	s_and_b32 s8, vcc_lo, s7
	v_cmp_eq_u32_e32 vcc_lo, 16, v21
	v_writelane_b32 v88, s8, 0
	s_and_b32 s8, vcc_lo, s7
	v_cmp_gt_u32_e32 vcc_lo, 16, v21
	v_writelane_b32 v88, s8, 1
	s_and_b32 s8, vcc_lo, s7
	v_cmp_eq_u32_e32 vcc_lo, 15, v21
	v_writelane_b32 v88, s8, 2
	;; [unrolled: 6-line block ×16, first 2 shown]
	s_and_b32 s8, vcc_lo, s7
	v_cmp_eq_u32_e32 vcc_lo, 0, v21
	v_writelane_b32 v88, s8, 31
	v_cmp_gt_u32_e64 s8, 32, v4
	v_mul_u64_e32 v[20:21], s[78:79], v[2:3]
	v_subrev_nc_u32_e32 v2, 48, v28
	s_and_b32 s11, vcc_lo, s7
	v_cmp_le_i32_e32 vcc_lo, s18, v4
	s_and_b32 s8, s3, s8
	s_delay_alu instid0(SALU_CYCLE_1)
	v_writelane_b32 v87, s8, 0
	s_and_b32 s9, vcc_lo, s19
	v_cmp_gt_u32_e64 s19, 56, v26
	s_xor_b32 s8, s9, -1
	v_writelane_b32 v87, s9, 1
	s_and_b32 s14, s3, s8
	s_cmp_gt_i32 s84, 0
	s_cselect_b32 s12, -1, 0
	s_and_b32 s0, s3, s0
	s_lshl_b64 s[70:71], s[70:71], 2
	v_writelane_b32 v87, s0, 2
	v_cmp_gt_i32_e64 s0, s83, v24
	v_subrev_nc_u32_e32 v24, 32, v28
	s_lshl_b64 s[74:75], s[74:75], 2
	s_and_b32 s1, s1, s0
	s_delay_alu instid0(SALU_CYCLE_1) | instskip(SKIP_4) | instid1(SALU_CYCLE_1)
	v_writelane_b32 v87, s1, 3
	v_cmp_gt_i32_e64 s1, s83, v2
	v_add_nc_u32_e32 v2, -16, v28
	v_mul_lo_u32 v28, v77, 6
	s_and_b32 s1, s1, s0
	v_writelane_b32 v87, s1, 4
	v_cmp_gt_i32_e64 s1, s83, v24
	v_or_b32_e32 v24, v78, v4
	s_and_b32 s1, s1, s0
	v_mad_u32 v28, v29, 7, v28
	v_writelane_b32 v87, s1, 5
	v_cmp_gt_i32_e64 s1, s83, v2
	v_or_b32_e32 v2, v27, v4
	v_mul_u32_u24_e32 v29, 0xf8, v4
	v_or_b32_e32 v25, v79, v4
	s_and_b32 s1, s1, s0
	s_delay_alu instid0(SALU_CYCLE_1)
	v_writelane_b32 v87, s1, 6
	v_cmp_le_i32_e64 s1, s18, v32
	v_sub_nc_u32_e32 v77, v28, v29
	s_or_b32 s8, s1, vcc_lo
	v_cmp_ge_u32_e64 s1, v4, v32
	s_or_b32 s8, s8, s1
	s_delay_alu instid0(SALU_CYCLE_1) | instskip(SKIP_4) | instid1(SALU_CYCLE_1)
	v_writelane_b32 v87, s8, 7
	v_cmp_le_i32_e64 s8, s18, v27
	s_or_b32 s9, s8, vcc_lo
	v_cmp_ge_u32_e64 s8, v4, v27
	s_or_b32 s9, s9, s8
	v_writelane_b32 v87, s9, 8
	v_cmp_le_i32_e64 s9, s18, v78
	v_cmp_ne_u32_e64 s18, v4, v79
	s_or_b32 s15, s9, vcc_lo
	v_cmp_ge_u32_e64 s9, v4, v78
                                        ; implicit-def: $vgpr78
	s_or_b32 s15, s15, s9
	s_delay_alu instid0(SALU_CYCLE_1) | instskip(SKIP_3) | instid1(SALU_CYCLE_1)
	v_writelane_b32 v87, s15, 9
	s_or_b32 s15, s10, vcc_lo
	v_cmp_ge_u32_e64 s10, v4, v79
                                        ; implicit-def: $vgpr79
	s_or_b32 s15, s15, s10
	v_writelane_b32 v87, s15, 10
	v_cmp_ne_u32_e64 s15, v4, v32
	s_delay_alu instid0(VALU_DEP_1) | instskip(SKIP_1) | instid1(SALU_CYCLE_1)
	v_writelane_b32 v87, s15, 11
	s_or_b32 s15, vcc_lo, s15
	v_writelane_b32 v87, s15, 12
	s_or_b32 s15, vcc_lo, s16
	v_writelane_b32 v87, s16, 13
	v_cmp_gt_u32_e64 s16, 2, v26
	v_writelane_b32 v87, s15, 14
	s_or_b32 s15, vcc_lo, s17
	v_writelane_b32 v87, s17, 15
	v_cmp_gt_u32_e64 s17, 12, v26
	;; [unrolled: 4-line block ×3, first 2 shown]
	v_writelane_b32 v87, s15, 18
	v_cmp_eq_u32_e64 s15, 0, v82
	v_writelane_b32 v87, s34, 19
	v_cmp_gt_u32_e64 s34, 0xe0, v26
	s_delay_alu instid0(VALU_DEP_1) | instskip(SKIP_1) | instid1(VALU_DEP_1)
	v_writelane_b32 v87, s34, 20
	v_cmp_gt_u32_e64 s34, 0xd0, v26
	v_writelane_b32 v87, s34, 21
	v_cmp_gt_u32_e64 s34, 0xc0, v26
	s_delay_alu instid0(VALU_DEP_1) | instskip(SKIP_1) | instid1(VALU_DEP_1)
	v_writelane_b32 v87, s34, 22
	v_cmp_gt_u32_e64 s34, 0xb0, v26
	;; [unrolled: 5-line block ×18, first 2 shown]
	v_writelane_b32 v86, s34, 23
	v_cmp_gt_u32_e64 s34, 64, v25
	s_delay_alu instid0(VALU_DEP_1)
	v_writelane_b32 v86, s34, 24
	s_branch .LBB113_3
.LBB113_2:                              ;   in Loop: Header=BB113_3 Depth=1
	s_wait_xcnt 0x0
	s_or_b32 exec_lo, exec_lo, s34
	v_readlane_b32 s34, v89, 0
	s_add_co_i32 s66, s66, 0x10000
	global_wb scope:SCOPE_DEV
	s_wait_storecnt 0x0
	global_inv scope:SCOPE_DEV
	s_cmp_lt_u32 s66, s34
	s_cbranch_scc0 .LBB113_1257
.LBB113_3:                              ; =>This Loop Header: Depth=1
                                        ;     Child Loop BB113_1110 Depth 2
                                        ;       Child Loop BB113_1112 Depth 3
                                        ;     Child Loop BB113_1147 Depth 2
	v_mov_b32_e32 v2, s66
	v_readlane_b32 s34, v89, 1
	s_clause 0x1
	global_load_b64 v[24:25], v2, s[68:69] scale_offset
	global_load_b64 v[26:27], v2, s[72:73] scale_offset
	s_and_not1_b32 vcc_lo, exec_lo, s34
	s_wait_loadcnt 0x1
	v_add_nc_u64_e32 v[28:29], s[70:71], v[24:25]
	s_delay_alu instid0(VALU_DEP_1)
	v_lshl_add_u64 v[24:25], v[10:11], 2, v[28:29]
	s_cbranch_vccz .LBB113_6
; %bb.4:                                ;   in Loop: Header=BB113_3 Depth=1
	s_and_not1_b32 vcc_lo, exec_lo, s86
	s_mov_b32 s34, -1
	s_cbranch_vccz .LBB113_15
.LBB113_5:                              ;   in Loop: Header=BB113_3 Depth=1
	s_and_b32 vcc_lo, exec_lo, s34
	s_cbranch_vccnz .LBB113_25
	s_branch .LBB113_66
.LBB113_6:                              ;   in Loop: Header=BB113_3 Depth=1
	s_delay_alu instid0(VALU_DEP_1)
	v_lshl_add_u64 v[30:31], v[8:9], 2, v[24:25]
	v_dual_mov_b32 v79, 0 :: v_dual_mov_b32 v78, 0
	s_wait_loadcnt 0x0
	s_barrier_signal -1
	s_barrier_wait -1
	s_wait_xcnt 0x0
	s_mov_b32 s34, exec_lo
	v_readlane_b32 s65, v87, 3
	s_and_b32 s65, s34, s65
	s_delay_alu instid0(SALU_CYCLE_1)
	s_mov_b32 exec_lo, s65
	s_cbranch_execz .LBB113_8
; %bb.7:                                ;   in Loop: Header=BB113_3 Depth=1
	flat_load_b32 v78, v[30:31]
.LBB113_8:                              ;   in Loop: Header=BB113_3 Depth=1
	s_wait_xcnt 0x0
	s_or_b32 exec_lo, exec_lo, s34
	s_wait_loadcnt_dscnt 0x0
	s_barrier_signal -1
	s_barrier_wait -1
	s_mov_b32 s34, exec_lo
	v_readlane_b32 s65, v87, 4
	s_and_b32 s65, s34, s65
	s_delay_alu instid0(SALU_CYCLE_1)
	s_mov_b32 exec_lo, s65
	s_cbranch_execz .LBB113_10
; %bb.9:                                ;   in Loop: Header=BB113_3 Depth=1
	flat_load_b32 v79, v[30:31] offset:64
.LBB113_10:                             ;   in Loop: Header=BB113_3 Depth=1
	s_wait_xcnt 0x0
	s_or_b32 exec_lo, exec_lo, s34
	v_dual_mov_b32 v81, 0 :: v_dual_mov_b32 v80, 0
	s_wait_loadcnt_dscnt 0x0
	s_barrier_signal -1
	s_barrier_wait -1
	s_mov_b32 s34, exec_lo
	v_readlane_b32 s65, v87, 5
	s_and_b32 s65, s34, s65
	s_delay_alu instid0(SALU_CYCLE_1)
	s_mov_b32 exec_lo, s65
	s_cbranch_execz .LBB113_12
; %bb.11:                               ;   in Loop: Header=BB113_3 Depth=1
	flat_load_b32 v80, v[30:31] offset:128
.LBB113_12:                             ;   in Loop: Header=BB113_3 Depth=1
	s_wait_xcnt 0x0
	s_or_b32 exec_lo, exec_lo, s34
	s_wait_loadcnt_dscnt 0x0
	s_barrier_signal -1
	s_barrier_wait -1
	s_mov_b32 s34, exec_lo
	v_readlane_b32 s65, v87, 6
	s_and_b32 s65, s34, s65
	s_delay_alu instid0(SALU_CYCLE_1)
	s_mov_b32 exec_lo, s65
	s_cbranch_execz .LBB113_14
; %bb.13:                               ;   in Loop: Header=BB113_3 Depth=1
	flat_load_b32 v81, v[30:31] offset:192
.LBB113_14:                             ;   in Loop: Header=BB113_3 Depth=1
	s_wait_xcnt 0x0
	s_or_b32 exec_lo, exec_lo, s34
	s_delay_alu instid0(SALU_CYCLE_1)
	s_and_not1_b32 vcc_lo, exec_lo, s86
	s_mov_b32 s34, -1
	s_cbranch_vccnz .LBB113_5
.LBB113_15:                             ;   in Loop: Header=BB113_3 Depth=1
	s_wait_xcnt 0x0
	s_and_saveexec_b32 s34, s1
	s_delay_alu instid0(SALU_CYCLE_1)
	s_xor_b32 s34, exec_lo, s34
	s_cbranch_execnz .LBB113_1168
; %bb.16:                               ;   in Loop: Header=BB113_3 Depth=1
	s_and_not1_saveexec_b32 s34, s34
	s_cbranch_execnz .LBB113_1175
.LBB113_17:                             ;   in Loop: Header=BB113_3 Depth=1
	s_or_b32 exec_lo, exec_lo, s34
	s_and_saveexec_b32 s34, s8
	s_delay_alu instid0(SALU_CYCLE_1)
	s_xor_b32 s34, exec_lo, s34
	s_cbranch_execnz .LBB113_1176
.LBB113_18:                             ;   in Loop: Header=BB113_3 Depth=1
	s_and_not1_saveexec_b32 s34, s34
	s_cbranch_execnz .LBB113_1183
.LBB113_19:                             ;   in Loop: Header=BB113_3 Depth=1
	s_or_b32 exec_lo, exec_lo, s34
	s_and_saveexec_b32 s34, s9
	s_delay_alu instid0(SALU_CYCLE_1)
	s_xor_b32 s34, exec_lo, s34
	s_cbranch_execnz .LBB113_1184
.LBB113_20:                             ;   in Loop: Header=BB113_3 Depth=1
	s_and_not1_saveexec_b32 s34, s34
	s_cbranch_execnz .LBB113_1191
.LBB113_21:                             ;   in Loop: Header=BB113_3 Depth=1
	s_or_b32 exec_lo, exec_lo, s34
	s_and_saveexec_b32 s34, s10
	s_delay_alu instid0(SALU_CYCLE_1)
	s_xor_b32 s34, exec_lo, s34
	s_cbranch_execnz .LBB113_1192
.LBB113_22:                             ;   in Loop: Header=BB113_3 Depth=1
	s_and_not1_saveexec_b32 s34, s34
	s_cbranch_execz .LBB113_24
.LBB113_23:                             ;   in Loop: Header=BB113_3 Depth=1
	v_lshl_add_u64 v[30:31], v[18:19], 2, v[28:29]
	flat_load_b32 v2, v[30:31]
	s_wait_loadcnt_dscnt 0x0
	v_xor_b32_e32 v2, 0x80000000, v2
	ds_store_b32 v75, v2
.LBB113_24:                             ;   in Loop: Header=BB113_3 Depth=1
	s_or_b32 exec_lo, exec_lo, s34
	s_branch .LBB113_66
.LBB113_25:                             ;   in Loop: Header=BB113_3 Depth=1
	s_wait_xcnt 0x0
	s_mov_b32 s34, exec_lo
	v_readlane_b32 s65, v87, 7
	s_and_b32 s65, s34, s65
	s_delay_alu instid0(SALU_CYCLE_1)
	s_xor_b32 s34, s65, s34
	s_mov_b32 exec_lo, s65
	s_cbranch_execz .LBB113_33
; %bb.26:                               ;   in Loop: Header=BB113_3 Depth=1
	s_mov_b32 s65, exec_lo
	v_readlane_b32 s80, v87, 12
	s_and_b32 s80, s65, s80
	s_delay_alu instid0(SALU_CYCLE_1)
	s_xor_b32 s65, s80, s65
	s_mov_b32 exec_lo, s80
	s_cbranch_execz .LBB113_30
; %bb.27:                               ;   in Loop: Header=BB113_3 Depth=1
	s_mov_b32 s80, exec_lo
	v_readlane_b32 s81, v86, 21
	s_and_b32 s81, s80, s81
	s_delay_alu instid0(SALU_CYCLE_1)
	s_mov_b32 exec_lo, s81
; %bb.28:                               ;   in Loop: Header=BB113_3 Depth=1
	ds_store_b32 v76, v3
; %bb.29:                               ;   in Loop: Header=BB113_3 Depth=1
	s_or_b32 exec_lo, exec_lo, s80
.LBB113_30:                             ;   in Loop: Header=BB113_3 Depth=1
	s_and_not1_saveexec_b32 s65, s65
	s_cbranch_execz .LBB113_32
; %bb.31:                               ;   in Loop: Header=BB113_3 Depth=1
	v_lshl_add_u64 v[30:31], v[12:13], 2, v[28:29]
	flat_load_b32 v2, v[30:31]
	s_wait_loadcnt_dscnt 0x0
	v_div_scale_f32 v30, null, v2, v2, 1.0
	s_delay_alu instid0(VALU_DEP_1) | instskip(SKIP_1) | instid1(TRANS32_DEP_1)
	v_rcp_f32_e32 v31, v30
	v_nop
	v_fma_f32 v82, -v30, v31, 1.0
	s_delay_alu instid0(VALU_DEP_1) | instskip(SKIP_1) | instid1(VALU_DEP_1)
	v_fmac_f32_e32 v31, v82, v31
	v_div_scale_f32 v82, vcc_lo, 1.0, v2, 1.0
	v_mul_f32_e32 v83, v82, v31
	s_delay_alu instid0(VALU_DEP_1) | instskip(NEXT) | instid1(VALU_DEP_1)
	v_fma_f32 v84, -v30, v83, v82
	v_fmac_f32_e32 v83, v84, v31
	s_delay_alu instid0(VALU_DEP_1) | instskip(NEXT) | instid1(VALU_DEP_1)
	v_fma_f32 v30, -v30, v83, v82
	v_div_fmas_f32 v30, v30, v31, v83
	s_delay_alu instid0(VALU_DEP_1)
	v_div_fixup_f32 v2, v30, v2, 1.0
	ds_store_b32 v76, v2
.LBB113_32:                             ;   in Loop: Header=BB113_3 Depth=1
	s_or_b32 exec_lo, exec_lo, s65
.LBB113_33:                             ;   in Loop: Header=BB113_3 Depth=1
	s_and_not1_saveexec_b32 s34, s34
	s_cbranch_execz .LBB113_35
; %bb.34:                               ;   in Loop: Header=BB113_3 Depth=1
	v_lshl_add_u64 v[30:31], v[12:13], 2, v[28:29]
	flat_load_b32 v2, v[30:31]
	s_wait_loadcnt_dscnt 0x0
	v_xor_b32_e32 v2, 0x80000000, v2
	ds_store_b32 v76, v2
.LBB113_35:                             ;   in Loop: Header=BB113_3 Depth=1
	s_or_b32 exec_lo, exec_lo, s34
	s_delay_alu instid0(SALU_CYCLE_1) | instskip(SKIP_2) | instid1(SALU_CYCLE_1)
	s_mov_b32 s34, exec_lo
	v_readlane_b32 s65, v87, 8
	s_and_b32 s65, s34, s65
	s_xor_b32 s34, s65, s34
	s_mov_b32 exec_lo, s65
	s_cbranch_execz .LBB113_43
; %bb.36:                               ;   in Loop: Header=BB113_3 Depth=1
	s_mov_b32 s65, exec_lo
	v_readlane_b32 s80, v87, 14
	s_and_b32 s80, s65, s80
	s_delay_alu instid0(SALU_CYCLE_1)
	s_xor_b32 s65, s80, s65
	s_mov_b32 exec_lo, s80
	s_cbranch_execz .LBB113_40
; %bb.37:                               ;   in Loop: Header=BB113_3 Depth=1
	s_mov_b32 s80, exec_lo
	v_readlane_b32 s81, v86, 22
	s_and_b32 s81, s80, s81
	s_delay_alu instid0(SALU_CYCLE_1)
	s_mov_b32 exec_lo, s81
; %bb.38:                               ;   in Loop: Header=BB113_3 Depth=1
	ds_store_b32 v73, v3
; %bb.39:                               ;   in Loop: Header=BB113_3 Depth=1
	s_or_b32 exec_lo, exec_lo, s80
.LBB113_40:                             ;   in Loop: Header=BB113_3 Depth=1
	s_and_not1_saveexec_b32 s65, s65
	s_cbranch_execz .LBB113_42
; %bb.41:                               ;   in Loop: Header=BB113_3 Depth=1
	v_lshl_add_u64 v[30:31], v[14:15], 2, v[28:29]
	flat_load_b32 v2, v[30:31]
	s_wait_loadcnt_dscnt 0x0
	v_div_scale_f32 v30, null, v2, v2, 1.0
	s_delay_alu instid0(VALU_DEP_1) | instskip(SKIP_1) | instid1(TRANS32_DEP_1)
	v_rcp_f32_e32 v31, v30
	v_nop
	v_fma_f32 v82, -v30, v31, 1.0
	s_delay_alu instid0(VALU_DEP_1) | instskip(SKIP_1) | instid1(VALU_DEP_1)
	v_fmac_f32_e32 v31, v82, v31
	v_div_scale_f32 v82, vcc_lo, 1.0, v2, 1.0
	v_mul_f32_e32 v83, v82, v31
	s_delay_alu instid0(VALU_DEP_1) | instskip(NEXT) | instid1(VALU_DEP_1)
	v_fma_f32 v84, -v30, v83, v82
	v_fmac_f32_e32 v83, v84, v31
	s_delay_alu instid0(VALU_DEP_1) | instskip(NEXT) | instid1(VALU_DEP_1)
	v_fma_f32 v30, -v30, v83, v82
	v_div_fmas_f32 v30, v30, v31, v83
	s_delay_alu instid0(VALU_DEP_1)
	v_div_fixup_f32 v2, v30, v2, 1.0
	ds_store_b32 v73, v2
.LBB113_42:                             ;   in Loop: Header=BB113_3 Depth=1
	s_or_b32 exec_lo, exec_lo, s65
.LBB113_43:                             ;   in Loop: Header=BB113_3 Depth=1
	s_and_not1_saveexec_b32 s34, s34
	s_cbranch_execz .LBB113_45
; %bb.44:                               ;   in Loop: Header=BB113_3 Depth=1
	v_lshl_add_u64 v[30:31], v[14:15], 2, v[28:29]
	flat_load_b32 v2, v[30:31]
	s_wait_loadcnt_dscnt 0x0
	v_xor_b32_e32 v2, 0x80000000, v2
	ds_store_b32 v73, v2
.LBB113_45:                             ;   in Loop: Header=BB113_3 Depth=1
	s_or_b32 exec_lo, exec_lo, s34
	s_delay_alu instid0(SALU_CYCLE_1) | instskip(SKIP_2) | instid1(SALU_CYCLE_1)
	s_mov_b32 s34, exec_lo
	v_readlane_b32 s65, v87, 9
	s_and_b32 s65, s34, s65
	;; [unrolled: 63-line block ×3, first 2 shown]
	s_xor_b32 s34, s65, s34
	s_mov_b32 exec_lo, s65
	s_cbranch_execz .LBB113_63
; %bb.56:                               ;   in Loop: Header=BB113_3 Depth=1
	s_mov_b32 s65, exec_lo
	v_readlane_b32 s80, v87, 18
	s_and_b32 s80, s65, s80
	s_delay_alu instid0(SALU_CYCLE_1)
	s_xor_b32 s65, s80, s65
	s_mov_b32 exec_lo, s80
	s_cbranch_execz .LBB113_60
; %bb.57:                               ;   in Loop: Header=BB113_3 Depth=1
	s_mov_b32 s80, exec_lo
	v_readlane_b32 s81, v86, 24
	s_and_b32 s81, s80, s81
	s_delay_alu instid0(SALU_CYCLE_1)
	s_mov_b32 exec_lo, s81
; %bb.58:                               ;   in Loop: Header=BB113_3 Depth=1
	ds_store_b32 v75, v3
; %bb.59:                               ;   in Loop: Header=BB113_3 Depth=1
	s_or_b32 exec_lo, exec_lo, s80
                                        ; implicit-def: $vgpr28_vgpr29
.LBB113_60:                             ;   in Loop: Header=BB113_3 Depth=1
	s_and_not1_saveexec_b32 s65, s65
	s_cbranch_execz .LBB113_62
; %bb.61:                               ;   in Loop: Header=BB113_3 Depth=1
	v_lshl_add_u64 v[28:29], v[18:19], 2, v[28:29]
	flat_load_b32 v2, v[28:29]
	s_wait_loadcnt_dscnt 0x0
	v_div_scale_f32 v28, null, v2, v2, 1.0
	s_delay_alu instid0(VALU_DEP_1) | instskip(SKIP_1) | instid1(TRANS32_DEP_1)
	v_rcp_f32_e32 v29, v28
	v_nop
	v_fma_f32 v30, -v28, v29, 1.0
	s_delay_alu instid0(VALU_DEP_1) | instskip(SKIP_1) | instid1(VALU_DEP_1)
	v_fmac_f32_e32 v29, v30, v29
	v_div_scale_f32 v30, vcc_lo, 1.0, v2, 1.0
	v_mul_f32_e32 v31, v30, v29
	s_delay_alu instid0(VALU_DEP_1) | instskip(NEXT) | instid1(VALU_DEP_1)
	v_fma_f32 v82, -v28, v31, v30
	v_fmac_f32_e32 v31, v82, v29
	s_delay_alu instid0(VALU_DEP_1) | instskip(NEXT) | instid1(VALU_DEP_1)
	v_fma_f32 v28, -v28, v31, v30
	v_div_fmas_f32 v28, v28, v29, v31
	s_delay_alu instid0(VALU_DEP_1)
	v_div_fixup_f32 v2, v28, v2, 1.0
	ds_store_b32 v75, v2
.LBB113_62:                             ;   in Loop: Header=BB113_3 Depth=1
	s_or_b32 exec_lo, exec_lo, s65
                                        ; implicit-def: $vgpr28_vgpr29
.LBB113_63:                             ;   in Loop: Header=BB113_3 Depth=1
	s_and_not1_saveexec_b32 s34, s34
	s_cbranch_execz .LBB113_65
; %bb.64:                               ;   in Loop: Header=BB113_3 Depth=1
	v_lshl_add_u64 v[28:29], v[18:19], 2, v[28:29]
	flat_load_b32 v2, v[28:29]
	s_wait_loadcnt_dscnt 0x0
	v_xor_b32_e32 v2, 0x80000000, v2
	ds_store_b32 v75, v2
.LBB113_65:                             ;   in Loop: Header=BB113_3 Depth=1
	s_or_b32 exec_lo, exec_lo, s34
.LBB113_66:                             ;   in Loop: Header=BB113_3 Depth=1
	s_delay_alu instid0(SALU_CYCLE_1)
	s_and_not1_b32 vcc_lo, exec_lo, s88
	s_wait_loadcnt_dscnt 0x0
	s_barrier_signal -1
	s_barrier_wait -1
	s_cbranch_vccnz .LBB113_1104
; %bb.67:                               ;   in Loop: Header=BB113_3 Depth=1
	s_wait_xcnt 0x0
	s_and_saveexec_b32 s34, s15
	s_cbranch_execz .LBB113_69
; %bb.68:                               ;   in Loop: Header=BB113_3 Depth=1
	ds_load_b64 v[28:29], v3 offset:16376
	ds_load_b32 v2, v3 offset:16120
	s_wait_dscnt 0x0
	v_mul_f32_e32 v2, v2, v29
	s_delay_alu instid0(VALU_DEP_1)
	v_mul_f32_e32 v2, v28, v2
	v_add_nc_u32_e64 v28, 0x3c00, 0
	ds_store_2addr_b32 v28, v2, v2 offset0:191 offset1:254
.LBB113_69:                             ;   in Loop: Header=BB113_3 Depth=1
	s_or_b32 exec_lo, exec_lo, s34
	v_mov_b32_e32 v2, 0
	s_wait_dscnt 0x0
	s_barrier_signal -1
	s_barrier_wait -1
	global_wb scope:SCOPE_DEV
	s_wait_storecnt 0x0
	global_inv scope:SCOPE_DEV
	s_and_saveexec_b32 s34, s2
	s_cbranch_execz .LBB113_73
; %bb.70:                               ;   in Loop: Header=BB113_3 Depth=1
	ds_load_b32 v2, v35 offset:16112
	ds_load_b32 v28, v34 offset:16376
	s_wait_dscnt 0x0
	v_fma_f32 v2, v2, v28, 0
	s_and_saveexec_b32 s65, s16
	s_cbranch_execz .LBB113_72
; %bb.71:                               ;   in Loop: Header=BB113_3 Depth=1
	ds_load_b32 v28, v36 offset:16368
	ds_load_b32 v29, v3 offset:16380
	s_wait_dscnt 0x0
	v_fmac_f32_e32 v2, v28, v29
.LBB113_72:                             ;   in Loop: Header=BB113_3 Depth=1
	s_or_b32 exec_lo, exec_lo, s65
.LBB113_73:                             ;   in Loop: Header=BB113_3 Depth=1
	s_delay_alu instid0(SALU_CYCLE_1)
	s_or_b32 exec_lo, exec_lo, s34
	s_and_saveexec_b32 s34, s89
	s_cbranch_execz .LBB113_75
; %bb.74:                               ;   in Loop: Header=BB113_3 Depth=1
	ds_load_b32 v28, v3 offset:15860
	s_wait_dscnt 0x0
	v_mul_f32_e32 v2, v2, v28
	s_delay_alu instid0(VALU_DEP_1)
	v_xor_b32_e32 v28, 0x80000000, v2
	ds_store_b32 v5, v28
.LBB113_75:                             ;   in Loop: Header=BB113_3 Depth=1
	s_or_b32 exec_lo, exec_lo, s34
	s_wait_loadcnt_dscnt 0x0
	s_barrier_signal -1
	s_barrier_wait -1
	s_and_saveexec_b32 s34, s90
	s_cbranch_execz .LBB113_77
; %bb.76:                               ;   in Loop: Header=BB113_3 Depth=1
	ds_load_b32 v28, v3 offset:15856
	ds_load_b32 v29, v5
	s_wait_dscnt 0x0
	v_fma_f32 v2, -v28, v29, v2
.LBB113_77:                             ;   in Loop: Header=BB113_3 Depth=1
	s_or_b32 exec_lo, exec_lo, s34
	s_barrier_signal -1
	s_barrier_wait -1
	s_and_saveexec_b32 s34, s90
	s_cbranch_execz .LBB113_79
; %bb.78:                               ;   in Loop: Header=BB113_3 Depth=1
	ds_load_b32 v28, v3 offset:15600
	s_wait_dscnt 0x0
	v_mul_f32_e32 v2, v2, v28
	s_delay_alu instid0(VALU_DEP_1)
	v_xor_b32_e32 v28, 0x80000000, v2
	ds_store_b32 v5, v28
.LBB113_79:                             ;   in Loop: Header=BB113_3 Depth=1
	s_or_b32 exec_lo, exec_lo, s34
	s_wait_dscnt 0x0
	s_barrier_signal -1
	s_barrier_wait -1
	s_barrier_signal -1
	s_barrier_wait -1
	s_and_saveexec_b32 s34, s2
; %bb.80:                               ;   in Loop: Header=BB113_3 Depth=1
	ds_store_b32 v37, v2 offset:16368
; %bb.81:                               ;   in Loop: Header=BB113_3 Depth=1
	s_or_b32 exec_lo, exec_lo, s34
	s_wait_dscnt 0x0
	s_barrier_signal -1
	s_barrier_wait -1
	s_barrier_signal -1
	s_barrier_wait -1
	s_and_saveexec_b32 s34, s91
	s_cbranch_execz .LBB113_83
; %bb.82:                               ;   in Loop: Header=BB113_3 Depth=1
	ds_load_b32 v2, v38 offset:16112
	s_wait_dscnt 0x0
	ds_store_b32 v36, v2 offset:15608
	ds_load_b32 v2, v38 offset:16116
	s_wait_dscnt 0x0
	ds_store_b32 v36, v2 offset:15864
.LBB113_83:                             ;   in Loop: Header=BB113_3 Depth=1
	s_or_b32 exec_lo, exec_lo, s34
	s_wait_dscnt 0x0
	s_barrier_signal -1
	s_barrier_wait -1
	s_and_saveexec_b32 s34, s15
	s_cbranch_execz .LBB113_85
; %bb.84:                               ;   in Loop: Header=BB113_3 Depth=1
	ds_load_b64 v[28:29], v3 offset:15856
	ds_load_b32 v2, v3 offset:15600
	s_wait_dscnt 0x0
	v_mul_f32_e32 v2, v2, v29
	s_delay_alu instid0(VALU_DEP_1)
	v_mul_f32_e32 v2, v28, v2
	v_add_nc_u32_e64 v28, 0x3c00, 0
	ds_store_2addr_b32 v28, v2, v2 offset0:61 offset1:124
.LBB113_85:                             ;   in Loop: Header=BB113_3 Depth=1
	s_or_b32 exec_lo, exec_lo, s34
	v_mov_b32_e32 v2, 0
	s_wait_dscnt 0x0
	s_barrier_signal -1
	s_barrier_wait -1
	global_wb scope:SCOPE_DEV
	s_wait_storecnt 0x0
	global_inv scope:SCOPE_DEV
	s_and_saveexec_b32 s34, s4
	s_cbranch_execz .LBB113_91
; %bb.86:                               ;   in Loop: Header=BB113_3 Depth=1
	ds_load_b32 v2, v41 offset:15584
	ds_load_b32 v28, v40 offset:16368
	s_wait_dscnt 0x0
	v_fma_f32 v2, v2, v28, 0
	s_and_saveexec_b32 s65, s17
	s_cbranch_execnz .LBB113_1207
; %bb.87:                               ;   in Loop: Header=BB113_3 Depth=1
	s_or_b32 exec_lo, exec_lo, s65
	s_and_saveexec_b32 s65, s18
	s_cbranch_execnz .LBB113_1208
.LBB113_88:                             ;   in Loop: Header=BB113_3 Depth=1
	s_or_b32 exec_lo, exec_lo, s65
	s_and_saveexec_b32 s65, s2
	s_cbranch_execz .LBB113_90
.LBB113_89:                             ;   in Loop: Header=BB113_3 Depth=1
	ds_load_b32 v28, v42 offset:16352
	ds_load_b32 v29, v3 offset:16380
	s_wait_dscnt 0x0
	v_fmac_f32_e32 v2, v28, v29
.LBB113_90:                             ;   in Loop: Header=BB113_3 Depth=1
	s_or_b32 exec_lo, exec_lo, s65
.LBB113_91:                             ;   in Loop: Header=BB113_3 Depth=1
	s_delay_alu instid0(SALU_CYCLE_1)
	s_or_b32 exec_lo, exec_lo, s34
	s_and_saveexec_b32 s34, s92
	s_cbranch_execz .LBB113_93
; %bb.92:                               ;   in Loop: Header=BB113_3 Depth=1
	ds_load_b32 v28, v3 offset:15340
	s_wait_dscnt 0x0
	v_mul_f32_e32 v2, v2, v28
	s_delay_alu instid0(VALU_DEP_1)
	v_xor_b32_e32 v28, 0x80000000, v2
	ds_store_b32 v39, v28
.LBB113_93:                             ;   in Loop: Header=BB113_3 Depth=1
	s_or_b32 exec_lo, exec_lo, s34
	s_wait_loadcnt_dscnt 0x0
	s_barrier_signal -1
	s_barrier_wait -1
	s_and_saveexec_b32 s34, s93
	s_cbranch_execz .LBB113_95
; %bb.94:                               ;   in Loop: Header=BB113_3 Depth=1
	ds_load_b32 v28, v41 offset:15328
	ds_load_b32 v29, v39
	s_wait_dscnt 0x0
	v_fma_f32 v2, -v28, v29, v2
.LBB113_95:                             ;   in Loop: Header=BB113_3 Depth=1
	s_or_b32 exec_lo, exec_lo, s34
	s_barrier_signal -1
	s_barrier_wait -1
	s_and_saveexec_b32 s34, s94
	s_cbranch_execz .LBB113_97
; %bb.96:                               ;   in Loop: Header=BB113_3 Depth=1
	ds_load_b32 v28, v3 offset:15080
	s_wait_dscnt 0x0
	v_mul_f32_e32 v2, v2, v28
	s_delay_alu instid0(VALU_DEP_1)
	v_xor_b32_e32 v28, 0x80000000, v2
	ds_store_b32 v39, v28
.LBB113_97:                             ;   in Loop: Header=BB113_3 Depth=1
	s_or_b32 exec_lo, exec_lo, s34
	s_wait_dscnt 0x0
	s_barrier_signal -1
	s_barrier_wait -1
	s_and_saveexec_b32 s34, s95
	s_cbranch_execz .LBB113_99
; %bb.98:                               ;   in Loop: Header=BB113_3 Depth=1
	ds_load_b32 v28, v41 offset:15072
	ds_load_b32 v29, v39
	s_wait_dscnt 0x0
	v_fma_f32 v2, -v28, v29, v2
.LBB113_99:                             ;   in Loop: Header=BB113_3 Depth=1
	s_or_b32 exec_lo, exec_lo, s34
	s_barrier_signal -1
	s_barrier_wait -1
	s_and_saveexec_b32 s34, s96
	s_cbranch_execz .LBB113_101
; %bb.100:                              ;   in Loop: Header=BB113_3 Depth=1
	ds_load_b32 v28, v3 offset:14820
	s_wait_dscnt 0x0
	v_mul_f32_e32 v2, v2, v28
	s_delay_alu instid0(VALU_DEP_1)
	v_xor_b32_e32 v28, 0x80000000, v2
	ds_store_b32 v39, v28
.LBB113_101:                            ;   in Loop: Header=BB113_3 Depth=1
	s_or_b32 exec_lo, exec_lo, s34
	s_wait_dscnt 0x0
	s_barrier_signal -1
	s_barrier_wait -1
	s_and_saveexec_b32 s34, s97
	s_cbranch_execz .LBB113_103
; %bb.102:                              ;   in Loop: Header=BB113_3 Depth=1
	ds_load_b32 v28, v3 offset:14816
	ds_load_b32 v29, v39
	s_wait_dscnt 0x0
	v_fma_f32 v2, -v28, v29, v2
.LBB113_103:                            ;   in Loop: Header=BB113_3 Depth=1
	s_or_b32 exec_lo, exec_lo, s34
	s_barrier_signal -1
	s_barrier_wait -1
	s_and_saveexec_b32 s34, s97
	s_cbranch_execz .LBB113_105
; %bb.104:                              ;   in Loop: Header=BB113_3 Depth=1
	ds_load_b32 v28, v3 offset:14560
	s_wait_dscnt 0x0
	v_mul_f32_e32 v2, v2, v28
	s_delay_alu instid0(VALU_DEP_1)
	v_xor_b32_e32 v28, 0x80000000, v2
	ds_store_b32 v39, v28
.LBB113_105:                            ;   in Loop: Header=BB113_3 Depth=1
	s_or_b32 exec_lo, exec_lo, s34
	s_wait_dscnt 0x0
	s_barrier_signal -1
	s_barrier_wait -1
	s_barrier_signal -1
	s_barrier_wait -1
	s_and_saveexec_b32 s34, s4
; %bb.106:                              ;   in Loop: Header=BB113_3 Depth=1
	ds_store_b32 v43, v2 offset:16352
; %bb.107:                              ;   in Loop: Header=BB113_3 Depth=1
	s_or_b32 exec_lo, exec_lo, s34
	s_wait_dscnt 0x0
	s_barrier_signal -1
	s_barrier_wait -1
	s_barrier_signal -1
	s_barrier_wait -1
	s_and_saveexec_b32 s34, s98
	s_cbranch_execz .LBB113_109
; %bb.108:                              ;   in Loop: Header=BB113_3 Depth=1
	ds_load_b32 v2, v7 offset:15584
	s_wait_dscnt 0x0
	ds_store_b32 v53, v2 offset:14576
	ds_load_b32 v2, v7 offset:15588
	s_wait_dscnt 0x0
	ds_store_b32 v53, v2 offset:14832
	;; [unrolled: 3-line block ×4, first 2 shown]
.LBB113_109:                            ;   in Loop: Header=BB113_3 Depth=1
	s_or_b32 exec_lo, exec_lo, s34
	s_wait_dscnt 0x0
	s_barrier_signal -1
	s_barrier_wait -1
	s_and_saveexec_b32 s34, s15
	s_cbranch_execz .LBB113_111
; %bb.110:                              ;   in Loop: Header=BB113_3 Depth=1
	ds_load_b64 v[28:29], v3 offset:15336
	ds_load_b32 v2, v3 offset:15080
	s_wait_dscnt 0x0
	v_mul_f32_e32 v2, v2, v29
	s_delay_alu instid0(VALU_DEP_1)
	v_mul_f32_e32 v2, v28, v2
	v_add_nc_u32_e64 v28, 0x3800, 0
	ds_store_2addr_b32 v28, v2, v2 offset0:187 offset1:250
.LBB113_111:                            ;   in Loop: Header=BB113_3 Depth=1
	s_or_b32 exec_lo, exec_lo, s34
	v_mov_b32_e32 v2, 0
	s_wait_dscnt 0x0
	s_barrier_signal -1
	s_barrier_wait -1
	global_wb scope:SCOPE_DEV
	s_wait_storecnt 0x0
	global_inv scope:SCOPE_DEV
	s_and_saveexec_b32 s34, s2
	s_cbranch_execz .LBB113_115
; %bb.112:                              ;   in Loop: Header=BB113_3 Depth=1
	ds_load_b32 v2, v35 offset:15072
	ds_load_b32 v28, v34 offset:15336
	s_wait_dscnt 0x0
	v_fma_f32 v2, v2, v28, 0
	s_and_saveexec_b32 s65, s16
	s_cbranch_execz .LBB113_114
; %bb.113:                              ;   in Loop: Header=BB113_3 Depth=1
	ds_load_b32 v28, v53 offset:15328
	ds_load_b32 v29, v3 offset:15340
	s_wait_dscnt 0x0
	v_fmac_f32_e32 v2, v28, v29
.LBB113_114:                            ;   in Loop: Header=BB113_3 Depth=1
	s_or_b32 exec_lo, exec_lo, s65
.LBB113_115:                            ;   in Loop: Header=BB113_3 Depth=1
	s_delay_alu instid0(SALU_CYCLE_1)
	s_or_b32 exec_lo, exec_lo, s34
	s_and_saveexec_b32 s34, s89
	s_cbranch_execz .LBB113_117
; %bb.116:                              ;   in Loop: Header=BB113_3 Depth=1
	ds_load_b32 v28, v3 offset:14820
	s_wait_dscnt 0x0
	v_mul_f32_e32 v2, v2, v28
	s_delay_alu instid0(VALU_DEP_1)
	v_xor_b32_e32 v28, 0x80000000, v2
	ds_store_b32 v5, v28
.LBB113_117:                            ;   in Loop: Header=BB113_3 Depth=1
	s_or_b32 exec_lo, exec_lo, s34
	s_wait_loadcnt_dscnt 0x0
	s_barrier_signal -1
	s_barrier_wait -1
	s_and_saveexec_b32 s34, s90
	s_cbranch_execz .LBB113_119
; %bb.118:                              ;   in Loop: Header=BB113_3 Depth=1
	ds_load_b32 v28, v3 offset:14816
	ds_load_b32 v29, v5
	s_wait_dscnt 0x0
	v_fma_f32 v2, -v28, v29, v2
.LBB113_119:                            ;   in Loop: Header=BB113_3 Depth=1
	s_or_b32 exec_lo, exec_lo, s34
	s_barrier_signal -1
	s_barrier_wait -1
	s_and_saveexec_b32 s34, s90
	s_cbranch_execz .LBB113_121
; %bb.120:                              ;   in Loop: Header=BB113_3 Depth=1
	ds_load_b32 v28, v3 offset:14560
	s_wait_dscnt 0x0
	v_mul_f32_e32 v2, v2, v28
	s_delay_alu instid0(VALU_DEP_1)
	v_xor_b32_e32 v28, 0x80000000, v2
	ds_store_b32 v5, v28
.LBB113_121:                            ;   in Loop: Header=BB113_3 Depth=1
	s_or_b32 exec_lo, exec_lo, s34
	s_wait_dscnt 0x0
	s_barrier_signal -1
	s_barrier_wait -1
	s_barrier_signal -1
	s_barrier_wait -1
	s_and_saveexec_b32 s34, s2
; %bb.122:                              ;   in Loop: Header=BB113_3 Depth=1
	ds_store_b32 v37, v2 offset:15328
; %bb.123:                              ;   in Loop: Header=BB113_3 Depth=1
	s_or_b32 exec_lo, exec_lo, s34
	s_wait_dscnt 0x0
	s_barrier_signal -1
	s_barrier_wait -1
	s_barrier_signal -1
	s_barrier_wait -1
	s_and_saveexec_b32 s34, s91
	s_cbranch_execz .LBB113_125
; %bb.124:                              ;   in Loop: Header=BB113_3 Depth=1
	ds_load_b32 v2, v54 offset:15072
	s_wait_dscnt 0x0
	ds_store_b32 v53, v2 offset:14568
	ds_load_b32 v2, v54 offset:15076
	s_wait_dscnt 0x0
	ds_store_b32 v53, v2 offset:14824
.LBB113_125:                            ;   in Loop: Header=BB113_3 Depth=1
	s_or_b32 exec_lo, exec_lo, s34
	s_wait_dscnt 0x0
	s_barrier_signal -1
	s_barrier_wait -1
	s_and_saveexec_b32 s34, s15
	s_cbranch_execz .LBB113_127
; %bb.126:                              ;   in Loop: Header=BB113_3 Depth=1
	ds_load_b64 v[28:29], v3 offset:14816
	ds_load_b32 v2, v3 offset:14560
	s_wait_dscnt 0x0
	v_mul_f32_e32 v2, v2, v29
	s_delay_alu instid0(VALU_DEP_1)
	v_mul_f32_e32 v2, v28, v2
	v_add_nc_u32_e64 v28, 0x3800, 0
	ds_store_2addr_b32 v28, v2, v2 offset0:57 offset1:120
.LBB113_127:                            ;   in Loop: Header=BB113_3 Depth=1
	s_or_b32 exec_lo, exec_lo, s34
	v_mov_b32_e32 v2, 0
	s_wait_dscnt 0x0
	s_barrier_signal -1
	s_barrier_wait -1
	global_wb scope:SCOPE_DEV
	s_wait_storecnt 0x0
	global_inv scope:SCOPE_DEV
	s_and_saveexec_b32 s34, s5
	s_cbranch_execz .LBB113_137
; %bb.128:                              ;   in Loop: Header=BB113_3 Depth=1
	ds_load_b32 v2, v46 offset:14528
	ds_load_b32 v28, v45 offset:16352
	s_wait_dscnt 0x0
	v_fma_f32 v2, v2, v28, 0
	s_and_saveexec_b32 s65, s19
	s_cbranch_execnz .LBB113_1209
; %bb.129:                              ;   in Loop: Header=BB113_3 Depth=1
	s_or_b32 exec_lo, exec_lo, s65
	s_and_saveexec_b32 s65, s20
	s_cbranch_execnz .LBB113_1210
.LBB113_130:                            ;   in Loop: Header=BB113_3 Depth=1
	s_or_b32 exec_lo, exec_lo, s65
	s_and_saveexec_b32 s65, s21
	s_cbranch_execnz .LBB113_1211
.LBB113_131:                            ;   in Loop: Header=BB113_3 Depth=1
	s_or_b32 exec_lo, exec_lo, s65
	s_and_saveexec_b32 s65, s22
	s_cbranch_execnz .LBB113_1212
.LBB113_132:                            ;   in Loop: Header=BB113_3 Depth=1
	s_or_b32 exec_lo, exec_lo, s65
	s_and_saveexec_b32 s65, s23
	s_cbranch_execnz .LBB113_1213
.LBB113_133:                            ;   in Loop: Header=BB113_3 Depth=1
	s_or_b32 exec_lo, exec_lo, s65
	s_and_saveexec_b32 s65, s4
	s_cbranch_execnz .LBB113_1214
.LBB113_134:                            ;   in Loop: Header=BB113_3 Depth=1
	s_or_b32 exec_lo, exec_lo, s65
	s_and_saveexec_b32 s65, s18
	s_cbranch_execz .LBB113_136
.LBB113_135:                            ;   in Loop: Header=BB113_3 Depth=1
	ds_load_b32 v28, v55 offset:16320
	ds_load_b32 v29, v3 offset:16380
	s_wait_dscnt 0x0
	v_fmac_f32_e32 v2, v28, v29
.LBB113_136:                            ;   in Loop: Header=BB113_3 Depth=1
	s_or_b32 exec_lo, exec_lo, s65
.LBB113_137:                            ;   in Loop: Header=BB113_3 Depth=1
	s_delay_alu instid0(SALU_CYCLE_1)
	s_or_b32 exec_lo, exec_lo, s34
	s_and_saveexec_b32 s34, s99
	s_cbranch_execz .LBB113_139
; %bb.138:                              ;   in Loop: Header=BB113_3 Depth=1
	ds_load_b32 v28, v3 offset:14300
	s_wait_dscnt 0x0
	v_mul_f32_e32 v2, v2, v28
	s_delay_alu instid0(VALU_DEP_1)
	v_xor_b32_e32 v28, 0x80000000, v2
	ds_store_b32 v44, v28
.LBB113_139:                            ;   in Loop: Header=BB113_3 Depth=1
	s_or_b32 exec_lo, exec_lo, s34
	s_wait_loadcnt_dscnt 0x0
	s_barrier_signal -1
	s_barrier_wait -1
	s_and_saveexec_b32 s34, s100
	s_cbranch_execz .LBB113_141
; %bb.140:                              ;   in Loop: Header=BB113_3 Depth=1
	ds_load_b32 v28, v46 offset:14272
	ds_load_b32 v29, v44
	s_wait_dscnt 0x0
	v_fma_f32 v2, -v28, v29, v2
.LBB113_141:                            ;   in Loop: Header=BB113_3 Depth=1
	s_or_b32 exec_lo, exec_lo, s34
	s_barrier_signal -1
	s_barrier_wait -1
	s_and_saveexec_b32 s34, s101
	s_cbranch_execz .LBB113_143
; %bb.142:                              ;   in Loop: Header=BB113_3 Depth=1
	ds_load_b32 v28, v3 offset:14040
	s_wait_dscnt 0x0
	v_mul_f32_e32 v2, v2, v28
	s_delay_alu instid0(VALU_DEP_1)
	v_xor_b32_e32 v28, 0x80000000, v2
	ds_store_b32 v44, v28
.LBB113_143:                            ;   in Loop: Header=BB113_3 Depth=1
	s_or_b32 exec_lo, exec_lo, s34
	s_wait_dscnt 0x0
	s_barrier_signal -1
	s_barrier_wait -1
	s_and_saveexec_b32 s34, s102
	s_cbranch_execz .LBB113_145
; %bb.144:                              ;   in Loop: Header=BB113_3 Depth=1
	ds_load_b32 v28, v46 offset:14016
	ds_load_b32 v29, v44
	s_wait_dscnt 0x0
	v_fma_f32 v2, -v28, v29, v2
.LBB113_145:                            ;   in Loop: Header=BB113_3 Depth=1
	s_or_b32 exec_lo, exec_lo, s34
	s_barrier_signal -1
	s_barrier_wait -1
	s_and_saveexec_b32 s34, s103
	s_cbranch_execz .LBB113_147
; %bb.146:                              ;   in Loop: Header=BB113_3 Depth=1
	ds_load_b32 v28, v3 offset:13780
	s_wait_dscnt 0x0
	v_mul_f32_e32 v2, v2, v28
	s_delay_alu instid0(VALU_DEP_1)
	v_xor_b32_e32 v28, 0x80000000, v2
	ds_store_b32 v44, v28
.LBB113_147:                            ;   in Loop: Header=BB113_3 Depth=1
	s_or_b32 exec_lo, exec_lo, s34
	s_wait_dscnt 0x0
	s_barrier_signal -1
	s_barrier_wait -1
	s_and_saveexec_b32 s34, s104
	s_cbranch_execz .LBB113_149
; %bb.148:                              ;   in Loop: Header=BB113_3 Depth=1
	ds_load_b32 v28, v46 offset:13760
	ds_load_b32 v29, v44
	s_wait_dscnt 0x0
	v_fma_f32 v2, -v28, v29, v2
.LBB113_149:                            ;   in Loop: Header=BB113_3 Depth=1
	s_or_b32 exec_lo, exec_lo, s34
	s_barrier_signal -1
	s_barrier_wait -1
	s_and_saveexec_b32 s34, vcc_hi
	s_cbranch_execz .LBB113_151
; %bb.150:                              ;   in Loop: Header=BB113_3 Depth=1
	ds_load_b32 v28, v3 offset:13520
	s_wait_dscnt 0x0
	v_mul_f32_e32 v2, v2, v28
	s_delay_alu instid0(VALU_DEP_1)
	v_xor_b32_e32 v28, 0x80000000, v2
	ds_store_b32 v44, v28
.LBB113_151:                            ;   in Loop: Header=BB113_3 Depth=1
	s_or_b32 exec_lo, exec_lo, s34
	s_wait_dscnt 0x0
	s_barrier_signal -1
	s_barrier_wait -1
	s_and_saveexec_b32 s34, s36
	s_cbranch_execz .LBB113_153
; %bb.152:                              ;   in Loop: Header=BB113_3 Depth=1
	ds_load_b32 v28, v46 offset:13504
	ds_load_b32 v29, v44
	s_wait_dscnt 0x0
	v_fma_f32 v2, -v28, v29, v2
.LBB113_153:                            ;   in Loop: Header=BB113_3 Depth=1
	s_or_b32 exec_lo, exec_lo, s34
	s_barrier_signal -1
	s_barrier_wait -1
	s_and_saveexec_b32 s34, s37
	s_cbranch_execz .LBB113_155
; %bb.154:                              ;   in Loop: Header=BB113_3 Depth=1
	ds_load_b32 v28, v3 offset:13260
	s_wait_dscnt 0x0
	v_mul_f32_e32 v2, v2, v28
	s_delay_alu instid0(VALU_DEP_1)
	v_xor_b32_e32 v28, 0x80000000, v2
	ds_store_b32 v44, v28
.LBB113_155:                            ;   in Loop: Header=BB113_3 Depth=1
	s_or_b32 exec_lo, exec_lo, s34
	s_wait_dscnt 0x0
	s_barrier_signal -1
	s_barrier_wait -1
	s_and_saveexec_b32 s34, s38
	s_cbranch_execz .LBB113_157
; %bb.156:                              ;   in Loop: Header=BB113_3 Depth=1
	ds_load_b32 v28, v46 offset:13248
	ds_load_b32 v29, v44
	s_wait_dscnt 0x0
	v_fma_f32 v2, -v28, v29, v2
.LBB113_157:                            ;   in Loop: Header=BB113_3 Depth=1
	s_or_b32 exec_lo, exec_lo, s34
	s_barrier_signal -1
	s_barrier_wait -1
	s_and_saveexec_b32 s34, s39
	;; [unrolled: 25-line block ×4, first 2 shown]
	s_cbranch_execz .LBB113_167
; %bb.166:                              ;   in Loop: Header=BB113_3 Depth=1
	ds_load_b32 v28, v3 offset:12480
	s_wait_dscnt 0x0
	v_mul_f32_e32 v2, v2, v28
	s_delay_alu instid0(VALU_DEP_1)
	v_xor_b32_e32 v28, 0x80000000, v2
	ds_store_b32 v44, v28
.LBB113_167:                            ;   in Loop: Header=BB113_3 Depth=1
	s_or_b32 exec_lo, exec_lo, s34
	s_wait_dscnt 0x0
	s_barrier_signal -1
	s_barrier_wait -1
	s_barrier_signal -1
	s_barrier_wait -1
	s_and_saveexec_b32 s34, s5
; %bb.168:                              ;   in Loop: Header=BB113_3 Depth=1
	ds_store_b32 v47, v2 offset:16320
; %bb.169:                              ;   in Loop: Header=BB113_3 Depth=1
	s_or_b32 exec_lo, exec_lo, s34
	s_wait_dscnt 0x0
	s_barrier_signal -1
	s_barrier_wait -1
	s_barrier_signal -1
	s_barrier_wait -1
	s_and_saveexec_b32 s34, s43
	s_cbranch_execz .LBB113_171
; %bb.170:                              ;   in Loop: Header=BB113_3 Depth=1
	ds_load_b32 v2, v56 offset:14528
	s_wait_dscnt 0x0
	ds_store_b32 v57, v2 offset:12512
	ds_load_b32 v2, v56 offset:14532
	s_wait_dscnt 0x0
	ds_store_b32 v57, v2 offset:12768
	;; [unrolled: 3-line block ×8, first 2 shown]
.LBB113_171:                            ;   in Loop: Header=BB113_3 Depth=1
	s_or_b32 exec_lo, exec_lo, s34
	s_wait_dscnt 0x0
	s_barrier_signal -1
	s_barrier_wait -1
	s_and_saveexec_b32 s34, s15
	s_cbranch_execz .LBB113_173
; %bb.172:                              ;   in Loop: Header=BB113_3 Depth=1
	ds_load_b64 v[28:29], v3 offset:14296
	ds_load_b32 v2, v3 offset:14040
	s_wait_dscnt 0x0
	v_mul_f32_e32 v2, v2, v29
	s_delay_alu instid0(VALU_DEP_1)
	v_mul_f32_e32 v2, v28, v2
	v_add_nc_u32_e64 v28, 0x3400, 0
	ds_store_2addr_b32 v28, v2, v2 offset0:183 offset1:246
.LBB113_173:                            ;   in Loop: Header=BB113_3 Depth=1
	s_or_b32 exec_lo, exec_lo, s34
	v_mov_b32_e32 v2, 0
	s_wait_dscnt 0x0
	s_barrier_signal -1
	s_barrier_wait -1
	global_wb scope:SCOPE_DEV
	s_wait_storecnt 0x0
	global_inv scope:SCOPE_DEV
	s_and_saveexec_b32 s34, s2
	s_cbranch_execz .LBB113_177
; %bb.174:                              ;   in Loop: Header=BB113_3 Depth=1
	ds_load_b32 v2, v35 offset:14032
	ds_load_b32 v28, v34 offset:14296
	s_wait_dscnt 0x0
	v_fma_f32 v2, v2, v28, 0
	s_and_saveexec_b32 s65, s16
	s_cbranch_execz .LBB113_176
; %bb.175:                              ;   in Loop: Header=BB113_3 Depth=1
	ds_load_b32 v28, v57 offset:14288
	ds_load_b32 v29, v3 offset:14300
	s_wait_dscnt 0x0
	v_fmac_f32_e32 v2, v28, v29
.LBB113_176:                            ;   in Loop: Header=BB113_3 Depth=1
	s_or_b32 exec_lo, exec_lo, s65
.LBB113_177:                            ;   in Loop: Header=BB113_3 Depth=1
	s_delay_alu instid0(SALU_CYCLE_1)
	s_or_b32 exec_lo, exec_lo, s34
	s_and_saveexec_b32 s34, s89
	s_cbranch_execz .LBB113_179
; %bb.178:                              ;   in Loop: Header=BB113_3 Depth=1
	ds_load_b32 v28, v3 offset:13780
	s_wait_dscnt 0x0
	v_mul_f32_e32 v2, v2, v28
	s_delay_alu instid0(VALU_DEP_1)
	v_xor_b32_e32 v28, 0x80000000, v2
	ds_store_b32 v5, v28
.LBB113_179:                            ;   in Loop: Header=BB113_3 Depth=1
	s_or_b32 exec_lo, exec_lo, s34
	s_wait_loadcnt_dscnt 0x0
	s_barrier_signal -1
	s_barrier_wait -1
	s_and_saveexec_b32 s34, s90
	s_cbranch_execz .LBB113_181
; %bb.180:                              ;   in Loop: Header=BB113_3 Depth=1
	ds_load_b32 v28, v3 offset:13776
	ds_load_b32 v29, v5
	s_wait_dscnt 0x0
	v_fma_f32 v2, -v28, v29, v2
.LBB113_181:                            ;   in Loop: Header=BB113_3 Depth=1
	s_or_b32 exec_lo, exec_lo, s34
	s_barrier_signal -1
	s_barrier_wait -1
	s_and_saveexec_b32 s34, s90
	s_cbranch_execz .LBB113_183
; %bb.182:                              ;   in Loop: Header=BB113_3 Depth=1
	ds_load_b32 v28, v3 offset:13520
	s_wait_dscnt 0x0
	v_mul_f32_e32 v2, v2, v28
	s_delay_alu instid0(VALU_DEP_1)
	v_xor_b32_e32 v28, 0x80000000, v2
	ds_store_b32 v5, v28
.LBB113_183:                            ;   in Loop: Header=BB113_3 Depth=1
	s_or_b32 exec_lo, exec_lo, s34
	s_wait_dscnt 0x0
	s_barrier_signal -1
	s_barrier_wait -1
	s_barrier_signal -1
	s_barrier_wait -1
	s_and_saveexec_b32 s34, s2
; %bb.184:                              ;   in Loop: Header=BB113_3 Depth=1
	ds_store_b32 v37, v2 offset:14288
; %bb.185:                              ;   in Loop: Header=BB113_3 Depth=1
	s_or_b32 exec_lo, exec_lo, s34
	s_wait_dscnt 0x0
	s_barrier_signal -1
	s_barrier_wait -1
	s_barrier_signal -1
	s_barrier_wait -1
	s_and_saveexec_b32 s34, s91
	s_cbranch_execz .LBB113_187
; %bb.186:                              ;   in Loop: Header=BB113_3 Depth=1
	ds_load_b32 v2, v58 offset:14032
	s_wait_dscnt 0x0
	ds_store_b32 v57, v2 offset:13528
	ds_load_b32 v2, v58 offset:14036
	s_wait_dscnt 0x0
	ds_store_b32 v57, v2 offset:13784
.LBB113_187:                            ;   in Loop: Header=BB113_3 Depth=1
	s_or_b32 exec_lo, exec_lo, s34
	s_wait_dscnt 0x0
	s_barrier_signal -1
	s_barrier_wait -1
	s_and_saveexec_b32 s34, s15
	s_cbranch_execz .LBB113_189
; %bb.188:                              ;   in Loop: Header=BB113_3 Depth=1
	ds_load_b64 v[28:29], v3 offset:13776
	ds_load_b32 v2, v3 offset:13520
	s_wait_dscnt 0x0
	v_mul_f32_e32 v2, v2, v29
	s_delay_alu instid0(VALU_DEP_1)
	v_mul_f32_e32 v2, v28, v2
	v_add_nc_u32_e64 v28, 0x3400, 0
	ds_store_2addr_b32 v28, v2, v2 offset0:53 offset1:116
.LBB113_189:                            ;   in Loop: Header=BB113_3 Depth=1
	s_or_b32 exec_lo, exec_lo, s34
	v_mov_b32_e32 v2, 0
	s_wait_dscnt 0x0
	s_barrier_signal -1
	s_barrier_wait -1
	global_wb scope:SCOPE_DEV
	s_wait_storecnt 0x0
	global_inv scope:SCOPE_DEV
	s_and_saveexec_b32 s34, s4
	s_cbranch_execz .LBB113_195
; %bb.190:                              ;   in Loop: Header=BB113_3 Depth=1
	ds_load_b32 v2, v41 offset:13504
	ds_load_b32 v28, v40 offset:14288
	s_wait_dscnt 0x0
	v_fma_f32 v2, v2, v28, 0
	s_and_saveexec_b32 s65, s17
	s_cbranch_execnz .LBB113_1215
; %bb.191:                              ;   in Loop: Header=BB113_3 Depth=1
	s_or_b32 exec_lo, exec_lo, s65
	s_and_saveexec_b32 s65, s18
	s_cbranch_execnz .LBB113_1216
.LBB113_192:                            ;   in Loop: Header=BB113_3 Depth=1
	s_or_b32 exec_lo, exec_lo, s65
	s_and_saveexec_b32 s65, s2
	s_cbranch_execz .LBB113_194
.LBB113_193:                            ;   in Loop: Header=BB113_3 Depth=1
	ds_load_b32 v28, v59 offset:14272
	ds_load_b32 v29, v3 offset:14300
	s_wait_dscnt 0x0
	v_fmac_f32_e32 v2, v28, v29
.LBB113_194:                            ;   in Loop: Header=BB113_3 Depth=1
	s_or_b32 exec_lo, exec_lo, s65
.LBB113_195:                            ;   in Loop: Header=BB113_3 Depth=1
	s_delay_alu instid0(SALU_CYCLE_1)
	s_or_b32 exec_lo, exec_lo, s34
	s_and_saveexec_b32 s34, s92
	s_cbranch_execz .LBB113_197
; %bb.196:                              ;   in Loop: Header=BB113_3 Depth=1
	ds_load_b32 v28, v3 offset:13260
	s_wait_dscnt 0x0
	v_mul_f32_e32 v2, v2, v28
	s_delay_alu instid0(VALU_DEP_1)
	v_xor_b32_e32 v28, 0x80000000, v2
	ds_store_b32 v39, v28
.LBB113_197:                            ;   in Loop: Header=BB113_3 Depth=1
	s_or_b32 exec_lo, exec_lo, s34
	s_wait_loadcnt_dscnt 0x0
	s_barrier_signal -1
	s_barrier_wait -1
	s_and_saveexec_b32 s34, s93
	s_cbranch_execz .LBB113_199
; %bb.198:                              ;   in Loop: Header=BB113_3 Depth=1
	ds_load_b32 v28, v41 offset:13248
	ds_load_b32 v29, v39
	s_wait_dscnt 0x0
	v_fma_f32 v2, -v28, v29, v2
.LBB113_199:                            ;   in Loop: Header=BB113_3 Depth=1
	s_or_b32 exec_lo, exec_lo, s34
	s_barrier_signal -1
	s_barrier_wait -1
	s_and_saveexec_b32 s34, s94
	s_cbranch_execz .LBB113_201
; %bb.200:                              ;   in Loop: Header=BB113_3 Depth=1
	ds_load_b32 v28, v3 offset:13000
	s_wait_dscnt 0x0
	v_mul_f32_e32 v2, v2, v28
	s_delay_alu instid0(VALU_DEP_1)
	v_xor_b32_e32 v28, 0x80000000, v2
	ds_store_b32 v39, v28
.LBB113_201:                            ;   in Loop: Header=BB113_3 Depth=1
	s_or_b32 exec_lo, exec_lo, s34
	s_wait_dscnt 0x0
	s_barrier_signal -1
	s_barrier_wait -1
	s_and_saveexec_b32 s34, s95
	s_cbranch_execz .LBB113_203
; %bb.202:                              ;   in Loop: Header=BB113_3 Depth=1
	ds_load_b32 v28, v41 offset:12992
	ds_load_b32 v29, v39
	s_wait_dscnt 0x0
	v_fma_f32 v2, -v28, v29, v2
.LBB113_203:                            ;   in Loop: Header=BB113_3 Depth=1
	s_or_b32 exec_lo, exec_lo, s34
	s_barrier_signal -1
	s_barrier_wait -1
	s_and_saveexec_b32 s34, s96
	s_cbranch_execz .LBB113_205
; %bb.204:                              ;   in Loop: Header=BB113_3 Depth=1
	ds_load_b32 v28, v3 offset:12740
	s_wait_dscnt 0x0
	v_mul_f32_e32 v2, v2, v28
	s_delay_alu instid0(VALU_DEP_1)
	v_xor_b32_e32 v28, 0x80000000, v2
	ds_store_b32 v39, v28
.LBB113_205:                            ;   in Loop: Header=BB113_3 Depth=1
	s_or_b32 exec_lo, exec_lo, s34
	s_wait_dscnt 0x0
	;; [unrolled: 25-line block ×3, first 2 shown]
	s_barrier_signal -1
	s_barrier_wait -1
	s_barrier_signal -1
	s_barrier_wait -1
	s_and_saveexec_b32 s34, s4
; %bb.210:                              ;   in Loop: Header=BB113_3 Depth=1
	ds_store_b32 v43, v2 offset:14272
; %bb.211:                              ;   in Loop: Header=BB113_3 Depth=1
	s_or_b32 exec_lo, exec_lo, s34
	s_wait_dscnt 0x0
	s_barrier_signal -1
	s_barrier_wait -1
	s_barrier_signal -1
	s_barrier_wait -1
	s_and_saveexec_b32 s34, s98
	s_cbranch_execz .LBB113_213
; %bb.212:                              ;   in Loop: Header=BB113_3 Depth=1
	ds_load_b32 v2, v60 offset:13504
	s_wait_dscnt 0x0
	ds_store_b32 v61, v2 offset:12496
	ds_load_b32 v2, v60 offset:13508
	s_wait_dscnt 0x0
	ds_store_b32 v61, v2 offset:12752
	;; [unrolled: 3-line block ×4, first 2 shown]
.LBB113_213:                            ;   in Loop: Header=BB113_3 Depth=1
	s_or_b32 exec_lo, exec_lo, s34
	s_wait_dscnt 0x0
	s_barrier_signal -1
	s_barrier_wait -1
	s_and_saveexec_b32 s34, s15
	s_cbranch_execz .LBB113_215
; %bb.214:                              ;   in Loop: Header=BB113_3 Depth=1
	ds_load_b64 v[28:29], v3 offset:13256
	ds_load_b32 v2, v3 offset:13000
	s_wait_dscnt 0x0
	v_mul_f32_e32 v2, v2, v29
	s_delay_alu instid0(VALU_DEP_1)
	v_mul_f32_e32 v2, v28, v2
	v_add_nc_u32_e64 v28, 0x3000, 0
	ds_store_2addr_b32 v28, v2, v2 offset0:179 offset1:242
.LBB113_215:                            ;   in Loop: Header=BB113_3 Depth=1
	s_or_b32 exec_lo, exec_lo, s34
	v_mov_b32_e32 v2, 0
	s_wait_dscnt 0x0
	s_barrier_signal -1
	s_barrier_wait -1
	global_wb scope:SCOPE_DEV
	s_wait_storecnt 0x0
	global_inv scope:SCOPE_DEV
	s_and_saveexec_b32 s34, s2
	s_cbranch_execz .LBB113_219
; %bb.216:                              ;   in Loop: Header=BB113_3 Depth=1
	ds_load_b32 v2, v35 offset:12992
	ds_load_b32 v28, v34 offset:13256
	s_wait_dscnt 0x0
	v_fma_f32 v2, v2, v28, 0
	s_and_saveexec_b32 s65, s16
	s_cbranch_execz .LBB113_218
; %bb.217:                              ;   in Loop: Header=BB113_3 Depth=1
	ds_load_b32 v28, v61 offset:13248
	ds_load_b32 v29, v3 offset:13260
	s_wait_dscnt 0x0
	v_fmac_f32_e32 v2, v28, v29
.LBB113_218:                            ;   in Loop: Header=BB113_3 Depth=1
	s_or_b32 exec_lo, exec_lo, s65
.LBB113_219:                            ;   in Loop: Header=BB113_3 Depth=1
	s_delay_alu instid0(SALU_CYCLE_1)
	s_or_b32 exec_lo, exec_lo, s34
	s_and_saveexec_b32 s34, s89
	s_cbranch_execz .LBB113_221
; %bb.220:                              ;   in Loop: Header=BB113_3 Depth=1
	ds_load_b32 v28, v3 offset:12740
	s_wait_dscnt 0x0
	v_mul_f32_e32 v2, v2, v28
	s_delay_alu instid0(VALU_DEP_1)
	v_xor_b32_e32 v28, 0x80000000, v2
	ds_store_b32 v5, v28
.LBB113_221:                            ;   in Loop: Header=BB113_3 Depth=1
	s_or_b32 exec_lo, exec_lo, s34
	s_wait_loadcnt_dscnt 0x0
	s_barrier_signal -1
	s_barrier_wait -1
	s_and_saveexec_b32 s34, s90
	s_cbranch_execz .LBB113_223
; %bb.222:                              ;   in Loop: Header=BB113_3 Depth=1
	ds_load_b32 v28, v3 offset:12736
	ds_load_b32 v29, v5
	s_wait_dscnt 0x0
	v_fma_f32 v2, -v28, v29, v2
.LBB113_223:                            ;   in Loop: Header=BB113_3 Depth=1
	s_or_b32 exec_lo, exec_lo, s34
	s_barrier_signal -1
	s_barrier_wait -1
	s_and_saveexec_b32 s34, s90
	s_cbranch_execz .LBB113_225
; %bb.224:                              ;   in Loop: Header=BB113_3 Depth=1
	ds_load_b32 v28, v3 offset:12480
	s_wait_dscnt 0x0
	v_mul_f32_e32 v2, v2, v28
	s_delay_alu instid0(VALU_DEP_1)
	v_xor_b32_e32 v28, 0x80000000, v2
	ds_store_b32 v5, v28
.LBB113_225:                            ;   in Loop: Header=BB113_3 Depth=1
	s_or_b32 exec_lo, exec_lo, s34
	s_wait_dscnt 0x0
	s_barrier_signal -1
	s_barrier_wait -1
	s_barrier_signal -1
	s_barrier_wait -1
	s_and_saveexec_b32 s34, s2
; %bb.226:                              ;   in Loop: Header=BB113_3 Depth=1
	ds_store_b32 v37, v2 offset:13248
; %bb.227:                              ;   in Loop: Header=BB113_3 Depth=1
	s_or_b32 exec_lo, exec_lo, s34
	s_wait_dscnt 0x0
	s_barrier_signal -1
	s_barrier_wait -1
	s_barrier_signal -1
	s_barrier_wait -1
	s_and_saveexec_b32 s34, s91
	s_cbranch_execz .LBB113_229
; %bb.228:                              ;   in Loop: Header=BB113_3 Depth=1
	ds_load_b32 v2, v62 offset:12992
	s_wait_dscnt 0x0
	ds_store_b32 v61, v2 offset:12488
	ds_load_b32 v2, v62 offset:12996
	s_wait_dscnt 0x0
	ds_store_b32 v61, v2 offset:12744
.LBB113_229:                            ;   in Loop: Header=BB113_3 Depth=1
	s_or_b32 exec_lo, exec_lo, s34
	s_wait_dscnt 0x0
	s_barrier_signal -1
	s_barrier_wait -1
	s_and_saveexec_b32 s34, s15
	s_cbranch_execz .LBB113_231
; %bb.230:                              ;   in Loop: Header=BB113_3 Depth=1
	ds_load_b64 v[28:29], v3 offset:12736
	ds_load_b32 v2, v3 offset:12480
	s_wait_dscnt 0x0
	v_mul_f32_e32 v2, v2, v29
	s_delay_alu instid0(VALU_DEP_1)
	v_mul_f32_e32 v2, v28, v2
	v_add_nc_u32_e64 v28, 0x3000, 0
	ds_store_2addr_b32 v28, v2, v2 offset0:49 offset1:112
.LBB113_231:                            ;   in Loop: Header=BB113_3 Depth=1
	s_or_b32 exec_lo, exec_lo, s34
	v_mov_b32_e32 v2, 0
	s_wait_dscnt 0x0
	s_barrier_signal -1
	s_barrier_wait -1
	global_wb scope:SCOPE_DEV
	s_wait_storecnt 0x0
	global_inv scope:SCOPE_DEV
	s_and_saveexec_b32 s65, s6
	s_cbranch_execz .LBB113_259
; %bb.232:                              ;   in Loop: Header=BB113_3 Depth=1
	ds_load_b32 v2, v50 offset:12416
	ds_load_b32 v28, v49 offset:16320
	s_wait_dscnt 0x0
	v_fma_f32 v2, v2, v28, 0
	s_mov_b32 s34, exec_lo
	v_readlane_b32 s80, v87, 19
	s_and_b32 s80, s34, s80
	s_delay_alu instid0(SALU_CYCLE_1)
	s_mov_b32 exec_lo, s80
	s_cbranch_execz .LBB113_234
; %bb.233:                              ;   in Loop: Header=BB113_3 Depth=1
	ds_load_b32 v28, v50 offset:12672
	ds_load_b32 v29, v49 offset:16324
	s_wait_dscnt 0x0
	v_fmac_f32_e32 v2, v28, v29
.LBB113_234:                            ;   in Loop: Header=BB113_3 Depth=1
	s_or_b32 exec_lo, exec_lo, s34
	s_delay_alu instid0(SALU_CYCLE_1) | instskip(SKIP_2) | instid1(SALU_CYCLE_1)
	s_mov_b32 s34, exec_lo
	v_readlane_b32 s80, v87, 20
	s_and_b32 s80, s34, s80
	s_mov_b32 exec_lo, s80
	s_cbranch_execz .LBB113_236
; %bb.235:                              ;   in Loop: Header=BB113_3 Depth=1
	ds_load_b32 v28, v50 offset:12928
	ds_load_b32 v29, v49 offset:16328
	s_wait_dscnt 0x0
	v_fmac_f32_e32 v2, v28, v29
.LBB113_236:                            ;   in Loop: Header=BB113_3 Depth=1
	s_or_b32 exec_lo, exec_lo, s34
	s_delay_alu instid0(SALU_CYCLE_1) | instskip(SKIP_2) | instid1(SALU_CYCLE_1)
	s_mov_b32 s34, exec_lo
	v_readlane_b32 s80, v87, 21
	s_and_b32 s80, s34, s80
	;; [unrolled: 13-line block ×10, first 2 shown]
	s_mov_b32 exec_lo, s80
	s_cbranch_execnz .LBB113_1217
; %bb.253:                              ;   in Loop: Header=BB113_3 Depth=1
	s_or_b32 exec_lo, exec_lo, s34
	s_and_saveexec_b32 s34, s5
	s_cbranch_execnz .LBB113_1218
.LBB113_254:                            ;   in Loop: Header=BB113_3 Depth=1
	s_or_b32 exec_lo, exec_lo, s34
	s_and_saveexec_b32 s34, s20
	s_cbranch_execnz .LBB113_1219
.LBB113_255:                            ;   in Loop: Header=BB113_3 Depth=1
	s_or_b32 exec_lo, exec_lo, s34
	s_and_saveexec_b32 s34, s22
	s_cbranch_execnz .LBB113_1220
.LBB113_256:                            ;   in Loop: Header=BB113_3 Depth=1
	s_or_b32 exec_lo, exec_lo, s34
	s_and_saveexec_b32 s34, s4
	s_cbranch_execz .LBB113_258
.LBB113_257:                            ;   in Loop: Header=BB113_3 Depth=1
	ds_load_b32 v28, v36 offset:16256
	ds_load_b32 v29, v3 offset:16380
	s_wait_dscnt 0x0
	v_fmac_f32_e32 v2, v28, v29
.LBB113_258:                            ;   in Loop: Header=BB113_3 Depth=1
	s_or_b32 exec_lo, exec_lo, s34
.LBB113_259:                            ;   in Loop: Header=BB113_3 Depth=1
	s_delay_alu instid0(SALU_CYCLE_1)
	s_or_b32 exec_lo, exec_lo, s65
	s_and_saveexec_b32 s34, s44
	s_cbranch_execz .LBB113_261
; %bb.260:                              ;   in Loop: Header=BB113_3 Depth=1
	ds_load_b32 v28, v3 offset:12220
	s_wait_dscnt 0x0
	v_mul_f32_e32 v2, v2, v28
	s_delay_alu instid0(VALU_DEP_1)
	v_xor_b32_e32 v28, 0x80000000, v2
	ds_store_b32 v48, v28
.LBB113_261:                            ;   in Loop: Header=BB113_3 Depth=1
	s_or_b32 exec_lo, exec_lo, s34
	s_wait_loadcnt_dscnt 0x0
	s_barrier_signal -1
	s_barrier_wait -1
	s_and_saveexec_b32 s34, s45
	s_cbranch_execz .LBB113_263
; %bb.262:                              ;   in Loop: Header=BB113_3 Depth=1
	ds_load_b32 v28, v50 offset:12160
	ds_load_b32 v29, v48
	s_wait_dscnt 0x0
	v_fma_f32 v2, -v28, v29, v2
.LBB113_263:                            ;   in Loop: Header=BB113_3 Depth=1
	s_or_b32 exec_lo, exec_lo, s34
	s_barrier_signal -1
	s_barrier_wait -1
	s_and_saveexec_b32 s34, s46
	s_cbranch_execz .LBB113_265
; %bb.264:                              ;   in Loop: Header=BB113_3 Depth=1
	ds_load_b32 v28, v3 offset:11960
	s_wait_dscnt 0x0
	v_mul_f32_e32 v2, v2, v28
	s_delay_alu instid0(VALU_DEP_1)
	v_xor_b32_e32 v28, 0x80000000, v2
	ds_store_b32 v48, v28
.LBB113_265:                            ;   in Loop: Header=BB113_3 Depth=1
	s_or_b32 exec_lo, exec_lo, s34
	s_wait_dscnt 0x0
	s_barrier_signal -1
	s_barrier_wait -1
	s_and_saveexec_b32 s34, s47
	s_cbranch_execz .LBB113_267
; %bb.266:                              ;   in Loop: Header=BB113_3 Depth=1
	ds_load_b32 v28, v50 offset:11904
	ds_load_b32 v29, v48
	s_wait_dscnt 0x0
	v_fma_f32 v2, -v28, v29, v2
.LBB113_267:                            ;   in Loop: Header=BB113_3 Depth=1
	s_or_b32 exec_lo, exec_lo, s34
	s_barrier_signal -1
	s_barrier_wait -1
	s_and_saveexec_b32 s34, s48
	s_cbranch_execz .LBB113_269
; %bb.268:                              ;   in Loop: Header=BB113_3 Depth=1
	ds_load_b32 v28, v3 offset:11700
	s_wait_dscnt 0x0
	v_mul_f32_e32 v2, v2, v28
	s_delay_alu instid0(VALU_DEP_1)
	v_xor_b32_e32 v28, 0x80000000, v2
	ds_store_b32 v48, v28
.LBB113_269:                            ;   in Loop: Header=BB113_3 Depth=1
	s_or_b32 exec_lo, exec_lo, s34
	s_wait_dscnt 0x0
	s_barrier_signal -1
	s_barrier_wait -1
	s_and_saveexec_b32 s34, s49
	s_cbranch_execz .LBB113_271
; %bb.270:                              ;   in Loop: Header=BB113_3 Depth=1
	ds_load_b32 v28, v50 offset:11648
	ds_load_b32 v29, v48
	s_wait_dscnt 0x0
	v_fma_f32 v2, -v28, v29, v2
.LBB113_271:                            ;   in Loop: Header=BB113_3 Depth=1
	s_or_b32 exec_lo, exec_lo, s34
	s_barrier_signal -1
	s_barrier_wait -1
	s_and_saveexec_b32 s34, s50
	s_cbranch_execz .LBB113_273
; %bb.272:                              ;   in Loop: Header=BB113_3 Depth=1
	ds_load_b32 v28, v3 offset:11440
	s_wait_dscnt 0x0
	v_mul_f32_e32 v2, v2, v28
	s_delay_alu instid0(VALU_DEP_1)
	v_xor_b32_e32 v28, 0x80000000, v2
	ds_store_b32 v48, v28
.LBB113_273:                            ;   in Loop: Header=BB113_3 Depth=1
	s_or_b32 exec_lo, exec_lo, s34
	s_wait_dscnt 0x0
	s_barrier_signal -1
	s_barrier_wait -1
	s_and_saveexec_b32 s34, s51
	s_cbranch_execz .LBB113_275
; %bb.274:                              ;   in Loop: Header=BB113_3 Depth=1
	ds_load_b32 v28, v50 offset:11392
	ds_load_b32 v29, v48
	s_wait_dscnt 0x0
	v_fma_f32 v2, -v28, v29, v2
.LBB113_275:                            ;   in Loop: Header=BB113_3 Depth=1
	s_or_b32 exec_lo, exec_lo, s34
	s_barrier_signal -1
	s_barrier_wait -1
	s_and_saveexec_b32 s34, s52
	s_cbranch_execz .LBB113_277
; %bb.276:                              ;   in Loop: Header=BB113_3 Depth=1
	ds_load_b32 v28, v3 offset:11180
	s_wait_dscnt 0x0
	v_mul_f32_e32 v2, v2, v28
	s_delay_alu instid0(VALU_DEP_1)
	v_xor_b32_e32 v28, 0x80000000, v2
	ds_store_b32 v48, v28
.LBB113_277:                            ;   in Loop: Header=BB113_3 Depth=1
	s_or_b32 exec_lo, exec_lo, s34
	s_wait_dscnt 0x0
	s_barrier_signal -1
	s_barrier_wait -1
	s_and_saveexec_b32 s34, s53
	s_cbranch_execz .LBB113_279
; %bb.278:                              ;   in Loop: Header=BB113_3 Depth=1
	ds_load_b32 v28, v50 offset:11136
	ds_load_b32 v29, v48
	s_wait_dscnt 0x0
	v_fma_f32 v2, -v28, v29, v2
.LBB113_279:                            ;   in Loop: Header=BB113_3 Depth=1
	s_or_b32 exec_lo, exec_lo, s34
	s_barrier_signal -1
	s_barrier_wait -1
	s_and_saveexec_b32 s34, s54
	s_cbranch_execz .LBB113_281
; %bb.280:                              ;   in Loop: Header=BB113_3 Depth=1
	ds_load_b32 v28, v3 offset:10920
	s_wait_dscnt 0x0
	v_mul_f32_e32 v2, v2, v28
	s_delay_alu instid0(VALU_DEP_1)
	v_xor_b32_e32 v28, 0x80000000, v2
	ds_store_b32 v48, v28
.LBB113_281:                            ;   in Loop: Header=BB113_3 Depth=1
	s_or_b32 exec_lo, exec_lo, s34
	s_wait_dscnt 0x0
	s_barrier_signal -1
	s_barrier_wait -1
	s_and_saveexec_b32 s34, s55
	s_cbranch_execz .LBB113_283
; %bb.282:                              ;   in Loop: Header=BB113_3 Depth=1
	ds_load_b32 v28, v50 offset:10880
	ds_load_b32 v29, v48
	s_wait_dscnt 0x0
	v_fma_f32 v2, -v28, v29, v2
.LBB113_283:                            ;   in Loop: Header=BB113_3 Depth=1
	s_or_b32 exec_lo, exec_lo, s34
	s_barrier_signal -1
	s_barrier_wait -1
	s_and_saveexec_b32 s34, s56
	s_cbranch_execz .LBB113_285
; %bb.284:                              ;   in Loop: Header=BB113_3 Depth=1
	ds_load_b32 v28, v3 offset:10660
	s_wait_dscnt 0x0
	v_mul_f32_e32 v2, v2, v28
	s_delay_alu instid0(VALU_DEP_1)
	v_xor_b32_e32 v28, 0x80000000, v2
	ds_store_b32 v48, v28
.LBB113_285:                            ;   in Loop: Header=BB113_3 Depth=1
	s_or_b32 exec_lo, exec_lo, s34
	s_wait_dscnt 0x0
	s_barrier_signal -1
	s_barrier_wait -1
	s_and_saveexec_b32 s34, s57
	s_cbranch_execz .LBB113_287
; %bb.286:                              ;   in Loop: Header=BB113_3 Depth=1
	ds_load_b32 v28, v50 offset:10624
	ds_load_b32 v29, v48
	s_wait_dscnt 0x0
	v_fma_f32 v2, -v28, v29, v2
.LBB113_287:                            ;   in Loop: Header=BB113_3 Depth=1
	s_or_b32 exec_lo, exec_lo, s34
	s_barrier_signal -1
	s_barrier_wait -1
	s_and_saveexec_b32 s34, s58
	s_cbranch_execz .LBB113_289
; %bb.288:                              ;   in Loop: Header=BB113_3 Depth=1
	ds_load_b32 v28, v3 offset:10400
	s_wait_dscnt 0x0
	v_mul_f32_e32 v2, v2, v28
	s_delay_alu instid0(VALU_DEP_1)
	v_xor_b32_e32 v28, 0x80000000, v2
	ds_store_b32 v48, v28
.LBB113_289:                            ;   in Loop: Header=BB113_3 Depth=1
	s_or_b32 exec_lo, exec_lo, s34
	s_wait_dscnt 0x0
	s_barrier_signal -1
	s_barrier_wait -1
	s_and_saveexec_b32 s34, s61
	s_cbranch_execz .LBB113_291
; %bb.290:                              ;   in Loop: Header=BB113_3 Depth=1
	ds_load_b32 v28, v50 offset:10368
	ds_load_b32 v29, v48
	s_wait_dscnt 0x0
	v_fma_f32 v2, -v28, v29, v2
.LBB113_291:                            ;   in Loop: Header=BB113_3 Depth=1
	s_or_b32 exec_lo, exec_lo, s34
	s_barrier_signal -1
	s_barrier_wait -1
	s_and_saveexec_b32 s34, s62
	s_cbranch_execz .LBB113_293
; %bb.292:                              ;   in Loop: Header=BB113_3 Depth=1
	ds_load_b32 v28, v3 offset:10140
	s_wait_dscnt 0x0
	v_mul_f32_e32 v2, v2, v28
	s_delay_alu instid0(VALU_DEP_1)
	v_xor_b32_e32 v28, 0x80000000, v2
	ds_store_b32 v48, v28
.LBB113_293:                            ;   in Loop: Header=BB113_3 Depth=1
	s_or_b32 exec_lo, exec_lo, s34
	s_wait_dscnt 0x0
	s_barrier_signal -1
	s_barrier_wait -1
	s_and_saveexec_b32 s34, s63
	s_cbranch_execz .LBB113_295
; %bb.294:                              ;   in Loop: Header=BB113_3 Depth=1
	ds_load_b32 v28, v50 offset:10112
	ds_load_b32 v29, v48
	s_wait_dscnt 0x0
	v_fma_f32 v2, -v28, v29, v2
.LBB113_295:                            ;   in Loop: Header=BB113_3 Depth=1
	s_or_b32 exec_lo, exec_lo, s34
	s_barrier_signal -1
	s_barrier_wait -1
	s_and_saveexec_b32 s34, s64
	s_cbranch_execz .LBB113_297
; %bb.296:                              ;   in Loop: Header=BB113_3 Depth=1
	ds_load_b32 v28, v3 offset:9880
	s_wait_dscnt 0x0
	v_mul_f32_e32 v2, v2, v28
	s_delay_alu instid0(VALU_DEP_1)
	v_xor_b32_e32 v28, 0x80000000, v2
	ds_store_b32 v48, v28
.LBB113_297:                            ;   in Loop: Header=BB113_3 Depth=1
	s_or_b32 exec_lo, exec_lo, s34
	s_wait_dscnt 0x0
	s_barrier_signal -1
	s_barrier_wait -1
	s_and_saveexec_b32 s34, s13
	s_cbranch_execz .LBB113_299
; %bb.298:                              ;   in Loop: Header=BB113_3 Depth=1
	ds_load_b32 v28, v50 offset:9856
	ds_load_b32 v29, v48
	s_wait_dscnt 0x0
	v_fma_f32 v2, -v28, v29, v2
.LBB113_299:                            ;   in Loop: Header=BB113_3 Depth=1
	s_or_b32 exec_lo, exec_lo, s34
	s_barrier_signal -1
	s_barrier_wait -1
	s_and_saveexec_b32 s34, s87
	s_cbranch_execz .LBB113_301
; %bb.300:                              ;   in Loop: Header=BB113_3 Depth=1
	ds_load_b32 v28, v3 offset:9620
	s_wait_dscnt 0x0
	v_mul_f32_e32 v2, v2, v28
	s_delay_alu instid0(VALU_DEP_1)
	v_xor_b32_e32 v28, 0x80000000, v2
	ds_store_b32 v48, v28
.LBB113_301:                            ;   in Loop: Header=BB113_3 Depth=1
	s_or_b32 exec_lo, exec_lo, s34
	s_wait_dscnt 0x0
	s_barrier_signal -1
	s_barrier_wait -1
	s_and_saveexec_b32 s34, s24
	s_cbranch_execz .LBB113_303
; %bb.302:                              ;   in Loop: Header=BB113_3 Depth=1
	ds_load_b32 v28, v50 offset:9600
	ds_load_b32 v29, v48
	s_wait_dscnt 0x0
	v_fma_f32 v2, -v28, v29, v2
.LBB113_303:                            ;   in Loop: Header=BB113_3 Depth=1
	s_or_b32 exec_lo, exec_lo, s34
	s_barrier_signal -1
	s_barrier_wait -1
	s_and_saveexec_b32 s34, s26
	s_cbranch_execz .LBB113_305
; %bb.304:                              ;   in Loop: Header=BB113_3 Depth=1
	ds_load_b32 v28, v3 offset:9360
	s_wait_dscnt 0x0
	v_mul_f32_e32 v2, v2, v28
	s_delay_alu instid0(VALU_DEP_1)
	v_xor_b32_e32 v28, 0x80000000, v2
	ds_store_b32 v48, v28
.LBB113_305:                            ;   in Loop: Header=BB113_3 Depth=1
	s_or_b32 exec_lo, exec_lo, s34
	s_wait_dscnt 0x0
	s_barrier_signal -1
	s_barrier_wait -1
	s_and_saveexec_b32 s34, s28
	s_cbranch_execz .LBB113_307
; %bb.306:                              ;   in Loop: Header=BB113_3 Depth=1
	ds_load_b32 v28, v50 offset:9344
	ds_load_b32 v29, v48
	s_wait_dscnt 0x0
	v_fma_f32 v2, -v28, v29, v2
.LBB113_307:                            ;   in Loop: Header=BB113_3 Depth=1
	s_or_b32 exec_lo, exec_lo, s34
	s_barrier_signal -1
	s_barrier_wait -1
	s_and_saveexec_b32 s34, s30
	s_cbranch_execz .LBB113_309
; %bb.308:                              ;   in Loop: Header=BB113_3 Depth=1
	ds_load_b32 v28, v3 offset:9100
	s_wait_dscnt 0x0
	v_mul_f32_e32 v2, v2, v28
	s_delay_alu instid0(VALU_DEP_1)
	v_xor_b32_e32 v28, 0x80000000, v2
	ds_store_b32 v48, v28
.LBB113_309:                            ;   in Loop: Header=BB113_3 Depth=1
	s_or_b32 exec_lo, exec_lo, s34
	s_wait_dscnt 0x0
	s_barrier_signal -1
	s_barrier_wait -1
	s_and_saveexec_b32 s34, s33
	s_cbranch_execz .LBB113_311
; %bb.310:                              ;   in Loop: Header=BB113_3 Depth=1
	ds_load_b32 v28, v50 offset:9088
	ds_load_b32 v29, v48
	s_wait_dscnt 0x0
	v_fma_f32 v2, -v28, v29, v2
.LBB113_311:                            ;   in Loop: Header=BB113_3 Depth=1
	s_or_b32 exec_lo, exec_lo, s34
	s_barrier_signal -1
	s_barrier_wait -1
	s_and_saveexec_b32 s34, s35
	s_cbranch_execz .LBB113_313
; %bb.312:                              ;   in Loop: Header=BB113_3 Depth=1
	ds_load_b32 v28, v3 offset:8840
	s_wait_dscnt 0x0
	v_mul_f32_e32 v2, v2, v28
	s_delay_alu instid0(VALU_DEP_1)
	v_xor_b32_e32 v28, 0x80000000, v2
	ds_store_b32 v48, v28
.LBB113_313:                            ;   in Loop: Header=BB113_3 Depth=1
	s_or_b32 exec_lo, exec_lo, s34
	s_wait_dscnt 0x0
	s_barrier_signal -1
	s_barrier_wait -1
	s_and_saveexec_b32 s34, s25
	s_cbranch_execz .LBB113_315
; %bb.314:                              ;   in Loop: Header=BB113_3 Depth=1
	ds_load_b32 v28, v50 offset:8832
	ds_load_b32 v29, v48
	s_wait_dscnt 0x0
	v_fma_f32 v2, -v28, v29, v2
.LBB113_315:                            ;   in Loop: Header=BB113_3 Depth=1
	s_or_b32 exec_lo, exec_lo, s34
	s_barrier_signal -1
	s_barrier_wait -1
	s_and_saveexec_b32 s34, s27
	s_cbranch_execz .LBB113_317
; %bb.316:                              ;   in Loop: Header=BB113_3 Depth=1
	ds_load_b32 v28, v3 offset:8580
	s_wait_dscnt 0x0
	v_mul_f32_e32 v2, v2, v28
	s_delay_alu instid0(VALU_DEP_1)
	v_xor_b32_e32 v28, 0x80000000, v2
	ds_store_b32 v48, v28
.LBB113_317:                            ;   in Loop: Header=BB113_3 Depth=1
	s_or_b32 exec_lo, exec_lo, s34
	s_wait_dscnt 0x0
	s_barrier_signal -1
	s_barrier_wait -1
	s_and_saveexec_b32 s34, s29
	s_cbranch_execz .LBB113_319
; %bb.318:                              ;   in Loop: Header=BB113_3 Depth=1
	ds_load_b32 v28, v3 offset:8576
	ds_load_b32 v29, v48
	s_wait_dscnt 0x0
	v_fma_f32 v2, -v28, v29, v2
.LBB113_319:                            ;   in Loop: Header=BB113_3 Depth=1
	s_or_b32 exec_lo, exec_lo, s34
	s_barrier_signal -1
	s_barrier_wait -1
	s_and_saveexec_b32 s34, s29
	s_cbranch_execz .LBB113_321
; %bb.320:                              ;   in Loop: Header=BB113_3 Depth=1
	ds_load_b32 v28, v3 offset:8320
	s_wait_dscnt 0x0
	v_mul_f32_e32 v2, v2, v28
	s_delay_alu instid0(VALU_DEP_1)
	v_xor_b32_e32 v28, 0x80000000, v2
	ds_store_b32 v48, v28
.LBB113_321:                            ;   in Loop: Header=BB113_3 Depth=1
	s_or_b32 exec_lo, exec_lo, s34
	s_wait_dscnt 0x0
	s_barrier_signal -1
	s_barrier_wait -1
	s_barrier_signal -1
	s_barrier_wait -1
	s_and_saveexec_b32 s34, s6
; %bb.322:                              ;   in Loop: Header=BB113_3 Depth=1
	ds_store_b32 v51, v2 offset:16256
; %bb.323:                              ;   in Loop: Header=BB113_3 Depth=1
	s_or_b32 exec_lo, exec_lo, s34
	s_wait_dscnt 0x0
	s_barrier_signal -1
	s_barrier_wait -1
	s_barrier_signal -1
	s_barrier_wait -1
	s_and_saveexec_b32 s34, s31
	s_cbranch_execz .LBB113_325
; %bb.324:                              ;   in Loop: Header=BB113_3 Depth=1
	ds_load_b32 v2, v38 offset:12416
	s_wait_dscnt 0x0
	ds_store_b32 v42, v2 offset:8384
	ds_load_b32 v2, v38 offset:12420
	s_wait_dscnt 0x0
	ds_store_b32 v42, v2 offset:8640
	;; [unrolled: 3-line block ×16, first 2 shown]
.LBB113_325:                            ;   in Loop: Header=BB113_3 Depth=1
	s_or_b32 exec_lo, exec_lo, s34
	s_wait_dscnt 0x0
	s_barrier_signal -1
	s_barrier_wait -1
	s_and_saveexec_b32 s34, s15
	s_cbranch_execz .LBB113_327
; %bb.326:                              ;   in Loop: Header=BB113_3 Depth=1
	ds_load_b64 v[28:29], v3 offset:12216
	ds_load_b32 v2, v3 offset:11960
	s_wait_dscnt 0x0
	v_mul_f32_e32 v2, v2, v29
	s_delay_alu instid0(VALU_DEP_1)
	v_mul_f32_e32 v2, v28, v2
	v_add_nc_u32_e64 v28, 0x2c00, 0
	ds_store_2addr_b32 v28, v2, v2 offset0:175 offset1:238
.LBB113_327:                            ;   in Loop: Header=BB113_3 Depth=1
	s_or_b32 exec_lo, exec_lo, s34
	v_mov_b32_e32 v2, 0
	s_wait_dscnt 0x0
	s_barrier_signal -1
	s_barrier_wait -1
	global_wb scope:SCOPE_DEV
	s_wait_storecnt 0x0
	global_inv scope:SCOPE_DEV
	s_and_saveexec_b32 s34, s2
	s_cbranch_execz .LBB113_331
; %bb.328:                              ;   in Loop: Header=BB113_3 Depth=1
	ds_load_b32 v2, v35 offset:11952
	ds_load_b32 v28, v34 offset:12216
	s_wait_dscnt 0x0
	v_fma_f32 v2, v2, v28, 0
	s_and_saveexec_b32 s65, s16
	s_cbranch_execz .LBB113_330
; %bb.329:                              ;   in Loop: Header=BB113_3 Depth=1
	ds_load_b32 v28, v36 offset:12208
	ds_load_b32 v29, v3 offset:12220
	s_wait_dscnt 0x0
	v_fmac_f32_e32 v2, v28, v29
.LBB113_330:                            ;   in Loop: Header=BB113_3 Depth=1
	s_or_b32 exec_lo, exec_lo, s65
.LBB113_331:                            ;   in Loop: Header=BB113_3 Depth=1
	s_delay_alu instid0(SALU_CYCLE_1)
	s_or_b32 exec_lo, exec_lo, s34
	s_and_saveexec_b32 s34, s89
	s_cbranch_execz .LBB113_333
; %bb.332:                              ;   in Loop: Header=BB113_3 Depth=1
	ds_load_b32 v28, v3 offset:11700
	s_wait_dscnt 0x0
	v_mul_f32_e32 v2, v2, v28
	s_delay_alu instid0(VALU_DEP_1)
	v_xor_b32_e32 v28, 0x80000000, v2
	ds_store_b32 v5, v28
.LBB113_333:                            ;   in Loop: Header=BB113_3 Depth=1
	s_or_b32 exec_lo, exec_lo, s34
	s_wait_loadcnt_dscnt 0x0
	s_barrier_signal -1
	s_barrier_wait -1
	s_and_saveexec_b32 s34, s90
	s_cbranch_execz .LBB113_335
; %bb.334:                              ;   in Loop: Header=BB113_3 Depth=1
	ds_load_b32 v28, v3 offset:11696
	ds_load_b32 v29, v5
	s_wait_dscnt 0x0
	v_fma_f32 v2, -v28, v29, v2
.LBB113_335:                            ;   in Loop: Header=BB113_3 Depth=1
	s_or_b32 exec_lo, exec_lo, s34
	s_barrier_signal -1
	s_barrier_wait -1
	s_and_saveexec_b32 s34, s90
	s_cbranch_execz .LBB113_337
; %bb.336:                              ;   in Loop: Header=BB113_3 Depth=1
	ds_load_b32 v28, v3 offset:11440
	s_wait_dscnt 0x0
	v_mul_f32_e32 v2, v2, v28
	s_delay_alu instid0(VALU_DEP_1)
	v_xor_b32_e32 v28, 0x80000000, v2
	ds_store_b32 v5, v28
.LBB113_337:                            ;   in Loop: Header=BB113_3 Depth=1
	s_or_b32 exec_lo, exec_lo, s34
	s_wait_dscnt 0x0
	s_barrier_signal -1
	s_barrier_wait -1
	s_barrier_signal -1
	s_barrier_wait -1
	s_and_saveexec_b32 s34, s2
; %bb.338:                              ;   in Loop: Header=BB113_3 Depth=1
	ds_store_b32 v37, v2 offset:12208
; %bb.339:                              ;   in Loop: Header=BB113_3 Depth=1
	s_or_b32 exec_lo, exec_lo, s34
	s_wait_dscnt 0x0
	s_barrier_signal -1
	s_barrier_wait -1
	s_barrier_signal -1
	s_barrier_wait -1
	s_and_saveexec_b32 s34, s91
	s_cbranch_execz .LBB113_341
; %bb.340:                              ;   in Loop: Header=BB113_3 Depth=1
	ds_load_b32 v2, v38 offset:11952
	s_wait_dscnt 0x0
	ds_store_b32 v36, v2 offset:11448
	ds_load_b32 v2, v38 offset:11956
	s_wait_dscnt 0x0
	ds_store_b32 v36, v2 offset:11704
.LBB113_341:                            ;   in Loop: Header=BB113_3 Depth=1
	s_or_b32 exec_lo, exec_lo, s34
	s_wait_dscnt 0x0
	s_barrier_signal -1
	s_barrier_wait -1
	s_and_saveexec_b32 s34, s15
	s_cbranch_execz .LBB113_343
; %bb.342:                              ;   in Loop: Header=BB113_3 Depth=1
	ds_load_b64 v[28:29], v3 offset:11696
	ds_load_b32 v2, v3 offset:11440
	s_wait_dscnt 0x0
	v_mul_f32_e32 v2, v2, v29
	s_delay_alu instid0(VALU_DEP_1)
	v_mul_f32_e32 v2, v28, v2
	v_add_nc_u32_e64 v28, 0x2c00, 0
	ds_store_2addr_b32 v28, v2, v2 offset0:45 offset1:108
.LBB113_343:                            ;   in Loop: Header=BB113_3 Depth=1
	s_or_b32 exec_lo, exec_lo, s34
	v_mov_b32_e32 v2, 0
	s_wait_dscnt 0x0
	s_barrier_signal -1
	s_barrier_wait -1
	global_wb scope:SCOPE_DEV
	s_wait_storecnt 0x0
	global_inv scope:SCOPE_DEV
	s_and_saveexec_b32 s34, s4
	s_cbranch_execz .LBB113_349
; %bb.344:                              ;   in Loop: Header=BB113_3 Depth=1
	ds_load_b32 v2, v41 offset:11424
	ds_load_b32 v28, v40 offset:12208
	s_wait_dscnt 0x0
	v_fma_f32 v2, v2, v28, 0
	s_and_saveexec_b32 s65, s17
	s_cbranch_execnz .LBB113_1221
; %bb.345:                              ;   in Loop: Header=BB113_3 Depth=1
	s_or_b32 exec_lo, exec_lo, s65
	s_and_saveexec_b32 s65, s18
	s_cbranch_execnz .LBB113_1222
.LBB113_346:                            ;   in Loop: Header=BB113_3 Depth=1
	s_or_b32 exec_lo, exec_lo, s65
	s_and_saveexec_b32 s65, s2
	s_cbranch_execz .LBB113_348
.LBB113_347:                            ;   in Loop: Header=BB113_3 Depth=1
	ds_load_b32 v28, v42 offset:12192
	ds_load_b32 v29, v3 offset:12220
	s_wait_dscnt 0x0
	v_fmac_f32_e32 v2, v28, v29
.LBB113_348:                            ;   in Loop: Header=BB113_3 Depth=1
	s_or_b32 exec_lo, exec_lo, s65
.LBB113_349:                            ;   in Loop: Header=BB113_3 Depth=1
	s_delay_alu instid0(SALU_CYCLE_1)
	s_or_b32 exec_lo, exec_lo, s34
	s_and_saveexec_b32 s34, s92
	s_cbranch_execz .LBB113_351
; %bb.350:                              ;   in Loop: Header=BB113_3 Depth=1
	ds_load_b32 v28, v3 offset:11180
	s_wait_dscnt 0x0
	v_mul_f32_e32 v2, v2, v28
	s_delay_alu instid0(VALU_DEP_1)
	v_xor_b32_e32 v28, 0x80000000, v2
	ds_store_b32 v39, v28
.LBB113_351:                            ;   in Loop: Header=BB113_3 Depth=1
	s_or_b32 exec_lo, exec_lo, s34
	s_wait_loadcnt_dscnt 0x0
	s_barrier_signal -1
	s_barrier_wait -1
	s_and_saveexec_b32 s34, s93
	s_cbranch_execz .LBB113_353
; %bb.352:                              ;   in Loop: Header=BB113_3 Depth=1
	ds_load_b32 v28, v41 offset:11168
	ds_load_b32 v29, v39
	s_wait_dscnt 0x0
	v_fma_f32 v2, -v28, v29, v2
.LBB113_353:                            ;   in Loop: Header=BB113_3 Depth=1
	s_or_b32 exec_lo, exec_lo, s34
	s_barrier_signal -1
	s_barrier_wait -1
	s_and_saveexec_b32 s34, s94
	s_cbranch_execz .LBB113_355
; %bb.354:                              ;   in Loop: Header=BB113_3 Depth=1
	ds_load_b32 v28, v3 offset:10920
	s_wait_dscnt 0x0
	v_mul_f32_e32 v2, v2, v28
	s_delay_alu instid0(VALU_DEP_1)
	v_xor_b32_e32 v28, 0x80000000, v2
	ds_store_b32 v39, v28
.LBB113_355:                            ;   in Loop: Header=BB113_3 Depth=1
	s_or_b32 exec_lo, exec_lo, s34
	s_wait_dscnt 0x0
	s_barrier_signal -1
	s_barrier_wait -1
	s_and_saveexec_b32 s34, s95
	s_cbranch_execz .LBB113_357
; %bb.356:                              ;   in Loop: Header=BB113_3 Depth=1
	ds_load_b32 v28, v41 offset:10912
	ds_load_b32 v29, v39
	s_wait_dscnt 0x0
	v_fma_f32 v2, -v28, v29, v2
.LBB113_357:                            ;   in Loop: Header=BB113_3 Depth=1
	s_or_b32 exec_lo, exec_lo, s34
	s_barrier_signal -1
	s_barrier_wait -1
	s_and_saveexec_b32 s34, s96
	s_cbranch_execz .LBB113_359
; %bb.358:                              ;   in Loop: Header=BB113_3 Depth=1
	ds_load_b32 v28, v3 offset:10660
	s_wait_dscnt 0x0
	v_mul_f32_e32 v2, v2, v28
	s_delay_alu instid0(VALU_DEP_1)
	v_xor_b32_e32 v28, 0x80000000, v2
	ds_store_b32 v39, v28
.LBB113_359:                            ;   in Loop: Header=BB113_3 Depth=1
	s_or_b32 exec_lo, exec_lo, s34
	s_wait_dscnt 0x0
	;; [unrolled: 25-line block ×3, first 2 shown]
	s_barrier_signal -1
	s_barrier_wait -1
	s_barrier_signal -1
	s_barrier_wait -1
	s_and_saveexec_b32 s34, s4
; %bb.364:                              ;   in Loop: Header=BB113_3 Depth=1
	ds_store_b32 v43, v2 offset:12192
; %bb.365:                              ;   in Loop: Header=BB113_3 Depth=1
	s_or_b32 exec_lo, exec_lo, s34
	s_wait_dscnt 0x0
	s_barrier_signal -1
	s_barrier_wait -1
	s_barrier_signal -1
	s_barrier_wait -1
	s_and_saveexec_b32 s34, s98
	s_cbranch_execz .LBB113_367
; %bb.366:                              ;   in Loop: Header=BB113_3 Depth=1
	ds_load_b32 v2, v7 offset:11424
	s_wait_dscnt 0x0
	ds_store_b32 v53, v2 offset:10416
	ds_load_b32 v2, v7 offset:11428
	s_wait_dscnt 0x0
	ds_store_b32 v53, v2 offset:10672
	;; [unrolled: 3-line block ×4, first 2 shown]
.LBB113_367:                            ;   in Loop: Header=BB113_3 Depth=1
	s_or_b32 exec_lo, exec_lo, s34
	s_wait_dscnt 0x0
	s_barrier_signal -1
	s_barrier_wait -1
	s_and_saveexec_b32 s34, s15
	s_cbranch_execz .LBB113_369
; %bb.368:                              ;   in Loop: Header=BB113_3 Depth=1
	ds_load_b64 v[28:29], v3 offset:11176
	ds_load_b32 v2, v3 offset:10920
	s_wait_dscnt 0x0
	v_mul_f32_e32 v2, v2, v29
	s_delay_alu instid0(VALU_DEP_1)
	v_mul_f32_e32 v2, v28, v2
	v_add_nc_u32_e64 v28, 0x2800, 0
	ds_store_2addr_b32 v28, v2, v2 offset0:171 offset1:234
.LBB113_369:                            ;   in Loop: Header=BB113_3 Depth=1
	s_or_b32 exec_lo, exec_lo, s34
	v_mov_b32_e32 v2, 0
	s_wait_dscnt 0x0
	s_barrier_signal -1
	s_barrier_wait -1
	global_wb scope:SCOPE_DEV
	s_wait_storecnt 0x0
	global_inv scope:SCOPE_DEV
	s_and_saveexec_b32 s34, s2
	s_cbranch_execz .LBB113_373
; %bb.370:                              ;   in Loop: Header=BB113_3 Depth=1
	ds_load_b32 v2, v35 offset:10912
	ds_load_b32 v28, v34 offset:11176
	s_wait_dscnt 0x0
	v_fma_f32 v2, v2, v28, 0
	s_and_saveexec_b32 s65, s16
	s_cbranch_execz .LBB113_372
; %bb.371:                              ;   in Loop: Header=BB113_3 Depth=1
	ds_load_b32 v28, v53 offset:11168
	ds_load_b32 v29, v3 offset:11180
	s_wait_dscnt 0x0
	v_fmac_f32_e32 v2, v28, v29
.LBB113_372:                            ;   in Loop: Header=BB113_3 Depth=1
	s_or_b32 exec_lo, exec_lo, s65
.LBB113_373:                            ;   in Loop: Header=BB113_3 Depth=1
	s_delay_alu instid0(SALU_CYCLE_1)
	s_or_b32 exec_lo, exec_lo, s34
	s_and_saveexec_b32 s34, s89
	s_cbranch_execz .LBB113_375
; %bb.374:                              ;   in Loop: Header=BB113_3 Depth=1
	ds_load_b32 v28, v3 offset:10660
	s_wait_dscnt 0x0
	v_mul_f32_e32 v2, v2, v28
	s_delay_alu instid0(VALU_DEP_1)
	v_xor_b32_e32 v28, 0x80000000, v2
	ds_store_b32 v5, v28
.LBB113_375:                            ;   in Loop: Header=BB113_3 Depth=1
	s_or_b32 exec_lo, exec_lo, s34
	s_wait_loadcnt_dscnt 0x0
	s_barrier_signal -1
	s_barrier_wait -1
	s_and_saveexec_b32 s34, s90
	s_cbranch_execz .LBB113_377
; %bb.376:                              ;   in Loop: Header=BB113_3 Depth=1
	ds_load_b32 v28, v3 offset:10656
	ds_load_b32 v29, v5
	s_wait_dscnt 0x0
	v_fma_f32 v2, -v28, v29, v2
.LBB113_377:                            ;   in Loop: Header=BB113_3 Depth=1
	s_or_b32 exec_lo, exec_lo, s34
	s_barrier_signal -1
	s_barrier_wait -1
	s_and_saveexec_b32 s34, s90
	s_cbranch_execz .LBB113_379
; %bb.378:                              ;   in Loop: Header=BB113_3 Depth=1
	ds_load_b32 v28, v3 offset:10400
	s_wait_dscnt 0x0
	v_mul_f32_e32 v2, v2, v28
	s_delay_alu instid0(VALU_DEP_1)
	v_xor_b32_e32 v28, 0x80000000, v2
	ds_store_b32 v5, v28
.LBB113_379:                            ;   in Loop: Header=BB113_3 Depth=1
	s_or_b32 exec_lo, exec_lo, s34
	s_wait_dscnt 0x0
	s_barrier_signal -1
	s_barrier_wait -1
	s_barrier_signal -1
	s_barrier_wait -1
	s_and_saveexec_b32 s34, s2
; %bb.380:                              ;   in Loop: Header=BB113_3 Depth=1
	ds_store_b32 v37, v2 offset:11168
; %bb.381:                              ;   in Loop: Header=BB113_3 Depth=1
	s_or_b32 exec_lo, exec_lo, s34
	s_wait_dscnt 0x0
	s_barrier_signal -1
	s_barrier_wait -1
	s_barrier_signal -1
	s_barrier_wait -1
	s_and_saveexec_b32 s34, s91
	s_cbranch_execz .LBB113_383
; %bb.382:                              ;   in Loop: Header=BB113_3 Depth=1
	ds_load_b32 v2, v54 offset:10912
	s_wait_dscnt 0x0
	ds_store_b32 v53, v2 offset:10408
	ds_load_b32 v2, v54 offset:10916
	s_wait_dscnt 0x0
	ds_store_b32 v53, v2 offset:10664
.LBB113_383:                            ;   in Loop: Header=BB113_3 Depth=1
	s_or_b32 exec_lo, exec_lo, s34
	s_wait_dscnt 0x0
	s_barrier_signal -1
	s_barrier_wait -1
	s_and_saveexec_b32 s34, s15
	s_cbranch_execz .LBB113_385
; %bb.384:                              ;   in Loop: Header=BB113_3 Depth=1
	ds_load_b64 v[28:29], v3 offset:10656
	ds_load_b32 v2, v3 offset:10400
	s_wait_dscnt 0x0
	v_mul_f32_e32 v2, v2, v29
	s_delay_alu instid0(VALU_DEP_1)
	v_mul_f32_e32 v2, v28, v2
	v_add_nc_u32_e64 v28, 0x2800, 0
	ds_store_2addr_b32 v28, v2, v2 offset0:41 offset1:104
.LBB113_385:                            ;   in Loop: Header=BB113_3 Depth=1
	s_or_b32 exec_lo, exec_lo, s34
	v_mov_b32_e32 v2, 0
	s_wait_dscnt 0x0
	s_barrier_signal -1
	s_barrier_wait -1
	global_wb scope:SCOPE_DEV
	s_wait_storecnt 0x0
	global_inv scope:SCOPE_DEV
	s_and_saveexec_b32 s34, s5
	s_cbranch_execz .LBB113_395
; %bb.386:                              ;   in Loop: Header=BB113_3 Depth=1
	ds_load_b32 v2, v46 offset:10368
	ds_load_b32 v28, v45 offset:12192
	s_wait_dscnt 0x0
	v_fma_f32 v2, v2, v28, 0
	s_and_saveexec_b32 s65, s19
	s_cbranch_execnz .LBB113_1223
; %bb.387:                              ;   in Loop: Header=BB113_3 Depth=1
	s_or_b32 exec_lo, exec_lo, s65
	s_and_saveexec_b32 s65, s20
	s_cbranch_execnz .LBB113_1224
.LBB113_388:                            ;   in Loop: Header=BB113_3 Depth=1
	s_or_b32 exec_lo, exec_lo, s65
	s_and_saveexec_b32 s65, s21
	s_cbranch_execnz .LBB113_1225
.LBB113_389:                            ;   in Loop: Header=BB113_3 Depth=1
	s_or_b32 exec_lo, exec_lo, s65
	s_and_saveexec_b32 s65, s22
	s_cbranch_execnz .LBB113_1226
.LBB113_390:                            ;   in Loop: Header=BB113_3 Depth=1
	s_or_b32 exec_lo, exec_lo, s65
	s_and_saveexec_b32 s65, s23
	s_cbranch_execnz .LBB113_1227
.LBB113_391:                            ;   in Loop: Header=BB113_3 Depth=1
	s_or_b32 exec_lo, exec_lo, s65
	s_and_saveexec_b32 s65, s4
	s_cbranch_execnz .LBB113_1228
.LBB113_392:                            ;   in Loop: Header=BB113_3 Depth=1
	s_or_b32 exec_lo, exec_lo, s65
	s_and_saveexec_b32 s65, s18
	s_cbranch_execz .LBB113_394
.LBB113_393:                            ;   in Loop: Header=BB113_3 Depth=1
	ds_load_b32 v28, v55 offset:12160
	ds_load_b32 v29, v3 offset:12220
	s_wait_dscnt 0x0
	v_fmac_f32_e32 v2, v28, v29
.LBB113_394:                            ;   in Loop: Header=BB113_3 Depth=1
	s_or_b32 exec_lo, exec_lo, s65
.LBB113_395:                            ;   in Loop: Header=BB113_3 Depth=1
	s_delay_alu instid0(SALU_CYCLE_1)
	s_or_b32 exec_lo, exec_lo, s34
	s_and_saveexec_b32 s34, s99
	s_cbranch_execz .LBB113_397
; %bb.396:                              ;   in Loop: Header=BB113_3 Depth=1
	ds_load_b32 v28, v3 offset:10140
	s_wait_dscnt 0x0
	v_mul_f32_e32 v2, v2, v28
	s_delay_alu instid0(VALU_DEP_1)
	v_xor_b32_e32 v28, 0x80000000, v2
	ds_store_b32 v44, v28
.LBB113_397:                            ;   in Loop: Header=BB113_3 Depth=1
	s_or_b32 exec_lo, exec_lo, s34
	s_wait_loadcnt_dscnt 0x0
	s_barrier_signal -1
	s_barrier_wait -1
	s_and_saveexec_b32 s34, s100
	s_cbranch_execz .LBB113_399
; %bb.398:                              ;   in Loop: Header=BB113_3 Depth=1
	ds_load_b32 v28, v46 offset:10112
	ds_load_b32 v29, v44
	s_wait_dscnt 0x0
	v_fma_f32 v2, -v28, v29, v2
.LBB113_399:                            ;   in Loop: Header=BB113_3 Depth=1
	s_or_b32 exec_lo, exec_lo, s34
	s_barrier_signal -1
	s_barrier_wait -1
	s_and_saveexec_b32 s34, s101
	s_cbranch_execz .LBB113_401
; %bb.400:                              ;   in Loop: Header=BB113_3 Depth=1
	ds_load_b32 v28, v3 offset:9880
	s_wait_dscnt 0x0
	v_mul_f32_e32 v2, v2, v28
	s_delay_alu instid0(VALU_DEP_1)
	v_xor_b32_e32 v28, 0x80000000, v2
	ds_store_b32 v44, v28
.LBB113_401:                            ;   in Loop: Header=BB113_3 Depth=1
	s_or_b32 exec_lo, exec_lo, s34
	s_wait_dscnt 0x0
	s_barrier_signal -1
	s_barrier_wait -1
	s_and_saveexec_b32 s34, s102
	s_cbranch_execz .LBB113_403
; %bb.402:                              ;   in Loop: Header=BB113_3 Depth=1
	ds_load_b32 v28, v46 offset:9856
	ds_load_b32 v29, v44
	s_wait_dscnt 0x0
	v_fma_f32 v2, -v28, v29, v2
.LBB113_403:                            ;   in Loop: Header=BB113_3 Depth=1
	s_or_b32 exec_lo, exec_lo, s34
	s_barrier_signal -1
	s_barrier_wait -1
	s_and_saveexec_b32 s34, s103
	s_cbranch_execz .LBB113_405
; %bb.404:                              ;   in Loop: Header=BB113_3 Depth=1
	ds_load_b32 v28, v3 offset:9620
	s_wait_dscnt 0x0
	v_mul_f32_e32 v2, v2, v28
	s_delay_alu instid0(VALU_DEP_1)
	v_xor_b32_e32 v28, 0x80000000, v2
	ds_store_b32 v44, v28
.LBB113_405:                            ;   in Loop: Header=BB113_3 Depth=1
	s_or_b32 exec_lo, exec_lo, s34
	s_wait_dscnt 0x0
	s_barrier_signal -1
	s_barrier_wait -1
	s_and_saveexec_b32 s34, s104
	s_cbranch_execz .LBB113_407
; %bb.406:                              ;   in Loop: Header=BB113_3 Depth=1
	ds_load_b32 v28, v46 offset:9600
	ds_load_b32 v29, v44
	s_wait_dscnt 0x0
	v_fma_f32 v2, -v28, v29, v2
.LBB113_407:                            ;   in Loop: Header=BB113_3 Depth=1
	s_or_b32 exec_lo, exec_lo, s34
	s_barrier_signal -1
	s_barrier_wait -1
	s_and_saveexec_b32 s34, vcc_hi
	s_cbranch_execz .LBB113_409
; %bb.408:                              ;   in Loop: Header=BB113_3 Depth=1
	ds_load_b32 v28, v3 offset:9360
	s_wait_dscnt 0x0
	v_mul_f32_e32 v2, v2, v28
	s_delay_alu instid0(VALU_DEP_1)
	v_xor_b32_e32 v28, 0x80000000, v2
	ds_store_b32 v44, v28
.LBB113_409:                            ;   in Loop: Header=BB113_3 Depth=1
	s_or_b32 exec_lo, exec_lo, s34
	s_wait_dscnt 0x0
	s_barrier_signal -1
	s_barrier_wait -1
	s_and_saveexec_b32 s34, s36
	s_cbranch_execz .LBB113_411
; %bb.410:                              ;   in Loop: Header=BB113_3 Depth=1
	ds_load_b32 v28, v46 offset:9344
	ds_load_b32 v29, v44
	s_wait_dscnt 0x0
	v_fma_f32 v2, -v28, v29, v2
.LBB113_411:                            ;   in Loop: Header=BB113_3 Depth=1
	s_or_b32 exec_lo, exec_lo, s34
	s_barrier_signal -1
	s_barrier_wait -1
	s_and_saveexec_b32 s34, s37
	s_cbranch_execz .LBB113_413
; %bb.412:                              ;   in Loop: Header=BB113_3 Depth=1
	ds_load_b32 v28, v3 offset:9100
	s_wait_dscnt 0x0
	v_mul_f32_e32 v2, v2, v28
	s_delay_alu instid0(VALU_DEP_1)
	v_xor_b32_e32 v28, 0x80000000, v2
	ds_store_b32 v44, v28
.LBB113_413:                            ;   in Loop: Header=BB113_3 Depth=1
	s_or_b32 exec_lo, exec_lo, s34
	s_wait_dscnt 0x0
	s_barrier_signal -1
	s_barrier_wait -1
	s_and_saveexec_b32 s34, s38
	s_cbranch_execz .LBB113_415
; %bb.414:                              ;   in Loop: Header=BB113_3 Depth=1
	ds_load_b32 v28, v46 offset:9088
	ds_load_b32 v29, v44
	s_wait_dscnt 0x0
	v_fma_f32 v2, -v28, v29, v2
.LBB113_415:                            ;   in Loop: Header=BB113_3 Depth=1
	s_or_b32 exec_lo, exec_lo, s34
	s_barrier_signal -1
	s_barrier_wait -1
	s_and_saveexec_b32 s34, s39
	;; [unrolled: 25-line block ×4, first 2 shown]
	s_cbranch_execz .LBB113_425
; %bb.424:                              ;   in Loop: Header=BB113_3 Depth=1
	ds_load_b32 v28, v3 offset:8320
	s_wait_dscnt 0x0
	v_mul_f32_e32 v2, v2, v28
	s_delay_alu instid0(VALU_DEP_1)
	v_xor_b32_e32 v28, 0x80000000, v2
	ds_store_b32 v44, v28
.LBB113_425:                            ;   in Loop: Header=BB113_3 Depth=1
	s_or_b32 exec_lo, exec_lo, s34
	s_wait_dscnt 0x0
	s_barrier_signal -1
	s_barrier_wait -1
	s_barrier_signal -1
	s_barrier_wait -1
	s_and_saveexec_b32 s34, s5
; %bb.426:                              ;   in Loop: Header=BB113_3 Depth=1
	ds_store_b32 v47, v2 offset:12160
; %bb.427:                              ;   in Loop: Header=BB113_3 Depth=1
	s_or_b32 exec_lo, exec_lo, s34
	s_wait_dscnt 0x0
	s_barrier_signal -1
	s_barrier_wait -1
	s_barrier_signal -1
	s_barrier_wait -1
	s_and_saveexec_b32 s34, s43
	s_cbranch_execz .LBB113_429
; %bb.428:                              ;   in Loop: Header=BB113_3 Depth=1
	ds_load_b32 v2, v56 offset:10368
	s_wait_dscnt 0x0
	ds_store_b32 v57, v2 offset:8352
	ds_load_b32 v2, v56 offset:10372
	s_wait_dscnt 0x0
	ds_store_b32 v57, v2 offset:8608
	;; [unrolled: 3-line block ×8, first 2 shown]
.LBB113_429:                            ;   in Loop: Header=BB113_3 Depth=1
	s_or_b32 exec_lo, exec_lo, s34
	s_wait_dscnt 0x0
	s_barrier_signal -1
	s_barrier_wait -1
	s_and_saveexec_b32 s34, s15
	s_cbranch_execz .LBB113_431
; %bb.430:                              ;   in Loop: Header=BB113_3 Depth=1
	ds_load_b64 v[28:29], v3 offset:10136
	ds_load_b32 v2, v3 offset:9880
	s_wait_dscnt 0x0
	v_mul_f32_e32 v2, v2, v29
	s_delay_alu instid0(VALU_DEP_1)
	v_mul_f32_e32 v2, v28, v2
	v_add_nc_u32_e64 v28, 0x2400, 0
	ds_store_2addr_b32 v28, v2, v2 offset0:167 offset1:230
.LBB113_431:                            ;   in Loop: Header=BB113_3 Depth=1
	s_or_b32 exec_lo, exec_lo, s34
	v_mov_b32_e32 v2, 0
	s_wait_dscnt 0x0
	s_barrier_signal -1
	s_barrier_wait -1
	global_wb scope:SCOPE_DEV
	s_wait_storecnt 0x0
	global_inv scope:SCOPE_DEV
	s_and_saveexec_b32 s34, s2
	s_cbranch_execz .LBB113_435
; %bb.432:                              ;   in Loop: Header=BB113_3 Depth=1
	ds_load_b32 v2, v35 offset:9872
	ds_load_b32 v28, v34 offset:10136
	s_wait_dscnt 0x0
	v_fma_f32 v2, v2, v28, 0
	s_and_saveexec_b32 s65, s16
	s_cbranch_execz .LBB113_434
; %bb.433:                              ;   in Loop: Header=BB113_3 Depth=1
	ds_load_b32 v28, v57 offset:10128
	ds_load_b32 v29, v3 offset:10140
	s_wait_dscnt 0x0
	v_fmac_f32_e32 v2, v28, v29
.LBB113_434:                            ;   in Loop: Header=BB113_3 Depth=1
	s_or_b32 exec_lo, exec_lo, s65
.LBB113_435:                            ;   in Loop: Header=BB113_3 Depth=1
	s_delay_alu instid0(SALU_CYCLE_1)
	s_or_b32 exec_lo, exec_lo, s34
	s_and_saveexec_b32 s34, s89
	s_cbranch_execz .LBB113_437
; %bb.436:                              ;   in Loop: Header=BB113_3 Depth=1
	ds_load_b32 v28, v3 offset:9620
	s_wait_dscnt 0x0
	v_mul_f32_e32 v2, v2, v28
	s_delay_alu instid0(VALU_DEP_1)
	v_xor_b32_e32 v28, 0x80000000, v2
	ds_store_b32 v5, v28
.LBB113_437:                            ;   in Loop: Header=BB113_3 Depth=1
	s_or_b32 exec_lo, exec_lo, s34
	s_wait_loadcnt_dscnt 0x0
	s_barrier_signal -1
	s_barrier_wait -1
	s_and_saveexec_b32 s34, s90
	s_cbranch_execz .LBB113_439
; %bb.438:                              ;   in Loop: Header=BB113_3 Depth=1
	ds_load_b32 v28, v3 offset:9616
	ds_load_b32 v29, v5
	s_wait_dscnt 0x0
	v_fma_f32 v2, -v28, v29, v2
.LBB113_439:                            ;   in Loop: Header=BB113_3 Depth=1
	s_or_b32 exec_lo, exec_lo, s34
	s_barrier_signal -1
	s_barrier_wait -1
	s_and_saveexec_b32 s34, s90
	s_cbranch_execz .LBB113_441
; %bb.440:                              ;   in Loop: Header=BB113_3 Depth=1
	ds_load_b32 v28, v3 offset:9360
	s_wait_dscnt 0x0
	v_mul_f32_e32 v2, v2, v28
	s_delay_alu instid0(VALU_DEP_1)
	v_xor_b32_e32 v28, 0x80000000, v2
	ds_store_b32 v5, v28
.LBB113_441:                            ;   in Loop: Header=BB113_3 Depth=1
	s_or_b32 exec_lo, exec_lo, s34
	s_wait_dscnt 0x0
	s_barrier_signal -1
	s_barrier_wait -1
	s_barrier_signal -1
	s_barrier_wait -1
	s_and_saveexec_b32 s34, s2
; %bb.442:                              ;   in Loop: Header=BB113_3 Depth=1
	ds_store_b32 v37, v2 offset:10128
; %bb.443:                              ;   in Loop: Header=BB113_3 Depth=1
	s_or_b32 exec_lo, exec_lo, s34
	s_wait_dscnt 0x0
	s_barrier_signal -1
	s_barrier_wait -1
	s_barrier_signal -1
	s_barrier_wait -1
	s_and_saveexec_b32 s34, s91
	s_cbranch_execz .LBB113_445
; %bb.444:                              ;   in Loop: Header=BB113_3 Depth=1
	ds_load_b32 v2, v58 offset:9872
	s_wait_dscnt 0x0
	ds_store_b32 v57, v2 offset:9368
	ds_load_b32 v2, v58 offset:9876
	s_wait_dscnt 0x0
	ds_store_b32 v57, v2 offset:9624
.LBB113_445:                            ;   in Loop: Header=BB113_3 Depth=1
	s_or_b32 exec_lo, exec_lo, s34
	s_wait_dscnt 0x0
	s_barrier_signal -1
	s_barrier_wait -1
	s_and_saveexec_b32 s34, s15
	s_cbranch_execz .LBB113_447
; %bb.446:                              ;   in Loop: Header=BB113_3 Depth=1
	ds_load_b64 v[28:29], v3 offset:9616
	ds_load_b32 v2, v3 offset:9360
	s_wait_dscnt 0x0
	v_mul_f32_e32 v2, v2, v29
	s_delay_alu instid0(VALU_DEP_1)
	v_mul_f32_e32 v2, v28, v2
	v_add_nc_u32_e64 v28, 0x2400, 0
	ds_store_2addr_b32 v28, v2, v2 offset0:37 offset1:100
.LBB113_447:                            ;   in Loop: Header=BB113_3 Depth=1
	s_or_b32 exec_lo, exec_lo, s34
	v_mov_b32_e32 v2, 0
	s_wait_dscnt 0x0
	s_barrier_signal -1
	s_barrier_wait -1
	global_wb scope:SCOPE_DEV
	s_wait_storecnt 0x0
	global_inv scope:SCOPE_DEV
	s_and_saveexec_b32 s34, s4
	s_cbranch_execz .LBB113_453
; %bb.448:                              ;   in Loop: Header=BB113_3 Depth=1
	ds_load_b32 v2, v41 offset:9344
	ds_load_b32 v28, v40 offset:10128
	s_wait_dscnt 0x0
	v_fma_f32 v2, v2, v28, 0
	s_and_saveexec_b32 s65, s17
	s_cbranch_execnz .LBB113_1229
; %bb.449:                              ;   in Loop: Header=BB113_3 Depth=1
	s_or_b32 exec_lo, exec_lo, s65
	s_and_saveexec_b32 s65, s18
	s_cbranch_execnz .LBB113_1230
.LBB113_450:                            ;   in Loop: Header=BB113_3 Depth=1
	s_or_b32 exec_lo, exec_lo, s65
	s_and_saveexec_b32 s65, s2
	s_cbranch_execz .LBB113_452
.LBB113_451:                            ;   in Loop: Header=BB113_3 Depth=1
	ds_load_b32 v28, v59 offset:10112
	ds_load_b32 v29, v3 offset:10140
	s_wait_dscnt 0x0
	v_fmac_f32_e32 v2, v28, v29
.LBB113_452:                            ;   in Loop: Header=BB113_3 Depth=1
	s_or_b32 exec_lo, exec_lo, s65
.LBB113_453:                            ;   in Loop: Header=BB113_3 Depth=1
	s_delay_alu instid0(SALU_CYCLE_1)
	s_or_b32 exec_lo, exec_lo, s34
	s_and_saveexec_b32 s34, s92
	s_cbranch_execz .LBB113_455
; %bb.454:                              ;   in Loop: Header=BB113_3 Depth=1
	ds_load_b32 v28, v3 offset:9100
	s_wait_dscnt 0x0
	v_mul_f32_e32 v2, v2, v28
	s_delay_alu instid0(VALU_DEP_1)
	v_xor_b32_e32 v28, 0x80000000, v2
	ds_store_b32 v39, v28
.LBB113_455:                            ;   in Loop: Header=BB113_3 Depth=1
	s_or_b32 exec_lo, exec_lo, s34
	s_wait_loadcnt_dscnt 0x0
	s_barrier_signal -1
	s_barrier_wait -1
	s_and_saveexec_b32 s34, s93
	s_cbranch_execz .LBB113_457
; %bb.456:                              ;   in Loop: Header=BB113_3 Depth=1
	ds_load_b32 v28, v41 offset:9088
	ds_load_b32 v29, v39
	s_wait_dscnt 0x0
	v_fma_f32 v2, -v28, v29, v2
.LBB113_457:                            ;   in Loop: Header=BB113_3 Depth=1
	s_or_b32 exec_lo, exec_lo, s34
	s_barrier_signal -1
	s_barrier_wait -1
	s_and_saveexec_b32 s34, s94
	s_cbranch_execz .LBB113_459
; %bb.458:                              ;   in Loop: Header=BB113_3 Depth=1
	ds_load_b32 v28, v3 offset:8840
	s_wait_dscnt 0x0
	v_mul_f32_e32 v2, v2, v28
	s_delay_alu instid0(VALU_DEP_1)
	v_xor_b32_e32 v28, 0x80000000, v2
	ds_store_b32 v39, v28
.LBB113_459:                            ;   in Loop: Header=BB113_3 Depth=1
	s_or_b32 exec_lo, exec_lo, s34
	s_wait_dscnt 0x0
	s_barrier_signal -1
	s_barrier_wait -1
	s_and_saveexec_b32 s34, s95
	s_cbranch_execz .LBB113_461
; %bb.460:                              ;   in Loop: Header=BB113_3 Depth=1
	ds_load_b32 v28, v41 offset:8832
	ds_load_b32 v29, v39
	s_wait_dscnt 0x0
	v_fma_f32 v2, -v28, v29, v2
.LBB113_461:                            ;   in Loop: Header=BB113_3 Depth=1
	s_or_b32 exec_lo, exec_lo, s34
	s_barrier_signal -1
	s_barrier_wait -1
	s_and_saveexec_b32 s34, s96
	s_cbranch_execz .LBB113_463
; %bb.462:                              ;   in Loop: Header=BB113_3 Depth=1
	ds_load_b32 v28, v3 offset:8580
	s_wait_dscnt 0x0
	v_mul_f32_e32 v2, v2, v28
	s_delay_alu instid0(VALU_DEP_1)
	v_xor_b32_e32 v28, 0x80000000, v2
	ds_store_b32 v39, v28
.LBB113_463:                            ;   in Loop: Header=BB113_3 Depth=1
	s_or_b32 exec_lo, exec_lo, s34
	s_wait_dscnt 0x0
	;; [unrolled: 25-line block ×3, first 2 shown]
	s_barrier_signal -1
	s_barrier_wait -1
	s_barrier_signal -1
	s_barrier_wait -1
	s_and_saveexec_b32 s34, s4
; %bb.468:                              ;   in Loop: Header=BB113_3 Depth=1
	ds_store_b32 v43, v2 offset:10112
; %bb.469:                              ;   in Loop: Header=BB113_3 Depth=1
	s_or_b32 exec_lo, exec_lo, s34
	s_wait_dscnt 0x0
	s_barrier_signal -1
	s_barrier_wait -1
	s_barrier_signal -1
	s_barrier_wait -1
	s_and_saveexec_b32 s34, s98
	s_cbranch_execz .LBB113_471
; %bb.470:                              ;   in Loop: Header=BB113_3 Depth=1
	ds_load_b32 v2, v60 offset:9344
	s_wait_dscnt 0x0
	ds_store_b32 v61, v2 offset:8336
	ds_load_b32 v2, v60 offset:9348
	s_wait_dscnt 0x0
	ds_store_b32 v61, v2 offset:8592
	;; [unrolled: 3-line block ×4, first 2 shown]
.LBB113_471:                            ;   in Loop: Header=BB113_3 Depth=1
	s_or_b32 exec_lo, exec_lo, s34
	s_wait_dscnt 0x0
	s_barrier_signal -1
	s_barrier_wait -1
	s_and_saveexec_b32 s34, s15
	s_cbranch_execz .LBB113_473
; %bb.472:                              ;   in Loop: Header=BB113_3 Depth=1
	ds_load_b64 v[28:29], v3 offset:9096
	ds_load_b32 v2, v3 offset:8840
	s_wait_dscnt 0x0
	v_mul_f32_e32 v2, v2, v29
	s_delay_alu instid0(VALU_DEP_1)
	v_mul_f32_e32 v2, v28, v2
	v_add_nc_u32_e64 v28, 0x2000, 0
	ds_store_2addr_b32 v28, v2, v2 offset0:163 offset1:226
.LBB113_473:                            ;   in Loop: Header=BB113_3 Depth=1
	s_or_b32 exec_lo, exec_lo, s34
	v_mov_b32_e32 v2, 0
	s_wait_dscnt 0x0
	s_barrier_signal -1
	s_barrier_wait -1
	global_wb scope:SCOPE_DEV
	s_wait_storecnt 0x0
	global_inv scope:SCOPE_DEV
	s_and_saveexec_b32 s34, s2
	s_cbranch_execz .LBB113_477
; %bb.474:                              ;   in Loop: Header=BB113_3 Depth=1
	ds_load_b32 v2, v35 offset:8832
	ds_load_b32 v28, v34 offset:9096
	s_wait_dscnt 0x0
	v_fma_f32 v2, v2, v28, 0
	s_and_saveexec_b32 s65, s16
	s_cbranch_execz .LBB113_476
; %bb.475:                              ;   in Loop: Header=BB113_3 Depth=1
	ds_load_b32 v28, v61 offset:9088
	ds_load_b32 v29, v3 offset:9100
	s_wait_dscnt 0x0
	v_fmac_f32_e32 v2, v28, v29
.LBB113_476:                            ;   in Loop: Header=BB113_3 Depth=1
	s_or_b32 exec_lo, exec_lo, s65
.LBB113_477:                            ;   in Loop: Header=BB113_3 Depth=1
	s_delay_alu instid0(SALU_CYCLE_1)
	s_or_b32 exec_lo, exec_lo, s34
	s_and_saveexec_b32 s34, s89
	s_cbranch_execz .LBB113_479
; %bb.478:                              ;   in Loop: Header=BB113_3 Depth=1
	ds_load_b32 v28, v3 offset:8580
	s_wait_dscnt 0x0
	v_mul_f32_e32 v2, v2, v28
	s_delay_alu instid0(VALU_DEP_1)
	v_xor_b32_e32 v28, 0x80000000, v2
	ds_store_b32 v5, v28
.LBB113_479:                            ;   in Loop: Header=BB113_3 Depth=1
	s_or_b32 exec_lo, exec_lo, s34
	s_wait_loadcnt_dscnt 0x0
	s_barrier_signal -1
	s_barrier_wait -1
	s_and_saveexec_b32 s34, s90
	s_cbranch_execz .LBB113_481
; %bb.480:                              ;   in Loop: Header=BB113_3 Depth=1
	ds_load_b32 v28, v3 offset:8576
	ds_load_b32 v29, v5
	s_wait_dscnt 0x0
	v_fma_f32 v2, -v28, v29, v2
.LBB113_481:                            ;   in Loop: Header=BB113_3 Depth=1
	s_or_b32 exec_lo, exec_lo, s34
	s_barrier_signal -1
	s_barrier_wait -1
	s_and_saveexec_b32 s34, s90
	s_cbranch_execz .LBB113_483
; %bb.482:                              ;   in Loop: Header=BB113_3 Depth=1
	ds_load_b32 v28, v3 offset:8320
	s_wait_dscnt 0x0
	v_mul_f32_e32 v2, v2, v28
	s_delay_alu instid0(VALU_DEP_1)
	v_xor_b32_e32 v28, 0x80000000, v2
	ds_store_b32 v5, v28
.LBB113_483:                            ;   in Loop: Header=BB113_3 Depth=1
	s_or_b32 exec_lo, exec_lo, s34
	s_wait_dscnt 0x0
	s_barrier_signal -1
	s_barrier_wait -1
	s_barrier_signal -1
	s_barrier_wait -1
	s_and_saveexec_b32 s34, s2
; %bb.484:                              ;   in Loop: Header=BB113_3 Depth=1
	ds_store_b32 v37, v2 offset:9088
; %bb.485:                              ;   in Loop: Header=BB113_3 Depth=1
	s_or_b32 exec_lo, exec_lo, s34
	s_wait_dscnt 0x0
	s_barrier_signal -1
	s_barrier_wait -1
	s_barrier_signal -1
	s_barrier_wait -1
	s_and_saveexec_b32 s34, s91
	s_cbranch_execz .LBB113_487
; %bb.486:                              ;   in Loop: Header=BB113_3 Depth=1
	ds_load_b32 v2, v62 offset:8832
	s_wait_dscnt 0x0
	ds_store_b32 v61, v2 offset:8328
	ds_load_b32 v2, v62 offset:8836
	s_wait_dscnt 0x0
	ds_store_b32 v61, v2 offset:8584
.LBB113_487:                            ;   in Loop: Header=BB113_3 Depth=1
	s_or_b32 exec_lo, exec_lo, s34
	s_wait_dscnt 0x0
	s_barrier_signal -1
	s_barrier_wait -1
	s_and_saveexec_b32 s34, s15
	s_cbranch_execz .LBB113_489
; %bb.488:                              ;   in Loop: Header=BB113_3 Depth=1
	ds_load_b64 v[28:29], v3 offset:8576
	ds_load_b32 v2, v3 offset:8320
	s_wait_dscnt 0x0
	v_mul_f32_e32 v2, v2, v29
	s_delay_alu instid0(VALU_DEP_1)
	v_mul_f32_e32 v2, v28, v2
	v_add_nc_u32_e64 v28, 0x2000, 0
	ds_store_2addr_b32 v28, v2, v2 offset0:33 offset1:96
.LBB113_489:                            ;   in Loop: Header=BB113_3 Depth=1
	s_or_b32 exec_lo, exec_lo, s34
	v_mov_b32_e32 v2, 0
	s_wait_dscnt 0x0
	s_barrier_signal -1
	s_barrier_wait -1
	global_wb scope:SCOPE_DEV
	s_wait_storecnt 0x0
	global_inv scope:SCOPE_DEV
	s_and_saveexec_b32 s65, s7
	s_cbranch_execz .LBB113_551
; %bb.490:                              ;   in Loop: Header=BB113_3 Depth=1
	ds_load_b32 v2, v64 offset:8192
	ds_load_b32 v28, v63 offset:16256
	s_wait_dscnt 0x0
	v_fma_f32 v2, v2, v28, 0
	s_mov_b32 s34, exec_lo
	v_readlane_b32 s80, v87, 30
	s_and_b32 s80, s34, s80
	s_delay_alu instid0(SALU_CYCLE_1)
	s_mov_b32 exec_lo, s80
	s_cbranch_execz .LBB113_492
; %bb.491:                              ;   in Loop: Header=BB113_3 Depth=1
	ds_load_b32 v28, v64 offset:8448
	ds_load_b32 v29, v63 offset:16260
	s_wait_dscnt 0x0
	v_fmac_f32_e32 v2, v28, v29
.LBB113_492:                            ;   in Loop: Header=BB113_3 Depth=1
	s_or_b32 exec_lo, exec_lo, s34
	s_delay_alu instid0(SALU_CYCLE_1) | instskip(SKIP_2) | instid1(SALU_CYCLE_1)
	s_mov_b32 s34, exec_lo
	v_readlane_b32 s80, v87, 31
	s_and_b32 s80, s34, s80
	s_mov_b32 exec_lo, s80
	s_cbranch_execz .LBB113_494
; %bb.493:                              ;   in Loop: Header=BB113_3 Depth=1
	ds_load_b32 v28, v64 offset:8704
	ds_load_b32 v29, v63 offset:16264
	s_wait_dscnt 0x0
	v_fmac_f32_e32 v2, v28, v29
.LBB113_494:                            ;   in Loop: Header=BB113_3 Depth=1
	s_or_b32 exec_lo, exec_lo, s34
	s_delay_alu instid0(SALU_CYCLE_1) | instskip(SKIP_2) | instid1(SALU_CYCLE_1)
	s_mov_b32 s34, exec_lo
	v_readlane_b32 s80, v86, 0
	s_and_b32 s80, s34, s80
	;; [unrolled: 13-line block ×22, first 2 shown]
	s_mov_b32 exec_lo, s80
	s_cbranch_execz .LBB113_536
; %bb.535:                              ;   in Loop: Header=BB113_3 Depth=1
	ds_load_b32 v28, v64 offset:14080
	ds_load_b32 v29, v63 offset:16348
	s_wait_dscnt 0x0
	v_fmac_f32_e32 v2, v28, v29
.LBB113_536:                            ;   in Loop: Header=BB113_3 Depth=1
	s_or_b32 exec_lo, exec_lo, s34
	s_and_saveexec_b32 s34, s6
	s_cbranch_execz .LBB113_538
; %bb.537:                              ;   in Loop: Header=BB113_3 Depth=1
	ds_load_b32 v28, v64 offset:14336
	ds_load_b32 v29, v63 offset:16352
	s_wait_dscnt 0x0
	v_fmac_f32_e32 v2, v28, v29
.LBB113_538:                            ;   in Loop: Header=BB113_3 Depth=1
	s_or_b32 exec_lo, exec_lo, s34
	s_delay_alu instid0(SALU_CYCLE_1) | instskip(SKIP_2) | instid1(SALU_CYCLE_1)
	s_mov_b32 s34, exec_lo
	v_readlane_b32 s80, v87, 20
	s_and_b32 s80, s34, s80
	s_mov_b32 exec_lo, s80
	s_cbranch_execz .LBB113_540
; %bb.539:                              ;   in Loop: Header=BB113_3 Depth=1
	ds_load_b32 v28, v64 offset:14592
	ds_load_b32 v29, v63 offset:16356
	s_wait_dscnt 0x0
	v_fmac_f32_e32 v2, v28, v29
.LBB113_540:                            ;   in Loop: Header=BB113_3 Depth=1
	s_or_b32 exec_lo, exec_lo, s34
	s_delay_alu instid0(SALU_CYCLE_1) | instskip(SKIP_2) | instid1(SALU_CYCLE_1)
	s_mov_b32 s34, exec_lo
	v_readlane_b32 s80, v87, 22
	s_and_b32 s80, s34, s80
	s_mov_b32 exec_lo, s80
	;; [unrolled: 13-line block ×5, first 2 shown]
	s_cbranch_execnz .LBB113_1231
; %bb.547:                              ;   in Loop: Header=BB113_3 Depth=1
	s_or_b32 exec_lo, exec_lo, s34
	s_and_saveexec_b32 s34, s5
	s_cbranch_execnz .LBB113_1232
.LBB113_548:                            ;   in Loop: Header=BB113_3 Depth=1
	s_or_b32 exec_lo, exec_lo, s34
	s_and_saveexec_b32 s34, s22
	s_cbranch_execz .LBB113_550
.LBB113_549:                            ;   in Loop: Header=BB113_3 Depth=1
	ds_load_b32 v28, v36 offset:16128
	ds_load_b32 v29, v3 offset:16380
	s_wait_dscnt 0x0
	v_fmac_f32_e32 v2, v28, v29
.LBB113_550:                            ;   in Loop: Header=BB113_3 Depth=1
	s_or_b32 exec_lo, exec_lo, s34
.LBB113_551:                            ;   in Loop: Header=BB113_3 Depth=1
	s_delay_alu instid0(SALU_CYCLE_1) | instskip(NEXT) | instid1(SALU_CYCLE_1)
	s_or_b32 exec_lo, exec_lo, s65
	s_mov_b32 s34, exec_lo
	v_readlane_b32 s65, v89, 3
	s_and_b32 s65, s34, s65
	s_delay_alu instid0(SALU_CYCLE_1)
	s_mov_b32 exec_lo, s65
	s_cbranch_execz .LBB113_553
; %bb.552:                              ;   in Loop: Header=BB113_3 Depth=1
	ds_load_b32 v28, v3 offset:8060
	s_wait_dscnt 0x0
	v_mul_f32_e32 v2, v2, v28
	s_delay_alu instid0(VALU_DEP_1)
	v_xor_b32_e32 v28, 0x80000000, v2
	ds_store_b32 v52, v28
.LBB113_553:                            ;   in Loop: Header=BB113_3 Depth=1
	s_or_b32 exec_lo, exec_lo, s34
	s_wait_loadcnt_dscnt 0x0
	s_barrier_signal -1
	s_barrier_wait -1
	s_mov_b32 s34, exec_lo
	v_readlane_b32 s65, v89, 4
	s_and_b32 s65, s34, s65
	s_delay_alu instid0(SALU_CYCLE_1)
	s_mov_b32 exec_lo, s65
	s_cbranch_execz .LBB113_555
; %bb.554:                              ;   in Loop: Header=BB113_3 Depth=1
	ds_load_b32 v28, v64 offset:7936
	ds_load_b32 v29, v52
	s_wait_dscnt 0x0
	v_fma_f32 v2, -v28, v29, v2
.LBB113_555:                            ;   in Loop: Header=BB113_3 Depth=1
	s_or_b32 exec_lo, exec_lo, s34
	s_barrier_signal -1
	s_barrier_wait -1
	s_mov_b32 s34, exec_lo
	v_readlane_b32 s65, v89, 5
	s_and_b32 s65, s34, s65
	s_delay_alu instid0(SALU_CYCLE_1)
	s_mov_b32 exec_lo, s65
	s_cbranch_execz .LBB113_557
; %bb.556:                              ;   in Loop: Header=BB113_3 Depth=1
	ds_load_b32 v28, v3 offset:7800
	s_wait_dscnt 0x0
	v_mul_f32_e32 v2, v2, v28
	s_delay_alu instid0(VALU_DEP_1)
	v_xor_b32_e32 v28, 0x80000000, v2
	ds_store_b32 v52, v28
.LBB113_557:                            ;   in Loop: Header=BB113_3 Depth=1
	s_or_b32 exec_lo, exec_lo, s34
	s_wait_dscnt 0x0
	s_barrier_signal -1
	s_barrier_wait -1
	s_mov_b32 s34, exec_lo
	v_readlane_b32 s65, v89, 6
	s_and_b32 s65, s34, s65
	s_delay_alu instid0(SALU_CYCLE_1)
	s_mov_b32 exec_lo, s65
	s_cbranch_execz .LBB113_559
; %bb.558:                              ;   in Loop: Header=BB113_3 Depth=1
	ds_load_b32 v28, v64 offset:7680
	ds_load_b32 v29, v52
	s_wait_dscnt 0x0
	v_fma_f32 v2, -v28, v29, v2
.LBB113_559:                            ;   in Loop: Header=BB113_3 Depth=1
	s_or_b32 exec_lo, exec_lo, s34
	s_barrier_signal -1
	s_barrier_wait -1
	s_mov_b32 s34, exec_lo
	v_readlane_b32 s65, v89, 7
	s_and_b32 s65, s34, s65
	s_delay_alu instid0(SALU_CYCLE_1)
	s_mov_b32 exec_lo, s65
	s_cbranch_execz .LBB113_561
; %bb.560:                              ;   in Loop: Header=BB113_3 Depth=1
	ds_load_b32 v28, v3 offset:7540
	s_wait_dscnt 0x0
	v_mul_f32_e32 v2, v2, v28
	s_delay_alu instid0(VALU_DEP_1)
	v_xor_b32_e32 v28, 0x80000000, v2
	ds_store_b32 v52, v28
.LBB113_561:                            ;   in Loop: Header=BB113_3 Depth=1
	s_or_b32 exec_lo, exec_lo, s34
	s_wait_dscnt 0x0
	;; [unrolled: 33-line block ×30, first 2 shown]
	s_barrier_signal -1
	s_barrier_wait -1
	s_and_saveexec_b32 s34, s11
	s_cbranch_execz .LBB113_675
; %bb.674:                              ;   in Loop: Header=BB113_3 Depth=1
	ds_load_b32 v28, v3 offset:256
	ds_load_b32 v29, v52
	s_wait_dscnt 0x0
	v_fma_f32 v2, -v28, v29, v2
.LBB113_675:                            ;   in Loop: Header=BB113_3 Depth=1
	s_or_b32 exec_lo, exec_lo, s34
	s_barrier_signal -1
	s_barrier_wait -1
	s_and_saveexec_b32 s34, s11
	s_cbranch_execz .LBB113_677
; %bb.676:                              ;   in Loop: Header=BB113_3 Depth=1
	ds_load_b32 v28, v3
	s_wait_dscnt 0x0
	v_mul_f32_e32 v2, v2, v28
	s_delay_alu instid0(VALU_DEP_1)
	v_xor_b32_e32 v28, 0x80000000, v2
	ds_store_b32 v52, v28
.LBB113_677:                            ;   in Loop: Header=BB113_3 Depth=1
	s_or_b32 exec_lo, exec_lo, s34
	s_wait_dscnt 0x0
	s_barrier_signal -1
	s_barrier_wait -1
	s_barrier_signal -1
	s_barrier_wait -1
	s_and_saveexec_b32 s34, s7
; %bb.678:                              ;   in Loop: Header=BB113_3 Depth=1
	ds_store_b32 v65, v2 offset:16128
; %bb.679:                              ;   in Loop: Header=BB113_3 Depth=1
	s_or_b32 exec_lo, exec_lo, s34
	s_wait_dscnt 0x0
	s_barrier_signal -1
	s_barrier_wait -1
	s_barrier_signal -1
	s_barrier_wait -1
	s_mov_b32 s34, exec_lo
	v_readlane_b32 s65, v87, 0
	s_and_b32 s65, s34, s65
	s_delay_alu instid0(SALU_CYCLE_1)
	s_mov_b32 exec_lo, s65
	s_cbranch_execz .LBB113_681
; %bb.680:                              ;   in Loop: Header=BB113_3 Depth=1
	ds_load_b32 v2, v38 offset:8192
	s_wait_dscnt 0x0
	ds_store_b32 v42, v2 offset:128
	ds_load_b32 v2, v38 offset:8196
	s_wait_dscnt 0x0
	ds_store_b32 v42, v2 offset:384
	;; [unrolled: 3-line block ×32, first 2 shown]
.LBB113_681:                            ;   in Loop: Header=BB113_3 Depth=1
	s_or_b32 exec_lo, exec_lo, s34
	s_wait_dscnt 0x0
	s_barrier_signal -1
	s_barrier_wait -1
	s_and_saveexec_b32 s34, s15
	s_cbranch_execz .LBB113_683
; %bb.682:                              ;   in Loop: Header=BB113_3 Depth=1
	ds_load_b64 v[28:29], v3 offset:8056
	ds_load_b32 v2, v3 offset:7800
	s_wait_dscnt 0x0
	v_mul_f32_e32 v2, v2, v29
	s_delay_alu instid0(VALU_DEP_1)
	v_mul_f32_e32 v2, v28, v2
	v_add_nc_u32_e64 v28, 0x1c00, 0
	ds_store_2addr_b32 v28, v2, v2 offset0:159 offset1:222
.LBB113_683:                            ;   in Loop: Header=BB113_3 Depth=1
	s_or_b32 exec_lo, exec_lo, s34
	v_mov_b32_e32 v2, 0
	s_wait_dscnt 0x0
	s_barrier_signal -1
	s_barrier_wait -1
	global_wb scope:SCOPE_DEV
	s_wait_storecnt 0x0
	global_inv scope:SCOPE_DEV
	s_and_saveexec_b32 s34, s2
	s_cbranch_execz .LBB113_687
; %bb.684:                              ;   in Loop: Header=BB113_3 Depth=1
	ds_load_b32 v2, v35 offset:7792
	ds_load_b32 v28, v34 offset:8056
	s_wait_dscnt 0x0
	v_fma_f32 v2, v2, v28, 0
	s_and_saveexec_b32 s65, s16
	s_cbranch_execz .LBB113_686
; %bb.685:                              ;   in Loop: Header=BB113_3 Depth=1
	ds_load_b32 v28, v36 offset:8048
	ds_load_b32 v29, v3 offset:8060
	s_wait_dscnt 0x0
	v_fmac_f32_e32 v2, v28, v29
.LBB113_686:                            ;   in Loop: Header=BB113_3 Depth=1
	s_or_b32 exec_lo, exec_lo, s65
.LBB113_687:                            ;   in Loop: Header=BB113_3 Depth=1
	s_delay_alu instid0(SALU_CYCLE_1)
	s_or_b32 exec_lo, exec_lo, s34
	s_and_saveexec_b32 s34, s89
	s_cbranch_execz .LBB113_689
; %bb.688:                              ;   in Loop: Header=BB113_3 Depth=1
	ds_load_b32 v28, v3 offset:7540
	s_wait_dscnt 0x0
	v_mul_f32_e32 v2, v2, v28
	s_delay_alu instid0(VALU_DEP_1)
	v_xor_b32_e32 v28, 0x80000000, v2
	ds_store_b32 v5, v28
.LBB113_689:                            ;   in Loop: Header=BB113_3 Depth=1
	s_or_b32 exec_lo, exec_lo, s34
	s_wait_loadcnt_dscnt 0x0
	s_barrier_signal -1
	s_barrier_wait -1
	s_and_saveexec_b32 s34, s90
	s_cbranch_execz .LBB113_691
; %bb.690:                              ;   in Loop: Header=BB113_3 Depth=1
	ds_load_b32 v28, v3 offset:7536
	ds_load_b32 v29, v5
	s_wait_dscnt 0x0
	v_fma_f32 v2, -v28, v29, v2
.LBB113_691:                            ;   in Loop: Header=BB113_3 Depth=1
	s_or_b32 exec_lo, exec_lo, s34
	s_barrier_signal -1
	s_barrier_wait -1
	s_and_saveexec_b32 s34, s90
	s_cbranch_execz .LBB113_693
; %bb.692:                              ;   in Loop: Header=BB113_3 Depth=1
	ds_load_b32 v28, v3 offset:7280
	s_wait_dscnt 0x0
	v_mul_f32_e32 v2, v2, v28
	s_delay_alu instid0(VALU_DEP_1)
	v_xor_b32_e32 v28, 0x80000000, v2
	ds_store_b32 v5, v28
.LBB113_693:                            ;   in Loop: Header=BB113_3 Depth=1
	s_or_b32 exec_lo, exec_lo, s34
	s_wait_dscnt 0x0
	s_barrier_signal -1
	s_barrier_wait -1
	s_barrier_signal -1
	s_barrier_wait -1
	s_and_saveexec_b32 s34, s2
; %bb.694:                              ;   in Loop: Header=BB113_3 Depth=1
	ds_store_b32 v37, v2 offset:8048
; %bb.695:                              ;   in Loop: Header=BB113_3 Depth=1
	s_or_b32 exec_lo, exec_lo, s34
	s_wait_dscnt 0x0
	s_barrier_signal -1
	s_barrier_wait -1
	s_barrier_signal -1
	s_barrier_wait -1
	s_and_saveexec_b32 s34, s91
	s_cbranch_execz .LBB113_697
; %bb.696:                              ;   in Loop: Header=BB113_3 Depth=1
	ds_load_b32 v2, v38 offset:7792
	s_wait_dscnt 0x0
	ds_store_b32 v36, v2 offset:7288
	ds_load_b32 v2, v38 offset:7796
	s_wait_dscnt 0x0
	ds_store_b32 v36, v2 offset:7544
.LBB113_697:                            ;   in Loop: Header=BB113_3 Depth=1
	s_or_b32 exec_lo, exec_lo, s34
	s_wait_dscnt 0x0
	s_barrier_signal -1
	s_barrier_wait -1
	s_and_saveexec_b32 s34, s15
	s_cbranch_execz .LBB113_699
; %bb.698:                              ;   in Loop: Header=BB113_3 Depth=1
	ds_load_b64 v[28:29], v3 offset:7536
	ds_load_b32 v2, v3 offset:7280
	s_wait_dscnt 0x0
	v_mul_f32_e32 v2, v2, v29
	s_delay_alu instid0(VALU_DEP_1)
	v_mul_f32_e32 v2, v28, v2
	v_add_nc_u32_e64 v28, 0x1c00, 0
	ds_store_2addr_b32 v28, v2, v2 offset0:29 offset1:92
.LBB113_699:                            ;   in Loop: Header=BB113_3 Depth=1
	s_or_b32 exec_lo, exec_lo, s34
	v_mov_b32_e32 v2, 0
	s_wait_dscnt 0x0
	s_barrier_signal -1
	s_barrier_wait -1
	global_wb scope:SCOPE_DEV
	s_wait_storecnt 0x0
	global_inv scope:SCOPE_DEV
	s_and_saveexec_b32 s34, s4
	s_cbranch_execz .LBB113_705
; %bb.700:                              ;   in Loop: Header=BB113_3 Depth=1
	ds_load_b32 v2, v41 offset:7264
	ds_load_b32 v28, v40 offset:8048
	s_wait_dscnt 0x0
	v_fma_f32 v2, v2, v28, 0
	s_and_saveexec_b32 s65, s17
	s_cbranch_execnz .LBB113_1233
; %bb.701:                              ;   in Loop: Header=BB113_3 Depth=1
	s_or_b32 exec_lo, exec_lo, s65
	s_and_saveexec_b32 s65, s18
	s_cbranch_execnz .LBB113_1234
.LBB113_702:                            ;   in Loop: Header=BB113_3 Depth=1
	s_or_b32 exec_lo, exec_lo, s65
	s_and_saveexec_b32 s65, s2
	s_cbranch_execz .LBB113_704
.LBB113_703:                            ;   in Loop: Header=BB113_3 Depth=1
	ds_load_b32 v28, v42 offset:8032
	ds_load_b32 v29, v3 offset:8060
	s_wait_dscnt 0x0
	v_fmac_f32_e32 v2, v28, v29
.LBB113_704:                            ;   in Loop: Header=BB113_3 Depth=1
	s_or_b32 exec_lo, exec_lo, s65
.LBB113_705:                            ;   in Loop: Header=BB113_3 Depth=1
	s_delay_alu instid0(SALU_CYCLE_1)
	s_or_b32 exec_lo, exec_lo, s34
	s_and_saveexec_b32 s34, s92
	s_cbranch_execz .LBB113_707
; %bb.706:                              ;   in Loop: Header=BB113_3 Depth=1
	ds_load_b32 v28, v3 offset:7020
	s_wait_dscnt 0x0
	v_mul_f32_e32 v2, v2, v28
	s_delay_alu instid0(VALU_DEP_1)
	v_xor_b32_e32 v28, 0x80000000, v2
	ds_store_b32 v39, v28
.LBB113_707:                            ;   in Loop: Header=BB113_3 Depth=1
	s_or_b32 exec_lo, exec_lo, s34
	s_wait_loadcnt_dscnt 0x0
	s_barrier_signal -1
	s_barrier_wait -1
	s_and_saveexec_b32 s34, s93
	s_cbranch_execz .LBB113_709
; %bb.708:                              ;   in Loop: Header=BB113_3 Depth=1
	ds_load_b32 v28, v41 offset:7008
	ds_load_b32 v29, v39
	s_wait_dscnt 0x0
	v_fma_f32 v2, -v28, v29, v2
.LBB113_709:                            ;   in Loop: Header=BB113_3 Depth=1
	s_or_b32 exec_lo, exec_lo, s34
	s_barrier_signal -1
	s_barrier_wait -1
	s_and_saveexec_b32 s34, s94
	s_cbranch_execz .LBB113_711
; %bb.710:                              ;   in Loop: Header=BB113_3 Depth=1
	ds_load_b32 v28, v3 offset:6760
	s_wait_dscnt 0x0
	v_mul_f32_e32 v2, v2, v28
	s_delay_alu instid0(VALU_DEP_1)
	v_xor_b32_e32 v28, 0x80000000, v2
	ds_store_b32 v39, v28
.LBB113_711:                            ;   in Loop: Header=BB113_3 Depth=1
	s_or_b32 exec_lo, exec_lo, s34
	s_wait_dscnt 0x0
	s_barrier_signal -1
	s_barrier_wait -1
	s_and_saveexec_b32 s34, s95
	s_cbranch_execz .LBB113_713
; %bb.712:                              ;   in Loop: Header=BB113_3 Depth=1
	ds_load_b32 v28, v41 offset:6752
	ds_load_b32 v29, v39
	s_wait_dscnt 0x0
	v_fma_f32 v2, -v28, v29, v2
.LBB113_713:                            ;   in Loop: Header=BB113_3 Depth=1
	s_or_b32 exec_lo, exec_lo, s34
	s_barrier_signal -1
	s_barrier_wait -1
	s_and_saveexec_b32 s34, s96
	s_cbranch_execz .LBB113_715
; %bb.714:                              ;   in Loop: Header=BB113_3 Depth=1
	ds_load_b32 v28, v3 offset:6500
	s_wait_dscnt 0x0
	v_mul_f32_e32 v2, v2, v28
	s_delay_alu instid0(VALU_DEP_1)
	v_xor_b32_e32 v28, 0x80000000, v2
	ds_store_b32 v39, v28
.LBB113_715:                            ;   in Loop: Header=BB113_3 Depth=1
	s_or_b32 exec_lo, exec_lo, s34
	s_wait_dscnt 0x0
	;; [unrolled: 25-line block ×3, first 2 shown]
	s_barrier_signal -1
	s_barrier_wait -1
	s_barrier_signal -1
	s_barrier_wait -1
	s_and_saveexec_b32 s34, s4
; %bb.720:                              ;   in Loop: Header=BB113_3 Depth=1
	ds_store_b32 v43, v2 offset:8032
; %bb.721:                              ;   in Loop: Header=BB113_3 Depth=1
	s_or_b32 exec_lo, exec_lo, s34
	s_wait_dscnt 0x0
	s_barrier_signal -1
	s_barrier_wait -1
	s_barrier_signal -1
	s_barrier_wait -1
	s_and_saveexec_b32 s34, s98
	s_cbranch_execz .LBB113_723
; %bb.722:                              ;   in Loop: Header=BB113_3 Depth=1
	ds_load_b32 v2, v7 offset:7264
	s_wait_dscnt 0x0
	ds_store_b32 v53, v2 offset:6256
	ds_load_b32 v2, v7 offset:7268
	s_wait_dscnt 0x0
	ds_store_b32 v53, v2 offset:6512
	;; [unrolled: 3-line block ×4, first 2 shown]
.LBB113_723:                            ;   in Loop: Header=BB113_3 Depth=1
	s_or_b32 exec_lo, exec_lo, s34
	s_wait_dscnt 0x0
	s_barrier_signal -1
	s_barrier_wait -1
	s_and_saveexec_b32 s34, s15
	s_cbranch_execz .LBB113_725
; %bb.724:                              ;   in Loop: Header=BB113_3 Depth=1
	ds_load_b64 v[28:29], v3 offset:7016
	ds_load_b32 v2, v3 offset:6760
	s_wait_dscnt 0x0
	v_mul_f32_e32 v2, v2, v29
	s_delay_alu instid0(VALU_DEP_1)
	v_mul_f32_e32 v2, v28, v2
	v_add_nc_u32_e64 v28, 0x1800, 0
	ds_store_2addr_b32 v28, v2, v2 offset0:155 offset1:218
.LBB113_725:                            ;   in Loop: Header=BB113_3 Depth=1
	s_or_b32 exec_lo, exec_lo, s34
	v_mov_b32_e32 v2, 0
	s_wait_dscnt 0x0
	s_barrier_signal -1
	s_barrier_wait -1
	global_wb scope:SCOPE_DEV
	s_wait_storecnt 0x0
	global_inv scope:SCOPE_DEV
	s_and_saveexec_b32 s34, s2
	s_cbranch_execz .LBB113_729
; %bb.726:                              ;   in Loop: Header=BB113_3 Depth=1
	ds_load_b32 v2, v35 offset:6752
	ds_load_b32 v28, v34 offset:7016
	s_wait_dscnt 0x0
	v_fma_f32 v2, v2, v28, 0
	s_and_saveexec_b32 s65, s16
	s_cbranch_execz .LBB113_728
; %bb.727:                              ;   in Loop: Header=BB113_3 Depth=1
	ds_load_b32 v28, v53 offset:7008
	ds_load_b32 v29, v3 offset:7020
	s_wait_dscnt 0x0
	v_fmac_f32_e32 v2, v28, v29
.LBB113_728:                            ;   in Loop: Header=BB113_3 Depth=1
	s_or_b32 exec_lo, exec_lo, s65
.LBB113_729:                            ;   in Loop: Header=BB113_3 Depth=1
	s_delay_alu instid0(SALU_CYCLE_1)
	s_or_b32 exec_lo, exec_lo, s34
	s_and_saveexec_b32 s34, s89
	s_cbranch_execz .LBB113_731
; %bb.730:                              ;   in Loop: Header=BB113_3 Depth=1
	ds_load_b32 v28, v3 offset:6500
	s_wait_dscnt 0x0
	v_mul_f32_e32 v2, v2, v28
	s_delay_alu instid0(VALU_DEP_1)
	v_xor_b32_e32 v28, 0x80000000, v2
	ds_store_b32 v5, v28
.LBB113_731:                            ;   in Loop: Header=BB113_3 Depth=1
	s_or_b32 exec_lo, exec_lo, s34
	s_wait_loadcnt_dscnt 0x0
	s_barrier_signal -1
	s_barrier_wait -1
	s_and_saveexec_b32 s34, s90
	s_cbranch_execz .LBB113_733
; %bb.732:                              ;   in Loop: Header=BB113_3 Depth=1
	ds_load_b32 v28, v3 offset:6496
	ds_load_b32 v29, v5
	s_wait_dscnt 0x0
	v_fma_f32 v2, -v28, v29, v2
.LBB113_733:                            ;   in Loop: Header=BB113_3 Depth=1
	s_or_b32 exec_lo, exec_lo, s34
	s_barrier_signal -1
	s_barrier_wait -1
	s_and_saveexec_b32 s34, s90
	s_cbranch_execz .LBB113_735
; %bb.734:                              ;   in Loop: Header=BB113_3 Depth=1
	ds_load_b32 v28, v3 offset:6240
	s_wait_dscnt 0x0
	v_mul_f32_e32 v2, v2, v28
	s_delay_alu instid0(VALU_DEP_1)
	v_xor_b32_e32 v28, 0x80000000, v2
	ds_store_b32 v5, v28
.LBB113_735:                            ;   in Loop: Header=BB113_3 Depth=1
	s_or_b32 exec_lo, exec_lo, s34
	s_wait_dscnt 0x0
	s_barrier_signal -1
	s_barrier_wait -1
	s_barrier_signal -1
	s_barrier_wait -1
	s_and_saveexec_b32 s34, s2
; %bb.736:                              ;   in Loop: Header=BB113_3 Depth=1
	ds_store_b32 v37, v2 offset:7008
; %bb.737:                              ;   in Loop: Header=BB113_3 Depth=1
	s_or_b32 exec_lo, exec_lo, s34
	s_wait_dscnt 0x0
	s_barrier_signal -1
	s_barrier_wait -1
	s_barrier_signal -1
	s_barrier_wait -1
	s_and_saveexec_b32 s34, s91
	s_cbranch_execz .LBB113_739
; %bb.738:                              ;   in Loop: Header=BB113_3 Depth=1
	ds_load_b32 v2, v54 offset:6752
	s_wait_dscnt 0x0
	ds_store_b32 v53, v2 offset:6248
	ds_load_b32 v2, v54 offset:6756
	s_wait_dscnt 0x0
	ds_store_b32 v53, v2 offset:6504
.LBB113_739:                            ;   in Loop: Header=BB113_3 Depth=1
	s_or_b32 exec_lo, exec_lo, s34
	s_wait_dscnt 0x0
	s_barrier_signal -1
	s_barrier_wait -1
	s_and_saveexec_b32 s34, s15
	s_cbranch_execz .LBB113_741
; %bb.740:                              ;   in Loop: Header=BB113_3 Depth=1
	ds_load_b64 v[28:29], v3 offset:6496
	ds_load_b32 v2, v3 offset:6240
	s_wait_dscnt 0x0
	v_mul_f32_e32 v2, v2, v29
	s_delay_alu instid0(VALU_DEP_1)
	v_mul_f32_e32 v2, v28, v2
	v_add_nc_u32_e64 v28, 0x1800, 0
	ds_store_2addr_b32 v28, v2, v2 offset0:25 offset1:88
.LBB113_741:                            ;   in Loop: Header=BB113_3 Depth=1
	s_or_b32 exec_lo, exec_lo, s34
	v_mov_b32_e32 v2, 0
	s_wait_dscnt 0x0
	s_barrier_signal -1
	s_barrier_wait -1
	global_wb scope:SCOPE_DEV
	s_wait_storecnt 0x0
	global_inv scope:SCOPE_DEV
	s_and_saveexec_b32 s34, s5
	s_cbranch_execz .LBB113_751
; %bb.742:                              ;   in Loop: Header=BB113_3 Depth=1
	ds_load_b32 v2, v46 offset:6208
	ds_load_b32 v28, v45 offset:8032
	s_wait_dscnt 0x0
	v_fma_f32 v2, v2, v28, 0
	s_and_saveexec_b32 s65, s19
	s_cbranch_execnz .LBB113_1235
; %bb.743:                              ;   in Loop: Header=BB113_3 Depth=1
	s_or_b32 exec_lo, exec_lo, s65
	s_and_saveexec_b32 s65, s20
	s_cbranch_execnz .LBB113_1236
.LBB113_744:                            ;   in Loop: Header=BB113_3 Depth=1
	s_or_b32 exec_lo, exec_lo, s65
	s_and_saveexec_b32 s65, s21
	s_cbranch_execnz .LBB113_1237
.LBB113_745:                            ;   in Loop: Header=BB113_3 Depth=1
	s_or_b32 exec_lo, exec_lo, s65
	s_and_saveexec_b32 s65, s22
	s_cbranch_execnz .LBB113_1238
.LBB113_746:                            ;   in Loop: Header=BB113_3 Depth=1
	s_or_b32 exec_lo, exec_lo, s65
	s_and_saveexec_b32 s65, s23
	s_cbranch_execnz .LBB113_1239
.LBB113_747:                            ;   in Loop: Header=BB113_3 Depth=1
	s_or_b32 exec_lo, exec_lo, s65
	s_and_saveexec_b32 s65, s4
	s_cbranch_execnz .LBB113_1240
.LBB113_748:                            ;   in Loop: Header=BB113_3 Depth=1
	s_or_b32 exec_lo, exec_lo, s65
	s_and_saveexec_b32 s65, s18
	s_cbranch_execz .LBB113_750
.LBB113_749:                            ;   in Loop: Header=BB113_3 Depth=1
	ds_load_b32 v28, v55 offset:8000
	ds_load_b32 v29, v3 offset:8060
	s_wait_dscnt 0x0
	v_fmac_f32_e32 v2, v28, v29
.LBB113_750:                            ;   in Loop: Header=BB113_3 Depth=1
	s_or_b32 exec_lo, exec_lo, s65
.LBB113_751:                            ;   in Loop: Header=BB113_3 Depth=1
	s_delay_alu instid0(SALU_CYCLE_1)
	s_or_b32 exec_lo, exec_lo, s34
	s_and_saveexec_b32 s34, s99
	s_cbranch_execz .LBB113_753
; %bb.752:                              ;   in Loop: Header=BB113_3 Depth=1
	ds_load_b32 v28, v3 offset:5980
	s_wait_dscnt 0x0
	v_mul_f32_e32 v2, v2, v28
	s_delay_alu instid0(VALU_DEP_1)
	v_xor_b32_e32 v28, 0x80000000, v2
	ds_store_b32 v44, v28
.LBB113_753:                            ;   in Loop: Header=BB113_3 Depth=1
	s_or_b32 exec_lo, exec_lo, s34
	s_wait_loadcnt_dscnt 0x0
	s_barrier_signal -1
	s_barrier_wait -1
	s_and_saveexec_b32 s34, s100
	s_cbranch_execz .LBB113_755
; %bb.754:                              ;   in Loop: Header=BB113_3 Depth=1
	ds_load_b32 v28, v46 offset:5952
	ds_load_b32 v29, v44
	s_wait_dscnt 0x0
	v_fma_f32 v2, -v28, v29, v2
.LBB113_755:                            ;   in Loop: Header=BB113_3 Depth=1
	s_or_b32 exec_lo, exec_lo, s34
	s_barrier_signal -1
	s_barrier_wait -1
	s_and_saveexec_b32 s34, s101
	s_cbranch_execz .LBB113_757
; %bb.756:                              ;   in Loop: Header=BB113_3 Depth=1
	ds_load_b32 v28, v3 offset:5720
	s_wait_dscnt 0x0
	v_mul_f32_e32 v2, v2, v28
	s_delay_alu instid0(VALU_DEP_1)
	v_xor_b32_e32 v28, 0x80000000, v2
	ds_store_b32 v44, v28
.LBB113_757:                            ;   in Loop: Header=BB113_3 Depth=1
	s_or_b32 exec_lo, exec_lo, s34
	s_wait_dscnt 0x0
	s_barrier_signal -1
	s_barrier_wait -1
	s_and_saveexec_b32 s34, s102
	s_cbranch_execz .LBB113_759
; %bb.758:                              ;   in Loop: Header=BB113_3 Depth=1
	ds_load_b32 v28, v46 offset:5696
	ds_load_b32 v29, v44
	s_wait_dscnt 0x0
	v_fma_f32 v2, -v28, v29, v2
.LBB113_759:                            ;   in Loop: Header=BB113_3 Depth=1
	s_or_b32 exec_lo, exec_lo, s34
	s_barrier_signal -1
	s_barrier_wait -1
	s_and_saveexec_b32 s34, s103
	s_cbranch_execz .LBB113_761
; %bb.760:                              ;   in Loop: Header=BB113_3 Depth=1
	ds_load_b32 v28, v3 offset:5460
	s_wait_dscnt 0x0
	v_mul_f32_e32 v2, v2, v28
	s_delay_alu instid0(VALU_DEP_1)
	v_xor_b32_e32 v28, 0x80000000, v2
	ds_store_b32 v44, v28
.LBB113_761:                            ;   in Loop: Header=BB113_3 Depth=1
	s_or_b32 exec_lo, exec_lo, s34
	s_wait_dscnt 0x0
	s_barrier_signal -1
	s_barrier_wait -1
	s_and_saveexec_b32 s34, s104
	s_cbranch_execz .LBB113_763
; %bb.762:                              ;   in Loop: Header=BB113_3 Depth=1
	ds_load_b32 v28, v46 offset:5440
	ds_load_b32 v29, v44
	s_wait_dscnt 0x0
	v_fma_f32 v2, -v28, v29, v2
.LBB113_763:                            ;   in Loop: Header=BB113_3 Depth=1
	s_or_b32 exec_lo, exec_lo, s34
	s_barrier_signal -1
	s_barrier_wait -1
	s_and_saveexec_b32 s34, vcc_hi
	s_cbranch_execz .LBB113_765
; %bb.764:                              ;   in Loop: Header=BB113_3 Depth=1
	ds_load_b32 v28, v3 offset:5200
	s_wait_dscnt 0x0
	v_mul_f32_e32 v2, v2, v28
	s_delay_alu instid0(VALU_DEP_1)
	v_xor_b32_e32 v28, 0x80000000, v2
	ds_store_b32 v44, v28
.LBB113_765:                            ;   in Loop: Header=BB113_3 Depth=1
	s_or_b32 exec_lo, exec_lo, s34
	s_wait_dscnt 0x0
	s_barrier_signal -1
	s_barrier_wait -1
	s_and_saveexec_b32 s34, s36
	s_cbranch_execz .LBB113_767
; %bb.766:                              ;   in Loop: Header=BB113_3 Depth=1
	ds_load_b32 v28, v46 offset:5184
	ds_load_b32 v29, v44
	s_wait_dscnt 0x0
	v_fma_f32 v2, -v28, v29, v2
.LBB113_767:                            ;   in Loop: Header=BB113_3 Depth=1
	s_or_b32 exec_lo, exec_lo, s34
	s_barrier_signal -1
	s_barrier_wait -1
	s_and_saveexec_b32 s34, s37
	s_cbranch_execz .LBB113_769
; %bb.768:                              ;   in Loop: Header=BB113_3 Depth=1
	ds_load_b32 v28, v3 offset:4940
	s_wait_dscnt 0x0
	v_mul_f32_e32 v2, v2, v28
	s_delay_alu instid0(VALU_DEP_1)
	v_xor_b32_e32 v28, 0x80000000, v2
	ds_store_b32 v44, v28
.LBB113_769:                            ;   in Loop: Header=BB113_3 Depth=1
	s_or_b32 exec_lo, exec_lo, s34
	s_wait_dscnt 0x0
	s_barrier_signal -1
	s_barrier_wait -1
	s_and_saveexec_b32 s34, s38
	s_cbranch_execz .LBB113_771
; %bb.770:                              ;   in Loop: Header=BB113_3 Depth=1
	ds_load_b32 v28, v46 offset:4928
	ds_load_b32 v29, v44
	s_wait_dscnt 0x0
	v_fma_f32 v2, -v28, v29, v2
.LBB113_771:                            ;   in Loop: Header=BB113_3 Depth=1
	s_or_b32 exec_lo, exec_lo, s34
	s_barrier_signal -1
	s_barrier_wait -1
	s_and_saveexec_b32 s34, s39
	;; [unrolled: 25-line block ×4, first 2 shown]
	s_cbranch_execz .LBB113_781
; %bb.780:                              ;   in Loop: Header=BB113_3 Depth=1
	ds_load_b32 v28, v3 offset:4160
	s_wait_dscnt 0x0
	v_mul_f32_e32 v2, v2, v28
	s_delay_alu instid0(VALU_DEP_1)
	v_xor_b32_e32 v28, 0x80000000, v2
	ds_store_b32 v44, v28
.LBB113_781:                            ;   in Loop: Header=BB113_3 Depth=1
	s_or_b32 exec_lo, exec_lo, s34
	s_wait_dscnt 0x0
	s_barrier_signal -1
	s_barrier_wait -1
	s_barrier_signal -1
	s_barrier_wait -1
	s_and_saveexec_b32 s34, s5
; %bb.782:                              ;   in Loop: Header=BB113_3 Depth=1
	ds_store_b32 v47, v2 offset:8000
; %bb.783:                              ;   in Loop: Header=BB113_3 Depth=1
	s_or_b32 exec_lo, exec_lo, s34
	s_wait_dscnt 0x0
	s_barrier_signal -1
	s_barrier_wait -1
	s_barrier_signal -1
	s_barrier_wait -1
	s_and_saveexec_b32 s34, s43
	s_cbranch_execz .LBB113_785
; %bb.784:                              ;   in Loop: Header=BB113_3 Depth=1
	ds_load_b32 v2, v56 offset:6208
	s_wait_dscnt 0x0
	ds_store_b32 v57, v2 offset:4192
	ds_load_b32 v2, v56 offset:6212
	s_wait_dscnt 0x0
	ds_store_b32 v57, v2 offset:4448
	ds_load_b32 v2, v56 offset:6216
	s_wait_dscnt 0x0
	ds_store_b32 v57, v2 offset:4704
	ds_load_b32 v2, v56 offset:6220
	s_wait_dscnt 0x0
	ds_store_b32 v57, v2 offset:4960
	ds_load_b32 v2, v56 offset:6224
	s_wait_dscnt 0x0
	ds_store_b32 v57, v2 offset:5216
	ds_load_b32 v2, v56 offset:6228
	s_wait_dscnt 0x0
	ds_store_b32 v57, v2 offset:5472
	ds_load_b32 v2, v56 offset:6232
	s_wait_dscnt 0x0
	ds_store_b32 v57, v2 offset:5728
	ds_load_b32 v2, v56 offset:6236
	s_wait_dscnt 0x0
	ds_store_b32 v57, v2 offset:5984
.LBB113_785:                            ;   in Loop: Header=BB113_3 Depth=1
	s_or_b32 exec_lo, exec_lo, s34
	s_wait_dscnt 0x0
	s_barrier_signal -1
	s_barrier_wait -1
	s_and_saveexec_b32 s34, s15
	s_cbranch_execz .LBB113_787
; %bb.786:                              ;   in Loop: Header=BB113_3 Depth=1
	ds_load_b64 v[28:29], v3 offset:5976
	ds_load_b32 v2, v3 offset:5720
	s_wait_dscnt 0x0
	v_mul_f32_e32 v2, v2, v29
	s_delay_alu instid0(VALU_DEP_1)
	v_mul_f32_e32 v2, v28, v2
	v_add_nc_u32_e64 v28, 0x1400, 0
	ds_store_2addr_b32 v28, v2, v2 offset0:151 offset1:214
.LBB113_787:                            ;   in Loop: Header=BB113_3 Depth=1
	s_or_b32 exec_lo, exec_lo, s34
	v_mov_b32_e32 v2, 0
	s_wait_dscnt 0x0
	s_barrier_signal -1
	s_barrier_wait -1
	global_wb scope:SCOPE_DEV
	s_wait_storecnt 0x0
	global_inv scope:SCOPE_DEV
	s_and_saveexec_b32 s34, s2
	s_cbranch_execz .LBB113_791
; %bb.788:                              ;   in Loop: Header=BB113_3 Depth=1
	ds_load_b32 v2, v35 offset:5712
	ds_load_b32 v28, v34 offset:5976
	s_wait_dscnt 0x0
	v_fma_f32 v2, v2, v28, 0
	s_and_saveexec_b32 s65, s16
	s_cbranch_execz .LBB113_790
; %bb.789:                              ;   in Loop: Header=BB113_3 Depth=1
	ds_load_b32 v28, v57 offset:5968
	ds_load_b32 v29, v3 offset:5980
	s_wait_dscnt 0x0
	v_fmac_f32_e32 v2, v28, v29
.LBB113_790:                            ;   in Loop: Header=BB113_3 Depth=1
	s_or_b32 exec_lo, exec_lo, s65
.LBB113_791:                            ;   in Loop: Header=BB113_3 Depth=1
	s_delay_alu instid0(SALU_CYCLE_1)
	s_or_b32 exec_lo, exec_lo, s34
	s_and_saveexec_b32 s34, s89
	s_cbranch_execz .LBB113_793
; %bb.792:                              ;   in Loop: Header=BB113_3 Depth=1
	ds_load_b32 v28, v3 offset:5460
	s_wait_dscnt 0x0
	v_mul_f32_e32 v2, v2, v28
	s_delay_alu instid0(VALU_DEP_1)
	v_xor_b32_e32 v28, 0x80000000, v2
	ds_store_b32 v5, v28
.LBB113_793:                            ;   in Loop: Header=BB113_3 Depth=1
	s_or_b32 exec_lo, exec_lo, s34
	s_wait_loadcnt_dscnt 0x0
	s_barrier_signal -1
	s_barrier_wait -1
	s_and_saveexec_b32 s34, s90
	s_cbranch_execz .LBB113_795
; %bb.794:                              ;   in Loop: Header=BB113_3 Depth=1
	ds_load_b32 v28, v3 offset:5456
	ds_load_b32 v29, v5
	s_wait_dscnt 0x0
	v_fma_f32 v2, -v28, v29, v2
.LBB113_795:                            ;   in Loop: Header=BB113_3 Depth=1
	s_or_b32 exec_lo, exec_lo, s34
	s_barrier_signal -1
	s_barrier_wait -1
	s_and_saveexec_b32 s34, s90
	s_cbranch_execz .LBB113_797
; %bb.796:                              ;   in Loop: Header=BB113_3 Depth=1
	ds_load_b32 v28, v3 offset:5200
	s_wait_dscnt 0x0
	v_mul_f32_e32 v2, v2, v28
	s_delay_alu instid0(VALU_DEP_1)
	v_xor_b32_e32 v28, 0x80000000, v2
	ds_store_b32 v5, v28
.LBB113_797:                            ;   in Loop: Header=BB113_3 Depth=1
	s_or_b32 exec_lo, exec_lo, s34
	s_wait_dscnt 0x0
	s_barrier_signal -1
	s_barrier_wait -1
	s_barrier_signal -1
	s_barrier_wait -1
	s_and_saveexec_b32 s34, s2
; %bb.798:                              ;   in Loop: Header=BB113_3 Depth=1
	ds_store_b32 v37, v2 offset:5968
; %bb.799:                              ;   in Loop: Header=BB113_3 Depth=1
	s_or_b32 exec_lo, exec_lo, s34
	s_wait_dscnt 0x0
	s_barrier_signal -1
	s_barrier_wait -1
	s_barrier_signal -1
	s_barrier_wait -1
	s_and_saveexec_b32 s34, s91
	s_cbranch_execz .LBB113_801
; %bb.800:                              ;   in Loop: Header=BB113_3 Depth=1
	ds_load_b32 v2, v58 offset:5712
	s_wait_dscnt 0x0
	ds_store_b32 v57, v2 offset:5208
	ds_load_b32 v2, v58 offset:5716
	s_wait_dscnt 0x0
	ds_store_b32 v57, v2 offset:5464
.LBB113_801:                            ;   in Loop: Header=BB113_3 Depth=1
	s_or_b32 exec_lo, exec_lo, s34
	s_wait_dscnt 0x0
	s_barrier_signal -1
	s_barrier_wait -1
	s_and_saveexec_b32 s34, s15
	s_cbranch_execz .LBB113_803
; %bb.802:                              ;   in Loop: Header=BB113_3 Depth=1
	ds_load_b64 v[28:29], v3 offset:5456
	ds_load_b32 v2, v3 offset:5200
	s_wait_dscnt 0x0
	v_mul_f32_e32 v2, v2, v29
	s_delay_alu instid0(VALU_DEP_1)
	v_mul_f32_e32 v2, v28, v2
	v_add_nc_u32_e64 v28, 0x1400, 0
	ds_store_2addr_b32 v28, v2, v2 offset0:21 offset1:84
.LBB113_803:                            ;   in Loop: Header=BB113_3 Depth=1
	s_or_b32 exec_lo, exec_lo, s34
	v_mov_b32_e32 v2, 0
	s_wait_dscnt 0x0
	s_barrier_signal -1
	s_barrier_wait -1
	global_wb scope:SCOPE_DEV
	s_wait_storecnt 0x0
	global_inv scope:SCOPE_DEV
	s_and_saveexec_b32 s34, s4
	s_cbranch_execz .LBB113_809
; %bb.804:                              ;   in Loop: Header=BB113_3 Depth=1
	ds_load_b32 v2, v41 offset:5184
	ds_load_b32 v28, v40 offset:5968
	s_wait_dscnt 0x0
	v_fma_f32 v2, v2, v28, 0
	s_and_saveexec_b32 s65, s17
	s_cbranch_execnz .LBB113_1241
; %bb.805:                              ;   in Loop: Header=BB113_3 Depth=1
	s_or_b32 exec_lo, exec_lo, s65
	s_and_saveexec_b32 s65, s18
	s_cbranch_execnz .LBB113_1242
.LBB113_806:                            ;   in Loop: Header=BB113_3 Depth=1
	s_or_b32 exec_lo, exec_lo, s65
	s_and_saveexec_b32 s65, s2
	s_cbranch_execz .LBB113_808
.LBB113_807:                            ;   in Loop: Header=BB113_3 Depth=1
	ds_load_b32 v28, v59 offset:5952
	ds_load_b32 v29, v3 offset:5980
	s_wait_dscnt 0x0
	v_fmac_f32_e32 v2, v28, v29
.LBB113_808:                            ;   in Loop: Header=BB113_3 Depth=1
	s_or_b32 exec_lo, exec_lo, s65
.LBB113_809:                            ;   in Loop: Header=BB113_3 Depth=1
	s_delay_alu instid0(SALU_CYCLE_1)
	s_or_b32 exec_lo, exec_lo, s34
	s_and_saveexec_b32 s34, s92
	s_cbranch_execz .LBB113_811
; %bb.810:                              ;   in Loop: Header=BB113_3 Depth=1
	ds_load_b32 v28, v3 offset:4940
	s_wait_dscnt 0x0
	v_mul_f32_e32 v2, v2, v28
	s_delay_alu instid0(VALU_DEP_1)
	v_xor_b32_e32 v28, 0x80000000, v2
	ds_store_b32 v39, v28
.LBB113_811:                            ;   in Loop: Header=BB113_3 Depth=1
	s_or_b32 exec_lo, exec_lo, s34
	s_wait_loadcnt_dscnt 0x0
	s_barrier_signal -1
	s_barrier_wait -1
	s_and_saveexec_b32 s34, s93
	s_cbranch_execz .LBB113_813
; %bb.812:                              ;   in Loop: Header=BB113_3 Depth=1
	ds_load_b32 v28, v41 offset:4928
	ds_load_b32 v29, v39
	s_wait_dscnt 0x0
	v_fma_f32 v2, -v28, v29, v2
.LBB113_813:                            ;   in Loop: Header=BB113_3 Depth=1
	s_or_b32 exec_lo, exec_lo, s34
	s_barrier_signal -1
	s_barrier_wait -1
	s_and_saveexec_b32 s34, s94
	s_cbranch_execz .LBB113_815
; %bb.814:                              ;   in Loop: Header=BB113_3 Depth=1
	ds_load_b32 v28, v3 offset:4680
	s_wait_dscnt 0x0
	v_mul_f32_e32 v2, v2, v28
	s_delay_alu instid0(VALU_DEP_1)
	v_xor_b32_e32 v28, 0x80000000, v2
	ds_store_b32 v39, v28
.LBB113_815:                            ;   in Loop: Header=BB113_3 Depth=1
	s_or_b32 exec_lo, exec_lo, s34
	s_wait_dscnt 0x0
	s_barrier_signal -1
	s_barrier_wait -1
	s_and_saveexec_b32 s34, s95
	s_cbranch_execz .LBB113_817
; %bb.816:                              ;   in Loop: Header=BB113_3 Depth=1
	ds_load_b32 v28, v41 offset:4672
	ds_load_b32 v29, v39
	s_wait_dscnt 0x0
	v_fma_f32 v2, -v28, v29, v2
.LBB113_817:                            ;   in Loop: Header=BB113_3 Depth=1
	s_or_b32 exec_lo, exec_lo, s34
	s_barrier_signal -1
	s_barrier_wait -1
	s_and_saveexec_b32 s34, s96
	s_cbranch_execz .LBB113_819
; %bb.818:                              ;   in Loop: Header=BB113_3 Depth=1
	ds_load_b32 v28, v3 offset:4420
	s_wait_dscnt 0x0
	v_mul_f32_e32 v2, v2, v28
	s_delay_alu instid0(VALU_DEP_1)
	v_xor_b32_e32 v28, 0x80000000, v2
	ds_store_b32 v39, v28
.LBB113_819:                            ;   in Loop: Header=BB113_3 Depth=1
	s_or_b32 exec_lo, exec_lo, s34
	s_wait_dscnt 0x0
	;; [unrolled: 25-line block ×3, first 2 shown]
	s_barrier_signal -1
	s_barrier_wait -1
	s_barrier_signal -1
	s_barrier_wait -1
	s_and_saveexec_b32 s34, s4
; %bb.824:                              ;   in Loop: Header=BB113_3 Depth=1
	ds_store_b32 v43, v2 offset:5952
; %bb.825:                              ;   in Loop: Header=BB113_3 Depth=1
	s_or_b32 exec_lo, exec_lo, s34
	s_wait_dscnt 0x0
	s_barrier_signal -1
	s_barrier_wait -1
	s_barrier_signal -1
	s_barrier_wait -1
	s_and_saveexec_b32 s34, s98
	s_cbranch_execz .LBB113_827
; %bb.826:                              ;   in Loop: Header=BB113_3 Depth=1
	ds_load_b32 v2, v60 offset:5184
	s_wait_dscnt 0x0
	ds_store_b32 v61, v2 offset:4176
	ds_load_b32 v2, v60 offset:5188
	s_wait_dscnt 0x0
	ds_store_b32 v61, v2 offset:4432
	;; [unrolled: 3-line block ×4, first 2 shown]
.LBB113_827:                            ;   in Loop: Header=BB113_3 Depth=1
	s_or_b32 exec_lo, exec_lo, s34
	s_wait_dscnt 0x0
	s_barrier_signal -1
	s_barrier_wait -1
	s_and_saveexec_b32 s34, s15
	s_cbranch_execz .LBB113_829
; %bb.828:                              ;   in Loop: Header=BB113_3 Depth=1
	ds_load_b64 v[28:29], v3 offset:4936
	ds_load_b32 v2, v3 offset:4680
	s_wait_dscnt 0x0
	v_mul_f32_e32 v2, v2, v29
	s_delay_alu instid0(VALU_DEP_1)
	v_mul_f32_e32 v2, v28, v2
	v_add_nc_u32_e64 v28, 0x1000, 0
	ds_store_2addr_b32 v28, v2, v2 offset0:147 offset1:210
.LBB113_829:                            ;   in Loop: Header=BB113_3 Depth=1
	s_or_b32 exec_lo, exec_lo, s34
	v_mov_b32_e32 v2, 0
	s_wait_dscnt 0x0
	s_barrier_signal -1
	s_barrier_wait -1
	global_wb scope:SCOPE_DEV
	s_wait_storecnt 0x0
	global_inv scope:SCOPE_DEV
	s_and_saveexec_b32 s34, s2
	s_cbranch_execz .LBB113_833
; %bb.830:                              ;   in Loop: Header=BB113_3 Depth=1
	ds_load_b32 v2, v35 offset:4672
	ds_load_b32 v28, v34 offset:4936
	s_wait_dscnt 0x0
	v_fma_f32 v2, v2, v28, 0
	s_and_saveexec_b32 s65, s16
	s_cbranch_execz .LBB113_832
; %bb.831:                              ;   in Loop: Header=BB113_3 Depth=1
	ds_load_b32 v28, v61 offset:4928
	ds_load_b32 v29, v3 offset:4940
	s_wait_dscnt 0x0
	v_fmac_f32_e32 v2, v28, v29
.LBB113_832:                            ;   in Loop: Header=BB113_3 Depth=1
	s_or_b32 exec_lo, exec_lo, s65
.LBB113_833:                            ;   in Loop: Header=BB113_3 Depth=1
	s_delay_alu instid0(SALU_CYCLE_1)
	s_or_b32 exec_lo, exec_lo, s34
	s_and_saveexec_b32 s34, s89
	s_cbranch_execz .LBB113_835
; %bb.834:                              ;   in Loop: Header=BB113_3 Depth=1
	ds_load_b32 v28, v3 offset:4420
	s_wait_dscnt 0x0
	v_mul_f32_e32 v2, v2, v28
	s_delay_alu instid0(VALU_DEP_1)
	v_xor_b32_e32 v28, 0x80000000, v2
	ds_store_b32 v5, v28
.LBB113_835:                            ;   in Loop: Header=BB113_3 Depth=1
	s_or_b32 exec_lo, exec_lo, s34
	s_wait_loadcnt_dscnt 0x0
	s_barrier_signal -1
	s_barrier_wait -1
	s_and_saveexec_b32 s34, s90
	s_cbranch_execz .LBB113_837
; %bb.836:                              ;   in Loop: Header=BB113_3 Depth=1
	ds_load_b32 v28, v3 offset:4416
	ds_load_b32 v29, v5
	s_wait_dscnt 0x0
	v_fma_f32 v2, -v28, v29, v2
.LBB113_837:                            ;   in Loop: Header=BB113_3 Depth=1
	s_or_b32 exec_lo, exec_lo, s34
	s_barrier_signal -1
	s_barrier_wait -1
	s_and_saveexec_b32 s34, s90
	s_cbranch_execz .LBB113_839
; %bb.838:                              ;   in Loop: Header=BB113_3 Depth=1
	ds_load_b32 v28, v3 offset:4160
	s_wait_dscnt 0x0
	v_mul_f32_e32 v2, v2, v28
	s_delay_alu instid0(VALU_DEP_1)
	v_xor_b32_e32 v28, 0x80000000, v2
	ds_store_b32 v5, v28
.LBB113_839:                            ;   in Loop: Header=BB113_3 Depth=1
	s_or_b32 exec_lo, exec_lo, s34
	s_wait_dscnt 0x0
	s_barrier_signal -1
	s_barrier_wait -1
	s_barrier_signal -1
	s_barrier_wait -1
	s_and_saveexec_b32 s34, s2
; %bb.840:                              ;   in Loop: Header=BB113_3 Depth=1
	ds_store_b32 v37, v2 offset:4928
; %bb.841:                              ;   in Loop: Header=BB113_3 Depth=1
	s_or_b32 exec_lo, exec_lo, s34
	s_wait_dscnt 0x0
	s_barrier_signal -1
	s_barrier_wait -1
	s_barrier_signal -1
	s_barrier_wait -1
	s_and_saveexec_b32 s34, s91
	s_cbranch_execz .LBB113_843
; %bb.842:                              ;   in Loop: Header=BB113_3 Depth=1
	ds_load_b32 v2, v62 offset:4672
	s_wait_dscnt 0x0
	ds_store_b32 v61, v2 offset:4168
	ds_load_b32 v2, v62 offset:4676
	s_wait_dscnt 0x0
	ds_store_b32 v61, v2 offset:4424
.LBB113_843:                            ;   in Loop: Header=BB113_3 Depth=1
	s_or_b32 exec_lo, exec_lo, s34
	s_wait_dscnt 0x0
	s_barrier_signal -1
	s_barrier_wait -1
	s_and_saveexec_b32 s34, s15
	s_cbranch_execz .LBB113_845
; %bb.844:                              ;   in Loop: Header=BB113_3 Depth=1
	ds_load_b64 v[28:29], v3 offset:4416
	ds_load_b32 v2, v3 offset:4160
	s_wait_dscnt 0x0
	v_mul_f32_e32 v2, v2, v29
	s_delay_alu instid0(VALU_DEP_1)
	v_mul_f32_e32 v2, v28, v2
	v_add_nc_u32_e64 v28, 0x1000, 0
	ds_store_2addr_b32 v28, v2, v2 offset0:17 offset1:80
.LBB113_845:                            ;   in Loop: Header=BB113_3 Depth=1
	s_or_b32 exec_lo, exec_lo, s34
	v_mov_b32_e32 v2, 0
	s_wait_dscnt 0x0
	s_barrier_signal -1
	s_barrier_wait -1
	global_wb scope:SCOPE_DEV
	s_wait_storecnt 0x0
	global_inv scope:SCOPE_DEV
	s_and_saveexec_b32 s65, s6
	s_cbranch_execz .LBB113_873
; %bb.846:                              ;   in Loop: Header=BB113_3 Depth=1
	ds_load_b32 v2, v50 offset:4096
	ds_load_b32 v28, v49 offset:8000
	s_wait_dscnt 0x0
	v_fma_f32 v2, v2, v28, 0
	s_mov_b32 s34, exec_lo
	v_readlane_b32 s80, v87, 19
	s_and_b32 s80, s34, s80
	s_delay_alu instid0(SALU_CYCLE_1)
	s_mov_b32 exec_lo, s80
	s_cbranch_execz .LBB113_848
; %bb.847:                              ;   in Loop: Header=BB113_3 Depth=1
	ds_load_b32 v28, v50 offset:4352
	ds_load_b32 v29, v49 offset:8004
	s_wait_dscnt 0x0
	v_fmac_f32_e32 v2, v28, v29
.LBB113_848:                            ;   in Loop: Header=BB113_3 Depth=1
	s_or_b32 exec_lo, exec_lo, s34
	s_delay_alu instid0(SALU_CYCLE_1) | instskip(SKIP_2) | instid1(SALU_CYCLE_1)
	s_mov_b32 s34, exec_lo
	v_readlane_b32 s80, v87, 20
	s_and_b32 s80, s34, s80
	s_mov_b32 exec_lo, s80
	s_cbranch_execz .LBB113_850
; %bb.849:                              ;   in Loop: Header=BB113_3 Depth=1
	ds_load_b32 v28, v50 offset:4608
	ds_load_b32 v29, v49 offset:8008
	s_wait_dscnt 0x0
	v_fmac_f32_e32 v2, v28, v29
.LBB113_850:                            ;   in Loop: Header=BB113_3 Depth=1
	s_or_b32 exec_lo, exec_lo, s34
	s_delay_alu instid0(SALU_CYCLE_1) | instskip(SKIP_2) | instid1(SALU_CYCLE_1)
	s_mov_b32 s34, exec_lo
	v_readlane_b32 s80, v87, 21
	s_and_b32 s80, s34, s80
	;; [unrolled: 13-line block ×10, first 2 shown]
	s_mov_b32 exec_lo, s80
	s_cbranch_execnz .LBB113_1243
; %bb.867:                              ;   in Loop: Header=BB113_3 Depth=1
	s_or_b32 exec_lo, exec_lo, s34
	s_and_saveexec_b32 s34, s5
	s_cbranch_execnz .LBB113_1244
.LBB113_868:                            ;   in Loop: Header=BB113_3 Depth=1
	s_or_b32 exec_lo, exec_lo, s34
	s_and_saveexec_b32 s34, s20
	s_cbranch_execnz .LBB113_1245
.LBB113_869:                            ;   in Loop: Header=BB113_3 Depth=1
	s_or_b32 exec_lo, exec_lo, s34
	s_and_saveexec_b32 s34, s22
	s_cbranch_execnz .LBB113_1246
.LBB113_870:                            ;   in Loop: Header=BB113_3 Depth=1
	s_or_b32 exec_lo, exec_lo, s34
	s_and_saveexec_b32 s34, s4
	s_cbranch_execz .LBB113_872
.LBB113_871:                            ;   in Loop: Header=BB113_3 Depth=1
	ds_load_b32 v28, v36 offset:7936
	ds_load_b32 v29, v3 offset:8060
	s_wait_dscnt 0x0
	v_fmac_f32_e32 v2, v28, v29
.LBB113_872:                            ;   in Loop: Header=BB113_3 Depth=1
	s_or_b32 exec_lo, exec_lo, s34
.LBB113_873:                            ;   in Loop: Header=BB113_3 Depth=1
	s_delay_alu instid0(SALU_CYCLE_1)
	s_or_b32 exec_lo, exec_lo, s65
	s_and_saveexec_b32 s34, s44
	s_cbranch_execz .LBB113_875
; %bb.874:                              ;   in Loop: Header=BB113_3 Depth=1
	ds_load_b32 v28, v3 offset:3900
	s_wait_dscnt 0x0
	v_mul_f32_e32 v2, v2, v28
	s_delay_alu instid0(VALU_DEP_1)
	v_xor_b32_e32 v28, 0x80000000, v2
	ds_store_b32 v48, v28
.LBB113_875:                            ;   in Loop: Header=BB113_3 Depth=1
	s_or_b32 exec_lo, exec_lo, s34
	s_wait_loadcnt_dscnt 0x0
	s_barrier_signal -1
	s_barrier_wait -1
	s_and_saveexec_b32 s34, s45
	s_cbranch_execz .LBB113_877
; %bb.876:                              ;   in Loop: Header=BB113_3 Depth=1
	ds_load_b32 v28, v50 offset:3840
	ds_load_b32 v29, v48
	s_wait_dscnt 0x0
	v_fma_f32 v2, -v28, v29, v2
.LBB113_877:                            ;   in Loop: Header=BB113_3 Depth=1
	s_or_b32 exec_lo, exec_lo, s34
	s_barrier_signal -1
	s_barrier_wait -1
	s_and_saveexec_b32 s34, s46
	s_cbranch_execz .LBB113_879
; %bb.878:                              ;   in Loop: Header=BB113_3 Depth=1
	ds_load_b32 v28, v3 offset:3640
	s_wait_dscnt 0x0
	v_mul_f32_e32 v2, v2, v28
	s_delay_alu instid0(VALU_DEP_1)
	v_xor_b32_e32 v28, 0x80000000, v2
	ds_store_b32 v48, v28
.LBB113_879:                            ;   in Loop: Header=BB113_3 Depth=1
	s_or_b32 exec_lo, exec_lo, s34
	s_wait_dscnt 0x0
	s_barrier_signal -1
	s_barrier_wait -1
	s_and_saveexec_b32 s34, s47
	s_cbranch_execz .LBB113_881
; %bb.880:                              ;   in Loop: Header=BB113_3 Depth=1
	ds_load_b32 v28, v50 offset:3584
	ds_load_b32 v29, v48
	s_wait_dscnt 0x0
	v_fma_f32 v2, -v28, v29, v2
.LBB113_881:                            ;   in Loop: Header=BB113_3 Depth=1
	s_or_b32 exec_lo, exec_lo, s34
	s_barrier_signal -1
	s_barrier_wait -1
	s_and_saveexec_b32 s34, s48
	s_cbranch_execz .LBB113_883
; %bb.882:                              ;   in Loop: Header=BB113_3 Depth=1
	ds_load_b32 v28, v3 offset:3380
	s_wait_dscnt 0x0
	v_mul_f32_e32 v2, v2, v28
	s_delay_alu instid0(VALU_DEP_1)
	v_xor_b32_e32 v28, 0x80000000, v2
	ds_store_b32 v48, v28
.LBB113_883:                            ;   in Loop: Header=BB113_3 Depth=1
	s_or_b32 exec_lo, exec_lo, s34
	s_wait_dscnt 0x0
	;; [unrolled: 25-line block ×14, first 2 shown]
	s_barrier_signal -1
	s_barrier_wait -1
	s_and_saveexec_b32 s34, s29
	s_cbranch_execz .LBB113_933
; %bb.932:                              ;   in Loop: Header=BB113_3 Depth=1
	ds_load_b32 v28, v3 offset:256
	ds_load_b32 v29, v48
	s_wait_dscnt 0x0
	v_fma_f32 v2, -v28, v29, v2
.LBB113_933:                            ;   in Loop: Header=BB113_3 Depth=1
	s_or_b32 exec_lo, exec_lo, s34
	s_barrier_signal -1
	s_barrier_wait -1
	s_and_saveexec_b32 s34, s29
	s_cbranch_execz .LBB113_935
; %bb.934:                              ;   in Loop: Header=BB113_3 Depth=1
	ds_load_b32 v28, v3
	s_wait_dscnt 0x0
	v_mul_f32_e32 v2, v2, v28
	s_delay_alu instid0(VALU_DEP_1)
	v_xor_b32_e32 v28, 0x80000000, v2
	ds_store_b32 v48, v28
.LBB113_935:                            ;   in Loop: Header=BB113_3 Depth=1
	s_or_b32 exec_lo, exec_lo, s34
	s_wait_dscnt 0x0
	s_barrier_signal -1
	s_barrier_wait -1
	s_barrier_signal -1
	s_barrier_wait -1
	s_and_saveexec_b32 s34, s6
; %bb.936:                              ;   in Loop: Header=BB113_3 Depth=1
	ds_store_b32 v51, v2 offset:7936
; %bb.937:                              ;   in Loop: Header=BB113_3 Depth=1
	s_or_b32 exec_lo, exec_lo, s34
	s_wait_dscnt 0x0
	s_barrier_signal -1
	s_barrier_wait -1
	s_barrier_signal -1
	s_barrier_wait -1
	s_and_saveexec_b32 s34, s31
	s_cbranch_execz .LBB113_939
; %bb.938:                              ;   in Loop: Header=BB113_3 Depth=1
	ds_load_b32 v2, v38 offset:4096
	s_wait_dscnt 0x0
	ds_store_b32 v42, v2 offset:64
	ds_load_b32 v2, v38 offset:4100
	s_wait_dscnt 0x0
	ds_store_b32 v42, v2 offset:320
	;; [unrolled: 3-line block ×16, first 2 shown]
.LBB113_939:                            ;   in Loop: Header=BB113_3 Depth=1
	s_or_b32 exec_lo, exec_lo, s34
	s_wait_dscnt 0x0
	s_barrier_signal -1
	s_barrier_wait -1
	s_and_saveexec_b32 s34, s15
	s_cbranch_execz .LBB113_941
; %bb.940:                              ;   in Loop: Header=BB113_3 Depth=1
	ds_load_b64 v[28:29], v3 offset:3896
	ds_load_b32 v2, v3 offset:3640
	s_wait_dscnt 0x0
	v_mul_f32_e32 v2, v2, v29
	s_delay_alu instid0(VALU_DEP_1)
	v_mul_f32_e32 v2, v28, v2
	v_add_nc_u32_e64 v28, 0xc00, 0
	ds_store_2addr_b32 v28, v2, v2 offset0:143 offset1:206
.LBB113_941:                            ;   in Loop: Header=BB113_3 Depth=1
	s_or_b32 exec_lo, exec_lo, s34
	v_mov_b32_e32 v2, 0
	s_wait_dscnt 0x0
	s_barrier_signal -1
	s_barrier_wait -1
	global_wb scope:SCOPE_DEV
	s_wait_storecnt 0x0
	global_inv scope:SCOPE_DEV
	s_and_saveexec_b32 s34, s2
	s_cbranch_execz .LBB113_945
; %bb.942:                              ;   in Loop: Header=BB113_3 Depth=1
	ds_load_b32 v2, v35 offset:3632
	ds_load_b32 v28, v34 offset:3896
	s_wait_dscnt 0x0
	v_fma_f32 v2, v2, v28, 0
	s_and_saveexec_b32 s65, s16
	s_cbranch_execz .LBB113_944
; %bb.943:                              ;   in Loop: Header=BB113_3 Depth=1
	ds_load_b32 v28, v36 offset:3888
	ds_load_b32 v29, v3 offset:3900
	s_wait_dscnt 0x0
	v_fmac_f32_e32 v2, v28, v29
.LBB113_944:                            ;   in Loop: Header=BB113_3 Depth=1
	s_or_b32 exec_lo, exec_lo, s65
.LBB113_945:                            ;   in Loop: Header=BB113_3 Depth=1
	s_delay_alu instid0(SALU_CYCLE_1)
	s_or_b32 exec_lo, exec_lo, s34
	s_and_saveexec_b32 s34, s89
	s_cbranch_execz .LBB113_947
; %bb.946:                              ;   in Loop: Header=BB113_3 Depth=1
	ds_load_b32 v28, v3 offset:3380
	s_wait_dscnt 0x0
	v_mul_f32_e32 v2, v2, v28
	s_delay_alu instid0(VALU_DEP_1)
	v_xor_b32_e32 v28, 0x80000000, v2
	ds_store_b32 v5, v28
.LBB113_947:                            ;   in Loop: Header=BB113_3 Depth=1
	s_or_b32 exec_lo, exec_lo, s34
	s_wait_loadcnt_dscnt 0x0
	s_barrier_signal -1
	s_barrier_wait -1
	s_and_saveexec_b32 s34, s90
	s_cbranch_execz .LBB113_949
; %bb.948:                              ;   in Loop: Header=BB113_3 Depth=1
	ds_load_b32 v28, v3 offset:3376
	ds_load_b32 v29, v5
	s_wait_dscnt 0x0
	v_fma_f32 v2, -v28, v29, v2
.LBB113_949:                            ;   in Loop: Header=BB113_3 Depth=1
	s_or_b32 exec_lo, exec_lo, s34
	s_barrier_signal -1
	s_barrier_wait -1
	s_and_saveexec_b32 s34, s90
	s_cbranch_execz .LBB113_951
; %bb.950:                              ;   in Loop: Header=BB113_3 Depth=1
	ds_load_b32 v28, v3 offset:3120
	s_wait_dscnt 0x0
	v_mul_f32_e32 v2, v2, v28
	s_delay_alu instid0(VALU_DEP_1)
	v_xor_b32_e32 v28, 0x80000000, v2
	ds_store_b32 v5, v28
.LBB113_951:                            ;   in Loop: Header=BB113_3 Depth=1
	s_or_b32 exec_lo, exec_lo, s34
	s_wait_dscnt 0x0
	s_barrier_signal -1
	s_barrier_wait -1
	s_barrier_signal -1
	s_barrier_wait -1
	s_and_saveexec_b32 s34, s2
; %bb.952:                              ;   in Loop: Header=BB113_3 Depth=1
	ds_store_b32 v37, v2 offset:3888
; %bb.953:                              ;   in Loop: Header=BB113_3 Depth=1
	s_or_b32 exec_lo, exec_lo, s34
	s_wait_dscnt 0x0
	s_barrier_signal -1
	s_barrier_wait -1
	s_barrier_signal -1
	s_barrier_wait -1
	s_and_saveexec_b32 s34, s91
	s_cbranch_execz .LBB113_955
; %bb.954:                              ;   in Loop: Header=BB113_3 Depth=1
	ds_load_b32 v2, v38 offset:3632
	s_wait_dscnt 0x0
	ds_store_b32 v36, v2 offset:3128
	ds_load_b32 v2, v38 offset:3636
	s_wait_dscnt 0x0
	ds_store_b32 v36, v2 offset:3384
.LBB113_955:                            ;   in Loop: Header=BB113_3 Depth=1
	s_or_b32 exec_lo, exec_lo, s34
	s_wait_dscnt 0x0
	s_barrier_signal -1
	s_barrier_wait -1
	s_and_saveexec_b32 s34, s15
	s_cbranch_execz .LBB113_957
; %bb.956:                              ;   in Loop: Header=BB113_3 Depth=1
	ds_load_b64 v[28:29], v3 offset:3376
	ds_load_b32 v2, v3 offset:3120
	s_wait_dscnt 0x0
	v_mul_f32_e32 v2, v2, v29
	s_delay_alu instid0(VALU_DEP_1)
	v_mul_f32_e32 v2, v28, v2
	v_add_nc_u32_e64 v28, 0xc00, 0
	ds_store_2addr_b32 v28, v2, v2 offset0:13 offset1:76
.LBB113_957:                            ;   in Loop: Header=BB113_3 Depth=1
	s_or_b32 exec_lo, exec_lo, s34
	v_mov_b32_e32 v2, 0
	s_wait_dscnt 0x0
	s_barrier_signal -1
	s_barrier_wait -1
	global_wb scope:SCOPE_DEV
	s_wait_storecnt 0x0
	global_inv scope:SCOPE_DEV
	s_and_saveexec_b32 s34, s4
	s_cbranch_execz .LBB113_963
; %bb.958:                              ;   in Loop: Header=BB113_3 Depth=1
	ds_load_b32 v2, v41 offset:3104
	ds_load_b32 v28, v40 offset:3888
	s_wait_dscnt 0x0
	v_fma_f32 v2, v2, v28, 0
	s_and_saveexec_b32 s65, s17
	s_cbranch_execnz .LBB113_1247
; %bb.959:                              ;   in Loop: Header=BB113_3 Depth=1
	s_or_b32 exec_lo, exec_lo, s65
	s_and_saveexec_b32 s65, s18
	s_cbranch_execnz .LBB113_1248
.LBB113_960:                            ;   in Loop: Header=BB113_3 Depth=1
	s_or_b32 exec_lo, exec_lo, s65
	s_and_saveexec_b32 s65, s2
	s_cbranch_execz .LBB113_962
.LBB113_961:                            ;   in Loop: Header=BB113_3 Depth=1
	ds_load_b32 v28, v42 offset:3872
	ds_load_b32 v29, v3 offset:3900
	s_wait_dscnt 0x0
	v_fmac_f32_e32 v2, v28, v29
.LBB113_962:                            ;   in Loop: Header=BB113_3 Depth=1
	s_or_b32 exec_lo, exec_lo, s65
.LBB113_963:                            ;   in Loop: Header=BB113_3 Depth=1
	s_delay_alu instid0(SALU_CYCLE_1)
	s_or_b32 exec_lo, exec_lo, s34
	s_and_saveexec_b32 s34, s92
	s_cbranch_execz .LBB113_965
; %bb.964:                              ;   in Loop: Header=BB113_3 Depth=1
	ds_load_b32 v28, v3 offset:2860
	s_wait_dscnt 0x0
	v_mul_f32_e32 v2, v2, v28
	s_delay_alu instid0(VALU_DEP_1)
	v_xor_b32_e32 v28, 0x80000000, v2
	ds_store_b32 v39, v28
.LBB113_965:                            ;   in Loop: Header=BB113_3 Depth=1
	s_or_b32 exec_lo, exec_lo, s34
	s_wait_loadcnt_dscnt 0x0
	s_barrier_signal -1
	s_barrier_wait -1
	s_and_saveexec_b32 s34, s93
	s_cbranch_execz .LBB113_967
; %bb.966:                              ;   in Loop: Header=BB113_3 Depth=1
	ds_load_b32 v28, v41 offset:2848
	ds_load_b32 v29, v39
	s_wait_dscnt 0x0
	v_fma_f32 v2, -v28, v29, v2
.LBB113_967:                            ;   in Loop: Header=BB113_3 Depth=1
	s_or_b32 exec_lo, exec_lo, s34
	s_barrier_signal -1
	s_barrier_wait -1
	s_and_saveexec_b32 s34, s94
	s_cbranch_execz .LBB113_969
; %bb.968:                              ;   in Loop: Header=BB113_3 Depth=1
	ds_load_b32 v28, v3 offset:2600
	s_wait_dscnt 0x0
	v_mul_f32_e32 v2, v2, v28
	s_delay_alu instid0(VALU_DEP_1)
	v_xor_b32_e32 v28, 0x80000000, v2
	ds_store_b32 v39, v28
.LBB113_969:                            ;   in Loop: Header=BB113_3 Depth=1
	s_or_b32 exec_lo, exec_lo, s34
	s_wait_dscnt 0x0
	s_barrier_signal -1
	s_barrier_wait -1
	s_and_saveexec_b32 s34, s95
	s_cbranch_execz .LBB113_971
; %bb.970:                              ;   in Loop: Header=BB113_3 Depth=1
	ds_load_b32 v28, v41 offset:2592
	ds_load_b32 v29, v39
	s_wait_dscnt 0x0
	v_fma_f32 v2, -v28, v29, v2
.LBB113_971:                            ;   in Loop: Header=BB113_3 Depth=1
	s_or_b32 exec_lo, exec_lo, s34
	s_barrier_signal -1
	s_barrier_wait -1
	s_and_saveexec_b32 s34, s96
	s_cbranch_execz .LBB113_973
; %bb.972:                              ;   in Loop: Header=BB113_3 Depth=1
	ds_load_b32 v28, v3 offset:2340
	s_wait_dscnt 0x0
	v_mul_f32_e32 v2, v2, v28
	s_delay_alu instid0(VALU_DEP_1)
	v_xor_b32_e32 v28, 0x80000000, v2
	ds_store_b32 v39, v28
.LBB113_973:                            ;   in Loop: Header=BB113_3 Depth=1
	s_or_b32 exec_lo, exec_lo, s34
	s_wait_dscnt 0x0
	s_barrier_signal -1
	s_barrier_wait -1
	s_and_saveexec_b32 s34, s97
	s_cbranch_execz .LBB113_975
; %bb.974:                              ;   in Loop: Header=BB113_3 Depth=1
	ds_load_b32 v28, v3 offset:2336
	ds_load_b32 v29, v39
	s_wait_dscnt 0x0
	v_fma_f32 v2, -v28, v29, v2
.LBB113_975:                            ;   in Loop: Header=BB113_3 Depth=1
	s_or_b32 exec_lo, exec_lo, s34
	s_barrier_signal -1
	s_barrier_wait -1
	s_and_saveexec_b32 s34, s97
	s_cbranch_execz .LBB113_977
; %bb.976:                              ;   in Loop: Header=BB113_3 Depth=1
	ds_load_b32 v28, v3 offset:2080
	s_wait_dscnt 0x0
	v_mul_f32_e32 v2, v2, v28
	s_delay_alu instid0(VALU_DEP_1)
	v_xor_b32_e32 v28, 0x80000000, v2
	ds_store_b32 v39, v28
.LBB113_977:                            ;   in Loop: Header=BB113_3 Depth=1
	s_or_b32 exec_lo, exec_lo, s34
	s_wait_dscnt 0x0
	s_barrier_signal -1
	s_barrier_wait -1
	s_barrier_signal -1
	s_barrier_wait -1
	s_and_saveexec_b32 s34, s4
; %bb.978:                              ;   in Loop: Header=BB113_3 Depth=1
	ds_store_b32 v43, v2 offset:3872
; %bb.979:                              ;   in Loop: Header=BB113_3 Depth=1
	s_or_b32 exec_lo, exec_lo, s34
	s_wait_dscnt 0x0
	s_barrier_signal -1
	s_barrier_wait -1
	s_barrier_signal -1
	s_barrier_wait -1
	s_and_saveexec_b32 s34, s98
	s_cbranch_execz .LBB113_981
; %bb.980:                              ;   in Loop: Header=BB113_3 Depth=1
	ds_load_b32 v2, v7 offset:3104
	s_wait_dscnt 0x0
	ds_store_b32 v53, v2 offset:2096
	ds_load_b32 v2, v7 offset:3108
	s_wait_dscnt 0x0
	ds_store_b32 v53, v2 offset:2352
	;; [unrolled: 3-line block ×4, first 2 shown]
.LBB113_981:                            ;   in Loop: Header=BB113_3 Depth=1
	s_or_b32 exec_lo, exec_lo, s34
	s_wait_dscnt 0x0
	s_barrier_signal -1
	s_barrier_wait -1
	s_and_saveexec_b32 s34, s15
	s_cbranch_execz .LBB113_983
; %bb.982:                              ;   in Loop: Header=BB113_3 Depth=1
	ds_load_b64 v[28:29], v3 offset:2856
	ds_load_b32 v2, v3 offset:2600
	s_wait_dscnt 0x0
	v_mul_f32_e32 v2, v2, v29
	s_delay_alu instid0(VALU_DEP_1)
	v_mul_f32_e32 v2, v28, v2
	v_add_nc_u32_e64 v28, 0x800, 0
	ds_store_2addr_b32 v28, v2, v2 offset0:139 offset1:202
.LBB113_983:                            ;   in Loop: Header=BB113_3 Depth=1
	s_or_b32 exec_lo, exec_lo, s34
	v_mov_b32_e32 v2, 0
	s_wait_dscnt 0x0
	s_barrier_signal -1
	s_barrier_wait -1
	global_wb scope:SCOPE_DEV
	s_wait_storecnt 0x0
	global_inv scope:SCOPE_DEV
	s_and_saveexec_b32 s34, s2
	s_cbranch_execz .LBB113_987
; %bb.984:                              ;   in Loop: Header=BB113_3 Depth=1
	ds_load_b32 v2, v35 offset:2592
	ds_load_b32 v28, v34 offset:2856
	s_wait_dscnt 0x0
	v_fma_f32 v2, v2, v28, 0
	s_and_saveexec_b32 s65, s16
	s_cbranch_execz .LBB113_986
; %bb.985:                              ;   in Loop: Header=BB113_3 Depth=1
	ds_load_b32 v28, v53 offset:2848
	ds_load_b32 v29, v3 offset:2860
	s_wait_dscnt 0x0
	v_fmac_f32_e32 v2, v28, v29
.LBB113_986:                            ;   in Loop: Header=BB113_3 Depth=1
	s_or_b32 exec_lo, exec_lo, s65
.LBB113_987:                            ;   in Loop: Header=BB113_3 Depth=1
	s_delay_alu instid0(SALU_CYCLE_1)
	s_or_b32 exec_lo, exec_lo, s34
	s_and_saveexec_b32 s34, s89
	s_cbranch_execz .LBB113_989
; %bb.988:                              ;   in Loop: Header=BB113_3 Depth=1
	ds_load_b32 v28, v3 offset:2340
	s_wait_dscnt 0x0
	v_mul_f32_e32 v2, v2, v28
	s_delay_alu instid0(VALU_DEP_1)
	v_xor_b32_e32 v28, 0x80000000, v2
	ds_store_b32 v5, v28
.LBB113_989:                            ;   in Loop: Header=BB113_3 Depth=1
	s_or_b32 exec_lo, exec_lo, s34
	s_wait_loadcnt_dscnt 0x0
	s_barrier_signal -1
	s_barrier_wait -1
	s_and_saveexec_b32 s34, s90
	s_cbranch_execz .LBB113_991
; %bb.990:                              ;   in Loop: Header=BB113_3 Depth=1
	ds_load_b32 v28, v3 offset:2336
	ds_load_b32 v29, v5
	s_wait_dscnt 0x0
	v_fma_f32 v2, -v28, v29, v2
.LBB113_991:                            ;   in Loop: Header=BB113_3 Depth=1
	s_or_b32 exec_lo, exec_lo, s34
	s_barrier_signal -1
	s_barrier_wait -1
	s_and_saveexec_b32 s34, s90
	s_cbranch_execz .LBB113_993
; %bb.992:                              ;   in Loop: Header=BB113_3 Depth=1
	ds_load_b32 v28, v3 offset:2080
	s_wait_dscnt 0x0
	v_mul_f32_e32 v2, v2, v28
	s_delay_alu instid0(VALU_DEP_1)
	v_xor_b32_e32 v28, 0x80000000, v2
	ds_store_b32 v5, v28
.LBB113_993:                            ;   in Loop: Header=BB113_3 Depth=1
	s_or_b32 exec_lo, exec_lo, s34
	s_wait_dscnt 0x0
	s_barrier_signal -1
	s_barrier_wait -1
	s_barrier_signal -1
	s_barrier_wait -1
	s_and_saveexec_b32 s34, s2
; %bb.994:                              ;   in Loop: Header=BB113_3 Depth=1
	ds_store_b32 v37, v2 offset:2848
; %bb.995:                              ;   in Loop: Header=BB113_3 Depth=1
	s_or_b32 exec_lo, exec_lo, s34
	s_wait_dscnt 0x0
	s_barrier_signal -1
	s_barrier_wait -1
	s_barrier_signal -1
	s_barrier_wait -1
	s_and_saveexec_b32 s34, s91
	s_cbranch_execz .LBB113_997
; %bb.996:                              ;   in Loop: Header=BB113_3 Depth=1
	ds_load_b32 v2, v54 offset:2592
	s_wait_dscnt 0x0
	ds_store_b32 v53, v2 offset:2088
	ds_load_b32 v2, v54 offset:2596
	s_wait_dscnt 0x0
	ds_store_b32 v53, v2 offset:2344
.LBB113_997:                            ;   in Loop: Header=BB113_3 Depth=1
	s_or_b32 exec_lo, exec_lo, s34
	s_wait_dscnt 0x0
	s_barrier_signal -1
	s_barrier_wait -1
	s_and_saveexec_b32 s34, s15
	s_cbranch_execz .LBB113_999
; %bb.998:                              ;   in Loop: Header=BB113_3 Depth=1
	ds_load_b64 v[28:29], v3 offset:2336
	ds_load_b32 v2, v3 offset:2080
	s_wait_dscnt 0x0
	v_mul_f32_e32 v2, v2, v29
	s_delay_alu instid0(VALU_DEP_1)
	v_mul_f32_e32 v2, v28, v2
	v_add_nc_u32_e64 v28, 0x800, 0
	ds_store_2addr_b32 v28, v2, v2 offset0:9 offset1:72
.LBB113_999:                            ;   in Loop: Header=BB113_3 Depth=1
	s_or_b32 exec_lo, exec_lo, s34
	v_mov_b32_e32 v2, 0
	s_wait_dscnt 0x0
	s_barrier_signal -1
	s_barrier_wait -1
	global_wb scope:SCOPE_DEV
	s_wait_storecnt 0x0
	global_inv scope:SCOPE_DEV
	s_and_saveexec_b32 s34, s5
	s_cbranch_execz .LBB113_1009
; %bb.1000:                             ;   in Loop: Header=BB113_3 Depth=1
	ds_load_b32 v2, v46 offset:2048
	ds_load_b32 v28, v45 offset:3872
	s_wait_dscnt 0x0
	v_fma_f32 v2, v2, v28, 0
	s_and_saveexec_b32 s65, s19
	s_cbranch_execnz .LBB113_1249
; %bb.1001:                             ;   in Loop: Header=BB113_3 Depth=1
	s_or_b32 exec_lo, exec_lo, s65
	s_and_saveexec_b32 s65, s20
	s_cbranch_execnz .LBB113_1250
.LBB113_1002:                           ;   in Loop: Header=BB113_3 Depth=1
	s_or_b32 exec_lo, exec_lo, s65
	s_and_saveexec_b32 s65, s21
	s_cbranch_execnz .LBB113_1251
.LBB113_1003:                           ;   in Loop: Header=BB113_3 Depth=1
	s_or_b32 exec_lo, exec_lo, s65
	s_and_saveexec_b32 s65, s22
	s_cbranch_execnz .LBB113_1252
.LBB113_1004:                           ;   in Loop: Header=BB113_3 Depth=1
	s_or_b32 exec_lo, exec_lo, s65
	s_and_saveexec_b32 s65, s23
	s_cbranch_execnz .LBB113_1253
.LBB113_1005:                           ;   in Loop: Header=BB113_3 Depth=1
	s_or_b32 exec_lo, exec_lo, s65
	s_and_saveexec_b32 s65, s4
	s_cbranch_execnz .LBB113_1254
.LBB113_1006:                           ;   in Loop: Header=BB113_3 Depth=1
	s_or_b32 exec_lo, exec_lo, s65
	s_and_saveexec_b32 s65, s18
	s_cbranch_execz .LBB113_1008
.LBB113_1007:                           ;   in Loop: Header=BB113_3 Depth=1
	ds_load_b32 v28, v55 offset:3840
	ds_load_b32 v29, v3 offset:3900
	s_wait_dscnt 0x0
	v_fmac_f32_e32 v2, v28, v29
.LBB113_1008:                           ;   in Loop: Header=BB113_3 Depth=1
	s_or_b32 exec_lo, exec_lo, s65
.LBB113_1009:                           ;   in Loop: Header=BB113_3 Depth=1
	s_delay_alu instid0(SALU_CYCLE_1)
	s_or_b32 exec_lo, exec_lo, s34
	s_and_saveexec_b32 s34, s99
	s_cbranch_execz .LBB113_1011
; %bb.1010:                             ;   in Loop: Header=BB113_3 Depth=1
	ds_load_b32 v28, v3 offset:1820
	s_wait_dscnt 0x0
	v_mul_f32_e32 v2, v2, v28
	s_delay_alu instid0(VALU_DEP_1)
	v_xor_b32_e32 v28, 0x80000000, v2
	ds_store_b32 v44, v28
.LBB113_1011:                           ;   in Loop: Header=BB113_3 Depth=1
	s_or_b32 exec_lo, exec_lo, s34
	s_wait_loadcnt_dscnt 0x0
	s_barrier_signal -1
	s_barrier_wait -1
	s_and_saveexec_b32 s34, s100
	s_cbranch_execz .LBB113_1013
; %bb.1012:                             ;   in Loop: Header=BB113_3 Depth=1
	ds_load_b32 v28, v46 offset:1792
	ds_load_b32 v29, v44
	s_wait_dscnt 0x0
	v_fma_f32 v2, -v28, v29, v2
.LBB113_1013:                           ;   in Loop: Header=BB113_3 Depth=1
	s_or_b32 exec_lo, exec_lo, s34
	s_barrier_signal -1
	s_barrier_wait -1
	s_and_saveexec_b32 s34, s101
	s_cbranch_execz .LBB113_1015
; %bb.1014:                             ;   in Loop: Header=BB113_3 Depth=1
	ds_load_b32 v28, v3 offset:1560
	s_wait_dscnt 0x0
	v_mul_f32_e32 v2, v2, v28
	s_delay_alu instid0(VALU_DEP_1)
	v_xor_b32_e32 v28, 0x80000000, v2
	ds_store_b32 v44, v28
.LBB113_1015:                           ;   in Loop: Header=BB113_3 Depth=1
	s_or_b32 exec_lo, exec_lo, s34
	s_wait_dscnt 0x0
	s_barrier_signal -1
	s_barrier_wait -1
	s_and_saveexec_b32 s34, s102
	s_cbranch_execz .LBB113_1017
; %bb.1016:                             ;   in Loop: Header=BB113_3 Depth=1
	ds_load_b32 v28, v46 offset:1536
	ds_load_b32 v29, v44
	s_wait_dscnt 0x0
	v_fma_f32 v2, -v28, v29, v2
.LBB113_1017:                           ;   in Loop: Header=BB113_3 Depth=1
	s_or_b32 exec_lo, exec_lo, s34
	s_barrier_signal -1
	s_barrier_wait -1
	s_and_saveexec_b32 s34, s103
	s_cbranch_execz .LBB113_1019
; %bb.1018:                             ;   in Loop: Header=BB113_3 Depth=1
	ds_load_b32 v28, v3 offset:1300
	s_wait_dscnt 0x0
	v_mul_f32_e32 v2, v2, v28
	s_delay_alu instid0(VALU_DEP_1)
	v_xor_b32_e32 v28, 0x80000000, v2
	ds_store_b32 v44, v28
.LBB113_1019:                           ;   in Loop: Header=BB113_3 Depth=1
	s_or_b32 exec_lo, exec_lo, s34
	s_wait_dscnt 0x0
	s_barrier_signal -1
	s_barrier_wait -1
	s_and_saveexec_b32 s34, s104
	s_cbranch_execz .LBB113_1021
; %bb.1020:                             ;   in Loop: Header=BB113_3 Depth=1
	ds_load_b32 v28, v46 offset:1280
	ds_load_b32 v29, v44
	s_wait_dscnt 0x0
	v_fma_f32 v2, -v28, v29, v2
.LBB113_1021:                           ;   in Loop: Header=BB113_3 Depth=1
	s_or_b32 exec_lo, exec_lo, s34
	s_barrier_signal -1
	s_barrier_wait -1
	s_and_saveexec_b32 s34, vcc_hi
	s_cbranch_execz .LBB113_1023
; %bb.1022:                             ;   in Loop: Header=BB113_3 Depth=1
	ds_load_b32 v28, v3 offset:1040
	s_wait_dscnt 0x0
	v_mul_f32_e32 v2, v2, v28
	s_delay_alu instid0(VALU_DEP_1)
	v_xor_b32_e32 v28, 0x80000000, v2
	ds_store_b32 v44, v28
.LBB113_1023:                           ;   in Loop: Header=BB113_3 Depth=1
	s_or_b32 exec_lo, exec_lo, s34
	s_wait_dscnt 0x0
	s_barrier_signal -1
	s_barrier_wait -1
	s_and_saveexec_b32 s34, s36
	s_cbranch_execz .LBB113_1025
; %bb.1024:                             ;   in Loop: Header=BB113_3 Depth=1
	ds_load_b32 v28, v46 offset:1024
	ds_load_b32 v29, v44
	s_wait_dscnt 0x0
	v_fma_f32 v2, -v28, v29, v2
.LBB113_1025:                           ;   in Loop: Header=BB113_3 Depth=1
	s_or_b32 exec_lo, exec_lo, s34
	s_barrier_signal -1
	s_barrier_wait -1
	s_and_saveexec_b32 s34, s37
	s_cbranch_execz .LBB113_1027
; %bb.1026:                             ;   in Loop: Header=BB113_3 Depth=1
	ds_load_b32 v28, v3 offset:780
	s_wait_dscnt 0x0
	v_mul_f32_e32 v2, v2, v28
	s_delay_alu instid0(VALU_DEP_1)
	v_xor_b32_e32 v28, 0x80000000, v2
	ds_store_b32 v44, v28
.LBB113_1027:                           ;   in Loop: Header=BB113_3 Depth=1
	s_or_b32 exec_lo, exec_lo, s34
	s_wait_dscnt 0x0
	s_barrier_signal -1
	s_barrier_wait -1
	s_and_saveexec_b32 s34, s38
	s_cbranch_execz .LBB113_1029
; %bb.1028:                             ;   in Loop: Header=BB113_3 Depth=1
	ds_load_b32 v28, v46 offset:768
	ds_load_b32 v29, v44
	s_wait_dscnt 0x0
	v_fma_f32 v2, -v28, v29, v2
.LBB113_1029:                           ;   in Loop: Header=BB113_3 Depth=1
	s_or_b32 exec_lo, exec_lo, s34
	s_barrier_signal -1
	s_barrier_wait -1
	s_and_saveexec_b32 s34, s39
	;; [unrolled: 25-line block ×4, first 2 shown]
	s_cbranch_execz .LBB113_1039
; %bb.1038:                             ;   in Loop: Header=BB113_3 Depth=1
	ds_load_b32 v28, v3
	s_wait_dscnt 0x0
	v_mul_f32_e32 v2, v2, v28
	s_delay_alu instid0(VALU_DEP_1)
	v_xor_b32_e32 v28, 0x80000000, v2
	ds_store_b32 v44, v28
.LBB113_1039:                           ;   in Loop: Header=BB113_3 Depth=1
	s_or_b32 exec_lo, exec_lo, s34
	s_wait_dscnt 0x0
	s_barrier_signal -1
	s_barrier_wait -1
	s_barrier_signal -1
	s_barrier_wait -1
	s_and_saveexec_b32 s34, s5
; %bb.1040:                             ;   in Loop: Header=BB113_3 Depth=1
	ds_store_b32 v47, v2 offset:3840
; %bb.1041:                             ;   in Loop: Header=BB113_3 Depth=1
	s_or_b32 exec_lo, exec_lo, s34
	s_wait_dscnt 0x0
	s_barrier_signal -1
	s_barrier_wait -1
	s_barrier_signal -1
	s_barrier_wait -1
	s_and_saveexec_b32 s34, s43
	s_cbranch_execz .LBB113_1043
; %bb.1042:                             ;   in Loop: Header=BB113_3 Depth=1
	ds_load_b32 v2, v56 offset:2048
	s_wait_dscnt 0x0
	ds_store_b32 v57, v2 offset:32
	ds_load_b32 v2, v56 offset:2052
	s_wait_dscnt 0x0
	ds_store_b32 v57, v2 offset:288
	;; [unrolled: 3-line block ×8, first 2 shown]
.LBB113_1043:                           ;   in Loop: Header=BB113_3 Depth=1
	s_or_b32 exec_lo, exec_lo, s34
	s_wait_dscnt 0x0
	s_barrier_signal -1
	s_barrier_wait -1
	s_and_saveexec_b32 s34, s15
	s_cbranch_execz .LBB113_1045
; %bb.1044:                             ;   in Loop: Header=BB113_3 Depth=1
	ds_load_b64 v[28:29], v3 offset:1816
	ds_load_b32 v2, v3 offset:1560
	s_wait_dscnt 0x0
	v_mul_f32_e32 v2, v2, v29
	s_delay_alu instid0(VALU_DEP_1)
	v_mul_f32_e32 v2, v28, v2
	v_add_nc_u32_e64 v28, 0x400, 0
	ds_store_2addr_b32 v28, v2, v2 offset0:135 offset1:198
.LBB113_1045:                           ;   in Loop: Header=BB113_3 Depth=1
	s_or_b32 exec_lo, exec_lo, s34
	v_mov_b32_e32 v2, 0
	s_wait_dscnt 0x0
	s_barrier_signal -1
	s_barrier_wait -1
	global_wb scope:SCOPE_DEV
	s_wait_storecnt 0x0
	global_inv scope:SCOPE_DEV
	s_and_saveexec_b32 s34, s2
	s_cbranch_execz .LBB113_1049
; %bb.1046:                             ;   in Loop: Header=BB113_3 Depth=1
	ds_load_b32 v2, v35 offset:1552
	ds_load_b32 v28, v34 offset:1816
	s_wait_dscnt 0x0
	v_fma_f32 v2, v2, v28, 0
	s_and_saveexec_b32 s65, s16
	s_cbranch_execz .LBB113_1048
; %bb.1047:                             ;   in Loop: Header=BB113_3 Depth=1
	ds_load_b32 v28, v57 offset:1808
	ds_load_b32 v29, v3 offset:1820
	s_wait_dscnt 0x0
	v_fmac_f32_e32 v2, v28, v29
.LBB113_1048:                           ;   in Loop: Header=BB113_3 Depth=1
	s_or_b32 exec_lo, exec_lo, s65
.LBB113_1049:                           ;   in Loop: Header=BB113_3 Depth=1
	s_delay_alu instid0(SALU_CYCLE_1)
	s_or_b32 exec_lo, exec_lo, s34
	s_and_saveexec_b32 s34, s89
	s_cbranch_execz .LBB113_1051
; %bb.1050:                             ;   in Loop: Header=BB113_3 Depth=1
	ds_load_b32 v28, v3 offset:1300
	s_wait_dscnt 0x0
	v_mul_f32_e32 v2, v2, v28
	s_delay_alu instid0(VALU_DEP_1)
	v_xor_b32_e32 v28, 0x80000000, v2
	ds_store_b32 v5, v28
.LBB113_1051:                           ;   in Loop: Header=BB113_3 Depth=1
	s_or_b32 exec_lo, exec_lo, s34
	s_wait_loadcnt_dscnt 0x0
	s_barrier_signal -1
	s_barrier_wait -1
	s_and_saveexec_b32 s34, s90
	s_cbranch_execz .LBB113_1053
; %bb.1052:                             ;   in Loop: Header=BB113_3 Depth=1
	ds_load_b32 v28, v3 offset:1296
	ds_load_b32 v29, v5
	s_wait_dscnt 0x0
	v_fma_f32 v2, -v28, v29, v2
.LBB113_1053:                           ;   in Loop: Header=BB113_3 Depth=1
	s_or_b32 exec_lo, exec_lo, s34
	s_barrier_signal -1
	s_barrier_wait -1
	s_and_saveexec_b32 s34, s90
	s_cbranch_execz .LBB113_1055
; %bb.1054:                             ;   in Loop: Header=BB113_3 Depth=1
	ds_load_b32 v28, v3 offset:1040
	s_wait_dscnt 0x0
	v_mul_f32_e32 v2, v2, v28
	s_delay_alu instid0(VALU_DEP_1)
	v_xor_b32_e32 v28, 0x80000000, v2
	ds_store_b32 v5, v28
.LBB113_1055:                           ;   in Loop: Header=BB113_3 Depth=1
	s_or_b32 exec_lo, exec_lo, s34
	s_wait_dscnt 0x0
	s_barrier_signal -1
	s_barrier_wait -1
	s_barrier_signal -1
	s_barrier_wait -1
	s_and_saveexec_b32 s34, s2
; %bb.1056:                             ;   in Loop: Header=BB113_3 Depth=1
	ds_store_b32 v37, v2 offset:1808
; %bb.1057:                             ;   in Loop: Header=BB113_3 Depth=1
	s_or_b32 exec_lo, exec_lo, s34
	s_wait_dscnt 0x0
	s_barrier_signal -1
	s_barrier_wait -1
	s_barrier_signal -1
	s_barrier_wait -1
	s_and_saveexec_b32 s34, s91
	s_cbranch_execz .LBB113_1059
; %bb.1058:                             ;   in Loop: Header=BB113_3 Depth=1
	ds_load_b32 v2, v58 offset:1552
	s_wait_dscnt 0x0
	ds_store_b32 v57, v2 offset:1048
	ds_load_b32 v2, v58 offset:1556
	s_wait_dscnt 0x0
	ds_store_b32 v57, v2 offset:1304
.LBB113_1059:                           ;   in Loop: Header=BB113_3 Depth=1
	s_or_b32 exec_lo, exec_lo, s34
	s_wait_dscnt 0x0
	s_barrier_signal -1
	s_barrier_wait -1
	s_and_saveexec_b32 s34, s15
	s_cbranch_execz .LBB113_1061
; %bb.1060:                             ;   in Loop: Header=BB113_3 Depth=1
	ds_load_b64 v[28:29], v3 offset:1296
	ds_load_b32 v2, v3 offset:1040
	s_wait_dscnt 0x0
	v_mul_f32_e32 v2, v2, v29
	s_delay_alu instid0(VALU_DEP_1)
	v_mul_f32_e32 v2, v28, v2
	v_add_nc_u32_e64 v28, 0x400, 0
	ds_store_2addr_b32 v28, v2, v2 offset0:5 offset1:68
.LBB113_1061:                           ;   in Loop: Header=BB113_3 Depth=1
	s_or_b32 exec_lo, exec_lo, s34
	v_mov_b32_e32 v2, 0
	s_wait_dscnt 0x0
	s_barrier_signal -1
	s_barrier_wait -1
	global_wb scope:SCOPE_DEV
	s_wait_storecnt 0x0
	global_inv scope:SCOPE_DEV
	s_and_saveexec_b32 s34, s4
	s_cbranch_execz .LBB113_1067
; %bb.1062:                             ;   in Loop: Header=BB113_3 Depth=1
	ds_load_b32 v2, v41 offset:1024
	ds_load_b32 v28, v40 offset:1808
	s_wait_dscnt 0x0
	v_fma_f32 v2, v2, v28, 0
	s_and_saveexec_b32 s65, s17
	s_cbranch_execnz .LBB113_1255
; %bb.1063:                             ;   in Loop: Header=BB113_3 Depth=1
	s_or_b32 exec_lo, exec_lo, s65
	s_and_saveexec_b32 s65, s18
	s_cbranch_execnz .LBB113_1256
.LBB113_1064:                           ;   in Loop: Header=BB113_3 Depth=1
	s_or_b32 exec_lo, exec_lo, s65
	s_and_saveexec_b32 s65, s2
	s_cbranch_execz .LBB113_1066
.LBB113_1065:                           ;   in Loop: Header=BB113_3 Depth=1
	ds_load_b32 v28, v59 offset:1792
	ds_load_b32 v29, v3 offset:1820
	s_wait_dscnt 0x0
	v_fmac_f32_e32 v2, v28, v29
.LBB113_1066:                           ;   in Loop: Header=BB113_3 Depth=1
	s_or_b32 exec_lo, exec_lo, s65
.LBB113_1067:                           ;   in Loop: Header=BB113_3 Depth=1
	s_delay_alu instid0(SALU_CYCLE_1)
	s_or_b32 exec_lo, exec_lo, s34
	s_and_saveexec_b32 s34, s92
	s_cbranch_execz .LBB113_1069
; %bb.1068:                             ;   in Loop: Header=BB113_3 Depth=1
	ds_load_b32 v28, v3 offset:780
	s_wait_dscnt 0x0
	v_mul_f32_e32 v2, v2, v28
	s_delay_alu instid0(VALU_DEP_1)
	v_xor_b32_e32 v28, 0x80000000, v2
	ds_store_b32 v39, v28
.LBB113_1069:                           ;   in Loop: Header=BB113_3 Depth=1
	s_or_b32 exec_lo, exec_lo, s34
	s_wait_loadcnt_dscnt 0x0
	s_barrier_signal -1
	s_barrier_wait -1
	s_and_saveexec_b32 s34, s93
	s_cbranch_execz .LBB113_1071
; %bb.1070:                             ;   in Loop: Header=BB113_3 Depth=1
	ds_load_b32 v28, v41 offset:768
	ds_load_b32 v29, v39
	s_wait_dscnt 0x0
	v_fma_f32 v2, -v28, v29, v2
.LBB113_1071:                           ;   in Loop: Header=BB113_3 Depth=1
	s_or_b32 exec_lo, exec_lo, s34
	s_barrier_signal -1
	s_barrier_wait -1
	s_and_saveexec_b32 s34, s94
	s_cbranch_execz .LBB113_1073
; %bb.1072:                             ;   in Loop: Header=BB113_3 Depth=1
	ds_load_b32 v28, v3 offset:520
	s_wait_dscnt 0x0
	v_mul_f32_e32 v2, v2, v28
	s_delay_alu instid0(VALU_DEP_1)
	v_xor_b32_e32 v28, 0x80000000, v2
	ds_store_b32 v39, v28
.LBB113_1073:                           ;   in Loop: Header=BB113_3 Depth=1
	s_or_b32 exec_lo, exec_lo, s34
	s_wait_dscnt 0x0
	s_barrier_signal -1
	s_barrier_wait -1
	s_and_saveexec_b32 s34, s95
	s_cbranch_execz .LBB113_1075
; %bb.1074:                             ;   in Loop: Header=BB113_3 Depth=1
	ds_load_b32 v28, v41 offset:512
	ds_load_b32 v29, v39
	s_wait_dscnt 0x0
	v_fma_f32 v2, -v28, v29, v2
.LBB113_1075:                           ;   in Loop: Header=BB113_3 Depth=1
	s_or_b32 exec_lo, exec_lo, s34
	s_barrier_signal -1
	s_barrier_wait -1
	s_and_saveexec_b32 s34, s96
	s_cbranch_execz .LBB113_1077
; %bb.1076:                             ;   in Loop: Header=BB113_3 Depth=1
	ds_load_b32 v28, v3 offset:260
	s_wait_dscnt 0x0
	v_mul_f32_e32 v2, v2, v28
	s_delay_alu instid0(VALU_DEP_1)
	v_xor_b32_e32 v28, 0x80000000, v2
	ds_store_b32 v39, v28
.LBB113_1077:                           ;   in Loop: Header=BB113_3 Depth=1
	s_or_b32 exec_lo, exec_lo, s34
	s_wait_dscnt 0x0
	s_barrier_signal -1
	s_barrier_wait -1
	s_and_saveexec_b32 s34, s97
	s_cbranch_execz .LBB113_1079
; %bb.1078:                             ;   in Loop: Header=BB113_3 Depth=1
	ds_load_b32 v28, v3 offset:256
	ds_load_b32 v29, v39
	s_wait_dscnt 0x0
	v_fma_f32 v2, -v28, v29, v2
.LBB113_1079:                           ;   in Loop: Header=BB113_3 Depth=1
	s_or_b32 exec_lo, exec_lo, s34
	s_barrier_signal -1
	s_barrier_wait -1
	s_and_saveexec_b32 s34, s97
	s_cbranch_execz .LBB113_1081
; %bb.1080:                             ;   in Loop: Header=BB113_3 Depth=1
	ds_load_b32 v28, v3
	s_wait_dscnt 0x0
	v_mul_f32_e32 v2, v2, v28
	s_delay_alu instid0(VALU_DEP_1)
	v_xor_b32_e32 v28, 0x80000000, v2
	ds_store_b32 v39, v28
.LBB113_1081:                           ;   in Loop: Header=BB113_3 Depth=1
	s_or_b32 exec_lo, exec_lo, s34
	s_wait_dscnt 0x0
	s_barrier_signal -1
	s_barrier_wait -1
	s_barrier_signal -1
	s_barrier_wait -1
	s_and_saveexec_b32 s34, s4
; %bb.1082:                             ;   in Loop: Header=BB113_3 Depth=1
	ds_store_b32 v43, v2 offset:1792
; %bb.1083:                             ;   in Loop: Header=BB113_3 Depth=1
	s_or_b32 exec_lo, exec_lo, s34
	s_wait_dscnt 0x0
	s_barrier_signal -1
	s_barrier_wait -1
	s_barrier_signal -1
	s_barrier_wait -1
	s_and_saveexec_b32 s34, s98
	s_cbranch_execz .LBB113_1085
; %bb.1084:                             ;   in Loop: Header=BB113_3 Depth=1
	ds_load_b32 v2, v60 offset:1024
	s_wait_dscnt 0x0
	ds_store_b32 v61, v2 offset:16
	ds_load_b32 v2, v60 offset:1028
	s_wait_dscnt 0x0
	ds_store_b32 v61, v2 offset:272
	;; [unrolled: 3-line block ×4, first 2 shown]
.LBB113_1085:                           ;   in Loop: Header=BB113_3 Depth=1
	s_or_b32 exec_lo, exec_lo, s34
	s_wait_dscnt 0x0
	s_barrier_signal -1
	s_barrier_wait -1
	s_and_saveexec_b32 s34, s15
	s_cbranch_execz .LBB113_1087
; %bb.1086:                             ;   in Loop: Header=BB113_3 Depth=1
	ds_load_b64 v[28:29], v3 offset:776
	ds_load_b32 v2, v3 offset:520
	s_wait_dscnt 0x0
	v_mul_f32_e32 v2, v2, v29
	s_delay_alu instid0(VALU_DEP_1)
	v_mul_f32_e32 v2, v28, v2
	ds_store_2addr_b32 v3, v2, v2 offset0:131 offset1:194
.LBB113_1087:                           ;   in Loop: Header=BB113_3 Depth=1
	s_or_b32 exec_lo, exec_lo, s34
	v_mov_b32_e32 v2, 0
	s_wait_dscnt 0x0
	s_barrier_signal -1
	s_barrier_wait -1
	global_wb scope:SCOPE_DEV
	s_wait_storecnt 0x0
	global_inv scope:SCOPE_DEV
	s_and_saveexec_b32 s34, s2
	s_cbranch_execz .LBB113_1091
; %bb.1088:                             ;   in Loop: Header=BB113_3 Depth=1
	ds_load_b32 v2, v35 offset:512
	ds_load_b32 v28, v34 offset:776
	s_wait_dscnt 0x0
	v_fma_f32 v2, v2, v28, 0
	s_and_saveexec_b32 s65, s16
	s_cbranch_execz .LBB113_1090
; %bb.1089:                             ;   in Loop: Header=BB113_3 Depth=1
	ds_load_b32 v28, v61 offset:768
	ds_load_b32 v29, v3 offset:780
	s_wait_dscnt 0x0
	v_fmac_f32_e32 v2, v28, v29
.LBB113_1090:                           ;   in Loop: Header=BB113_3 Depth=1
	s_or_b32 exec_lo, exec_lo, s65
.LBB113_1091:                           ;   in Loop: Header=BB113_3 Depth=1
	s_delay_alu instid0(SALU_CYCLE_1)
	s_or_b32 exec_lo, exec_lo, s34
	s_and_saveexec_b32 s34, s89
	s_cbranch_execz .LBB113_1093
; %bb.1092:                             ;   in Loop: Header=BB113_3 Depth=1
	ds_load_b32 v28, v3 offset:260
	s_wait_dscnt 0x0
	v_mul_f32_e32 v2, v2, v28
	s_delay_alu instid0(VALU_DEP_1)
	v_xor_b32_e32 v28, 0x80000000, v2
	ds_store_b32 v5, v28
.LBB113_1093:                           ;   in Loop: Header=BB113_3 Depth=1
	s_or_b32 exec_lo, exec_lo, s34
	s_wait_loadcnt_dscnt 0x0
	s_barrier_signal -1
	s_barrier_wait -1
	s_and_saveexec_b32 s34, s90
	s_cbranch_execz .LBB113_1095
; %bb.1094:                             ;   in Loop: Header=BB113_3 Depth=1
	ds_load_b32 v28, v3 offset:256
	ds_load_b32 v29, v5
	s_wait_dscnt 0x0
	v_fma_f32 v2, -v28, v29, v2
.LBB113_1095:                           ;   in Loop: Header=BB113_3 Depth=1
	s_or_b32 exec_lo, exec_lo, s34
	s_barrier_signal -1
	s_barrier_wait -1
	s_and_saveexec_b32 s34, s90
	s_cbranch_execz .LBB113_1097
; %bb.1096:                             ;   in Loop: Header=BB113_3 Depth=1
	ds_load_b32 v28, v3
	s_wait_dscnt 0x0
	v_mul_f32_e32 v2, v2, v28
	s_delay_alu instid0(VALU_DEP_1)
	v_xor_b32_e32 v28, 0x80000000, v2
	ds_store_b32 v5, v28
.LBB113_1097:                           ;   in Loop: Header=BB113_3 Depth=1
	s_or_b32 exec_lo, exec_lo, s34
	s_wait_dscnt 0x0
	s_barrier_signal -1
	s_barrier_wait -1
	s_barrier_signal -1
	s_barrier_wait -1
	s_and_saveexec_b32 s34, s2
; %bb.1098:                             ;   in Loop: Header=BB113_3 Depth=1
	ds_store_b32 v37, v2 offset:768
; %bb.1099:                             ;   in Loop: Header=BB113_3 Depth=1
	s_or_b32 exec_lo, exec_lo, s34
	s_wait_dscnt 0x0
	s_barrier_signal -1
	s_barrier_wait -1
	s_barrier_signal -1
	s_barrier_wait -1
	s_and_saveexec_b32 s34, s91
	s_cbranch_execz .LBB113_1101
; %bb.1100:                             ;   in Loop: Header=BB113_3 Depth=1
	ds_load_b32 v2, v62 offset:512
	s_wait_dscnt 0x0
	ds_store_b32 v61, v2 offset:8
	ds_load_b32 v2, v62 offset:516
	s_wait_dscnt 0x0
	ds_store_b32 v61, v2 offset:264
.LBB113_1101:                           ;   in Loop: Header=BB113_3 Depth=1
	s_or_b32 exec_lo, exec_lo, s34
	s_wait_dscnt 0x0
	s_barrier_signal -1
	s_barrier_wait -1
	s_and_saveexec_b32 s34, s15
	s_cbranch_execz .LBB113_1103
; %bb.1102:                             ;   in Loop: Header=BB113_3 Depth=1
	ds_load_b64 v[28:29], v3 offset:256
	ds_load_b32 v2, v3
	s_wait_dscnt 0x0
	v_mul_f32_e32 v2, v2, v29
	s_delay_alu instid0(VALU_DEP_1)
	v_mul_f32_e32 v2, v28, v2
	ds_store_2addr_b32 v3, v2, v2 offset0:1 offset1:64
.LBB113_1103:                           ;   in Loop: Header=BB113_3 Depth=1
	s_or_b32 exec_lo, exec_lo, s34
.LBB113_1104:                           ;   in Loop: Header=BB113_3 Depth=1
	v_add_nc_u64_e32 v[26:27], s[74:75], v[26:27]
	v_mov_b32_e32 v30, 0
	s_wait_dscnt 0x0
	s_barrier_signal -1
	s_barrier_wait -1
	s_wait_xcnt 0x0
	s_and_saveexec_b32 s34, s14
	s_cbranch_execz .LBB113_1106
; %bb.1105:                             ;   in Loop: Header=BB113_3 Depth=1
	v_lshl_add_u64 v[28:29], v[0:1], 2, v[26:27]
	v_readlane_b32 s65, v89, 2
	flat_load_b32 v2, v[28:29]
	s_wait_loadcnt_dscnt 0x0
	v_mul_f32_e64 v30, v2, -s65
.LBB113_1106:                           ;   in Loop: Header=BB113_3 Depth=1
	s_or_b32 exec_lo, exec_lo, s34
	s_delay_alu instid0(SALU_CYCLE_1)
	s_and_not1_b32 vcc_lo, exec_lo, s12
	s_cbranch_vccnz .LBB113_1132
; %bb.1107:                             ;   in Loop: Header=BB113_3 Depth=1
	v_mov_b32_e32 v31, -1
	s_lshl_b64 s[80:81], s[66:67], 2
	s_mov_b32 s34, 0
	s_add_nc_u64 s[80:81], s[76:77], s[80:81]
	s_branch .LBB113_1110
.LBB113_1108:                           ;   in Loop: Header=BB113_1110 Depth=2
	s_wait_xcnt 0x0
	ds_load_b32 v28, v66 offset:192
	s_wait_loadcnt_dscnt 0x0
	v_fmac_f32_e32 v30, v2, v28
.LBB113_1109:                           ;   in Loop: Header=BB113_1110 Depth=2
	s_or_b32 exec_lo, exec_lo, s65
	s_add_co_i32 s34, s34, 1
	s_delay_alu instid0(SALU_CYCLE_1)
	s_cmp_eq_u32 s34, s84
	s_cbranch_scc1 .LBB113_1132
.LBB113_1110:                           ;   Parent Loop BB113_3 Depth=1
                                        ; =>  This Loop Header: Depth=2
                                        ;       Child Loop BB113_1112 Depth 3
	v_cmp_gt_i32_e32 vcc_lo, s34, v31
	s_and_b32 s82, s59, vcc_lo
	s_delay_alu instid0(SALU_CYCLE_1)
	s_and_saveexec_b32 s65, s82
	s_cbranch_execz .LBB113_1113
; %bb.1111:                             ;   in Loop: Header=BB113_1110 Depth=2
	global_load_b32 v31, v3, s[80:81]
	s_wait_loadcnt 0x0
	v_cmp_le_i32_e32 vcc_lo, s34, v31
	s_cbranch_vccnz .LBB113_1113
.LBB113_1112:                           ;   Parent Loop BB113_3 Depth=1
                                        ;     Parent Loop BB113_1110 Depth=2
                                        ; =>    This Inner Loop Header: Depth=3
	global_wb scope:SCOPE_DEV
	s_wait_storecnt 0x0
	global_inv scope:SCOPE_DEV
	global_load_b32 v31, v3, s[80:81]
	s_wait_loadcnt 0x0
	v_cmp_gt_i32_e32 vcc_lo, s34, v31
	s_cbranch_vccnz .LBB113_1112
.LBB113_1113:                           ;   in Loop: Header=BB113_1110 Depth=2
	s_or_b32 exec_lo, exec_lo, s65
	s_lshl_b32 s65, s34, 6
	global_wb scope:SCOPE_DEV
	s_wait_storecnt 0x0
	global_inv scope:SCOPE_DEV
	s_wait_loadcnt 0x0
	s_barrier_signal -1
	s_barrier_wait -1
	s_and_saveexec_b32 s82, s60
	s_cbranch_execz .LBB113_1117
; %bb.1114:                             ;   in Loop: Header=BB113_1110 Depth=2
	v_dual_mov_b32 v28, 0 :: v_dual_bitop2_b32 v2, s65, v6 bitop3:0x54
	s_mov_b32 s85, exec_lo
	s_delay_alu instid0(VALU_DEP_1)
	v_cmpx_gt_i32_e64 s83, v2
	s_cbranch_execz .LBB113_1116
; %bb.1115:                             ;   in Loop: Header=BB113_1110 Depth=2
	v_mul_u64_e32 v[28:29], s[78:79], v[2:3]
	s_delay_alu instid0(VALU_DEP_1)
	v_lshl_add_u64 v[28:29], v[28:29], 2, v[26:27]
	flat_load_b32 v28, v[28:29]
.LBB113_1116:                           ;   in Loop: Header=BB113_1110 Depth=2
	s_wait_xcnt 0x0
	s_or_b32 exec_lo, exec_lo, s85
	s_wait_loadcnt_dscnt 0x0
	ds_store_b32 v67, v28
.LBB113_1117:                           ;   in Loop: Header=BB113_1110 Depth=2
	s_or_b32 exec_lo, exec_lo, s82
	v_add_nc_u32_e32 v2, s65, v32
	v_cmp_ne_u32_e32 vcc_lo, s34, v33
	s_wait_dscnt 0x0
	s_barrier_signal -1
	s_barrier_wait -1
	v_cmp_gt_i32_e64 s65, s83, v2
	v_lshl_add_u64 v[28:29], v[2:3], 2, v[24:25]
	v_cndmask_b32_e64 v82, 0, 1, vcc_lo
	s_and_b32 s82, s65, s0
	s_delay_alu instid0(SALU_CYCLE_1)
	s_and_saveexec_b32 s65, s82
	s_cbranch_execz .LBB113_1121
; %bb.1118:                             ;   in Loop: Header=BB113_1110 Depth=2
	v_mov_b32_e32 v83, v78
	s_and_not1_b32 vcc_lo, exec_lo, vcc_lo
	s_cbranch_vccnz .LBB113_1120
; %bb.1119:                             ;   in Loop: Header=BB113_1110 Depth=2
	flat_load_b32 v83, v[28:29]
.LBB113_1120:                           ;   in Loop: Header=BB113_1110 Depth=2
	ds_load_b32 v84, v66
	s_wait_loadcnt_dscnt 0x0
	v_fmac_f32_e32 v30, v83, v84
.LBB113_1121:                           ;   in Loop: Header=BB113_1110 Depth=2
	s_or_b32 exec_lo, exec_lo, s65
	v_add_nc_u32_e32 v83, 16, v2
	s_delay_alu instid0(VALU_DEP_1) | instskip(SKIP_1) | instid1(SALU_CYCLE_1)
	v_cmp_gt_i32_e32 vcc_lo, s83, v83
	s_and_b32 s82, vcc_lo, s0
	s_and_saveexec_b32 s65, s82
	s_cbranch_execz .LBB113_1125
; %bb.1122:                             ;   in Loop: Header=BB113_1110 Depth=2
	v_cmp_ne_u32_e32 vcc_lo, 1, v82
	v_mov_b32_e32 v83, v79
	s_cbranch_vccnz .LBB113_1124
; %bb.1123:                             ;   in Loop: Header=BB113_1110 Depth=2
	flat_load_b32 v83, v[28:29] offset:64
.LBB113_1124:                           ;   in Loop: Header=BB113_1110 Depth=2
	ds_load_b32 v84, v66 offset:64
	s_wait_loadcnt_dscnt 0x0
	v_fmac_f32_e32 v30, v83, v84
.LBB113_1125:                           ;   in Loop: Header=BB113_1110 Depth=2
	s_or_b32 exec_lo, exec_lo, s65
	v_add_nc_u32_e32 v83, 32, v2
	s_delay_alu instid0(VALU_DEP_1) | instskip(SKIP_1) | instid1(SALU_CYCLE_1)
	v_cmp_gt_i32_e32 vcc_lo, s83, v83
	s_and_b32 s82, vcc_lo, s0
	s_and_saveexec_b32 s65, s82
	s_cbranch_execz .LBB113_1129
; %bb.1126:                             ;   in Loop: Header=BB113_1110 Depth=2
	v_cmp_ne_u32_e32 vcc_lo, 1, v82
	v_mov_b32_e32 v83, v80
	s_cbranch_vccnz .LBB113_1128
; %bb.1127:                             ;   in Loop: Header=BB113_1110 Depth=2
	flat_load_b32 v83, v[28:29] offset:128
.LBB113_1128:                           ;   in Loop: Header=BB113_1110 Depth=2
	ds_load_b32 v84, v66 offset:128
	s_wait_loadcnt_dscnt 0x0
	v_fmac_f32_e32 v30, v83, v84
.LBB113_1129:                           ;   in Loop: Header=BB113_1110 Depth=2
	s_or_b32 exec_lo, exec_lo, s65
	v_add_nc_u32_e32 v2, 48, v2
	s_delay_alu instid0(VALU_DEP_1) | instskip(SKIP_1) | instid1(SALU_CYCLE_1)
	v_cmp_gt_i32_e32 vcc_lo, s83, v2
	s_and_b32 s82, vcc_lo, s0
	s_and_saveexec_b32 s65, s82
	s_cbranch_execz .LBB113_1109
; %bb.1130:                             ;   in Loop: Header=BB113_1110 Depth=2
	v_cmp_ne_u32_e32 vcc_lo, 1, v82
	v_mov_b32_e32 v2, v81
	s_cbranch_vccnz .LBB113_1108
; %bb.1131:                             ;   in Loop: Header=BB113_1110 Depth=2
	flat_load_b32 v2, v[28:29] offset:192
	s_branch .LBB113_1108
.LBB113_1132:                           ;   in Loop: Header=BB113_3 Depth=1
	ds_store_b32 v68, v30
	s_wait_dscnt 0x0
	s_barrier_signal -1
	s_barrier_wait -1
	s_and_saveexec_b32 s34, s3
	s_cbranch_execz .LBB113_1134
; %bb.1133:                             ;   in Loop: Header=BB113_3 Depth=1
	ds_load_2addr_stride64_b32 v[24:25], v69 offset0:1 offset1:2
	ds_load_2addr_stride64_b32 v[28:29], v69 offset0:3 offset1:4
	;; [unrolled: 1-line block ×4, first 2 shown]
	v_readlane_b32 s65, v87, 1
	s_wait_dscnt 0x3
	v_add_f32_e32 v2, v30, v24
	s_delay_alu instid0(VALU_DEP_1) | instskip(SKIP_3) | instid1(VALU_DEP_1)
	v_add_f32_e32 v2, v2, v25
	ds_load_2addr_stride64_b32 v[24:25], v69 offset0:9 offset1:10
	s_wait_dscnt 0x3
	v_add_f32_e32 v2, v2, v28
	v_add_f32_e32 v2, v2, v29
	ds_load_2addr_stride64_b32 v[28:29], v69 offset0:11 offset1:12
	s_wait_dscnt 0x3
	v_add_f32_e32 v2, v2, v82
	ds_load_2addr_stride64_b32 v[30:31], v69 offset0:13 offset1:14
	ds_load_b32 v82, v69 offset:3840
	v_add_f32_e32 v2, v2, v83
	s_wait_dscnt 0x4
	s_delay_alu instid0(VALU_DEP_1) | instskip(NEXT) | instid1(VALU_DEP_1)
	v_add_f32_e32 v2, v2, v84
	v_add_f32_e32 v2, v2, v85
	s_wait_dscnt 0x3
	s_delay_alu instid0(VALU_DEP_1) | instskip(NEXT) | instid1(VALU_DEP_1)
	v_add_f32_e32 v2, v2, v24
	;; [unrolled: 4-line block ×5, first 2 shown]
	v_cndmask_b32_e64 v30, -v2, 0, s65
.LBB113_1134:                           ;   in Loop: Header=BB113_3 Depth=1
	s_or_b32 exec_lo, exec_lo, s34
	s_delay_alu instid0(SALU_CYCLE_1)
	s_and_not1_b32 vcc_lo, exec_lo, s88
	s_cbranch_vccnz .LBB113_1144
; %bb.1135:                             ;   in Loop: Header=BB113_3 Depth=1
	s_and_saveexec_b32 s34, s3
; %bb.1136:                             ;   in Loop: Header=BB113_3 Depth=1
	ds_store_b32 v71, v30
; %bb.1137:                             ;   in Loop: Header=BB113_3 Depth=1
	s_or_b32 exec_lo, exec_lo, s34
	v_mov_b32_e32 v2, 0
	s_wait_dscnt 0x0
	s_barrier_signal -1
	s_barrier_wait -1
	s_and_saveexec_b32 s34, s1
	s_cbranch_execnz .LBB113_1199
; %bb.1138:                             ;   in Loop: Header=BB113_3 Depth=1
	s_or_b32 exec_lo, exec_lo, s34
	s_and_saveexec_b32 s34, s8
	s_cbranch_execnz .LBB113_1200
.LBB113_1139:                           ;   in Loop: Header=BB113_3 Depth=1
	s_or_b32 exec_lo, exec_lo, s34
	s_and_saveexec_b32 s34, s9
	s_cbranch_execnz .LBB113_1201
.LBB113_1140:                           ;   in Loop: Header=BB113_3 Depth=1
	s_or_b32 exec_lo, exec_lo, s34
	s_and_saveexec_b32 s34, s10
	s_cbranch_execz .LBB113_1142
.LBB113_1141:                           ;   in Loop: Header=BB113_3 Depth=1
	ds_load_b32 v24, v70 offset:12288
	ds_load_b32 v25, v66 offset:192
	s_wait_dscnt 0x0
	v_fmac_f32_e32 v2, v24, v25
.LBB113_1142:                           ;   in Loop: Header=BB113_3 Depth=1
	s_or_b32 exec_lo, exec_lo, s34
	s_mov_b32 s34, 0
	s_mov_b32 s65, 0
	ds_store_b32 v68, v2
	s_wait_dscnt 0x0
	s_barrier_signal -1
	s_barrier_wait -1
                                        ; implicit-def: $vgpr24
	s_and_saveexec_b32 s80, s3
	s_cbranch_execz .LBB113_1202
; %bb.1143:                             ;   in Loop: Header=BB113_3 Depth=1
	ds_load_2addr_stride64_b32 v[24:25], v69 offset0:1 offset1:2
	ds_load_2addr_stride64_b32 v[28:29], v69 offset0:3 offset1:4
	;; [unrolled: 1-line block ×4, first 2 shown]
	s_mov_b32 s65, exec_lo
	s_wait_dscnt 0x3
	v_add_f32_e32 v2, v2, v24
	s_delay_alu instid0(VALU_DEP_1) | instskip(SKIP_3) | instid1(VALU_DEP_1)
	v_add_f32_e32 v2, v25, v2
	ds_load_2addr_stride64_b32 v[24:25], v69 offset0:9 offset1:10
	s_wait_dscnt 0x3
	v_add_f32_e32 v2, v28, v2
	v_add_f32_e32 v2, v29, v2
	ds_load_2addr_stride64_b32 v[28:29], v69 offset0:11 offset1:12
	s_wait_dscnt 0x3
	v_add_f32_e32 v2, v82, v2
	s_delay_alu instid0(VALU_DEP_1) | instskip(SKIP_4) | instid1(VALU_DEP_1)
	v_add_f32_e32 v2, v83, v2
	ds_load_2addr_stride64_b32 v[82:83], v69 offset0:13 offset1:14
	ds_load_b32 v31, v69 offset:3840
	s_wait_dscnt 0x4
	v_add_f32_e32 v2, v84, v2
	v_add_f32_e32 v2, v85, v2
	s_wait_dscnt 0x3
	s_delay_alu instid0(VALU_DEP_1) | instskip(NEXT) | instid1(VALU_DEP_1)
	v_add_f32_e32 v2, v24, v2
	v_add_f32_e32 v2, v25, v2
	s_wait_dscnt 0x2
	s_delay_alu instid0(VALU_DEP_1) | instskip(NEXT) | instid1(VALU_DEP_1)
	;; [unrolled: 4-line block ×3, first 2 shown]
	v_add_f32_e32 v2, v82, v2
	v_add_f32_e32 v2, v83, v2
	s_wait_dscnt 0x0
	s_delay_alu instid0(VALU_DEP_1) | instskip(SKIP_1) | instid1(SALU_CYCLE_1)
	v_add_f32_e32 v24, v31, v2
	s_or_b32 exec_lo, exec_lo, s80
	s_and_b32 vcc_lo, exec_lo, s34
	s_cbranch_vccnz .LBB113_1145
	s_branch .LBB113_1203
.LBB113_1144:                           ;   in Loop: Header=BB113_3 Depth=1
	s_mov_b32 s65, 0
                                        ; implicit-def: $vgpr24
	s_cbranch_execz .LBB113_1203
.LBB113_1145:                           ;   in Loop: Header=BB113_3 Depth=1
	v_dual_mov_b32 v2, v4 :: v_dual_mov_b32 v24, v77
	s_mov_b32 s34, 0
	s_branch .LBB113_1147
.LBB113_1146:                           ;   in Loop: Header=BB113_1147 Depth=2
	s_or_b32 exec_lo, exec_lo, s80
	v_add_nc_u32_e32 v24, 0x400, v24
	v_add_nc_u32_e32 v2, -4, v2
	s_add_co_i32 s34, s34, 4
	s_delay_alu instid0(SALU_CYCLE_1)
	s_cmp_lg_u32 s34, 64
	s_barrier_signal -1
	s_barrier_wait -1
	s_cbranch_scc0 .LBB113_1163
.LBB113_1147:                           ;   Parent Loop BB113_3 Depth=1
                                        ; =>  This Inner Loop Header: Depth=2
	s_delay_alu instid0(VALU_DEP_1) | instskip(SKIP_2) | instid1(SALU_CYCLE_1)
	v_cmp_eq_u32_e32 vcc_lo, 0, v2
	v_add_nc_u32_e32 v25, v62, v36
	s_and_b32 s81, s3, vcc_lo
	s_and_saveexec_b32 s80, s81
	s_cbranch_execz .LBB113_1149
; %bb.1148:                             ;   in Loop: Header=BB113_1147 Depth=2
	ds_load_b32 v28, v25
	s_wait_dscnt 0x0
	v_mul_f32_e32 v30, v30, v28
	ds_store_b32 v3, v30 offset:20736
.LBB113_1149:                           ;   in Loop: Header=BB113_1147 Depth=2
	s_or_b32 exec_lo, exec_lo, s80
	v_cmp_lt_u32_e32 vcc_lo, s34, v4
	s_wait_dscnt 0x0
	s_barrier_signal -1
	s_barrier_wait -1
	s_and_b32 s81, s3, vcc_lo
	s_delay_alu instid0(SALU_CYCLE_1)
	s_and_saveexec_b32 s80, s81
	s_cbranch_execz .LBB113_1151
; %bb.1150:                             ;   in Loop: Header=BB113_1147 Depth=2
	ds_load_b32 v28, v24
	ds_load_b32 v29, v3 offset:20736
	s_wait_dscnt 0x0
	v_fmac_f32_e32 v30, v28, v29
.LBB113_1151:                           ;   in Loop: Header=BB113_1147 Depth=2
	s_or_b32 exec_lo, exec_lo, s80
	s_or_b32 s80, s34, 1
	s_delay_alu instid0(SALU_CYCLE_1) | instskip(SKIP_3) | instid1(SALU_CYCLE_1)
	v_cmp_eq_u32_e32 vcc_lo, s80, v4
	s_barrier_signal -1
	s_barrier_wait -1
	s_and_b32 s82, s3, vcc_lo
	s_and_saveexec_b32 s81, s82
	s_cbranch_execz .LBB113_1153
; %bb.1152:                             ;   in Loop: Header=BB113_1147 Depth=2
	ds_load_b32 v28, v25
	s_wait_dscnt 0x0
	v_mul_f32_e32 v30, v30, v28
	ds_store_b32 v3, v30 offset:20736
.LBB113_1153:                           ;   in Loop: Header=BB113_1147 Depth=2
	s_or_b32 exec_lo, exec_lo, s81
	v_cmp_lt_u32_e32 vcc_lo, s80, v4
	s_wait_dscnt 0x0
	s_barrier_signal -1
	s_barrier_wait -1
	s_and_b32 s81, s3, vcc_lo
	s_delay_alu instid0(SALU_CYCLE_1)
	s_and_saveexec_b32 s80, s81
	s_cbranch_execz .LBB113_1155
; %bb.1154:                             ;   in Loop: Header=BB113_1147 Depth=2
	ds_load_b32 v28, v24 offset:256
	ds_load_b32 v29, v3 offset:20736
	s_wait_dscnt 0x0
	v_fmac_f32_e32 v30, v28, v29
.LBB113_1155:                           ;   in Loop: Header=BB113_1147 Depth=2
	s_or_b32 exec_lo, exec_lo, s80
	s_or_b32 s80, s34, 2
	s_delay_alu instid0(SALU_CYCLE_1) | instskip(SKIP_3) | instid1(SALU_CYCLE_1)
	v_cmp_eq_u32_e32 vcc_lo, s80, v4
	s_barrier_signal -1
	s_barrier_wait -1
	s_and_b32 s82, s3, vcc_lo
	s_and_saveexec_b32 s81, s82
	s_cbranch_execz .LBB113_1157
; %bb.1156:                             ;   in Loop: Header=BB113_1147 Depth=2
	ds_load_b32 v28, v25
	s_wait_dscnt 0x0
	v_mul_f32_e32 v30, v30, v28
	ds_store_b32 v3, v30 offset:20736
.LBB113_1157:                           ;   in Loop: Header=BB113_1147 Depth=2
	s_or_b32 exec_lo, exec_lo, s81
	v_cmp_lt_u32_e32 vcc_lo, s80, v4
	s_wait_dscnt 0x0
	s_barrier_signal -1
	s_barrier_wait -1
	s_and_b32 s81, s3, vcc_lo
	s_delay_alu instid0(SALU_CYCLE_1)
	s_and_saveexec_b32 s80, s81
	s_cbranch_execz .LBB113_1159
; %bb.1158:                             ;   in Loop: Header=BB113_1147 Depth=2
	ds_load_b32 v28, v24 offset:512
	ds_load_b32 v29, v3 offset:20736
	s_wait_dscnt 0x0
	v_fmac_f32_e32 v30, v28, v29
.LBB113_1159:                           ;   in Loop: Header=BB113_1147 Depth=2
	s_or_b32 exec_lo, exec_lo, s80
	s_or_b32 s80, s34, 3
	s_delay_alu instid0(SALU_CYCLE_1) | instskip(SKIP_3) | instid1(SALU_CYCLE_1)
	v_cmp_eq_u32_e32 vcc_lo, s80, v4
	s_barrier_signal -1
	s_barrier_wait -1
	s_and_b32 s82, s3, vcc_lo
	s_and_saveexec_b32 s81, s82
	s_cbranch_execz .LBB113_1161
; %bb.1160:                             ;   in Loop: Header=BB113_1147 Depth=2
	ds_load_b32 v25, v25
	s_wait_dscnt 0x0
	v_mul_f32_e32 v30, v30, v25
	ds_store_b32 v3, v30 offset:20736
.LBB113_1161:                           ;   in Loop: Header=BB113_1147 Depth=2
	s_or_b32 exec_lo, exec_lo, s81
	v_cmp_lt_u32_e32 vcc_lo, s80, v4
	s_wait_dscnt 0x0
	s_barrier_signal -1
	s_barrier_wait -1
	s_and_b32 s81, s3, vcc_lo
	s_delay_alu instid0(SALU_CYCLE_1)
	s_and_saveexec_b32 s80, s81
	s_cbranch_execz .LBB113_1146
; %bb.1162:                             ;   in Loop: Header=BB113_1147 Depth=2
	ds_load_b32 v25, v24 offset:768
	ds_load_b32 v28, v3 offset:20736
	s_wait_dscnt 0x0
	v_fmac_f32_e32 v30, v25, v28
	s_branch .LBB113_1146
.LBB113_1163:                           ;   in Loop: Header=BB113_3 Depth=1
	s_and_b32 vcc_lo, exec_lo, s86
	s_mov_b32 s34, -1
	s_cbranch_vccz .LBB113_1165
; %bb.1164:                             ;   in Loop: Header=BB113_3 Depth=1
	s_and_not1_b32 s65, s65, exec_lo
	s_and_b32 s80, s3, exec_lo
	s_mov_b32 s34, 0
	s_or_b32 s65, s65, s80
.LBB113_1165:                           ;   in Loop: Header=BB113_3 Depth=1
	s_and_not1_b32 vcc_lo, exec_lo, s34
	s_cbranch_vccnz .LBB113_1167
; %bb.1166:                             ;   in Loop: Header=BB113_3 Depth=1
	s_and_not1_b32 s34, s65, exec_lo
	v_readlane_b32 s65, v87, 2
	s_and_b32 s65, s65, exec_lo
	s_delay_alu instid0(SALU_CYCLE_1)
	s_or_b32 s65, s34, s65
.LBB113_1167:                           ;   in Loop: Header=BB113_3 Depth=1
	v_mov_b64_e32 v[24:25], v[22:23]
	s_and_saveexec_b32 s34, s65
	s_cbranch_execnz .LBB113_1204
	s_branch .LBB113_1205
.LBB113_1168:                           ;   in Loop: Header=BB113_3 Depth=1
	s_mov_b32 s65, exec_lo
	v_readlane_b32 s80, v87, 11
	s_and_b32 s80, s65, s80
	s_delay_alu instid0(SALU_CYCLE_1)
	s_xor_b32 s65, s80, s65
	s_mov_b32 exec_lo, s80
	s_cbranch_execz .LBB113_1172
; %bb.1169:                             ;   in Loop: Header=BB113_3 Depth=1
	s_mov_b32 s80, exec_lo
	v_readlane_b32 s81, v86, 21
	s_and_b32 s81, s80, s81
	s_delay_alu instid0(SALU_CYCLE_1)
	s_mov_b32 exec_lo, s81
; %bb.1170:                             ;   in Loop: Header=BB113_3 Depth=1
	ds_store_b32 v72, v3
; %bb.1171:                             ;   in Loop: Header=BB113_3 Depth=1
	s_or_b32 exec_lo, exec_lo, s80
.LBB113_1172:                           ;   in Loop: Header=BB113_3 Depth=1
	s_and_not1_saveexec_b32 s65, s65
	s_cbranch_execz .LBB113_1174
; %bb.1173:                             ;   in Loop: Header=BB113_3 Depth=1
	v_lshl_add_u64 v[30:31], v[12:13], 2, v[28:29]
	flat_load_b32 v2, v[30:31]
	s_wait_loadcnt_dscnt 0x0
	v_div_scale_f32 v30, null, v2, v2, 1.0
	s_delay_alu instid0(VALU_DEP_1) | instskip(SKIP_1) | instid1(TRANS32_DEP_1)
	v_rcp_f32_e32 v31, v30
	v_nop
	v_fma_f32 v82, -v30, v31, 1.0
	s_delay_alu instid0(VALU_DEP_1) | instskip(SKIP_1) | instid1(VALU_DEP_1)
	v_fmac_f32_e32 v31, v82, v31
	v_div_scale_f32 v82, vcc_lo, 1.0, v2, 1.0
	v_mul_f32_e32 v83, v82, v31
	s_delay_alu instid0(VALU_DEP_1) | instskip(NEXT) | instid1(VALU_DEP_1)
	v_fma_f32 v84, -v30, v83, v82
	v_fmac_f32_e32 v83, v84, v31
	s_delay_alu instid0(VALU_DEP_1) | instskip(NEXT) | instid1(VALU_DEP_1)
	v_fma_f32 v30, -v30, v83, v82
	v_div_fmas_f32 v30, v30, v31, v83
	s_delay_alu instid0(VALU_DEP_1)
	v_div_fixup_f32 v2, v30, v2, 1.0
	ds_store_b32 v72, v2
.LBB113_1174:                           ;   in Loop: Header=BB113_3 Depth=1
	s_or_b32 exec_lo, exec_lo, s65
	s_and_not1_saveexec_b32 s34, s34
	s_cbranch_execz .LBB113_17
.LBB113_1175:                           ;   in Loop: Header=BB113_3 Depth=1
	v_lshl_add_u64 v[30:31], v[12:13], 2, v[28:29]
	flat_load_b32 v2, v[30:31]
	s_wait_loadcnt_dscnt 0x0
	v_xor_b32_e32 v2, 0x80000000, v2
	ds_store_b32 v72, v2
	s_or_b32 exec_lo, exec_lo, s34
	s_and_saveexec_b32 s34, s8
	s_delay_alu instid0(SALU_CYCLE_1)
	s_xor_b32 s34, exec_lo, s34
	s_cbranch_execz .LBB113_18
.LBB113_1176:                           ;   in Loop: Header=BB113_3 Depth=1
	s_mov_b32 s65, exec_lo
	v_readlane_b32 s80, v87, 13
	s_and_b32 s80, s65, s80
	s_delay_alu instid0(SALU_CYCLE_1)
	s_xor_b32 s65, s80, s65
	s_mov_b32 exec_lo, s80
	s_cbranch_execz .LBB113_1180
; %bb.1177:                             ;   in Loop: Header=BB113_3 Depth=1
	s_mov_b32 s80, exec_lo
	v_readlane_b32 s81, v86, 22
	s_and_b32 s81, s80, s81
	s_delay_alu instid0(SALU_CYCLE_1)
	s_mov_b32 exec_lo, s81
; %bb.1178:                             ;   in Loop: Header=BB113_3 Depth=1
	ds_store_b32 v73, v3
; %bb.1179:                             ;   in Loop: Header=BB113_3 Depth=1
	s_or_b32 exec_lo, exec_lo, s80
.LBB113_1180:                           ;   in Loop: Header=BB113_3 Depth=1
	s_and_not1_saveexec_b32 s65, s65
	s_cbranch_execz .LBB113_1182
; %bb.1181:                             ;   in Loop: Header=BB113_3 Depth=1
	v_lshl_add_u64 v[30:31], v[14:15], 2, v[28:29]
	flat_load_b32 v2, v[30:31]
	s_wait_loadcnt_dscnt 0x0
	v_div_scale_f32 v30, null, v2, v2, 1.0
	s_delay_alu instid0(VALU_DEP_1) | instskip(SKIP_1) | instid1(TRANS32_DEP_1)
	v_rcp_f32_e32 v31, v30
	v_nop
	v_fma_f32 v82, -v30, v31, 1.0
	s_delay_alu instid0(VALU_DEP_1) | instskip(SKIP_1) | instid1(VALU_DEP_1)
	v_fmac_f32_e32 v31, v82, v31
	v_div_scale_f32 v82, vcc_lo, 1.0, v2, 1.0
	v_mul_f32_e32 v83, v82, v31
	s_delay_alu instid0(VALU_DEP_1) | instskip(NEXT) | instid1(VALU_DEP_1)
	v_fma_f32 v84, -v30, v83, v82
	v_fmac_f32_e32 v83, v84, v31
	s_delay_alu instid0(VALU_DEP_1) | instskip(NEXT) | instid1(VALU_DEP_1)
	v_fma_f32 v30, -v30, v83, v82
	v_div_fmas_f32 v30, v30, v31, v83
	s_delay_alu instid0(VALU_DEP_1)
	v_div_fixup_f32 v2, v30, v2, 1.0
	ds_store_b32 v73, v2
.LBB113_1182:                           ;   in Loop: Header=BB113_3 Depth=1
	s_or_b32 exec_lo, exec_lo, s65
	s_and_not1_saveexec_b32 s34, s34
	s_cbranch_execz .LBB113_19
.LBB113_1183:                           ;   in Loop: Header=BB113_3 Depth=1
	v_lshl_add_u64 v[30:31], v[14:15], 2, v[28:29]
	flat_load_b32 v2, v[30:31]
	s_wait_loadcnt_dscnt 0x0
	v_xor_b32_e32 v2, 0x80000000, v2
	ds_store_b32 v73, v2
	s_or_b32 exec_lo, exec_lo, s34
	s_and_saveexec_b32 s34, s9
	s_delay_alu instid0(SALU_CYCLE_1)
	s_xor_b32 s34, exec_lo, s34
	s_cbranch_execz .LBB113_20
.LBB113_1184:                           ;   in Loop: Header=BB113_3 Depth=1
	s_mov_b32 s65, exec_lo
	v_readlane_b32 s80, v87, 15
	s_and_b32 s80, s65, s80
	s_delay_alu instid0(SALU_CYCLE_1)
	s_xor_b32 s65, s80, s65
	s_mov_b32 exec_lo, s80
	s_cbranch_execz .LBB113_1188
; %bb.1185:                             ;   in Loop: Header=BB113_3 Depth=1
	s_mov_b32 s80, exec_lo
	v_readlane_b32 s81, v86, 23
	s_and_b32 s81, s80, s81
	s_delay_alu instid0(SALU_CYCLE_1)
	s_mov_b32 exec_lo, s81
; %bb.1186:                             ;   in Loop: Header=BB113_3 Depth=1
	ds_store_b32 v74, v3
; %bb.1187:                             ;   in Loop: Header=BB113_3 Depth=1
	s_or_b32 exec_lo, exec_lo, s80
.LBB113_1188:                           ;   in Loop: Header=BB113_3 Depth=1
	s_and_not1_saveexec_b32 s65, s65
	s_cbranch_execz .LBB113_1190
; %bb.1189:                             ;   in Loop: Header=BB113_3 Depth=1
	v_lshl_add_u64 v[30:31], v[16:17], 2, v[28:29]
	flat_load_b32 v2, v[30:31]
	s_wait_loadcnt_dscnt 0x0
	v_div_scale_f32 v30, null, v2, v2, 1.0
	s_delay_alu instid0(VALU_DEP_1) | instskip(SKIP_1) | instid1(TRANS32_DEP_1)
	v_rcp_f32_e32 v31, v30
	v_nop
	v_fma_f32 v82, -v30, v31, 1.0
	s_delay_alu instid0(VALU_DEP_1) | instskip(SKIP_1) | instid1(VALU_DEP_1)
	v_fmac_f32_e32 v31, v82, v31
	v_div_scale_f32 v82, vcc_lo, 1.0, v2, 1.0
	v_mul_f32_e32 v83, v82, v31
	s_delay_alu instid0(VALU_DEP_1) | instskip(NEXT) | instid1(VALU_DEP_1)
	v_fma_f32 v84, -v30, v83, v82
	v_fmac_f32_e32 v83, v84, v31
	s_delay_alu instid0(VALU_DEP_1) | instskip(NEXT) | instid1(VALU_DEP_1)
	v_fma_f32 v30, -v30, v83, v82
	v_div_fmas_f32 v30, v30, v31, v83
	s_delay_alu instid0(VALU_DEP_1)
	v_div_fixup_f32 v2, v30, v2, 1.0
	ds_store_b32 v74, v2
.LBB113_1190:                           ;   in Loop: Header=BB113_3 Depth=1
	s_or_b32 exec_lo, exec_lo, s65
	s_and_not1_saveexec_b32 s34, s34
	s_cbranch_execz .LBB113_21
.LBB113_1191:                           ;   in Loop: Header=BB113_3 Depth=1
	v_lshl_add_u64 v[30:31], v[16:17], 2, v[28:29]
	flat_load_b32 v2, v[30:31]
	s_wait_loadcnt_dscnt 0x0
	v_xor_b32_e32 v2, 0x80000000, v2
	ds_store_b32 v74, v2
	s_or_b32 exec_lo, exec_lo, s34
	s_and_saveexec_b32 s34, s10
	s_delay_alu instid0(SALU_CYCLE_1)
	s_xor_b32 s34, exec_lo, s34
	s_cbranch_execz .LBB113_22
.LBB113_1192:                           ;   in Loop: Header=BB113_3 Depth=1
	s_mov_b32 s65, exec_lo
	v_readlane_b32 s80, v87, 17
	s_and_b32 s80, s65, s80
	s_delay_alu instid0(SALU_CYCLE_1)
	s_xor_b32 s65, s80, s65
	s_mov_b32 exec_lo, s80
	s_cbranch_execz .LBB113_1196
; %bb.1193:                             ;   in Loop: Header=BB113_3 Depth=1
	s_mov_b32 s80, exec_lo
	v_readlane_b32 s81, v86, 24
	s_and_b32 s81, s80, s81
	s_delay_alu instid0(SALU_CYCLE_1)
	s_mov_b32 exec_lo, s81
; %bb.1194:                             ;   in Loop: Header=BB113_3 Depth=1
	ds_store_b32 v75, v3
; %bb.1195:                             ;   in Loop: Header=BB113_3 Depth=1
	s_or_b32 exec_lo, exec_lo, s80
.LBB113_1196:                           ;   in Loop: Header=BB113_3 Depth=1
	s_and_not1_saveexec_b32 s65, s65
	s_cbranch_execz .LBB113_1198
; %bb.1197:                             ;   in Loop: Header=BB113_3 Depth=1
	v_lshl_add_u64 v[30:31], v[18:19], 2, v[28:29]
	flat_load_b32 v2, v[30:31]
	s_wait_loadcnt_dscnt 0x0
	v_div_scale_f32 v30, null, v2, v2, 1.0
	s_delay_alu instid0(VALU_DEP_1) | instskip(SKIP_1) | instid1(TRANS32_DEP_1)
	v_rcp_f32_e32 v31, v30
	v_nop
	v_fma_f32 v82, -v30, v31, 1.0
	s_delay_alu instid0(VALU_DEP_1) | instskip(SKIP_1) | instid1(VALU_DEP_1)
	v_fmac_f32_e32 v31, v82, v31
	v_div_scale_f32 v82, vcc_lo, 1.0, v2, 1.0
	v_mul_f32_e32 v83, v82, v31
	s_delay_alu instid0(VALU_DEP_1) | instskip(NEXT) | instid1(VALU_DEP_1)
	v_fma_f32 v84, -v30, v83, v82
	v_fmac_f32_e32 v83, v84, v31
	s_delay_alu instid0(VALU_DEP_1) | instskip(NEXT) | instid1(VALU_DEP_1)
	v_fma_f32 v30, -v30, v83, v82
	v_div_fmas_f32 v30, v30, v31, v83
	s_delay_alu instid0(VALU_DEP_1)
	v_div_fixup_f32 v2, v30, v2, 1.0
	ds_store_b32 v75, v2
.LBB113_1198:                           ;   in Loop: Header=BB113_3 Depth=1
	s_or_b32 exec_lo, exec_lo, s65
	s_and_not1_saveexec_b32 s34, s34
	s_cbranch_execnz .LBB113_23
	s_branch .LBB113_24
.LBB113_1199:                           ;   in Loop: Header=BB113_3 Depth=1
	ds_load_b32 v2, v70
	ds_load_b32 v24, v66
	s_wait_dscnt 0x0
	v_fma_f32 v2, v2, v24, 0
	s_or_b32 exec_lo, exec_lo, s34
	s_and_saveexec_b32 s34, s8
	s_cbranch_execz .LBB113_1139
.LBB113_1200:                           ;   in Loop: Header=BB113_3 Depth=1
	ds_load_b32 v24, v70 offset:4096
	ds_load_b32 v25, v66 offset:64
	s_wait_dscnt 0x0
	v_fmac_f32_e32 v2, v24, v25
	s_or_b32 exec_lo, exec_lo, s34
	s_and_saveexec_b32 s34, s9
	s_cbranch_execz .LBB113_1140
.LBB113_1201:                           ;   in Loop: Header=BB113_3 Depth=1
	ds_load_b32 v24, v70 offset:8192
	ds_load_b32 v25, v66 offset:128
	s_wait_dscnt 0x0
	v_fmac_f32_e32 v2, v24, v25
	s_or_b32 exec_lo, exec_lo, s34
	s_and_saveexec_b32 s34, s10
	s_cbranch_execnz .LBB113_1141
	s_branch .LBB113_1142
.LBB113_1202:                           ;   in Loop: Header=BB113_3 Depth=1
	s_or_b32 exec_lo, exec_lo, s80
	s_delay_alu instid0(SALU_CYCLE_1)
	s_and_b32 vcc_lo, exec_lo, s34
	s_cbranch_vccnz .LBB113_1145
.LBB113_1203:                           ;   in Loop: Header=BB113_3 Depth=1
	v_mov_b32_e32 v30, v24
	v_mov_b64_e32 v[24:25], v[20:21]
	s_and_saveexec_b32 s34, s65
	s_cbranch_execz .LBB113_1205
.LBB113_1204:                           ;   in Loop: Header=BB113_3 Depth=1
	s_delay_alu instid0(VALU_DEP_1)
	v_lshl_add_u64 v[24:25], v[24:25], 2, v[26:27]
	flat_store_b32 v[24:25], v30
.LBB113_1205:                           ;   in Loop: Header=BB113_3 Depth=1
	s_wait_xcnt 0x0
	s_or_b32 exec_lo, exec_lo, s34
	global_wb scope:SCOPE_DEV
	s_wait_storecnt_dscnt 0x0
	global_inv scope:SCOPE_DEV
	s_wait_loadcnt 0x0
	s_barrier_signal -1
	s_barrier_wait -1
	s_and_saveexec_b32 s34, s59
	s_cbranch_execz .LBB113_2
; %bb.1206:                             ;   in Loop: Header=BB113_3 Depth=1
	s_lshl_b64 s[80:81], s[66:67], 2
	s_delay_alu instid0(SALU_CYCLE_1)
	s_add_nc_u64 s[80:81], s[76:77], s[80:81]
	global_load_b32 v2, v3, s[80:81]
	s_wait_loadcnt 0x0
	v_add_nc_u32_e32 v2, 1, v2
	global_store_b32 v3, v2, s[80:81]
	s_branch .LBB113_2
.LBB113_1207:                           ;   in Loop: Header=BB113_3 Depth=1
	ds_load_b32 v28, v41 offset:15840
	ds_load_b32 v29, v40 offset:16372
	s_wait_dscnt 0x0
	v_fmac_f32_e32 v2, v28, v29
	s_or_b32 exec_lo, exec_lo, s65
	s_and_saveexec_b32 s65, s18
	s_cbranch_execz .LBB113_88
.LBB113_1208:                           ;   in Loop: Header=BB113_3 Depth=1
	ds_load_b32 v28, v41 offset:16096
	ds_load_b32 v29, v40 offset:16376
	s_wait_dscnt 0x0
	v_fmac_f32_e32 v2, v28, v29
	s_or_b32 exec_lo, exec_lo, s65
	s_and_saveexec_b32 s65, s2
	s_cbranch_execnz .LBB113_89
	s_branch .LBB113_90
.LBB113_1209:                           ;   in Loop: Header=BB113_3 Depth=1
	ds_load_b32 v28, v46 offset:14784
	ds_load_b32 v29, v45 offset:16356
	s_wait_dscnt 0x0
	v_fmac_f32_e32 v2, v28, v29
	s_or_b32 exec_lo, exec_lo, s65
	s_and_saveexec_b32 s65, s20
	s_cbranch_execz .LBB113_130
.LBB113_1210:                           ;   in Loop: Header=BB113_3 Depth=1
	ds_load_b32 v28, v46 offset:15040
	ds_load_b32 v29, v45 offset:16360
	s_wait_dscnt 0x0
	v_fmac_f32_e32 v2, v28, v29
	s_or_b32 exec_lo, exec_lo, s65
	s_and_saveexec_b32 s65, s21
	s_cbranch_execz .LBB113_131
.LBB113_1211:                           ;   in Loop: Header=BB113_3 Depth=1
	ds_load_b32 v28, v46 offset:15296
	ds_load_b32 v29, v45 offset:16364
	s_wait_dscnt 0x0
	v_fmac_f32_e32 v2, v28, v29
	s_or_b32 exec_lo, exec_lo, s65
	s_and_saveexec_b32 s65, s22
	s_cbranch_execz .LBB113_132
.LBB113_1212:                           ;   in Loop: Header=BB113_3 Depth=1
	ds_load_b32 v28, v46 offset:15552
	ds_load_b32 v29, v45 offset:16368
	s_wait_dscnt 0x0
	v_fmac_f32_e32 v2, v28, v29
	s_or_b32 exec_lo, exec_lo, s65
	s_and_saveexec_b32 s65, s23
	s_cbranch_execz .LBB113_133
.LBB113_1213:                           ;   in Loop: Header=BB113_3 Depth=1
	ds_load_b32 v28, v46 offset:15808
	ds_load_b32 v29, v45 offset:16372
	s_wait_dscnt 0x0
	v_fmac_f32_e32 v2, v28, v29
	s_or_b32 exec_lo, exec_lo, s65
	s_and_saveexec_b32 s65, s4
	s_cbranch_execz .LBB113_134
.LBB113_1214:                           ;   in Loop: Header=BB113_3 Depth=1
	ds_load_b32 v28, v46 offset:16064
	ds_load_b32 v29, v45 offset:16376
	s_wait_dscnt 0x0
	v_fmac_f32_e32 v2, v28, v29
	s_or_b32 exec_lo, exec_lo, s65
	s_and_saveexec_b32 s65, s18
	s_cbranch_execnz .LBB113_135
	s_branch .LBB113_136
.LBB113_1215:                           ;   in Loop: Header=BB113_3 Depth=1
	ds_load_b32 v28, v41 offset:13760
	ds_load_b32 v29, v40 offset:14292
	s_wait_dscnt 0x0
	v_fmac_f32_e32 v2, v28, v29
	s_or_b32 exec_lo, exec_lo, s65
	s_and_saveexec_b32 s65, s18
	s_cbranch_execz .LBB113_192
.LBB113_1216:                           ;   in Loop: Header=BB113_3 Depth=1
	ds_load_b32 v28, v41 offset:14016
	ds_load_b32 v29, v40 offset:14296
	s_wait_dscnt 0x0
	v_fmac_f32_e32 v2, v28, v29
	s_or_b32 exec_lo, exec_lo, s65
	s_and_saveexec_b32 s65, s2
	s_cbranch_execnz .LBB113_193
	s_branch .LBB113_194
.LBB113_1217:                           ;   in Loop: Header=BB113_3 Depth=1
	ds_load_b32 v28, v50 offset:15232
	ds_load_b32 v29, v49 offset:16364
	s_wait_dscnt 0x0
	v_fmac_f32_e32 v2, v28, v29
	s_or_b32 exec_lo, exec_lo, s34
	s_and_saveexec_b32 s34, s5
	s_cbranch_execz .LBB113_254
.LBB113_1218:                           ;   in Loop: Header=BB113_3 Depth=1
	ds_load_b32 v28, v50 offset:15488
	ds_load_b32 v29, v49 offset:16368
	s_wait_dscnt 0x0
	v_fmac_f32_e32 v2, v28, v29
	s_or_b32 exec_lo, exec_lo, s34
	s_and_saveexec_b32 s34, s20
	s_cbranch_execz .LBB113_255
.LBB113_1219:                           ;   in Loop: Header=BB113_3 Depth=1
	ds_load_b32 v28, v50 offset:15744
	ds_load_b32 v29, v49 offset:16372
	s_wait_dscnt 0x0
	v_fmac_f32_e32 v2, v28, v29
	s_or_b32 exec_lo, exec_lo, s34
	s_and_saveexec_b32 s34, s22
	s_cbranch_execz .LBB113_256
.LBB113_1220:                           ;   in Loop: Header=BB113_3 Depth=1
	ds_load_b32 v28, v50 offset:16000
	ds_load_b32 v29, v49 offset:16376
	s_wait_dscnt 0x0
	v_fmac_f32_e32 v2, v28, v29
	s_or_b32 exec_lo, exec_lo, s34
	s_and_saveexec_b32 s34, s4
	s_cbranch_execnz .LBB113_257
	s_branch .LBB113_258
.LBB113_1221:                           ;   in Loop: Header=BB113_3 Depth=1
	ds_load_b32 v28, v41 offset:11680
	ds_load_b32 v29, v40 offset:12212
	s_wait_dscnt 0x0
	v_fmac_f32_e32 v2, v28, v29
	s_or_b32 exec_lo, exec_lo, s65
	s_and_saveexec_b32 s65, s18
	s_cbranch_execz .LBB113_346
.LBB113_1222:                           ;   in Loop: Header=BB113_3 Depth=1
	ds_load_b32 v28, v41 offset:11936
	ds_load_b32 v29, v40 offset:12216
	s_wait_dscnt 0x0
	v_fmac_f32_e32 v2, v28, v29
	s_or_b32 exec_lo, exec_lo, s65
	s_and_saveexec_b32 s65, s2
	s_cbranch_execnz .LBB113_347
	s_branch .LBB113_348
.LBB113_1223:                           ;   in Loop: Header=BB113_3 Depth=1
	ds_load_b32 v28, v46 offset:10624
	ds_load_b32 v29, v45 offset:12196
	s_wait_dscnt 0x0
	v_fmac_f32_e32 v2, v28, v29
	s_or_b32 exec_lo, exec_lo, s65
	s_and_saveexec_b32 s65, s20
	s_cbranch_execz .LBB113_388
.LBB113_1224:                           ;   in Loop: Header=BB113_3 Depth=1
	ds_load_b32 v28, v46 offset:10880
	ds_load_b32 v29, v45 offset:12200
	s_wait_dscnt 0x0
	v_fmac_f32_e32 v2, v28, v29
	s_or_b32 exec_lo, exec_lo, s65
	s_and_saveexec_b32 s65, s21
	s_cbranch_execz .LBB113_389
.LBB113_1225:                           ;   in Loop: Header=BB113_3 Depth=1
	ds_load_b32 v28, v46 offset:11136
	ds_load_b32 v29, v45 offset:12204
	s_wait_dscnt 0x0
	v_fmac_f32_e32 v2, v28, v29
	s_or_b32 exec_lo, exec_lo, s65
	s_and_saveexec_b32 s65, s22
	s_cbranch_execz .LBB113_390
.LBB113_1226:                           ;   in Loop: Header=BB113_3 Depth=1
	ds_load_b32 v28, v46 offset:11392
	ds_load_b32 v29, v45 offset:12208
	s_wait_dscnt 0x0
	v_fmac_f32_e32 v2, v28, v29
	s_or_b32 exec_lo, exec_lo, s65
	s_and_saveexec_b32 s65, s23
	s_cbranch_execz .LBB113_391
.LBB113_1227:                           ;   in Loop: Header=BB113_3 Depth=1
	ds_load_b32 v28, v46 offset:11648
	ds_load_b32 v29, v45 offset:12212
	s_wait_dscnt 0x0
	v_fmac_f32_e32 v2, v28, v29
	s_or_b32 exec_lo, exec_lo, s65
	s_and_saveexec_b32 s65, s4
	s_cbranch_execz .LBB113_392
.LBB113_1228:                           ;   in Loop: Header=BB113_3 Depth=1
	ds_load_b32 v28, v46 offset:11904
	ds_load_b32 v29, v45 offset:12216
	s_wait_dscnt 0x0
	v_fmac_f32_e32 v2, v28, v29
	s_or_b32 exec_lo, exec_lo, s65
	s_and_saveexec_b32 s65, s18
	s_cbranch_execnz .LBB113_393
	s_branch .LBB113_394
.LBB113_1229:                           ;   in Loop: Header=BB113_3 Depth=1
	ds_load_b32 v28, v41 offset:9600
	ds_load_b32 v29, v40 offset:10132
	s_wait_dscnt 0x0
	v_fmac_f32_e32 v2, v28, v29
	s_or_b32 exec_lo, exec_lo, s65
	s_and_saveexec_b32 s65, s18
	s_cbranch_execz .LBB113_450
.LBB113_1230:                           ;   in Loop: Header=BB113_3 Depth=1
	ds_load_b32 v28, v41 offset:9856
	ds_load_b32 v29, v40 offset:10136
	s_wait_dscnt 0x0
	v_fmac_f32_e32 v2, v28, v29
	s_or_b32 exec_lo, exec_lo, s65
	s_and_saveexec_b32 s65, s2
	s_cbranch_execnz .LBB113_451
	s_branch .LBB113_452
.LBB113_1231:                           ;   in Loop: Header=BB113_3 Depth=1
	ds_load_b32 v28, v64 offset:15616
	ds_load_b32 v29, v63 offset:16372
	s_wait_dscnt 0x0
	v_fmac_f32_e32 v2, v28, v29
	s_or_b32 exec_lo, exec_lo, s34
	s_and_saveexec_b32 s34, s5
	s_cbranch_execz .LBB113_548
.LBB113_1232:                           ;   in Loop: Header=BB113_3 Depth=1
	ds_load_b32 v28, v64 offset:15872
	ds_load_b32 v29, v63 offset:16376
	s_wait_dscnt 0x0
	v_fmac_f32_e32 v2, v28, v29
	s_or_b32 exec_lo, exec_lo, s34
	s_and_saveexec_b32 s34, s22
	s_cbranch_execnz .LBB113_549
	s_branch .LBB113_550
.LBB113_1233:                           ;   in Loop: Header=BB113_3 Depth=1
	ds_load_b32 v28, v41 offset:7520
	ds_load_b32 v29, v40 offset:8052
	s_wait_dscnt 0x0
	v_fmac_f32_e32 v2, v28, v29
	s_or_b32 exec_lo, exec_lo, s65
	s_and_saveexec_b32 s65, s18
	s_cbranch_execz .LBB113_702
.LBB113_1234:                           ;   in Loop: Header=BB113_3 Depth=1
	ds_load_b32 v28, v41 offset:7776
	ds_load_b32 v29, v40 offset:8056
	s_wait_dscnt 0x0
	v_fmac_f32_e32 v2, v28, v29
	s_or_b32 exec_lo, exec_lo, s65
	s_and_saveexec_b32 s65, s2
	s_cbranch_execnz .LBB113_703
	s_branch .LBB113_704
.LBB113_1235:                           ;   in Loop: Header=BB113_3 Depth=1
	ds_load_b32 v28, v46 offset:6464
	ds_load_b32 v29, v45 offset:8036
	s_wait_dscnt 0x0
	v_fmac_f32_e32 v2, v28, v29
	s_or_b32 exec_lo, exec_lo, s65
	s_and_saveexec_b32 s65, s20
	s_cbranch_execz .LBB113_744
.LBB113_1236:                           ;   in Loop: Header=BB113_3 Depth=1
	ds_load_b32 v28, v46 offset:6720
	ds_load_b32 v29, v45 offset:8040
	s_wait_dscnt 0x0
	v_fmac_f32_e32 v2, v28, v29
	s_or_b32 exec_lo, exec_lo, s65
	s_and_saveexec_b32 s65, s21
	s_cbranch_execz .LBB113_745
.LBB113_1237:                           ;   in Loop: Header=BB113_3 Depth=1
	ds_load_b32 v28, v46 offset:6976
	ds_load_b32 v29, v45 offset:8044
	s_wait_dscnt 0x0
	v_fmac_f32_e32 v2, v28, v29
	s_or_b32 exec_lo, exec_lo, s65
	s_and_saveexec_b32 s65, s22
	s_cbranch_execz .LBB113_746
.LBB113_1238:                           ;   in Loop: Header=BB113_3 Depth=1
	ds_load_b32 v28, v46 offset:7232
	ds_load_b32 v29, v45 offset:8048
	s_wait_dscnt 0x0
	v_fmac_f32_e32 v2, v28, v29
	s_or_b32 exec_lo, exec_lo, s65
	s_and_saveexec_b32 s65, s23
	s_cbranch_execz .LBB113_747
.LBB113_1239:                           ;   in Loop: Header=BB113_3 Depth=1
	ds_load_b32 v28, v46 offset:7488
	ds_load_b32 v29, v45 offset:8052
	s_wait_dscnt 0x0
	v_fmac_f32_e32 v2, v28, v29
	s_or_b32 exec_lo, exec_lo, s65
	s_and_saveexec_b32 s65, s4
	s_cbranch_execz .LBB113_748
.LBB113_1240:                           ;   in Loop: Header=BB113_3 Depth=1
	ds_load_b32 v28, v46 offset:7744
	ds_load_b32 v29, v45 offset:8056
	s_wait_dscnt 0x0
	v_fmac_f32_e32 v2, v28, v29
	s_or_b32 exec_lo, exec_lo, s65
	s_and_saveexec_b32 s65, s18
	s_cbranch_execnz .LBB113_749
	s_branch .LBB113_750
.LBB113_1241:                           ;   in Loop: Header=BB113_3 Depth=1
	ds_load_b32 v28, v41 offset:5440
	ds_load_b32 v29, v40 offset:5972
	s_wait_dscnt 0x0
	v_fmac_f32_e32 v2, v28, v29
	s_or_b32 exec_lo, exec_lo, s65
	s_and_saveexec_b32 s65, s18
	s_cbranch_execz .LBB113_806
.LBB113_1242:                           ;   in Loop: Header=BB113_3 Depth=1
	ds_load_b32 v28, v41 offset:5696
	ds_load_b32 v29, v40 offset:5976
	s_wait_dscnt 0x0
	v_fmac_f32_e32 v2, v28, v29
	s_or_b32 exec_lo, exec_lo, s65
	s_and_saveexec_b32 s65, s2
	s_cbranch_execnz .LBB113_807
	s_branch .LBB113_808
.LBB113_1243:                           ;   in Loop: Header=BB113_3 Depth=1
	ds_load_b32 v28, v50 offset:6912
	ds_load_b32 v29, v49 offset:8044
	s_wait_dscnt 0x0
	v_fmac_f32_e32 v2, v28, v29
	s_or_b32 exec_lo, exec_lo, s34
	s_and_saveexec_b32 s34, s5
	s_cbranch_execz .LBB113_868
.LBB113_1244:                           ;   in Loop: Header=BB113_3 Depth=1
	ds_load_b32 v28, v50 offset:7168
	ds_load_b32 v29, v49 offset:8048
	s_wait_dscnt 0x0
	v_fmac_f32_e32 v2, v28, v29
	s_or_b32 exec_lo, exec_lo, s34
	s_and_saveexec_b32 s34, s20
	s_cbranch_execz .LBB113_869
.LBB113_1245:                           ;   in Loop: Header=BB113_3 Depth=1
	ds_load_b32 v28, v50 offset:7424
	ds_load_b32 v29, v49 offset:8052
	s_wait_dscnt 0x0
	v_fmac_f32_e32 v2, v28, v29
	s_or_b32 exec_lo, exec_lo, s34
	s_and_saveexec_b32 s34, s22
	s_cbranch_execz .LBB113_870
.LBB113_1246:                           ;   in Loop: Header=BB113_3 Depth=1
	ds_load_b32 v28, v50 offset:7680
	ds_load_b32 v29, v49 offset:8056
	s_wait_dscnt 0x0
	v_fmac_f32_e32 v2, v28, v29
	s_or_b32 exec_lo, exec_lo, s34
	s_and_saveexec_b32 s34, s4
	s_cbranch_execnz .LBB113_871
	s_branch .LBB113_872
.LBB113_1247:                           ;   in Loop: Header=BB113_3 Depth=1
	ds_load_b32 v28, v41 offset:3360
	ds_load_b32 v29, v40 offset:3892
	s_wait_dscnt 0x0
	v_fmac_f32_e32 v2, v28, v29
	s_or_b32 exec_lo, exec_lo, s65
	s_and_saveexec_b32 s65, s18
	s_cbranch_execz .LBB113_960
.LBB113_1248:                           ;   in Loop: Header=BB113_3 Depth=1
	ds_load_b32 v28, v41 offset:3616
	ds_load_b32 v29, v40 offset:3896
	s_wait_dscnt 0x0
	v_fmac_f32_e32 v2, v28, v29
	s_or_b32 exec_lo, exec_lo, s65
	s_and_saveexec_b32 s65, s2
	s_cbranch_execnz .LBB113_961
	s_branch .LBB113_962
.LBB113_1249:                           ;   in Loop: Header=BB113_3 Depth=1
	ds_load_b32 v28, v46 offset:2304
	ds_load_b32 v29, v45 offset:3876
	s_wait_dscnt 0x0
	v_fmac_f32_e32 v2, v28, v29
	s_or_b32 exec_lo, exec_lo, s65
	s_and_saveexec_b32 s65, s20
	s_cbranch_execz .LBB113_1002
.LBB113_1250:                           ;   in Loop: Header=BB113_3 Depth=1
	ds_load_b32 v28, v46 offset:2560
	ds_load_b32 v29, v45 offset:3880
	s_wait_dscnt 0x0
	v_fmac_f32_e32 v2, v28, v29
	s_or_b32 exec_lo, exec_lo, s65
	s_and_saveexec_b32 s65, s21
	s_cbranch_execz .LBB113_1003
.LBB113_1251:                           ;   in Loop: Header=BB113_3 Depth=1
	ds_load_b32 v28, v46 offset:2816
	ds_load_b32 v29, v45 offset:3884
	s_wait_dscnt 0x0
	v_fmac_f32_e32 v2, v28, v29
	s_or_b32 exec_lo, exec_lo, s65
	s_and_saveexec_b32 s65, s22
	s_cbranch_execz .LBB113_1004
.LBB113_1252:                           ;   in Loop: Header=BB113_3 Depth=1
	ds_load_b32 v28, v46 offset:3072
	ds_load_b32 v29, v45 offset:3888
	s_wait_dscnt 0x0
	v_fmac_f32_e32 v2, v28, v29
	s_or_b32 exec_lo, exec_lo, s65
	s_and_saveexec_b32 s65, s23
	s_cbranch_execz .LBB113_1005
.LBB113_1253:                           ;   in Loop: Header=BB113_3 Depth=1
	ds_load_b32 v28, v46 offset:3328
	ds_load_b32 v29, v45 offset:3892
	s_wait_dscnt 0x0
	v_fmac_f32_e32 v2, v28, v29
	s_or_b32 exec_lo, exec_lo, s65
	s_and_saveexec_b32 s65, s4
	s_cbranch_execz .LBB113_1006
.LBB113_1254:                           ;   in Loop: Header=BB113_3 Depth=1
	ds_load_b32 v28, v46 offset:3584
	ds_load_b32 v29, v45 offset:3896
	s_wait_dscnt 0x0
	v_fmac_f32_e32 v2, v28, v29
	s_or_b32 exec_lo, exec_lo, s65
	s_and_saveexec_b32 s65, s18
	s_cbranch_execnz .LBB113_1007
	s_branch .LBB113_1008
.LBB113_1255:                           ;   in Loop: Header=BB113_3 Depth=1
	ds_load_b32 v28, v41 offset:1280
	ds_load_b32 v29, v40 offset:1812
	s_wait_dscnt 0x0
	v_fmac_f32_e32 v2, v28, v29
	s_or_b32 exec_lo, exec_lo, s65
	s_and_saveexec_b32 s65, s18
	s_cbranch_execz .LBB113_1064
.LBB113_1256:                           ;   in Loop: Header=BB113_3 Depth=1
	ds_load_b32 v28, v41 offset:1536
	ds_load_b32 v29, v40 offset:1816
	s_wait_dscnt 0x0
	v_fmac_f32_e32 v2, v28, v29
	s_or_b32 exec_lo, exec_lo, s65
	s_and_saveexec_b32 s65, s2
	s_cbranch_execnz .LBB113_1065
	s_branch .LBB113_1066
.LBB113_1257:
	s_endpgm
	.section	.rodata,"a",@progbits
	.p2align	6, 0x0
	.amdhsa_kernel _ZL19rocblas_trsv_deviceILi64ELi16ELb0ELb1ELb0ELb0EffPKPKfPKPfEviT7_lllT6_T8_lllPii
		.amdhsa_group_segment_fixed_size 20740
		.amdhsa_private_segment_fixed_size 0
		.amdhsa_kernarg_size 352
		.amdhsa_user_sgpr_count 2
		.amdhsa_user_sgpr_dispatch_ptr 0
		.amdhsa_user_sgpr_queue_ptr 0
		.amdhsa_user_sgpr_kernarg_segment_ptr 1
		.amdhsa_user_sgpr_dispatch_id 0
		.amdhsa_user_sgpr_kernarg_preload_length 0
		.amdhsa_user_sgpr_kernarg_preload_offset 0
		.amdhsa_user_sgpr_private_segment_size 0
		.amdhsa_wavefront_size32 1
		.amdhsa_uses_dynamic_stack 0
		.amdhsa_enable_private_segment 0
		.amdhsa_system_sgpr_workgroup_id_x 1
		.amdhsa_system_sgpr_workgroup_id_y 0
		.amdhsa_system_sgpr_workgroup_id_z 1
		.amdhsa_system_sgpr_workgroup_info 0
		.amdhsa_system_vgpr_workitem_id 1
		.amdhsa_next_free_vgpr 90
		.amdhsa_next_free_sgpr 105
		.amdhsa_named_barrier_count 0
		.amdhsa_reserve_vcc 1
		.amdhsa_float_round_mode_32 0
		.amdhsa_float_round_mode_16_64 0
		.amdhsa_float_denorm_mode_32 3
		.amdhsa_float_denorm_mode_16_64 3
		.amdhsa_fp16_overflow 0
		.amdhsa_memory_ordered 1
		.amdhsa_forward_progress 1
		.amdhsa_inst_pref_size 255
		.amdhsa_round_robin_scheduling 0
		.amdhsa_exception_fp_ieee_invalid_op 0
		.amdhsa_exception_fp_denorm_src 0
		.amdhsa_exception_fp_ieee_div_zero 0
		.amdhsa_exception_fp_ieee_overflow 0
		.amdhsa_exception_fp_ieee_underflow 0
		.amdhsa_exception_fp_ieee_inexact 0
		.amdhsa_exception_int_div_zero 0
	.end_amdhsa_kernel
	.section	.text._ZL19rocblas_trsv_deviceILi64ELi16ELb0ELb1ELb0ELb0EffPKPKfPKPfEviT7_lllT6_T8_lllPii,"axG",@progbits,_ZL19rocblas_trsv_deviceILi64ELi16ELb0ELb1ELb0ELb0EffPKPKfPKPfEviT7_lllT6_T8_lllPii,comdat
.Lfunc_end113:
	.size	_ZL19rocblas_trsv_deviceILi64ELi16ELb0ELb1ELb0ELb0EffPKPKfPKPfEviT7_lllT6_T8_lllPii, .Lfunc_end113-_ZL19rocblas_trsv_deviceILi64ELi16ELb0ELb1ELb0ELb0EffPKPKfPKPfEviT7_lllT6_T8_lllPii
                                        ; -- End function
	.set _ZL19rocblas_trsv_deviceILi64ELi16ELb0ELb1ELb0ELb0EffPKPKfPKPfEviT7_lllT6_T8_lllPii.num_vgpr, 90
	.set _ZL19rocblas_trsv_deviceILi64ELi16ELb0ELb1ELb0ELb0EffPKPKfPKPfEviT7_lllT6_T8_lllPii.num_agpr, 0
	.set _ZL19rocblas_trsv_deviceILi64ELi16ELb0ELb1ELb0ELb0EffPKPKfPKPfEviT7_lllT6_T8_lllPii.numbered_sgpr, 105
	.set _ZL19rocblas_trsv_deviceILi64ELi16ELb0ELb1ELb0ELb0EffPKPKfPKPfEviT7_lllT6_T8_lllPii.num_named_barrier, 0
	.set _ZL19rocblas_trsv_deviceILi64ELi16ELb0ELb1ELb0ELb0EffPKPKfPKPfEviT7_lllT6_T8_lllPii.private_seg_size, 0
	.set _ZL19rocblas_trsv_deviceILi64ELi16ELb0ELb1ELb0ELb0EffPKPKfPKPfEviT7_lllT6_T8_lllPii.uses_vcc, 1
	.set _ZL19rocblas_trsv_deviceILi64ELi16ELb0ELb1ELb0ELb0EffPKPKfPKPfEviT7_lllT6_T8_lllPii.uses_flat_scratch, 0
	.set _ZL19rocblas_trsv_deviceILi64ELi16ELb0ELb1ELb0ELb0EffPKPKfPKPfEviT7_lllT6_T8_lllPii.has_dyn_sized_stack, 0
	.set _ZL19rocblas_trsv_deviceILi64ELi16ELb0ELb1ELb0ELb0EffPKPKfPKPfEviT7_lllT6_T8_lllPii.has_recursion, 0
	.set _ZL19rocblas_trsv_deviceILi64ELi16ELb0ELb1ELb0ELb0EffPKPKfPKPfEviT7_lllT6_T8_lllPii.has_indirect_call, 0
	.section	.AMDGPU.csdata,"",@progbits
; Kernel info:
; codeLenInByte = 42704
; TotalNumSgprs: 107
; NumVgprs: 90
; ScratchSize: 0
; MemoryBound: 0
; FloatMode: 240
; IeeeMode: 1
; LDSByteSize: 20740 bytes/workgroup (compile time only)
; SGPRBlocks: 0
; VGPRBlocks: 5
; NumSGPRsForWavesPerEU: 107
; NumVGPRsForWavesPerEU: 90
; NamedBarCnt: 0
; Occupancy: 10
; WaveLimiterHint : 1
; COMPUTE_PGM_RSRC2:SCRATCH_EN: 0
; COMPUTE_PGM_RSRC2:USER_SGPR: 2
; COMPUTE_PGM_RSRC2:TRAP_HANDLER: 0
; COMPUTE_PGM_RSRC2:TGID_X_EN: 1
; COMPUTE_PGM_RSRC2:TGID_Y_EN: 0
; COMPUTE_PGM_RSRC2:TGID_Z_EN: 1
; COMPUTE_PGM_RSRC2:TIDIG_COMP_CNT: 1
	.section	.text._ZL19rocblas_trsv_deviceILi64ELi16ELb0ELb1ELb1ELb0EffPKPKfPKPfEviT7_lllT6_T8_lllPii,"axG",@progbits,_ZL19rocblas_trsv_deviceILi64ELi16ELb0ELb1ELb1ELb0EffPKPKfPKPfEviT7_lllT6_T8_lllPii,comdat
	.globl	_ZL19rocblas_trsv_deviceILi64ELi16ELb0ELb1ELb1ELb0EffPKPKfPKPfEviT7_lllT6_T8_lllPii ; -- Begin function _ZL19rocblas_trsv_deviceILi64ELi16ELb0ELb1ELb1ELb0EffPKPKfPKPfEviT7_lllT6_T8_lllPii
	.p2align	8
	.type	_ZL19rocblas_trsv_deviceILi64ELi16ELb0ELb1ELb1ELb0EffPKPKfPKPfEviT7_lllT6_T8_lllPii,@function
_ZL19rocblas_trsv_deviceILi64ELi16ELb0ELb1ELb1ELb0EffPKPKfPKPfEviT7_lllT6_T8_lllPii: ; @_ZL19rocblas_trsv_deviceILi64ELi16ELb0ELb1ELb1ELb0EffPKPKfPKPfEviT7_lllT6_T8_lllPii
; %bb.0:
	s_load_b32 s6, s[0:1], 0x58
	s_bfe_u32 s2, ttmp6, 0x40014
	s_lshr_b32 s3, ttmp7, 16
	s_add_co_i32 s2, s2, 1
	s_bfe_u32 s5, ttmp6, 0x40008
	s_mul_i32 s4, s3, s2
	s_getreg_b32 s2, hwreg(HW_REG_IB_STS2, 6, 4)
	s_add_co_i32 s5, s5, s4
	s_cmp_eq_u32 s2, 0
	s_mov_b32 s67, 0
	s_cselect_b32 s66, s3, s5
                                        ; implicit-def: $vgpr89 : SGPR spill to VGPR lane
	s_wait_kmcnt 0x0
	s_cmp_ge_u32 s66, s6
	v_writelane_b32 v89, s6, 0
	s_cbranch_scc1 .LBB114_1257
; %bb.1:
	s_clause 0x2
	s_load_b32 s3, s[0:1], 0x6c
	s_load_b32 s83, s[0:1], 0x0
	s_load_b64 s[14:15], s[0:1], 0x18
	s_bfe_u32 s5, ttmp6, 0x4000c
	s_and_b32 s4, ttmp6, 15
	s_add_co_i32 s5, s5, 1
	v_and_b32_e32 v4, 0x3ff, v0
	s_mul_i32 s5, ttmp9, s5
	v_bfe_u32 v32, v0, 10, 10
	s_add_co_i32 s4, s4, s5
	s_cmp_eq_u32 s2, 0
	s_load_b128 s[68:71], s[0:1], 0x8
	s_cselect_b32 s84, ttmp9, s4
	v_dual_mov_b32 v3, 0 :: v_dual_lshlrev_b32 v20, 6, v4
	v_lshl_add_u32 v26, v32, 6, v4
	v_and_b32_e32 v13, 1, v0
	v_cmp_gt_u32_e64 s6, 2, v4
	s_delay_alu instid0(VALU_DEP_4)
	v_dual_mov_b32 v7, v3 :: v_dual_mov_b32 v5, v3
	s_wait_kmcnt 0x0
	s_and_b32 s2, s3, 0xffff
	s_add_co_i32 s3, s83, -1
	s_ashr_i32 s4, s83, 31
	s_ashr_i32 s5, s3, 31
	s_lshr_b32 s4, s4, 26
	s_lshr_b32 s5, s5, 26
	s_add_co_i32 s4, s83, s4
	s_add_co_i32 s3, s3, s5
	s_and_not1_b32 s4, s4, 63
	s_ashr_i32 s3, s3, 6
	s_sub_co_i32 s18, s83, s4
	s_cmp_eq_u32 s3, s84
	v_sub_co_u32 v33, s5, s84, 1
	s_cselect_b32 s3, -1, 0
	s_cmp_lg_u32 s18, 0
	v_mad_u32_u24 v6, v32, s2, v4
	s_cselect_b32 s4, -1, 0
	s_xor_b32 s2, s5, -1
	s_lshl_b32 s16, s84, 6
	v_writelane_b32 v89, s2, 1
	s_load_b32 s2, s[0:1], 0x28
	v_dual_add_nc_u32 v28, s16, v32 :: v_dual_add_nc_u32 v27, 16, v32
	s_and_b32 s19, s4, s3
	v_add_nc_u32_e32 v1, v32, v20
	v_dual_add_nc_u32 v24, s16, v4 :: v_dual_lshrrev_b32 v12, 1, v26
	s_xor_b32 s86, s19, -1
	s_cmp_lt_i32 s84, 5
	v_subrev_nc_u32_e32 v8, 64, v28
	v_add_nc_u32_e32 v2, v27, v20
	s_cselect_b32 vcc_lo, -1, 0
	v_dual_cndmask_b32 v30, v26, v1 :: v_dual_ashrrev_i32 v25, 31, v24
	s_or_b32 vcc_lo, vcc_lo, s19
	v_lshrrev_b32_e32 v1, 10, v0
	s_ashr_i32 s17, s16, 31
	v_cmp_eq_u32_e64 s4, 1, v13
	v_cmp_eq_u32_e64 s5, 0, v13
	v_add_nc_u32_e32 v78, 32, v32
	s_wait_kmcnt 0x0
	v_writelane_b32 v89, s2, 2
	s_add_nc_u64 s[2:3], s[14:15], 1
	v_add_nc_u64_e32 v[22:23], s[16:17], v[6:7]
	v_mad_nc_u64_u32 v[18:19], s2, s16, v[4:5]
	v_lshl_add_u32 v5, v27, 6, v4
	v_dual_ashrrev_i32 v9, 31, v8 :: v_dual_lshlrev_b32 v35, 2, v13
	s_mul_i32 s2, s2, s17
	s_mul_i32 s3, s3, s16
	s_delay_alu instid0(VALU_DEP_2)
	v_dual_cndmask_b32 v31, v5, v2 :: v_dual_lshlrev_b32 v2, 8, v12
	v_lshl_add_u32 v5, v12, 2, 0x4000
	v_dual_lshlrev_b32 v12, 6, v26 :: v_dual_bitop2_b32 v13, 3, v0 bitop3:0x40
	v_add3_u32 v19, s2, s3, v19
	v_cmp_gt_u32_e64 s2, 4, v26
	v_dual_sub_nc_u32 v37, v35, v2 :: v_dual_sub_nc_u32 v34, 0, v2
	v_lshlrev_b32_e32 v36, 2, v4
	v_cmp_eq_u32_e64 s3, 0, v32
	s_and_b32 s89, s4, s2
	s_and_b32 s90, s5, s2
	v_and_b32_e32 v2, -4, v26
	v_and_b32_e32 v12, 0xffffff00, v12
	v_cmp_gt_u32_e64 s4, 16, v26
	v_cmp_eq_u32_e64 s5, 3, v13
	s_and_b32 s91, s3, s6
	v_dual_lshlrev_b32 v41, 2, v13 :: v_dual_sub_nc_u32 v40, 0, v12
	v_cmp_ne_u32_e64 s6, 3, v13
	s_and_b32 s92, s5, s4
	v_cmp_gt_u32_e64 s5, 2, v13
	v_sub_nc_u32_e32 v43, v41, v12
	v_add_nc_u32_e32 v7, v78, v20
	s_and_b32 s93, s6, s4
	v_cmp_eq_u32_e64 s6, 0, v13
	s_and_b32 s95, s5, s4
	v_cmp_gt_u32_e64 s5, 4, v4
	v_lshl_add_u32 v53, v78, 6, v4
	v_add_nc_u32_e32 v39, 0x4000, v2
	v_dual_lshrrev_b32 v2, 3, v26 :: v_dual_bitop2_b32 v12, 7, v0 bitop3:0x40
	v_cmp_eq_u32_e64 s7, 2, v13
	v_cmp_eq_u32_e64 s8, 1, v13
	s_and_b32 s97, s6, s4
	v_lshlrev_b32_e32 v13, 8, v2
	s_and_b32 s98, s3, s5
	v_cmp_gt_u32_e64 s5, 64, v26
	v_cmp_eq_u32_e64 s6, 7, v12
	s_and_b32 s94, s7, s4
	v_cmp_ne_u32_e64 s7, 7, v12
	s_and_b32 s96, s8, s4
	v_cmp_eq_u32_e64 s8, 6, v12
	s_and_b32 s99, s6, s5
	v_cmp_gt_u32_e64 s6, 6, v12
	s_and_b32 s100, s7, s5
	v_cmp_eq_u32_e64 s7, 5, v12
	s_and_b32 s101, s8, s5
	v_cmp_gt_u32_e64 s8, 5, v12
	;; [unrolled: 4-line block ×3, first 2 shown]
	v_lshl_add_u32 v44, v2, 2, 0x4000
	v_dual_sub_nc_u32 v45, 0, v13 :: v_dual_lshlrev_b32 v46, 2, v12
	s_and_b32 vcc_hi, s6, s5
	v_cmp_gt_u32_e64 s6, 3, v12
	s_and_b32 s104, s8, s5
	v_cmp_eq_u32_e64 s8, 3, v12
	s_and_b32 s36, s7, s5
	v_cmp_eq_u32_e64 s7, 2, v12
	;; [unrolled: 2-line block ×3, first 2 shown]
	v_dual_lshrrev_b32 v2, 4, v26 :: v_dual_sub_nc_u32 v47, v46, v13
	s_and_b32 s37, s8, s5
	v_cmp_gt_u32_e64 s8, 2, v12
	s_and_b32 s39, s7, s5
	v_cmp_eq_u32_e64 s7, 0, v12
	s_and_b32 s41, s6, s5
	v_cmp_gt_u32_e64 s6, 8, v4
	v_dual_lshlrev_b32 v12, 8, v2 :: v_dual_bitop2_b32 v13, 15, v0 bitop3:0x40
	s_and_b32 s42, s7, s5
	s_and_b32 s40, s8, s5
	;; [unrolled: 1-line block ×3, first 2 shown]
	v_cmp_gt_u32_e64 s6, 0x100, v26
	v_cmp_eq_u32_e64 s7, 15, v13
	v_cmp_ne_u32_e64 s8, 15, v13
	v_cmp_eq_u32_e64 s9, 14, v13
	v_cmp_gt_u32_e64 s10, 14, v13
	v_lshl_add_u32 v48, v2, 2, 0x4000
	s_and_b32 s44, s7, s6
	v_cmp_eq_u32_e64 s7, 13, v13
	s_and_b32 s45, s8, s6
	v_cmp_gt_u32_e64 s8, 13, v13
	s_and_b32 s46, s9, s6
	v_cmp_eq_u32_e64 s9, 12, v13
	s_and_b32 s48, s7, s6
	v_cmp_gt_u32_e64 s7, 12, v13
	s_and_b32 s49, s8, s6
	v_cmp_gt_u32_e64 s8, 11, v13
	s_and_b32 s47, s10, s6
	v_cmp_eq_u32_e64 s10, 11, v13
	s_and_b32 s51, s7, s6
	v_cmp_eq_u32_e64 s7, 10, v13
	;; [unrolled: 2-line block ×3, first 2 shown]
	s_and_b32 s50, s9, s6
	v_cmp_gt_u32_e64 s9, 10, v13
	s_and_b32 s54, s7, s6
	v_cmp_eq_u32_e64 s7, 8, v13
	s_and_b32 s56, s8, s6
	v_cmp_gt_u32_e64 s8, 8, v13
	s_and_b32 s52, s10, s6
	v_cmp_gt_u32_e64 s10, 9, v13
	;; [unrolled: 2-line block ×4, first 2 shown]
	s_and_b32 s55, s9, s6
	v_cmp_eq_u32_e64 s9, 7, v13
	s_and_b32 s63, s7, s6
	v_cmp_eq_u32_e64 s7, 5, v13
	;; [unrolled: 2-line block ×5, first 2 shown]
	s_and_b32 s26, s8, s6
	v_cmp_gt_u32_e64 s8, 3, v13
	s_and_b32 s62, s9, s6
	v_cmp_gt_u32_e64 s9, 5, v13
	;; [unrolled: 2-line block ×3, first 2 shown]
	s_and_b32 s33, s8, s6
	v_cmp_eq_u32_e64 s8, 0, v13
	v_dual_lshrrev_b32 v2, 5, v26 :: v_dual_bitop2_b32 v21, 31, v0 bitop3:0x40
	s_and_b32 s25, s7, s6
	v_cmp_gt_u32_e64 s7, 16, v4
	s_and_b32 s64, s10, s6
	v_cmp_gt_u32_e64 s10, 4, v13
	s_and_b32 s24, s9, s6
	v_cmp_eq_u32_e64 s9, 2, v13
	s_and_b32 s29, s8, s6
	s_and_b32 s31, s3, s7
	v_cmp_gt_u32_e64 s7, 0x400, v26
	v_cmp_eq_u32_e64 s8, 31, v21
	s_and_b32 s28, s10, s6
	v_cmp_eq_u32_e64 s10, 1, v13
	s_and_b32 s35, s9, s6
	v_cmp_ne_u32_e64 s9, 31, v21
	s_and_b32 s8, s8, s7
	v_cmp_gt_u32_e64 s11, 30, v21
	v_writelane_b32 v89, s8, 3
	s_and_b32 s27, s10, s6
	v_cmp_eq_u32_e64 s10, 30, v21
	s_and_b32 s8, s9, s7
	v_cmp_gt_u32_e64 s9, 29, v21
	v_writelane_b32 v89, s8, 4
	v_cmp_eq_u32_e64 s12, 27, v21
	s_and_b32 s8, s10, s7
	v_cmp_eq_u32_e64 s10, 28, v21
	v_dual_sub_nc_u32 v49, 0, v12 :: v_dual_lshlrev_b32 v50, 2, v13
	v_writelane_b32 v89, s8, 5
	s_and_b32 s8, s11, s7
	v_cmp_gt_u32_e64 s11, 28, v21
	v_lshl_add_u32 v52, v2, 2, 0x4000
	v_dual_sub_nc_u32 v51, v50, v12 :: v_dual_lshlrev_b32 v65, 8, v2
	v_writelane_b32 v89, s8, 6
	v_cmp_eq_u32_e64 s8, 29, v21
	v_dual_add_nc_u32 v2, s16, v6 :: v_dual_add_nc_u32 v79, 48, v32
	s_xor_b32 s88, vcc_lo, -1
                                        ; implicit-def: $vgpr88 : SGPR spill to VGPR lane
	s_clause 0x1
	s_load_b64 s[78:79], s[0:1], 0x40
	s_load_b128 s[72:75], s[0:1], 0x30
	s_and_b32 s8, s8, s7
                                        ; implicit-def: $vgpr87 : SGPR spill to VGPR lane
	s_load_b64 s[76:77], s[0:1], 0x50
	v_writelane_b32 v89, s8, 7
	s_and_b32 s8, s9, s7
	v_cmp_eq_u32_e64 s9, 26, v21
	v_add_nc_u32_e32 v20, v79, v20
	v_lshl_add_u32 v54, v79, 6, v4
	v_writelane_b32 v89, s8, 8
	s_and_b32 s8, s10, s7
	v_cmp_gt_u32_e64 s10, 26, v21
	s_delay_alu instid0(VALU_DEP_3)
	v_dual_cndmask_b32 v74, v53, v7 :: v_dual_cndmask_b32 v75, v54, v20
	v_lshlrev_b32_e32 v64, 2, v21
	v_writelane_b32 v89, s8, 9
	s_and_b32 s8, s11, s7
	v_cmp_eq_u32_e64 s11, 25, v21
	v_cmp_gt_u32_e32 vcc_lo, 21, v21
	s_wait_xcnt 0x0
	v_cmp_gt_i32_e64 s0, s18, v4
	v_writelane_b32 v89, s8, 10
	s_and_b32 s8, s12, s7
	v_cmp_gt_u32_e64 s12, 25, v21
	v_mul_u64_e32 v[10:11], s[14:15], v[24:25]
	v_mad_nc_u64_u32 v[12:13], s14, v32, v[18:19]
	v_writelane_b32 v89, s8, 11
	v_cmp_gt_u32_e64 s8, 27, v21
	v_mad_nc_u64_u32 v[14:15], s14, v27, v[18:19]
	v_sub_nc_u32_e32 v63, 0, v65
	v_mad_nc_u64_u32 v[16:17], s14, v78, v[18:19]
	v_mad_nc_u64_u32 v[18:19], s14, v79, v[18:19]
	s_and_b32 s8, s8, s7
	v_cmp_gt_i32_e64 s1, s83, v8
	v_writelane_b32 v89, s8, 12
	s_and_b32 s8, s9, s7
	v_cmp_gt_u32_e64 s9, 24, v21
	v_bitop3_b32 v82, v0, v1, 0x3ff bitop3:0xa8
	s_wait_kmcnt 0x0
	v_mul_u64_e32 v[0:1], s[78:79], v[24:25]
	v_writelane_b32 v89, s8, 13
	s_and_b32 s8, s10, s7
	v_cmp_eq_u32_e64 s10, 23, v21
	v_mad_u32 v13, s15, v32, v13
	v_mad_u32 v15, s15, v27, v15
	v_writelane_b32 v89, s8, 14
	s_and_b32 s8, s11, s7
	v_cmp_gt_u32_e64 s11, 23, v21
	v_mad_u32 v17, s15, v78, v17
	v_mad_u32 v19, s15, v79, v19
	v_writelane_b32 v89, s8, 15
	s_and_b32 s8, s12, s7
	v_cmp_eq_u32_e64 s12, 22, v21
	v_cmp_ne_u32_e64 s16, v4, v27
	v_cmp_ne_u32_e64 s17, v4, v78
	v_writelane_b32 v89, s8, 16
	v_cmp_eq_u32_e64 s8, 24, v21
	v_cmp_gt_u32_e64 s34, 0xf0, v26
                                        ; implicit-def: $vgpr86 : SGPR spill to VGPR lane
	v_mad_u32_u24 v38, 0xfc, v4, v36
	v_mul_i32_i24_e32 v77, 0xffffff04, v4
	v_mul_u64_e32 v[22:23], s[78:79], v[22:23]
	s_and_b32 s8, s8, s7
	v_mul_u32_u24_e32 v29, 0xfc, v4
	v_writelane_b32 v89, s8, 17
	s_and_b32 s8, s9, s7
	v_cmp_eq_u32_e64 s9, 21, v21
	v_mad_i32_i24 v42, 0xffffff04, v4, v38
	v_dual_sub_nc_u32 v65, v64, v65 :: v_dual_lshlrev_b32 v76, 2, v32
	v_writelane_b32 v89, s8, 18
	s_and_b32 s8, s10, s7
	v_cmp_eq_u32_e64 s10, 20, v21
	v_mad_u32_u24 v7, 0xfc, v4, v42
	v_or_b32_e32 v66, 0x5000, v76
	v_writelane_b32 v89, s8, 19
	s_and_b32 s8, s11, s7
	s_and_b32 s11, s12, s7
	v_mad_i32_i24 v53, 0xffffff04, v4, v7
	v_lshl_add_u32 v67, v6, 2, 0x5000
	v_writelane_b32 v89, s8, 20
	v_cmp_gt_u32_e64 s8, 22, v21
	v_lshl_add_u32 v68, v26, 2, 0x4000
	v_mad_u32_u24 v54, 0xfc, v4, v53
	v_add_nc_u32_e32 v69, 0x4000, v36
	v_writelane_b32 v89, s11, 21
	s_and_b32 s8, s8, s7
	v_dual_add_nc_u32 v71, v66, v36 :: v_dual_lshlrev_b32 v72, 2, v30
	v_mad_i32_i24 v55, 0xffffff04, v4, v54
	v_writelane_b32 v89, s8, 22
	s_and_b32 s8, s9, s7
	v_cmp_gt_u32_e64 s20, 48, v26
	v_cmp_gt_u32_e64 s21, 40, v26
	v_mad_u32_u24 v56, 0xfc, v4, v55
	v_writelane_b32 v89, s8, 23
	s_and_b32 s8, vcc_lo, s7
	v_cmp_gt_u32_e32 vcc_lo, 20, v21
	v_cmp_gt_u32_e64 s22, 32, v26
	v_mad_i32_i24 v57, 0xffffff04, v4, v56
	v_writelane_b32 v89, s8, 24
	s_and_b32 s8, s10, s7
	v_cmp_le_i32_e64 s10, s18, v79
	v_cmp_gt_u32_e64 s23, 24, v26
	v_mad_u32_u24 v58, 0xfc, v4, v57
	v_writelane_b32 v89, s8, 25
	s_and_b32 s8, vcc_lo, s7
	v_cmp_eq_u32_e32 vcc_lo, 19, v21
	v_cmp_eq_u32_e64 s59, 0, v6
	v_mad_i32_i24 v59, 0xffffff04, v4, v58
	v_writelane_b32 v89, s8, 26
	v_cmp_gt_u32_e64 s60, 64, v6
	s_and_b32 s8, vcc_lo, s7
	v_cmp_gt_u32_e32 vcc_lo, 19, v21
	v_mad_u32_u24 v60, 0xfc, v4, v59
	v_writelane_b32 v89, s8, 27
	v_lshl_add_u32 v70, v32, 8, v59
                                        ; implicit-def: $vgpr80
                                        ; implicit-def: $vgpr81
	v_lshlrev_b32_e32 v73, 2, v31
	s_and_b32 s8, vcc_lo, s7
	v_cmp_eq_u32_e32 vcc_lo, 18, v21
	v_writelane_b32 v89, s8, 28
	v_mad_i32_i24 v61, 0xffffff04, v4, v60
	v_dual_lshlrev_b32 v75, 2, v75 :: v_dual_lshlrev_b32 v74, 2, v74
	s_and_b32 s8, vcc_lo, s7
	v_cmp_gt_u32_e32 vcc_lo, 18, v21
	v_writelane_b32 v89, s8, 29
	v_mad_u32_u24 v62, 0xfc, v4, v61
	s_and_b32 s8, vcc_lo, s7
	v_cmp_eq_u32_e32 vcc_lo, 17, v21
	v_writelane_b32 v89, s8, 30
	s_delay_alu instid0(VALU_DEP_3)
	v_add_nc_u32_e32 v76, v62, v76
	s_and_b32 s8, vcc_lo, s7
	v_cmp_gt_u32_e32 vcc_lo, 17, v21
	v_writelane_b32 v89, s8, 31
	s_and_b32 s8, vcc_lo, s7
	v_cmp_eq_u32_e32 vcc_lo, 16, v21
	v_writelane_b32 v88, s8, 0
	s_and_b32 s8, vcc_lo, s7
	v_cmp_gt_u32_e32 vcc_lo, 16, v21
	v_writelane_b32 v88, s8, 1
	s_and_b32 s8, vcc_lo, s7
	v_cmp_eq_u32_e32 vcc_lo, 15, v21
	v_writelane_b32 v88, s8, 2
	;; [unrolled: 6-line block ×16, first 2 shown]
	s_and_b32 s8, vcc_lo, s7
	v_cmp_eq_u32_e32 vcc_lo, 0, v21
	v_writelane_b32 v88, s8, 31
	v_cmp_gt_u32_e64 s8, 32, v4
	v_mul_u64_e32 v[20:21], s[78:79], v[2:3]
	v_subrev_nc_u32_e32 v2, 48, v28
	s_and_b32 s11, vcc_lo, s7
	v_cmp_le_i32_e32 vcc_lo, s18, v4
	s_and_b32 s8, s3, s8
	s_delay_alu instid0(SALU_CYCLE_1)
	v_writelane_b32 v87, s8, 0
	s_and_b32 s9, vcc_lo, s19
	v_cmp_gt_u32_e64 s19, 56, v26
	s_xor_b32 s8, s9, -1
	v_writelane_b32 v87, s9, 1
	s_and_b32 s14, s3, s8
	s_cmp_gt_i32 s84, 0
	s_cselect_b32 s12, -1, 0
	s_and_b32 s0, s3, s0
	s_lshl_b64 s[70:71], s[70:71], 2
	v_writelane_b32 v87, s0, 2
	v_cmp_gt_i32_e64 s0, s83, v24
	v_subrev_nc_u32_e32 v24, 32, v28
	s_lshl_b64 s[74:75], s[74:75], 2
	s_and_b32 s1, s1, s0
	s_delay_alu instid0(SALU_CYCLE_1) | instskip(SKIP_4) | instid1(SALU_CYCLE_1)
	v_writelane_b32 v87, s1, 3
	v_cmp_gt_i32_e64 s1, s83, v2
	v_add_nc_u32_e32 v2, -16, v28
	v_mul_lo_u32 v28, v77, 6
	s_and_b32 s1, s1, s0
	v_writelane_b32 v87, s1, 4
	v_cmp_gt_i32_e64 s1, s83, v24
	v_or_b32_e32 v24, v78, v4
	s_and_b32 s1, s1, s0
	v_mad_u32 v28, v29, 7, v28
	v_writelane_b32 v87, s1, 5
	v_cmp_gt_i32_e64 s1, s83, v2
	v_or_b32_e32 v2, v27, v4
	v_mul_u32_u24_e32 v29, 0xf8, v4
	v_or_b32_e32 v25, v79, v4
	s_and_b32 s1, s1, s0
	s_delay_alu instid0(SALU_CYCLE_1)
	v_writelane_b32 v87, s1, 6
	v_cmp_le_i32_e64 s1, s18, v32
	v_sub_nc_u32_e32 v77, v28, v29
	s_or_b32 s8, s1, vcc_lo
	v_cmp_ge_u32_e64 s1, v4, v32
	s_or_b32 s8, s8, s1
	s_delay_alu instid0(SALU_CYCLE_1) | instskip(SKIP_4) | instid1(SALU_CYCLE_1)
	v_writelane_b32 v87, s8, 7
	v_cmp_le_i32_e64 s8, s18, v27
	s_or_b32 s9, s8, vcc_lo
	v_cmp_ge_u32_e64 s8, v4, v27
	s_or_b32 s9, s9, s8
	v_writelane_b32 v87, s9, 8
	v_cmp_le_i32_e64 s9, s18, v78
	v_cmp_ne_u32_e64 s18, v4, v79
	s_or_b32 s15, s9, vcc_lo
	v_cmp_ge_u32_e64 s9, v4, v78
                                        ; implicit-def: $vgpr78
	s_or_b32 s15, s15, s9
	s_delay_alu instid0(SALU_CYCLE_1) | instskip(SKIP_3) | instid1(SALU_CYCLE_1)
	v_writelane_b32 v87, s15, 9
	s_or_b32 s15, s10, vcc_lo
	v_cmp_ge_u32_e64 s10, v4, v79
                                        ; implicit-def: $vgpr79
	s_or_b32 s15, s15, s10
	v_writelane_b32 v87, s15, 10
	v_cmp_ne_u32_e64 s15, v4, v32
	s_delay_alu instid0(VALU_DEP_1) | instskip(SKIP_1) | instid1(SALU_CYCLE_1)
	v_writelane_b32 v87, s15, 11
	s_or_b32 s15, vcc_lo, s15
	v_writelane_b32 v87, s15, 12
	s_or_b32 s15, vcc_lo, s16
	v_writelane_b32 v87, s16, 13
	v_cmp_gt_u32_e64 s16, 2, v26
	v_writelane_b32 v87, s15, 14
	s_or_b32 s15, vcc_lo, s17
	v_writelane_b32 v87, s17, 15
	v_cmp_gt_u32_e64 s17, 12, v26
	;; [unrolled: 4-line block ×3, first 2 shown]
	v_writelane_b32 v87, s15, 18
	v_cmp_eq_u32_e64 s15, 0, v82
	v_writelane_b32 v87, s34, 19
	v_cmp_gt_u32_e64 s34, 0xe0, v26
	s_delay_alu instid0(VALU_DEP_1) | instskip(SKIP_1) | instid1(VALU_DEP_1)
	v_writelane_b32 v87, s34, 20
	v_cmp_gt_u32_e64 s34, 0xd0, v26
	v_writelane_b32 v87, s34, 21
	v_cmp_gt_u32_e64 s34, 0xc0, v26
	s_delay_alu instid0(VALU_DEP_1) | instskip(SKIP_1) | instid1(VALU_DEP_1)
	v_writelane_b32 v87, s34, 22
	v_cmp_gt_u32_e64 s34, 0xb0, v26
	;; [unrolled: 5-line block ×18, first 2 shown]
	v_writelane_b32 v86, s34, 23
	v_cmp_gt_u32_e64 s34, 64, v25
	s_delay_alu instid0(VALU_DEP_1)
	v_writelane_b32 v86, s34, 24
	s_branch .LBB114_3
.LBB114_2:                              ;   in Loop: Header=BB114_3 Depth=1
	s_wait_xcnt 0x0
	s_or_b32 exec_lo, exec_lo, s34
	v_readlane_b32 s34, v89, 0
	s_add_co_i32 s66, s66, 0x10000
	global_wb scope:SCOPE_DEV
	s_wait_storecnt 0x0
	global_inv scope:SCOPE_DEV
	s_cmp_lt_u32 s66, s34
	s_cbranch_scc0 .LBB114_1257
.LBB114_3:                              ; =>This Loop Header: Depth=1
                                        ;     Child Loop BB114_1110 Depth 2
                                        ;       Child Loop BB114_1112 Depth 3
                                        ;     Child Loop BB114_1147 Depth 2
	v_mov_b32_e32 v2, s66
	v_readlane_b32 s34, v89, 1
	s_clause 0x1
	global_load_b64 v[24:25], v2, s[68:69] scale_offset
	global_load_b64 v[26:27], v2, s[72:73] scale_offset
	s_and_not1_b32 vcc_lo, exec_lo, s34
	s_wait_loadcnt 0x1
	v_add_nc_u64_e32 v[28:29], s[70:71], v[24:25]
	s_delay_alu instid0(VALU_DEP_1)
	v_lshl_add_u64 v[24:25], v[10:11], 2, v[28:29]
	s_cbranch_vccz .LBB114_6
; %bb.4:                                ;   in Loop: Header=BB114_3 Depth=1
	s_and_not1_b32 vcc_lo, exec_lo, s86
	s_mov_b32 s34, -1
	s_cbranch_vccz .LBB114_15
.LBB114_5:                              ;   in Loop: Header=BB114_3 Depth=1
	s_and_b32 vcc_lo, exec_lo, s34
	s_cbranch_vccnz .LBB114_25
	s_branch .LBB114_66
.LBB114_6:                              ;   in Loop: Header=BB114_3 Depth=1
	s_delay_alu instid0(VALU_DEP_1)
	v_lshl_add_u64 v[30:31], v[8:9], 2, v[24:25]
	v_dual_mov_b32 v79, 0 :: v_dual_mov_b32 v78, 0
	s_wait_loadcnt 0x0
	s_barrier_signal -1
	s_barrier_wait -1
	s_wait_xcnt 0x0
	s_mov_b32 s34, exec_lo
	v_readlane_b32 s65, v87, 3
	s_and_b32 s65, s34, s65
	s_delay_alu instid0(SALU_CYCLE_1)
	s_mov_b32 exec_lo, s65
	s_cbranch_execz .LBB114_8
; %bb.7:                                ;   in Loop: Header=BB114_3 Depth=1
	flat_load_b32 v78, v[30:31]
.LBB114_8:                              ;   in Loop: Header=BB114_3 Depth=1
	s_wait_xcnt 0x0
	s_or_b32 exec_lo, exec_lo, s34
	s_wait_loadcnt_dscnt 0x0
	s_barrier_signal -1
	s_barrier_wait -1
	s_mov_b32 s34, exec_lo
	v_readlane_b32 s65, v87, 4
	s_and_b32 s65, s34, s65
	s_delay_alu instid0(SALU_CYCLE_1)
	s_mov_b32 exec_lo, s65
	s_cbranch_execz .LBB114_10
; %bb.9:                                ;   in Loop: Header=BB114_3 Depth=1
	flat_load_b32 v79, v[30:31] offset:64
.LBB114_10:                             ;   in Loop: Header=BB114_3 Depth=1
	s_wait_xcnt 0x0
	s_or_b32 exec_lo, exec_lo, s34
	v_dual_mov_b32 v81, 0 :: v_dual_mov_b32 v80, 0
	s_wait_loadcnt_dscnt 0x0
	s_barrier_signal -1
	s_barrier_wait -1
	s_mov_b32 s34, exec_lo
	v_readlane_b32 s65, v87, 5
	s_and_b32 s65, s34, s65
	s_delay_alu instid0(SALU_CYCLE_1)
	s_mov_b32 exec_lo, s65
	s_cbranch_execz .LBB114_12
; %bb.11:                               ;   in Loop: Header=BB114_3 Depth=1
	flat_load_b32 v80, v[30:31] offset:128
.LBB114_12:                             ;   in Loop: Header=BB114_3 Depth=1
	s_wait_xcnt 0x0
	s_or_b32 exec_lo, exec_lo, s34
	s_wait_loadcnt_dscnt 0x0
	s_barrier_signal -1
	s_barrier_wait -1
	s_mov_b32 s34, exec_lo
	v_readlane_b32 s65, v87, 6
	s_and_b32 s65, s34, s65
	s_delay_alu instid0(SALU_CYCLE_1)
	s_mov_b32 exec_lo, s65
	s_cbranch_execz .LBB114_14
; %bb.13:                               ;   in Loop: Header=BB114_3 Depth=1
	flat_load_b32 v81, v[30:31] offset:192
.LBB114_14:                             ;   in Loop: Header=BB114_3 Depth=1
	s_wait_xcnt 0x0
	s_or_b32 exec_lo, exec_lo, s34
	s_delay_alu instid0(SALU_CYCLE_1)
	s_and_not1_b32 vcc_lo, exec_lo, s86
	s_mov_b32 s34, -1
	s_cbranch_vccnz .LBB114_5
.LBB114_15:                             ;   in Loop: Header=BB114_3 Depth=1
	s_wait_xcnt 0x0
	s_and_saveexec_b32 s34, s1
	s_delay_alu instid0(SALU_CYCLE_1)
	s_xor_b32 s34, exec_lo, s34
	s_cbranch_execnz .LBB114_1168
; %bb.16:                               ;   in Loop: Header=BB114_3 Depth=1
	s_and_not1_saveexec_b32 s34, s34
	s_cbranch_execnz .LBB114_1175
.LBB114_17:                             ;   in Loop: Header=BB114_3 Depth=1
	s_or_b32 exec_lo, exec_lo, s34
	s_and_saveexec_b32 s34, s8
	s_delay_alu instid0(SALU_CYCLE_1)
	s_xor_b32 s34, exec_lo, s34
	s_cbranch_execnz .LBB114_1176
.LBB114_18:                             ;   in Loop: Header=BB114_3 Depth=1
	s_and_not1_saveexec_b32 s34, s34
	s_cbranch_execnz .LBB114_1183
.LBB114_19:                             ;   in Loop: Header=BB114_3 Depth=1
	s_or_b32 exec_lo, exec_lo, s34
	s_and_saveexec_b32 s34, s9
	s_delay_alu instid0(SALU_CYCLE_1)
	s_xor_b32 s34, exec_lo, s34
	s_cbranch_execnz .LBB114_1184
.LBB114_20:                             ;   in Loop: Header=BB114_3 Depth=1
	s_and_not1_saveexec_b32 s34, s34
	s_cbranch_execnz .LBB114_1191
.LBB114_21:                             ;   in Loop: Header=BB114_3 Depth=1
	s_or_b32 exec_lo, exec_lo, s34
	s_and_saveexec_b32 s34, s10
	s_delay_alu instid0(SALU_CYCLE_1)
	s_xor_b32 s34, exec_lo, s34
	s_cbranch_execnz .LBB114_1192
.LBB114_22:                             ;   in Loop: Header=BB114_3 Depth=1
	s_and_not1_saveexec_b32 s34, s34
	s_cbranch_execz .LBB114_24
.LBB114_23:                             ;   in Loop: Header=BB114_3 Depth=1
	v_lshl_add_u64 v[30:31], v[18:19], 2, v[28:29]
	flat_load_b32 v2, v[30:31]
	s_wait_loadcnt_dscnt 0x0
	v_xor_b32_e32 v2, 0x80000000, v2
	ds_store_b32 v75, v2
.LBB114_24:                             ;   in Loop: Header=BB114_3 Depth=1
	s_or_b32 exec_lo, exec_lo, s34
	s_branch .LBB114_66
.LBB114_25:                             ;   in Loop: Header=BB114_3 Depth=1
	s_wait_xcnt 0x0
	s_mov_b32 s34, exec_lo
	v_readlane_b32 s65, v87, 7
	s_and_b32 s65, s34, s65
	s_delay_alu instid0(SALU_CYCLE_1)
	s_xor_b32 s34, s65, s34
	s_mov_b32 exec_lo, s65
	s_cbranch_execz .LBB114_33
; %bb.26:                               ;   in Loop: Header=BB114_3 Depth=1
	s_mov_b32 s65, exec_lo
	v_readlane_b32 s80, v87, 12
	s_and_b32 s80, s65, s80
	s_delay_alu instid0(SALU_CYCLE_1)
	s_xor_b32 s65, s80, s65
	s_mov_b32 exec_lo, s80
	s_cbranch_execz .LBB114_30
; %bb.27:                               ;   in Loop: Header=BB114_3 Depth=1
	s_mov_b32 s80, exec_lo
	v_readlane_b32 s81, v86, 21
	s_and_b32 s81, s80, s81
	s_delay_alu instid0(SALU_CYCLE_1)
	s_mov_b32 exec_lo, s81
; %bb.28:                               ;   in Loop: Header=BB114_3 Depth=1
	ds_store_b32 v76, v3
; %bb.29:                               ;   in Loop: Header=BB114_3 Depth=1
	s_or_b32 exec_lo, exec_lo, s80
.LBB114_30:                             ;   in Loop: Header=BB114_3 Depth=1
	s_and_not1_saveexec_b32 s65, s65
	s_cbranch_execz .LBB114_32
; %bb.31:                               ;   in Loop: Header=BB114_3 Depth=1
	v_lshl_add_u64 v[30:31], v[12:13], 2, v[28:29]
	flat_load_b32 v2, v[30:31]
	s_wait_loadcnt_dscnt 0x0
	v_div_scale_f32 v30, null, v2, v2, 1.0
	s_delay_alu instid0(VALU_DEP_1) | instskip(SKIP_1) | instid1(TRANS32_DEP_1)
	v_rcp_f32_e32 v31, v30
	v_nop
	v_fma_f32 v82, -v30, v31, 1.0
	s_delay_alu instid0(VALU_DEP_1) | instskip(SKIP_1) | instid1(VALU_DEP_1)
	v_fmac_f32_e32 v31, v82, v31
	v_div_scale_f32 v82, vcc_lo, 1.0, v2, 1.0
	v_mul_f32_e32 v83, v82, v31
	s_delay_alu instid0(VALU_DEP_1) | instskip(NEXT) | instid1(VALU_DEP_1)
	v_fma_f32 v84, -v30, v83, v82
	v_fmac_f32_e32 v83, v84, v31
	s_delay_alu instid0(VALU_DEP_1) | instskip(NEXT) | instid1(VALU_DEP_1)
	v_fma_f32 v30, -v30, v83, v82
	v_div_fmas_f32 v30, v30, v31, v83
	s_delay_alu instid0(VALU_DEP_1)
	v_div_fixup_f32 v2, v30, v2, 1.0
	ds_store_b32 v76, v2
.LBB114_32:                             ;   in Loop: Header=BB114_3 Depth=1
	s_or_b32 exec_lo, exec_lo, s65
.LBB114_33:                             ;   in Loop: Header=BB114_3 Depth=1
	s_and_not1_saveexec_b32 s34, s34
	s_cbranch_execz .LBB114_35
; %bb.34:                               ;   in Loop: Header=BB114_3 Depth=1
	v_lshl_add_u64 v[30:31], v[12:13], 2, v[28:29]
	flat_load_b32 v2, v[30:31]
	s_wait_loadcnt_dscnt 0x0
	v_xor_b32_e32 v2, 0x80000000, v2
	ds_store_b32 v76, v2
.LBB114_35:                             ;   in Loop: Header=BB114_3 Depth=1
	s_or_b32 exec_lo, exec_lo, s34
	s_delay_alu instid0(SALU_CYCLE_1) | instskip(SKIP_2) | instid1(SALU_CYCLE_1)
	s_mov_b32 s34, exec_lo
	v_readlane_b32 s65, v87, 8
	s_and_b32 s65, s34, s65
	s_xor_b32 s34, s65, s34
	s_mov_b32 exec_lo, s65
	s_cbranch_execz .LBB114_43
; %bb.36:                               ;   in Loop: Header=BB114_3 Depth=1
	s_mov_b32 s65, exec_lo
	v_readlane_b32 s80, v87, 14
	s_and_b32 s80, s65, s80
	s_delay_alu instid0(SALU_CYCLE_1)
	s_xor_b32 s65, s80, s65
	s_mov_b32 exec_lo, s80
	s_cbranch_execz .LBB114_40
; %bb.37:                               ;   in Loop: Header=BB114_3 Depth=1
	s_mov_b32 s80, exec_lo
	v_readlane_b32 s81, v86, 22
	s_and_b32 s81, s80, s81
	s_delay_alu instid0(SALU_CYCLE_1)
	s_mov_b32 exec_lo, s81
; %bb.38:                               ;   in Loop: Header=BB114_3 Depth=1
	ds_store_b32 v73, v3
; %bb.39:                               ;   in Loop: Header=BB114_3 Depth=1
	s_or_b32 exec_lo, exec_lo, s80
.LBB114_40:                             ;   in Loop: Header=BB114_3 Depth=1
	s_and_not1_saveexec_b32 s65, s65
	s_cbranch_execz .LBB114_42
; %bb.41:                               ;   in Loop: Header=BB114_3 Depth=1
	v_lshl_add_u64 v[30:31], v[14:15], 2, v[28:29]
	flat_load_b32 v2, v[30:31]
	s_wait_loadcnt_dscnt 0x0
	v_div_scale_f32 v30, null, v2, v2, 1.0
	s_delay_alu instid0(VALU_DEP_1) | instskip(SKIP_1) | instid1(TRANS32_DEP_1)
	v_rcp_f32_e32 v31, v30
	v_nop
	v_fma_f32 v82, -v30, v31, 1.0
	s_delay_alu instid0(VALU_DEP_1) | instskip(SKIP_1) | instid1(VALU_DEP_1)
	v_fmac_f32_e32 v31, v82, v31
	v_div_scale_f32 v82, vcc_lo, 1.0, v2, 1.0
	v_mul_f32_e32 v83, v82, v31
	s_delay_alu instid0(VALU_DEP_1) | instskip(NEXT) | instid1(VALU_DEP_1)
	v_fma_f32 v84, -v30, v83, v82
	v_fmac_f32_e32 v83, v84, v31
	s_delay_alu instid0(VALU_DEP_1) | instskip(NEXT) | instid1(VALU_DEP_1)
	v_fma_f32 v30, -v30, v83, v82
	v_div_fmas_f32 v30, v30, v31, v83
	s_delay_alu instid0(VALU_DEP_1)
	v_div_fixup_f32 v2, v30, v2, 1.0
	ds_store_b32 v73, v2
.LBB114_42:                             ;   in Loop: Header=BB114_3 Depth=1
	s_or_b32 exec_lo, exec_lo, s65
.LBB114_43:                             ;   in Loop: Header=BB114_3 Depth=1
	s_and_not1_saveexec_b32 s34, s34
	s_cbranch_execz .LBB114_45
; %bb.44:                               ;   in Loop: Header=BB114_3 Depth=1
	v_lshl_add_u64 v[30:31], v[14:15], 2, v[28:29]
	flat_load_b32 v2, v[30:31]
	s_wait_loadcnt_dscnt 0x0
	v_xor_b32_e32 v2, 0x80000000, v2
	ds_store_b32 v73, v2
.LBB114_45:                             ;   in Loop: Header=BB114_3 Depth=1
	s_or_b32 exec_lo, exec_lo, s34
	s_delay_alu instid0(SALU_CYCLE_1) | instskip(SKIP_2) | instid1(SALU_CYCLE_1)
	s_mov_b32 s34, exec_lo
	v_readlane_b32 s65, v87, 9
	s_and_b32 s65, s34, s65
	;; [unrolled: 63-line block ×3, first 2 shown]
	s_xor_b32 s34, s65, s34
	s_mov_b32 exec_lo, s65
	s_cbranch_execz .LBB114_63
; %bb.56:                               ;   in Loop: Header=BB114_3 Depth=1
	s_mov_b32 s65, exec_lo
	v_readlane_b32 s80, v87, 18
	s_and_b32 s80, s65, s80
	s_delay_alu instid0(SALU_CYCLE_1)
	s_xor_b32 s65, s80, s65
	s_mov_b32 exec_lo, s80
	s_cbranch_execz .LBB114_60
; %bb.57:                               ;   in Loop: Header=BB114_3 Depth=1
	s_mov_b32 s80, exec_lo
	v_readlane_b32 s81, v86, 24
	s_and_b32 s81, s80, s81
	s_delay_alu instid0(SALU_CYCLE_1)
	s_mov_b32 exec_lo, s81
; %bb.58:                               ;   in Loop: Header=BB114_3 Depth=1
	ds_store_b32 v75, v3
; %bb.59:                               ;   in Loop: Header=BB114_3 Depth=1
	s_or_b32 exec_lo, exec_lo, s80
                                        ; implicit-def: $vgpr28_vgpr29
.LBB114_60:                             ;   in Loop: Header=BB114_3 Depth=1
	s_and_not1_saveexec_b32 s65, s65
	s_cbranch_execz .LBB114_62
; %bb.61:                               ;   in Loop: Header=BB114_3 Depth=1
	v_lshl_add_u64 v[28:29], v[18:19], 2, v[28:29]
	flat_load_b32 v2, v[28:29]
	s_wait_loadcnt_dscnt 0x0
	v_div_scale_f32 v28, null, v2, v2, 1.0
	s_delay_alu instid0(VALU_DEP_1) | instskip(SKIP_1) | instid1(TRANS32_DEP_1)
	v_rcp_f32_e32 v29, v28
	v_nop
	v_fma_f32 v30, -v28, v29, 1.0
	s_delay_alu instid0(VALU_DEP_1) | instskip(SKIP_1) | instid1(VALU_DEP_1)
	v_fmac_f32_e32 v29, v30, v29
	v_div_scale_f32 v30, vcc_lo, 1.0, v2, 1.0
	v_mul_f32_e32 v31, v30, v29
	s_delay_alu instid0(VALU_DEP_1) | instskip(NEXT) | instid1(VALU_DEP_1)
	v_fma_f32 v82, -v28, v31, v30
	v_fmac_f32_e32 v31, v82, v29
	s_delay_alu instid0(VALU_DEP_1) | instskip(NEXT) | instid1(VALU_DEP_1)
	v_fma_f32 v28, -v28, v31, v30
	v_div_fmas_f32 v28, v28, v29, v31
	s_delay_alu instid0(VALU_DEP_1)
	v_div_fixup_f32 v2, v28, v2, 1.0
	ds_store_b32 v75, v2
.LBB114_62:                             ;   in Loop: Header=BB114_3 Depth=1
	s_or_b32 exec_lo, exec_lo, s65
                                        ; implicit-def: $vgpr28_vgpr29
.LBB114_63:                             ;   in Loop: Header=BB114_3 Depth=1
	s_and_not1_saveexec_b32 s34, s34
	s_cbranch_execz .LBB114_65
; %bb.64:                               ;   in Loop: Header=BB114_3 Depth=1
	v_lshl_add_u64 v[28:29], v[18:19], 2, v[28:29]
	flat_load_b32 v2, v[28:29]
	s_wait_loadcnt_dscnt 0x0
	v_xor_b32_e32 v2, 0x80000000, v2
	ds_store_b32 v75, v2
.LBB114_65:                             ;   in Loop: Header=BB114_3 Depth=1
	s_or_b32 exec_lo, exec_lo, s34
.LBB114_66:                             ;   in Loop: Header=BB114_3 Depth=1
	s_delay_alu instid0(SALU_CYCLE_1)
	s_and_not1_b32 vcc_lo, exec_lo, s88
	s_wait_loadcnt_dscnt 0x0
	s_barrier_signal -1
	s_barrier_wait -1
	s_cbranch_vccnz .LBB114_1104
; %bb.67:                               ;   in Loop: Header=BB114_3 Depth=1
	s_wait_xcnt 0x0
	s_and_saveexec_b32 s34, s15
	s_cbranch_execz .LBB114_69
; %bb.68:                               ;   in Loop: Header=BB114_3 Depth=1
	ds_load_b64 v[28:29], v3 offset:16376
	ds_load_b32 v2, v3 offset:16120
	s_wait_dscnt 0x0
	v_mul_f32_e32 v2, v2, v29
	s_delay_alu instid0(VALU_DEP_1)
	v_mul_f32_e32 v2, v28, v2
	v_add_nc_u32_e64 v28, 0x3c00, 0
	ds_store_2addr_b32 v28, v2, v2 offset0:191 offset1:254
.LBB114_69:                             ;   in Loop: Header=BB114_3 Depth=1
	s_or_b32 exec_lo, exec_lo, s34
	v_mov_b32_e32 v2, 0
	s_wait_dscnt 0x0
	s_barrier_signal -1
	s_barrier_wait -1
	global_wb scope:SCOPE_DEV
	s_wait_storecnt 0x0
	global_inv scope:SCOPE_DEV
	s_and_saveexec_b32 s34, s2
	s_cbranch_execz .LBB114_73
; %bb.70:                               ;   in Loop: Header=BB114_3 Depth=1
	ds_load_b32 v2, v35 offset:16112
	ds_load_b32 v28, v34 offset:16376
	s_wait_dscnt 0x0
	v_fma_f32 v2, v2, v28, 0
	s_and_saveexec_b32 s65, s16
	s_cbranch_execz .LBB114_72
; %bb.71:                               ;   in Loop: Header=BB114_3 Depth=1
	ds_load_b32 v28, v36 offset:16368
	ds_load_b32 v29, v3 offset:16380
	s_wait_dscnt 0x0
	v_fmac_f32_e32 v2, v28, v29
.LBB114_72:                             ;   in Loop: Header=BB114_3 Depth=1
	s_or_b32 exec_lo, exec_lo, s65
.LBB114_73:                             ;   in Loop: Header=BB114_3 Depth=1
	s_delay_alu instid0(SALU_CYCLE_1)
	s_or_b32 exec_lo, exec_lo, s34
	s_and_saveexec_b32 s34, s89
	s_cbranch_execz .LBB114_75
; %bb.74:                               ;   in Loop: Header=BB114_3 Depth=1
	ds_load_b32 v28, v3 offset:15860
	s_wait_dscnt 0x0
	v_mul_f32_e32 v2, v2, v28
	s_delay_alu instid0(VALU_DEP_1)
	v_xor_b32_e32 v28, 0x80000000, v2
	ds_store_b32 v5, v28
.LBB114_75:                             ;   in Loop: Header=BB114_3 Depth=1
	s_or_b32 exec_lo, exec_lo, s34
	s_wait_loadcnt_dscnt 0x0
	s_barrier_signal -1
	s_barrier_wait -1
	s_and_saveexec_b32 s34, s90
	s_cbranch_execz .LBB114_77
; %bb.76:                               ;   in Loop: Header=BB114_3 Depth=1
	ds_load_b32 v28, v3 offset:15856
	ds_load_b32 v29, v5
	s_wait_dscnt 0x0
	v_fma_f32 v2, -v28, v29, v2
.LBB114_77:                             ;   in Loop: Header=BB114_3 Depth=1
	s_or_b32 exec_lo, exec_lo, s34
	s_barrier_signal -1
	s_barrier_wait -1
	s_and_saveexec_b32 s34, s90
	s_cbranch_execz .LBB114_79
; %bb.78:                               ;   in Loop: Header=BB114_3 Depth=1
	ds_load_b32 v28, v3 offset:15600
	s_wait_dscnt 0x0
	v_mul_f32_e32 v2, v2, v28
	s_delay_alu instid0(VALU_DEP_1)
	v_xor_b32_e32 v28, 0x80000000, v2
	ds_store_b32 v5, v28
.LBB114_79:                             ;   in Loop: Header=BB114_3 Depth=1
	s_or_b32 exec_lo, exec_lo, s34
	s_wait_dscnt 0x0
	s_barrier_signal -1
	s_barrier_wait -1
	s_barrier_signal -1
	s_barrier_wait -1
	s_and_saveexec_b32 s34, s2
; %bb.80:                               ;   in Loop: Header=BB114_3 Depth=1
	ds_store_b32 v37, v2 offset:16368
; %bb.81:                               ;   in Loop: Header=BB114_3 Depth=1
	s_or_b32 exec_lo, exec_lo, s34
	s_wait_dscnt 0x0
	s_barrier_signal -1
	s_barrier_wait -1
	s_barrier_signal -1
	s_barrier_wait -1
	s_and_saveexec_b32 s34, s91
	s_cbranch_execz .LBB114_83
; %bb.82:                               ;   in Loop: Header=BB114_3 Depth=1
	ds_load_b32 v2, v38 offset:16112
	s_wait_dscnt 0x0
	ds_store_b32 v36, v2 offset:15608
	ds_load_b32 v2, v38 offset:16116
	s_wait_dscnt 0x0
	ds_store_b32 v36, v2 offset:15864
.LBB114_83:                             ;   in Loop: Header=BB114_3 Depth=1
	s_or_b32 exec_lo, exec_lo, s34
	s_wait_dscnt 0x0
	s_barrier_signal -1
	s_barrier_wait -1
	s_and_saveexec_b32 s34, s15
	s_cbranch_execz .LBB114_85
; %bb.84:                               ;   in Loop: Header=BB114_3 Depth=1
	ds_load_b64 v[28:29], v3 offset:15856
	ds_load_b32 v2, v3 offset:15600
	s_wait_dscnt 0x0
	v_mul_f32_e32 v2, v2, v29
	s_delay_alu instid0(VALU_DEP_1)
	v_mul_f32_e32 v2, v28, v2
	v_add_nc_u32_e64 v28, 0x3c00, 0
	ds_store_2addr_b32 v28, v2, v2 offset0:61 offset1:124
.LBB114_85:                             ;   in Loop: Header=BB114_3 Depth=1
	s_or_b32 exec_lo, exec_lo, s34
	v_mov_b32_e32 v2, 0
	s_wait_dscnt 0x0
	s_barrier_signal -1
	s_barrier_wait -1
	global_wb scope:SCOPE_DEV
	s_wait_storecnt 0x0
	global_inv scope:SCOPE_DEV
	s_and_saveexec_b32 s34, s4
	s_cbranch_execz .LBB114_91
; %bb.86:                               ;   in Loop: Header=BB114_3 Depth=1
	ds_load_b32 v2, v41 offset:15584
	ds_load_b32 v28, v40 offset:16368
	s_wait_dscnt 0x0
	v_fma_f32 v2, v2, v28, 0
	s_and_saveexec_b32 s65, s17
	s_cbranch_execnz .LBB114_1207
; %bb.87:                               ;   in Loop: Header=BB114_3 Depth=1
	s_or_b32 exec_lo, exec_lo, s65
	s_and_saveexec_b32 s65, s18
	s_cbranch_execnz .LBB114_1208
.LBB114_88:                             ;   in Loop: Header=BB114_3 Depth=1
	s_or_b32 exec_lo, exec_lo, s65
	s_and_saveexec_b32 s65, s2
	s_cbranch_execz .LBB114_90
.LBB114_89:                             ;   in Loop: Header=BB114_3 Depth=1
	ds_load_b32 v28, v42 offset:16352
	ds_load_b32 v29, v3 offset:16380
	s_wait_dscnt 0x0
	v_fmac_f32_e32 v2, v28, v29
.LBB114_90:                             ;   in Loop: Header=BB114_3 Depth=1
	s_or_b32 exec_lo, exec_lo, s65
.LBB114_91:                             ;   in Loop: Header=BB114_3 Depth=1
	s_delay_alu instid0(SALU_CYCLE_1)
	s_or_b32 exec_lo, exec_lo, s34
	s_and_saveexec_b32 s34, s92
	s_cbranch_execz .LBB114_93
; %bb.92:                               ;   in Loop: Header=BB114_3 Depth=1
	ds_load_b32 v28, v3 offset:15340
	s_wait_dscnt 0x0
	v_mul_f32_e32 v2, v2, v28
	s_delay_alu instid0(VALU_DEP_1)
	v_xor_b32_e32 v28, 0x80000000, v2
	ds_store_b32 v39, v28
.LBB114_93:                             ;   in Loop: Header=BB114_3 Depth=1
	s_or_b32 exec_lo, exec_lo, s34
	s_wait_loadcnt_dscnt 0x0
	s_barrier_signal -1
	s_barrier_wait -1
	s_and_saveexec_b32 s34, s93
	s_cbranch_execz .LBB114_95
; %bb.94:                               ;   in Loop: Header=BB114_3 Depth=1
	ds_load_b32 v28, v41 offset:15328
	ds_load_b32 v29, v39
	s_wait_dscnt 0x0
	v_fma_f32 v2, -v28, v29, v2
.LBB114_95:                             ;   in Loop: Header=BB114_3 Depth=1
	s_or_b32 exec_lo, exec_lo, s34
	s_barrier_signal -1
	s_barrier_wait -1
	s_and_saveexec_b32 s34, s94
	s_cbranch_execz .LBB114_97
; %bb.96:                               ;   in Loop: Header=BB114_3 Depth=1
	ds_load_b32 v28, v3 offset:15080
	s_wait_dscnt 0x0
	v_mul_f32_e32 v2, v2, v28
	s_delay_alu instid0(VALU_DEP_1)
	v_xor_b32_e32 v28, 0x80000000, v2
	ds_store_b32 v39, v28
.LBB114_97:                             ;   in Loop: Header=BB114_3 Depth=1
	s_or_b32 exec_lo, exec_lo, s34
	s_wait_dscnt 0x0
	s_barrier_signal -1
	s_barrier_wait -1
	s_and_saveexec_b32 s34, s95
	s_cbranch_execz .LBB114_99
; %bb.98:                               ;   in Loop: Header=BB114_3 Depth=1
	ds_load_b32 v28, v41 offset:15072
	ds_load_b32 v29, v39
	s_wait_dscnt 0x0
	v_fma_f32 v2, -v28, v29, v2
.LBB114_99:                             ;   in Loop: Header=BB114_3 Depth=1
	s_or_b32 exec_lo, exec_lo, s34
	s_barrier_signal -1
	s_barrier_wait -1
	s_and_saveexec_b32 s34, s96
	s_cbranch_execz .LBB114_101
; %bb.100:                              ;   in Loop: Header=BB114_3 Depth=1
	ds_load_b32 v28, v3 offset:14820
	s_wait_dscnt 0x0
	v_mul_f32_e32 v2, v2, v28
	s_delay_alu instid0(VALU_DEP_1)
	v_xor_b32_e32 v28, 0x80000000, v2
	ds_store_b32 v39, v28
.LBB114_101:                            ;   in Loop: Header=BB114_3 Depth=1
	s_or_b32 exec_lo, exec_lo, s34
	s_wait_dscnt 0x0
	s_barrier_signal -1
	s_barrier_wait -1
	s_and_saveexec_b32 s34, s97
	s_cbranch_execz .LBB114_103
; %bb.102:                              ;   in Loop: Header=BB114_3 Depth=1
	ds_load_b32 v28, v3 offset:14816
	ds_load_b32 v29, v39
	s_wait_dscnt 0x0
	v_fma_f32 v2, -v28, v29, v2
.LBB114_103:                            ;   in Loop: Header=BB114_3 Depth=1
	s_or_b32 exec_lo, exec_lo, s34
	s_barrier_signal -1
	s_barrier_wait -1
	s_and_saveexec_b32 s34, s97
	s_cbranch_execz .LBB114_105
; %bb.104:                              ;   in Loop: Header=BB114_3 Depth=1
	ds_load_b32 v28, v3 offset:14560
	s_wait_dscnt 0x0
	v_mul_f32_e32 v2, v2, v28
	s_delay_alu instid0(VALU_DEP_1)
	v_xor_b32_e32 v28, 0x80000000, v2
	ds_store_b32 v39, v28
.LBB114_105:                            ;   in Loop: Header=BB114_3 Depth=1
	s_or_b32 exec_lo, exec_lo, s34
	s_wait_dscnt 0x0
	s_barrier_signal -1
	s_barrier_wait -1
	s_barrier_signal -1
	s_barrier_wait -1
	s_and_saveexec_b32 s34, s4
; %bb.106:                              ;   in Loop: Header=BB114_3 Depth=1
	ds_store_b32 v43, v2 offset:16352
; %bb.107:                              ;   in Loop: Header=BB114_3 Depth=1
	s_or_b32 exec_lo, exec_lo, s34
	s_wait_dscnt 0x0
	s_barrier_signal -1
	s_barrier_wait -1
	s_barrier_signal -1
	s_barrier_wait -1
	s_and_saveexec_b32 s34, s98
	s_cbranch_execz .LBB114_109
; %bb.108:                              ;   in Loop: Header=BB114_3 Depth=1
	ds_load_b32 v2, v7 offset:15584
	s_wait_dscnt 0x0
	ds_store_b32 v53, v2 offset:14576
	ds_load_b32 v2, v7 offset:15588
	s_wait_dscnt 0x0
	ds_store_b32 v53, v2 offset:14832
	;; [unrolled: 3-line block ×4, first 2 shown]
.LBB114_109:                            ;   in Loop: Header=BB114_3 Depth=1
	s_or_b32 exec_lo, exec_lo, s34
	s_wait_dscnt 0x0
	s_barrier_signal -1
	s_barrier_wait -1
	s_and_saveexec_b32 s34, s15
	s_cbranch_execz .LBB114_111
; %bb.110:                              ;   in Loop: Header=BB114_3 Depth=1
	ds_load_b64 v[28:29], v3 offset:15336
	ds_load_b32 v2, v3 offset:15080
	s_wait_dscnt 0x0
	v_mul_f32_e32 v2, v2, v29
	s_delay_alu instid0(VALU_DEP_1)
	v_mul_f32_e32 v2, v28, v2
	v_add_nc_u32_e64 v28, 0x3800, 0
	ds_store_2addr_b32 v28, v2, v2 offset0:187 offset1:250
.LBB114_111:                            ;   in Loop: Header=BB114_3 Depth=1
	s_or_b32 exec_lo, exec_lo, s34
	v_mov_b32_e32 v2, 0
	s_wait_dscnt 0x0
	s_barrier_signal -1
	s_barrier_wait -1
	global_wb scope:SCOPE_DEV
	s_wait_storecnt 0x0
	global_inv scope:SCOPE_DEV
	s_and_saveexec_b32 s34, s2
	s_cbranch_execz .LBB114_115
; %bb.112:                              ;   in Loop: Header=BB114_3 Depth=1
	ds_load_b32 v2, v35 offset:15072
	ds_load_b32 v28, v34 offset:15336
	s_wait_dscnt 0x0
	v_fma_f32 v2, v2, v28, 0
	s_and_saveexec_b32 s65, s16
	s_cbranch_execz .LBB114_114
; %bb.113:                              ;   in Loop: Header=BB114_3 Depth=1
	ds_load_b32 v28, v53 offset:15328
	ds_load_b32 v29, v3 offset:15340
	s_wait_dscnt 0x0
	v_fmac_f32_e32 v2, v28, v29
.LBB114_114:                            ;   in Loop: Header=BB114_3 Depth=1
	s_or_b32 exec_lo, exec_lo, s65
.LBB114_115:                            ;   in Loop: Header=BB114_3 Depth=1
	s_delay_alu instid0(SALU_CYCLE_1)
	s_or_b32 exec_lo, exec_lo, s34
	s_and_saveexec_b32 s34, s89
	s_cbranch_execz .LBB114_117
; %bb.116:                              ;   in Loop: Header=BB114_3 Depth=1
	ds_load_b32 v28, v3 offset:14820
	s_wait_dscnt 0x0
	v_mul_f32_e32 v2, v2, v28
	s_delay_alu instid0(VALU_DEP_1)
	v_xor_b32_e32 v28, 0x80000000, v2
	ds_store_b32 v5, v28
.LBB114_117:                            ;   in Loop: Header=BB114_3 Depth=1
	s_or_b32 exec_lo, exec_lo, s34
	s_wait_loadcnt_dscnt 0x0
	s_barrier_signal -1
	s_barrier_wait -1
	s_and_saveexec_b32 s34, s90
	s_cbranch_execz .LBB114_119
; %bb.118:                              ;   in Loop: Header=BB114_3 Depth=1
	ds_load_b32 v28, v3 offset:14816
	ds_load_b32 v29, v5
	s_wait_dscnt 0x0
	v_fma_f32 v2, -v28, v29, v2
.LBB114_119:                            ;   in Loop: Header=BB114_3 Depth=1
	s_or_b32 exec_lo, exec_lo, s34
	s_barrier_signal -1
	s_barrier_wait -1
	s_and_saveexec_b32 s34, s90
	s_cbranch_execz .LBB114_121
; %bb.120:                              ;   in Loop: Header=BB114_3 Depth=1
	ds_load_b32 v28, v3 offset:14560
	s_wait_dscnt 0x0
	v_mul_f32_e32 v2, v2, v28
	s_delay_alu instid0(VALU_DEP_1)
	v_xor_b32_e32 v28, 0x80000000, v2
	ds_store_b32 v5, v28
.LBB114_121:                            ;   in Loop: Header=BB114_3 Depth=1
	s_or_b32 exec_lo, exec_lo, s34
	s_wait_dscnt 0x0
	s_barrier_signal -1
	s_barrier_wait -1
	s_barrier_signal -1
	s_barrier_wait -1
	s_and_saveexec_b32 s34, s2
; %bb.122:                              ;   in Loop: Header=BB114_3 Depth=1
	ds_store_b32 v37, v2 offset:15328
; %bb.123:                              ;   in Loop: Header=BB114_3 Depth=1
	s_or_b32 exec_lo, exec_lo, s34
	s_wait_dscnt 0x0
	s_barrier_signal -1
	s_barrier_wait -1
	s_barrier_signal -1
	s_barrier_wait -1
	s_and_saveexec_b32 s34, s91
	s_cbranch_execz .LBB114_125
; %bb.124:                              ;   in Loop: Header=BB114_3 Depth=1
	ds_load_b32 v2, v54 offset:15072
	s_wait_dscnt 0x0
	ds_store_b32 v53, v2 offset:14568
	ds_load_b32 v2, v54 offset:15076
	s_wait_dscnt 0x0
	ds_store_b32 v53, v2 offset:14824
.LBB114_125:                            ;   in Loop: Header=BB114_3 Depth=1
	s_or_b32 exec_lo, exec_lo, s34
	s_wait_dscnt 0x0
	s_barrier_signal -1
	s_barrier_wait -1
	s_and_saveexec_b32 s34, s15
	s_cbranch_execz .LBB114_127
; %bb.126:                              ;   in Loop: Header=BB114_3 Depth=1
	ds_load_b64 v[28:29], v3 offset:14816
	ds_load_b32 v2, v3 offset:14560
	s_wait_dscnt 0x0
	v_mul_f32_e32 v2, v2, v29
	s_delay_alu instid0(VALU_DEP_1)
	v_mul_f32_e32 v2, v28, v2
	v_add_nc_u32_e64 v28, 0x3800, 0
	ds_store_2addr_b32 v28, v2, v2 offset0:57 offset1:120
.LBB114_127:                            ;   in Loop: Header=BB114_3 Depth=1
	s_or_b32 exec_lo, exec_lo, s34
	v_mov_b32_e32 v2, 0
	s_wait_dscnt 0x0
	s_barrier_signal -1
	s_barrier_wait -1
	global_wb scope:SCOPE_DEV
	s_wait_storecnt 0x0
	global_inv scope:SCOPE_DEV
	s_and_saveexec_b32 s34, s5
	s_cbranch_execz .LBB114_137
; %bb.128:                              ;   in Loop: Header=BB114_3 Depth=1
	ds_load_b32 v2, v46 offset:14528
	ds_load_b32 v28, v45 offset:16352
	s_wait_dscnt 0x0
	v_fma_f32 v2, v2, v28, 0
	s_and_saveexec_b32 s65, s19
	s_cbranch_execnz .LBB114_1209
; %bb.129:                              ;   in Loop: Header=BB114_3 Depth=1
	s_or_b32 exec_lo, exec_lo, s65
	s_and_saveexec_b32 s65, s20
	s_cbranch_execnz .LBB114_1210
.LBB114_130:                            ;   in Loop: Header=BB114_3 Depth=1
	s_or_b32 exec_lo, exec_lo, s65
	s_and_saveexec_b32 s65, s21
	s_cbranch_execnz .LBB114_1211
.LBB114_131:                            ;   in Loop: Header=BB114_3 Depth=1
	s_or_b32 exec_lo, exec_lo, s65
	s_and_saveexec_b32 s65, s22
	s_cbranch_execnz .LBB114_1212
.LBB114_132:                            ;   in Loop: Header=BB114_3 Depth=1
	s_or_b32 exec_lo, exec_lo, s65
	s_and_saveexec_b32 s65, s23
	s_cbranch_execnz .LBB114_1213
.LBB114_133:                            ;   in Loop: Header=BB114_3 Depth=1
	s_or_b32 exec_lo, exec_lo, s65
	s_and_saveexec_b32 s65, s4
	s_cbranch_execnz .LBB114_1214
.LBB114_134:                            ;   in Loop: Header=BB114_3 Depth=1
	s_or_b32 exec_lo, exec_lo, s65
	s_and_saveexec_b32 s65, s18
	s_cbranch_execz .LBB114_136
.LBB114_135:                            ;   in Loop: Header=BB114_3 Depth=1
	ds_load_b32 v28, v55 offset:16320
	ds_load_b32 v29, v3 offset:16380
	s_wait_dscnt 0x0
	v_fmac_f32_e32 v2, v28, v29
.LBB114_136:                            ;   in Loop: Header=BB114_3 Depth=1
	s_or_b32 exec_lo, exec_lo, s65
.LBB114_137:                            ;   in Loop: Header=BB114_3 Depth=1
	s_delay_alu instid0(SALU_CYCLE_1)
	s_or_b32 exec_lo, exec_lo, s34
	s_and_saveexec_b32 s34, s99
	s_cbranch_execz .LBB114_139
; %bb.138:                              ;   in Loop: Header=BB114_3 Depth=1
	ds_load_b32 v28, v3 offset:14300
	s_wait_dscnt 0x0
	v_mul_f32_e32 v2, v2, v28
	s_delay_alu instid0(VALU_DEP_1)
	v_xor_b32_e32 v28, 0x80000000, v2
	ds_store_b32 v44, v28
.LBB114_139:                            ;   in Loop: Header=BB114_3 Depth=1
	s_or_b32 exec_lo, exec_lo, s34
	s_wait_loadcnt_dscnt 0x0
	s_barrier_signal -1
	s_barrier_wait -1
	s_and_saveexec_b32 s34, s100
	s_cbranch_execz .LBB114_141
; %bb.140:                              ;   in Loop: Header=BB114_3 Depth=1
	ds_load_b32 v28, v46 offset:14272
	ds_load_b32 v29, v44
	s_wait_dscnt 0x0
	v_fma_f32 v2, -v28, v29, v2
.LBB114_141:                            ;   in Loop: Header=BB114_3 Depth=1
	s_or_b32 exec_lo, exec_lo, s34
	s_barrier_signal -1
	s_barrier_wait -1
	s_and_saveexec_b32 s34, s101
	s_cbranch_execz .LBB114_143
; %bb.142:                              ;   in Loop: Header=BB114_3 Depth=1
	ds_load_b32 v28, v3 offset:14040
	s_wait_dscnt 0x0
	v_mul_f32_e32 v2, v2, v28
	s_delay_alu instid0(VALU_DEP_1)
	v_xor_b32_e32 v28, 0x80000000, v2
	ds_store_b32 v44, v28
.LBB114_143:                            ;   in Loop: Header=BB114_3 Depth=1
	s_or_b32 exec_lo, exec_lo, s34
	s_wait_dscnt 0x0
	s_barrier_signal -1
	s_barrier_wait -1
	s_and_saveexec_b32 s34, s102
	s_cbranch_execz .LBB114_145
; %bb.144:                              ;   in Loop: Header=BB114_3 Depth=1
	ds_load_b32 v28, v46 offset:14016
	ds_load_b32 v29, v44
	s_wait_dscnt 0x0
	v_fma_f32 v2, -v28, v29, v2
.LBB114_145:                            ;   in Loop: Header=BB114_3 Depth=1
	s_or_b32 exec_lo, exec_lo, s34
	s_barrier_signal -1
	s_barrier_wait -1
	s_and_saveexec_b32 s34, s103
	s_cbranch_execz .LBB114_147
; %bb.146:                              ;   in Loop: Header=BB114_3 Depth=1
	ds_load_b32 v28, v3 offset:13780
	s_wait_dscnt 0x0
	v_mul_f32_e32 v2, v2, v28
	s_delay_alu instid0(VALU_DEP_1)
	v_xor_b32_e32 v28, 0x80000000, v2
	ds_store_b32 v44, v28
.LBB114_147:                            ;   in Loop: Header=BB114_3 Depth=1
	s_or_b32 exec_lo, exec_lo, s34
	s_wait_dscnt 0x0
	s_barrier_signal -1
	s_barrier_wait -1
	s_and_saveexec_b32 s34, s104
	s_cbranch_execz .LBB114_149
; %bb.148:                              ;   in Loop: Header=BB114_3 Depth=1
	ds_load_b32 v28, v46 offset:13760
	ds_load_b32 v29, v44
	s_wait_dscnt 0x0
	v_fma_f32 v2, -v28, v29, v2
.LBB114_149:                            ;   in Loop: Header=BB114_3 Depth=1
	s_or_b32 exec_lo, exec_lo, s34
	s_barrier_signal -1
	s_barrier_wait -1
	s_and_saveexec_b32 s34, vcc_hi
	s_cbranch_execz .LBB114_151
; %bb.150:                              ;   in Loop: Header=BB114_3 Depth=1
	ds_load_b32 v28, v3 offset:13520
	s_wait_dscnt 0x0
	v_mul_f32_e32 v2, v2, v28
	s_delay_alu instid0(VALU_DEP_1)
	v_xor_b32_e32 v28, 0x80000000, v2
	ds_store_b32 v44, v28
.LBB114_151:                            ;   in Loop: Header=BB114_3 Depth=1
	s_or_b32 exec_lo, exec_lo, s34
	s_wait_dscnt 0x0
	s_barrier_signal -1
	s_barrier_wait -1
	s_and_saveexec_b32 s34, s36
	s_cbranch_execz .LBB114_153
; %bb.152:                              ;   in Loop: Header=BB114_3 Depth=1
	ds_load_b32 v28, v46 offset:13504
	ds_load_b32 v29, v44
	s_wait_dscnt 0x0
	v_fma_f32 v2, -v28, v29, v2
.LBB114_153:                            ;   in Loop: Header=BB114_3 Depth=1
	s_or_b32 exec_lo, exec_lo, s34
	s_barrier_signal -1
	s_barrier_wait -1
	s_and_saveexec_b32 s34, s37
	s_cbranch_execz .LBB114_155
; %bb.154:                              ;   in Loop: Header=BB114_3 Depth=1
	ds_load_b32 v28, v3 offset:13260
	s_wait_dscnt 0x0
	v_mul_f32_e32 v2, v2, v28
	s_delay_alu instid0(VALU_DEP_1)
	v_xor_b32_e32 v28, 0x80000000, v2
	ds_store_b32 v44, v28
.LBB114_155:                            ;   in Loop: Header=BB114_3 Depth=1
	s_or_b32 exec_lo, exec_lo, s34
	s_wait_dscnt 0x0
	s_barrier_signal -1
	s_barrier_wait -1
	s_and_saveexec_b32 s34, s38
	s_cbranch_execz .LBB114_157
; %bb.156:                              ;   in Loop: Header=BB114_3 Depth=1
	ds_load_b32 v28, v46 offset:13248
	ds_load_b32 v29, v44
	s_wait_dscnt 0x0
	v_fma_f32 v2, -v28, v29, v2
.LBB114_157:                            ;   in Loop: Header=BB114_3 Depth=1
	s_or_b32 exec_lo, exec_lo, s34
	s_barrier_signal -1
	s_barrier_wait -1
	s_and_saveexec_b32 s34, s39
	;; [unrolled: 25-line block ×4, first 2 shown]
	s_cbranch_execz .LBB114_167
; %bb.166:                              ;   in Loop: Header=BB114_3 Depth=1
	ds_load_b32 v28, v3 offset:12480
	s_wait_dscnt 0x0
	v_mul_f32_e32 v2, v2, v28
	s_delay_alu instid0(VALU_DEP_1)
	v_xor_b32_e32 v28, 0x80000000, v2
	ds_store_b32 v44, v28
.LBB114_167:                            ;   in Loop: Header=BB114_3 Depth=1
	s_or_b32 exec_lo, exec_lo, s34
	s_wait_dscnt 0x0
	s_barrier_signal -1
	s_barrier_wait -1
	s_barrier_signal -1
	s_barrier_wait -1
	s_and_saveexec_b32 s34, s5
; %bb.168:                              ;   in Loop: Header=BB114_3 Depth=1
	ds_store_b32 v47, v2 offset:16320
; %bb.169:                              ;   in Loop: Header=BB114_3 Depth=1
	s_or_b32 exec_lo, exec_lo, s34
	s_wait_dscnt 0x0
	s_barrier_signal -1
	s_barrier_wait -1
	s_barrier_signal -1
	s_barrier_wait -1
	s_and_saveexec_b32 s34, s43
	s_cbranch_execz .LBB114_171
; %bb.170:                              ;   in Loop: Header=BB114_3 Depth=1
	ds_load_b32 v2, v56 offset:14528
	s_wait_dscnt 0x0
	ds_store_b32 v57, v2 offset:12512
	ds_load_b32 v2, v56 offset:14532
	s_wait_dscnt 0x0
	ds_store_b32 v57, v2 offset:12768
	;; [unrolled: 3-line block ×8, first 2 shown]
.LBB114_171:                            ;   in Loop: Header=BB114_3 Depth=1
	s_or_b32 exec_lo, exec_lo, s34
	s_wait_dscnt 0x0
	s_barrier_signal -1
	s_barrier_wait -1
	s_and_saveexec_b32 s34, s15
	s_cbranch_execz .LBB114_173
; %bb.172:                              ;   in Loop: Header=BB114_3 Depth=1
	ds_load_b64 v[28:29], v3 offset:14296
	ds_load_b32 v2, v3 offset:14040
	s_wait_dscnt 0x0
	v_mul_f32_e32 v2, v2, v29
	s_delay_alu instid0(VALU_DEP_1)
	v_mul_f32_e32 v2, v28, v2
	v_add_nc_u32_e64 v28, 0x3400, 0
	ds_store_2addr_b32 v28, v2, v2 offset0:183 offset1:246
.LBB114_173:                            ;   in Loop: Header=BB114_3 Depth=1
	s_or_b32 exec_lo, exec_lo, s34
	v_mov_b32_e32 v2, 0
	s_wait_dscnt 0x0
	s_barrier_signal -1
	s_barrier_wait -1
	global_wb scope:SCOPE_DEV
	s_wait_storecnt 0x0
	global_inv scope:SCOPE_DEV
	s_and_saveexec_b32 s34, s2
	s_cbranch_execz .LBB114_177
; %bb.174:                              ;   in Loop: Header=BB114_3 Depth=1
	ds_load_b32 v2, v35 offset:14032
	ds_load_b32 v28, v34 offset:14296
	s_wait_dscnt 0x0
	v_fma_f32 v2, v2, v28, 0
	s_and_saveexec_b32 s65, s16
	s_cbranch_execz .LBB114_176
; %bb.175:                              ;   in Loop: Header=BB114_3 Depth=1
	ds_load_b32 v28, v57 offset:14288
	ds_load_b32 v29, v3 offset:14300
	s_wait_dscnt 0x0
	v_fmac_f32_e32 v2, v28, v29
.LBB114_176:                            ;   in Loop: Header=BB114_3 Depth=1
	s_or_b32 exec_lo, exec_lo, s65
.LBB114_177:                            ;   in Loop: Header=BB114_3 Depth=1
	s_delay_alu instid0(SALU_CYCLE_1)
	s_or_b32 exec_lo, exec_lo, s34
	s_and_saveexec_b32 s34, s89
	s_cbranch_execz .LBB114_179
; %bb.178:                              ;   in Loop: Header=BB114_3 Depth=1
	ds_load_b32 v28, v3 offset:13780
	s_wait_dscnt 0x0
	v_mul_f32_e32 v2, v2, v28
	s_delay_alu instid0(VALU_DEP_1)
	v_xor_b32_e32 v28, 0x80000000, v2
	ds_store_b32 v5, v28
.LBB114_179:                            ;   in Loop: Header=BB114_3 Depth=1
	s_or_b32 exec_lo, exec_lo, s34
	s_wait_loadcnt_dscnt 0x0
	s_barrier_signal -1
	s_barrier_wait -1
	s_and_saveexec_b32 s34, s90
	s_cbranch_execz .LBB114_181
; %bb.180:                              ;   in Loop: Header=BB114_3 Depth=1
	ds_load_b32 v28, v3 offset:13776
	ds_load_b32 v29, v5
	s_wait_dscnt 0x0
	v_fma_f32 v2, -v28, v29, v2
.LBB114_181:                            ;   in Loop: Header=BB114_3 Depth=1
	s_or_b32 exec_lo, exec_lo, s34
	s_barrier_signal -1
	s_barrier_wait -1
	s_and_saveexec_b32 s34, s90
	s_cbranch_execz .LBB114_183
; %bb.182:                              ;   in Loop: Header=BB114_3 Depth=1
	ds_load_b32 v28, v3 offset:13520
	s_wait_dscnt 0x0
	v_mul_f32_e32 v2, v2, v28
	s_delay_alu instid0(VALU_DEP_1)
	v_xor_b32_e32 v28, 0x80000000, v2
	ds_store_b32 v5, v28
.LBB114_183:                            ;   in Loop: Header=BB114_3 Depth=1
	s_or_b32 exec_lo, exec_lo, s34
	s_wait_dscnt 0x0
	s_barrier_signal -1
	s_barrier_wait -1
	s_barrier_signal -1
	s_barrier_wait -1
	s_and_saveexec_b32 s34, s2
; %bb.184:                              ;   in Loop: Header=BB114_3 Depth=1
	ds_store_b32 v37, v2 offset:14288
; %bb.185:                              ;   in Loop: Header=BB114_3 Depth=1
	s_or_b32 exec_lo, exec_lo, s34
	s_wait_dscnt 0x0
	s_barrier_signal -1
	s_barrier_wait -1
	s_barrier_signal -1
	s_barrier_wait -1
	s_and_saveexec_b32 s34, s91
	s_cbranch_execz .LBB114_187
; %bb.186:                              ;   in Loop: Header=BB114_3 Depth=1
	ds_load_b32 v2, v58 offset:14032
	s_wait_dscnt 0x0
	ds_store_b32 v57, v2 offset:13528
	ds_load_b32 v2, v58 offset:14036
	s_wait_dscnt 0x0
	ds_store_b32 v57, v2 offset:13784
.LBB114_187:                            ;   in Loop: Header=BB114_3 Depth=1
	s_or_b32 exec_lo, exec_lo, s34
	s_wait_dscnt 0x0
	s_barrier_signal -1
	s_barrier_wait -1
	s_and_saveexec_b32 s34, s15
	s_cbranch_execz .LBB114_189
; %bb.188:                              ;   in Loop: Header=BB114_3 Depth=1
	ds_load_b64 v[28:29], v3 offset:13776
	ds_load_b32 v2, v3 offset:13520
	s_wait_dscnt 0x0
	v_mul_f32_e32 v2, v2, v29
	s_delay_alu instid0(VALU_DEP_1)
	v_mul_f32_e32 v2, v28, v2
	v_add_nc_u32_e64 v28, 0x3400, 0
	ds_store_2addr_b32 v28, v2, v2 offset0:53 offset1:116
.LBB114_189:                            ;   in Loop: Header=BB114_3 Depth=1
	s_or_b32 exec_lo, exec_lo, s34
	v_mov_b32_e32 v2, 0
	s_wait_dscnt 0x0
	s_barrier_signal -1
	s_barrier_wait -1
	global_wb scope:SCOPE_DEV
	s_wait_storecnt 0x0
	global_inv scope:SCOPE_DEV
	s_and_saveexec_b32 s34, s4
	s_cbranch_execz .LBB114_195
; %bb.190:                              ;   in Loop: Header=BB114_3 Depth=1
	ds_load_b32 v2, v41 offset:13504
	ds_load_b32 v28, v40 offset:14288
	s_wait_dscnt 0x0
	v_fma_f32 v2, v2, v28, 0
	s_and_saveexec_b32 s65, s17
	s_cbranch_execnz .LBB114_1215
; %bb.191:                              ;   in Loop: Header=BB114_3 Depth=1
	s_or_b32 exec_lo, exec_lo, s65
	s_and_saveexec_b32 s65, s18
	s_cbranch_execnz .LBB114_1216
.LBB114_192:                            ;   in Loop: Header=BB114_3 Depth=1
	s_or_b32 exec_lo, exec_lo, s65
	s_and_saveexec_b32 s65, s2
	s_cbranch_execz .LBB114_194
.LBB114_193:                            ;   in Loop: Header=BB114_3 Depth=1
	ds_load_b32 v28, v59 offset:14272
	ds_load_b32 v29, v3 offset:14300
	s_wait_dscnt 0x0
	v_fmac_f32_e32 v2, v28, v29
.LBB114_194:                            ;   in Loop: Header=BB114_3 Depth=1
	s_or_b32 exec_lo, exec_lo, s65
.LBB114_195:                            ;   in Loop: Header=BB114_3 Depth=1
	s_delay_alu instid0(SALU_CYCLE_1)
	s_or_b32 exec_lo, exec_lo, s34
	s_and_saveexec_b32 s34, s92
	s_cbranch_execz .LBB114_197
; %bb.196:                              ;   in Loop: Header=BB114_3 Depth=1
	ds_load_b32 v28, v3 offset:13260
	s_wait_dscnt 0x0
	v_mul_f32_e32 v2, v2, v28
	s_delay_alu instid0(VALU_DEP_1)
	v_xor_b32_e32 v28, 0x80000000, v2
	ds_store_b32 v39, v28
.LBB114_197:                            ;   in Loop: Header=BB114_3 Depth=1
	s_or_b32 exec_lo, exec_lo, s34
	s_wait_loadcnt_dscnt 0x0
	s_barrier_signal -1
	s_barrier_wait -1
	s_and_saveexec_b32 s34, s93
	s_cbranch_execz .LBB114_199
; %bb.198:                              ;   in Loop: Header=BB114_3 Depth=1
	ds_load_b32 v28, v41 offset:13248
	ds_load_b32 v29, v39
	s_wait_dscnt 0x0
	v_fma_f32 v2, -v28, v29, v2
.LBB114_199:                            ;   in Loop: Header=BB114_3 Depth=1
	s_or_b32 exec_lo, exec_lo, s34
	s_barrier_signal -1
	s_barrier_wait -1
	s_and_saveexec_b32 s34, s94
	s_cbranch_execz .LBB114_201
; %bb.200:                              ;   in Loop: Header=BB114_3 Depth=1
	ds_load_b32 v28, v3 offset:13000
	s_wait_dscnt 0x0
	v_mul_f32_e32 v2, v2, v28
	s_delay_alu instid0(VALU_DEP_1)
	v_xor_b32_e32 v28, 0x80000000, v2
	ds_store_b32 v39, v28
.LBB114_201:                            ;   in Loop: Header=BB114_3 Depth=1
	s_or_b32 exec_lo, exec_lo, s34
	s_wait_dscnt 0x0
	s_barrier_signal -1
	s_barrier_wait -1
	s_and_saveexec_b32 s34, s95
	s_cbranch_execz .LBB114_203
; %bb.202:                              ;   in Loop: Header=BB114_3 Depth=1
	ds_load_b32 v28, v41 offset:12992
	ds_load_b32 v29, v39
	s_wait_dscnt 0x0
	v_fma_f32 v2, -v28, v29, v2
.LBB114_203:                            ;   in Loop: Header=BB114_3 Depth=1
	s_or_b32 exec_lo, exec_lo, s34
	s_barrier_signal -1
	s_barrier_wait -1
	s_and_saveexec_b32 s34, s96
	s_cbranch_execz .LBB114_205
; %bb.204:                              ;   in Loop: Header=BB114_3 Depth=1
	ds_load_b32 v28, v3 offset:12740
	s_wait_dscnt 0x0
	v_mul_f32_e32 v2, v2, v28
	s_delay_alu instid0(VALU_DEP_1)
	v_xor_b32_e32 v28, 0x80000000, v2
	ds_store_b32 v39, v28
.LBB114_205:                            ;   in Loop: Header=BB114_3 Depth=1
	s_or_b32 exec_lo, exec_lo, s34
	s_wait_dscnt 0x0
	;; [unrolled: 25-line block ×3, first 2 shown]
	s_barrier_signal -1
	s_barrier_wait -1
	s_barrier_signal -1
	s_barrier_wait -1
	s_and_saveexec_b32 s34, s4
; %bb.210:                              ;   in Loop: Header=BB114_3 Depth=1
	ds_store_b32 v43, v2 offset:14272
; %bb.211:                              ;   in Loop: Header=BB114_3 Depth=1
	s_or_b32 exec_lo, exec_lo, s34
	s_wait_dscnt 0x0
	s_barrier_signal -1
	s_barrier_wait -1
	s_barrier_signal -1
	s_barrier_wait -1
	s_and_saveexec_b32 s34, s98
	s_cbranch_execz .LBB114_213
; %bb.212:                              ;   in Loop: Header=BB114_3 Depth=1
	ds_load_b32 v2, v60 offset:13504
	s_wait_dscnt 0x0
	ds_store_b32 v61, v2 offset:12496
	ds_load_b32 v2, v60 offset:13508
	s_wait_dscnt 0x0
	ds_store_b32 v61, v2 offset:12752
	;; [unrolled: 3-line block ×4, first 2 shown]
.LBB114_213:                            ;   in Loop: Header=BB114_3 Depth=1
	s_or_b32 exec_lo, exec_lo, s34
	s_wait_dscnt 0x0
	s_barrier_signal -1
	s_barrier_wait -1
	s_and_saveexec_b32 s34, s15
	s_cbranch_execz .LBB114_215
; %bb.214:                              ;   in Loop: Header=BB114_3 Depth=1
	ds_load_b64 v[28:29], v3 offset:13256
	ds_load_b32 v2, v3 offset:13000
	s_wait_dscnt 0x0
	v_mul_f32_e32 v2, v2, v29
	s_delay_alu instid0(VALU_DEP_1)
	v_mul_f32_e32 v2, v28, v2
	v_add_nc_u32_e64 v28, 0x3000, 0
	ds_store_2addr_b32 v28, v2, v2 offset0:179 offset1:242
.LBB114_215:                            ;   in Loop: Header=BB114_3 Depth=1
	s_or_b32 exec_lo, exec_lo, s34
	v_mov_b32_e32 v2, 0
	s_wait_dscnt 0x0
	s_barrier_signal -1
	s_barrier_wait -1
	global_wb scope:SCOPE_DEV
	s_wait_storecnt 0x0
	global_inv scope:SCOPE_DEV
	s_and_saveexec_b32 s34, s2
	s_cbranch_execz .LBB114_219
; %bb.216:                              ;   in Loop: Header=BB114_3 Depth=1
	ds_load_b32 v2, v35 offset:12992
	ds_load_b32 v28, v34 offset:13256
	s_wait_dscnt 0x0
	v_fma_f32 v2, v2, v28, 0
	s_and_saveexec_b32 s65, s16
	s_cbranch_execz .LBB114_218
; %bb.217:                              ;   in Loop: Header=BB114_3 Depth=1
	ds_load_b32 v28, v61 offset:13248
	ds_load_b32 v29, v3 offset:13260
	s_wait_dscnt 0x0
	v_fmac_f32_e32 v2, v28, v29
.LBB114_218:                            ;   in Loop: Header=BB114_3 Depth=1
	s_or_b32 exec_lo, exec_lo, s65
.LBB114_219:                            ;   in Loop: Header=BB114_3 Depth=1
	s_delay_alu instid0(SALU_CYCLE_1)
	s_or_b32 exec_lo, exec_lo, s34
	s_and_saveexec_b32 s34, s89
	s_cbranch_execz .LBB114_221
; %bb.220:                              ;   in Loop: Header=BB114_3 Depth=1
	ds_load_b32 v28, v3 offset:12740
	s_wait_dscnt 0x0
	v_mul_f32_e32 v2, v2, v28
	s_delay_alu instid0(VALU_DEP_1)
	v_xor_b32_e32 v28, 0x80000000, v2
	ds_store_b32 v5, v28
.LBB114_221:                            ;   in Loop: Header=BB114_3 Depth=1
	s_or_b32 exec_lo, exec_lo, s34
	s_wait_loadcnt_dscnt 0x0
	s_barrier_signal -1
	s_barrier_wait -1
	s_and_saveexec_b32 s34, s90
	s_cbranch_execz .LBB114_223
; %bb.222:                              ;   in Loop: Header=BB114_3 Depth=1
	ds_load_b32 v28, v3 offset:12736
	ds_load_b32 v29, v5
	s_wait_dscnt 0x0
	v_fma_f32 v2, -v28, v29, v2
.LBB114_223:                            ;   in Loop: Header=BB114_3 Depth=1
	s_or_b32 exec_lo, exec_lo, s34
	s_barrier_signal -1
	s_barrier_wait -1
	s_and_saveexec_b32 s34, s90
	s_cbranch_execz .LBB114_225
; %bb.224:                              ;   in Loop: Header=BB114_3 Depth=1
	ds_load_b32 v28, v3 offset:12480
	s_wait_dscnt 0x0
	v_mul_f32_e32 v2, v2, v28
	s_delay_alu instid0(VALU_DEP_1)
	v_xor_b32_e32 v28, 0x80000000, v2
	ds_store_b32 v5, v28
.LBB114_225:                            ;   in Loop: Header=BB114_3 Depth=1
	s_or_b32 exec_lo, exec_lo, s34
	s_wait_dscnt 0x0
	s_barrier_signal -1
	s_barrier_wait -1
	s_barrier_signal -1
	s_barrier_wait -1
	s_and_saveexec_b32 s34, s2
; %bb.226:                              ;   in Loop: Header=BB114_3 Depth=1
	ds_store_b32 v37, v2 offset:13248
; %bb.227:                              ;   in Loop: Header=BB114_3 Depth=1
	s_or_b32 exec_lo, exec_lo, s34
	s_wait_dscnt 0x0
	s_barrier_signal -1
	s_barrier_wait -1
	s_barrier_signal -1
	s_barrier_wait -1
	s_and_saveexec_b32 s34, s91
	s_cbranch_execz .LBB114_229
; %bb.228:                              ;   in Loop: Header=BB114_3 Depth=1
	ds_load_b32 v2, v62 offset:12992
	s_wait_dscnt 0x0
	ds_store_b32 v61, v2 offset:12488
	ds_load_b32 v2, v62 offset:12996
	s_wait_dscnt 0x0
	ds_store_b32 v61, v2 offset:12744
.LBB114_229:                            ;   in Loop: Header=BB114_3 Depth=1
	s_or_b32 exec_lo, exec_lo, s34
	s_wait_dscnt 0x0
	s_barrier_signal -1
	s_barrier_wait -1
	s_and_saveexec_b32 s34, s15
	s_cbranch_execz .LBB114_231
; %bb.230:                              ;   in Loop: Header=BB114_3 Depth=1
	ds_load_b64 v[28:29], v3 offset:12736
	ds_load_b32 v2, v3 offset:12480
	s_wait_dscnt 0x0
	v_mul_f32_e32 v2, v2, v29
	s_delay_alu instid0(VALU_DEP_1)
	v_mul_f32_e32 v2, v28, v2
	v_add_nc_u32_e64 v28, 0x3000, 0
	ds_store_2addr_b32 v28, v2, v2 offset0:49 offset1:112
.LBB114_231:                            ;   in Loop: Header=BB114_3 Depth=1
	s_or_b32 exec_lo, exec_lo, s34
	v_mov_b32_e32 v2, 0
	s_wait_dscnt 0x0
	s_barrier_signal -1
	s_barrier_wait -1
	global_wb scope:SCOPE_DEV
	s_wait_storecnt 0x0
	global_inv scope:SCOPE_DEV
	s_and_saveexec_b32 s65, s6
	s_cbranch_execz .LBB114_259
; %bb.232:                              ;   in Loop: Header=BB114_3 Depth=1
	ds_load_b32 v2, v50 offset:12416
	ds_load_b32 v28, v49 offset:16320
	s_wait_dscnt 0x0
	v_fma_f32 v2, v2, v28, 0
	s_mov_b32 s34, exec_lo
	v_readlane_b32 s80, v87, 19
	s_and_b32 s80, s34, s80
	s_delay_alu instid0(SALU_CYCLE_1)
	s_mov_b32 exec_lo, s80
	s_cbranch_execz .LBB114_234
; %bb.233:                              ;   in Loop: Header=BB114_3 Depth=1
	ds_load_b32 v28, v50 offset:12672
	ds_load_b32 v29, v49 offset:16324
	s_wait_dscnt 0x0
	v_fmac_f32_e32 v2, v28, v29
.LBB114_234:                            ;   in Loop: Header=BB114_3 Depth=1
	s_or_b32 exec_lo, exec_lo, s34
	s_delay_alu instid0(SALU_CYCLE_1) | instskip(SKIP_2) | instid1(SALU_CYCLE_1)
	s_mov_b32 s34, exec_lo
	v_readlane_b32 s80, v87, 20
	s_and_b32 s80, s34, s80
	s_mov_b32 exec_lo, s80
	s_cbranch_execz .LBB114_236
; %bb.235:                              ;   in Loop: Header=BB114_3 Depth=1
	ds_load_b32 v28, v50 offset:12928
	ds_load_b32 v29, v49 offset:16328
	s_wait_dscnt 0x0
	v_fmac_f32_e32 v2, v28, v29
.LBB114_236:                            ;   in Loop: Header=BB114_3 Depth=1
	s_or_b32 exec_lo, exec_lo, s34
	s_delay_alu instid0(SALU_CYCLE_1) | instskip(SKIP_2) | instid1(SALU_CYCLE_1)
	s_mov_b32 s34, exec_lo
	v_readlane_b32 s80, v87, 21
	s_and_b32 s80, s34, s80
	;; [unrolled: 13-line block ×10, first 2 shown]
	s_mov_b32 exec_lo, s80
	s_cbranch_execnz .LBB114_1217
; %bb.253:                              ;   in Loop: Header=BB114_3 Depth=1
	s_or_b32 exec_lo, exec_lo, s34
	s_and_saveexec_b32 s34, s5
	s_cbranch_execnz .LBB114_1218
.LBB114_254:                            ;   in Loop: Header=BB114_3 Depth=1
	s_or_b32 exec_lo, exec_lo, s34
	s_and_saveexec_b32 s34, s20
	s_cbranch_execnz .LBB114_1219
.LBB114_255:                            ;   in Loop: Header=BB114_3 Depth=1
	s_or_b32 exec_lo, exec_lo, s34
	s_and_saveexec_b32 s34, s22
	s_cbranch_execnz .LBB114_1220
.LBB114_256:                            ;   in Loop: Header=BB114_3 Depth=1
	s_or_b32 exec_lo, exec_lo, s34
	s_and_saveexec_b32 s34, s4
	s_cbranch_execz .LBB114_258
.LBB114_257:                            ;   in Loop: Header=BB114_3 Depth=1
	ds_load_b32 v28, v36 offset:16256
	ds_load_b32 v29, v3 offset:16380
	s_wait_dscnt 0x0
	v_fmac_f32_e32 v2, v28, v29
.LBB114_258:                            ;   in Loop: Header=BB114_3 Depth=1
	s_or_b32 exec_lo, exec_lo, s34
.LBB114_259:                            ;   in Loop: Header=BB114_3 Depth=1
	s_delay_alu instid0(SALU_CYCLE_1)
	s_or_b32 exec_lo, exec_lo, s65
	s_and_saveexec_b32 s34, s44
	s_cbranch_execz .LBB114_261
; %bb.260:                              ;   in Loop: Header=BB114_3 Depth=1
	ds_load_b32 v28, v3 offset:12220
	s_wait_dscnt 0x0
	v_mul_f32_e32 v2, v2, v28
	s_delay_alu instid0(VALU_DEP_1)
	v_xor_b32_e32 v28, 0x80000000, v2
	ds_store_b32 v48, v28
.LBB114_261:                            ;   in Loop: Header=BB114_3 Depth=1
	s_or_b32 exec_lo, exec_lo, s34
	s_wait_loadcnt_dscnt 0x0
	s_barrier_signal -1
	s_barrier_wait -1
	s_and_saveexec_b32 s34, s45
	s_cbranch_execz .LBB114_263
; %bb.262:                              ;   in Loop: Header=BB114_3 Depth=1
	ds_load_b32 v28, v50 offset:12160
	ds_load_b32 v29, v48
	s_wait_dscnt 0x0
	v_fma_f32 v2, -v28, v29, v2
.LBB114_263:                            ;   in Loop: Header=BB114_3 Depth=1
	s_or_b32 exec_lo, exec_lo, s34
	s_barrier_signal -1
	s_barrier_wait -1
	s_and_saveexec_b32 s34, s46
	s_cbranch_execz .LBB114_265
; %bb.264:                              ;   in Loop: Header=BB114_3 Depth=1
	ds_load_b32 v28, v3 offset:11960
	s_wait_dscnt 0x0
	v_mul_f32_e32 v2, v2, v28
	s_delay_alu instid0(VALU_DEP_1)
	v_xor_b32_e32 v28, 0x80000000, v2
	ds_store_b32 v48, v28
.LBB114_265:                            ;   in Loop: Header=BB114_3 Depth=1
	s_or_b32 exec_lo, exec_lo, s34
	s_wait_dscnt 0x0
	s_barrier_signal -1
	s_barrier_wait -1
	s_and_saveexec_b32 s34, s47
	s_cbranch_execz .LBB114_267
; %bb.266:                              ;   in Loop: Header=BB114_3 Depth=1
	ds_load_b32 v28, v50 offset:11904
	ds_load_b32 v29, v48
	s_wait_dscnt 0x0
	v_fma_f32 v2, -v28, v29, v2
.LBB114_267:                            ;   in Loop: Header=BB114_3 Depth=1
	s_or_b32 exec_lo, exec_lo, s34
	s_barrier_signal -1
	s_barrier_wait -1
	s_and_saveexec_b32 s34, s48
	s_cbranch_execz .LBB114_269
; %bb.268:                              ;   in Loop: Header=BB114_3 Depth=1
	ds_load_b32 v28, v3 offset:11700
	s_wait_dscnt 0x0
	v_mul_f32_e32 v2, v2, v28
	s_delay_alu instid0(VALU_DEP_1)
	v_xor_b32_e32 v28, 0x80000000, v2
	ds_store_b32 v48, v28
.LBB114_269:                            ;   in Loop: Header=BB114_3 Depth=1
	s_or_b32 exec_lo, exec_lo, s34
	s_wait_dscnt 0x0
	;; [unrolled: 25-line block ×15, first 2 shown]
	s_barrier_signal -1
	s_barrier_wait -1
	s_barrier_signal -1
	s_barrier_wait -1
	s_and_saveexec_b32 s34, s6
; %bb.322:                              ;   in Loop: Header=BB114_3 Depth=1
	ds_store_b32 v51, v2 offset:16256
; %bb.323:                              ;   in Loop: Header=BB114_3 Depth=1
	s_or_b32 exec_lo, exec_lo, s34
	s_wait_dscnt 0x0
	s_barrier_signal -1
	s_barrier_wait -1
	s_barrier_signal -1
	s_barrier_wait -1
	s_and_saveexec_b32 s34, s31
	s_cbranch_execz .LBB114_325
; %bb.324:                              ;   in Loop: Header=BB114_3 Depth=1
	ds_load_b32 v2, v38 offset:12416
	s_wait_dscnt 0x0
	ds_store_b32 v42, v2 offset:8384
	ds_load_b32 v2, v38 offset:12420
	s_wait_dscnt 0x0
	ds_store_b32 v42, v2 offset:8640
	;; [unrolled: 3-line block ×16, first 2 shown]
.LBB114_325:                            ;   in Loop: Header=BB114_3 Depth=1
	s_or_b32 exec_lo, exec_lo, s34
	s_wait_dscnt 0x0
	s_barrier_signal -1
	s_barrier_wait -1
	s_and_saveexec_b32 s34, s15
	s_cbranch_execz .LBB114_327
; %bb.326:                              ;   in Loop: Header=BB114_3 Depth=1
	ds_load_b64 v[28:29], v3 offset:12216
	ds_load_b32 v2, v3 offset:11960
	s_wait_dscnt 0x0
	v_mul_f32_e32 v2, v2, v29
	s_delay_alu instid0(VALU_DEP_1)
	v_mul_f32_e32 v2, v28, v2
	v_add_nc_u32_e64 v28, 0x2c00, 0
	ds_store_2addr_b32 v28, v2, v2 offset0:175 offset1:238
.LBB114_327:                            ;   in Loop: Header=BB114_3 Depth=1
	s_or_b32 exec_lo, exec_lo, s34
	v_mov_b32_e32 v2, 0
	s_wait_dscnt 0x0
	s_barrier_signal -1
	s_barrier_wait -1
	global_wb scope:SCOPE_DEV
	s_wait_storecnt 0x0
	global_inv scope:SCOPE_DEV
	s_and_saveexec_b32 s34, s2
	s_cbranch_execz .LBB114_331
; %bb.328:                              ;   in Loop: Header=BB114_3 Depth=1
	ds_load_b32 v2, v35 offset:11952
	ds_load_b32 v28, v34 offset:12216
	s_wait_dscnt 0x0
	v_fma_f32 v2, v2, v28, 0
	s_and_saveexec_b32 s65, s16
	s_cbranch_execz .LBB114_330
; %bb.329:                              ;   in Loop: Header=BB114_3 Depth=1
	ds_load_b32 v28, v36 offset:12208
	ds_load_b32 v29, v3 offset:12220
	s_wait_dscnt 0x0
	v_fmac_f32_e32 v2, v28, v29
.LBB114_330:                            ;   in Loop: Header=BB114_3 Depth=1
	s_or_b32 exec_lo, exec_lo, s65
.LBB114_331:                            ;   in Loop: Header=BB114_3 Depth=1
	s_delay_alu instid0(SALU_CYCLE_1)
	s_or_b32 exec_lo, exec_lo, s34
	s_and_saveexec_b32 s34, s89
	s_cbranch_execz .LBB114_333
; %bb.332:                              ;   in Loop: Header=BB114_3 Depth=1
	ds_load_b32 v28, v3 offset:11700
	s_wait_dscnt 0x0
	v_mul_f32_e32 v2, v2, v28
	s_delay_alu instid0(VALU_DEP_1)
	v_xor_b32_e32 v28, 0x80000000, v2
	ds_store_b32 v5, v28
.LBB114_333:                            ;   in Loop: Header=BB114_3 Depth=1
	s_or_b32 exec_lo, exec_lo, s34
	s_wait_loadcnt_dscnt 0x0
	s_barrier_signal -1
	s_barrier_wait -1
	s_and_saveexec_b32 s34, s90
	s_cbranch_execz .LBB114_335
; %bb.334:                              ;   in Loop: Header=BB114_3 Depth=1
	ds_load_b32 v28, v3 offset:11696
	ds_load_b32 v29, v5
	s_wait_dscnt 0x0
	v_fma_f32 v2, -v28, v29, v2
.LBB114_335:                            ;   in Loop: Header=BB114_3 Depth=1
	s_or_b32 exec_lo, exec_lo, s34
	s_barrier_signal -1
	s_barrier_wait -1
	s_and_saveexec_b32 s34, s90
	s_cbranch_execz .LBB114_337
; %bb.336:                              ;   in Loop: Header=BB114_3 Depth=1
	ds_load_b32 v28, v3 offset:11440
	s_wait_dscnt 0x0
	v_mul_f32_e32 v2, v2, v28
	s_delay_alu instid0(VALU_DEP_1)
	v_xor_b32_e32 v28, 0x80000000, v2
	ds_store_b32 v5, v28
.LBB114_337:                            ;   in Loop: Header=BB114_3 Depth=1
	s_or_b32 exec_lo, exec_lo, s34
	s_wait_dscnt 0x0
	s_barrier_signal -1
	s_barrier_wait -1
	s_barrier_signal -1
	s_barrier_wait -1
	s_and_saveexec_b32 s34, s2
; %bb.338:                              ;   in Loop: Header=BB114_3 Depth=1
	ds_store_b32 v37, v2 offset:12208
; %bb.339:                              ;   in Loop: Header=BB114_3 Depth=1
	s_or_b32 exec_lo, exec_lo, s34
	s_wait_dscnt 0x0
	s_barrier_signal -1
	s_barrier_wait -1
	s_barrier_signal -1
	s_barrier_wait -1
	s_and_saveexec_b32 s34, s91
	s_cbranch_execz .LBB114_341
; %bb.340:                              ;   in Loop: Header=BB114_3 Depth=1
	ds_load_b32 v2, v38 offset:11952
	s_wait_dscnt 0x0
	ds_store_b32 v36, v2 offset:11448
	ds_load_b32 v2, v38 offset:11956
	s_wait_dscnt 0x0
	ds_store_b32 v36, v2 offset:11704
.LBB114_341:                            ;   in Loop: Header=BB114_3 Depth=1
	s_or_b32 exec_lo, exec_lo, s34
	s_wait_dscnt 0x0
	s_barrier_signal -1
	s_barrier_wait -1
	s_and_saveexec_b32 s34, s15
	s_cbranch_execz .LBB114_343
; %bb.342:                              ;   in Loop: Header=BB114_3 Depth=1
	ds_load_b64 v[28:29], v3 offset:11696
	ds_load_b32 v2, v3 offset:11440
	s_wait_dscnt 0x0
	v_mul_f32_e32 v2, v2, v29
	s_delay_alu instid0(VALU_DEP_1)
	v_mul_f32_e32 v2, v28, v2
	v_add_nc_u32_e64 v28, 0x2c00, 0
	ds_store_2addr_b32 v28, v2, v2 offset0:45 offset1:108
.LBB114_343:                            ;   in Loop: Header=BB114_3 Depth=1
	s_or_b32 exec_lo, exec_lo, s34
	v_mov_b32_e32 v2, 0
	s_wait_dscnt 0x0
	s_barrier_signal -1
	s_barrier_wait -1
	global_wb scope:SCOPE_DEV
	s_wait_storecnt 0x0
	global_inv scope:SCOPE_DEV
	s_and_saveexec_b32 s34, s4
	s_cbranch_execz .LBB114_349
; %bb.344:                              ;   in Loop: Header=BB114_3 Depth=1
	ds_load_b32 v2, v41 offset:11424
	ds_load_b32 v28, v40 offset:12208
	s_wait_dscnt 0x0
	v_fma_f32 v2, v2, v28, 0
	s_and_saveexec_b32 s65, s17
	s_cbranch_execnz .LBB114_1221
; %bb.345:                              ;   in Loop: Header=BB114_3 Depth=1
	s_or_b32 exec_lo, exec_lo, s65
	s_and_saveexec_b32 s65, s18
	s_cbranch_execnz .LBB114_1222
.LBB114_346:                            ;   in Loop: Header=BB114_3 Depth=1
	s_or_b32 exec_lo, exec_lo, s65
	s_and_saveexec_b32 s65, s2
	s_cbranch_execz .LBB114_348
.LBB114_347:                            ;   in Loop: Header=BB114_3 Depth=1
	ds_load_b32 v28, v42 offset:12192
	ds_load_b32 v29, v3 offset:12220
	s_wait_dscnt 0x0
	v_fmac_f32_e32 v2, v28, v29
.LBB114_348:                            ;   in Loop: Header=BB114_3 Depth=1
	s_or_b32 exec_lo, exec_lo, s65
.LBB114_349:                            ;   in Loop: Header=BB114_3 Depth=1
	s_delay_alu instid0(SALU_CYCLE_1)
	s_or_b32 exec_lo, exec_lo, s34
	s_and_saveexec_b32 s34, s92
	s_cbranch_execz .LBB114_351
; %bb.350:                              ;   in Loop: Header=BB114_3 Depth=1
	ds_load_b32 v28, v3 offset:11180
	s_wait_dscnt 0x0
	v_mul_f32_e32 v2, v2, v28
	s_delay_alu instid0(VALU_DEP_1)
	v_xor_b32_e32 v28, 0x80000000, v2
	ds_store_b32 v39, v28
.LBB114_351:                            ;   in Loop: Header=BB114_3 Depth=1
	s_or_b32 exec_lo, exec_lo, s34
	s_wait_loadcnt_dscnt 0x0
	s_barrier_signal -1
	s_barrier_wait -1
	s_and_saveexec_b32 s34, s93
	s_cbranch_execz .LBB114_353
; %bb.352:                              ;   in Loop: Header=BB114_3 Depth=1
	ds_load_b32 v28, v41 offset:11168
	ds_load_b32 v29, v39
	s_wait_dscnt 0x0
	v_fma_f32 v2, -v28, v29, v2
.LBB114_353:                            ;   in Loop: Header=BB114_3 Depth=1
	s_or_b32 exec_lo, exec_lo, s34
	s_barrier_signal -1
	s_barrier_wait -1
	s_and_saveexec_b32 s34, s94
	s_cbranch_execz .LBB114_355
; %bb.354:                              ;   in Loop: Header=BB114_3 Depth=1
	ds_load_b32 v28, v3 offset:10920
	s_wait_dscnt 0x0
	v_mul_f32_e32 v2, v2, v28
	s_delay_alu instid0(VALU_DEP_1)
	v_xor_b32_e32 v28, 0x80000000, v2
	ds_store_b32 v39, v28
.LBB114_355:                            ;   in Loop: Header=BB114_3 Depth=1
	s_or_b32 exec_lo, exec_lo, s34
	s_wait_dscnt 0x0
	s_barrier_signal -1
	s_barrier_wait -1
	s_and_saveexec_b32 s34, s95
	s_cbranch_execz .LBB114_357
; %bb.356:                              ;   in Loop: Header=BB114_3 Depth=1
	ds_load_b32 v28, v41 offset:10912
	ds_load_b32 v29, v39
	s_wait_dscnt 0x0
	v_fma_f32 v2, -v28, v29, v2
.LBB114_357:                            ;   in Loop: Header=BB114_3 Depth=1
	s_or_b32 exec_lo, exec_lo, s34
	s_barrier_signal -1
	s_barrier_wait -1
	s_and_saveexec_b32 s34, s96
	s_cbranch_execz .LBB114_359
; %bb.358:                              ;   in Loop: Header=BB114_3 Depth=1
	ds_load_b32 v28, v3 offset:10660
	s_wait_dscnt 0x0
	v_mul_f32_e32 v2, v2, v28
	s_delay_alu instid0(VALU_DEP_1)
	v_xor_b32_e32 v28, 0x80000000, v2
	ds_store_b32 v39, v28
.LBB114_359:                            ;   in Loop: Header=BB114_3 Depth=1
	s_or_b32 exec_lo, exec_lo, s34
	s_wait_dscnt 0x0
	;; [unrolled: 25-line block ×3, first 2 shown]
	s_barrier_signal -1
	s_barrier_wait -1
	s_barrier_signal -1
	s_barrier_wait -1
	s_and_saveexec_b32 s34, s4
; %bb.364:                              ;   in Loop: Header=BB114_3 Depth=1
	ds_store_b32 v43, v2 offset:12192
; %bb.365:                              ;   in Loop: Header=BB114_3 Depth=1
	s_or_b32 exec_lo, exec_lo, s34
	s_wait_dscnt 0x0
	s_barrier_signal -1
	s_barrier_wait -1
	s_barrier_signal -1
	s_barrier_wait -1
	s_and_saveexec_b32 s34, s98
	s_cbranch_execz .LBB114_367
; %bb.366:                              ;   in Loop: Header=BB114_3 Depth=1
	ds_load_b32 v2, v7 offset:11424
	s_wait_dscnt 0x0
	ds_store_b32 v53, v2 offset:10416
	ds_load_b32 v2, v7 offset:11428
	s_wait_dscnt 0x0
	ds_store_b32 v53, v2 offset:10672
	;; [unrolled: 3-line block ×4, first 2 shown]
.LBB114_367:                            ;   in Loop: Header=BB114_3 Depth=1
	s_or_b32 exec_lo, exec_lo, s34
	s_wait_dscnt 0x0
	s_barrier_signal -1
	s_barrier_wait -1
	s_and_saveexec_b32 s34, s15
	s_cbranch_execz .LBB114_369
; %bb.368:                              ;   in Loop: Header=BB114_3 Depth=1
	ds_load_b64 v[28:29], v3 offset:11176
	ds_load_b32 v2, v3 offset:10920
	s_wait_dscnt 0x0
	v_mul_f32_e32 v2, v2, v29
	s_delay_alu instid0(VALU_DEP_1)
	v_mul_f32_e32 v2, v28, v2
	v_add_nc_u32_e64 v28, 0x2800, 0
	ds_store_2addr_b32 v28, v2, v2 offset0:171 offset1:234
.LBB114_369:                            ;   in Loop: Header=BB114_3 Depth=1
	s_or_b32 exec_lo, exec_lo, s34
	v_mov_b32_e32 v2, 0
	s_wait_dscnt 0x0
	s_barrier_signal -1
	s_barrier_wait -1
	global_wb scope:SCOPE_DEV
	s_wait_storecnt 0x0
	global_inv scope:SCOPE_DEV
	s_and_saveexec_b32 s34, s2
	s_cbranch_execz .LBB114_373
; %bb.370:                              ;   in Loop: Header=BB114_3 Depth=1
	ds_load_b32 v2, v35 offset:10912
	ds_load_b32 v28, v34 offset:11176
	s_wait_dscnt 0x0
	v_fma_f32 v2, v2, v28, 0
	s_and_saveexec_b32 s65, s16
	s_cbranch_execz .LBB114_372
; %bb.371:                              ;   in Loop: Header=BB114_3 Depth=1
	ds_load_b32 v28, v53 offset:11168
	ds_load_b32 v29, v3 offset:11180
	s_wait_dscnt 0x0
	v_fmac_f32_e32 v2, v28, v29
.LBB114_372:                            ;   in Loop: Header=BB114_3 Depth=1
	s_or_b32 exec_lo, exec_lo, s65
.LBB114_373:                            ;   in Loop: Header=BB114_3 Depth=1
	s_delay_alu instid0(SALU_CYCLE_1)
	s_or_b32 exec_lo, exec_lo, s34
	s_and_saveexec_b32 s34, s89
	s_cbranch_execz .LBB114_375
; %bb.374:                              ;   in Loop: Header=BB114_3 Depth=1
	ds_load_b32 v28, v3 offset:10660
	s_wait_dscnt 0x0
	v_mul_f32_e32 v2, v2, v28
	s_delay_alu instid0(VALU_DEP_1)
	v_xor_b32_e32 v28, 0x80000000, v2
	ds_store_b32 v5, v28
.LBB114_375:                            ;   in Loop: Header=BB114_3 Depth=1
	s_or_b32 exec_lo, exec_lo, s34
	s_wait_loadcnt_dscnt 0x0
	s_barrier_signal -1
	s_barrier_wait -1
	s_and_saveexec_b32 s34, s90
	s_cbranch_execz .LBB114_377
; %bb.376:                              ;   in Loop: Header=BB114_3 Depth=1
	ds_load_b32 v28, v3 offset:10656
	ds_load_b32 v29, v5
	s_wait_dscnt 0x0
	v_fma_f32 v2, -v28, v29, v2
.LBB114_377:                            ;   in Loop: Header=BB114_3 Depth=1
	s_or_b32 exec_lo, exec_lo, s34
	s_barrier_signal -1
	s_barrier_wait -1
	s_and_saveexec_b32 s34, s90
	s_cbranch_execz .LBB114_379
; %bb.378:                              ;   in Loop: Header=BB114_3 Depth=1
	ds_load_b32 v28, v3 offset:10400
	s_wait_dscnt 0x0
	v_mul_f32_e32 v2, v2, v28
	s_delay_alu instid0(VALU_DEP_1)
	v_xor_b32_e32 v28, 0x80000000, v2
	ds_store_b32 v5, v28
.LBB114_379:                            ;   in Loop: Header=BB114_3 Depth=1
	s_or_b32 exec_lo, exec_lo, s34
	s_wait_dscnt 0x0
	s_barrier_signal -1
	s_barrier_wait -1
	s_barrier_signal -1
	s_barrier_wait -1
	s_and_saveexec_b32 s34, s2
; %bb.380:                              ;   in Loop: Header=BB114_3 Depth=1
	ds_store_b32 v37, v2 offset:11168
; %bb.381:                              ;   in Loop: Header=BB114_3 Depth=1
	s_or_b32 exec_lo, exec_lo, s34
	s_wait_dscnt 0x0
	s_barrier_signal -1
	s_barrier_wait -1
	s_barrier_signal -1
	s_barrier_wait -1
	s_and_saveexec_b32 s34, s91
	s_cbranch_execz .LBB114_383
; %bb.382:                              ;   in Loop: Header=BB114_3 Depth=1
	ds_load_b32 v2, v54 offset:10912
	s_wait_dscnt 0x0
	ds_store_b32 v53, v2 offset:10408
	ds_load_b32 v2, v54 offset:10916
	s_wait_dscnt 0x0
	ds_store_b32 v53, v2 offset:10664
.LBB114_383:                            ;   in Loop: Header=BB114_3 Depth=1
	s_or_b32 exec_lo, exec_lo, s34
	s_wait_dscnt 0x0
	s_barrier_signal -1
	s_barrier_wait -1
	s_and_saveexec_b32 s34, s15
	s_cbranch_execz .LBB114_385
; %bb.384:                              ;   in Loop: Header=BB114_3 Depth=1
	ds_load_b64 v[28:29], v3 offset:10656
	ds_load_b32 v2, v3 offset:10400
	s_wait_dscnt 0x0
	v_mul_f32_e32 v2, v2, v29
	s_delay_alu instid0(VALU_DEP_1)
	v_mul_f32_e32 v2, v28, v2
	v_add_nc_u32_e64 v28, 0x2800, 0
	ds_store_2addr_b32 v28, v2, v2 offset0:41 offset1:104
.LBB114_385:                            ;   in Loop: Header=BB114_3 Depth=1
	s_or_b32 exec_lo, exec_lo, s34
	v_mov_b32_e32 v2, 0
	s_wait_dscnt 0x0
	s_barrier_signal -1
	s_barrier_wait -1
	global_wb scope:SCOPE_DEV
	s_wait_storecnt 0x0
	global_inv scope:SCOPE_DEV
	s_and_saveexec_b32 s34, s5
	s_cbranch_execz .LBB114_395
; %bb.386:                              ;   in Loop: Header=BB114_3 Depth=1
	ds_load_b32 v2, v46 offset:10368
	ds_load_b32 v28, v45 offset:12192
	s_wait_dscnt 0x0
	v_fma_f32 v2, v2, v28, 0
	s_and_saveexec_b32 s65, s19
	s_cbranch_execnz .LBB114_1223
; %bb.387:                              ;   in Loop: Header=BB114_3 Depth=1
	s_or_b32 exec_lo, exec_lo, s65
	s_and_saveexec_b32 s65, s20
	s_cbranch_execnz .LBB114_1224
.LBB114_388:                            ;   in Loop: Header=BB114_3 Depth=1
	s_or_b32 exec_lo, exec_lo, s65
	s_and_saveexec_b32 s65, s21
	s_cbranch_execnz .LBB114_1225
.LBB114_389:                            ;   in Loop: Header=BB114_3 Depth=1
	s_or_b32 exec_lo, exec_lo, s65
	s_and_saveexec_b32 s65, s22
	s_cbranch_execnz .LBB114_1226
.LBB114_390:                            ;   in Loop: Header=BB114_3 Depth=1
	s_or_b32 exec_lo, exec_lo, s65
	s_and_saveexec_b32 s65, s23
	s_cbranch_execnz .LBB114_1227
.LBB114_391:                            ;   in Loop: Header=BB114_3 Depth=1
	s_or_b32 exec_lo, exec_lo, s65
	s_and_saveexec_b32 s65, s4
	s_cbranch_execnz .LBB114_1228
.LBB114_392:                            ;   in Loop: Header=BB114_3 Depth=1
	s_or_b32 exec_lo, exec_lo, s65
	s_and_saveexec_b32 s65, s18
	s_cbranch_execz .LBB114_394
.LBB114_393:                            ;   in Loop: Header=BB114_3 Depth=1
	ds_load_b32 v28, v55 offset:12160
	ds_load_b32 v29, v3 offset:12220
	s_wait_dscnt 0x0
	v_fmac_f32_e32 v2, v28, v29
.LBB114_394:                            ;   in Loop: Header=BB114_3 Depth=1
	s_or_b32 exec_lo, exec_lo, s65
.LBB114_395:                            ;   in Loop: Header=BB114_3 Depth=1
	s_delay_alu instid0(SALU_CYCLE_1)
	s_or_b32 exec_lo, exec_lo, s34
	s_and_saveexec_b32 s34, s99
	s_cbranch_execz .LBB114_397
; %bb.396:                              ;   in Loop: Header=BB114_3 Depth=1
	ds_load_b32 v28, v3 offset:10140
	s_wait_dscnt 0x0
	v_mul_f32_e32 v2, v2, v28
	s_delay_alu instid0(VALU_DEP_1)
	v_xor_b32_e32 v28, 0x80000000, v2
	ds_store_b32 v44, v28
.LBB114_397:                            ;   in Loop: Header=BB114_3 Depth=1
	s_or_b32 exec_lo, exec_lo, s34
	s_wait_loadcnt_dscnt 0x0
	s_barrier_signal -1
	s_barrier_wait -1
	s_and_saveexec_b32 s34, s100
	s_cbranch_execz .LBB114_399
; %bb.398:                              ;   in Loop: Header=BB114_3 Depth=1
	ds_load_b32 v28, v46 offset:10112
	ds_load_b32 v29, v44
	s_wait_dscnt 0x0
	v_fma_f32 v2, -v28, v29, v2
.LBB114_399:                            ;   in Loop: Header=BB114_3 Depth=1
	s_or_b32 exec_lo, exec_lo, s34
	s_barrier_signal -1
	s_barrier_wait -1
	s_and_saveexec_b32 s34, s101
	s_cbranch_execz .LBB114_401
; %bb.400:                              ;   in Loop: Header=BB114_3 Depth=1
	ds_load_b32 v28, v3 offset:9880
	s_wait_dscnt 0x0
	v_mul_f32_e32 v2, v2, v28
	s_delay_alu instid0(VALU_DEP_1)
	v_xor_b32_e32 v28, 0x80000000, v2
	ds_store_b32 v44, v28
.LBB114_401:                            ;   in Loop: Header=BB114_3 Depth=1
	s_or_b32 exec_lo, exec_lo, s34
	s_wait_dscnt 0x0
	s_barrier_signal -1
	s_barrier_wait -1
	s_and_saveexec_b32 s34, s102
	s_cbranch_execz .LBB114_403
; %bb.402:                              ;   in Loop: Header=BB114_3 Depth=1
	ds_load_b32 v28, v46 offset:9856
	ds_load_b32 v29, v44
	s_wait_dscnt 0x0
	v_fma_f32 v2, -v28, v29, v2
.LBB114_403:                            ;   in Loop: Header=BB114_3 Depth=1
	s_or_b32 exec_lo, exec_lo, s34
	s_barrier_signal -1
	s_barrier_wait -1
	s_and_saveexec_b32 s34, s103
	s_cbranch_execz .LBB114_405
; %bb.404:                              ;   in Loop: Header=BB114_3 Depth=1
	ds_load_b32 v28, v3 offset:9620
	s_wait_dscnt 0x0
	v_mul_f32_e32 v2, v2, v28
	s_delay_alu instid0(VALU_DEP_1)
	v_xor_b32_e32 v28, 0x80000000, v2
	ds_store_b32 v44, v28
.LBB114_405:                            ;   in Loop: Header=BB114_3 Depth=1
	s_or_b32 exec_lo, exec_lo, s34
	s_wait_dscnt 0x0
	s_barrier_signal -1
	s_barrier_wait -1
	s_and_saveexec_b32 s34, s104
	s_cbranch_execz .LBB114_407
; %bb.406:                              ;   in Loop: Header=BB114_3 Depth=1
	ds_load_b32 v28, v46 offset:9600
	ds_load_b32 v29, v44
	s_wait_dscnt 0x0
	v_fma_f32 v2, -v28, v29, v2
.LBB114_407:                            ;   in Loop: Header=BB114_3 Depth=1
	s_or_b32 exec_lo, exec_lo, s34
	s_barrier_signal -1
	s_barrier_wait -1
	s_and_saveexec_b32 s34, vcc_hi
	s_cbranch_execz .LBB114_409
; %bb.408:                              ;   in Loop: Header=BB114_3 Depth=1
	ds_load_b32 v28, v3 offset:9360
	s_wait_dscnt 0x0
	v_mul_f32_e32 v2, v2, v28
	s_delay_alu instid0(VALU_DEP_1)
	v_xor_b32_e32 v28, 0x80000000, v2
	ds_store_b32 v44, v28
.LBB114_409:                            ;   in Loop: Header=BB114_3 Depth=1
	s_or_b32 exec_lo, exec_lo, s34
	s_wait_dscnt 0x0
	s_barrier_signal -1
	s_barrier_wait -1
	s_and_saveexec_b32 s34, s36
	s_cbranch_execz .LBB114_411
; %bb.410:                              ;   in Loop: Header=BB114_3 Depth=1
	ds_load_b32 v28, v46 offset:9344
	ds_load_b32 v29, v44
	s_wait_dscnt 0x0
	v_fma_f32 v2, -v28, v29, v2
.LBB114_411:                            ;   in Loop: Header=BB114_3 Depth=1
	s_or_b32 exec_lo, exec_lo, s34
	s_barrier_signal -1
	s_barrier_wait -1
	s_and_saveexec_b32 s34, s37
	s_cbranch_execz .LBB114_413
; %bb.412:                              ;   in Loop: Header=BB114_3 Depth=1
	ds_load_b32 v28, v3 offset:9100
	s_wait_dscnt 0x0
	v_mul_f32_e32 v2, v2, v28
	s_delay_alu instid0(VALU_DEP_1)
	v_xor_b32_e32 v28, 0x80000000, v2
	ds_store_b32 v44, v28
.LBB114_413:                            ;   in Loop: Header=BB114_3 Depth=1
	s_or_b32 exec_lo, exec_lo, s34
	s_wait_dscnt 0x0
	s_barrier_signal -1
	s_barrier_wait -1
	s_and_saveexec_b32 s34, s38
	s_cbranch_execz .LBB114_415
; %bb.414:                              ;   in Loop: Header=BB114_3 Depth=1
	ds_load_b32 v28, v46 offset:9088
	ds_load_b32 v29, v44
	s_wait_dscnt 0x0
	v_fma_f32 v2, -v28, v29, v2
.LBB114_415:                            ;   in Loop: Header=BB114_3 Depth=1
	s_or_b32 exec_lo, exec_lo, s34
	s_barrier_signal -1
	s_barrier_wait -1
	s_and_saveexec_b32 s34, s39
	;; [unrolled: 25-line block ×4, first 2 shown]
	s_cbranch_execz .LBB114_425
; %bb.424:                              ;   in Loop: Header=BB114_3 Depth=1
	ds_load_b32 v28, v3 offset:8320
	s_wait_dscnt 0x0
	v_mul_f32_e32 v2, v2, v28
	s_delay_alu instid0(VALU_DEP_1)
	v_xor_b32_e32 v28, 0x80000000, v2
	ds_store_b32 v44, v28
.LBB114_425:                            ;   in Loop: Header=BB114_3 Depth=1
	s_or_b32 exec_lo, exec_lo, s34
	s_wait_dscnt 0x0
	s_barrier_signal -1
	s_barrier_wait -1
	s_barrier_signal -1
	s_barrier_wait -1
	s_and_saveexec_b32 s34, s5
; %bb.426:                              ;   in Loop: Header=BB114_3 Depth=1
	ds_store_b32 v47, v2 offset:12160
; %bb.427:                              ;   in Loop: Header=BB114_3 Depth=1
	s_or_b32 exec_lo, exec_lo, s34
	s_wait_dscnt 0x0
	s_barrier_signal -1
	s_barrier_wait -1
	s_barrier_signal -1
	s_barrier_wait -1
	s_and_saveexec_b32 s34, s43
	s_cbranch_execz .LBB114_429
; %bb.428:                              ;   in Loop: Header=BB114_3 Depth=1
	ds_load_b32 v2, v56 offset:10368
	s_wait_dscnt 0x0
	ds_store_b32 v57, v2 offset:8352
	ds_load_b32 v2, v56 offset:10372
	s_wait_dscnt 0x0
	ds_store_b32 v57, v2 offset:8608
	;; [unrolled: 3-line block ×8, first 2 shown]
.LBB114_429:                            ;   in Loop: Header=BB114_3 Depth=1
	s_or_b32 exec_lo, exec_lo, s34
	s_wait_dscnt 0x0
	s_barrier_signal -1
	s_barrier_wait -1
	s_and_saveexec_b32 s34, s15
	s_cbranch_execz .LBB114_431
; %bb.430:                              ;   in Loop: Header=BB114_3 Depth=1
	ds_load_b64 v[28:29], v3 offset:10136
	ds_load_b32 v2, v3 offset:9880
	s_wait_dscnt 0x0
	v_mul_f32_e32 v2, v2, v29
	s_delay_alu instid0(VALU_DEP_1)
	v_mul_f32_e32 v2, v28, v2
	v_add_nc_u32_e64 v28, 0x2400, 0
	ds_store_2addr_b32 v28, v2, v2 offset0:167 offset1:230
.LBB114_431:                            ;   in Loop: Header=BB114_3 Depth=1
	s_or_b32 exec_lo, exec_lo, s34
	v_mov_b32_e32 v2, 0
	s_wait_dscnt 0x0
	s_barrier_signal -1
	s_barrier_wait -1
	global_wb scope:SCOPE_DEV
	s_wait_storecnt 0x0
	global_inv scope:SCOPE_DEV
	s_and_saveexec_b32 s34, s2
	s_cbranch_execz .LBB114_435
; %bb.432:                              ;   in Loop: Header=BB114_3 Depth=1
	ds_load_b32 v2, v35 offset:9872
	ds_load_b32 v28, v34 offset:10136
	s_wait_dscnt 0x0
	v_fma_f32 v2, v2, v28, 0
	s_and_saveexec_b32 s65, s16
	s_cbranch_execz .LBB114_434
; %bb.433:                              ;   in Loop: Header=BB114_3 Depth=1
	ds_load_b32 v28, v57 offset:10128
	ds_load_b32 v29, v3 offset:10140
	s_wait_dscnt 0x0
	v_fmac_f32_e32 v2, v28, v29
.LBB114_434:                            ;   in Loop: Header=BB114_3 Depth=1
	s_or_b32 exec_lo, exec_lo, s65
.LBB114_435:                            ;   in Loop: Header=BB114_3 Depth=1
	s_delay_alu instid0(SALU_CYCLE_1)
	s_or_b32 exec_lo, exec_lo, s34
	s_and_saveexec_b32 s34, s89
	s_cbranch_execz .LBB114_437
; %bb.436:                              ;   in Loop: Header=BB114_3 Depth=1
	ds_load_b32 v28, v3 offset:9620
	s_wait_dscnt 0x0
	v_mul_f32_e32 v2, v2, v28
	s_delay_alu instid0(VALU_DEP_1)
	v_xor_b32_e32 v28, 0x80000000, v2
	ds_store_b32 v5, v28
.LBB114_437:                            ;   in Loop: Header=BB114_3 Depth=1
	s_or_b32 exec_lo, exec_lo, s34
	s_wait_loadcnt_dscnt 0x0
	s_barrier_signal -1
	s_barrier_wait -1
	s_and_saveexec_b32 s34, s90
	s_cbranch_execz .LBB114_439
; %bb.438:                              ;   in Loop: Header=BB114_3 Depth=1
	ds_load_b32 v28, v3 offset:9616
	ds_load_b32 v29, v5
	s_wait_dscnt 0x0
	v_fma_f32 v2, -v28, v29, v2
.LBB114_439:                            ;   in Loop: Header=BB114_3 Depth=1
	s_or_b32 exec_lo, exec_lo, s34
	s_barrier_signal -1
	s_barrier_wait -1
	s_and_saveexec_b32 s34, s90
	s_cbranch_execz .LBB114_441
; %bb.440:                              ;   in Loop: Header=BB114_3 Depth=1
	ds_load_b32 v28, v3 offset:9360
	s_wait_dscnt 0x0
	v_mul_f32_e32 v2, v2, v28
	s_delay_alu instid0(VALU_DEP_1)
	v_xor_b32_e32 v28, 0x80000000, v2
	ds_store_b32 v5, v28
.LBB114_441:                            ;   in Loop: Header=BB114_3 Depth=1
	s_or_b32 exec_lo, exec_lo, s34
	s_wait_dscnt 0x0
	s_barrier_signal -1
	s_barrier_wait -1
	s_barrier_signal -1
	s_barrier_wait -1
	s_and_saveexec_b32 s34, s2
; %bb.442:                              ;   in Loop: Header=BB114_3 Depth=1
	ds_store_b32 v37, v2 offset:10128
; %bb.443:                              ;   in Loop: Header=BB114_3 Depth=1
	s_or_b32 exec_lo, exec_lo, s34
	s_wait_dscnt 0x0
	s_barrier_signal -1
	s_barrier_wait -1
	s_barrier_signal -1
	s_barrier_wait -1
	s_and_saveexec_b32 s34, s91
	s_cbranch_execz .LBB114_445
; %bb.444:                              ;   in Loop: Header=BB114_3 Depth=1
	ds_load_b32 v2, v58 offset:9872
	s_wait_dscnt 0x0
	ds_store_b32 v57, v2 offset:9368
	ds_load_b32 v2, v58 offset:9876
	s_wait_dscnt 0x0
	ds_store_b32 v57, v2 offset:9624
.LBB114_445:                            ;   in Loop: Header=BB114_3 Depth=1
	s_or_b32 exec_lo, exec_lo, s34
	s_wait_dscnt 0x0
	s_barrier_signal -1
	s_barrier_wait -1
	s_and_saveexec_b32 s34, s15
	s_cbranch_execz .LBB114_447
; %bb.446:                              ;   in Loop: Header=BB114_3 Depth=1
	ds_load_b64 v[28:29], v3 offset:9616
	ds_load_b32 v2, v3 offset:9360
	s_wait_dscnt 0x0
	v_mul_f32_e32 v2, v2, v29
	s_delay_alu instid0(VALU_DEP_1)
	v_mul_f32_e32 v2, v28, v2
	v_add_nc_u32_e64 v28, 0x2400, 0
	ds_store_2addr_b32 v28, v2, v2 offset0:37 offset1:100
.LBB114_447:                            ;   in Loop: Header=BB114_3 Depth=1
	s_or_b32 exec_lo, exec_lo, s34
	v_mov_b32_e32 v2, 0
	s_wait_dscnt 0x0
	s_barrier_signal -1
	s_barrier_wait -1
	global_wb scope:SCOPE_DEV
	s_wait_storecnt 0x0
	global_inv scope:SCOPE_DEV
	s_and_saveexec_b32 s34, s4
	s_cbranch_execz .LBB114_453
; %bb.448:                              ;   in Loop: Header=BB114_3 Depth=1
	ds_load_b32 v2, v41 offset:9344
	ds_load_b32 v28, v40 offset:10128
	s_wait_dscnt 0x0
	v_fma_f32 v2, v2, v28, 0
	s_and_saveexec_b32 s65, s17
	s_cbranch_execnz .LBB114_1229
; %bb.449:                              ;   in Loop: Header=BB114_3 Depth=1
	s_or_b32 exec_lo, exec_lo, s65
	s_and_saveexec_b32 s65, s18
	s_cbranch_execnz .LBB114_1230
.LBB114_450:                            ;   in Loop: Header=BB114_3 Depth=1
	s_or_b32 exec_lo, exec_lo, s65
	s_and_saveexec_b32 s65, s2
	s_cbranch_execz .LBB114_452
.LBB114_451:                            ;   in Loop: Header=BB114_3 Depth=1
	ds_load_b32 v28, v59 offset:10112
	ds_load_b32 v29, v3 offset:10140
	s_wait_dscnt 0x0
	v_fmac_f32_e32 v2, v28, v29
.LBB114_452:                            ;   in Loop: Header=BB114_3 Depth=1
	s_or_b32 exec_lo, exec_lo, s65
.LBB114_453:                            ;   in Loop: Header=BB114_3 Depth=1
	s_delay_alu instid0(SALU_CYCLE_1)
	s_or_b32 exec_lo, exec_lo, s34
	s_and_saveexec_b32 s34, s92
	s_cbranch_execz .LBB114_455
; %bb.454:                              ;   in Loop: Header=BB114_3 Depth=1
	ds_load_b32 v28, v3 offset:9100
	s_wait_dscnt 0x0
	v_mul_f32_e32 v2, v2, v28
	s_delay_alu instid0(VALU_DEP_1)
	v_xor_b32_e32 v28, 0x80000000, v2
	ds_store_b32 v39, v28
.LBB114_455:                            ;   in Loop: Header=BB114_3 Depth=1
	s_or_b32 exec_lo, exec_lo, s34
	s_wait_loadcnt_dscnt 0x0
	s_barrier_signal -1
	s_barrier_wait -1
	s_and_saveexec_b32 s34, s93
	s_cbranch_execz .LBB114_457
; %bb.456:                              ;   in Loop: Header=BB114_3 Depth=1
	ds_load_b32 v28, v41 offset:9088
	ds_load_b32 v29, v39
	s_wait_dscnt 0x0
	v_fma_f32 v2, -v28, v29, v2
.LBB114_457:                            ;   in Loop: Header=BB114_3 Depth=1
	s_or_b32 exec_lo, exec_lo, s34
	s_barrier_signal -1
	s_barrier_wait -1
	s_and_saveexec_b32 s34, s94
	s_cbranch_execz .LBB114_459
; %bb.458:                              ;   in Loop: Header=BB114_3 Depth=1
	ds_load_b32 v28, v3 offset:8840
	s_wait_dscnt 0x0
	v_mul_f32_e32 v2, v2, v28
	s_delay_alu instid0(VALU_DEP_1)
	v_xor_b32_e32 v28, 0x80000000, v2
	ds_store_b32 v39, v28
.LBB114_459:                            ;   in Loop: Header=BB114_3 Depth=1
	s_or_b32 exec_lo, exec_lo, s34
	s_wait_dscnt 0x0
	s_barrier_signal -1
	s_barrier_wait -1
	s_and_saveexec_b32 s34, s95
	s_cbranch_execz .LBB114_461
; %bb.460:                              ;   in Loop: Header=BB114_3 Depth=1
	ds_load_b32 v28, v41 offset:8832
	ds_load_b32 v29, v39
	s_wait_dscnt 0x0
	v_fma_f32 v2, -v28, v29, v2
.LBB114_461:                            ;   in Loop: Header=BB114_3 Depth=1
	s_or_b32 exec_lo, exec_lo, s34
	s_barrier_signal -1
	s_barrier_wait -1
	s_and_saveexec_b32 s34, s96
	s_cbranch_execz .LBB114_463
; %bb.462:                              ;   in Loop: Header=BB114_3 Depth=1
	ds_load_b32 v28, v3 offset:8580
	s_wait_dscnt 0x0
	v_mul_f32_e32 v2, v2, v28
	s_delay_alu instid0(VALU_DEP_1)
	v_xor_b32_e32 v28, 0x80000000, v2
	ds_store_b32 v39, v28
.LBB114_463:                            ;   in Loop: Header=BB114_3 Depth=1
	s_or_b32 exec_lo, exec_lo, s34
	s_wait_dscnt 0x0
	;; [unrolled: 25-line block ×3, first 2 shown]
	s_barrier_signal -1
	s_barrier_wait -1
	s_barrier_signal -1
	s_barrier_wait -1
	s_and_saveexec_b32 s34, s4
; %bb.468:                              ;   in Loop: Header=BB114_3 Depth=1
	ds_store_b32 v43, v2 offset:10112
; %bb.469:                              ;   in Loop: Header=BB114_3 Depth=1
	s_or_b32 exec_lo, exec_lo, s34
	s_wait_dscnt 0x0
	s_barrier_signal -1
	s_barrier_wait -1
	s_barrier_signal -1
	s_barrier_wait -1
	s_and_saveexec_b32 s34, s98
	s_cbranch_execz .LBB114_471
; %bb.470:                              ;   in Loop: Header=BB114_3 Depth=1
	ds_load_b32 v2, v60 offset:9344
	s_wait_dscnt 0x0
	ds_store_b32 v61, v2 offset:8336
	ds_load_b32 v2, v60 offset:9348
	s_wait_dscnt 0x0
	ds_store_b32 v61, v2 offset:8592
	;; [unrolled: 3-line block ×4, first 2 shown]
.LBB114_471:                            ;   in Loop: Header=BB114_3 Depth=1
	s_or_b32 exec_lo, exec_lo, s34
	s_wait_dscnt 0x0
	s_barrier_signal -1
	s_barrier_wait -1
	s_and_saveexec_b32 s34, s15
	s_cbranch_execz .LBB114_473
; %bb.472:                              ;   in Loop: Header=BB114_3 Depth=1
	ds_load_b64 v[28:29], v3 offset:9096
	ds_load_b32 v2, v3 offset:8840
	s_wait_dscnt 0x0
	v_mul_f32_e32 v2, v2, v29
	s_delay_alu instid0(VALU_DEP_1)
	v_mul_f32_e32 v2, v28, v2
	v_add_nc_u32_e64 v28, 0x2000, 0
	ds_store_2addr_b32 v28, v2, v2 offset0:163 offset1:226
.LBB114_473:                            ;   in Loop: Header=BB114_3 Depth=1
	s_or_b32 exec_lo, exec_lo, s34
	v_mov_b32_e32 v2, 0
	s_wait_dscnt 0x0
	s_barrier_signal -1
	s_barrier_wait -1
	global_wb scope:SCOPE_DEV
	s_wait_storecnt 0x0
	global_inv scope:SCOPE_DEV
	s_and_saveexec_b32 s34, s2
	s_cbranch_execz .LBB114_477
; %bb.474:                              ;   in Loop: Header=BB114_3 Depth=1
	ds_load_b32 v2, v35 offset:8832
	ds_load_b32 v28, v34 offset:9096
	s_wait_dscnt 0x0
	v_fma_f32 v2, v2, v28, 0
	s_and_saveexec_b32 s65, s16
	s_cbranch_execz .LBB114_476
; %bb.475:                              ;   in Loop: Header=BB114_3 Depth=1
	ds_load_b32 v28, v61 offset:9088
	ds_load_b32 v29, v3 offset:9100
	s_wait_dscnt 0x0
	v_fmac_f32_e32 v2, v28, v29
.LBB114_476:                            ;   in Loop: Header=BB114_3 Depth=1
	s_or_b32 exec_lo, exec_lo, s65
.LBB114_477:                            ;   in Loop: Header=BB114_3 Depth=1
	s_delay_alu instid0(SALU_CYCLE_1)
	s_or_b32 exec_lo, exec_lo, s34
	s_and_saveexec_b32 s34, s89
	s_cbranch_execz .LBB114_479
; %bb.478:                              ;   in Loop: Header=BB114_3 Depth=1
	ds_load_b32 v28, v3 offset:8580
	s_wait_dscnt 0x0
	v_mul_f32_e32 v2, v2, v28
	s_delay_alu instid0(VALU_DEP_1)
	v_xor_b32_e32 v28, 0x80000000, v2
	ds_store_b32 v5, v28
.LBB114_479:                            ;   in Loop: Header=BB114_3 Depth=1
	s_or_b32 exec_lo, exec_lo, s34
	s_wait_loadcnt_dscnt 0x0
	s_barrier_signal -1
	s_barrier_wait -1
	s_and_saveexec_b32 s34, s90
	s_cbranch_execz .LBB114_481
; %bb.480:                              ;   in Loop: Header=BB114_3 Depth=1
	ds_load_b32 v28, v3 offset:8576
	ds_load_b32 v29, v5
	s_wait_dscnt 0x0
	v_fma_f32 v2, -v28, v29, v2
.LBB114_481:                            ;   in Loop: Header=BB114_3 Depth=1
	s_or_b32 exec_lo, exec_lo, s34
	s_barrier_signal -1
	s_barrier_wait -1
	s_and_saveexec_b32 s34, s90
	s_cbranch_execz .LBB114_483
; %bb.482:                              ;   in Loop: Header=BB114_3 Depth=1
	ds_load_b32 v28, v3 offset:8320
	s_wait_dscnt 0x0
	v_mul_f32_e32 v2, v2, v28
	s_delay_alu instid0(VALU_DEP_1)
	v_xor_b32_e32 v28, 0x80000000, v2
	ds_store_b32 v5, v28
.LBB114_483:                            ;   in Loop: Header=BB114_3 Depth=1
	s_or_b32 exec_lo, exec_lo, s34
	s_wait_dscnt 0x0
	s_barrier_signal -1
	s_barrier_wait -1
	s_barrier_signal -1
	s_barrier_wait -1
	s_and_saveexec_b32 s34, s2
; %bb.484:                              ;   in Loop: Header=BB114_3 Depth=1
	ds_store_b32 v37, v2 offset:9088
; %bb.485:                              ;   in Loop: Header=BB114_3 Depth=1
	s_or_b32 exec_lo, exec_lo, s34
	s_wait_dscnt 0x0
	s_barrier_signal -1
	s_barrier_wait -1
	s_barrier_signal -1
	s_barrier_wait -1
	s_and_saveexec_b32 s34, s91
	s_cbranch_execz .LBB114_487
; %bb.486:                              ;   in Loop: Header=BB114_3 Depth=1
	ds_load_b32 v2, v62 offset:8832
	s_wait_dscnt 0x0
	ds_store_b32 v61, v2 offset:8328
	ds_load_b32 v2, v62 offset:8836
	s_wait_dscnt 0x0
	ds_store_b32 v61, v2 offset:8584
.LBB114_487:                            ;   in Loop: Header=BB114_3 Depth=1
	s_or_b32 exec_lo, exec_lo, s34
	s_wait_dscnt 0x0
	s_barrier_signal -1
	s_barrier_wait -1
	s_and_saveexec_b32 s34, s15
	s_cbranch_execz .LBB114_489
; %bb.488:                              ;   in Loop: Header=BB114_3 Depth=1
	ds_load_b64 v[28:29], v3 offset:8576
	ds_load_b32 v2, v3 offset:8320
	s_wait_dscnt 0x0
	v_mul_f32_e32 v2, v2, v29
	s_delay_alu instid0(VALU_DEP_1)
	v_mul_f32_e32 v2, v28, v2
	v_add_nc_u32_e64 v28, 0x2000, 0
	ds_store_2addr_b32 v28, v2, v2 offset0:33 offset1:96
.LBB114_489:                            ;   in Loop: Header=BB114_3 Depth=1
	s_or_b32 exec_lo, exec_lo, s34
	v_mov_b32_e32 v2, 0
	s_wait_dscnt 0x0
	s_barrier_signal -1
	s_barrier_wait -1
	global_wb scope:SCOPE_DEV
	s_wait_storecnt 0x0
	global_inv scope:SCOPE_DEV
	s_and_saveexec_b32 s65, s7
	s_cbranch_execz .LBB114_551
; %bb.490:                              ;   in Loop: Header=BB114_3 Depth=1
	ds_load_b32 v2, v64 offset:8192
	ds_load_b32 v28, v63 offset:16256
	s_wait_dscnt 0x0
	v_fma_f32 v2, v2, v28, 0
	s_mov_b32 s34, exec_lo
	v_readlane_b32 s80, v87, 30
	s_and_b32 s80, s34, s80
	s_delay_alu instid0(SALU_CYCLE_1)
	s_mov_b32 exec_lo, s80
	s_cbranch_execz .LBB114_492
; %bb.491:                              ;   in Loop: Header=BB114_3 Depth=1
	ds_load_b32 v28, v64 offset:8448
	ds_load_b32 v29, v63 offset:16260
	s_wait_dscnt 0x0
	v_fmac_f32_e32 v2, v28, v29
.LBB114_492:                            ;   in Loop: Header=BB114_3 Depth=1
	s_or_b32 exec_lo, exec_lo, s34
	s_delay_alu instid0(SALU_CYCLE_1) | instskip(SKIP_2) | instid1(SALU_CYCLE_1)
	s_mov_b32 s34, exec_lo
	v_readlane_b32 s80, v87, 31
	s_and_b32 s80, s34, s80
	s_mov_b32 exec_lo, s80
	s_cbranch_execz .LBB114_494
; %bb.493:                              ;   in Loop: Header=BB114_3 Depth=1
	ds_load_b32 v28, v64 offset:8704
	ds_load_b32 v29, v63 offset:16264
	s_wait_dscnt 0x0
	v_fmac_f32_e32 v2, v28, v29
.LBB114_494:                            ;   in Loop: Header=BB114_3 Depth=1
	s_or_b32 exec_lo, exec_lo, s34
	s_delay_alu instid0(SALU_CYCLE_1) | instskip(SKIP_2) | instid1(SALU_CYCLE_1)
	s_mov_b32 s34, exec_lo
	v_readlane_b32 s80, v86, 0
	s_and_b32 s80, s34, s80
	s_mov_b32 exec_lo, s80
	s_cbranch_execz .LBB114_496
; %bb.495:                              ;   in Loop: Header=BB114_3 Depth=1
	ds_load_b32 v28, v64 offset:8960
	ds_load_b32 v29, v63 offset:16268
	s_wait_dscnt 0x0
	v_fmac_f32_e32 v2, v28, v29
.LBB114_496:                            ;   in Loop: Header=BB114_3 Depth=1
	s_or_b32 exec_lo, exec_lo, s34
	s_delay_alu instid0(SALU_CYCLE_1) | instskip(SKIP_2) | instid1(SALU_CYCLE_1)
	s_mov_b32 s34, exec_lo
	v_readlane_b32 s80, v86, 1
	s_and_b32 s80, s34, s80
	s_mov_b32 exec_lo, s80
	s_cbranch_execz .LBB114_498
; %bb.497:                              ;   in Loop: Header=BB114_3 Depth=1
	ds_load_b32 v28, v64 offset:9216
	ds_load_b32 v29, v63 offset:16272
	s_wait_dscnt 0x0
	v_fmac_f32_e32 v2, v28, v29
.LBB114_498:                            ;   in Loop: Header=BB114_3 Depth=1
	s_or_b32 exec_lo, exec_lo, s34
	s_delay_alu instid0(SALU_CYCLE_1) | instskip(SKIP_2) | instid1(SALU_CYCLE_1)
	s_mov_b32 s34, exec_lo
	v_readlane_b32 s80, v86, 2
	s_and_b32 s80, s34, s80
	s_mov_b32 exec_lo, s80
	s_cbranch_execz .LBB114_500
; %bb.499:                              ;   in Loop: Header=BB114_3 Depth=1
	ds_load_b32 v28, v64 offset:9472
	ds_load_b32 v29, v63 offset:16276
	s_wait_dscnt 0x0
	v_fmac_f32_e32 v2, v28, v29
.LBB114_500:                            ;   in Loop: Header=BB114_3 Depth=1
	s_or_b32 exec_lo, exec_lo, s34
	s_delay_alu instid0(SALU_CYCLE_1) | instskip(SKIP_2) | instid1(SALU_CYCLE_1)
	s_mov_b32 s34, exec_lo
	v_readlane_b32 s80, v86, 3
	s_and_b32 s80, s34, s80
	s_mov_b32 exec_lo, s80
	s_cbranch_execz .LBB114_502
; %bb.501:                              ;   in Loop: Header=BB114_3 Depth=1
	ds_load_b32 v28, v64 offset:9728
	ds_load_b32 v29, v63 offset:16280
	s_wait_dscnt 0x0
	v_fmac_f32_e32 v2, v28, v29
.LBB114_502:                            ;   in Loop: Header=BB114_3 Depth=1
	s_or_b32 exec_lo, exec_lo, s34
	s_delay_alu instid0(SALU_CYCLE_1) | instskip(SKIP_2) | instid1(SALU_CYCLE_1)
	s_mov_b32 s34, exec_lo
	v_readlane_b32 s80, v86, 4
	s_and_b32 s80, s34, s80
	s_mov_b32 exec_lo, s80
	s_cbranch_execz .LBB114_504
; %bb.503:                              ;   in Loop: Header=BB114_3 Depth=1
	ds_load_b32 v28, v64 offset:9984
	ds_load_b32 v29, v63 offset:16284
	s_wait_dscnt 0x0
	v_fmac_f32_e32 v2, v28, v29
.LBB114_504:                            ;   in Loop: Header=BB114_3 Depth=1
	s_or_b32 exec_lo, exec_lo, s34
	s_delay_alu instid0(SALU_CYCLE_1) | instskip(SKIP_2) | instid1(SALU_CYCLE_1)
	s_mov_b32 s34, exec_lo
	v_readlane_b32 s80, v86, 5
	s_and_b32 s80, s34, s80
	s_mov_b32 exec_lo, s80
	s_cbranch_execz .LBB114_506
; %bb.505:                              ;   in Loop: Header=BB114_3 Depth=1
	ds_load_b32 v28, v64 offset:10240
	ds_load_b32 v29, v63 offset:16288
	s_wait_dscnt 0x0
	v_fmac_f32_e32 v2, v28, v29
.LBB114_506:                            ;   in Loop: Header=BB114_3 Depth=1
	s_or_b32 exec_lo, exec_lo, s34
	s_delay_alu instid0(SALU_CYCLE_1) | instskip(SKIP_2) | instid1(SALU_CYCLE_1)
	s_mov_b32 s34, exec_lo
	v_readlane_b32 s80, v86, 6
	s_and_b32 s80, s34, s80
	s_mov_b32 exec_lo, s80
	s_cbranch_execz .LBB114_508
; %bb.507:                              ;   in Loop: Header=BB114_3 Depth=1
	ds_load_b32 v28, v64 offset:10496
	ds_load_b32 v29, v63 offset:16292
	s_wait_dscnt 0x0
	v_fmac_f32_e32 v2, v28, v29
.LBB114_508:                            ;   in Loop: Header=BB114_3 Depth=1
	s_or_b32 exec_lo, exec_lo, s34
	s_delay_alu instid0(SALU_CYCLE_1) | instskip(SKIP_2) | instid1(SALU_CYCLE_1)
	s_mov_b32 s34, exec_lo
	v_readlane_b32 s80, v86, 7
	s_and_b32 s80, s34, s80
	s_mov_b32 exec_lo, s80
	s_cbranch_execz .LBB114_510
; %bb.509:                              ;   in Loop: Header=BB114_3 Depth=1
	ds_load_b32 v28, v64 offset:10752
	ds_load_b32 v29, v63 offset:16296
	s_wait_dscnt 0x0
	v_fmac_f32_e32 v2, v28, v29
.LBB114_510:                            ;   in Loop: Header=BB114_3 Depth=1
	s_or_b32 exec_lo, exec_lo, s34
	s_delay_alu instid0(SALU_CYCLE_1) | instskip(SKIP_2) | instid1(SALU_CYCLE_1)
	s_mov_b32 s34, exec_lo
	v_readlane_b32 s80, v86, 8
	s_and_b32 s80, s34, s80
	s_mov_b32 exec_lo, s80
	s_cbranch_execz .LBB114_512
; %bb.511:                              ;   in Loop: Header=BB114_3 Depth=1
	ds_load_b32 v28, v64 offset:11008
	ds_load_b32 v29, v63 offset:16300
	s_wait_dscnt 0x0
	v_fmac_f32_e32 v2, v28, v29
.LBB114_512:                            ;   in Loop: Header=BB114_3 Depth=1
	s_or_b32 exec_lo, exec_lo, s34
	s_delay_alu instid0(SALU_CYCLE_1) | instskip(SKIP_2) | instid1(SALU_CYCLE_1)
	s_mov_b32 s34, exec_lo
	v_readlane_b32 s80, v86, 9
	s_and_b32 s80, s34, s80
	s_mov_b32 exec_lo, s80
	s_cbranch_execz .LBB114_514
; %bb.513:                              ;   in Loop: Header=BB114_3 Depth=1
	ds_load_b32 v28, v64 offset:11264
	ds_load_b32 v29, v63 offset:16304
	s_wait_dscnt 0x0
	v_fmac_f32_e32 v2, v28, v29
.LBB114_514:                            ;   in Loop: Header=BB114_3 Depth=1
	s_or_b32 exec_lo, exec_lo, s34
	s_delay_alu instid0(SALU_CYCLE_1) | instskip(SKIP_2) | instid1(SALU_CYCLE_1)
	s_mov_b32 s34, exec_lo
	v_readlane_b32 s80, v86, 10
	s_and_b32 s80, s34, s80
	s_mov_b32 exec_lo, s80
	s_cbranch_execz .LBB114_516
; %bb.515:                              ;   in Loop: Header=BB114_3 Depth=1
	ds_load_b32 v28, v64 offset:11520
	ds_load_b32 v29, v63 offset:16308
	s_wait_dscnt 0x0
	v_fmac_f32_e32 v2, v28, v29
.LBB114_516:                            ;   in Loop: Header=BB114_3 Depth=1
	s_or_b32 exec_lo, exec_lo, s34
	s_delay_alu instid0(SALU_CYCLE_1) | instskip(SKIP_2) | instid1(SALU_CYCLE_1)
	s_mov_b32 s34, exec_lo
	v_readlane_b32 s80, v86, 11
	s_and_b32 s80, s34, s80
	s_mov_b32 exec_lo, s80
	s_cbranch_execz .LBB114_518
; %bb.517:                              ;   in Loop: Header=BB114_3 Depth=1
	ds_load_b32 v28, v64 offset:11776
	ds_load_b32 v29, v63 offset:16312
	s_wait_dscnt 0x0
	v_fmac_f32_e32 v2, v28, v29
.LBB114_518:                            ;   in Loop: Header=BB114_3 Depth=1
	s_or_b32 exec_lo, exec_lo, s34
	s_delay_alu instid0(SALU_CYCLE_1) | instskip(SKIP_2) | instid1(SALU_CYCLE_1)
	s_mov_b32 s34, exec_lo
	v_readlane_b32 s80, v86, 12
	s_and_b32 s80, s34, s80
	s_mov_b32 exec_lo, s80
	s_cbranch_execz .LBB114_520
; %bb.519:                              ;   in Loop: Header=BB114_3 Depth=1
	ds_load_b32 v28, v64 offset:12032
	ds_load_b32 v29, v63 offset:16316
	s_wait_dscnt 0x0
	v_fmac_f32_e32 v2, v28, v29
.LBB114_520:                            ;   in Loop: Header=BB114_3 Depth=1
	s_or_b32 exec_lo, exec_lo, s34
	s_delay_alu instid0(SALU_CYCLE_1) | instskip(SKIP_2) | instid1(SALU_CYCLE_1)
	s_mov_b32 s34, exec_lo
	v_readlane_b32 s80, v86, 13
	s_and_b32 s80, s34, s80
	s_mov_b32 exec_lo, s80
	s_cbranch_execz .LBB114_522
; %bb.521:                              ;   in Loop: Header=BB114_3 Depth=1
	ds_load_b32 v28, v64 offset:12288
	ds_load_b32 v29, v63 offset:16320
	s_wait_dscnt 0x0
	v_fmac_f32_e32 v2, v28, v29
.LBB114_522:                            ;   in Loop: Header=BB114_3 Depth=1
	s_or_b32 exec_lo, exec_lo, s34
	s_delay_alu instid0(SALU_CYCLE_1) | instskip(SKIP_2) | instid1(SALU_CYCLE_1)
	s_mov_b32 s34, exec_lo
	v_readlane_b32 s80, v86, 14
	s_and_b32 s80, s34, s80
	s_mov_b32 exec_lo, s80
	s_cbranch_execz .LBB114_524
; %bb.523:                              ;   in Loop: Header=BB114_3 Depth=1
	ds_load_b32 v28, v64 offset:12544
	ds_load_b32 v29, v63 offset:16324
	s_wait_dscnt 0x0
	v_fmac_f32_e32 v2, v28, v29
.LBB114_524:                            ;   in Loop: Header=BB114_3 Depth=1
	s_or_b32 exec_lo, exec_lo, s34
	s_delay_alu instid0(SALU_CYCLE_1) | instskip(SKIP_2) | instid1(SALU_CYCLE_1)
	s_mov_b32 s34, exec_lo
	v_readlane_b32 s80, v86, 15
	s_and_b32 s80, s34, s80
	s_mov_b32 exec_lo, s80
	s_cbranch_execz .LBB114_526
; %bb.525:                              ;   in Loop: Header=BB114_3 Depth=1
	ds_load_b32 v28, v64 offset:12800
	ds_load_b32 v29, v63 offset:16328
	s_wait_dscnt 0x0
	v_fmac_f32_e32 v2, v28, v29
.LBB114_526:                            ;   in Loop: Header=BB114_3 Depth=1
	s_or_b32 exec_lo, exec_lo, s34
	s_delay_alu instid0(SALU_CYCLE_1) | instskip(SKIP_2) | instid1(SALU_CYCLE_1)
	s_mov_b32 s34, exec_lo
	v_readlane_b32 s80, v86, 16
	s_and_b32 s80, s34, s80
	s_mov_b32 exec_lo, s80
	s_cbranch_execz .LBB114_528
; %bb.527:                              ;   in Loop: Header=BB114_3 Depth=1
	ds_load_b32 v28, v64 offset:13056
	ds_load_b32 v29, v63 offset:16332
	s_wait_dscnt 0x0
	v_fmac_f32_e32 v2, v28, v29
.LBB114_528:                            ;   in Loop: Header=BB114_3 Depth=1
	s_or_b32 exec_lo, exec_lo, s34
	s_delay_alu instid0(SALU_CYCLE_1) | instskip(SKIP_2) | instid1(SALU_CYCLE_1)
	s_mov_b32 s34, exec_lo
	v_readlane_b32 s80, v86, 17
	s_and_b32 s80, s34, s80
	s_mov_b32 exec_lo, s80
	s_cbranch_execz .LBB114_530
; %bb.529:                              ;   in Loop: Header=BB114_3 Depth=1
	ds_load_b32 v28, v64 offset:13312
	ds_load_b32 v29, v63 offset:16336
	s_wait_dscnt 0x0
	v_fmac_f32_e32 v2, v28, v29
.LBB114_530:                            ;   in Loop: Header=BB114_3 Depth=1
	s_or_b32 exec_lo, exec_lo, s34
	s_delay_alu instid0(SALU_CYCLE_1) | instskip(SKIP_2) | instid1(SALU_CYCLE_1)
	s_mov_b32 s34, exec_lo
	v_readlane_b32 s80, v86, 18
	s_and_b32 s80, s34, s80
	s_mov_b32 exec_lo, s80
	s_cbranch_execz .LBB114_532
; %bb.531:                              ;   in Loop: Header=BB114_3 Depth=1
	ds_load_b32 v28, v64 offset:13568
	ds_load_b32 v29, v63 offset:16340
	s_wait_dscnt 0x0
	v_fmac_f32_e32 v2, v28, v29
.LBB114_532:                            ;   in Loop: Header=BB114_3 Depth=1
	s_or_b32 exec_lo, exec_lo, s34
	s_delay_alu instid0(SALU_CYCLE_1) | instskip(SKIP_2) | instid1(SALU_CYCLE_1)
	s_mov_b32 s34, exec_lo
	v_readlane_b32 s80, v86, 19
	s_and_b32 s80, s34, s80
	s_mov_b32 exec_lo, s80
	s_cbranch_execz .LBB114_534
; %bb.533:                              ;   in Loop: Header=BB114_3 Depth=1
	ds_load_b32 v28, v64 offset:13824
	ds_load_b32 v29, v63 offset:16344
	s_wait_dscnt 0x0
	v_fmac_f32_e32 v2, v28, v29
.LBB114_534:                            ;   in Loop: Header=BB114_3 Depth=1
	s_or_b32 exec_lo, exec_lo, s34
	s_delay_alu instid0(SALU_CYCLE_1) | instskip(SKIP_2) | instid1(SALU_CYCLE_1)
	s_mov_b32 s34, exec_lo
	v_readlane_b32 s80, v86, 20
	s_and_b32 s80, s34, s80
	s_mov_b32 exec_lo, s80
	s_cbranch_execz .LBB114_536
; %bb.535:                              ;   in Loop: Header=BB114_3 Depth=1
	ds_load_b32 v28, v64 offset:14080
	ds_load_b32 v29, v63 offset:16348
	s_wait_dscnt 0x0
	v_fmac_f32_e32 v2, v28, v29
.LBB114_536:                            ;   in Loop: Header=BB114_3 Depth=1
	s_or_b32 exec_lo, exec_lo, s34
	s_and_saveexec_b32 s34, s6
	s_cbranch_execz .LBB114_538
; %bb.537:                              ;   in Loop: Header=BB114_3 Depth=1
	ds_load_b32 v28, v64 offset:14336
	ds_load_b32 v29, v63 offset:16352
	s_wait_dscnt 0x0
	v_fmac_f32_e32 v2, v28, v29
.LBB114_538:                            ;   in Loop: Header=BB114_3 Depth=1
	s_or_b32 exec_lo, exec_lo, s34
	s_delay_alu instid0(SALU_CYCLE_1) | instskip(SKIP_2) | instid1(SALU_CYCLE_1)
	s_mov_b32 s34, exec_lo
	v_readlane_b32 s80, v87, 20
	s_and_b32 s80, s34, s80
	s_mov_b32 exec_lo, s80
	s_cbranch_execz .LBB114_540
; %bb.539:                              ;   in Loop: Header=BB114_3 Depth=1
	ds_load_b32 v28, v64 offset:14592
	ds_load_b32 v29, v63 offset:16356
	s_wait_dscnt 0x0
	v_fmac_f32_e32 v2, v28, v29
.LBB114_540:                            ;   in Loop: Header=BB114_3 Depth=1
	s_or_b32 exec_lo, exec_lo, s34
	s_delay_alu instid0(SALU_CYCLE_1) | instskip(SKIP_2) | instid1(SALU_CYCLE_1)
	s_mov_b32 s34, exec_lo
	v_readlane_b32 s80, v87, 22
	s_and_b32 s80, s34, s80
	s_mov_b32 exec_lo, s80
	;; [unrolled: 13-line block ×5, first 2 shown]
	s_cbranch_execnz .LBB114_1231
; %bb.547:                              ;   in Loop: Header=BB114_3 Depth=1
	s_or_b32 exec_lo, exec_lo, s34
	s_and_saveexec_b32 s34, s5
	s_cbranch_execnz .LBB114_1232
.LBB114_548:                            ;   in Loop: Header=BB114_3 Depth=1
	s_or_b32 exec_lo, exec_lo, s34
	s_and_saveexec_b32 s34, s22
	s_cbranch_execz .LBB114_550
.LBB114_549:                            ;   in Loop: Header=BB114_3 Depth=1
	ds_load_b32 v28, v36 offset:16128
	ds_load_b32 v29, v3 offset:16380
	s_wait_dscnt 0x0
	v_fmac_f32_e32 v2, v28, v29
.LBB114_550:                            ;   in Loop: Header=BB114_3 Depth=1
	s_or_b32 exec_lo, exec_lo, s34
.LBB114_551:                            ;   in Loop: Header=BB114_3 Depth=1
	s_delay_alu instid0(SALU_CYCLE_1) | instskip(NEXT) | instid1(SALU_CYCLE_1)
	s_or_b32 exec_lo, exec_lo, s65
	s_mov_b32 s34, exec_lo
	v_readlane_b32 s65, v89, 3
	s_and_b32 s65, s34, s65
	s_delay_alu instid0(SALU_CYCLE_1)
	s_mov_b32 exec_lo, s65
	s_cbranch_execz .LBB114_553
; %bb.552:                              ;   in Loop: Header=BB114_3 Depth=1
	ds_load_b32 v28, v3 offset:8060
	s_wait_dscnt 0x0
	v_mul_f32_e32 v2, v2, v28
	s_delay_alu instid0(VALU_DEP_1)
	v_xor_b32_e32 v28, 0x80000000, v2
	ds_store_b32 v52, v28
.LBB114_553:                            ;   in Loop: Header=BB114_3 Depth=1
	s_or_b32 exec_lo, exec_lo, s34
	s_wait_loadcnt_dscnt 0x0
	s_barrier_signal -1
	s_barrier_wait -1
	s_mov_b32 s34, exec_lo
	v_readlane_b32 s65, v89, 4
	s_and_b32 s65, s34, s65
	s_delay_alu instid0(SALU_CYCLE_1)
	s_mov_b32 exec_lo, s65
	s_cbranch_execz .LBB114_555
; %bb.554:                              ;   in Loop: Header=BB114_3 Depth=1
	ds_load_b32 v28, v64 offset:7936
	ds_load_b32 v29, v52
	s_wait_dscnt 0x0
	v_fma_f32 v2, -v28, v29, v2
.LBB114_555:                            ;   in Loop: Header=BB114_3 Depth=1
	s_or_b32 exec_lo, exec_lo, s34
	s_barrier_signal -1
	s_barrier_wait -1
	s_mov_b32 s34, exec_lo
	v_readlane_b32 s65, v89, 5
	s_and_b32 s65, s34, s65
	s_delay_alu instid0(SALU_CYCLE_1)
	s_mov_b32 exec_lo, s65
	s_cbranch_execz .LBB114_557
; %bb.556:                              ;   in Loop: Header=BB114_3 Depth=1
	ds_load_b32 v28, v3 offset:7800
	s_wait_dscnt 0x0
	v_mul_f32_e32 v2, v2, v28
	s_delay_alu instid0(VALU_DEP_1)
	v_xor_b32_e32 v28, 0x80000000, v2
	ds_store_b32 v52, v28
.LBB114_557:                            ;   in Loop: Header=BB114_3 Depth=1
	s_or_b32 exec_lo, exec_lo, s34
	s_wait_dscnt 0x0
	s_barrier_signal -1
	s_barrier_wait -1
	s_mov_b32 s34, exec_lo
	v_readlane_b32 s65, v89, 6
	s_and_b32 s65, s34, s65
	s_delay_alu instid0(SALU_CYCLE_1)
	s_mov_b32 exec_lo, s65
	s_cbranch_execz .LBB114_559
; %bb.558:                              ;   in Loop: Header=BB114_3 Depth=1
	ds_load_b32 v28, v64 offset:7680
	ds_load_b32 v29, v52
	s_wait_dscnt 0x0
	v_fma_f32 v2, -v28, v29, v2
.LBB114_559:                            ;   in Loop: Header=BB114_3 Depth=1
	s_or_b32 exec_lo, exec_lo, s34
	s_barrier_signal -1
	s_barrier_wait -1
	s_mov_b32 s34, exec_lo
	v_readlane_b32 s65, v89, 7
	s_and_b32 s65, s34, s65
	s_delay_alu instid0(SALU_CYCLE_1)
	s_mov_b32 exec_lo, s65
	s_cbranch_execz .LBB114_561
; %bb.560:                              ;   in Loop: Header=BB114_3 Depth=1
	ds_load_b32 v28, v3 offset:7540
	s_wait_dscnt 0x0
	v_mul_f32_e32 v2, v2, v28
	s_delay_alu instid0(VALU_DEP_1)
	v_xor_b32_e32 v28, 0x80000000, v2
	ds_store_b32 v52, v28
.LBB114_561:                            ;   in Loop: Header=BB114_3 Depth=1
	s_or_b32 exec_lo, exec_lo, s34
	s_wait_dscnt 0x0
	;; [unrolled: 33-line block ×30, first 2 shown]
	s_barrier_signal -1
	s_barrier_wait -1
	s_and_saveexec_b32 s34, s11
	s_cbranch_execz .LBB114_675
; %bb.674:                              ;   in Loop: Header=BB114_3 Depth=1
	ds_load_b32 v28, v3 offset:256
	ds_load_b32 v29, v52
	s_wait_dscnt 0x0
	v_fma_f32 v2, -v28, v29, v2
.LBB114_675:                            ;   in Loop: Header=BB114_3 Depth=1
	s_or_b32 exec_lo, exec_lo, s34
	s_barrier_signal -1
	s_barrier_wait -1
	s_and_saveexec_b32 s34, s11
	s_cbranch_execz .LBB114_677
; %bb.676:                              ;   in Loop: Header=BB114_3 Depth=1
	ds_load_b32 v28, v3
	s_wait_dscnt 0x0
	v_mul_f32_e32 v2, v2, v28
	s_delay_alu instid0(VALU_DEP_1)
	v_xor_b32_e32 v28, 0x80000000, v2
	ds_store_b32 v52, v28
.LBB114_677:                            ;   in Loop: Header=BB114_3 Depth=1
	s_or_b32 exec_lo, exec_lo, s34
	s_wait_dscnt 0x0
	s_barrier_signal -1
	s_barrier_wait -1
	s_barrier_signal -1
	s_barrier_wait -1
	s_and_saveexec_b32 s34, s7
; %bb.678:                              ;   in Loop: Header=BB114_3 Depth=1
	ds_store_b32 v65, v2 offset:16128
; %bb.679:                              ;   in Loop: Header=BB114_3 Depth=1
	s_or_b32 exec_lo, exec_lo, s34
	s_wait_dscnt 0x0
	s_barrier_signal -1
	s_barrier_wait -1
	s_barrier_signal -1
	s_barrier_wait -1
	s_mov_b32 s34, exec_lo
	v_readlane_b32 s65, v87, 0
	s_and_b32 s65, s34, s65
	s_delay_alu instid0(SALU_CYCLE_1)
	s_mov_b32 exec_lo, s65
	s_cbranch_execz .LBB114_681
; %bb.680:                              ;   in Loop: Header=BB114_3 Depth=1
	ds_load_b32 v2, v38 offset:8192
	s_wait_dscnt 0x0
	ds_store_b32 v42, v2 offset:128
	ds_load_b32 v2, v38 offset:8196
	s_wait_dscnt 0x0
	ds_store_b32 v42, v2 offset:384
	;; [unrolled: 3-line block ×32, first 2 shown]
.LBB114_681:                            ;   in Loop: Header=BB114_3 Depth=1
	s_or_b32 exec_lo, exec_lo, s34
	s_wait_dscnt 0x0
	s_barrier_signal -1
	s_barrier_wait -1
	s_and_saveexec_b32 s34, s15
	s_cbranch_execz .LBB114_683
; %bb.682:                              ;   in Loop: Header=BB114_3 Depth=1
	ds_load_b64 v[28:29], v3 offset:8056
	ds_load_b32 v2, v3 offset:7800
	s_wait_dscnt 0x0
	v_mul_f32_e32 v2, v2, v29
	s_delay_alu instid0(VALU_DEP_1)
	v_mul_f32_e32 v2, v28, v2
	v_add_nc_u32_e64 v28, 0x1c00, 0
	ds_store_2addr_b32 v28, v2, v2 offset0:159 offset1:222
.LBB114_683:                            ;   in Loop: Header=BB114_3 Depth=1
	s_or_b32 exec_lo, exec_lo, s34
	v_mov_b32_e32 v2, 0
	s_wait_dscnt 0x0
	s_barrier_signal -1
	s_barrier_wait -1
	global_wb scope:SCOPE_DEV
	s_wait_storecnt 0x0
	global_inv scope:SCOPE_DEV
	s_and_saveexec_b32 s34, s2
	s_cbranch_execz .LBB114_687
; %bb.684:                              ;   in Loop: Header=BB114_3 Depth=1
	ds_load_b32 v2, v35 offset:7792
	ds_load_b32 v28, v34 offset:8056
	s_wait_dscnt 0x0
	v_fma_f32 v2, v2, v28, 0
	s_and_saveexec_b32 s65, s16
	s_cbranch_execz .LBB114_686
; %bb.685:                              ;   in Loop: Header=BB114_3 Depth=1
	ds_load_b32 v28, v36 offset:8048
	ds_load_b32 v29, v3 offset:8060
	s_wait_dscnt 0x0
	v_fmac_f32_e32 v2, v28, v29
.LBB114_686:                            ;   in Loop: Header=BB114_3 Depth=1
	s_or_b32 exec_lo, exec_lo, s65
.LBB114_687:                            ;   in Loop: Header=BB114_3 Depth=1
	s_delay_alu instid0(SALU_CYCLE_1)
	s_or_b32 exec_lo, exec_lo, s34
	s_and_saveexec_b32 s34, s89
	s_cbranch_execz .LBB114_689
; %bb.688:                              ;   in Loop: Header=BB114_3 Depth=1
	ds_load_b32 v28, v3 offset:7540
	s_wait_dscnt 0x0
	v_mul_f32_e32 v2, v2, v28
	s_delay_alu instid0(VALU_DEP_1)
	v_xor_b32_e32 v28, 0x80000000, v2
	ds_store_b32 v5, v28
.LBB114_689:                            ;   in Loop: Header=BB114_3 Depth=1
	s_or_b32 exec_lo, exec_lo, s34
	s_wait_loadcnt_dscnt 0x0
	s_barrier_signal -1
	s_barrier_wait -1
	s_and_saveexec_b32 s34, s90
	s_cbranch_execz .LBB114_691
; %bb.690:                              ;   in Loop: Header=BB114_3 Depth=1
	ds_load_b32 v28, v3 offset:7536
	ds_load_b32 v29, v5
	s_wait_dscnt 0x0
	v_fma_f32 v2, -v28, v29, v2
.LBB114_691:                            ;   in Loop: Header=BB114_3 Depth=1
	s_or_b32 exec_lo, exec_lo, s34
	s_barrier_signal -1
	s_barrier_wait -1
	s_and_saveexec_b32 s34, s90
	s_cbranch_execz .LBB114_693
; %bb.692:                              ;   in Loop: Header=BB114_3 Depth=1
	ds_load_b32 v28, v3 offset:7280
	s_wait_dscnt 0x0
	v_mul_f32_e32 v2, v2, v28
	s_delay_alu instid0(VALU_DEP_1)
	v_xor_b32_e32 v28, 0x80000000, v2
	ds_store_b32 v5, v28
.LBB114_693:                            ;   in Loop: Header=BB114_3 Depth=1
	s_or_b32 exec_lo, exec_lo, s34
	s_wait_dscnt 0x0
	s_barrier_signal -1
	s_barrier_wait -1
	s_barrier_signal -1
	s_barrier_wait -1
	s_and_saveexec_b32 s34, s2
; %bb.694:                              ;   in Loop: Header=BB114_3 Depth=1
	ds_store_b32 v37, v2 offset:8048
; %bb.695:                              ;   in Loop: Header=BB114_3 Depth=1
	s_or_b32 exec_lo, exec_lo, s34
	s_wait_dscnt 0x0
	s_barrier_signal -1
	s_barrier_wait -1
	s_barrier_signal -1
	s_barrier_wait -1
	s_and_saveexec_b32 s34, s91
	s_cbranch_execz .LBB114_697
; %bb.696:                              ;   in Loop: Header=BB114_3 Depth=1
	ds_load_b32 v2, v38 offset:7792
	s_wait_dscnt 0x0
	ds_store_b32 v36, v2 offset:7288
	ds_load_b32 v2, v38 offset:7796
	s_wait_dscnt 0x0
	ds_store_b32 v36, v2 offset:7544
.LBB114_697:                            ;   in Loop: Header=BB114_3 Depth=1
	s_or_b32 exec_lo, exec_lo, s34
	s_wait_dscnt 0x0
	s_barrier_signal -1
	s_barrier_wait -1
	s_and_saveexec_b32 s34, s15
	s_cbranch_execz .LBB114_699
; %bb.698:                              ;   in Loop: Header=BB114_3 Depth=1
	ds_load_b64 v[28:29], v3 offset:7536
	ds_load_b32 v2, v3 offset:7280
	s_wait_dscnt 0x0
	v_mul_f32_e32 v2, v2, v29
	s_delay_alu instid0(VALU_DEP_1)
	v_mul_f32_e32 v2, v28, v2
	v_add_nc_u32_e64 v28, 0x1c00, 0
	ds_store_2addr_b32 v28, v2, v2 offset0:29 offset1:92
.LBB114_699:                            ;   in Loop: Header=BB114_3 Depth=1
	s_or_b32 exec_lo, exec_lo, s34
	v_mov_b32_e32 v2, 0
	s_wait_dscnt 0x0
	s_barrier_signal -1
	s_barrier_wait -1
	global_wb scope:SCOPE_DEV
	s_wait_storecnt 0x0
	global_inv scope:SCOPE_DEV
	s_and_saveexec_b32 s34, s4
	s_cbranch_execz .LBB114_705
; %bb.700:                              ;   in Loop: Header=BB114_3 Depth=1
	ds_load_b32 v2, v41 offset:7264
	ds_load_b32 v28, v40 offset:8048
	s_wait_dscnt 0x0
	v_fma_f32 v2, v2, v28, 0
	s_and_saveexec_b32 s65, s17
	s_cbranch_execnz .LBB114_1233
; %bb.701:                              ;   in Loop: Header=BB114_3 Depth=1
	s_or_b32 exec_lo, exec_lo, s65
	s_and_saveexec_b32 s65, s18
	s_cbranch_execnz .LBB114_1234
.LBB114_702:                            ;   in Loop: Header=BB114_3 Depth=1
	s_or_b32 exec_lo, exec_lo, s65
	s_and_saveexec_b32 s65, s2
	s_cbranch_execz .LBB114_704
.LBB114_703:                            ;   in Loop: Header=BB114_3 Depth=1
	ds_load_b32 v28, v42 offset:8032
	ds_load_b32 v29, v3 offset:8060
	s_wait_dscnt 0x0
	v_fmac_f32_e32 v2, v28, v29
.LBB114_704:                            ;   in Loop: Header=BB114_3 Depth=1
	s_or_b32 exec_lo, exec_lo, s65
.LBB114_705:                            ;   in Loop: Header=BB114_3 Depth=1
	s_delay_alu instid0(SALU_CYCLE_1)
	s_or_b32 exec_lo, exec_lo, s34
	s_and_saveexec_b32 s34, s92
	s_cbranch_execz .LBB114_707
; %bb.706:                              ;   in Loop: Header=BB114_3 Depth=1
	ds_load_b32 v28, v3 offset:7020
	s_wait_dscnt 0x0
	v_mul_f32_e32 v2, v2, v28
	s_delay_alu instid0(VALU_DEP_1)
	v_xor_b32_e32 v28, 0x80000000, v2
	ds_store_b32 v39, v28
.LBB114_707:                            ;   in Loop: Header=BB114_3 Depth=1
	s_or_b32 exec_lo, exec_lo, s34
	s_wait_loadcnt_dscnt 0x0
	s_barrier_signal -1
	s_barrier_wait -1
	s_and_saveexec_b32 s34, s93
	s_cbranch_execz .LBB114_709
; %bb.708:                              ;   in Loop: Header=BB114_3 Depth=1
	ds_load_b32 v28, v41 offset:7008
	ds_load_b32 v29, v39
	s_wait_dscnt 0x0
	v_fma_f32 v2, -v28, v29, v2
.LBB114_709:                            ;   in Loop: Header=BB114_3 Depth=1
	s_or_b32 exec_lo, exec_lo, s34
	s_barrier_signal -1
	s_barrier_wait -1
	s_and_saveexec_b32 s34, s94
	s_cbranch_execz .LBB114_711
; %bb.710:                              ;   in Loop: Header=BB114_3 Depth=1
	ds_load_b32 v28, v3 offset:6760
	s_wait_dscnt 0x0
	v_mul_f32_e32 v2, v2, v28
	s_delay_alu instid0(VALU_DEP_1)
	v_xor_b32_e32 v28, 0x80000000, v2
	ds_store_b32 v39, v28
.LBB114_711:                            ;   in Loop: Header=BB114_3 Depth=1
	s_or_b32 exec_lo, exec_lo, s34
	s_wait_dscnt 0x0
	s_barrier_signal -1
	s_barrier_wait -1
	s_and_saveexec_b32 s34, s95
	s_cbranch_execz .LBB114_713
; %bb.712:                              ;   in Loop: Header=BB114_3 Depth=1
	ds_load_b32 v28, v41 offset:6752
	ds_load_b32 v29, v39
	s_wait_dscnt 0x0
	v_fma_f32 v2, -v28, v29, v2
.LBB114_713:                            ;   in Loop: Header=BB114_3 Depth=1
	s_or_b32 exec_lo, exec_lo, s34
	s_barrier_signal -1
	s_barrier_wait -1
	s_and_saveexec_b32 s34, s96
	s_cbranch_execz .LBB114_715
; %bb.714:                              ;   in Loop: Header=BB114_3 Depth=1
	ds_load_b32 v28, v3 offset:6500
	s_wait_dscnt 0x0
	v_mul_f32_e32 v2, v2, v28
	s_delay_alu instid0(VALU_DEP_1)
	v_xor_b32_e32 v28, 0x80000000, v2
	ds_store_b32 v39, v28
.LBB114_715:                            ;   in Loop: Header=BB114_3 Depth=1
	s_or_b32 exec_lo, exec_lo, s34
	s_wait_dscnt 0x0
	s_barrier_signal -1
	s_barrier_wait -1
	s_and_saveexec_b32 s34, s97
	s_cbranch_execz .LBB114_717
; %bb.716:                              ;   in Loop: Header=BB114_3 Depth=1
	ds_load_b32 v28, v3 offset:6496
	ds_load_b32 v29, v39
	s_wait_dscnt 0x0
	v_fma_f32 v2, -v28, v29, v2
.LBB114_717:                            ;   in Loop: Header=BB114_3 Depth=1
	s_or_b32 exec_lo, exec_lo, s34
	s_barrier_signal -1
	s_barrier_wait -1
	s_and_saveexec_b32 s34, s97
	s_cbranch_execz .LBB114_719
; %bb.718:                              ;   in Loop: Header=BB114_3 Depth=1
	ds_load_b32 v28, v3 offset:6240
	s_wait_dscnt 0x0
	v_mul_f32_e32 v2, v2, v28
	s_delay_alu instid0(VALU_DEP_1)
	v_xor_b32_e32 v28, 0x80000000, v2
	ds_store_b32 v39, v28
.LBB114_719:                            ;   in Loop: Header=BB114_3 Depth=1
	s_or_b32 exec_lo, exec_lo, s34
	s_wait_dscnt 0x0
	s_barrier_signal -1
	s_barrier_wait -1
	s_barrier_signal -1
	s_barrier_wait -1
	s_and_saveexec_b32 s34, s4
; %bb.720:                              ;   in Loop: Header=BB114_3 Depth=1
	ds_store_b32 v43, v2 offset:8032
; %bb.721:                              ;   in Loop: Header=BB114_3 Depth=1
	s_or_b32 exec_lo, exec_lo, s34
	s_wait_dscnt 0x0
	s_barrier_signal -1
	s_barrier_wait -1
	s_barrier_signal -1
	s_barrier_wait -1
	s_and_saveexec_b32 s34, s98
	s_cbranch_execz .LBB114_723
; %bb.722:                              ;   in Loop: Header=BB114_3 Depth=1
	ds_load_b32 v2, v7 offset:7264
	s_wait_dscnt 0x0
	ds_store_b32 v53, v2 offset:6256
	ds_load_b32 v2, v7 offset:7268
	s_wait_dscnt 0x0
	ds_store_b32 v53, v2 offset:6512
	;; [unrolled: 3-line block ×4, first 2 shown]
.LBB114_723:                            ;   in Loop: Header=BB114_3 Depth=1
	s_or_b32 exec_lo, exec_lo, s34
	s_wait_dscnt 0x0
	s_barrier_signal -1
	s_barrier_wait -1
	s_and_saveexec_b32 s34, s15
	s_cbranch_execz .LBB114_725
; %bb.724:                              ;   in Loop: Header=BB114_3 Depth=1
	ds_load_b64 v[28:29], v3 offset:7016
	ds_load_b32 v2, v3 offset:6760
	s_wait_dscnt 0x0
	v_mul_f32_e32 v2, v2, v29
	s_delay_alu instid0(VALU_DEP_1)
	v_mul_f32_e32 v2, v28, v2
	v_add_nc_u32_e64 v28, 0x1800, 0
	ds_store_2addr_b32 v28, v2, v2 offset0:155 offset1:218
.LBB114_725:                            ;   in Loop: Header=BB114_3 Depth=1
	s_or_b32 exec_lo, exec_lo, s34
	v_mov_b32_e32 v2, 0
	s_wait_dscnt 0x0
	s_barrier_signal -1
	s_barrier_wait -1
	global_wb scope:SCOPE_DEV
	s_wait_storecnt 0x0
	global_inv scope:SCOPE_DEV
	s_and_saveexec_b32 s34, s2
	s_cbranch_execz .LBB114_729
; %bb.726:                              ;   in Loop: Header=BB114_3 Depth=1
	ds_load_b32 v2, v35 offset:6752
	ds_load_b32 v28, v34 offset:7016
	s_wait_dscnt 0x0
	v_fma_f32 v2, v2, v28, 0
	s_and_saveexec_b32 s65, s16
	s_cbranch_execz .LBB114_728
; %bb.727:                              ;   in Loop: Header=BB114_3 Depth=1
	ds_load_b32 v28, v53 offset:7008
	ds_load_b32 v29, v3 offset:7020
	s_wait_dscnt 0x0
	v_fmac_f32_e32 v2, v28, v29
.LBB114_728:                            ;   in Loop: Header=BB114_3 Depth=1
	s_or_b32 exec_lo, exec_lo, s65
.LBB114_729:                            ;   in Loop: Header=BB114_3 Depth=1
	s_delay_alu instid0(SALU_CYCLE_1)
	s_or_b32 exec_lo, exec_lo, s34
	s_and_saveexec_b32 s34, s89
	s_cbranch_execz .LBB114_731
; %bb.730:                              ;   in Loop: Header=BB114_3 Depth=1
	ds_load_b32 v28, v3 offset:6500
	s_wait_dscnt 0x0
	v_mul_f32_e32 v2, v2, v28
	s_delay_alu instid0(VALU_DEP_1)
	v_xor_b32_e32 v28, 0x80000000, v2
	ds_store_b32 v5, v28
.LBB114_731:                            ;   in Loop: Header=BB114_3 Depth=1
	s_or_b32 exec_lo, exec_lo, s34
	s_wait_loadcnt_dscnt 0x0
	s_barrier_signal -1
	s_barrier_wait -1
	s_and_saveexec_b32 s34, s90
	s_cbranch_execz .LBB114_733
; %bb.732:                              ;   in Loop: Header=BB114_3 Depth=1
	ds_load_b32 v28, v3 offset:6496
	ds_load_b32 v29, v5
	s_wait_dscnt 0x0
	v_fma_f32 v2, -v28, v29, v2
.LBB114_733:                            ;   in Loop: Header=BB114_3 Depth=1
	s_or_b32 exec_lo, exec_lo, s34
	s_barrier_signal -1
	s_barrier_wait -1
	s_and_saveexec_b32 s34, s90
	s_cbranch_execz .LBB114_735
; %bb.734:                              ;   in Loop: Header=BB114_3 Depth=1
	ds_load_b32 v28, v3 offset:6240
	s_wait_dscnt 0x0
	v_mul_f32_e32 v2, v2, v28
	s_delay_alu instid0(VALU_DEP_1)
	v_xor_b32_e32 v28, 0x80000000, v2
	ds_store_b32 v5, v28
.LBB114_735:                            ;   in Loop: Header=BB114_3 Depth=1
	s_or_b32 exec_lo, exec_lo, s34
	s_wait_dscnt 0x0
	s_barrier_signal -1
	s_barrier_wait -1
	s_barrier_signal -1
	s_barrier_wait -1
	s_and_saveexec_b32 s34, s2
; %bb.736:                              ;   in Loop: Header=BB114_3 Depth=1
	ds_store_b32 v37, v2 offset:7008
; %bb.737:                              ;   in Loop: Header=BB114_3 Depth=1
	s_or_b32 exec_lo, exec_lo, s34
	s_wait_dscnt 0x0
	s_barrier_signal -1
	s_barrier_wait -1
	s_barrier_signal -1
	s_barrier_wait -1
	s_and_saveexec_b32 s34, s91
	s_cbranch_execz .LBB114_739
; %bb.738:                              ;   in Loop: Header=BB114_3 Depth=1
	ds_load_b32 v2, v54 offset:6752
	s_wait_dscnt 0x0
	ds_store_b32 v53, v2 offset:6248
	ds_load_b32 v2, v54 offset:6756
	s_wait_dscnt 0x0
	ds_store_b32 v53, v2 offset:6504
.LBB114_739:                            ;   in Loop: Header=BB114_3 Depth=1
	s_or_b32 exec_lo, exec_lo, s34
	s_wait_dscnt 0x0
	s_barrier_signal -1
	s_barrier_wait -1
	s_and_saveexec_b32 s34, s15
	s_cbranch_execz .LBB114_741
; %bb.740:                              ;   in Loop: Header=BB114_3 Depth=1
	ds_load_b64 v[28:29], v3 offset:6496
	ds_load_b32 v2, v3 offset:6240
	s_wait_dscnt 0x0
	v_mul_f32_e32 v2, v2, v29
	s_delay_alu instid0(VALU_DEP_1)
	v_mul_f32_e32 v2, v28, v2
	v_add_nc_u32_e64 v28, 0x1800, 0
	ds_store_2addr_b32 v28, v2, v2 offset0:25 offset1:88
.LBB114_741:                            ;   in Loop: Header=BB114_3 Depth=1
	s_or_b32 exec_lo, exec_lo, s34
	v_mov_b32_e32 v2, 0
	s_wait_dscnt 0x0
	s_barrier_signal -1
	s_barrier_wait -1
	global_wb scope:SCOPE_DEV
	s_wait_storecnt 0x0
	global_inv scope:SCOPE_DEV
	s_and_saveexec_b32 s34, s5
	s_cbranch_execz .LBB114_751
; %bb.742:                              ;   in Loop: Header=BB114_3 Depth=1
	ds_load_b32 v2, v46 offset:6208
	ds_load_b32 v28, v45 offset:8032
	s_wait_dscnt 0x0
	v_fma_f32 v2, v2, v28, 0
	s_and_saveexec_b32 s65, s19
	s_cbranch_execnz .LBB114_1235
; %bb.743:                              ;   in Loop: Header=BB114_3 Depth=1
	s_or_b32 exec_lo, exec_lo, s65
	s_and_saveexec_b32 s65, s20
	s_cbranch_execnz .LBB114_1236
.LBB114_744:                            ;   in Loop: Header=BB114_3 Depth=1
	s_or_b32 exec_lo, exec_lo, s65
	s_and_saveexec_b32 s65, s21
	s_cbranch_execnz .LBB114_1237
.LBB114_745:                            ;   in Loop: Header=BB114_3 Depth=1
	s_or_b32 exec_lo, exec_lo, s65
	s_and_saveexec_b32 s65, s22
	s_cbranch_execnz .LBB114_1238
.LBB114_746:                            ;   in Loop: Header=BB114_3 Depth=1
	s_or_b32 exec_lo, exec_lo, s65
	s_and_saveexec_b32 s65, s23
	s_cbranch_execnz .LBB114_1239
.LBB114_747:                            ;   in Loop: Header=BB114_3 Depth=1
	s_or_b32 exec_lo, exec_lo, s65
	s_and_saveexec_b32 s65, s4
	s_cbranch_execnz .LBB114_1240
.LBB114_748:                            ;   in Loop: Header=BB114_3 Depth=1
	s_or_b32 exec_lo, exec_lo, s65
	s_and_saveexec_b32 s65, s18
	s_cbranch_execz .LBB114_750
.LBB114_749:                            ;   in Loop: Header=BB114_3 Depth=1
	ds_load_b32 v28, v55 offset:8000
	ds_load_b32 v29, v3 offset:8060
	s_wait_dscnt 0x0
	v_fmac_f32_e32 v2, v28, v29
.LBB114_750:                            ;   in Loop: Header=BB114_3 Depth=1
	s_or_b32 exec_lo, exec_lo, s65
.LBB114_751:                            ;   in Loop: Header=BB114_3 Depth=1
	s_delay_alu instid0(SALU_CYCLE_1)
	s_or_b32 exec_lo, exec_lo, s34
	s_and_saveexec_b32 s34, s99
	s_cbranch_execz .LBB114_753
; %bb.752:                              ;   in Loop: Header=BB114_3 Depth=1
	ds_load_b32 v28, v3 offset:5980
	s_wait_dscnt 0x0
	v_mul_f32_e32 v2, v2, v28
	s_delay_alu instid0(VALU_DEP_1)
	v_xor_b32_e32 v28, 0x80000000, v2
	ds_store_b32 v44, v28
.LBB114_753:                            ;   in Loop: Header=BB114_3 Depth=1
	s_or_b32 exec_lo, exec_lo, s34
	s_wait_loadcnt_dscnt 0x0
	s_barrier_signal -1
	s_barrier_wait -1
	s_and_saveexec_b32 s34, s100
	s_cbranch_execz .LBB114_755
; %bb.754:                              ;   in Loop: Header=BB114_3 Depth=1
	ds_load_b32 v28, v46 offset:5952
	ds_load_b32 v29, v44
	s_wait_dscnt 0x0
	v_fma_f32 v2, -v28, v29, v2
.LBB114_755:                            ;   in Loop: Header=BB114_3 Depth=1
	s_or_b32 exec_lo, exec_lo, s34
	s_barrier_signal -1
	s_barrier_wait -1
	s_and_saveexec_b32 s34, s101
	s_cbranch_execz .LBB114_757
; %bb.756:                              ;   in Loop: Header=BB114_3 Depth=1
	ds_load_b32 v28, v3 offset:5720
	s_wait_dscnt 0x0
	v_mul_f32_e32 v2, v2, v28
	s_delay_alu instid0(VALU_DEP_1)
	v_xor_b32_e32 v28, 0x80000000, v2
	ds_store_b32 v44, v28
.LBB114_757:                            ;   in Loop: Header=BB114_3 Depth=1
	s_or_b32 exec_lo, exec_lo, s34
	s_wait_dscnt 0x0
	s_barrier_signal -1
	s_barrier_wait -1
	s_and_saveexec_b32 s34, s102
	s_cbranch_execz .LBB114_759
; %bb.758:                              ;   in Loop: Header=BB114_3 Depth=1
	ds_load_b32 v28, v46 offset:5696
	ds_load_b32 v29, v44
	s_wait_dscnt 0x0
	v_fma_f32 v2, -v28, v29, v2
.LBB114_759:                            ;   in Loop: Header=BB114_3 Depth=1
	s_or_b32 exec_lo, exec_lo, s34
	s_barrier_signal -1
	s_barrier_wait -1
	s_and_saveexec_b32 s34, s103
	s_cbranch_execz .LBB114_761
; %bb.760:                              ;   in Loop: Header=BB114_3 Depth=1
	ds_load_b32 v28, v3 offset:5460
	s_wait_dscnt 0x0
	v_mul_f32_e32 v2, v2, v28
	s_delay_alu instid0(VALU_DEP_1)
	v_xor_b32_e32 v28, 0x80000000, v2
	ds_store_b32 v44, v28
.LBB114_761:                            ;   in Loop: Header=BB114_3 Depth=1
	s_or_b32 exec_lo, exec_lo, s34
	s_wait_dscnt 0x0
	s_barrier_signal -1
	s_barrier_wait -1
	s_and_saveexec_b32 s34, s104
	s_cbranch_execz .LBB114_763
; %bb.762:                              ;   in Loop: Header=BB114_3 Depth=1
	ds_load_b32 v28, v46 offset:5440
	ds_load_b32 v29, v44
	s_wait_dscnt 0x0
	v_fma_f32 v2, -v28, v29, v2
.LBB114_763:                            ;   in Loop: Header=BB114_3 Depth=1
	s_or_b32 exec_lo, exec_lo, s34
	s_barrier_signal -1
	s_barrier_wait -1
	s_and_saveexec_b32 s34, vcc_hi
	s_cbranch_execz .LBB114_765
; %bb.764:                              ;   in Loop: Header=BB114_3 Depth=1
	ds_load_b32 v28, v3 offset:5200
	s_wait_dscnt 0x0
	v_mul_f32_e32 v2, v2, v28
	s_delay_alu instid0(VALU_DEP_1)
	v_xor_b32_e32 v28, 0x80000000, v2
	ds_store_b32 v44, v28
.LBB114_765:                            ;   in Loop: Header=BB114_3 Depth=1
	s_or_b32 exec_lo, exec_lo, s34
	s_wait_dscnt 0x0
	s_barrier_signal -1
	s_barrier_wait -1
	s_and_saveexec_b32 s34, s36
	s_cbranch_execz .LBB114_767
; %bb.766:                              ;   in Loop: Header=BB114_3 Depth=1
	ds_load_b32 v28, v46 offset:5184
	ds_load_b32 v29, v44
	s_wait_dscnt 0x0
	v_fma_f32 v2, -v28, v29, v2
.LBB114_767:                            ;   in Loop: Header=BB114_3 Depth=1
	s_or_b32 exec_lo, exec_lo, s34
	s_barrier_signal -1
	s_barrier_wait -1
	s_and_saveexec_b32 s34, s37
	s_cbranch_execz .LBB114_769
; %bb.768:                              ;   in Loop: Header=BB114_3 Depth=1
	ds_load_b32 v28, v3 offset:4940
	s_wait_dscnt 0x0
	v_mul_f32_e32 v2, v2, v28
	s_delay_alu instid0(VALU_DEP_1)
	v_xor_b32_e32 v28, 0x80000000, v2
	ds_store_b32 v44, v28
.LBB114_769:                            ;   in Loop: Header=BB114_3 Depth=1
	s_or_b32 exec_lo, exec_lo, s34
	s_wait_dscnt 0x0
	s_barrier_signal -1
	s_barrier_wait -1
	s_and_saveexec_b32 s34, s38
	s_cbranch_execz .LBB114_771
; %bb.770:                              ;   in Loop: Header=BB114_3 Depth=1
	ds_load_b32 v28, v46 offset:4928
	ds_load_b32 v29, v44
	s_wait_dscnt 0x0
	v_fma_f32 v2, -v28, v29, v2
.LBB114_771:                            ;   in Loop: Header=BB114_3 Depth=1
	s_or_b32 exec_lo, exec_lo, s34
	s_barrier_signal -1
	s_barrier_wait -1
	s_and_saveexec_b32 s34, s39
	;; [unrolled: 25-line block ×4, first 2 shown]
	s_cbranch_execz .LBB114_781
; %bb.780:                              ;   in Loop: Header=BB114_3 Depth=1
	ds_load_b32 v28, v3 offset:4160
	s_wait_dscnt 0x0
	v_mul_f32_e32 v2, v2, v28
	s_delay_alu instid0(VALU_DEP_1)
	v_xor_b32_e32 v28, 0x80000000, v2
	ds_store_b32 v44, v28
.LBB114_781:                            ;   in Loop: Header=BB114_3 Depth=1
	s_or_b32 exec_lo, exec_lo, s34
	s_wait_dscnt 0x0
	s_barrier_signal -1
	s_barrier_wait -1
	s_barrier_signal -1
	s_barrier_wait -1
	s_and_saveexec_b32 s34, s5
; %bb.782:                              ;   in Loop: Header=BB114_3 Depth=1
	ds_store_b32 v47, v2 offset:8000
; %bb.783:                              ;   in Loop: Header=BB114_3 Depth=1
	s_or_b32 exec_lo, exec_lo, s34
	s_wait_dscnt 0x0
	s_barrier_signal -1
	s_barrier_wait -1
	s_barrier_signal -1
	s_barrier_wait -1
	s_and_saveexec_b32 s34, s43
	s_cbranch_execz .LBB114_785
; %bb.784:                              ;   in Loop: Header=BB114_3 Depth=1
	ds_load_b32 v2, v56 offset:6208
	s_wait_dscnt 0x0
	ds_store_b32 v57, v2 offset:4192
	ds_load_b32 v2, v56 offset:6212
	s_wait_dscnt 0x0
	ds_store_b32 v57, v2 offset:4448
	;; [unrolled: 3-line block ×8, first 2 shown]
.LBB114_785:                            ;   in Loop: Header=BB114_3 Depth=1
	s_or_b32 exec_lo, exec_lo, s34
	s_wait_dscnt 0x0
	s_barrier_signal -1
	s_barrier_wait -1
	s_and_saveexec_b32 s34, s15
	s_cbranch_execz .LBB114_787
; %bb.786:                              ;   in Loop: Header=BB114_3 Depth=1
	ds_load_b64 v[28:29], v3 offset:5976
	ds_load_b32 v2, v3 offset:5720
	s_wait_dscnt 0x0
	v_mul_f32_e32 v2, v2, v29
	s_delay_alu instid0(VALU_DEP_1)
	v_mul_f32_e32 v2, v28, v2
	v_add_nc_u32_e64 v28, 0x1400, 0
	ds_store_2addr_b32 v28, v2, v2 offset0:151 offset1:214
.LBB114_787:                            ;   in Loop: Header=BB114_3 Depth=1
	s_or_b32 exec_lo, exec_lo, s34
	v_mov_b32_e32 v2, 0
	s_wait_dscnt 0x0
	s_barrier_signal -1
	s_barrier_wait -1
	global_wb scope:SCOPE_DEV
	s_wait_storecnt 0x0
	global_inv scope:SCOPE_DEV
	s_and_saveexec_b32 s34, s2
	s_cbranch_execz .LBB114_791
; %bb.788:                              ;   in Loop: Header=BB114_3 Depth=1
	ds_load_b32 v2, v35 offset:5712
	ds_load_b32 v28, v34 offset:5976
	s_wait_dscnt 0x0
	v_fma_f32 v2, v2, v28, 0
	s_and_saveexec_b32 s65, s16
	s_cbranch_execz .LBB114_790
; %bb.789:                              ;   in Loop: Header=BB114_3 Depth=1
	ds_load_b32 v28, v57 offset:5968
	ds_load_b32 v29, v3 offset:5980
	s_wait_dscnt 0x0
	v_fmac_f32_e32 v2, v28, v29
.LBB114_790:                            ;   in Loop: Header=BB114_3 Depth=1
	s_or_b32 exec_lo, exec_lo, s65
.LBB114_791:                            ;   in Loop: Header=BB114_3 Depth=1
	s_delay_alu instid0(SALU_CYCLE_1)
	s_or_b32 exec_lo, exec_lo, s34
	s_and_saveexec_b32 s34, s89
	s_cbranch_execz .LBB114_793
; %bb.792:                              ;   in Loop: Header=BB114_3 Depth=1
	ds_load_b32 v28, v3 offset:5460
	s_wait_dscnt 0x0
	v_mul_f32_e32 v2, v2, v28
	s_delay_alu instid0(VALU_DEP_1)
	v_xor_b32_e32 v28, 0x80000000, v2
	ds_store_b32 v5, v28
.LBB114_793:                            ;   in Loop: Header=BB114_3 Depth=1
	s_or_b32 exec_lo, exec_lo, s34
	s_wait_loadcnt_dscnt 0x0
	s_barrier_signal -1
	s_barrier_wait -1
	s_and_saveexec_b32 s34, s90
	s_cbranch_execz .LBB114_795
; %bb.794:                              ;   in Loop: Header=BB114_3 Depth=1
	ds_load_b32 v28, v3 offset:5456
	ds_load_b32 v29, v5
	s_wait_dscnt 0x0
	v_fma_f32 v2, -v28, v29, v2
.LBB114_795:                            ;   in Loop: Header=BB114_3 Depth=1
	s_or_b32 exec_lo, exec_lo, s34
	s_barrier_signal -1
	s_barrier_wait -1
	s_and_saveexec_b32 s34, s90
	s_cbranch_execz .LBB114_797
; %bb.796:                              ;   in Loop: Header=BB114_3 Depth=1
	ds_load_b32 v28, v3 offset:5200
	s_wait_dscnt 0x0
	v_mul_f32_e32 v2, v2, v28
	s_delay_alu instid0(VALU_DEP_1)
	v_xor_b32_e32 v28, 0x80000000, v2
	ds_store_b32 v5, v28
.LBB114_797:                            ;   in Loop: Header=BB114_3 Depth=1
	s_or_b32 exec_lo, exec_lo, s34
	s_wait_dscnt 0x0
	s_barrier_signal -1
	s_barrier_wait -1
	s_barrier_signal -1
	s_barrier_wait -1
	s_and_saveexec_b32 s34, s2
; %bb.798:                              ;   in Loop: Header=BB114_3 Depth=1
	ds_store_b32 v37, v2 offset:5968
; %bb.799:                              ;   in Loop: Header=BB114_3 Depth=1
	s_or_b32 exec_lo, exec_lo, s34
	s_wait_dscnt 0x0
	s_barrier_signal -1
	s_barrier_wait -1
	s_barrier_signal -1
	s_barrier_wait -1
	s_and_saveexec_b32 s34, s91
	s_cbranch_execz .LBB114_801
; %bb.800:                              ;   in Loop: Header=BB114_3 Depth=1
	ds_load_b32 v2, v58 offset:5712
	s_wait_dscnt 0x0
	ds_store_b32 v57, v2 offset:5208
	ds_load_b32 v2, v58 offset:5716
	s_wait_dscnt 0x0
	ds_store_b32 v57, v2 offset:5464
.LBB114_801:                            ;   in Loop: Header=BB114_3 Depth=1
	s_or_b32 exec_lo, exec_lo, s34
	s_wait_dscnt 0x0
	s_barrier_signal -1
	s_barrier_wait -1
	s_and_saveexec_b32 s34, s15
	s_cbranch_execz .LBB114_803
; %bb.802:                              ;   in Loop: Header=BB114_3 Depth=1
	ds_load_b64 v[28:29], v3 offset:5456
	ds_load_b32 v2, v3 offset:5200
	s_wait_dscnt 0x0
	v_mul_f32_e32 v2, v2, v29
	s_delay_alu instid0(VALU_DEP_1)
	v_mul_f32_e32 v2, v28, v2
	v_add_nc_u32_e64 v28, 0x1400, 0
	ds_store_2addr_b32 v28, v2, v2 offset0:21 offset1:84
.LBB114_803:                            ;   in Loop: Header=BB114_3 Depth=1
	s_or_b32 exec_lo, exec_lo, s34
	v_mov_b32_e32 v2, 0
	s_wait_dscnt 0x0
	s_barrier_signal -1
	s_barrier_wait -1
	global_wb scope:SCOPE_DEV
	s_wait_storecnt 0x0
	global_inv scope:SCOPE_DEV
	s_and_saveexec_b32 s34, s4
	s_cbranch_execz .LBB114_809
; %bb.804:                              ;   in Loop: Header=BB114_3 Depth=1
	ds_load_b32 v2, v41 offset:5184
	ds_load_b32 v28, v40 offset:5968
	s_wait_dscnt 0x0
	v_fma_f32 v2, v2, v28, 0
	s_and_saveexec_b32 s65, s17
	s_cbranch_execnz .LBB114_1241
; %bb.805:                              ;   in Loop: Header=BB114_3 Depth=1
	s_or_b32 exec_lo, exec_lo, s65
	s_and_saveexec_b32 s65, s18
	s_cbranch_execnz .LBB114_1242
.LBB114_806:                            ;   in Loop: Header=BB114_3 Depth=1
	s_or_b32 exec_lo, exec_lo, s65
	s_and_saveexec_b32 s65, s2
	s_cbranch_execz .LBB114_808
.LBB114_807:                            ;   in Loop: Header=BB114_3 Depth=1
	ds_load_b32 v28, v59 offset:5952
	ds_load_b32 v29, v3 offset:5980
	s_wait_dscnt 0x0
	v_fmac_f32_e32 v2, v28, v29
.LBB114_808:                            ;   in Loop: Header=BB114_3 Depth=1
	s_or_b32 exec_lo, exec_lo, s65
.LBB114_809:                            ;   in Loop: Header=BB114_3 Depth=1
	s_delay_alu instid0(SALU_CYCLE_1)
	s_or_b32 exec_lo, exec_lo, s34
	s_and_saveexec_b32 s34, s92
	s_cbranch_execz .LBB114_811
; %bb.810:                              ;   in Loop: Header=BB114_3 Depth=1
	ds_load_b32 v28, v3 offset:4940
	s_wait_dscnt 0x0
	v_mul_f32_e32 v2, v2, v28
	s_delay_alu instid0(VALU_DEP_1)
	v_xor_b32_e32 v28, 0x80000000, v2
	ds_store_b32 v39, v28
.LBB114_811:                            ;   in Loop: Header=BB114_3 Depth=1
	s_or_b32 exec_lo, exec_lo, s34
	s_wait_loadcnt_dscnt 0x0
	s_barrier_signal -1
	s_barrier_wait -1
	s_and_saveexec_b32 s34, s93
	s_cbranch_execz .LBB114_813
; %bb.812:                              ;   in Loop: Header=BB114_3 Depth=1
	ds_load_b32 v28, v41 offset:4928
	ds_load_b32 v29, v39
	s_wait_dscnt 0x0
	v_fma_f32 v2, -v28, v29, v2
.LBB114_813:                            ;   in Loop: Header=BB114_3 Depth=1
	s_or_b32 exec_lo, exec_lo, s34
	s_barrier_signal -1
	s_barrier_wait -1
	s_and_saveexec_b32 s34, s94
	s_cbranch_execz .LBB114_815
; %bb.814:                              ;   in Loop: Header=BB114_3 Depth=1
	ds_load_b32 v28, v3 offset:4680
	s_wait_dscnt 0x0
	v_mul_f32_e32 v2, v2, v28
	s_delay_alu instid0(VALU_DEP_1)
	v_xor_b32_e32 v28, 0x80000000, v2
	ds_store_b32 v39, v28
.LBB114_815:                            ;   in Loop: Header=BB114_3 Depth=1
	s_or_b32 exec_lo, exec_lo, s34
	s_wait_dscnt 0x0
	s_barrier_signal -1
	s_barrier_wait -1
	s_and_saveexec_b32 s34, s95
	s_cbranch_execz .LBB114_817
; %bb.816:                              ;   in Loop: Header=BB114_3 Depth=1
	ds_load_b32 v28, v41 offset:4672
	ds_load_b32 v29, v39
	s_wait_dscnt 0x0
	v_fma_f32 v2, -v28, v29, v2
.LBB114_817:                            ;   in Loop: Header=BB114_3 Depth=1
	s_or_b32 exec_lo, exec_lo, s34
	s_barrier_signal -1
	s_barrier_wait -1
	s_and_saveexec_b32 s34, s96
	s_cbranch_execz .LBB114_819
; %bb.818:                              ;   in Loop: Header=BB114_3 Depth=1
	ds_load_b32 v28, v3 offset:4420
	s_wait_dscnt 0x0
	v_mul_f32_e32 v2, v2, v28
	s_delay_alu instid0(VALU_DEP_1)
	v_xor_b32_e32 v28, 0x80000000, v2
	ds_store_b32 v39, v28
.LBB114_819:                            ;   in Loop: Header=BB114_3 Depth=1
	s_or_b32 exec_lo, exec_lo, s34
	s_wait_dscnt 0x0
	;; [unrolled: 25-line block ×3, first 2 shown]
	s_barrier_signal -1
	s_barrier_wait -1
	s_barrier_signal -1
	s_barrier_wait -1
	s_and_saveexec_b32 s34, s4
; %bb.824:                              ;   in Loop: Header=BB114_3 Depth=1
	ds_store_b32 v43, v2 offset:5952
; %bb.825:                              ;   in Loop: Header=BB114_3 Depth=1
	s_or_b32 exec_lo, exec_lo, s34
	s_wait_dscnt 0x0
	s_barrier_signal -1
	s_barrier_wait -1
	s_barrier_signal -1
	s_barrier_wait -1
	s_and_saveexec_b32 s34, s98
	s_cbranch_execz .LBB114_827
; %bb.826:                              ;   in Loop: Header=BB114_3 Depth=1
	ds_load_b32 v2, v60 offset:5184
	s_wait_dscnt 0x0
	ds_store_b32 v61, v2 offset:4176
	ds_load_b32 v2, v60 offset:5188
	s_wait_dscnt 0x0
	ds_store_b32 v61, v2 offset:4432
	;; [unrolled: 3-line block ×4, first 2 shown]
.LBB114_827:                            ;   in Loop: Header=BB114_3 Depth=1
	s_or_b32 exec_lo, exec_lo, s34
	s_wait_dscnt 0x0
	s_barrier_signal -1
	s_barrier_wait -1
	s_and_saveexec_b32 s34, s15
	s_cbranch_execz .LBB114_829
; %bb.828:                              ;   in Loop: Header=BB114_3 Depth=1
	ds_load_b64 v[28:29], v3 offset:4936
	ds_load_b32 v2, v3 offset:4680
	s_wait_dscnt 0x0
	v_mul_f32_e32 v2, v2, v29
	s_delay_alu instid0(VALU_DEP_1)
	v_mul_f32_e32 v2, v28, v2
	v_add_nc_u32_e64 v28, 0x1000, 0
	ds_store_2addr_b32 v28, v2, v2 offset0:147 offset1:210
.LBB114_829:                            ;   in Loop: Header=BB114_3 Depth=1
	s_or_b32 exec_lo, exec_lo, s34
	v_mov_b32_e32 v2, 0
	s_wait_dscnt 0x0
	s_barrier_signal -1
	s_barrier_wait -1
	global_wb scope:SCOPE_DEV
	s_wait_storecnt 0x0
	global_inv scope:SCOPE_DEV
	s_and_saveexec_b32 s34, s2
	s_cbranch_execz .LBB114_833
; %bb.830:                              ;   in Loop: Header=BB114_3 Depth=1
	ds_load_b32 v2, v35 offset:4672
	ds_load_b32 v28, v34 offset:4936
	s_wait_dscnt 0x0
	v_fma_f32 v2, v2, v28, 0
	s_and_saveexec_b32 s65, s16
	s_cbranch_execz .LBB114_832
; %bb.831:                              ;   in Loop: Header=BB114_3 Depth=1
	ds_load_b32 v28, v61 offset:4928
	ds_load_b32 v29, v3 offset:4940
	s_wait_dscnt 0x0
	v_fmac_f32_e32 v2, v28, v29
.LBB114_832:                            ;   in Loop: Header=BB114_3 Depth=1
	s_or_b32 exec_lo, exec_lo, s65
.LBB114_833:                            ;   in Loop: Header=BB114_3 Depth=1
	s_delay_alu instid0(SALU_CYCLE_1)
	s_or_b32 exec_lo, exec_lo, s34
	s_and_saveexec_b32 s34, s89
	s_cbranch_execz .LBB114_835
; %bb.834:                              ;   in Loop: Header=BB114_3 Depth=1
	ds_load_b32 v28, v3 offset:4420
	s_wait_dscnt 0x0
	v_mul_f32_e32 v2, v2, v28
	s_delay_alu instid0(VALU_DEP_1)
	v_xor_b32_e32 v28, 0x80000000, v2
	ds_store_b32 v5, v28
.LBB114_835:                            ;   in Loop: Header=BB114_3 Depth=1
	s_or_b32 exec_lo, exec_lo, s34
	s_wait_loadcnt_dscnt 0x0
	s_barrier_signal -1
	s_barrier_wait -1
	s_and_saveexec_b32 s34, s90
	s_cbranch_execz .LBB114_837
; %bb.836:                              ;   in Loop: Header=BB114_3 Depth=1
	ds_load_b32 v28, v3 offset:4416
	ds_load_b32 v29, v5
	s_wait_dscnt 0x0
	v_fma_f32 v2, -v28, v29, v2
.LBB114_837:                            ;   in Loop: Header=BB114_3 Depth=1
	s_or_b32 exec_lo, exec_lo, s34
	s_barrier_signal -1
	s_barrier_wait -1
	s_and_saveexec_b32 s34, s90
	s_cbranch_execz .LBB114_839
; %bb.838:                              ;   in Loop: Header=BB114_3 Depth=1
	ds_load_b32 v28, v3 offset:4160
	s_wait_dscnt 0x0
	v_mul_f32_e32 v2, v2, v28
	s_delay_alu instid0(VALU_DEP_1)
	v_xor_b32_e32 v28, 0x80000000, v2
	ds_store_b32 v5, v28
.LBB114_839:                            ;   in Loop: Header=BB114_3 Depth=1
	s_or_b32 exec_lo, exec_lo, s34
	s_wait_dscnt 0x0
	s_barrier_signal -1
	s_barrier_wait -1
	s_barrier_signal -1
	s_barrier_wait -1
	s_and_saveexec_b32 s34, s2
; %bb.840:                              ;   in Loop: Header=BB114_3 Depth=1
	ds_store_b32 v37, v2 offset:4928
; %bb.841:                              ;   in Loop: Header=BB114_3 Depth=1
	s_or_b32 exec_lo, exec_lo, s34
	s_wait_dscnt 0x0
	s_barrier_signal -1
	s_barrier_wait -1
	s_barrier_signal -1
	s_barrier_wait -1
	s_and_saveexec_b32 s34, s91
	s_cbranch_execz .LBB114_843
; %bb.842:                              ;   in Loop: Header=BB114_3 Depth=1
	ds_load_b32 v2, v62 offset:4672
	s_wait_dscnt 0x0
	ds_store_b32 v61, v2 offset:4168
	ds_load_b32 v2, v62 offset:4676
	s_wait_dscnt 0x0
	ds_store_b32 v61, v2 offset:4424
.LBB114_843:                            ;   in Loop: Header=BB114_3 Depth=1
	s_or_b32 exec_lo, exec_lo, s34
	s_wait_dscnt 0x0
	s_barrier_signal -1
	s_barrier_wait -1
	s_and_saveexec_b32 s34, s15
	s_cbranch_execz .LBB114_845
; %bb.844:                              ;   in Loop: Header=BB114_3 Depth=1
	ds_load_b64 v[28:29], v3 offset:4416
	ds_load_b32 v2, v3 offset:4160
	s_wait_dscnt 0x0
	v_mul_f32_e32 v2, v2, v29
	s_delay_alu instid0(VALU_DEP_1)
	v_mul_f32_e32 v2, v28, v2
	v_add_nc_u32_e64 v28, 0x1000, 0
	ds_store_2addr_b32 v28, v2, v2 offset0:17 offset1:80
.LBB114_845:                            ;   in Loop: Header=BB114_3 Depth=1
	s_or_b32 exec_lo, exec_lo, s34
	v_mov_b32_e32 v2, 0
	s_wait_dscnt 0x0
	s_barrier_signal -1
	s_barrier_wait -1
	global_wb scope:SCOPE_DEV
	s_wait_storecnt 0x0
	global_inv scope:SCOPE_DEV
	s_and_saveexec_b32 s65, s6
	s_cbranch_execz .LBB114_873
; %bb.846:                              ;   in Loop: Header=BB114_3 Depth=1
	ds_load_b32 v2, v50 offset:4096
	ds_load_b32 v28, v49 offset:8000
	s_wait_dscnt 0x0
	v_fma_f32 v2, v2, v28, 0
	s_mov_b32 s34, exec_lo
	v_readlane_b32 s80, v87, 19
	s_and_b32 s80, s34, s80
	s_delay_alu instid0(SALU_CYCLE_1)
	s_mov_b32 exec_lo, s80
	s_cbranch_execz .LBB114_848
; %bb.847:                              ;   in Loop: Header=BB114_3 Depth=1
	ds_load_b32 v28, v50 offset:4352
	ds_load_b32 v29, v49 offset:8004
	s_wait_dscnt 0x0
	v_fmac_f32_e32 v2, v28, v29
.LBB114_848:                            ;   in Loop: Header=BB114_3 Depth=1
	s_or_b32 exec_lo, exec_lo, s34
	s_delay_alu instid0(SALU_CYCLE_1) | instskip(SKIP_2) | instid1(SALU_CYCLE_1)
	s_mov_b32 s34, exec_lo
	v_readlane_b32 s80, v87, 20
	s_and_b32 s80, s34, s80
	s_mov_b32 exec_lo, s80
	s_cbranch_execz .LBB114_850
; %bb.849:                              ;   in Loop: Header=BB114_3 Depth=1
	ds_load_b32 v28, v50 offset:4608
	ds_load_b32 v29, v49 offset:8008
	s_wait_dscnt 0x0
	v_fmac_f32_e32 v2, v28, v29
.LBB114_850:                            ;   in Loop: Header=BB114_3 Depth=1
	s_or_b32 exec_lo, exec_lo, s34
	s_delay_alu instid0(SALU_CYCLE_1) | instskip(SKIP_2) | instid1(SALU_CYCLE_1)
	s_mov_b32 s34, exec_lo
	v_readlane_b32 s80, v87, 21
	s_and_b32 s80, s34, s80
	s_mov_b32 exec_lo, s80
	s_cbranch_execz .LBB114_852
; %bb.851:                              ;   in Loop: Header=BB114_3 Depth=1
	ds_load_b32 v28, v50 offset:4864
	ds_load_b32 v29, v49 offset:8012
	s_wait_dscnt 0x0
	v_fmac_f32_e32 v2, v28, v29
.LBB114_852:                            ;   in Loop: Header=BB114_3 Depth=1
	s_or_b32 exec_lo, exec_lo, s34
	s_delay_alu instid0(SALU_CYCLE_1) | instskip(SKIP_2) | instid1(SALU_CYCLE_1)
	s_mov_b32 s34, exec_lo
	v_readlane_b32 s80, v87, 22
	s_and_b32 s80, s34, s80
	s_mov_b32 exec_lo, s80
	s_cbranch_execz .LBB114_854
; %bb.853:                              ;   in Loop: Header=BB114_3 Depth=1
	ds_load_b32 v28, v50 offset:5120
	ds_load_b32 v29, v49 offset:8016
	s_wait_dscnt 0x0
	v_fmac_f32_e32 v2, v28, v29
.LBB114_854:                            ;   in Loop: Header=BB114_3 Depth=1
	s_or_b32 exec_lo, exec_lo, s34
	s_delay_alu instid0(SALU_CYCLE_1) | instskip(SKIP_2) | instid1(SALU_CYCLE_1)
	s_mov_b32 s34, exec_lo
	v_readlane_b32 s80, v87, 23
	s_and_b32 s80, s34, s80
	s_mov_b32 exec_lo, s80
	s_cbranch_execz .LBB114_856
; %bb.855:                              ;   in Loop: Header=BB114_3 Depth=1
	ds_load_b32 v28, v50 offset:5376
	ds_load_b32 v29, v49 offset:8020
	s_wait_dscnt 0x0
	v_fmac_f32_e32 v2, v28, v29
.LBB114_856:                            ;   in Loop: Header=BB114_3 Depth=1
	s_or_b32 exec_lo, exec_lo, s34
	s_delay_alu instid0(SALU_CYCLE_1) | instskip(SKIP_2) | instid1(SALU_CYCLE_1)
	s_mov_b32 s34, exec_lo
	v_readlane_b32 s80, v87, 24
	s_and_b32 s80, s34, s80
	s_mov_b32 exec_lo, s80
	s_cbranch_execz .LBB114_858
; %bb.857:                              ;   in Loop: Header=BB114_3 Depth=1
	ds_load_b32 v28, v50 offset:5632
	ds_load_b32 v29, v49 offset:8024
	s_wait_dscnt 0x0
	v_fmac_f32_e32 v2, v28, v29
.LBB114_858:                            ;   in Loop: Header=BB114_3 Depth=1
	s_or_b32 exec_lo, exec_lo, s34
	s_delay_alu instid0(SALU_CYCLE_1) | instskip(SKIP_2) | instid1(SALU_CYCLE_1)
	s_mov_b32 s34, exec_lo
	v_readlane_b32 s80, v87, 25
	s_and_b32 s80, s34, s80
	s_mov_b32 exec_lo, s80
	s_cbranch_execz .LBB114_860
; %bb.859:                              ;   in Loop: Header=BB114_3 Depth=1
	ds_load_b32 v28, v50 offset:5888
	ds_load_b32 v29, v49 offset:8028
	s_wait_dscnt 0x0
	v_fmac_f32_e32 v2, v28, v29
.LBB114_860:                            ;   in Loop: Header=BB114_3 Depth=1
	s_or_b32 exec_lo, exec_lo, s34
	s_delay_alu instid0(SALU_CYCLE_1) | instskip(SKIP_2) | instid1(SALU_CYCLE_1)
	s_mov_b32 s34, exec_lo
	v_readlane_b32 s80, v87, 26
	s_and_b32 s80, s34, s80
	s_mov_b32 exec_lo, s80
	s_cbranch_execz .LBB114_862
; %bb.861:                              ;   in Loop: Header=BB114_3 Depth=1
	ds_load_b32 v28, v50 offset:6144
	ds_load_b32 v29, v49 offset:8032
	s_wait_dscnt 0x0
	v_fmac_f32_e32 v2, v28, v29
.LBB114_862:                            ;   in Loop: Header=BB114_3 Depth=1
	s_or_b32 exec_lo, exec_lo, s34
	s_delay_alu instid0(SALU_CYCLE_1) | instskip(SKIP_2) | instid1(SALU_CYCLE_1)
	s_mov_b32 s34, exec_lo
	v_readlane_b32 s80, v87, 27
	s_and_b32 s80, s34, s80
	s_mov_b32 exec_lo, s80
	s_cbranch_execz .LBB114_864
; %bb.863:                              ;   in Loop: Header=BB114_3 Depth=1
	ds_load_b32 v28, v50 offset:6400
	ds_load_b32 v29, v49 offset:8036
	s_wait_dscnt 0x0
	v_fmac_f32_e32 v2, v28, v29
.LBB114_864:                            ;   in Loop: Header=BB114_3 Depth=1
	s_or_b32 exec_lo, exec_lo, s34
	s_delay_alu instid0(SALU_CYCLE_1) | instskip(SKIP_2) | instid1(SALU_CYCLE_1)
	s_mov_b32 s34, exec_lo
	v_readlane_b32 s80, v87, 28
	s_and_b32 s80, s34, s80
	s_mov_b32 exec_lo, s80
	s_cbranch_execz .LBB114_866
; %bb.865:                              ;   in Loop: Header=BB114_3 Depth=1
	ds_load_b32 v28, v50 offset:6656
	ds_load_b32 v29, v49 offset:8040
	s_wait_dscnt 0x0
	v_fmac_f32_e32 v2, v28, v29
.LBB114_866:                            ;   in Loop: Header=BB114_3 Depth=1
	s_or_b32 exec_lo, exec_lo, s34
	s_delay_alu instid0(SALU_CYCLE_1) | instskip(SKIP_2) | instid1(SALU_CYCLE_1)
	s_mov_b32 s34, exec_lo
	v_readlane_b32 s80, v87, 29
	s_and_b32 s80, s34, s80
	s_mov_b32 exec_lo, s80
	s_cbranch_execnz .LBB114_1243
; %bb.867:                              ;   in Loop: Header=BB114_3 Depth=1
	s_or_b32 exec_lo, exec_lo, s34
	s_and_saveexec_b32 s34, s5
	s_cbranch_execnz .LBB114_1244
.LBB114_868:                            ;   in Loop: Header=BB114_3 Depth=1
	s_or_b32 exec_lo, exec_lo, s34
	s_and_saveexec_b32 s34, s20
	s_cbranch_execnz .LBB114_1245
.LBB114_869:                            ;   in Loop: Header=BB114_3 Depth=1
	s_or_b32 exec_lo, exec_lo, s34
	s_and_saveexec_b32 s34, s22
	s_cbranch_execnz .LBB114_1246
.LBB114_870:                            ;   in Loop: Header=BB114_3 Depth=1
	s_or_b32 exec_lo, exec_lo, s34
	s_and_saveexec_b32 s34, s4
	s_cbranch_execz .LBB114_872
.LBB114_871:                            ;   in Loop: Header=BB114_3 Depth=1
	ds_load_b32 v28, v36 offset:7936
	ds_load_b32 v29, v3 offset:8060
	s_wait_dscnt 0x0
	v_fmac_f32_e32 v2, v28, v29
.LBB114_872:                            ;   in Loop: Header=BB114_3 Depth=1
	s_or_b32 exec_lo, exec_lo, s34
.LBB114_873:                            ;   in Loop: Header=BB114_3 Depth=1
	s_delay_alu instid0(SALU_CYCLE_1)
	s_or_b32 exec_lo, exec_lo, s65
	s_and_saveexec_b32 s34, s44
	s_cbranch_execz .LBB114_875
; %bb.874:                              ;   in Loop: Header=BB114_3 Depth=1
	ds_load_b32 v28, v3 offset:3900
	s_wait_dscnt 0x0
	v_mul_f32_e32 v2, v2, v28
	s_delay_alu instid0(VALU_DEP_1)
	v_xor_b32_e32 v28, 0x80000000, v2
	ds_store_b32 v48, v28
.LBB114_875:                            ;   in Loop: Header=BB114_3 Depth=1
	s_or_b32 exec_lo, exec_lo, s34
	s_wait_loadcnt_dscnt 0x0
	s_barrier_signal -1
	s_barrier_wait -1
	s_and_saveexec_b32 s34, s45
	s_cbranch_execz .LBB114_877
; %bb.876:                              ;   in Loop: Header=BB114_3 Depth=1
	ds_load_b32 v28, v50 offset:3840
	ds_load_b32 v29, v48
	s_wait_dscnt 0x0
	v_fma_f32 v2, -v28, v29, v2
.LBB114_877:                            ;   in Loop: Header=BB114_3 Depth=1
	s_or_b32 exec_lo, exec_lo, s34
	s_barrier_signal -1
	s_barrier_wait -1
	s_and_saveexec_b32 s34, s46
	s_cbranch_execz .LBB114_879
; %bb.878:                              ;   in Loop: Header=BB114_3 Depth=1
	ds_load_b32 v28, v3 offset:3640
	s_wait_dscnt 0x0
	v_mul_f32_e32 v2, v2, v28
	s_delay_alu instid0(VALU_DEP_1)
	v_xor_b32_e32 v28, 0x80000000, v2
	ds_store_b32 v48, v28
.LBB114_879:                            ;   in Loop: Header=BB114_3 Depth=1
	s_or_b32 exec_lo, exec_lo, s34
	s_wait_dscnt 0x0
	s_barrier_signal -1
	s_barrier_wait -1
	s_and_saveexec_b32 s34, s47
	s_cbranch_execz .LBB114_881
; %bb.880:                              ;   in Loop: Header=BB114_3 Depth=1
	ds_load_b32 v28, v50 offset:3584
	ds_load_b32 v29, v48
	s_wait_dscnt 0x0
	v_fma_f32 v2, -v28, v29, v2
.LBB114_881:                            ;   in Loop: Header=BB114_3 Depth=1
	s_or_b32 exec_lo, exec_lo, s34
	s_barrier_signal -1
	s_barrier_wait -1
	s_and_saveexec_b32 s34, s48
	s_cbranch_execz .LBB114_883
; %bb.882:                              ;   in Loop: Header=BB114_3 Depth=1
	ds_load_b32 v28, v3 offset:3380
	s_wait_dscnt 0x0
	v_mul_f32_e32 v2, v2, v28
	s_delay_alu instid0(VALU_DEP_1)
	v_xor_b32_e32 v28, 0x80000000, v2
	ds_store_b32 v48, v28
.LBB114_883:                            ;   in Loop: Header=BB114_3 Depth=1
	s_or_b32 exec_lo, exec_lo, s34
	s_wait_dscnt 0x0
	;; [unrolled: 25-line block ×14, first 2 shown]
	s_barrier_signal -1
	s_barrier_wait -1
	s_and_saveexec_b32 s34, s29
	s_cbranch_execz .LBB114_933
; %bb.932:                              ;   in Loop: Header=BB114_3 Depth=1
	ds_load_b32 v28, v3 offset:256
	ds_load_b32 v29, v48
	s_wait_dscnt 0x0
	v_fma_f32 v2, -v28, v29, v2
.LBB114_933:                            ;   in Loop: Header=BB114_3 Depth=1
	s_or_b32 exec_lo, exec_lo, s34
	s_barrier_signal -1
	s_barrier_wait -1
	s_and_saveexec_b32 s34, s29
	s_cbranch_execz .LBB114_935
; %bb.934:                              ;   in Loop: Header=BB114_3 Depth=1
	ds_load_b32 v28, v3
	s_wait_dscnt 0x0
	v_mul_f32_e32 v2, v2, v28
	s_delay_alu instid0(VALU_DEP_1)
	v_xor_b32_e32 v28, 0x80000000, v2
	ds_store_b32 v48, v28
.LBB114_935:                            ;   in Loop: Header=BB114_3 Depth=1
	s_or_b32 exec_lo, exec_lo, s34
	s_wait_dscnt 0x0
	s_barrier_signal -1
	s_barrier_wait -1
	s_barrier_signal -1
	s_barrier_wait -1
	s_and_saveexec_b32 s34, s6
; %bb.936:                              ;   in Loop: Header=BB114_3 Depth=1
	ds_store_b32 v51, v2 offset:7936
; %bb.937:                              ;   in Loop: Header=BB114_3 Depth=1
	s_or_b32 exec_lo, exec_lo, s34
	s_wait_dscnt 0x0
	s_barrier_signal -1
	s_barrier_wait -1
	s_barrier_signal -1
	s_barrier_wait -1
	s_and_saveexec_b32 s34, s31
	s_cbranch_execz .LBB114_939
; %bb.938:                              ;   in Loop: Header=BB114_3 Depth=1
	ds_load_b32 v2, v38 offset:4096
	s_wait_dscnt 0x0
	ds_store_b32 v42, v2 offset:64
	ds_load_b32 v2, v38 offset:4100
	s_wait_dscnt 0x0
	ds_store_b32 v42, v2 offset:320
	;; [unrolled: 3-line block ×16, first 2 shown]
.LBB114_939:                            ;   in Loop: Header=BB114_3 Depth=1
	s_or_b32 exec_lo, exec_lo, s34
	s_wait_dscnt 0x0
	s_barrier_signal -1
	s_barrier_wait -1
	s_and_saveexec_b32 s34, s15
	s_cbranch_execz .LBB114_941
; %bb.940:                              ;   in Loop: Header=BB114_3 Depth=1
	ds_load_b64 v[28:29], v3 offset:3896
	ds_load_b32 v2, v3 offset:3640
	s_wait_dscnt 0x0
	v_mul_f32_e32 v2, v2, v29
	s_delay_alu instid0(VALU_DEP_1)
	v_mul_f32_e32 v2, v28, v2
	v_add_nc_u32_e64 v28, 0xc00, 0
	ds_store_2addr_b32 v28, v2, v2 offset0:143 offset1:206
.LBB114_941:                            ;   in Loop: Header=BB114_3 Depth=1
	s_or_b32 exec_lo, exec_lo, s34
	v_mov_b32_e32 v2, 0
	s_wait_dscnt 0x0
	s_barrier_signal -1
	s_barrier_wait -1
	global_wb scope:SCOPE_DEV
	s_wait_storecnt 0x0
	global_inv scope:SCOPE_DEV
	s_and_saveexec_b32 s34, s2
	s_cbranch_execz .LBB114_945
; %bb.942:                              ;   in Loop: Header=BB114_3 Depth=1
	ds_load_b32 v2, v35 offset:3632
	ds_load_b32 v28, v34 offset:3896
	s_wait_dscnt 0x0
	v_fma_f32 v2, v2, v28, 0
	s_and_saveexec_b32 s65, s16
	s_cbranch_execz .LBB114_944
; %bb.943:                              ;   in Loop: Header=BB114_3 Depth=1
	ds_load_b32 v28, v36 offset:3888
	ds_load_b32 v29, v3 offset:3900
	s_wait_dscnt 0x0
	v_fmac_f32_e32 v2, v28, v29
.LBB114_944:                            ;   in Loop: Header=BB114_3 Depth=1
	s_or_b32 exec_lo, exec_lo, s65
.LBB114_945:                            ;   in Loop: Header=BB114_3 Depth=1
	s_delay_alu instid0(SALU_CYCLE_1)
	s_or_b32 exec_lo, exec_lo, s34
	s_and_saveexec_b32 s34, s89
	s_cbranch_execz .LBB114_947
; %bb.946:                              ;   in Loop: Header=BB114_3 Depth=1
	ds_load_b32 v28, v3 offset:3380
	s_wait_dscnt 0x0
	v_mul_f32_e32 v2, v2, v28
	s_delay_alu instid0(VALU_DEP_1)
	v_xor_b32_e32 v28, 0x80000000, v2
	ds_store_b32 v5, v28
.LBB114_947:                            ;   in Loop: Header=BB114_3 Depth=1
	s_or_b32 exec_lo, exec_lo, s34
	s_wait_loadcnt_dscnt 0x0
	s_barrier_signal -1
	s_barrier_wait -1
	s_and_saveexec_b32 s34, s90
	s_cbranch_execz .LBB114_949
; %bb.948:                              ;   in Loop: Header=BB114_3 Depth=1
	ds_load_b32 v28, v3 offset:3376
	ds_load_b32 v29, v5
	s_wait_dscnt 0x0
	v_fma_f32 v2, -v28, v29, v2
.LBB114_949:                            ;   in Loop: Header=BB114_3 Depth=1
	s_or_b32 exec_lo, exec_lo, s34
	s_barrier_signal -1
	s_barrier_wait -1
	s_and_saveexec_b32 s34, s90
	s_cbranch_execz .LBB114_951
; %bb.950:                              ;   in Loop: Header=BB114_3 Depth=1
	ds_load_b32 v28, v3 offset:3120
	s_wait_dscnt 0x0
	v_mul_f32_e32 v2, v2, v28
	s_delay_alu instid0(VALU_DEP_1)
	v_xor_b32_e32 v28, 0x80000000, v2
	ds_store_b32 v5, v28
.LBB114_951:                            ;   in Loop: Header=BB114_3 Depth=1
	s_or_b32 exec_lo, exec_lo, s34
	s_wait_dscnt 0x0
	s_barrier_signal -1
	s_barrier_wait -1
	s_barrier_signal -1
	s_barrier_wait -1
	s_and_saveexec_b32 s34, s2
; %bb.952:                              ;   in Loop: Header=BB114_3 Depth=1
	ds_store_b32 v37, v2 offset:3888
; %bb.953:                              ;   in Loop: Header=BB114_3 Depth=1
	s_or_b32 exec_lo, exec_lo, s34
	s_wait_dscnt 0x0
	s_barrier_signal -1
	s_barrier_wait -1
	s_barrier_signal -1
	s_barrier_wait -1
	s_and_saveexec_b32 s34, s91
	s_cbranch_execz .LBB114_955
; %bb.954:                              ;   in Loop: Header=BB114_3 Depth=1
	ds_load_b32 v2, v38 offset:3632
	s_wait_dscnt 0x0
	ds_store_b32 v36, v2 offset:3128
	ds_load_b32 v2, v38 offset:3636
	s_wait_dscnt 0x0
	ds_store_b32 v36, v2 offset:3384
.LBB114_955:                            ;   in Loop: Header=BB114_3 Depth=1
	s_or_b32 exec_lo, exec_lo, s34
	s_wait_dscnt 0x0
	s_barrier_signal -1
	s_barrier_wait -1
	s_and_saveexec_b32 s34, s15
	s_cbranch_execz .LBB114_957
; %bb.956:                              ;   in Loop: Header=BB114_3 Depth=1
	ds_load_b64 v[28:29], v3 offset:3376
	ds_load_b32 v2, v3 offset:3120
	s_wait_dscnt 0x0
	v_mul_f32_e32 v2, v2, v29
	s_delay_alu instid0(VALU_DEP_1)
	v_mul_f32_e32 v2, v28, v2
	v_add_nc_u32_e64 v28, 0xc00, 0
	ds_store_2addr_b32 v28, v2, v2 offset0:13 offset1:76
.LBB114_957:                            ;   in Loop: Header=BB114_3 Depth=1
	s_or_b32 exec_lo, exec_lo, s34
	v_mov_b32_e32 v2, 0
	s_wait_dscnt 0x0
	s_barrier_signal -1
	s_barrier_wait -1
	global_wb scope:SCOPE_DEV
	s_wait_storecnt 0x0
	global_inv scope:SCOPE_DEV
	s_and_saveexec_b32 s34, s4
	s_cbranch_execz .LBB114_963
; %bb.958:                              ;   in Loop: Header=BB114_3 Depth=1
	ds_load_b32 v2, v41 offset:3104
	ds_load_b32 v28, v40 offset:3888
	s_wait_dscnt 0x0
	v_fma_f32 v2, v2, v28, 0
	s_and_saveexec_b32 s65, s17
	s_cbranch_execnz .LBB114_1247
; %bb.959:                              ;   in Loop: Header=BB114_3 Depth=1
	s_or_b32 exec_lo, exec_lo, s65
	s_and_saveexec_b32 s65, s18
	s_cbranch_execnz .LBB114_1248
.LBB114_960:                            ;   in Loop: Header=BB114_3 Depth=1
	s_or_b32 exec_lo, exec_lo, s65
	s_and_saveexec_b32 s65, s2
	s_cbranch_execz .LBB114_962
.LBB114_961:                            ;   in Loop: Header=BB114_3 Depth=1
	ds_load_b32 v28, v42 offset:3872
	ds_load_b32 v29, v3 offset:3900
	s_wait_dscnt 0x0
	v_fmac_f32_e32 v2, v28, v29
.LBB114_962:                            ;   in Loop: Header=BB114_3 Depth=1
	s_or_b32 exec_lo, exec_lo, s65
.LBB114_963:                            ;   in Loop: Header=BB114_3 Depth=1
	s_delay_alu instid0(SALU_CYCLE_1)
	s_or_b32 exec_lo, exec_lo, s34
	s_and_saveexec_b32 s34, s92
	s_cbranch_execz .LBB114_965
; %bb.964:                              ;   in Loop: Header=BB114_3 Depth=1
	ds_load_b32 v28, v3 offset:2860
	s_wait_dscnt 0x0
	v_mul_f32_e32 v2, v2, v28
	s_delay_alu instid0(VALU_DEP_1)
	v_xor_b32_e32 v28, 0x80000000, v2
	ds_store_b32 v39, v28
.LBB114_965:                            ;   in Loop: Header=BB114_3 Depth=1
	s_or_b32 exec_lo, exec_lo, s34
	s_wait_loadcnt_dscnt 0x0
	s_barrier_signal -1
	s_barrier_wait -1
	s_and_saveexec_b32 s34, s93
	s_cbranch_execz .LBB114_967
; %bb.966:                              ;   in Loop: Header=BB114_3 Depth=1
	ds_load_b32 v28, v41 offset:2848
	ds_load_b32 v29, v39
	s_wait_dscnt 0x0
	v_fma_f32 v2, -v28, v29, v2
.LBB114_967:                            ;   in Loop: Header=BB114_3 Depth=1
	s_or_b32 exec_lo, exec_lo, s34
	s_barrier_signal -1
	s_barrier_wait -1
	s_and_saveexec_b32 s34, s94
	s_cbranch_execz .LBB114_969
; %bb.968:                              ;   in Loop: Header=BB114_3 Depth=1
	ds_load_b32 v28, v3 offset:2600
	s_wait_dscnt 0x0
	v_mul_f32_e32 v2, v2, v28
	s_delay_alu instid0(VALU_DEP_1)
	v_xor_b32_e32 v28, 0x80000000, v2
	ds_store_b32 v39, v28
.LBB114_969:                            ;   in Loop: Header=BB114_3 Depth=1
	s_or_b32 exec_lo, exec_lo, s34
	s_wait_dscnt 0x0
	s_barrier_signal -1
	s_barrier_wait -1
	s_and_saveexec_b32 s34, s95
	s_cbranch_execz .LBB114_971
; %bb.970:                              ;   in Loop: Header=BB114_3 Depth=1
	ds_load_b32 v28, v41 offset:2592
	ds_load_b32 v29, v39
	s_wait_dscnt 0x0
	v_fma_f32 v2, -v28, v29, v2
.LBB114_971:                            ;   in Loop: Header=BB114_3 Depth=1
	s_or_b32 exec_lo, exec_lo, s34
	s_barrier_signal -1
	s_barrier_wait -1
	s_and_saveexec_b32 s34, s96
	s_cbranch_execz .LBB114_973
; %bb.972:                              ;   in Loop: Header=BB114_3 Depth=1
	ds_load_b32 v28, v3 offset:2340
	s_wait_dscnt 0x0
	v_mul_f32_e32 v2, v2, v28
	s_delay_alu instid0(VALU_DEP_1)
	v_xor_b32_e32 v28, 0x80000000, v2
	ds_store_b32 v39, v28
.LBB114_973:                            ;   in Loop: Header=BB114_3 Depth=1
	s_or_b32 exec_lo, exec_lo, s34
	s_wait_dscnt 0x0
	;; [unrolled: 25-line block ×3, first 2 shown]
	s_barrier_signal -1
	s_barrier_wait -1
	s_barrier_signal -1
	s_barrier_wait -1
	s_and_saveexec_b32 s34, s4
; %bb.978:                              ;   in Loop: Header=BB114_3 Depth=1
	ds_store_b32 v43, v2 offset:3872
; %bb.979:                              ;   in Loop: Header=BB114_3 Depth=1
	s_or_b32 exec_lo, exec_lo, s34
	s_wait_dscnt 0x0
	s_barrier_signal -1
	s_barrier_wait -1
	s_barrier_signal -1
	s_barrier_wait -1
	s_and_saveexec_b32 s34, s98
	s_cbranch_execz .LBB114_981
; %bb.980:                              ;   in Loop: Header=BB114_3 Depth=1
	ds_load_b32 v2, v7 offset:3104
	s_wait_dscnt 0x0
	ds_store_b32 v53, v2 offset:2096
	ds_load_b32 v2, v7 offset:3108
	s_wait_dscnt 0x0
	ds_store_b32 v53, v2 offset:2352
	;; [unrolled: 3-line block ×4, first 2 shown]
.LBB114_981:                            ;   in Loop: Header=BB114_3 Depth=1
	s_or_b32 exec_lo, exec_lo, s34
	s_wait_dscnt 0x0
	s_barrier_signal -1
	s_barrier_wait -1
	s_and_saveexec_b32 s34, s15
	s_cbranch_execz .LBB114_983
; %bb.982:                              ;   in Loop: Header=BB114_3 Depth=1
	ds_load_b64 v[28:29], v3 offset:2856
	ds_load_b32 v2, v3 offset:2600
	s_wait_dscnt 0x0
	v_mul_f32_e32 v2, v2, v29
	s_delay_alu instid0(VALU_DEP_1)
	v_mul_f32_e32 v2, v28, v2
	v_add_nc_u32_e64 v28, 0x800, 0
	ds_store_2addr_b32 v28, v2, v2 offset0:139 offset1:202
.LBB114_983:                            ;   in Loop: Header=BB114_3 Depth=1
	s_or_b32 exec_lo, exec_lo, s34
	v_mov_b32_e32 v2, 0
	s_wait_dscnt 0x0
	s_barrier_signal -1
	s_barrier_wait -1
	global_wb scope:SCOPE_DEV
	s_wait_storecnt 0x0
	global_inv scope:SCOPE_DEV
	s_and_saveexec_b32 s34, s2
	s_cbranch_execz .LBB114_987
; %bb.984:                              ;   in Loop: Header=BB114_3 Depth=1
	ds_load_b32 v2, v35 offset:2592
	ds_load_b32 v28, v34 offset:2856
	s_wait_dscnt 0x0
	v_fma_f32 v2, v2, v28, 0
	s_and_saveexec_b32 s65, s16
	s_cbranch_execz .LBB114_986
; %bb.985:                              ;   in Loop: Header=BB114_3 Depth=1
	ds_load_b32 v28, v53 offset:2848
	ds_load_b32 v29, v3 offset:2860
	s_wait_dscnt 0x0
	v_fmac_f32_e32 v2, v28, v29
.LBB114_986:                            ;   in Loop: Header=BB114_3 Depth=1
	s_or_b32 exec_lo, exec_lo, s65
.LBB114_987:                            ;   in Loop: Header=BB114_3 Depth=1
	s_delay_alu instid0(SALU_CYCLE_1)
	s_or_b32 exec_lo, exec_lo, s34
	s_and_saveexec_b32 s34, s89
	s_cbranch_execz .LBB114_989
; %bb.988:                              ;   in Loop: Header=BB114_3 Depth=1
	ds_load_b32 v28, v3 offset:2340
	s_wait_dscnt 0x0
	v_mul_f32_e32 v2, v2, v28
	s_delay_alu instid0(VALU_DEP_1)
	v_xor_b32_e32 v28, 0x80000000, v2
	ds_store_b32 v5, v28
.LBB114_989:                            ;   in Loop: Header=BB114_3 Depth=1
	s_or_b32 exec_lo, exec_lo, s34
	s_wait_loadcnt_dscnt 0x0
	s_barrier_signal -1
	s_barrier_wait -1
	s_and_saveexec_b32 s34, s90
	s_cbranch_execz .LBB114_991
; %bb.990:                              ;   in Loop: Header=BB114_3 Depth=1
	ds_load_b32 v28, v3 offset:2336
	ds_load_b32 v29, v5
	s_wait_dscnt 0x0
	v_fma_f32 v2, -v28, v29, v2
.LBB114_991:                            ;   in Loop: Header=BB114_3 Depth=1
	s_or_b32 exec_lo, exec_lo, s34
	s_barrier_signal -1
	s_barrier_wait -1
	s_and_saveexec_b32 s34, s90
	s_cbranch_execz .LBB114_993
; %bb.992:                              ;   in Loop: Header=BB114_3 Depth=1
	ds_load_b32 v28, v3 offset:2080
	s_wait_dscnt 0x0
	v_mul_f32_e32 v2, v2, v28
	s_delay_alu instid0(VALU_DEP_1)
	v_xor_b32_e32 v28, 0x80000000, v2
	ds_store_b32 v5, v28
.LBB114_993:                            ;   in Loop: Header=BB114_3 Depth=1
	s_or_b32 exec_lo, exec_lo, s34
	s_wait_dscnt 0x0
	s_barrier_signal -1
	s_barrier_wait -1
	s_barrier_signal -1
	s_barrier_wait -1
	s_and_saveexec_b32 s34, s2
; %bb.994:                              ;   in Loop: Header=BB114_3 Depth=1
	ds_store_b32 v37, v2 offset:2848
; %bb.995:                              ;   in Loop: Header=BB114_3 Depth=1
	s_or_b32 exec_lo, exec_lo, s34
	s_wait_dscnt 0x0
	s_barrier_signal -1
	s_barrier_wait -1
	s_barrier_signal -1
	s_barrier_wait -1
	s_and_saveexec_b32 s34, s91
	s_cbranch_execz .LBB114_997
; %bb.996:                              ;   in Loop: Header=BB114_3 Depth=1
	ds_load_b32 v2, v54 offset:2592
	s_wait_dscnt 0x0
	ds_store_b32 v53, v2 offset:2088
	ds_load_b32 v2, v54 offset:2596
	s_wait_dscnt 0x0
	ds_store_b32 v53, v2 offset:2344
.LBB114_997:                            ;   in Loop: Header=BB114_3 Depth=1
	s_or_b32 exec_lo, exec_lo, s34
	s_wait_dscnt 0x0
	s_barrier_signal -1
	s_barrier_wait -1
	s_and_saveexec_b32 s34, s15
	s_cbranch_execz .LBB114_999
; %bb.998:                              ;   in Loop: Header=BB114_3 Depth=1
	ds_load_b64 v[28:29], v3 offset:2336
	ds_load_b32 v2, v3 offset:2080
	s_wait_dscnt 0x0
	v_mul_f32_e32 v2, v2, v29
	s_delay_alu instid0(VALU_DEP_1)
	v_mul_f32_e32 v2, v28, v2
	v_add_nc_u32_e64 v28, 0x800, 0
	ds_store_2addr_b32 v28, v2, v2 offset0:9 offset1:72
.LBB114_999:                            ;   in Loop: Header=BB114_3 Depth=1
	s_or_b32 exec_lo, exec_lo, s34
	v_mov_b32_e32 v2, 0
	s_wait_dscnt 0x0
	s_barrier_signal -1
	s_barrier_wait -1
	global_wb scope:SCOPE_DEV
	s_wait_storecnt 0x0
	global_inv scope:SCOPE_DEV
	s_and_saveexec_b32 s34, s5
	s_cbranch_execz .LBB114_1009
; %bb.1000:                             ;   in Loop: Header=BB114_3 Depth=1
	ds_load_b32 v2, v46 offset:2048
	ds_load_b32 v28, v45 offset:3872
	s_wait_dscnt 0x0
	v_fma_f32 v2, v2, v28, 0
	s_and_saveexec_b32 s65, s19
	s_cbranch_execnz .LBB114_1249
; %bb.1001:                             ;   in Loop: Header=BB114_3 Depth=1
	s_or_b32 exec_lo, exec_lo, s65
	s_and_saveexec_b32 s65, s20
	s_cbranch_execnz .LBB114_1250
.LBB114_1002:                           ;   in Loop: Header=BB114_3 Depth=1
	s_or_b32 exec_lo, exec_lo, s65
	s_and_saveexec_b32 s65, s21
	s_cbranch_execnz .LBB114_1251
.LBB114_1003:                           ;   in Loop: Header=BB114_3 Depth=1
	s_or_b32 exec_lo, exec_lo, s65
	s_and_saveexec_b32 s65, s22
	s_cbranch_execnz .LBB114_1252
.LBB114_1004:                           ;   in Loop: Header=BB114_3 Depth=1
	s_or_b32 exec_lo, exec_lo, s65
	s_and_saveexec_b32 s65, s23
	s_cbranch_execnz .LBB114_1253
.LBB114_1005:                           ;   in Loop: Header=BB114_3 Depth=1
	s_or_b32 exec_lo, exec_lo, s65
	s_and_saveexec_b32 s65, s4
	s_cbranch_execnz .LBB114_1254
.LBB114_1006:                           ;   in Loop: Header=BB114_3 Depth=1
	s_or_b32 exec_lo, exec_lo, s65
	s_and_saveexec_b32 s65, s18
	s_cbranch_execz .LBB114_1008
.LBB114_1007:                           ;   in Loop: Header=BB114_3 Depth=1
	ds_load_b32 v28, v55 offset:3840
	ds_load_b32 v29, v3 offset:3900
	s_wait_dscnt 0x0
	v_fmac_f32_e32 v2, v28, v29
.LBB114_1008:                           ;   in Loop: Header=BB114_3 Depth=1
	s_or_b32 exec_lo, exec_lo, s65
.LBB114_1009:                           ;   in Loop: Header=BB114_3 Depth=1
	s_delay_alu instid0(SALU_CYCLE_1)
	s_or_b32 exec_lo, exec_lo, s34
	s_and_saveexec_b32 s34, s99
	s_cbranch_execz .LBB114_1011
; %bb.1010:                             ;   in Loop: Header=BB114_3 Depth=1
	ds_load_b32 v28, v3 offset:1820
	s_wait_dscnt 0x0
	v_mul_f32_e32 v2, v2, v28
	s_delay_alu instid0(VALU_DEP_1)
	v_xor_b32_e32 v28, 0x80000000, v2
	ds_store_b32 v44, v28
.LBB114_1011:                           ;   in Loop: Header=BB114_3 Depth=1
	s_or_b32 exec_lo, exec_lo, s34
	s_wait_loadcnt_dscnt 0x0
	s_barrier_signal -1
	s_barrier_wait -1
	s_and_saveexec_b32 s34, s100
	s_cbranch_execz .LBB114_1013
; %bb.1012:                             ;   in Loop: Header=BB114_3 Depth=1
	ds_load_b32 v28, v46 offset:1792
	ds_load_b32 v29, v44
	s_wait_dscnt 0x0
	v_fma_f32 v2, -v28, v29, v2
.LBB114_1013:                           ;   in Loop: Header=BB114_3 Depth=1
	s_or_b32 exec_lo, exec_lo, s34
	s_barrier_signal -1
	s_barrier_wait -1
	s_and_saveexec_b32 s34, s101
	s_cbranch_execz .LBB114_1015
; %bb.1014:                             ;   in Loop: Header=BB114_3 Depth=1
	ds_load_b32 v28, v3 offset:1560
	s_wait_dscnt 0x0
	v_mul_f32_e32 v2, v2, v28
	s_delay_alu instid0(VALU_DEP_1)
	v_xor_b32_e32 v28, 0x80000000, v2
	ds_store_b32 v44, v28
.LBB114_1015:                           ;   in Loop: Header=BB114_3 Depth=1
	s_or_b32 exec_lo, exec_lo, s34
	s_wait_dscnt 0x0
	s_barrier_signal -1
	s_barrier_wait -1
	s_and_saveexec_b32 s34, s102
	s_cbranch_execz .LBB114_1017
; %bb.1016:                             ;   in Loop: Header=BB114_3 Depth=1
	ds_load_b32 v28, v46 offset:1536
	ds_load_b32 v29, v44
	s_wait_dscnt 0x0
	v_fma_f32 v2, -v28, v29, v2
.LBB114_1017:                           ;   in Loop: Header=BB114_3 Depth=1
	s_or_b32 exec_lo, exec_lo, s34
	s_barrier_signal -1
	s_barrier_wait -1
	s_and_saveexec_b32 s34, s103
	s_cbranch_execz .LBB114_1019
; %bb.1018:                             ;   in Loop: Header=BB114_3 Depth=1
	ds_load_b32 v28, v3 offset:1300
	s_wait_dscnt 0x0
	v_mul_f32_e32 v2, v2, v28
	s_delay_alu instid0(VALU_DEP_1)
	v_xor_b32_e32 v28, 0x80000000, v2
	ds_store_b32 v44, v28
.LBB114_1019:                           ;   in Loop: Header=BB114_3 Depth=1
	s_or_b32 exec_lo, exec_lo, s34
	s_wait_dscnt 0x0
	s_barrier_signal -1
	s_barrier_wait -1
	s_and_saveexec_b32 s34, s104
	s_cbranch_execz .LBB114_1021
; %bb.1020:                             ;   in Loop: Header=BB114_3 Depth=1
	ds_load_b32 v28, v46 offset:1280
	ds_load_b32 v29, v44
	s_wait_dscnt 0x0
	v_fma_f32 v2, -v28, v29, v2
.LBB114_1021:                           ;   in Loop: Header=BB114_3 Depth=1
	s_or_b32 exec_lo, exec_lo, s34
	s_barrier_signal -1
	s_barrier_wait -1
	s_and_saveexec_b32 s34, vcc_hi
	s_cbranch_execz .LBB114_1023
; %bb.1022:                             ;   in Loop: Header=BB114_3 Depth=1
	ds_load_b32 v28, v3 offset:1040
	s_wait_dscnt 0x0
	v_mul_f32_e32 v2, v2, v28
	s_delay_alu instid0(VALU_DEP_1)
	v_xor_b32_e32 v28, 0x80000000, v2
	ds_store_b32 v44, v28
.LBB114_1023:                           ;   in Loop: Header=BB114_3 Depth=1
	s_or_b32 exec_lo, exec_lo, s34
	s_wait_dscnt 0x0
	s_barrier_signal -1
	s_barrier_wait -1
	s_and_saveexec_b32 s34, s36
	s_cbranch_execz .LBB114_1025
; %bb.1024:                             ;   in Loop: Header=BB114_3 Depth=1
	ds_load_b32 v28, v46 offset:1024
	ds_load_b32 v29, v44
	s_wait_dscnt 0x0
	v_fma_f32 v2, -v28, v29, v2
.LBB114_1025:                           ;   in Loop: Header=BB114_3 Depth=1
	s_or_b32 exec_lo, exec_lo, s34
	s_barrier_signal -1
	s_barrier_wait -1
	s_and_saveexec_b32 s34, s37
	s_cbranch_execz .LBB114_1027
; %bb.1026:                             ;   in Loop: Header=BB114_3 Depth=1
	ds_load_b32 v28, v3 offset:780
	s_wait_dscnt 0x0
	v_mul_f32_e32 v2, v2, v28
	s_delay_alu instid0(VALU_DEP_1)
	v_xor_b32_e32 v28, 0x80000000, v2
	ds_store_b32 v44, v28
.LBB114_1027:                           ;   in Loop: Header=BB114_3 Depth=1
	s_or_b32 exec_lo, exec_lo, s34
	s_wait_dscnt 0x0
	s_barrier_signal -1
	s_barrier_wait -1
	s_and_saveexec_b32 s34, s38
	s_cbranch_execz .LBB114_1029
; %bb.1028:                             ;   in Loop: Header=BB114_3 Depth=1
	ds_load_b32 v28, v46 offset:768
	ds_load_b32 v29, v44
	s_wait_dscnt 0x0
	v_fma_f32 v2, -v28, v29, v2
.LBB114_1029:                           ;   in Loop: Header=BB114_3 Depth=1
	s_or_b32 exec_lo, exec_lo, s34
	s_barrier_signal -1
	s_barrier_wait -1
	s_and_saveexec_b32 s34, s39
	;; [unrolled: 25-line block ×4, first 2 shown]
	s_cbranch_execz .LBB114_1039
; %bb.1038:                             ;   in Loop: Header=BB114_3 Depth=1
	ds_load_b32 v28, v3
	s_wait_dscnt 0x0
	v_mul_f32_e32 v2, v2, v28
	s_delay_alu instid0(VALU_DEP_1)
	v_xor_b32_e32 v28, 0x80000000, v2
	ds_store_b32 v44, v28
.LBB114_1039:                           ;   in Loop: Header=BB114_3 Depth=1
	s_or_b32 exec_lo, exec_lo, s34
	s_wait_dscnt 0x0
	s_barrier_signal -1
	s_barrier_wait -1
	s_barrier_signal -1
	s_barrier_wait -1
	s_and_saveexec_b32 s34, s5
; %bb.1040:                             ;   in Loop: Header=BB114_3 Depth=1
	ds_store_b32 v47, v2 offset:3840
; %bb.1041:                             ;   in Loop: Header=BB114_3 Depth=1
	s_or_b32 exec_lo, exec_lo, s34
	s_wait_dscnt 0x0
	s_barrier_signal -1
	s_barrier_wait -1
	s_barrier_signal -1
	s_barrier_wait -1
	s_and_saveexec_b32 s34, s43
	s_cbranch_execz .LBB114_1043
; %bb.1042:                             ;   in Loop: Header=BB114_3 Depth=1
	ds_load_b32 v2, v56 offset:2048
	s_wait_dscnt 0x0
	ds_store_b32 v57, v2 offset:32
	ds_load_b32 v2, v56 offset:2052
	s_wait_dscnt 0x0
	ds_store_b32 v57, v2 offset:288
	;; [unrolled: 3-line block ×8, first 2 shown]
.LBB114_1043:                           ;   in Loop: Header=BB114_3 Depth=1
	s_or_b32 exec_lo, exec_lo, s34
	s_wait_dscnt 0x0
	s_barrier_signal -1
	s_barrier_wait -1
	s_and_saveexec_b32 s34, s15
	s_cbranch_execz .LBB114_1045
; %bb.1044:                             ;   in Loop: Header=BB114_3 Depth=1
	ds_load_b64 v[28:29], v3 offset:1816
	ds_load_b32 v2, v3 offset:1560
	s_wait_dscnt 0x0
	v_mul_f32_e32 v2, v2, v29
	s_delay_alu instid0(VALU_DEP_1)
	v_mul_f32_e32 v2, v28, v2
	v_add_nc_u32_e64 v28, 0x400, 0
	ds_store_2addr_b32 v28, v2, v2 offset0:135 offset1:198
.LBB114_1045:                           ;   in Loop: Header=BB114_3 Depth=1
	s_or_b32 exec_lo, exec_lo, s34
	v_mov_b32_e32 v2, 0
	s_wait_dscnt 0x0
	s_barrier_signal -1
	s_barrier_wait -1
	global_wb scope:SCOPE_DEV
	s_wait_storecnt 0x0
	global_inv scope:SCOPE_DEV
	s_and_saveexec_b32 s34, s2
	s_cbranch_execz .LBB114_1049
; %bb.1046:                             ;   in Loop: Header=BB114_3 Depth=1
	ds_load_b32 v2, v35 offset:1552
	ds_load_b32 v28, v34 offset:1816
	s_wait_dscnt 0x0
	v_fma_f32 v2, v2, v28, 0
	s_and_saveexec_b32 s65, s16
	s_cbranch_execz .LBB114_1048
; %bb.1047:                             ;   in Loop: Header=BB114_3 Depth=1
	ds_load_b32 v28, v57 offset:1808
	ds_load_b32 v29, v3 offset:1820
	s_wait_dscnt 0x0
	v_fmac_f32_e32 v2, v28, v29
.LBB114_1048:                           ;   in Loop: Header=BB114_3 Depth=1
	s_or_b32 exec_lo, exec_lo, s65
.LBB114_1049:                           ;   in Loop: Header=BB114_3 Depth=1
	s_delay_alu instid0(SALU_CYCLE_1)
	s_or_b32 exec_lo, exec_lo, s34
	s_and_saveexec_b32 s34, s89
	s_cbranch_execz .LBB114_1051
; %bb.1050:                             ;   in Loop: Header=BB114_3 Depth=1
	ds_load_b32 v28, v3 offset:1300
	s_wait_dscnt 0x0
	v_mul_f32_e32 v2, v2, v28
	s_delay_alu instid0(VALU_DEP_1)
	v_xor_b32_e32 v28, 0x80000000, v2
	ds_store_b32 v5, v28
.LBB114_1051:                           ;   in Loop: Header=BB114_3 Depth=1
	s_or_b32 exec_lo, exec_lo, s34
	s_wait_loadcnt_dscnt 0x0
	s_barrier_signal -1
	s_barrier_wait -1
	s_and_saveexec_b32 s34, s90
	s_cbranch_execz .LBB114_1053
; %bb.1052:                             ;   in Loop: Header=BB114_3 Depth=1
	ds_load_b32 v28, v3 offset:1296
	ds_load_b32 v29, v5
	s_wait_dscnt 0x0
	v_fma_f32 v2, -v28, v29, v2
.LBB114_1053:                           ;   in Loop: Header=BB114_3 Depth=1
	s_or_b32 exec_lo, exec_lo, s34
	s_barrier_signal -1
	s_barrier_wait -1
	s_and_saveexec_b32 s34, s90
	s_cbranch_execz .LBB114_1055
; %bb.1054:                             ;   in Loop: Header=BB114_3 Depth=1
	ds_load_b32 v28, v3 offset:1040
	s_wait_dscnt 0x0
	v_mul_f32_e32 v2, v2, v28
	s_delay_alu instid0(VALU_DEP_1)
	v_xor_b32_e32 v28, 0x80000000, v2
	ds_store_b32 v5, v28
.LBB114_1055:                           ;   in Loop: Header=BB114_3 Depth=1
	s_or_b32 exec_lo, exec_lo, s34
	s_wait_dscnt 0x0
	s_barrier_signal -1
	s_barrier_wait -1
	s_barrier_signal -1
	s_barrier_wait -1
	s_and_saveexec_b32 s34, s2
; %bb.1056:                             ;   in Loop: Header=BB114_3 Depth=1
	ds_store_b32 v37, v2 offset:1808
; %bb.1057:                             ;   in Loop: Header=BB114_3 Depth=1
	s_or_b32 exec_lo, exec_lo, s34
	s_wait_dscnt 0x0
	s_barrier_signal -1
	s_barrier_wait -1
	s_barrier_signal -1
	s_barrier_wait -1
	s_and_saveexec_b32 s34, s91
	s_cbranch_execz .LBB114_1059
; %bb.1058:                             ;   in Loop: Header=BB114_3 Depth=1
	ds_load_b32 v2, v58 offset:1552
	s_wait_dscnt 0x0
	ds_store_b32 v57, v2 offset:1048
	ds_load_b32 v2, v58 offset:1556
	s_wait_dscnt 0x0
	ds_store_b32 v57, v2 offset:1304
.LBB114_1059:                           ;   in Loop: Header=BB114_3 Depth=1
	s_or_b32 exec_lo, exec_lo, s34
	s_wait_dscnt 0x0
	s_barrier_signal -1
	s_barrier_wait -1
	s_and_saveexec_b32 s34, s15
	s_cbranch_execz .LBB114_1061
; %bb.1060:                             ;   in Loop: Header=BB114_3 Depth=1
	ds_load_b64 v[28:29], v3 offset:1296
	ds_load_b32 v2, v3 offset:1040
	s_wait_dscnt 0x0
	v_mul_f32_e32 v2, v2, v29
	s_delay_alu instid0(VALU_DEP_1)
	v_mul_f32_e32 v2, v28, v2
	v_add_nc_u32_e64 v28, 0x400, 0
	ds_store_2addr_b32 v28, v2, v2 offset0:5 offset1:68
.LBB114_1061:                           ;   in Loop: Header=BB114_3 Depth=1
	s_or_b32 exec_lo, exec_lo, s34
	v_mov_b32_e32 v2, 0
	s_wait_dscnt 0x0
	s_barrier_signal -1
	s_barrier_wait -1
	global_wb scope:SCOPE_DEV
	s_wait_storecnt 0x0
	global_inv scope:SCOPE_DEV
	s_and_saveexec_b32 s34, s4
	s_cbranch_execz .LBB114_1067
; %bb.1062:                             ;   in Loop: Header=BB114_3 Depth=1
	ds_load_b32 v2, v41 offset:1024
	ds_load_b32 v28, v40 offset:1808
	s_wait_dscnt 0x0
	v_fma_f32 v2, v2, v28, 0
	s_and_saveexec_b32 s65, s17
	s_cbranch_execnz .LBB114_1255
; %bb.1063:                             ;   in Loop: Header=BB114_3 Depth=1
	s_or_b32 exec_lo, exec_lo, s65
	s_and_saveexec_b32 s65, s18
	s_cbranch_execnz .LBB114_1256
.LBB114_1064:                           ;   in Loop: Header=BB114_3 Depth=1
	s_or_b32 exec_lo, exec_lo, s65
	s_and_saveexec_b32 s65, s2
	s_cbranch_execz .LBB114_1066
.LBB114_1065:                           ;   in Loop: Header=BB114_3 Depth=1
	ds_load_b32 v28, v59 offset:1792
	ds_load_b32 v29, v3 offset:1820
	s_wait_dscnt 0x0
	v_fmac_f32_e32 v2, v28, v29
.LBB114_1066:                           ;   in Loop: Header=BB114_3 Depth=1
	s_or_b32 exec_lo, exec_lo, s65
.LBB114_1067:                           ;   in Loop: Header=BB114_3 Depth=1
	s_delay_alu instid0(SALU_CYCLE_1)
	s_or_b32 exec_lo, exec_lo, s34
	s_and_saveexec_b32 s34, s92
	s_cbranch_execz .LBB114_1069
; %bb.1068:                             ;   in Loop: Header=BB114_3 Depth=1
	ds_load_b32 v28, v3 offset:780
	s_wait_dscnt 0x0
	v_mul_f32_e32 v2, v2, v28
	s_delay_alu instid0(VALU_DEP_1)
	v_xor_b32_e32 v28, 0x80000000, v2
	ds_store_b32 v39, v28
.LBB114_1069:                           ;   in Loop: Header=BB114_3 Depth=1
	s_or_b32 exec_lo, exec_lo, s34
	s_wait_loadcnt_dscnt 0x0
	s_barrier_signal -1
	s_barrier_wait -1
	s_and_saveexec_b32 s34, s93
	s_cbranch_execz .LBB114_1071
; %bb.1070:                             ;   in Loop: Header=BB114_3 Depth=1
	ds_load_b32 v28, v41 offset:768
	ds_load_b32 v29, v39
	s_wait_dscnt 0x0
	v_fma_f32 v2, -v28, v29, v2
.LBB114_1071:                           ;   in Loop: Header=BB114_3 Depth=1
	s_or_b32 exec_lo, exec_lo, s34
	s_barrier_signal -1
	s_barrier_wait -1
	s_and_saveexec_b32 s34, s94
	s_cbranch_execz .LBB114_1073
; %bb.1072:                             ;   in Loop: Header=BB114_3 Depth=1
	ds_load_b32 v28, v3 offset:520
	s_wait_dscnt 0x0
	v_mul_f32_e32 v2, v2, v28
	s_delay_alu instid0(VALU_DEP_1)
	v_xor_b32_e32 v28, 0x80000000, v2
	ds_store_b32 v39, v28
.LBB114_1073:                           ;   in Loop: Header=BB114_3 Depth=1
	s_or_b32 exec_lo, exec_lo, s34
	s_wait_dscnt 0x0
	s_barrier_signal -1
	s_barrier_wait -1
	s_and_saveexec_b32 s34, s95
	s_cbranch_execz .LBB114_1075
; %bb.1074:                             ;   in Loop: Header=BB114_3 Depth=1
	ds_load_b32 v28, v41 offset:512
	ds_load_b32 v29, v39
	s_wait_dscnt 0x0
	v_fma_f32 v2, -v28, v29, v2
.LBB114_1075:                           ;   in Loop: Header=BB114_3 Depth=1
	s_or_b32 exec_lo, exec_lo, s34
	s_barrier_signal -1
	s_barrier_wait -1
	s_and_saveexec_b32 s34, s96
	s_cbranch_execz .LBB114_1077
; %bb.1076:                             ;   in Loop: Header=BB114_3 Depth=1
	ds_load_b32 v28, v3 offset:260
	s_wait_dscnt 0x0
	v_mul_f32_e32 v2, v2, v28
	s_delay_alu instid0(VALU_DEP_1)
	v_xor_b32_e32 v28, 0x80000000, v2
	ds_store_b32 v39, v28
.LBB114_1077:                           ;   in Loop: Header=BB114_3 Depth=1
	s_or_b32 exec_lo, exec_lo, s34
	s_wait_dscnt 0x0
	s_barrier_signal -1
	s_barrier_wait -1
	s_and_saveexec_b32 s34, s97
	s_cbranch_execz .LBB114_1079
; %bb.1078:                             ;   in Loop: Header=BB114_3 Depth=1
	ds_load_b32 v28, v3 offset:256
	ds_load_b32 v29, v39
	s_wait_dscnt 0x0
	v_fma_f32 v2, -v28, v29, v2
.LBB114_1079:                           ;   in Loop: Header=BB114_3 Depth=1
	s_or_b32 exec_lo, exec_lo, s34
	s_barrier_signal -1
	s_barrier_wait -1
	s_and_saveexec_b32 s34, s97
	s_cbranch_execz .LBB114_1081
; %bb.1080:                             ;   in Loop: Header=BB114_3 Depth=1
	ds_load_b32 v28, v3
	s_wait_dscnt 0x0
	v_mul_f32_e32 v2, v2, v28
	s_delay_alu instid0(VALU_DEP_1)
	v_xor_b32_e32 v28, 0x80000000, v2
	ds_store_b32 v39, v28
.LBB114_1081:                           ;   in Loop: Header=BB114_3 Depth=1
	s_or_b32 exec_lo, exec_lo, s34
	s_wait_dscnt 0x0
	s_barrier_signal -1
	s_barrier_wait -1
	s_barrier_signal -1
	s_barrier_wait -1
	s_and_saveexec_b32 s34, s4
; %bb.1082:                             ;   in Loop: Header=BB114_3 Depth=1
	ds_store_b32 v43, v2 offset:1792
; %bb.1083:                             ;   in Loop: Header=BB114_3 Depth=1
	s_or_b32 exec_lo, exec_lo, s34
	s_wait_dscnt 0x0
	s_barrier_signal -1
	s_barrier_wait -1
	s_barrier_signal -1
	s_barrier_wait -1
	s_and_saveexec_b32 s34, s98
	s_cbranch_execz .LBB114_1085
; %bb.1084:                             ;   in Loop: Header=BB114_3 Depth=1
	ds_load_b32 v2, v60 offset:1024
	s_wait_dscnt 0x0
	ds_store_b32 v61, v2 offset:16
	ds_load_b32 v2, v60 offset:1028
	s_wait_dscnt 0x0
	ds_store_b32 v61, v2 offset:272
	;; [unrolled: 3-line block ×4, first 2 shown]
.LBB114_1085:                           ;   in Loop: Header=BB114_3 Depth=1
	s_or_b32 exec_lo, exec_lo, s34
	s_wait_dscnt 0x0
	s_barrier_signal -1
	s_barrier_wait -1
	s_and_saveexec_b32 s34, s15
	s_cbranch_execz .LBB114_1087
; %bb.1086:                             ;   in Loop: Header=BB114_3 Depth=1
	ds_load_b64 v[28:29], v3 offset:776
	ds_load_b32 v2, v3 offset:520
	s_wait_dscnt 0x0
	v_mul_f32_e32 v2, v2, v29
	s_delay_alu instid0(VALU_DEP_1)
	v_mul_f32_e32 v2, v28, v2
	ds_store_2addr_b32 v3, v2, v2 offset0:131 offset1:194
.LBB114_1087:                           ;   in Loop: Header=BB114_3 Depth=1
	s_or_b32 exec_lo, exec_lo, s34
	v_mov_b32_e32 v2, 0
	s_wait_dscnt 0x0
	s_barrier_signal -1
	s_barrier_wait -1
	global_wb scope:SCOPE_DEV
	s_wait_storecnt 0x0
	global_inv scope:SCOPE_DEV
	s_and_saveexec_b32 s34, s2
	s_cbranch_execz .LBB114_1091
; %bb.1088:                             ;   in Loop: Header=BB114_3 Depth=1
	ds_load_b32 v2, v35 offset:512
	ds_load_b32 v28, v34 offset:776
	s_wait_dscnt 0x0
	v_fma_f32 v2, v2, v28, 0
	s_and_saveexec_b32 s65, s16
	s_cbranch_execz .LBB114_1090
; %bb.1089:                             ;   in Loop: Header=BB114_3 Depth=1
	ds_load_b32 v28, v61 offset:768
	ds_load_b32 v29, v3 offset:780
	s_wait_dscnt 0x0
	v_fmac_f32_e32 v2, v28, v29
.LBB114_1090:                           ;   in Loop: Header=BB114_3 Depth=1
	s_or_b32 exec_lo, exec_lo, s65
.LBB114_1091:                           ;   in Loop: Header=BB114_3 Depth=1
	s_delay_alu instid0(SALU_CYCLE_1)
	s_or_b32 exec_lo, exec_lo, s34
	s_and_saveexec_b32 s34, s89
	s_cbranch_execz .LBB114_1093
; %bb.1092:                             ;   in Loop: Header=BB114_3 Depth=1
	ds_load_b32 v28, v3 offset:260
	s_wait_dscnt 0x0
	v_mul_f32_e32 v2, v2, v28
	s_delay_alu instid0(VALU_DEP_1)
	v_xor_b32_e32 v28, 0x80000000, v2
	ds_store_b32 v5, v28
.LBB114_1093:                           ;   in Loop: Header=BB114_3 Depth=1
	s_or_b32 exec_lo, exec_lo, s34
	s_wait_loadcnt_dscnt 0x0
	s_barrier_signal -1
	s_barrier_wait -1
	s_and_saveexec_b32 s34, s90
	s_cbranch_execz .LBB114_1095
; %bb.1094:                             ;   in Loop: Header=BB114_3 Depth=1
	ds_load_b32 v28, v3 offset:256
	ds_load_b32 v29, v5
	s_wait_dscnt 0x0
	v_fma_f32 v2, -v28, v29, v2
.LBB114_1095:                           ;   in Loop: Header=BB114_3 Depth=1
	s_or_b32 exec_lo, exec_lo, s34
	s_barrier_signal -1
	s_barrier_wait -1
	s_and_saveexec_b32 s34, s90
	s_cbranch_execz .LBB114_1097
; %bb.1096:                             ;   in Loop: Header=BB114_3 Depth=1
	ds_load_b32 v28, v3
	s_wait_dscnt 0x0
	v_mul_f32_e32 v2, v2, v28
	s_delay_alu instid0(VALU_DEP_1)
	v_xor_b32_e32 v28, 0x80000000, v2
	ds_store_b32 v5, v28
.LBB114_1097:                           ;   in Loop: Header=BB114_3 Depth=1
	s_or_b32 exec_lo, exec_lo, s34
	s_wait_dscnt 0x0
	s_barrier_signal -1
	s_barrier_wait -1
	s_barrier_signal -1
	s_barrier_wait -1
	s_and_saveexec_b32 s34, s2
; %bb.1098:                             ;   in Loop: Header=BB114_3 Depth=1
	ds_store_b32 v37, v2 offset:768
; %bb.1099:                             ;   in Loop: Header=BB114_3 Depth=1
	s_or_b32 exec_lo, exec_lo, s34
	s_wait_dscnt 0x0
	s_barrier_signal -1
	s_barrier_wait -1
	s_barrier_signal -1
	s_barrier_wait -1
	s_and_saveexec_b32 s34, s91
	s_cbranch_execz .LBB114_1101
; %bb.1100:                             ;   in Loop: Header=BB114_3 Depth=1
	ds_load_b32 v2, v62 offset:512
	s_wait_dscnt 0x0
	ds_store_b32 v61, v2 offset:8
	ds_load_b32 v2, v62 offset:516
	s_wait_dscnt 0x0
	ds_store_b32 v61, v2 offset:264
.LBB114_1101:                           ;   in Loop: Header=BB114_3 Depth=1
	s_or_b32 exec_lo, exec_lo, s34
	s_wait_dscnt 0x0
	s_barrier_signal -1
	s_barrier_wait -1
	s_and_saveexec_b32 s34, s15
	s_cbranch_execz .LBB114_1103
; %bb.1102:                             ;   in Loop: Header=BB114_3 Depth=1
	ds_load_b64 v[28:29], v3 offset:256
	ds_load_b32 v2, v3
	s_wait_dscnt 0x0
	v_mul_f32_e32 v2, v2, v29
	s_delay_alu instid0(VALU_DEP_1)
	v_mul_f32_e32 v2, v28, v2
	ds_store_2addr_b32 v3, v2, v2 offset0:1 offset1:64
.LBB114_1103:                           ;   in Loop: Header=BB114_3 Depth=1
	s_or_b32 exec_lo, exec_lo, s34
.LBB114_1104:                           ;   in Loop: Header=BB114_3 Depth=1
	v_add_nc_u64_e32 v[26:27], s[74:75], v[26:27]
	v_mov_b32_e32 v30, 0
	s_wait_dscnt 0x0
	s_barrier_signal -1
	s_barrier_wait -1
	s_wait_xcnt 0x0
	s_and_saveexec_b32 s34, s14
	s_cbranch_execz .LBB114_1106
; %bb.1105:                             ;   in Loop: Header=BB114_3 Depth=1
	v_lshl_add_u64 v[28:29], v[0:1], 2, v[26:27]
	v_readlane_b32 s65, v89, 2
	flat_load_b32 v2, v[28:29]
	s_wait_loadcnt_dscnt 0x0
	v_mul_f32_e64 v30, v2, -s65
.LBB114_1106:                           ;   in Loop: Header=BB114_3 Depth=1
	s_or_b32 exec_lo, exec_lo, s34
	s_delay_alu instid0(SALU_CYCLE_1)
	s_and_not1_b32 vcc_lo, exec_lo, s12
	s_cbranch_vccnz .LBB114_1132
; %bb.1107:                             ;   in Loop: Header=BB114_3 Depth=1
	v_mov_b32_e32 v31, -1
	s_lshl_b64 s[80:81], s[66:67], 2
	s_mov_b32 s34, 0
	s_add_nc_u64 s[80:81], s[76:77], s[80:81]
	s_branch .LBB114_1110
.LBB114_1108:                           ;   in Loop: Header=BB114_1110 Depth=2
	s_wait_xcnt 0x0
	ds_load_b32 v28, v66 offset:192
	s_wait_loadcnt_dscnt 0x0
	v_fmac_f32_e32 v30, v2, v28
.LBB114_1109:                           ;   in Loop: Header=BB114_1110 Depth=2
	s_or_b32 exec_lo, exec_lo, s65
	s_add_co_i32 s34, s34, 1
	s_delay_alu instid0(SALU_CYCLE_1)
	s_cmp_eq_u32 s34, s84
	s_cbranch_scc1 .LBB114_1132
.LBB114_1110:                           ;   Parent Loop BB114_3 Depth=1
                                        ; =>  This Loop Header: Depth=2
                                        ;       Child Loop BB114_1112 Depth 3
	v_cmp_gt_i32_e32 vcc_lo, s34, v31
	s_and_b32 s82, s59, vcc_lo
	s_delay_alu instid0(SALU_CYCLE_1)
	s_and_saveexec_b32 s65, s82
	s_cbranch_execz .LBB114_1113
; %bb.1111:                             ;   in Loop: Header=BB114_1110 Depth=2
	global_load_b32 v31, v3, s[80:81]
	s_wait_loadcnt 0x0
	v_cmp_le_i32_e32 vcc_lo, s34, v31
	s_cbranch_vccnz .LBB114_1113
.LBB114_1112:                           ;   Parent Loop BB114_3 Depth=1
                                        ;     Parent Loop BB114_1110 Depth=2
                                        ; =>    This Inner Loop Header: Depth=3
	global_wb scope:SCOPE_DEV
	s_wait_storecnt 0x0
	global_inv scope:SCOPE_DEV
	global_load_b32 v31, v3, s[80:81]
	s_wait_loadcnt 0x0
	v_cmp_gt_i32_e32 vcc_lo, s34, v31
	s_cbranch_vccnz .LBB114_1112
.LBB114_1113:                           ;   in Loop: Header=BB114_1110 Depth=2
	s_or_b32 exec_lo, exec_lo, s65
	s_lshl_b32 s65, s34, 6
	global_wb scope:SCOPE_DEV
	s_wait_storecnt 0x0
	global_inv scope:SCOPE_DEV
	s_wait_loadcnt 0x0
	s_barrier_signal -1
	s_barrier_wait -1
	s_and_saveexec_b32 s82, s60
	s_cbranch_execz .LBB114_1117
; %bb.1114:                             ;   in Loop: Header=BB114_1110 Depth=2
	v_dual_mov_b32 v28, 0 :: v_dual_bitop2_b32 v2, s65, v6 bitop3:0x54
	s_mov_b32 s85, exec_lo
	s_delay_alu instid0(VALU_DEP_1)
	v_cmpx_gt_i32_e64 s83, v2
	s_cbranch_execz .LBB114_1116
; %bb.1115:                             ;   in Loop: Header=BB114_1110 Depth=2
	v_mul_u64_e32 v[28:29], s[78:79], v[2:3]
	s_delay_alu instid0(VALU_DEP_1)
	v_lshl_add_u64 v[28:29], v[28:29], 2, v[26:27]
	flat_load_b32 v28, v[28:29]
.LBB114_1116:                           ;   in Loop: Header=BB114_1110 Depth=2
	s_wait_xcnt 0x0
	s_or_b32 exec_lo, exec_lo, s85
	s_wait_loadcnt_dscnt 0x0
	ds_store_b32 v67, v28
.LBB114_1117:                           ;   in Loop: Header=BB114_1110 Depth=2
	s_or_b32 exec_lo, exec_lo, s82
	v_add_nc_u32_e32 v2, s65, v32
	v_cmp_ne_u32_e32 vcc_lo, s34, v33
	s_wait_dscnt 0x0
	s_barrier_signal -1
	s_barrier_wait -1
	v_cmp_gt_i32_e64 s65, s83, v2
	v_lshl_add_u64 v[28:29], v[2:3], 2, v[24:25]
	v_cndmask_b32_e64 v82, 0, 1, vcc_lo
	s_and_b32 s82, s65, s0
	s_delay_alu instid0(SALU_CYCLE_1)
	s_and_saveexec_b32 s65, s82
	s_cbranch_execz .LBB114_1121
; %bb.1118:                             ;   in Loop: Header=BB114_1110 Depth=2
	v_mov_b32_e32 v83, v78
	s_and_not1_b32 vcc_lo, exec_lo, vcc_lo
	s_cbranch_vccnz .LBB114_1120
; %bb.1119:                             ;   in Loop: Header=BB114_1110 Depth=2
	flat_load_b32 v83, v[28:29]
.LBB114_1120:                           ;   in Loop: Header=BB114_1110 Depth=2
	ds_load_b32 v84, v66
	s_wait_loadcnt_dscnt 0x0
	v_fmac_f32_e32 v30, v83, v84
.LBB114_1121:                           ;   in Loop: Header=BB114_1110 Depth=2
	s_or_b32 exec_lo, exec_lo, s65
	v_add_nc_u32_e32 v83, 16, v2
	s_delay_alu instid0(VALU_DEP_1) | instskip(SKIP_1) | instid1(SALU_CYCLE_1)
	v_cmp_gt_i32_e32 vcc_lo, s83, v83
	s_and_b32 s82, vcc_lo, s0
	s_and_saveexec_b32 s65, s82
	s_cbranch_execz .LBB114_1125
; %bb.1122:                             ;   in Loop: Header=BB114_1110 Depth=2
	v_cmp_ne_u32_e32 vcc_lo, 1, v82
	v_mov_b32_e32 v83, v79
	s_cbranch_vccnz .LBB114_1124
; %bb.1123:                             ;   in Loop: Header=BB114_1110 Depth=2
	flat_load_b32 v83, v[28:29] offset:64
.LBB114_1124:                           ;   in Loop: Header=BB114_1110 Depth=2
	ds_load_b32 v84, v66 offset:64
	s_wait_loadcnt_dscnt 0x0
	v_fmac_f32_e32 v30, v83, v84
.LBB114_1125:                           ;   in Loop: Header=BB114_1110 Depth=2
	s_or_b32 exec_lo, exec_lo, s65
	v_add_nc_u32_e32 v83, 32, v2
	s_delay_alu instid0(VALU_DEP_1) | instskip(SKIP_1) | instid1(SALU_CYCLE_1)
	v_cmp_gt_i32_e32 vcc_lo, s83, v83
	s_and_b32 s82, vcc_lo, s0
	s_and_saveexec_b32 s65, s82
	s_cbranch_execz .LBB114_1129
; %bb.1126:                             ;   in Loop: Header=BB114_1110 Depth=2
	v_cmp_ne_u32_e32 vcc_lo, 1, v82
	v_mov_b32_e32 v83, v80
	s_cbranch_vccnz .LBB114_1128
; %bb.1127:                             ;   in Loop: Header=BB114_1110 Depth=2
	flat_load_b32 v83, v[28:29] offset:128
.LBB114_1128:                           ;   in Loop: Header=BB114_1110 Depth=2
	ds_load_b32 v84, v66 offset:128
	s_wait_loadcnt_dscnt 0x0
	v_fmac_f32_e32 v30, v83, v84
.LBB114_1129:                           ;   in Loop: Header=BB114_1110 Depth=2
	s_or_b32 exec_lo, exec_lo, s65
	v_add_nc_u32_e32 v2, 48, v2
	s_delay_alu instid0(VALU_DEP_1) | instskip(SKIP_1) | instid1(SALU_CYCLE_1)
	v_cmp_gt_i32_e32 vcc_lo, s83, v2
	s_and_b32 s82, vcc_lo, s0
	s_and_saveexec_b32 s65, s82
	s_cbranch_execz .LBB114_1109
; %bb.1130:                             ;   in Loop: Header=BB114_1110 Depth=2
	v_cmp_ne_u32_e32 vcc_lo, 1, v82
	v_mov_b32_e32 v2, v81
	s_cbranch_vccnz .LBB114_1108
; %bb.1131:                             ;   in Loop: Header=BB114_1110 Depth=2
	flat_load_b32 v2, v[28:29] offset:192
	s_branch .LBB114_1108
.LBB114_1132:                           ;   in Loop: Header=BB114_3 Depth=1
	ds_store_b32 v68, v30
	s_wait_dscnt 0x0
	s_barrier_signal -1
	s_barrier_wait -1
	s_and_saveexec_b32 s34, s3
	s_cbranch_execz .LBB114_1134
; %bb.1133:                             ;   in Loop: Header=BB114_3 Depth=1
	ds_load_2addr_stride64_b32 v[24:25], v69 offset0:1 offset1:2
	ds_load_2addr_stride64_b32 v[28:29], v69 offset0:3 offset1:4
	;; [unrolled: 1-line block ×4, first 2 shown]
	v_readlane_b32 s65, v87, 1
	s_wait_dscnt 0x3
	v_add_f32_e32 v2, v30, v24
	s_delay_alu instid0(VALU_DEP_1) | instskip(SKIP_3) | instid1(VALU_DEP_1)
	v_add_f32_e32 v2, v2, v25
	ds_load_2addr_stride64_b32 v[24:25], v69 offset0:9 offset1:10
	s_wait_dscnt 0x3
	v_add_f32_e32 v2, v2, v28
	v_add_f32_e32 v2, v2, v29
	ds_load_2addr_stride64_b32 v[28:29], v69 offset0:11 offset1:12
	s_wait_dscnt 0x3
	v_add_f32_e32 v2, v2, v82
	ds_load_2addr_stride64_b32 v[30:31], v69 offset0:13 offset1:14
	ds_load_b32 v82, v69 offset:3840
	v_add_f32_e32 v2, v2, v83
	s_wait_dscnt 0x4
	s_delay_alu instid0(VALU_DEP_1) | instskip(NEXT) | instid1(VALU_DEP_1)
	v_add_f32_e32 v2, v2, v84
	v_add_f32_e32 v2, v2, v85
	s_wait_dscnt 0x3
	s_delay_alu instid0(VALU_DEP_1) | instskip(NEXT) | instid1(VALU_DEP_1)
	v_add_f32_e32 v2, v2, v24
	v_add_f32_e32 v2, v2, v25
	s_wait_dscnt 0x2
	s_delay_alu instid0(VALU_DEP_1) | instskip(NEXT) | instid1(VALU_DEP_1)
	v_add_f32_e32 v2, v2, v28
	v_add_f32_e32 v2, v2, v29
	s_wait_dscnt 0x1
	s_delay_alu instid0(VALU_DEP_1) | instskip(NEXT) | instid1(VALU_DEP_1)
	v_add_f32_e32 v2, v2, v30
	v_add_f32_e32 v2, v2, v31
	s_wait_dscnt 0x0
	s_delay_alu instid0(VALU_DEP_1) | instskip(NEXT) | instid1(VALU_DEP_1)
	v_add_f32_e32 v2, v2, v82
	v_cndmask_b32_e64 v30, -v2, 0, s65
.LBB114_1134:                           ;   in Loop: Header=BB114_3 Depth=1
	s_or_b32 exec_lo, exec_lo, s34
	s_delay_alu instid0(SALU_CYCLE_1)
	s_and_not1_b32 vcc_lo, exec_lo, s88
	s_cbranch_vccnz .LBB114_1144
; %bb.1135:                             ;   in Loop: Header=BB114_3 Depth=1
	s_and_saveexec_b32 s34, s3
; %bb.1136:                             ;   in Loop: Header=BB114_3 Depth=1
	ds_store_b32 v71, v30
; %bb.1137:                             ;   in Loop: Header=BB114_3 Depth=1
	s_or_b32 exec_lo, exec_lo, s34
	v_mov_b32_e32 v2, 0
	s_wait_dscnt 0x0
	s_barrier_signal -1
	s_barrier_wait -1
	s_and_saveexec_b32 s34, s1
	s_cbranch_execnz .LBB114_1199
; %bb.1138:                             ;   in Loop: Header=BB114_3 Depth=1
	s_or_b32 exec_lo, exec_lo, s34
	s_and_saveexec_b32 s34, s8
	s_cbranch_execnz .LBB114_1200
.LBB114_1139:                           ;   in Loop: Header=BB114_3 Depth=1
	s_or_b32 exec_lo, exec_lo, s34
	s_and_saveexec_b32 s34, s9
	s_cbranch_execnz .LBB114_1201
.LBB114_1140:                           ;   in Loop: Header=BB114_3 Depth=1
	s_or_b32 exec_lo, exec_lo, s34
	s_and_saveexec_b32 s34, s10
	s_cbranch_execz .LBB114_1142
.LBB114_1141:                           ;   in Loop: Header=BB114_3 Depth=1
	ds_load_b32 v24, v70 offset:12288
	ds_load_b32 v25, v66 offset:192
	s_wait_dscnt 0x0
	v_fmac_f32_e32 v2, v24, v25
.LBB114_1142:                           ;   in Loop: Header=BB114_3 Depth=1
	s_or_b32 exec_lo, exec_lo, s34
	s_mov_b32 s34, 0
	s_mov_b32 s65, 0
	ds_store_b32 v68, v2
	s_wait_dscnt 0x0
	s_barrier_signal -1
	s_barrier_wait -1
                                        ; implicit-def: $vgpr24
	s_and_saveexec_b32 s80, s3
	s_cbranch_execz .LBB114_1202
; %bb.1143:                             ;   in Loop: Header=BB114_3 Depth=1
	ds_load_2addr_stride64_b32 v[24:25], v69 offset0:1 offset1:2
	ds_load_2addr_stride64_b32 v[28:29], v69 offset0:3 offset1:4
	;; [unrolled: 1-line block ×4, first 2 shown]
	s_mov_b32 s65, exec_lo
	s_wait_dscnt 0x3
	v_add_f32_e32 v2, v2, v24
	s_delay_alu instid0(VALU_DEP_1) | instskip(SKIP_3) | instid1(VALU_DEP_1)
	v_add_f32_e32 v2, v25, v2
	ds_load_2addr_stride64_b32 v[24:25], v69 offset0:9 offset1:10
	s_wait_dscnt 0x3
	v_add_f32_e32 v2, v28, v2
	v_add_f32_e32 v2, v29, v2
	ds_load_2addr_stride64_b32 v[28:29], v69 offset0:11 offset1:12
	s_wait_dscnt 0x3
	v_add_f32_e32 v2, v82, v2
	s_delay_alu instid0(VALU_DEP_1) | instskip(SKIP_4) | instid1(VALU_DEP_1)
	v_add_f32_e32 v2, v83, v2
	ds_load_2addr_stride64_b32 v[82:83], v69 offset0:13 offset1:14
	ds_load_b32 v31, v69 offset:3840
	s_wait_dscnt 0x4
	v_add_f32_e32 v2, v84, v2
	v_add_f32_e32 v2, v85, v2
	s_wait_dscnt 0x3
	s_delay_alu instid0(VALU_DEP_1) | instskip(NEXT) | instid1(VALU_DEP_1)
	v_add_f32_e32 v2, v24, v2
	v_add_f32_e32 v2, v25, v2
	s_wait_dscnt 0x2
	s_delay_alu instid0(VALU_DEP_1) | instskip(NEXT) | instid1(VALU_DEP_1)
	;; [unrolled: 4-line block ×3, first 2 shown]
	v_add_f32_e32 v2, v82, v2
	v_add_f32_e32 v2, v83, v2
	s_wait_dscnt 0x0
	s_delay_alu instid0(VALU_DEP_1) | instskip(SKIP_1) | instid1(SALU_CYCLE_1)
	v_add_f32_e32 v24, v31, v2
	s_or_b32 exec_lo, exec_lo, s80
	s_and_b32 vcc_lo, exec_lo, s34
	s_cbranch_vccnz .LBB114_1145
	s_branch .LBB114_1203
.LBB114_1144:                           ;   in Loop: Header=BB114_3 Depth=1
	s_mov_b32 s65, 0
                                        ; implicit-def: $vgpr24
	s_cbranch_execz .LBB114_1203
.LBB114_1145:                           ;   in Loop: Header=BB114_3 Depth=1
	v_dual_mov_b32 v2, v4 :: v_dual_mov_b32 v24, v77
	s_mov_b32 s34, 0
	s_branch .LBB114_1147
.LBB114_1146:                           ;   in Loop: Header=BB114_1147 Depth=2
	s_or_b32 exec_lo, exec_lo, s80
	v_add_nc_u32_e32 v24, 0x400, v24
	v_add_nc_u32_e32 v2, -4, v2
	s_add_co_i32 s34, s34, 4
	s_delay_alu instid0(SALU_CYCLE_1)
	s_cmp_lg_u32 s34, 64
	s_barrier_signal -1
	s_barrier_wait -1
	s_cbranch_scc0 .LBB114_1163
.LBB114_1147:                           ;   Parent Loop BB114_3 Depth=1
                                        ; =>  This Inner Loop Header: Depth=2
	s_delay_alu instid0(VALU_DEP_1) | instskip(SKIP_2) | instid1(SALU_CYCLE_1)
	v_cmp_eq_u32_e32 vcc_lo, 0, v2
	v_add_nc_u32_e32 v25, v62, v36
	s_and_b32 s81, s3, vcc_lo
	s_and_saveexec_b32 s80, s81
	s_cbranch_execz .LBB114_1149
; %bb.1148:                             ;   in Loop: Header=BB114_1147 Depth=2
	ds_load_b32 v28, v25
	s_wait_dscnt 0x0
	v_mul_f32_e32 v30, v30, v28
	ds_store_b32 v3, v30 offset:20736
.LBB114_1149:                           ;   in Loop: Header=BB114_1147 Depth=2
	s_or_b32 exec_lo, exec_lo, s80
	v_cmp_lt_u32_e32 vcc_lo, s34, v4
	s_wait_dscnt 0x0
	s_barrier_signal -1
	s_barrier_wait -1
	s_and_b32 s81, s3, vcc_lo
	s_delay_alu instid0(SALU_CYCLE_1)
	s_and_saveexec_b32 s80, s81
	s_cbranch_execz .LBB114_1151
; %bb.1150:                             ;   in Loop: Header=BB114_1147 Depth=2
	ds_load_b32 v28, v24
	ds_load_b32 v29, v3 offset:20736
	s_wait_dscnt 0x0
	v_fmac_f32_e32 v30, v28, v29
.LBB114_1151:                           ;   in Loop: Header=BB114_1147 Depth=2
	s_or_b32 exec_lo, exec_lo, s80
	s_or_b32 s80, s34, 1
	s_delay_alu instid0(SALU_CYCLE_1) | instskip(SKIP_3) | instid1(SALU_CYCLE_1)
	v_cmp_eq_u32_e32 vcc_lo, s80, v4
	s_barrier_signal -1
	s_barrier_wait -1
	s_and_b32 s82, s3, vcc_lo
	s_and_saveexec_b32 s81, s82
	s_cbranch_execz .LBB114_1153
; %bb.1152:                             ;   in Loop: Header=BB114_1147 Depth=2
	ds_load_b32 v28, v25
	s_wait_dscnt 0x0
	v_mul_f32_e32 v30, v30, v28
	ds_store_b32 v3, v30 offset:20736
.LBB114_1153:                           ;   in Loop: Header=BB114_1147 Depth=2
	s_or_b32 exec_lo, exec_lo, s81
	v_cmp_lt_u32_e32 vcc_lo, s80, v4
	s_wait_dscnt 0x0
	s_barrier_signal -1
	s_barrier_wait -1
	s_and_b32 s81, s3, vcc_lo
	s_delay_alu instid0(SALU_CYCLE_1)
	s_and_saveexec_b32 s80, s81
	s_cbranch_execz .LBB114_1155
; %bb.1154:                             ;   in Loop: Header=BB114_1147 Depth=2
	ds_load_b32 v28, v24 offset:256
	ds_load_b32 v29, v3 offset:20736
	s_wait_dscnt 0x0
	v_fmac_f32_e32 v30, v28, v29
.LBB114_1155:                           ;   in Loop: Header=BB114_1147 Depth=2
	s_or_b32 exec_lo, exec_lo, s80
	s_or_b32 s80, s34, 2
	s_delay_alu instid0(SALU_CYCLE_1) | instskip(SKIP_3) | instid1(SALU_CYCLE_1)
	v_cmp_eq_u32_e32 vcc_lo, s80, v4
	s_barrier_signal -1
	s_barrier_wait -1
	s_and_b32 s82, s3, vcc_lo
	s_and_saveexec_b32 s81, s82
	s_cbranch_execz .LBB114_1157
; %bb.1156:                             ;   in Loop: Header=BB114_1147 Depth=2
	ds_load_b32 v28, v25
	s_wait_dscnt 0x0
	v_mul_f32_e32 v30, v30, v28
	ds_store_b32 v3, v30 offset:20736
.LBB114_1157:                           ;   in Loop: Header=BB114_1147 Depth=2
	s_or_b32 exec_lo, exec_lo, s81
	v_cmp_lt_u32_e32 vcc_lo, s80, v4
	s_wait_dscnt 0x0
	s_barrier_signal -1
	s_barrier_wait -1
	s_and_b32 s81, s3, vcc_lo
	s_delay_alu instid0(SALU_CYCLE_1)
	s_and_saveexec_b32 s80, s81
	s_cbranch_execz .LBB114_1159
; %bb.1158:                             ;   in Loop: Header=BB114_1147 Depth=2
	ds_load_b32 v28, v24 offset:512
	ds_load_b32 v29, v3 offset:20736
	s_wait_dscnt 0x0
	v_fmac_f32_e32 v30, v28, v29
.LBB114_1159:                           ;   in Loop: Header=BB114_1147 Depth=2
	s_or_b32 exec_lo, exec_lo, s80
	s_or_b32 s80, s34, 3
	s_delay_alu instid0(SALU_CYCLE_1) | instskip(SKIP_3) | instid1(SALU_CYCLE_1)
	v_cmp_eq_u32_e32 vcc_lo, s80, v4
	s_barrier_signal -1
	s_barrier_wait -1
	s_and_b32 s82, s3, vcc_lo
	s_and_saveexec_b32 s81, s82
	s_cbranch_execz .LBB114_1161
; %bb.1160:                             ;   in Loop: Header=BB114_1147 Depth=2
	ds_load_b32 v25, v25
	s_wait_dscnt 0x0
	v_mul_f32_e32 v30, v30, v25
	ds_store_b32 v3, v30 offset:20736
.LBB114_1161:                           ;   in Loop: Header=BB114_1147 Depth=2
	s_or_b32 exec_lo, exec_lo, s81
	v_cmp_lt_u32_e32 vcc_lo, s80, v4
	s_wait_dscnt 0x0
	s_barrier_signal -1
	s_barrier_wait -1
	s_and_b32 s81, s3, vcc_lo
	s_delay_alu instid0(SALU_CYCLE_1)
	s_and_saveexec_b32 s80, s81
	s_cbranch_execz .LBB114_1146
; %bb.1162:                             ;   in Loop: Header=BB114_1147 Depth=2
	ds_load_b32 v25, v24 offset:768
	ds_load_b32 v28, v3 offset:20736
	s_wait_dscnt 0x0
	v_fmac_f32_e32 v30, v25, v28
	s_branch .LBB114_1146
.LBB114_1163:                           ;   in Loop: Header=BB114_3 Depth=1
	s_and_b32 vcc_lo, exec_lo, s86
	s_mov_b32 s34, -1
	s_cbranch_vccz .LBB114_1165
; %bb.1164:                             ;   in Loop: Header=BB114_3 Depth=1
	s_and_not1_b32 s65, s65, exec_lo
	s_and_b32 s80, s3, exec_lo
	s_mov_b32 s34, 0
	s_or_b32 s65, s65, s80
.LBB114_1165:                           ;   in Loop: Header=BB114_3 Depth=1
	s_and_not1_b32 vcc_lo, exec_lo, s34
	s_cbranch_vccnz .LBB114_1167
; %bb.1166:                             ;   in Loop: Header=BB114_3 Depth=1
	s_and_not1_b32 s34, s65, exec_lo
	v_readlane_b32 s65, v87, 2
	s_and_b32 s65, s65, exec_lo
	s_delay_alu instid0(SALU_CYCLE_1)
	s_or_b32 s65, s34, s65
.LBB114_1167:                           ;   in Loop: Header=BB114_3 Depth=1
	v_mov_b64_e32 v[24:25], v[22:23]
	s_and_saveexec_b32 s34, s65
	s_cbranch_execnz .LBB114_1204
	s_branch .LBB114_1205
.LBB114_1168:                           ;   in Loop: Header=BB114_3 Depth=1
	s_mov_b32 s65, exec_lo
	v_readlane_b32 s80, v87, 11
	s_and_b32 s80, s65, s80
	s_delay_alu instid0(SALU_CYCLE_1)
	s_xor_b32 s65, s80, s65
	s_mov_b32 exec_lo, s80
	s_cbranch_execz .LBB114_1172
; %bb.1169:                             ;   in Loop: Header=BB114_3 Depth=1
	s_mov_b32 s80, exec_lo
	v_readlane_b32 s81, v86, 21
	s_and_b32 s81, s80, s81
	s_delay_alu instid0(SALU_CYCLE_1)
	s_mov_b32 exec_lo, s81
; %bb.1170:                             ;   in Loop: Header=BB114_3 Depth=1
	ds_store_b32 v72, v3
; %bb.1171:                             ;   in Loop: Header=BB114_3 Depth=1
	s_or_b32 exec_lo, exec_lo, s80
.LBB114_1172:                           ;   in Loop: Header=BB114_3 Depth=1
	s_and_not1_saveexec_b32 s65, s65
	s_cbranch_execz .LBB114_1174
; %bb.1173:                             ;   in Loop: Header=BB114_3 Depth=1
	v_lshl_add_u64 v[30:31], v[12:13], 2, v[28:29]
	flat_load_b32 v2, v[30:31]
	s_wait_loadcnt_dscnt 0x0
	v_div_scale_f32 v30, null, v2, v2, 1.0
	s_delay_alu instid0(VALU_DEP_1) | instskip(SKIP_1) | instid1(TRANS32_DEP_1)
	v_rcp_f32_e32 v31, v30
	v_nop
	v_fma_f32 v82, -v30, v31, 1.0
	s_delay_alu instid0(VALU_DEP_1) | instskip(SKIP_1) | instid1(VALU_DEP_1)
	v_fmac_f32_e32 v31, v82, v31
	v_div_scale_f32 v82, vcc_lo, 1.0, v2, 1.0
	v_mul_f32_e32 v83, v82, v31
	s_delay_alu instid0(VALU_DEP_1) | instskip(NEXT) | instid1(VALU_DEP_1)
	v_fma_f32 v84, -v30, v83, v82
	v_fmac_f32_e32 v83, v84, v31
	s_delay_alu instid0(VALU_DEP_1) | instskip(NEXT) | instid1(VALU_DEP_1)
	v_fma_f32 v30, -v30, v83, v82
	v_div_fmas_f32 v30, v30, v31, v83
	s_delay_alu instid0(VALU_DEP_1)
	v_div_fixup_f32 v2, v30, v2, 1.0
	ds_store_b32 v72, v2
.LBB114_1174:                           ;   in Loop: Header=BB114_3 Depth=1
	s_or_b32 exec_lo, exec_lo, s65
	s_and_not1_saveexec_b32 s34, s34
	s_cbranch_execz .LBB114_17
.LBB114_1175:                           ;   in Loop: Header=BB114_3 Depth=1
	v_lshl_add_u64 v[30:31], v[12:13], 2, v[28:29]
	flat_load_b32 v2, v[30:31]
	s_wait_loadcnt_dscnt 0x0
	v_xor_b32_e32 v2, 0x80000000, v2
	ds_store_b32 v72, v2
	s_or_b32 exec_lo, exec_lo, s34
	s_and_saveexec_b32 s34, s8
	s_delay_alu instid0(SALU_CYCLE_1)
	s_xor_b32 s34, exec_lo, s34
	s_cbranch_execz .LBB114_18
.LBB114_1176:                           ;   in Loop: Header=BB114_3 Depth=1
	s_mov_b32 s65, exec_lo
	v_readlane_b32 s80, v87, 13
	s_and_b32 s80, s65, s80
	s_delay_alu instid0(SALU_CYCLE_1)
	s_xor_b32 s65, s80, s65
	s_mov_b32 exec_lo, s80
	s_cbranch_execz .LBB114_1180
; %bb.1177:                             ;   in Loop: Header=BB114_3 Depth=1
	s_mov_b32 s80, exec_lo
	v_readlane_b32 s81, v86, 22
	s_and_b32 s81, s80, s81
	s_delay_alu instid0(SALU_CYCLE_1)
	s_mov_b32 exec_lo, s81
; %bb.1178:                             ;   in Loop: Header=BB114_3 Depth=1
	ds_store_b32 v73, v3
; %bb.1179:                             ;   in Loop: Header=BB114_3 Depth=1
	s_or_b32 exec_lo, exec_lo, s80
.LBB114_1180:                           ;   in Loop: Header=BB114_3 Depth=1
	s_and_not1_saveexec_b32 s65, s65
	s_cbranch_execz .LBB114_1182
; %bb.1181:                             ;   in Loop: Header=BB114_3 Depth=1
	v_lshl_add_u64 v[30:31], v[14:15], 2, v[28:29]
	flat_load_b32 v2, v[30:31]
	s_wait_loadcnt_dscnt 0x0
	v_div_scale_f32 v30, null, v2, v2, 1.0
	s_delay_alu instid0(VALU_DEP_1) | instskip(SKIP_1) | instid1(TRANS32_DEP_1)
	v_rcp_f32_e32 v31, v30
	v_nop
	v_fma_f32 v82, -v30, v31, 1.0
	s_delay_alu instid0(VALU_DEP_1) | instskip(SKIP_1) | instid1(VALU_DEP_1)
	v_fmac_f32_e32 v31, v82, v31
	v_div_scale_f32 v82, vcc_lo, 1.0, v2, 1.0
	v_mul_f32_e32 v83, v82, v31
	s_delay_alu instid0(VALU_DEP_1) | instskip(NEXT) | instid1(VALU_DEP_1)
	v_fma_f32 v84, -v30, v83, v82
	v_fmac_f32_e32 v83, v84, v31
	s_delay_alu instid0(VALU_DEP_1) | instskip(NEXT) | instid1(VALU_DEP_1)
	v_fma_f32 v30, -v30, v83, v82
	v_div_fmas_f32 v30, v30, v31, v83
	s_delay_alu instid0(VALU_DEP_1)
	v_div_fixup_f32 v2, v30, v2, 1.0
	ds_store_b32 v73, v2
.LBB114_1182:                           ;   in Loop: Header=BB114_3 Depth=1
	s_or_b32 exec_lo, exec_lo, s65
	s_and_not1_saveexec_b32 s34, s34
	s_cbranch_execz .LBB114_19
.LBB114_1183:                           ;   in Loop: Header=BB114_3 Depth=1
	v_lshl_add_u64 v[30:31], v[14:15], 2, v[28:29]
	flat_load_b32 v2, v[30:31]
	s_wait_loadcnt_dscnt 0x0
	v_xor_b32_e32 v2, 0x80000000, v2
	ds_store_b32 v73, v2
	s_or_b32 exec_lo, exec_lo, s34
	s_and_saveexec_b32 s34, s9
	s_delay_alu instid0(SALU_CYCLE_1)
	s_xor_b32 s34, exec_lo, s34
	s_cbranch_execz .LBB114_20
.LBB114_1184:                           ;   in Loop: Header=BB114_3 Depth=1
	s_mov_b32 s65, exec_lo
	v_readlane_b32 s80, v87, 15
	s_and_b32 s80, s65, s80
	s_delay_alu instid0(SALU_CYCLE_1)
	s_xor_b32 s65, s80, s65
	s_mov_b32 exec_lo, s80
	s_cbranch_execz .LBB114_1188
; %bb.1185:                             ;   in Loop: Header=BB114_3 Depth=1
	s_mov_b32 s80, exec_lo
	v_readlane_b32 s81, v86, 23
	s_and_b32 s81, s80, s81
	s_delay_alu instid0(SALU_CYCLE_1)
	s_mov_b32 exec_lo, s81
; %bb.1186:                             ;   in Loop: Header=BB114_3 Depth=1
	ds_store_b32 v74, v3
; %bb.1187:                             ;   in Loop: Header=BB114_3 Depth=1
	s_or_b32 exec_lo, exec_lo, s80
.LBB114_1188:                           ;   in Loop: Header=BB114_3 Depth=1
	s_and_not1_saveexec_b32 s65, s65
	s_cbranch_execz .LBB114_1190
; %bb.1189:                             ;   in Loop: Header=BB114_3 Depth=1
	v_lshl_add_u64 v[30:31], v[16:17], 2, v[28:29]
	flat_load_b32 v2, v[30:31]
	s_wait_loadcnt_dscnt 0x0
	v_div_scale_f32 v30, null, v2, v2, 1.0
	s_delay_alu instid0(VALU_DEP_1) | instskip(SKIP_1) | instid1(TRANS32_DEP_1)
	v_rcp_f32_e32 v31, v30
	v_nop
	v_fma_f32 v82, -v30, v31, 1.0
	s_delay_alu instid0(VALU_DEP_1) | instskip(SKIP_1) | instid1(VALU_DEP_1)
	v_fmac_f32_e32 v31, v82, v31
	v_div_scale_f32 v82, vcc_lo, 1.0, v2, 1.0
	v_mul_f32_e32 v83, v82, v31
	s_delay_alu instid0(VALU_DEP_1) | instskip(NEXT) | instid1(VALU_DEP_1)
	v_fma_f32 v84, -v30, v83, v82
	v_fmac_f32_e32 v83, v84, v31
	s_delay_alu instid0(VALU_DEP_1) | instskip(NEXT) | instid1(VALU_DEP_1)
	v_fma_f32 v30, -v30, v83, v82
	v_div_fmas_f32 v30, v30, v31, v83
	s_delay_alu instid0(VALU_DEP_1)
	v_div_fixup_f32 v2, v30, v2, 1.0
	ds_store_b32 v74, v2
.LBB114_1190:                           ;   in Loop: Header=BB114_3 Depth=1
	s_or_b32 exec_lo, exec_lo, s65
	s_and_not1_saveexec_b32 s34, s34
	s_cbranch_execz .LBB114_21
.LBB114_1191:                           ;   in Loop: Header=BB114_3 Depth=1
	v_lshl_add_u64 v[30:31], v[16:17], 2, v[28:29]
	flat_load_b32 v2, v[30:31]
	s_wait_loadcnt_dscnt 0x0
	v_xor_b32_e32 v2, 0x80000000, v2
	ds_store_b32 v74, v2
	s_or_b32 exec_lo, exec_lo, s34
	s_and_saveexec_b32 s34, s10
	s_delay_alu instid0(SALU_CYCLE_1)
	s_xor_b32 s34, exec_lo, s34
	s_cbranch_execz .LBB114_22
.LBB114_1192:                           ;   in Loop: Header=BB114_3 Depth=1
	s_mov_b32 s65, exec_lo
	v_readlane_b32 s80, v87, 17
	s_and_b32 s80, s65, s80
	s_delay_alu instid0(SALU_CYCLE_1)
	s_xor_b32 s65, s80, s65
	s_mov_b32 exec_lo, s80
	s_cbranch_execz .LBB114_1196
; %bb.1193:                             ;   in Loop: Header=BB114_3 Depth=1
	s_mov_b32 s80, exec_lo
	v_readlane_b32 s81, v86, 24
	s_and_b32 s81, s80, s81
	s_delay_alu instid0(SALU_CYCLE_1)
	s_mov_b32 exec_lo, s81
; %bb.1194:                             ;   in Loop: Header=BB114_3 Depth=1
	ds_store_b32 v75, v3
; %bb.1195:                             ;   in Loop: Header=BB114_3 Depth=1
	s_or_b32 exec_lo, exec_lo, s80
.LBB114_1196:                           ;   in Loop: Header=BB114_3 Depth=1
	s_and_not1_saveexec_b32 s65, s65
	s_cbranch_execz .LBB114_1198
; %bb.1197:                             ;   in Loop: Header=BB114_3 Depth=1
	v_lshl_add_u64 v[30:31], v[18:19], 2, v[28:29]
	flat_load_b32 v2, v[30:31]
	s_wait_loadcnt_dscnt 0x0
	v_div_scale_f32 v30, null, v2, v2, 1.0
	s_delay_alu instid0(VALU_DEP_1) | instskip(SKIP_1) | instid1(TRANS32_DEP_1)
	v_rcp_f32_e32 v31, v30
	v_nop
	v_fma_f32 v82, -v30, v31, 1.0
	s_delay_alu instid0(VALU_DEP_1) | instskip(SKIP_1) | instid1(VALU_DEP_1)
	v_fmac_f32_e32 v31, v82, v31
	v_div_scale_f32 v82, vcc_lo, 1.0, v2, 1.0
	v_mul_f32_e32 v83, v82, v31
	s_delay_alu instid0(VALU_DEP_1) | instskip(NEXT) | instid1(VALU_DEP_1)
	v_fma_f32 v84, -v30, v83, v82
	v_fmac_f32_e32 v83, v84, v31
	s_delay_alu instid0(VALU_DEP_1) | instskip(NEXT) | instid1(VALU_DEP_1)
	v_fma_f32 v30, -v30, v83, v82
	v_div_fmas_f32 v30, v30, v31, v83
	s_delay_alu instid0(VALU_DEP_1)
	v_div_fixup_f32 v2, v30, v2, 1.0
	ds_store_b32 v75, v2
.LBB114_1198:                           ;   in Loop: Header=BB114_3 Depth=1
	s_or_b32 exec_lo, exec_lo, s65
	s_and_not1_saveexec_b32 s34, s34
	s_cbranch_execnz .LBB114_23
	s_branch .LBB114_24
.LBB114_1199:                           ;   in Loop: Header=BB114_3 Depth=1
	ds_load_b32 v2, v70
	ds_load_b32 v24, v66
	s_wait_dscnt 0x0
	v_fma_f32 v2, v2, v24, 0
	s_or_b32 exec_lo, exec_lo, s34
	s_and_saveexec_b32 s34, s8
	s_cbranch_execz .LBB114_1139
.LBB114_1200:                           ;   in Loop: Header=BB114_3 Depth=1
	ds_load_b32 v24, v70 offset:4096
	ds_load_b32 v25, v66 offset:64
	s_wait_dscnt 0x0
	v_fmac_f32_e32 v2, v24, v25
	s_or_b32 exec_lo, exec_lo, s34
	s_and_saveexec_b32 s34, s9
	s_cbranch_execz .LBB114_1140
.LBB114_1201:                           ;   in Loop: Header=BB114_3 Depth=1
	ds_load_b32 v24, v70 offset:8192
	ds_load_b32 v25, v66 offset:128
	s_wait_dscnt 0x0
	v_fmac_f32_e32 v2, v24, v25
	s_or_b32 exec_lo, exec_lo, s34
	s_and_saveexec_b32 s34, s10
	s_cbranch_execnz .LBB114_1141
	s_branch .LBB114_1142
.LBB114_1202:                           ;   in Loop: Header=BB114_3 Depth=1
	s_or_b32 exec_lo, exec_lo, s80
	s_delay_alu instid0(SALU_CYCLE_1)
	s_and_b32 vcc_lo, exec_lo, s34
	s_cbranch_vccnz .LBB114_1145
.LBB114_1203:                           ;   in Loop: Header=BB114_3 Depth=1
	v_mov_b32_e32 v30, v24
	v_mov_b64_e32 v[24:25], v[20:21]
	s_and_saveexec_b32 s34, s65
	s_cbranch_execz .LBB114_1205
.LBB114_1204:                           ;   in Loop: Header=BB114_3 Depth=1
	s_delay_alu instid0(VALU_DEP_1)
	v_lshl_add_u64 v[24:25], v[24:25], 2, v[26:27]
	flat_store_b32 v[24:25], v30
.LBB114_1205:                           ;   in Loop: Header=BB114_3 Depth=1
	s_wait_xcnt 0x0
	s_or_b32 exec_lo, exec_lo, s34
	global_wb scope:SCOPE_DEV
	s_wait_storecnt_dscnt 0x0
	global_inv scope:SCOPE_DEV
	s_wait_loadcnt 0x0
	s_barrier_signal -1
	s_barrier_wait -1
	s_and_saveexec_b32 s34, s59
	s_cbranch_execz .LBB114_2
; %bb.1206:                             ;   in Loop: Header=BB114_3 Depth=1
	s_lshl_b64 s[80:81], s[66:67], 2
	s_delay_alu instid0(SALU_CYCLE_1)
	s_add_nc_u64 s[80:81], s[76:77], s[80:81]
	global_load_b32 v2, v3, s[80:81]
	s_wait_loadcnt 0x0
	v_add_nc_u32_e32 v2, 1, v2
	global_store_b32 v3, v2, s[80:81]
	s_branch .LBB114_2
.LBB114_1207:                           ;   in Loop: Header=BB114_3 Depth=1
	ds_load_b32 v28, v41 offset:15840
	ds_load_b32 v29, v40 offset:16372
	s_wait_dscnt 0x0
	v_fmac_f32_e32 v2, v28, v29
	s_or_b32 exec_lo, exec_lo, s65
	s_and_saveexec_b32 s65, s18
	s_cbranch_execz .LBB114_88
.LBB114_1208:                           ;   in Loop: Header=BB114_3 Depth=1
	ds_load_b32 v28, v41 offset:16096
	ds_load_b32 v29, v40 offset:16376
	s_wait_dscnt 0x0
	v_fmac_f32_e32 v2, v28, v29
	s_or_b32 exec_lo, exec_lo, s65
	s_and_saveexec_b32 s65, s2
	s_cbranch_execnz .LBB114_89
	s_branch .LBB114_90
.LBB114_1209:                           ;   in Loop: Header=BB114_3 Depth=1
	ds_load_b32 v28, v46 offset:14784
	ds_load_b32 v29, v45 offset:16356
	s_wait_dscnt 0x0
	v_fmac_f32_e32 v2, v28, v29
	s_or_b32 exec_lo, exec_lo, s65
	s_and_saveexec_b32 s65, s20
	s_cbranch_execz .LBB114_130
.LBB114_1210:                           ;   in Loop: Header=BB114_3 Depth=1
	ds_load_b32 v28, v46 offset:15040
	ds_load_b32 v29, v45 offset:16360
	s_wait_dscnt 0x0
	v_fmac_f32_e32 v2, v28, v29
	s_or_b32 exec_lo, exec_lo, s65
	s_and_saveexec_b32 s65, s21
	s_cbranch_execz .LBB114_131
.LBB114_1211:                           ;   in Loop: Header=BB114_3 Depth=1
	ds_load_b32 v28, v46 offset:15296
	ds_load_b32 v29, v45 offset:16364
	s_wait_dscnt 0x0
	v_fmac_f32_e32 v2, v28, v29
	s_or_b32 exec_lo, exec_lo, s65
	s_and_saveexec_b32 s65, s22
	s_cbranch_execz .LBB114_132
.LBB114_1212:                           ;   in Loop: Header=BB114_3 Depth=1
	ds_load_b32 v28, v46 offset:15552
	ds_load_b32 v29, v45 offset:16368
	s_wait_dscnt 0x0
	v_fmac_f32_e32 v2, v28, v29
	s_or_b32 exec_lo, exec_lo, s65
	s_and_saveexec_b32 s65, s23
	s_cbranch_execz .LBB114_133
.LBB114_1213:                           ;   in Loop: Header=BB114_3 Depth=1
	ds_load_b32 v28, v46 offset:15808
	ds_load_b32 v29, v45 offset:16372
	s_wait_dscnt 0x0
	v_fmac_f32_e32 v2, v28, v29
	s_or_b32 exec_lo, exec_lo, s65
	s_and_saveexec_b32 s65, s4
	s_cbranch_execz .LBB114_134
.LBB114_1214:                           ;   in Loop: Header=BB114_3 Depth=1
	ds_load_b32 v28, v46 offset:16064
	ds_load_b32 v29, v45 offset:16376
	s_wait_dscnt 0x0
	v_fmac_f32_e32 v2, v28, v29
	s_or_b32 exec_lo, exec_lo, s65
	s_and_saveexec_b32 s65, s18
	s_cbranch_execnz .LBB114_135
	s_branch .LBB114_136
.LBB114_1215:                           ;   in Loop: Header=BB114_3 Depth=1
	ds_load_b32 v28, v41 offset:13760
	ds_load_b32 v29, v40 offset:14292
	s_wait_dscnt 0x0
	v_fmac_f32_e32 v2, v28, v29
	s_or_b32 exec_lo, exec_lo, s65
	s_and_saveexec_b32 s65, s18
	s_cbranch_execz .LBB114_192
.LBB114_1216:                           ;   in Loop: Header=BB114_3 Depth=1
	ds_load_b32 v28, v41 offset:14016
	ds_load_b32 v29, v40 offset:14296
	s_wait_dscnt 0x0
	v_fmac_f32_e32 v2, v28, v29
	s_or_b32 exec_lo, exec_lo, s65
	s_and_saveexec_b32 s65, s2
	s_cbranch_execnz .LBB114_193
	s_branch .LBB114_194
.LBB114_1217:                           ;   in Loop: Header=BB114_3 Depth=1
	ds_load_b32 v28, v50 offset:15232
	ds_load_b32 v29, v49 offset:16364
	s_wait_dscnt 0x0
	v_fmac_f32_e32 v2, v28, v29
	s_or_b32 exec_lo, exec_lo, s34
	s_and_saveexec_b32 s34, s5
	s_cbranch_execz .LBB114_254
.LBB114_1218:                           ;   in Loop: Header=BB114_3 Depth=1
	ds_load_b32 v28, v50 offset:15488
	ds_load_b32 v29, v49 offset:16368
	s_wait_dscnt 0x0
	v_fmac_f32_e32 v2, v28, v29
	s_or_b32 exec_lo, exec_lo, s34
	s_and_saveexec_b32 s34, s20
	s_cbranch_execz .LBB114_255
.LBB114_1219:                           ;   in Loop: Header=BB114_3 Depth=1
	ds_load_b32 v28, v50 offset:15744
	ds_load_b32 v29, v49 offset:16372
	s_wait_dscnt 0x0
	v_fmac_f32_e32 v2, v28, v29
	s_or_b32 exec_lo, exec_lo, s34
	s_and_saveexec_b32 s34, s22
	s_cbranch_execz .LBB114_256
.LBB114_1220:                           ;   in Loop: Header=BB114_3 Depth=1
	ds_load_b32 v28, v50 offset:16000
	ds_load_b32 v29, v49 offset:16376
	s_wait_dscnt 0x0
	v_fmac_f32_e32 v2, v28, v29
	s_or_b32 exec_lo, exec_lo, s34
	s_and_saveexec_b32 s34, s4
	s_cbranch_execnz .LBB114_257
	s_branch .LBB114_258
.LBB114_1221:                           ;   in Loop: Header=BB114_3 Depth=1
	ds_load_b32 v28, v41 offset:11680
	ds_load_b32 v29, v40 offset:12212
	s_wait_dscnt 0x0
	v_fmac_f32_e32 v2, v28, v29
	s_or_b32 exec_lo, exec_lo, s65
	s_and_saveexec_b32 s65, s18
	s_cbranch_execz .LBB114_346
.LBB114_1222:                           ;   in Loop: Header=BB114_3 Depth=1
	ds_load_b32 v28, v41 offset:11936
	ds_load_b32 v29, v40 offset:12216
	s_wait_dscnt 0x0
	v_fmac_f32_e32 v2, v28, v29
	s_or_b32 exec_lo, exec_lo, s65
	s_and_saveexec_b32 s65, s2
	s_cbranch_execnz .LBB114_347
	s_branch .LBB114_348
.LBB114_1223:                           ;   in Loop: Header=BB114_3 Depth=1
	ds_load_b32 v28, v46 offset:10624
	ds_load_b32 v29, v45 offset:12196
	s_wait_dscnt 0x0
	v_fmac_f32_e32 v2, v28, v29
	s_or_b32 exec_lo, exec_lo, s65
	s_and_saveexec_b32 s65, s20
	s_cbranch_execz .LBB114_388
.LBB114_1224:                           ;   in Loop: Header=BB114_3 Depth=1
	ds_load_b32 v28, v46 offset:10880
	ds_load_b32 v29, v45 offset:12200
	s_wait_dscnt 0x0
	v_fmac_f32_e32 v2, v28, v29
	s_or_b32 exec_lo, exec_lo, s65
	s_and_saveexec_b32 s65, s21
	s_cbranch_execz .LBB114_389
.LBB114_1225:                           ;   in Loop: Header=BB114_3 Depth=1
	ds_load_b32 v28, v46 offset:11136
	ds_load_b32 v29, v45 offset:12204
	s_wait_dscnt 0x0
	v_fmac_f32_e32 v2, v28, v29
	s_or_b32 exec_lo, exec_lo, s65
	s_and_saveexec_b32 s65, s22
	s_cbranch_execz .LBB114_390
.LBB114_1226:                           ;   in Loop: Header=BB114_3 Depth=1
	ds_load_b32 v28, v46 offset:11392
	ds_load_b32 v29, v45 offset:12208
	s_wait_dscnt 0x0
	v_fmac_f32_e32 v2, v28, v29
	s_or_b32 exec_lo, exec_lo, s65
	s_and_saveexec_b32 s65, s23
	s_cbranch_execz .LBB114_391
.LBB114_1227:                           ;   in Loop: Header=BB114_3 Depth=1
	ds_load_b32 v28, v46 offset:11648
	ds_load_b32 v29, v45 offset:12212
	s_wait_dscnt 0x0
	v_fmac_f32_e32 v2, v28, v29
	s_or_b32 exec_lo, exec_lo, s65
	s_and_saveexec_b32 s65, s4
	s_cbranch_execz .LBB114_392
.LBB114_1228:                           ;   in Loop: Header=BB114_3 Depth=1
	ds_load_b32 v28, v46 offset:11904
	ds_load_b32 v29, v45 offset:12216
	s_wait_dscnt 0x0
	v_fmac_f32_e32 v2, v28, v29
	s_or_b32 exec_lo, exec_lo, s65
	s_and_saveexec_b32 s65, s18
	s_cbranch_execnz .LBB114_393
	s_branch .LBB114_394
.LBB114_1229:                           ;   in Loop: Header=BB114_3 Depth=1
	ds_load_b32 v28, v41 offset:9600
	ds_load_b32 v29, v40 offset:10132
	s_wait_dscnt 0x0
	v_fmac_f32_e32 v2, v28, v29
	s_or_b32 exec_lo, exec_lo, s65
	s_and_saveexec_b32 s65, s18
	s_cbranch_execz .LBB114_450
.LBB114_1230:                           ;   in Loop: Header=BB114_3 Depth=1
	ds_load_b32 v28, v41 offset:9856
	ds_load_b32 v29, v40 offset:10136
	s_wait_dscnt 0x0
	v_fmac_f32_e32 v2, v28, v29
	s_or_b32 exec_lo, exec_lo, s65
	s_and_saveexec_b32 s65, s2
	s_cbranch_execnz .LBB114_451
	s_branch .LBB114_452
.LBB114_1231:                           ;   in Loop: Header=BB114_3 Depth=1
	ds_load_b32 v28, v64 offset:15616
	ds_load_b32 v29, v63 offset:16372
	s_wait_dscnt 0x0
	v_fmac_f32_e32 v2, v28, v29
	s_or_b32 exec_lo, exec_lo, s34
	s_and_saveexec_b32 s34, s5
	s_cbranch_execz .LBB114_548
.LBB114_1232:                           ;   in Loop: Header=BB114_3 Depth=1
	ds_load_b32 v28, v64 offset:15872
	ds_load_b32 v29, v63 offset:16376
	s_wait_dscnt 0x0
	v_fmac_f32_e32 v2, v28, v29
	s_or_b32 exec_lo, exec_lo, s34
	s_and_saveexec_b32 s34, s22
	s_cbranch_execnz .LBB114_549
	s_branch .LBB114_550
.LBB114_1233:                           ;   in Loop: Header=BB114_3 Depth=1
	ds_load_b32 v28, v41 offset:7520
	ds_load_b32 v29, v40 offset:8052
	s_wait_dscnt 0x0
	v_fmac_f32_e32 v2, v28, v29
	s_or_b32 exec_lo, exec_lo, s65
	s_and_saveexec_b32 s65, s18
	s_cbranch_execz .LBB114_702
.LBB114_1234:                           ;   in Loop: Header=BB114_3 Depth=1
	ds_load_b32 v28, v41 offset:7776
	ds_load_b32 v29, v40 offset:8056
	s_wait_dscnt 0x0
	v_fmac_f32_e32 v2, v28, v29
	s_or_b32 exec_lo, exec_lo, s65
	s_and_saveexec_b32 s65, s2
	s_cbranch_execnz .LBB114_703
	s_branch .LBB114_704
.LBB114_1235:                           ;   in Loop: Header=BB114_3 Depth=1
	ds_load_b32 v28, v46 offset:6464
	ds_load_b32 v29, v45 offset:8036
	s_wait_dscnt 0x0
	v_fmac_f32_e32 v2, v28, v29
	s_or_b32 exec_lo, exec_lo, s65
	s_and_saveexec_b32 s65, s20
	s_cbranch_execz .LBB114_744
.LBB114_1236:                           ;   in Loop: Header=BB114_3 Depth=1
	ds_load_b32 v28, v46 offset:6720
	ds_load_b32 v29, v45 offset:8040
	s_wait_dscnt 0x0
	v_fmac_f32_e32 v2, v28, v29
	s_or_b32 exec_lo, exec_lo, s65
	s_and_saveexec_b32 s65, s21
	s_cbranch_execz .LBB114_745
.LBB114_1237:                           ;   in Loop: Header=BB114_3 Depth=1
	ds_load_b32 v28, v46 offset:6976
	ds_load_b32 v29, v45 offset:8044
	s_wait_dscnt 0x0
	v_fmac_f32_e32 v2, v28, v29
	s_or_b32 exec_lo, exec_lo, s65
	s_and_saveexec_b32 s65, s22
	s_cbranch_execz .LBB114_746
.LBB114_1238:                           ;   in Loop: Header=BB114_3 Depth=1
	ds_load_b32 v28, v46 offset:7232
	ds_load_b32 v29, v45 offset:8048
	s_wait_dscnt 0x0
	v_fmac_f32_e32 v2, v28, v29
	s_or_b32 exec_lo, exec_lo, s65
	s_and_saveexec_b32 s65, s23
	s_cbranch_execz .LBB114_747
.LBB114_1239:                           ;   in Loop: Header=BB114_3 Depth=1
	ds_load_b32 v28, v46 offset:7488
	ds_load_b32 v29, v45 offset:8052
	s_wait_dscnt 0x0
	v_fmac_f32_e32 v2, v28, v29
	s_or_b32 exec_lo, exec_lo, s65
	s_and_saveexec_b32 s65, s4
	s_cbranch_execz .LBB114_748
.LBB114_1240:                           ;   in Loop: Header=BB114_3 Depth=1
	ds_load_b32 v28, v46 offset:7744
	ds_load_b32 v29, v45 offset:8056
	s_wait_dscnt 0x0
	v_fmac_f32_e32 v2, v28, v29
	s_or_b32 exec_lo, exec_lo, s65
	s_and_saveexec_b32 s65, s18
	s_cbranch_execnz .LBB114_749
	s_branch .LBB114_750
.LBB114_1241:                           ;   in Loop: Header=BB114_3 Depth=1
	ds_load_b32 v28, v41 offset:5440
	ds_load_b32 v29, v40 offset:5972
	s_wait_dscnt 0x0
	v_fmac_f32_e32 v2, v28, v29
	s_or_b32 exec_lo, exec_lo, s65
	s_and_saveexec_b32 s65, s18
	s_cbranch_execz .LBB114_806
.LBB114_1242:                           ;   in Loop: Header=BB114_3 Depth=1
	ds_load_b32 v28, v41 offset:5696
	ds_load_b32 v29, v40 offset:5976
	s_wait_dscnt 0x0
	v_fmac_f32_e32 v2, v28, v29
	s_or_b32 exec_lo, exec_lo, s65
	s_and_saveexec_b32 s65, s2
	s_cbranch_execnz .LBB114_807
	s_branch .LBB114_808
.LBB114_1243:                           ;   in Loop: Header=BB114_3 Depth=1
	ds_load_b32 v28, v50 offset:6912
	ds_load_b32 v29, v49 offset:8044
	s_wait_dscnt 0x0
	v_fmac_f32_e32 v2, v28, v29
	s_or_b32 exec_lo, exec_lo, s34
	s_and_saveexec_b32 s34, s5
	s_cbranch_execz .LBB114_868
.LBB114_1244:                           ;   in Loop: Header=BB114_3 Depth=1
	ds_load_b32 v28, v50 offset:7168
	ds_load_b32 v29, v49 offset:8048
	s_wait_dscnt 0x0
	v_fmac_f32_e32 v2, v28, v29
	s_or_b32 exec_lo, exec_lo, s34
	s_and_saveexec_b32 s34, s20
	s_cbranch_execz .LBB114_869
.LBB114_1245:                           ;   in Loop: Header=BB114_3 Depth=1
	ds_load_b32 v28, v50 offset:7424
	ds_load_b32 v29, v49 offset:8052
	s_wait_dscnt 0x0
	v_fmac_f32_e32 v2, v28, v29
	s_or_b32 exec_lo, exec_lo, s34
	s_and_saveexec_b32 s34, s22
	s_cbranch_execz .LBB114_870
.LBB114_1246:                           ;   in Loop: Header=BB114_3 Depth=1
	ds_load_b32 v28, v50 offset:7680
	ds_load_b32 v29, v49 offset:8056
	s_wait_dscnt 0x0
	v_fmac_f32_e32 v2, v28, v29
	s_or_b32 exec_lo, exec_lo, s34
	s_and_saveexec_b32 s34, s4
	s_cbranch_execnz .LBB114_871
	s_branch .LBB114_872
.LBB114_1247:                           ;   in Loop: Header=BB114_3 Depth=1
	ds_load_b32 v28, v41 offset:3360
	ds_load_b32 v29, v40 offset:3892
	s_wait_dscnt 0x0
	v_fmac_f32_e32 v2, v28, v29
	s_or_b32 exec_lo, exec_lo, s65
	s_and_saveexec_b32 s65, s18
	s_cbranch_execz .LBB114_960
.LBB114_1248:                           ;   in Loop: Header=BB114_3 Depth=1
	ds_load_b32 v28, v41 offset:3616
	ds_load_b32 v29, v40 offset:3896
	s_wait_dscnt 0x0
	v_fmac_f32_e32 v2, v28, v29
	s_or_b32 exec_lo, exec_lo, s65
	s_and_saveexec_b32 s65, s2
	s_cbranch_execnz .LBB114_961
	s_branch .LBB114_962
.LBB114_1249:                           ;   in Loop: Header=BB114_3 Depth=1
	ds_load_b32 v28, v46 offset:2304
	ds_load_b32 v29, v45 offset:3876
	s_wait_dscnt 0x0
	v_fmac_f32_e32 v2, v28, v29
	s_or_b32 exec_lo, exec_lo, s65
	s_and_saveexec_b32 s65, s20
	s_cbranch_execz .LBB114_1002
.LBB114_1250:                           ;   in Loop: Header=BB114_3 Depth=1
	ds_load_b32 v28, v46 offset:2560
	ds_load_b32 v29, v45 offset:3880
	s_wait_dscnt 0x0
	v_fmac_f32_e32 v2, v28, v29
	s_or_b32 exec_lo, exec_lo, s65
	s_and_saveexec_b32 s65, s21
	s_cbranch_execz .LBB114_1003
.LBB114_1251:                           ;   in Loop: Header=BB114_3 Depth=1
	ds_load_b32 v28, v46 offset:2816
	ds_load_b32 v29, v45 offset:3884
	s_wait_dscnt 0x0
	v_fmac_f32_e32 v2, v28, v29
	s_or_b32 exec_lo, exec_lo, s65
	s_and_saveexec_b32 s65, s22
	s_cbranch_execz .LBB114_1004
.LBB114_1252:                           ;   in Loop: Header=BB114_3 Depth=1
	ds_load_b32 v28, v46 offset:3072
	ds_load_b32 v29, v45 offset:3888
	s_wait_dscnt 0x0
	v_fmac_f32_e32 v2, v28, v29
	s_or_b32 exec_lo, exec_lo, s65
	s_and_saveexec_b32 s65, s23
	s_cbranch_execz .LBB114_1005
.LBB114_1253:                           ;   in Loop: Header=BB114_3 Depth=1
	ds_load_b32 v28, v46 offset:3328
	ds_load_b32 v29, v45 offset:3892
	s_wait_dscnt 0x0
	v_fmac_f32_e32 v2, v28, v29
	s_or_b32 exec_lo, exec_lo, s65
	s_and_saveexec_b32 s65, s4
	s_cbranch_execz .LBB114_1006
.LBB114_1254:                           ;   in Loop: Header=BB114_3 Depth=1
	ds_load_b32 v28, v46 offset:3584
	ds_load_b32 v29, v45 offset:3896
	s_wait_dscnt 0x0
	v_fmac_f32_e32 v2, v28, v29
	s_or_b32 exec_lo, exec_lo, s65
	s_and_saveexec_b32 s65, s18
	s_cbranch_execnz .LBB114_1007
	s_branch .LBB114_1008
.LBB114_1255:                           ;   in Loop: Header=BB114_3 Depth=1
	ds_load_b32 v28, v41 offset:1280
	ds_load_b32 v29, v40 offset:1812
	s_wait_dscnt 0x0
	v_fmac_f32_e32 v2, v28, v29
	s_or_b32 exec_lo, exec_lo, s65
	s_and_saveexec_b32 s65, s18
	s_cbranch_execz .LBB114_1064
.LBB114_1256:                           ;   in Loop: Header=BB114_3 Depth=1
	ds_load_b32 v28, v41 offset:1536
	ds_load_b32 v29, v40 offset:1816
	s_wait_dscnt 0x0
	v_fmac_f32_e32 v2, v28, v29
	s_or_b32 exec_lo, exec_lo, s65
	s_and_saveexec_b32 s65, s2
	s_cbranch_execnz .LBB114_1065
	s_branch .LBB114_1066
.LBB114_1257:
	s_endpgm
	.section	.rodata,"a",@progbits
	.p2align	6, 0x0
	.amdhsa_kernel _ZL19rocblas_trsv_deviceILi64ELi16ELb0ELb1ELb1ELb0EffPKPKfPKPfEviT7_lllT6_T8_lllPii
		.amdhsa_group_segment_fixed_size 20740
		.amdhsa_private_segment_fixed_size 0
		.amdhsa_kernarg_size 352
		.amdhsa_user_sgpr_count 2
		.amdhsa_user_sgpr_dispatch_ptr 0
		.amdhsa_user_sgpr_queue_ptr 0
		.amdhsa_user_sgpr_kernarg_segment_ptr 1
		.amdhsa_user_sgpr_dispatch_id 0
		.amdhsa_user_sgpr_kernarg_preload_length 0
		.amdhsa_user_sgpr_kernarg_preload_offset 0
		.amdhsa_user_sgpr_private_segment_size 0
		.amdhsa_wavefront_size32 1
		.amdhsa_uses_dynamic_stack 0
		.amdhsa_enable_private_segment 0
		.amdhsa_system_sgpr_workgroup_id_x 1
		.amdhsa_system_sgpr_workgroup_id_y 0
		.amdhsa_system_sgpr_workgroup_id_z 1
		.amdhsa_system_sgpr_workgroup_info 0
		.amdhsa_system_vgpr_workitem_id 1
		.amdhsa_next_free_vgpr 90
		.amdhsa_next_free_sgpr 105
		.amdhsa_named_barrier_count 0
		.amdhsa_reserve_vcc 1
		.amdhsa_float_round_mode_32 0
		.amdhsa_float_round_mode_16_64 0
		.amdhsa_float_denorm_mode_32 3
		.amdhsa_float_denorm_mode_16_64 3
		.amdhsa_fp16_overflow 0
		.amdhsa_memory_ordered 1
		.amdhsa_forward_progress 1
		.amdhsa_inst_pref_size 255
		.amdhsa_round_robin_scheduling 0
		.amdhsa_exception_fp_ieee_invalid_op 0
		.amdhsa_exception_fp_denorm_src 0
		.amdhsa_exception_fp_ieee_div_zero 0
		.amdhsa_exception_fp_ieee_overflow 0
		.amdhsa_exception_fp_ieee_underflow 0
		.amdhsa_exception_fp_ieee_inexact 0
		.amdhsa_exception_int_div_zero 0
	.end_amdhsa_kernel
	.section	.text._ZL19rocblas_trsv_deviceILi64ELi16ELb0ELb1ELb1ELb0EffPKPKfPKPfEviT7_lllT6_T8_lllPii,"axG",@progbits,_ZL19rocblas_trsv_deviceILi64ELi16ELb0ELb1ELb1ELb0EffPKPKfPKPfEviT7_lllT6_T8_lllPii,comdat
.Lfunc_end114:
	.size	_ZL19rocblas_trsv_deviceILi64ELi16ELb0ELb1ELb1ELb0EffPKPKfPKPfEviT7_lllT6_T8_lllPii, .Lfunc_end114-_ZL19rocblas_trsv_deviceILi64ELi16ELb0ELb1ELb1ELb0EffPKPKfPKPfEviT7_lllT6_T8_lllPii
                                        ; -- End function
	.set _ZL19rocblas_trsv_deviceILi64ELi16ELb0ELb1ELb1ELb0EffPKPKfPKPfEviT7_lllT6_T8_lllPii.num_vgpr, 90
	.set _ZL19rocblas_trsv_deviceILi64ELi16ELb0ELb1ELb1ELb0EffPKPKfPKPfEviT7_lllT6_T8_lllPii.num_agpr, 0
	.set _ZL19rocblas_trsv_deviceILi64ELi16ELb0ELb1ELb1ELb0EffPKPKfPKPfEviT7_lllT6_T8_lllPii.numbered_sgpr, 105
	.set _ZL19rocblas_trsv_deviceILi64ELi16ELb0ELb1ELb1ELb0EffPKPKfPKPfEviT7_lllT6_T8_lllPii.num_named_barrier, 0
	.set _ZL19rocblas_trsv_deviceILi64ELi16ELb0ELb1ELb1ELb0EffPKPKfPKPfEviT7_lllT6_T8_lllPii.private_seg_size, 0
	.set _ZL19rocblas_trsv_deviceILi64ELi16ELb0ELb1ELb1ELb0EffPKPKfPKPfEviT7_lllT6_T8_lllPii.uses_vcc, 1
	.set _ZL19rocblas_trsv_deviceILi64ELi16ELb0ELb1ELb1ELb0EffPKPKfPKPfEviT7_lllT6_T8_lllPii.uses_flat_scratch, 0
	.set _ZL19rocblas_trsv_deviceILi64ELi16ELb0ELb1ELb1ELb0EffPKPKfPKPfEviT7_lllT6_T8_lllPii.has_dyn_sized_stack, 0
	.set _ZL19rocblas_trsv_deviceILi64ELi16ELb0ELb1ELb1ELb0EffPKPKfPKPfEviT7_lllT6_T8_lllPii.has_recursion, 0
	.set _ZL19rocblas_trsv_deviceILi64ELi16ELb0ELb1ELb1ELb0EffPKPKfPKPfEviT7_lllT6_T8_lllPii.has_indirect_call, 0
	.section	.AMDGPU.csdata,"",@progbits
; Kernel info:
; codeLenInByte = 42704
; TotalNumSgprs: 107
; NumVgprs: 90
; ScratchSize: 0
; MemoryBound: 0
; FloatMode: 240
; IeeeMode: 1
; LDSByteSize: 20740 bytes/workgroup (compile time only)
; SGPRBlocks: 0
; VGPRBlocks: 5
; NumSGPRsForWavesPerEU: 107
; NumVGPRsForWavesPerEU: 90
; NamedBarCnt: 0
; Occupancy: 10
; WaveLimiterHint : 1
; COMPUTE_PGM_RSRC2:SCRATCH_EN: 0
; COMPUTE_PGM_RSRC2:USER_SGPR: 2
; COMPUTE_PGM_RSRC2:TRAP_HANDLER: 0
; COMPUTE_PGM_RSRC2:TGID_X_EN: 1
; COMPUTE_PGM_RSRC2:TGID_Y_EN: 0
; COMPUTE_PGM_RSRC2:TGID_Z_EN: 1
; COMPUTE_PGM_RSRC2:TIDIG_COMP_CNT: 1
	.section	.text._ZL19rocblas_trsv_deviceILi64ELi16ELb1ELb0ELb0ELb1EffPKPKfPKPfEviT7_lllT6_T8_lllPii,"axG",@progbits,_ZL19rocblas_trsv_deviceILi64ELi16ELb1ELb0ELb0ELb1EffPKPKfPKPfEviT7_lllT6_T8_lllPii,comdat
	.globl	_ZL19rocblas_trsv_deviceILi64ELi16ELb1ELb0ELb0ELb1EffPKPKfPKPfEviT7_lllT6_T8_lllPii ; -- Begin function _ZL19rocblas_trsv_deviceILi64ELi16ELb1ELb0ELb0ELb1EffPKPKfPKPfEviT7_lllT6_T8_lllPii
	.p2align	8
	.type	_ZL19rocblas_trsv_deviceILi64ELi16ELb1ELb0ELb0ELb1EffPKPKfPKPfEviT7_lllT6_T8_lllPii,@function
_ZL19rocblas_trsv_deviceILi64ELi16ELb1ELb0ELb0ELb1EffPKPKfPKPfEviT7_lllT6_T8_lllPii: ; @_ZL19rocblas_trsv_deviceILi64ELi16ELb1ELb0ELb0ELb1EffPKPKfPKPfEviT7_lllT6_T8_lllPii
; %bb.0:
	s_load_b32 s6, s[0:1], 0x58
	s_bfe_u32 s2, ttmp6, 0x40014
	s_lshr_b32 s3, ttmp7, 16
	s_add_co_i32 s2, s2, 1
	s_bfe_u32 s5, ttmp6, 0x40008
	s_mul_i32 s4, s3, s2
	s_getreg_b32 s2, hwreg(HW_REG_IB_STS2, 6, 4)
	s_add_co_i32 s5, s5, s4
	s_cmp_eq_u32 s2, 0
	s_mov_b32 s67, 0
	s_cselect_b32 s66, s3, s5
                                        ; implicit-def: $vgpr79 : SGPR spill to VGPR lane
	s_wait_kmcnt 0x0
	s_cmp_ge_u32 s66, s6
	v_writelane_b32 v79, s6, 0
	s_cbranch_scc1 .LBB115_1163
; %bb.1:
	s_clause 0x3
	s_load_b32 s3, s[0:1], 0x6c
	s_load_b32 s93, s[0:1], 0x0
	s_load_b64 s[76:77], s[0:1], 0x18
	s_load_b32 s6, s[0:1], 0x28
	s_bfe_u32 s5, ttmp6, 0x4000c
	s_and_b32 s4, ttmp6, 15
	s_add_co_i32 s5, s5, 1
	v_bfe_u32 v2, v0, 10, 10
	s_mul_i32 s5, ttmp9, s5
	v_and_b32_e32 v6, 0x3ff, v0
	s_add_co_i32 s4, s4, s5
	s_cmp_eq_u32 s2, 0
	v_dual_lshlrev_b32 v11, 6, v2 :: v_dual_bitop2_b32 v14, 1, v0 bitop3:0x40
	s_cselect_b32 s95, ttmp9, s4
	v_and_b32_e32 v1, 3, v0
	v_sub_co_u32 v7, s4, s95, 1
	s_delay_alu instid0(VALU_DEP_3)
	v_add_nc_u32_e32 v70, v11, v6
	v_cmp_eq_u32_e32 vcc_lo, 1, v14
	v_dual_add_nc_u32 v32, 16, v2 :: v_dual_bitop2_b32 v15, 7, v0 bitop3:0x40
	s_wait_kmcnt 0x0
	s_add_co_i32 s2, s93, -1
	s_and_b32 s5, s3, 0xffff
	s_ashr_i32 s3, s93, 31
	v_writelane_b32 v79, s6, 1
	s_ashr_i32 s6, s2, 31
	s_lshr_b32 s3, s3, 26
	s_lshr_b32 s6, s6, 26
	s_add_co_i32 s3, s93, s3
	s_add_co_i32 s2, s2, s6
	s_and_not1_b32 s3, s3, 63
	s_ashr_i32 s2, s2, 6
	s_sub_co_i32 s11, s93, s3
	s_cmp_eq_u32 s2, s95
	v_mad_u32_u24 v8, v2, s5, v6
	s_cselect_b32 s6, -1, 0
	s_cmp_lg_u32 s11, 0
	s_add_nc_u64 s[2:3], s[76:77], 1
	s_cselect_b32 s5, -1, 0
	s_lshl_b32 s14, s95, 6
	s_and_b32 s16, s5, s6
	s_xor_b32 s4, s4, -1
	s_xor_b32 s97, s16, -1
	s_ashr_i32 s15, s14, 31
	s_cmp_gt_i32 s95, 4
	s_mul_u64 s[12:13], s[2:3], s[14:15]
	s_cselect_b32 s2, -1, 0
	v_cmp_gt_u32_e64 s3, 16, v70
	s_and_b32 s98, s2, s97
	v_cmp_gt_u32_e64 s2, 4, v70
	v_cmp_ne_u32_e64 s5, 0, v1
	v_cmp_eq_u32_e64 s6, 1, v1
	v_writelane_b32 v79, s4, 2
	s_xor_b32 s7, vcc_lo, -1
	v_cmp_eq_u32_e64 s4, 0, v1
	s_and_b32 s100, vcc_lo, s2
	v_cmp_lt_u32_e32 vcc_lo, 1, v1
	s_and_b32 s102, s5, s3
	s_and_b32 s103, s6, s3
	v_cmp_eq_u32_e64 s5, 2, v1
	v_cmp_eq_u32_e64 s6, 3, v1
	s_and_b32 s101, s4, s3
	v_cmp_gt_u32_e64 s4, 64, v70
	s_and_b32 s104, vcc_lo, s3
	v_cmp_ne_u32_e32 vcc_lo, 0, v15
	s_and_b32 vcc_hi, s5, s3
	s_and_b32 s31, s6, s3
	v_cmp_eq_u32_e64 s5, 1, v15
	v_cmp_lt_u32_e64 s6, 1, v15
	v_cmp_lt_u32_e64 s8, 2, v15
	s_and_b32 s34, vcc_lo, s4
	v_cmp_eq_u32_e32 vcc_lo, 3, v15
	s_and_b32 s35, s5, s4
	s_and_b32 s36, s6, s4
	;; [unrolled: 1-line block ×3, first 2 shown]
	v_cmp_lt_u32_e64 s5, 3, v15
	v_cmp_eq_u32_e64 s6, 4, v15
	v_cmp_eq_u32_e64 s8, 5, v15
	v_dual_add_nc_u32 v30, 32, v2 :: v_dual_bitop2_b32 v18, 15, v0 bitop3:0x40
	s_and_b32 s39, vcc_lo, s4
	v_cmp_lt_u32_e32 vcc_lo, 5, v15
	s_and_b32 s40, s5, s4
	s_and_b32 s41, s6, s4
	;; [unrolled: 1-line block ×3, first 2 shown]
	v_cmp_eq_u32_e64 s6, 6, v15
	v_cmp_gt_u32_e64 s5, 0x100, v70
	v_cmp_eq_u32_e64 s8, 0, v18
	s_and_b32 s99, s7, s2
	v_cmp_eq_u32_e64 s7, 0, v15
	s_and_b32 s44, vcc_lo, s4
	v_cmp_ne_u32_e32 vcc_lo, 0, v18
	s_and_b32 s45, s6, s4
	s_and_b32 s6, s8, s5
	;; [unrolled: 1-line block ×3, first 2 shown]
	v_cmp_eq_u32_e64 s7, 2, v15
	v_writelane_b32 v79, s6, 3
	v_cmp_eq_u32_e64 s6, 1, v18
	s_and_b32 s9, vcc_lo, s5
	v_cmp_lt_u32_e32 vcc_lo, 2, v18
	s_and_b32 s37, s7, s4
	v_cmp_lt_u32_e64 s7, 4, v15
	s_and_b32 s49, s6, s5
	v_cmp_eq_u32_e64 s6, 3, v18
	s_and_b32 s52, vcc_lo, s5
	v_cmp_lt_u32_e32 vcc_lo, 3, v18
	s_and_b32 s42, s7, s4
	v_cmp_eq_u32_e64 s7, 7, v15
	s_and_b32 s53, s6, s5
	v_cmp_eq_u32_e64 s6, 5, v18
	s_and_b32 s54, vcc_lo, s5
	v_cmp_lt_u32_e32 vcc_lo, 5, v18
	s_and_b32 s46, s7, s4
	v_cmp_lt_u32_e64 s7, 1, v18
	s_and_b32 s22, s6, s5
	v_cmp_eq_u32_e64 s6, 6, v18
	s_and_b32 s24, vcc_lo, s5
	v_cmp_lt_u32_e32 vcc_lo, 7, v18
	v_cmp_eq_u32_e64 s8, 2, v18
	s_and_b32 s50, s7, s5
	v_cmp_eq_u32_e64 s7, 4, v18
	s_and_b32 s26, s6, s5
	v_cmp_eq_u32_e64 s6, 8, v18
	s_and_b32 s57, vcc_lo, s5
	v_cmp_lt_u32_e32 vcc_lo, 8, v18
	s_and_b32 s51, s8, s5
	v_cmp_lt_u32_e64 s8, 4, v18
	s_and_b32 s94, s7, s5
	v_cmp_lt_u32_e64 s7, 6, v18
	s_and_b32 s58, s6, s5
	v_cmp_eq_u32_e64 s6, 10, v18
	s_and_b32 s59, vcc_lo, s5
	v_cmp_lt_u32_e32 vcc_lo, 10, v18
	s_and_b32 s20, s8, s5
	v_cmp_eq_u32_e64 s8, 7, v18
	s_and_b32 s28, s7, s5
	v_cmp_eq_u32_e64 s7, 9, v18
	;; [unrolled: 2-line block ×3, first 2 shown]
	s_and_b32 s63, vcc_lo, s5
	v_cmp_lt_u32_e32 vcc_lo, 12, v18
	s_and_b32 s30, s8, s5
	v_cmp_lt_u32_e64 s8, 9, v18
	s_and_b32 s60, s7, s5
	v_cmp_lt_u32_e64 s7, 11, v18
	s_and_b32 s64, s6, s5
	v_cmp_eq_u32_e64 s6, 13, v18
	s_and_b32 s25, vcc_lo, s5
	v_cmp_lt_u32_e32 vcc_lo, 13, v18
	v_dual_add_nc_u32 v28, 48, v2 :: v_dual_bitop2_b32 v19, 31, v0 bitop3:0x40
	s_and_b32 s61, s8, s5
	v_cmp_eq_u32_e64 s8, 12, v18
	s_and_b32 s21, s7, s5
	v_cmp_eq_u32_e64 s7, 14, v18
	s_and_b32 s27, s6, s5
	s_and_b32 s29, vcc_lo, s5
	v_cmp_gt_u32_e64 s6, 0x400, v70
	v_cmp_eq_u32_e32 vcc_lo, 0, v19
	v_writelane_b32 v79, s9, 4
	s_and_b32 s23, s8, s5
	v_cmp_eq_u32_e64 s8, 15, v18
	s_and_b32 s92, s7, s5
	v_cmp_ne_u32_e64 s7, 0, v19
	s_and_b32 s17, vcc_lo, s6
	v_cmp_lt_u32_e64 s9, 1, v19
	v_writelane_b32 v79, s17, 5
	s_and_b32 s96, s8, s5
	v_cmp_eq_u32_e64 s8, 1, v19
	s_and_b32 s7, s7, s6
	v_cmp_eq_u32_e64 s10, 2, v19
	v_writelane_b32 v79, s7, 6
	v_cmp_lt_u32_e32 vcc_lo, 2, v19
	s_and_b32 s7, s8, s6
	v_cmp_lt_u32_e64 s8, 3, v19
                                        ; implicit-def: $vgpr78 : SGPR spill to VGPR lane
	v_dual_mov_b32 v5, 0 :: v_dual_add_nc_u32 v3, s14, v2
	v_writelane_b32 v79, s7, 7
	s_and_b32 s7, s9, s6
	s_and_b32 s17, vcc_lo, s6
	v_cmp_eq_u32_e64 s9, 4, v19
	v_cmp_eq_u32_e32 vcc_lo, 5, v19
	v_writelane_b32 v79, s7, 8
	s_and_b32 s7, s10, s6
	v_cmp_lt_u32_e64 s10, 4, v19
                                        ; implicit-def: $vgpr77 : SGPR spill to VGPR lane
	v_dual_mov_b32 v9, v5 :: v_dual_add_nc_u32 v10, s14, v6
	v_writelane_b32 v79, s7, 9
	v_cmp_eq_u32_e64 s7, 3, v19
	v_add_nc_u32_e32 v4, s14, v8
	s_delay_alu instid0(VALU_DEP_4)
	v_add_nc_u64_e32 v[16:17], s[14:15], v[8:9]
	v_xor_b32_e32 v9, v11, v6
	v_writelane_b32 v79, s17, 10
	s_and_b32 s7, s7, s6
	s_and_b32 s17, vcc_lo, s6
	v_cmp_lt_u32_e32 vcc_lo, 7, v19
	v_subrev_nc_u32_e32 v20, 64, v3
	v_writelane_b32 v79, s7, 11
	s_and_b32 s7, s8, s6
	v_cmp_eq_u32_e64 s8, 6, v19
	s_delay_alu instid0(VALU_DEP_3)
	v_dual_ashrrev_i32 v21, 31, v20 :: v_dual_bitop2_b32 v11, v11, v6 bitop3:0x40
	v_writelane_b32 v79, s7, 12
	s_and_b32 s7, s9, s6
	v_cmp_lt_u32_e64 s9, 6, v19
	v_lshrrev_b16 v9, 1, v9
	v_lshrrev_b32_e32 v22, 10, v0
	v_writelane_b32 v79, s7, 13
	s_and_b32 s7, s10, s6
	v_cmp_eq_u32_e64 s10, 7, v19
	v_add_nc_u16 v9, v11, v9
	v_ashrrev_i32_e32 v11, 31, v10
	v_writelane_b32 v79, s7, 14
	v_cmp_lt_u32_e64 s7, 5, v19
	v_mul_u64_e32 v[12:13], s[76:77], v[20:21]
	v_and_b32_e32 v21, 0xffff, v9
	v_dual_lshlrev_b32 v14, 2, v14 :: v_dual_lshlrev_b32 v37, 2, v1
	v_writelane_b32 v79, s17, 15
	s_and_b32 s7, s7, s6
	s_and_b32 s17, vcc_lo, s6
	v_cmp_eq_u32_e32 vcc_lo, 10, v19
	v_bitop3_b32 v71, v0, v22, 0x3ff bitop3:0xa8
	v_writelane_b32 v79, s7, 16
	s_and_b32 s7, s8, s6
	v_cmp_lt_u32_e64 s8, 8, v19
	v_lshrrev_b32_e32 v0, 2, v70
	s_clause 0x1
	s_load_b64 s[80:81], s[0:1], 0x40
	s_load_b128 s[72:75], s[0:1], 0x30
	v_writelane_b32 v79, s7, 17
	s_and_b32 s7, s9, s6
	v_cmp_eq_u32_e64 s9, 9, v19
	v_lshl_add_u32 v9, v21, 2, 0x4000
	v_lshl_or_b32 v34, v21, 8, v14
	v_writelane_b32 v79, s7, 18
	s_and_b32 s7, s10, s6
	v_cmp_lt_u32_e64 s10, 9, v19
	s_and_b32 s9, s9, s6
	v_mul_u32_u24_e32 v35, 0x104, v21
	v_writelane_b32 v79, s7, 19
	v_cmp_eq_u32_e64 s7, 8, v19
	v_and_b32_e32 v14, 0x1fffc, v70
	v_lshrrev_b32_e32 v21, 3, v70
	v_mul_u32_u24_e32 v36, 0x104, v0
	v_writelane_b32 v79, s17, 20
	s_and_b32 s7, s7, s6
	v_lshlrev_b32_e32 v38, 2, v6
	v_add_nc_u32_e32 v39, 0x4000, v14
	v_dual_sub_nc_u32 v1, v36, v14 :: v_dual_lshlrev_b32 v44, 2, v15
	v_writelane_b32 v79, s7, 21
	s_and_b32 s7, s8, s6
	v_cmp_eq_u32_e64 s8, 11, v19
	v_lshlrev_b32_e32 v14, 2, v21
	v_lshl_or_b32 v40, v0, 8, v37
	v_writelane_b32 v79, s7, 22
	v_cmp_lt_u32_e64 s7, 10, v19
	v_mul_u32_u24_e32 v41, 0x104, v21
	v_dual_lshrrev_b32 v0, 4, v70 :: v_dual_add_nc_u32 v42, v1, v37
	v_writelane_b32 v79, s9, 23
	s_and_b32 s9, s10, s6
	s_and_b32 s7, s7, s6
	v_add_nc_u32_e32 v43, 0x4000, v14
	v_dual_sub_nc_u32 v1, v41, v14 :: v_dual_lshlrev_b32 v14, 2, v0
	v_writelane_b32 v79, s9, 24
	s_and_b32 s9, vcc_lo, s6
	v_cmp_lt_u32_e32 vcc_lo, 11, v19
	v_mul_u32_u24_e32 v45, 0x104, v0
	v_dual_lshrrev_b32 v15, 5, v70 :: v_dual_add_nc_u32 v47, v1, v44
	v_writelane_b32 v79, s9, 25
	s_clause 0x1
	s_load_b64 s[78:79], s[0:1], 0x50
	s_load_b128 s[68:71], s[0:1], 0x8
	v_dual_lshlrev_b32 v48, 2, v18 :: v_dual_lshlrev_b32 v49, 2, v15
	v_writelane_b32 v79, s7, 26
	s_and_b32 s7, s8, s6
	v_dual_sub_nc_u32 v1, v45, v14 :: v_dual_lshlrev_b32 v50, 8, v15
	v_add_nc_u32_e32 v52, 0x4000, v14
	v_writelane_b32 v79, s7, 27
	s_and_b32 s7, vcc_lo, s6
	v_cmp_eq_u32_e32 vcc_lo, 12, v19
	s_wait_kmcnt 0x0
	v_mul_u64_e32 v[14:15], s[80:81], v[4:5]
	v_subrev_nc_u32_e32 v4, 48, v3
	v_writelane_b32 v79, s7, 28
	v_subrev_nc_u32_e32 v18, 32, v3
	s_and_b32 s7, vcc_lo, s6
	v_cmp_lt_u32_e32 vcc_lo, 12, v19
                                        ; implicit-def: $vgpr76 : SGPR spill to VGPR lane
	v_dual_mov_b32 v33, v5 :: v_dual_add_nc_u32 v60, 0x4000, v38
	v_writelane_b32 v79, s7, 29
	v_lshl_or_b32 v46, v21, 8, v44
	s_and_b32 s7, vcc_lo, s6
	v_cmp_eq_u32_e32 vcc_lo, 13, v19
	v_dual_lshlrev_b32 v51, 2, v19 :: v_dual_add_nc_u32 v54, v1, v48
	v_writelane_b32 v79, s7, 30
	v_lshl_or_b32 v53, v0, 8, v48
	s_and_b32 s7, vcc_lo, s6
	v_cmp_lt_u32_e32 vcc_lo, 13, v19
	v_mul_u64_e32 v[0:1], s[80:81], v[10:11]
	v_writelane_b32 v79, s7, 31
	v_mul_u64_e32 v[16:17], s[80:81], v[16:17]
	v_lshl_add_u32 v57, v2, 2, 0x5000
	s_and_b32 s7, vcc_lo, s6
	v_cmp_eq_u32_e32 vcc_lo, 14, v19
	v_writelane_b32 v78, s7, 0
	v_add_nc_u32_e32 v55, 0x4000, v49
	v_dual_add_nc_u32 v62, v57, v38 :: v_dual_bitop2_b32 v56, v50, v51 bitop3:0x54
	s_and_b32 s7, vcc_lo, s6
	v_cmp_lt_u32_e32 vcc_lo, 14, v19
	v_writelane_b32 v78, s7, 1
	v_lshl_add_u32 v58, v8, 2, 0x5000
	v_lshl_add_u32 v59, v70, 2, 0x4000
	;; [unrolled: 1-line block ×3, first 2 shown]
	s_and_b32 s7, vcc_lo, s6
	v_cmp_eq_u32_e32 vcc_lo, 15, v19
	v_writelane_b32 v78, s7, 2
	v_lshl_add_u32 v63, v30, 8, v38
	v_lshl_add_u32 v64, v28, 8, v38
	v_mov_b32_e32 v65, 1.0
	s_and_b32 s7, vcc_lo, s6
	v_cmp_lt_u32_e32 vcc_lo, 15, v19
	v_writelane_b32 v78, s7, 3
	v_cmp_gt_u32_e64 s17, 40, v70
	v_cmp_gt_u32_e64 s18, 32, v70
	;; [unrolled: 1-line block ×3, first 2 shown]
	s_and_b32 s7, vcc_lo, s6
	v_cmp_eq_u32_e32 vcc_lo, 16, v19
	v_writelane_b32 v78, s7, 4
	v_cmp_eq_u32_e64 s55, 0, v8
	v_cmp_gt_u32_e64 s56, 64, v8
	s_mul_u64 s[88:89], s[76:77], 0xc0
	s_and_b32 s7, vcc_lo, s6
	v_cmp_lt_u32_e32 vcc_lo, 16, v19
	v_writelane_b32 v78, s7, 5
                                        ; implicit-def: $vgpr66
                                        ; implicit-def: $vgpr67
                                        ; implicit-def: $vgpr68
                                        ; implicit-def: $vgpr69
	v_dual_mov_b32 v31, v5 :: v_dual_lshlrev_b32 v26, 2, v6
	v_mov_b32_e32 v27, v5
	s_and_b32 s7, vcc_lo, s6
	v_cmp_eq_u32_e32 vcc_lo, 17, v19
	v_writelane_b32 v78, s7, 6
	v_mul_u64_e32 v[22:23], s[76:77], v[30:31]
	v_dual_mov_b32 v29, v5 :: v_dual_bitop2_b32 v31, v28, v6 bitop3:0x54
	s_and_b32 s7, vcc_lo, s6
	v_cmp_lt_u32_e32 vcc_lo, 17, v19
	v_writelane_b32 v78, s7, 7
	s_delay_alu instid0(VALU_DEP_3)
	v_mul_u64_e32 v[24:25], s[76:77], v[28:29]
	s_and_b32 s7, vcc_lo, s6
	v_cmp_eq_u32_e32 vcc_lo, 18, v19
	v_writelane_b32 v78, s7, 8
	s_and_b32 s7, vcc_lo, s6
	v_cmp_lt_u32_e32 vcc_lo, 18, v19
	v_writelane_b32 v78, s7, 9
	s_and_b32 s7, vcc_lo, s6
	v_cmp_eq_u32_e32 vcc_lo, 19, v19
	v_writelane_b32 v78, s7, 10
	s_and_b32 s7, vcc_lo, s6
	v_cmp_lt_u32_e32 vcc_lo, 19, v19
	v_writelane_b32 v78, s7, 11
	;; [unrolled: 6-line block ×12, first 2 shown]
	s_and_b32 s7, vcc_lo, s6
	v_cmp_eq_u32_e32 vcc_lo, 30, v19
	v_writelane_b32 v77, s7, 0
	s_and_b32 s7, vcc_lo, s6
	v_cmp_eq_u32_e32 vcc_lo, 31, v19
	v_writelane_b32 v77, s7, 1
	v_cmp_eq_u32_e64 s7, 0, v2
	s_and_b32 s9, vcc_lo, s6
	v_cmp_le_i32_e32 vcc_lo, s11, v6
	s_and_b32 s8, vcc_lo, s16
	s_delay_alu instid0(SALU_CYCLE_1) | instskip(SKIP_1) | instid1(SALU_CYCLE_1)
	v_writelane_b32 v77, s8, 2
	s_xor_b32 s8, s8, -1
	s_and_b32 s10, s7, s8
	v_cmp_le_i32_e64 s8, s11, v2
	s_cmp_gt_i32 s95, 0
	s_cselect_b32 s47, -1, 0
	s_lshl_b64 s[82:83], s[12:13], 2
	s_or_b32 s14, s8, vcc_lo
	v_cmp_le_i32_e64 s8, s11, v32
	v_cmp_gt_u32_e64 s12, 2, v70
	v_cmp_gt_u32_e64 s13, 12, v70
	s_lshl_b64 s[84:85], s[76:77], 6
	s_lshl_b64 s[86:87], s[76:77], 7
	s_or_b32 s15, s8, vcc_lo
	v_cmp_le_i32_e64 s8, s11, v30
	s_lshl_b64 s[70:71], s[70:71], 2
	s_lshl_b64 s[74:75], s[74:75], 2
	s_or_b32 s16, s8, vcc_lo
	v_cmp_le_i32_e64 s8, s11, v28
	s_or_b32 s8, s8, vcc_lo
	v_cmp_gt_i32_e32 vcc_lo, s11, v6
	v_cmp_eq_u32_e64 s11, 0, v71
	s_and_b32 s0, s7, vcc_lo
	v_cmp_gt_i32_e32 vcc_lo, s93, v20
	v_writelane_b32 v77, s0, 3
	v_cmp_gt_i32_e64 s0, s93, v10
	v_mul_u64_e32 v[20:21], s[76:77], v[32:33]
	v_or_b32_e32 v33, v30, v6
	s_and_b32 s1, s0, vcc_lo
	v_cmp_gt_i32_e32 vcc_lo, s93, v4
	v_writelane_b32 v77, s1, 4
	v_dual_mov_b32 v3, v5 :: v_dual_add_nc_u32 v4, -16, v3
	s_and_b32 s1, s0, vcc_lo
	v_cmp_gt_i32_e32 vcc_lo, s93, v18
	v_writelane_b32 v77, s1, 5
	s_delay_alu instid0(VALU_DEP_3)
	v_mul_u64_e32 v[18:19], s[76:77], v[2:3]
	v_lshl_add_u32 v3, v32, 8, v38
	s_and_b32 s1, s0, vcc_lo
	v_cmp_gt_i32_e32 vcc_lo, s93, v4
	v_writelane_b32 v77, s1, 6
	v_or_b32_e32 v4, v32, v6
	s_and_b32 s1, s0, vcc_lo
	s_delay_alu instid0(SALU_CYCLE_1) | instskip(SKIP_1) | instid1(VALU_DEP_1)
	v_writelane_b32 v77, s1, 7
	v_cmp_le_u32_e64 s1, v6, v2
	v_writelane_b32 v77, s1, 8
	s_or_b32 s1, s14, s1
	v_cmp_gt_u32_e64 s14, 8, v70
	v_writelane_b32 v77, s1, 9
	v_cmp_le_u32_e64 s1, v6, v32
	s_delay_alu instid0(VALU_DEP_1) | instskip(SKIP_4) | instid1(VALU_DEP_1)
	v_writelane_b32 v77, s1, 10
	s_or_b32 s1, s15, s1
	v_cmp_gt_u32_e64 s15, 56, v70
	v_writelane_b32 v77, s1, 11
	v_cmp_le_u32_e64 s1, v6, v30
	v_writelane_b32 v77, s1, 12
	s_or_b32 s1, s16, s1
	v_cmp_gt_u32_e64 s16, 48, v70
	v_writelane_b32 v77, s1, 13
	v_cmp_le_u32_e64 s1, v6, v28
	s_delay_alu instid0(VALU_DEP_1) | instskip(SKIP_1) | instid1(SALU_CYCLE_1)
	v_writelane_b32 v77, s1, 14
	s_or_b32 s1, s8, s1
	v_writelane_b32 v77, s1, 15
	v_cmp_gt_u32_e64 s1, 0xf0, v70
	s_delay_alu instid0(VALU_DEP_1) | instskip(SKIP_1) | instid1(VALU_DEP_1)
	v_writelane_b32 v77, s1, 16
	v_cmp_gt_u32_e64 s1, 0xe0, v70
	v_writelane_b32 v77, s1, 17
	v_cmp_gt_u32_e64 s1, 0xd0, v70
	s_delay_alu instid0(VALU_DEP_1) | instskip(SKIP_1) | instid1(VALU_DEP_1)
	v_writelane_b32 v77, s1, 18
	v_cmp_gt_u32_e64 s1, 0xc0, v70
	;; [unrolled: 5-line block ×17, first 2 shown]
	v_writelane_b32 v76, s1, 17
	v_cmp_ge_u32_e64 s1, v6, v2
	s_delay_alu instid0(VALU_DEP_1) | instskip(SKIP_1) | instid1(VALU_DEP_1)
	v_writelane_b32 v76, s1, 18
	v_cmp_ge_u32_e64 s1, v6, v32
	v_writelane_b32 v76, s1, 19
	v_cmp_ge_u32_e64 s1, v6, v30
	s_delay_alu instid0(VALU_DEP_1) | instskip(SKIP_1) | instid1(VALU_DEP_1)
	v_writelane_b32 v76, s1, 20
	v_cmp_ge_u32_e64 s1, v6, v28
	v_writelane_b32 v76, s1, 21
	v_cmp_gt_u32_e64 s1, 64, v71
	s_delay_alu instid0(VALU_DEP_1) | instskip(SKIP_1) | instid1(VALU_DEP_1)
	v_writelane_b32 v76, s1, 22
	v_cmp_gt_u32_e64 s1, 64, v4
	v_writelane_b32 v76, s1, 23
	v_cmp_gt_u32_e64 s1, 64, v33
	s_delay_alu instid0(VALU_DEP_1) | instskip(SKIP_1) | instid1(VALU_DEP_1)
	v_writelane_b32 v76, s1, 24
	v_cmp_gt_u32_e64 s1, 64, v31
	v_writelane_b32 v76, s1, 25
	s_branch .LBB115_3
.LBB115_2:                              ;   in Loop: Header=BB115_3 Depth=1
	s_wait_xcnt 0x0
	s_or_b32 exec_lo, exec_lo, s1
	v_readlane_b32 s1, v79, 0
	s_add_co_i32 s66, s66, 0x10000
	global_wb scope:SCOPE_DEV
	s_wait_storecnt 0x0
	global_inv scope:SCOPE_DEV
	s_cmp_lt_u32 s66, s1
	s_cbranch_scc0 .LBB115_1163
.LBB115_3:                              ; =>This Loop Header: Depth=1
                                        ;     Child Loop BB115_1043 Depth 2
                                        ;       Child Loop BB115_1045 Depth 3
                                        ;     Child Loop BB115_1083 Depth 2
	v_mov_b32_e32 v4, s66
	v_readlane_b32 s1, v79, 2
	s_clause 0x1
	global_load_b64 v[28:29], v4, s[68:69] scale_offset
	global_load_b64 v[30:31], v4, s[72:73] scale_offset
	s_and_not1_b32 vcc_lo, exec_lo, s1
	s_wait_loadcnt 0x1
	v_add_nc_u64_e32 v[28:29], s[70:71], v[28:29]
	s_cbranch_vccnz .LBB115_13
; %bb.4:                                ;   in Loop: Header=BB115_3 Depth=1
	s_delay_alu instid0(VALU_DEP_1) | instskip(SKIP_3) | instid1(VALU_DEP_2)
	v_lshl_add_u64 v[32:33], v[12:13], 2, v[28:29]
	v_dual_mov_b32 v67, 0 :: v_dual_mov_b32 v66, 0
	s_wait_loadcnt 0x0
	s_barrier_signal -1
	v_lshl_add_u64 v[32:33], v[10:11], 2, v[32:33]
	s_barrier_wait -1
	s_wait_xcnt 0x0
	s_mov_b32 s1, exec_lo
	v_readlane_b32 s8, v77, 4
	s_and_b32 s8, s1, s8
	s_delay_alu instid0(SALU_CYCLE_1)
	s_mov_b32 exec_lo, s8
	s_cbranch_execz .LBB115_6
; %bb.5:                                ;   in Loop: Header=BB115_3 Depth=1
	flat_load_b32 v66, v[32:33]
.LBB115_6:                              ;   in Loop: Header=BB115_3 Depth=1
	s_wait_xcnt 0x0
	s_or_b32 exec_lo, exec_lo, s1
	s_wait_loadcnt_dscnt 0x0
	s_barrier_signal -1
	s_barrier_wait -1
	s_mov_b32 s1, exec_lo
	v_readlane_b32 s8, v77, 5
	s_and_b32 s8, s1, s8
	s_delay_alu instid0(SALU_CYCLE_1)
	s_mov_b32 exec_lo, s8
	s_cbranch_execz .LBB115_8
; %bb.7:                                ;   in Loop: Header=BB115_3 Depth=1
	v_add_nc_u64_e32 v[68:69], s[84:85], v[32:33]
	flat_load_b32 v67, v[68:69]
.LBB115_8:                              ;   in Loop: Header=BB115_3 Depth=1
	s_wait_xcnt 0x0
	s_or_b32 exec_lo, exec_lo, s1
	v_dual_mov_b32 v69, 0 :: v_dual_mov_b32 v68, 0
	s_wait_loadcnt_dscnt 0x0
	s_barrier_signal -1
	s_barrier_wait -1
	s_mov_b32 s1, exec_lo
	v_readlane_b32 s8, v77, 6
	s_and_b32 s8, s1, s8
	s_delay_alu instid0(SALU_CYCLE_1)
	s_mov_b32 exec_lo, s8
	s_cbranch_execz .LBB115_10
; %bb.9:                                ;   in Loop: Header=BB115_3 Depth=1
	v_add_nc_u64_e32 v[70:71], s[86:87], v[32:33]
	flat_load_b32 v68, v[70:71]
.LBB115_10:                             ;   in Loop: Header=BB115_3 Depth=1
	s_wait_xcnt 0x0
	s_or_b32 exec_lo, exec_lo, s1
	s_wait_loadcnt_dscnt 0x0
	s_barrier_signal -1
	s_barrier_wait -1
	s_mov_b32 s1, exec_lo
	v_readlane_b32 s8, v77, 7
	s_and_b32 s8, s1, s8
	s_delay_alu instid0(SALU_CYCLE_1)
	s_mov_b32 exec_lo, s8
	s_cbranch_execz .LBB115_12
; %bb.11:                               ;   in Loop: Header=BB115_3 Depth=1
	v_add_nc_u64_e32 v[32:33], s[88:89], v[32:33]
	flat_load_b32 v69, v[32:33]
.LBB115_12:                             ;   in Loop: Header=BB115_3 Depth=1
	s_wait_xcnt 0x0
	s_or_b32 exec_lo, exec_lo, s1
.LBB115_13:                             ;   in Loop: Header=BB115_3 Depth=1
	s_delay_alu instid0(VALU_DEP_1) | instskip(SKIP_2) | instid1(VALU_DEP_1)
	v_add_nc_u64_e32 v[32:33], s[82:83], v[28:29]
	s_and_not1_b32 vcc_lo, exec_lo, s97
	s_mov_b32 s1, -1
	v_add_nc_u64_e32 v[32:33], v[32:33], v[26:27]
	s_cbranch_vccnz .LBB115_37
; %bb.14:                               ;   in Loop: Header=BB115_3 Depth=1
	s_mov_b32 s8, 0
	s_wait_xcnt 0x0
	s_mov_b32 s1, exec_lo
	v_readlane_b32 s48, v77, 8
	s_and_b32 s48, s1, s48
	s_delay_alu instid0(SALU_CYCLE_1)
	s_xor_b32 s1, s48, s1
	s_mov_b32 exec_lo, s48
	s_cbranch_execnz .LBB115_1104
; %bb.15:                               ;   in Loop: Header=BB115_3 Depth=1
	s_or_saveexec_b32 s1, s1
	v_mov_b32_e32 v4, 0
	s_xor_b32 exec_lo, exec_lo, s1
	s_cbranch_execnz .LBB115_1105
.LBB115_16:                             ;   in Loop: Header=BB115_3 Depth=1
	s_or_b32 exec_lo, exec_lo, s1
	s_and_saveexec_b32 s1, s8
.LBB115_17:                             ;   in Loop: Header=BB115_3 Depth=1
	ds_store_b32 v61, v4
.LBB115_18:                             ;   in Loop: Header=BB115_3 Depth=1
	s_or_b32 exec_lo, exec_lo, s1
	s_delay_alu instid0(SALU_CYCLE_1) | instskip(SKIP_2) | instid1(SALU_CYCLE_1)
	s_mov_b32 s1, exec_lo
	v_readlane_b32 s8, v77, 10
	s_and_b32 s8, s1, s8
	s_xor_b32 s1, s8, s1
	s_mov_b32 exec_lo, s8
	s_cbranch_execz .LBB115_22
; %bb.19:                               ;   in Loop: Header=BB115_3 Depth=1
	s_mov_b32 s8, exec_lo
	v_readlane_b32 s48, v76, 23
	s_and_b32 s48, s8, s48
	s_delay_alu instid0(SALU_CYCLE_1)
	s_mov_b32 exec_lo, s48
; %bb.20:                               ;   in Loop: Header=BB115_3 Depth=1
	ds_store_b32 v3, v5
; %bb.21:                               ;   in Loop: Header=BB115_3 Depth=1
	s_or_b32 exec_lo, exec_lo, s8
.LBB115_22:                             ;   in Loop: Header=BB115_3 Depth=1
	s_and_not1_saveexec_b32 s1, s1
	s_cbranch_execz .LBB115_24
; %bb.23:                               ;   in Loop: Header=BB115_3 Depth=1
	v_lshl_add_u64 v[70:71], v[20:21], 2, v[32:33]
	flat_load_b32 v4, v[70:71]
	s_wait_loadcnt_dscnt 0x0
	v_xor_b32_e32 v4, 0x80000000, v4
	ds_store_b32 v3, v4
.LBB115_24:                             ;   in Loop: Header=BB115_3 Depth=1
	s_or_b32 exec_lo, exec_lo, s1
	s_delay_alu instid0(SALU_CYCLE_1) | instskip(SKIP_2) | instid1(SALU_CYCLE_1)
	s_mov_b32 s1, exec_lo
	v_readlane_b32 s8, v77, 12
	s_and_b32 s8, s1, s8
	s_xor_b32 s1, s8, s1
	s_mov_b32 exec_lo, s8
	s_cbranch_execz .LBB115_28
; %bb.25:                               ;   in Loop: Header=BB115_3 Depth=1
	s_mov_b32 s8, exec_lo
	v_readlane_b32 s48, v76, 24
	s_and_b32 s48, s8, s48
	s_delay_alu instid0(SALU_CYCLE_1)
	s_mov_b32 exec_lo, s48
; %bb.26:                               ;   in Loop: Header=BB115_3 Depth=1
	ds_store_b32 v63, v5
; %bb.27:                               ;   in Loop: Header=BB115_3 Depth=1
	s_or_b32 exec_lo, exec_lo, s8
.LBB115_28:                             ;   in Loop: Header=BB115_3 Depth=1
	s_and_not1_saveexec_b32 s1, s1
	s_cbranch_execz .LBB115_30
; %bb.29:                               ;   in Loop: Header=BB115_3 Depth=1
	v_lshl_add_u64 v[70:71], v[22:23], 2, v[32:33]
	flat_load_b32 v4, v[70:71]
	s_wait_loadcnt_dscnt 0x0
	v_xor_b32_e32 v4, 0x80000000, v4
	ds_store_b32 v63, v4
.LBB115_30:                             ;   in Loop: Header=BB115_3 Depth=1
	;; [unrolled: 28-line block ×3, first 2 shown]
	s_or_b32 exec_lo, exec_lo, s1
	s_mov_b32 s1, 0
.LBB115_37:                             ;   in Loop: Header=BB115_3 Depth=1
	s_delay_alu instid0(SALU_CYCLE_1)
	s_and_b32 vcc_lo, exec_lo, s1
	s_cbranch_vccz .LBB115_61
; %bb.38:                               ;   in Loop: Header=BB115_3 Depth=1
	s_mov_b32 s8, 0
	s_wait_xcnt 0x0
	s_mov_b32 s1, exec_lo
	v_readlane_b32 s48, v77, 9
	s_and_b32 s48, s1, s48
	s_delay_alu instid0(SALU_CYCLE_1)
	s_xor_b32 s1, s48, s1
	s_mov_b32 exec_lo, s48
	s_cbranch_execnz .LBB115_1106
; %bb.39:                               ;   in Loop: Header=BB115_3 Depth=1
	s_or_saveexec_b32 s1, s1
	v_mov_b32_e32 v4, 0
	s_xor_b32 exec_lo, exec_lo, s1
	s_cbranch_execnz .LBB115_1107
.LBB115_40:                             ;   in Loop: Header=BB115_3 Depth=1
	s_or_b32 exec_lo, exec_lo, s1
	s_and_saveexec_b32 s1, s8
.LBB115_41:                             ;   in Loop: Header=BB115_3 Depth=1
	ds_store_b32 v61, v4
.LBB115_42:                             ;   in Loop: Header=BB115_3 Depth=1
	s_or_b32 exec_lo, exec_lo, s1
	s_delay_alu instid0(SALU_CYCLE_1) | instskip(SKIP_2) | instid1(SALU_CYCLE_1)
	s_mov_b32 s1, exec_lo
	v_readlane_b32 s8, v77, 11
	s_and_b32 s8, s1, s8
	s_xor_b32 s1, s8, s1
	s_mov_b32 exec_lo, s8
	s_cbranch_execz .LBB115_46
; %bb.43:                               ;   in Loop: Header=BB115_3 Depth=1
	s_mov_b32 s8, exec_lo
	v_readlane_b32 s48, v76, 23
	s_and_b32 s48, s8, s48
	s_delay_alu instid0(SALU_CYCLE_1)
	s_mov_b32 exec_lo, s48
; %bb.44:                               ;   in Loop: Header=BB115_3 Depth=1
	ds_store_b32 v3, v5
; %bb.45:                               ;   in Loop: Header=BB115_3 Depth=1
	s_or_b32 exec_lo, exec_lo, s8
.LBB115_46:                             ;   in Loop: Header=BB115_3 Depth=1
	s_and_not1_saveexec_b32 s1, s1
	s_cbranch_execz .LBB115_48
; %bb.47:                               ;   in Loop: Header=BB115_3 Depth=1
	v_lshl_add_u64 v[70:71], v[20:21], 2, v[32:33]
	flat_load_b32 v4, v[70:71]
	s_wait_loadcnt_dscnt 0x0
	v_xor_b32_e32 v4, 0x80000000, v4
	ds_store_b32 v3, v4
.LBB115_48:                             ;   in Loop: Header=BB115_3 Depth=1
	s_or_b32 exec_lo, exec_lo, s1
	s_delay_alu instid0(SALU_CYCLE_1) | instskip(SKIP_2) | instid1(SALU_CYCLE_1)
	s_mov_b32 s1, exec_lo
	v_readlane_b32 s8, v77, 13
	s_and_b32 s8, s1, s8
	s_xor_b32 s1, s8, s1
	s_mov_b32 exec_lo, s8
	s_cbranch_execz .LBB115_52
; %bb.49:                               ;   in Loop: Header=BB115_3 Depth=1
	s_mov_b32 s8, exec_lo
	v_readlane_b32 s48, v76, 24
	s_and_b32 s48, s8, s48
	s_delay_alu instid0(SALU_CYCLE_1)
	s_mov_b32 exec_lo, s48
; %bb.50:                               ;   in Loop: Header=BB115_3 Depth=1
	ds_store_b32 v63, v5
; %bb.51:                               ;   in Loop: Header=BB115_3 Depth=1
	s_or_b32 exec_lo, exec_lo, s8
.LBB115_52:                             ;   in Loop: Header=BB115_3 Depth=1
	s_and_not1_saveexec_b32 s1, s1
	s_cbranch_execz .LBB115_54
; %bb.53:                               ;   in Loop: Header=BB115_3 Depth=1
	v_lshl_add_u64 v[70:71], v[22:23], 2, v[32:33]
	flat_load_b32 v4, v[70:71]
	s_wait_loadcnt_dscnt 0x0
	v_xor_b32_e32 v4, 0x80000000, v4
	ds_store_b32 v63, v4
.LBB115_54:                             ;   in Loop: Header=BB115_3 Depth=1
	s_or_b32 exec_lo, exec_lo, s1
	s_delay_alu instid0(SALU_CYCLE_1) | instskip(SKIP_2) | instid1(SALU_CYCLE_1)
	s_mov_b32 s1, exec_lo
	v_readlane_b32 s8, v77, 15
	s_and_b32 s8, s1, s8
	s_xor_b32 s1, s8, s1
	s_mov_b32 exec_lo, s8
	s_cbranch_execz .LBB115_58
; %bb.55:                               ;   in Loop: Header=BB115_3 Depth=1
	s_mov_b32 s8, exec_lo
	v_readlane_b32 s48, v76, 25
	s_and_b32 s48, s8, s48
	s_delay_alu instid0(SALU_CYCLE_1)
	s_mov_b32 exec_lo, s48
; %bb.56:                               ;   in Loop: Header=BB115_3 Depth=1
	ds_store_b32 v64, v5
; %bb.57:                               ;   in Loop: Header=BB115_3 Depth=1
	s_or_b32 exec_lo, exec_lo, s8
                                        ; implicit-def: $vgpr32_vgpr33
.LBB115_58:                             ;   in Loop: Header=BB115_3 Depth=1
	s_and_not1_saveexec_b32 s1, s1
	s_cbranch_execz .LBB115_60
; %bb.59:                               ;   in Loop: Header=BB115_3 Depth=1
	v_lshl_add_u64 v[32:33], v[24:25], 2, v[32:33]
	flat_load_b32 v4, v[32:33]
	s_wait_loadcnt_dscnt 0x0
	v_xor_b32_e32 v4, 0x80000000, v4
	ds_store_b32 v64, v4
.LBB115_60:                             ;   in Loop: Header=BB115_3 Depth=1
	s_or_b32 exec_lo, exec_lo, s1
.LBB115_61:                             ;   in Loop: Header=BB115_3 Depth=1
	s_delay_alu instid0(SALU_CYCLE_1)
	s_and_not1_b32 vcc_lo, exec_lo, s98
	s_wait_loadcnt_dscnt 0x0
	s_barrier_signal -1
	s_barrier_wait -1
	s_cbranch_vccnz .LBB115_1037
; %bb.62:                               ;   in Loop: Header=BB115_3 Depth=1
	s_wait_xcnt 0x0
	s_and_saveexec_b32 s1, s11
; %bb.63:                               ;   in Loop: Header=BB115_3 Depth=1
	ds_store_2addr_b32 v5, v65, v65 offset1:65
; %bb.64:                               ;   in Loop: Header=BB115_3 Depth=1
	s_or_b32 exec_lo, exec_lo, s1
	v_mov_b32_e32 v4, 0
	s_wait_dscnt 0x0
	s_barrier_signal -1
	s_barrier_wait -1
	s_and_saveexec_b32 s8, s2
	s_cbranch_execz .LBB115_68
; %bb.65:                               ;   in Loop: Header=BB115_3 Depth=1
	ds_load_b32 v4, v34 offset:8
	ds_load_b32 v32, v35
	s_wait_dscnt 0x0
	v_fma_f32 v4, v4, v32, 0
	s_and_saveexec_b32 s1, s12
	s_cbranch_execz .LBB115_67
; %bb.66:                               ;   in Loop: Header=BB115_3 Depth=1
	ds_load_b32 v32, v38 offset:264
	ds_load_b32 v33, v5 offset:4
	s_wait_dscnt 0x0
	v_fmac_f32_e32 v4, v32, v33
.LBB115_67:                             ;   in Loop: Header=BB115_3 Depth=1
	s_or_b32 exec_lo, exec_lo, s1
	s_delay_alu instid0(VALU_DEP_1)
	v_xor_b32_e32 v4, 0x80000000, v4
.LBB115_68:                             ;   in Loop: Header=BB115_3 Depth=1
	s_or_b32 exec_lo, exec_lo, s8
	s_and_saveexec_b32 s1, s99
; %bb.69:                               ;   in Loop: Header=BB115_3 Depth=1
	ds_store_b32 v9, v4
; %bb.70:                               ;   in Loop: Header=BB115_3 Depth=1
	s_or_b32 exec_lo, exec_lo, s1
	s_wait_dscnt 0x0
	s_barrier_signal -1
	s_barrier_wait -1
	s_and_saveexec_b32 s1, s100
	s_cbranch_execz .LBB115_72
; %bb.71:                               ;   in Loop: Header=BB115_3 Depth=1
	ds_load_b32 v32, v5 offset:524
	ds_load_b32 v33, v9
	s_wait_dscnt 0x0
	v_fmac_f32_e32 v4, v32, v33
.LBB115_72:                             ;   in Loop: Header=BB115_3 Depth=1
	s_or_b32 exec_lo, exec_lo, s1
	s_barrier_signal -1
	s_barrier_wait -1
	s_and_saveexec_b32 s1, s100
; %bb.73:                               ;   in Loop: Header=BB115_3 Depth=1
	ds_store_b32 v9, v4
; %bb.74:                               ;   in Loop: Header=BB115_3 Depth=1
	s_or_b32 exec_lo, exec_lo, s1
	s_wait_dscnt 0x0
	s_barrier_signal -1
	s_barrier_wait -1
	s_barrier_signal -1
	s_barrier_wait -1
	s_and_saveexec_b32 s1, s2
; %bb.75:                               ;   in Loop: Header=BB115_3 Depth=1
	v_xor_b32_e32 v4, 0x80000000, v4
	ds_store_b32 v34, v4 offset:8
; %bb.76:                               ;   in Loop: Header=BB115_3 Depth=1
	s_or_b32 exec_lo, exec_lo, s1
	s_wait_dscnt 0x0
	s_barrier_signal -1
	s_barrier_wait -1
	s_barrier_signal -1
	s_barrier_wait -1
	s_and_saveexec_b32 s1, s11
; %bb.77:                               ;   in Loop: Header=BB115_3 Depth=1
	ds_store_2addr_b32 v5, v65, v65 offset0:130 offset1:195
; %bb.78:                               ;   in Loop: Header=BB115_3 Depth=1
	s_or_b32 exec_lo, exec_lo, s1
	v_mov_b32_e32 v4, 0
	s_wait_dscnt 0x0
	s_barrier_signal -1
	s_barrier_wait -1
	s_and_saveexec_b32 s8, s3
	s_cbranch_execz .LBB115_84
; %bb.79:                               ;   in Loop: Header=BB115_3 Depth=1
	ds_load_b32 v4, v40 offset:16
	ds_load_b32 v32, v36
	s_wait_dscnt 0x0
	v_fma_f32 v4, v4, v32, 0
	s_and_saveexec_b32 s1, s13
	s_cbranch_execnz .LBB115_1113
; %bb.80:                               ;   in Loop: Header=BB115_3 Depth=1
	s_or_b32 exec_lo, exec_lo, s1
	s_and_saveexec_b32 s1, s14
	s_cbranch_execnz .LBB115_1114
.LBB115_81:                             ;   in Loop: Header=BB115_3 Depth=1
	s_or_b32 exec_lo, exec_lo, s1
	s_and_saveexec_b32 s1, s2
	s_cbranch_execz .LBB115_83
.LBB115_82:                             ;   in Loop: Header=BB115_3 Depth=1
	ds_load_b32 v32, v38 offset:784
	ds_load_b32 v33, v5 offset:12
	s_wait_dscnt 0x0
	v_fmac_f32_e32 v4, v32, v33
.LBB115_83:                             ;   in Loop: Header=BB115_3 Depth=1
	s_or_b32 exec_lo, exec_lo, s1
	s_delay_alu instid0(VALU_DEP_1)
	v_xor_b32_e32 v4, 0x80000000, v4
.LBB115_84:                             ;   in Loop: Header=BB115_3 Depth=1
	s_or_b32 exec_lo, exec_lo, s8
	s_and_saveexec_b32 s1, s101
; %bb.85:                               ;   in Loop: Header=BB115_3 Depth=1
	ds_store_b32 v39, v4
; %bb.86:                               ;   in Loop: Header=BB115_3 Depth=1
	s_or_b32 exec_lo, exec_lo, s1
	s_wait_dscnt 0x0
	s_barrier_signal -1
	s_barrier_wait -1
	s_and_saveexec_b32 s1, s102
	s_cbranch_execz .LBB115_88
; %bb.87:                               ;   in Loop: Header=BB115_3 Depth=1
	ds_load_b32 v32, v37 offset:1040
	ds_load_b32 v33, v39
	s_wait_dscnt 0x0
	v_fmac_f32_e32 v4, v32, v33
.LBB115_88:                             ;   in Loop: Header=BB115_3 Depth=1
	s_or_b32 exec_lo, exec_lo, s1
	s_barrier_signal -1
	s_barrier_wait -1
	s_and_saveexec_b32 s1, s103
; %bb.89:                               ;   in Loop: Header=BB115_3 Depth=1
	ds_store_b32 v39, v4
; %bb.90:                               ;   in Loop: Header=BB115_3 Depth=1
	s_or_b32 exec_lo, exec_lo, s1
	s_wait_dscnt 0x0
	s_barrier_signal -1
	s_barrier_wait -1
	s_and_saveexec_b32 s1, s104
	s_cbranch_execz .LBB115_92
; %bb.91:                               ;   in Loop: Header=BB115_3 Depth=1
	ds_load_b32 v32, v37 offset:1296
	ds_load_b32 v33, v39
	s_wait_dscnt 0x0
	v_fmac_f32_e32 v4, v32, v33
.LBB115_92:                             ;   in Loop: Header=BB115_3 Depth=1
	s_or_b32 exec_lo, exec_lo, s1
	s_barrier_signal -1
	s_barrier_wait -1
	s_and_saveexec_b32 s1, vcc_hi
; %bb.93:                               ;   in Loop: Header=BB115_3 Depth=1
	ds_store_b32 v39, v4
; %bb.94:                               ;   in Loop: Header=BB115_3 Depth=1
	s_or_b32 exec_lo, exec_lo, s1
	s_wait_dscnt 0x0
	s_barrier_signal -1
	s_barrier_wait -1
	s_and_saveexec_b32 s1, s31
	s_cbranch_execz .LBB115_96
; %bb.95:                               ;   in Loop: Header=BB115_3 Depth=1
	ds_load_b32 v32, v5 offset:1564
	ds_load_b32 v33, v39
	s_wait_dscnt 0x0
	v_fmac_f32_e32 v4, v32, v33
.LBB115_96:                             ;   in Loop: Header=BB115_3 Depth=1
	s_or_b32 exec_lo, exec_lo, s1
	s_barrier_signal -1
	s_barrier_wait -1
	s_and_saveexec_b32 s1, s31
; %bb.97:                               ;   in Loop: Header=BB115_3 Depth=1
	ds_store_b32 v39, v4
; %bb.98:                               ;   in Loop: Header=BB115_3 Depth=1
	s_or_b32 exec_lo, exec_lo, s1
	s_wait_dscnt 0x0
	s_barrier_signal -1
	s_barrier_wait -1
	s_barrier_signal -1
	s_barrier_wait -1
	s_and_saveexec_b32 s1, s3
; %bb.99:                               ;   in Loop: Header=BB115_3 Depth=1
	v_xor_b32_e32 v4, 0x80000000, v4
	ds_store_b32 v40, v4 offset:16
; %bb.100:                              ;   in Loop: Header=BB115_3 Depth=1
	s_or_b32 exec_lo, exec_lo, s1
	s_wait_dscnt 0x0
	s_barrier_signal -1
	s_barrier_wait -1
	s_barrier_signal -1
	s_barrier_wait -1
	s_and_saveexec_b32 s1, s11
; %bb.101:                              ;   in Loop: Header=BB115_3 Depth=1
	v_add_nc_u32_e64 v4, 0x400, 0
	ds_store_2addr_b32 v4, v65, v65 offset0:4 offset1:69
; %bb.102:                              ;   in Loop: Header=BB115_3 Depth=1
	s_or_b32 exec_lo, exec_lo, s1
	v_mov_b32_e32 v4, 0
	s_wait_dscnt 0x0
	s_barrier_signal -1
	s_barrier_wait -1
	s_and_saveexec_b32 s8, s2
	s_cbranch_execz .LBB115_106
; %bb.103:                              ;   in Loop: Header=BB115_3 Depth=1
	ds_load_b32 v4, v34 offset:1048
	ds_load_b32 v32, v35 offset:1040
	s_wait_dscnt 0x0
	v_fma_f32 v4, v4, v32, 0
	s_and_saveexec_b32 s1, s12
	s_cbranch_execz .LBB115_105
; %bb.104:                              ;   in Loop: Header=BB115_3 Depth=1
	ds_load_b32 v32, v38 offset:1304
	ds_load_b32 v33, v5 offset:1044
	s_wait_dscnt 0x0
	v_fmac_f32_e32 v4, v32, v33
.LBB115_105:                            ;   in Loop: Header=BB115_3 Depth=1
	s_or_b32 exec_lo, exec_lo, s1
	s_delay_alu instid0(VALU_DEP_1)
	v_xor_b32_e32 v4, 0x80000000, v4
.LBB115_106:                            ;   in Loop: Header=BB115_3 Depth=1
	s_or_b32 exec_lo, exec_lo, s8
	s_and_saveexec_b32 s1, s99
; %bb.107:                              ;   in Loop: Header=BB115_3 Depth=1
	ds_store_b32 v9, v4
; %bb.108:                              ;   in Loop: Header=BB115_3 Depth=1
	s_or_b32 exec_lo, exec_lo, s1
	s_wait_dscnt 0x0
	s_barrier_signal -1
	s_barrier_wait -1
	s_and_saveexec_b32 s1, s100
	s_cbranch_execz .LBB115_110
; %bb.109:                              ;   in Loop: Header=BB115_3 Depth=1
	ds_load_b32 v32, v5 offset:1564
	ds_load_b32 v33, v9
	s_wait_dscnt 0x0
	v_fmac_f32_e32 v4, v32, v33
.LBB115_110:                            ;   in Loop: Header=BB115_3 Depth=1
	s_or_b32 exec_lo, exec_lo, s1
	s_barrier_signal -1
	s_barrier_wait -1
	s_and_saveexec_b32 s1, s100
; %bb.111:                              ;   in Loop: Header=BB115_3 Depth=1
	ds_store_b32 v9, v4
; %bb.112:                              ;   in Loop: Header=BB115_3 Depth=1
	s_or_b32 exec_lo, exec_lo, s1
	s_wait_dscnt 0x0
	s_barrier_signal -1
	s_barrier_wait -1
	s_barrier_signal -1
	s_barrier_wait -1
	s_and_saveexec_b32 s1, s2
; %bb.113:                              ;   in Loop: Header=BB115_3 Depth=1
	v_xor_b32_e32 v4, 0x80000000, v4
	ds_store_b32 v34, v4 offset:1048
; %bb.114:                              ;   in Loop: Header=BB115_3 Depth=1
	s_or_b32 exec_lo, exec_lo, s1
	s_wait_dscnt 0x0
	s_barrier_signal -1
	s_barrier_wait -1
	s_barrier_signal -1
	s_barrier_wait -1
	s_and_saveexec_b32 s1, s11
; %bb.115:                              ;   in Loop: Header=BB115_3 Depth=1
	v_add_nc_u32_e64 v4, 0x400, 0
	ds_store_2addr_b32 v4, v65, v65 offset0:134 offset1:199
; %bb.116:                              ;   in Loop: Header=BB115_3 Depth=1
	s_or_b32 exec_lo, exec_lo, s1
	v_mov_b32_e32 v4, 0
	s_wait_dscnt 0x0
	s_barrier_signal -1
	s_barrier_wait -1
	s_and_saveexec_b32 s8, s4
	s_cbranch_execz .LBB115_126
; %bb.117:                              ;   in Loop: Header=BB115_3 Depth=1
	ds_load_b32 v4, v46 offset:32
	ds_load_b32 v32, v41
	s_wait_dscnt 0x0
	v_fma_f32 v4, v4, v32, 0
	s_and_saveexec_b32 s1, s15
	s_cbranch_execnz .LBB115_1115
; %bb.118:                              ;   in Loop: Header=BB115_3 Depth=1
	s_or_b32 exec_lo, exec_lo, s1
	s_and_saveexec_b32 s1, s16
	s_cbranch_execnz .LBB115_1116
.LBB115_119:                            ;   in Loop: Header=BB115_3 Depth=1
	s_or_b32 exec_lo, exec_lo, s1
	s_and_saveexec_b32 s1, s17
	s_cbranch_execnz .LBB115_1117
.LBB115_120:                            ;   in Loop: Header=BB115_3 Depth=1
	s_or_b32 exec_lo, exec_lo, s1
	s_and_saveexec_b32 s1, s18
	s_cbranch_execnz .LBB115_1118
.LBB115_121:                            ;   in Loop: Header=BB115_3 Depth=1
	s_or_b32 exec_lo, exec_lo, s1
	s_and_saveexec_b32 s1, s19
	s_cbranch_execnz .LBB115_1119
.LBB115_122:                            ;   in Loop: Header=BB115_3 Depth=1
	s_or_b32 exec_lo, exec_lo, s1
	s_and_saveexec_b32 s1, s3
	s_cbranch_execnz .LBB115_1120
.LBB115_123:                            ;   in Loop: Header=BB115_3 Depth=1
	s_or_b32 exec_lo, exec_lo, s1
	s_and_saveexec_b32 s1, s14
	s_cbranch_execz .LBB115_125
.LBB115_124:                            ;   in Loop: Header=BB115_3 Depth=1
	ds_load_b32 v32, v38 offset:1824
	ds_load_b32 v33, v5 offset:28
	s_wait_dscnt 0x0
	v_fmac_f32_e32 v4, v32, v33
.LBB115_125:                            ;   in Loop: Header=BB115_3 Depth=1
	s_or_b32 exec_lo, exec_lo, s1
	s_delay_alu instid0(VALU_DEP_1)
	v_xor_b32_e32 v4, 0x80000000, v4
.LBB115_126:                            ;   in Loop: Header=BB115_3 Depth=1
	s_or_b32 exec_lo, exec_lo, s8
	s_and_saveexec_b32 s1, s33
; %bb.127:                              ;   in Loop: Header=BB115_3 Depth=1
	ds_store_b32 v43, v4
; %bb.128:                              ;   in Loop: Header=BB115_3 Depth=1
	s_or_b32 exec_lo, exec_lo, s1
	s_wait_dscnt 0x0
	s_barrier_signal -1
	s_barrier_wait -1
	s_and_saveexec_b32 s1, s34
	s_cbranch_execz .LBB115_130
; %bb.129:                              ;   in Loop: Header=BB115_3 Depth=1
	ds_load_b32 v32, v44 offset:2080
	ds_load_b32 v33, v43
	s_wait_dscnt 0x0
	v_fmac_f32_e32 v4, v32, v33
.LBB115_130:                            ;   in Loop: Header=BB115_3 Depth=1
	s_or_b32 exec_lo, exec_lo, s1
	s_barrier_signal -1
	s_barrier_wait -1
	s_and_saveexec_b32 s1, s35
; %bb.131:                              ;   in Loop: Header=BB115_3 Depth=1
	ds_store_b32 v43, v4
; %bb.132:                              ;   in Loop: Header=BB115_3 Depth=1
	s_or_b32 exec_lo, exec_lo, s1
	s_wait_dscnt 0x0
	s_barrier_signal -1
	s_barrier_wait -1
	s_and_saveexec_b32 s1, s36
	s_cbranch_execz .LBB115_134
; %bb.133:                              ;   in Loop: Header=BB115_3 Depth=1
	ds_load_b32 v32, v44 offset:2336
	ds_load_b32 v33, v43
	s_wait_dscnt 0x0
	v_fmac_f32_e32 v4, v32, v33
.LBB115_134:                            ;   in Loop: Header=BB115_3 Depth=1
	s_or_b32 exec_lo, exec_lo, s1
	s_barrier_signal -1
	s_barrier_wait -1
	;; [unrolled: 19-line block ×7, first 2 shown]
	s_and_saveexec_b32 s1, s46
; %bb.155:                              ;   in Loop: Header=BB115_3 Depth=1
	ds_store_b32 v43, v4
; %bb.156:                              ;   in Loop: Header=BB115_3 Depth=1
	s_or_b32 exec_lo, exec_lo, s1
	s_wait_dscnt 0x0
	s_barrier_signal -1
	s_barrier_wait -1
	s_barrier_signal -1
	s_barrier_wait -1
	s_and_saveexec_b32 s1, s4
; %bb.157:                              ;   in Loop: Header=BB115_3 Depth=1
	v_xor_b32_e32 v4, 0x80000000, v4
	ds_store_b32 v46, v4 offset:32
; %bb.158:                              ;   in Loop: Header=BB115_3 Depth=1
	s_or_b32 exec_lo, exec_lo, s1
	s_wait_dscnt 0x0
	s_barrier_signal -1
	s_barrier_wait -1
	s_barrier_signal -1
	s_barrier_wait -1
	s_and_saveexec_b32 s1, s11
; %bb.159:                              ;   in Loop: Header=BB115_3 Depth=1
	v_add_nc_u32_e64 v4, 0x800, 0
	ds_store_2addr_b32 v4, v65, v65 offset0:8 offset1:73
; %bb.160:                              ;   in Loop: Header=BB115_3 Depth=1
	s_or_b32 exec_lo, exec_lo, s1
	v_mov_b32_e32 v4, 0
	s_wait_dscnt 0x0
	s_barrier_signal -1
	s_barrier_wait -1
	s_and_saveexec_b32 s8, s2
	s_cbranch_execz .LBB115_164
; %bb.161:                              ;   in Loop: Header=BB115_3 Depth=1
	ds_load_b32 v4, v34 offset:2088
	ds_load_b32 v32, v35 offset:2080
	s_wait_dscnt 0x0
	v_fma_f32 v4, v4, v32, 0
	s_and_saveexec_b32 s1, s12
	s_cbranch_execz .LBB115_163
; %bb.162:                              ;   in Loop: Header=BB115_3 Depth=1
	ds_load_b32 v32, v38 offset:2344
	ds_load_b32 v33, v5 offset:2084
	s_wait_dscnt 0x0
	v_fmac_f32_e32 v4, v32, v33
.LBB115_163:                            ;   in Loop: Header=BB115_3 Depth=1
	s_or_b32 exec_lo, exec_lo, s1
	s_delay_alu instid0(VALU_DEP_1)
	v_xor_b32_e32 v4, 0x80000000, v4
.LBB115_164:                            ;   in Loop: Header=BB115_3 Depth=1
	s_or_b32 exec_lo, exec_lo, s8
	s_and_saveexec_b32 s1, s99
; %bb.165:                              ;   in Loop: Header=BB115_3 Depth=1
	ds_store_b32 v9, v4
; %bb.166:                              ;   in Loop: Header=BB115_3 Depth=1
	s_or_b32 exec_lo, exec_lo, s1
	s_wait_dscnt 0x0
	s_barrier_signal -1
	s_barrier_wait -1
	s_and_saveexec_b32 s1, s100
	s_cbranch_execz .LBB115_168
; %bb.167:                              ;   in Loop: Header=BB115_3 Depth=1
	ds_load_b32 v32, v5 offset:2604
	ds_load_b32 v33, v9
	s_wait_dscnt 0x0
	v_fmac_f32_e32 v4, v32, v33
.LBB115_168:                            ;   in Loop: Header=BB115_3 Depth=1
	s_or_b32 exec_lo, exec_lo, s1
	s_barrier_signal -1
	s_barrier_wait -1
	s_and_saveexec_b32 s1, s100
; %bb.169:                              ;   in Loop: Header=BB115_3 Depth=1
	ds_store_b32 v9, v4
; %bb.170:                              ;   in Loop: Header=BB115_3 Depth=1
	s_or_b32 exec_lo, exec_lo, s1
	s_wait_dscnt 0x0
	s_barrier_signal -1
	s_barrier_wait -1
	s_barrier_signal -1
	s_barrier_wait -1
	s_and_saveexec_b32 s1, s2
; %bb.171:                              ;   in Loop: Header=BB115_3 Depth=1
	v_xor_b32_e32 v4, 0x80000000, v4
	ds_store_b32 v34, v4 offset:2088
; %bb.172:                              ;   in Loop: Header=BB115_3 Depth=1
	s_or_b32 exec_lo, exec_lo, s1
	s_wait_dscnt 0x0
	s_barrier_signal -1
	s_barrier_wait -1
	s_barrier_signal -1
	s_barrier_wait -1
	s_and_saveexec_b32 s1, s11
; %bb.173:                              ;   in Loop: Header=BB115_3 Depth=1
	v_add_nc_u32_e64 v4, 0x800, 0
	ds_store_2addr_b32 v4, v65, v65 offset0:138 offset1:203
; %bb.174:                              ;   in Loop: Header=BB115_3 Depth=1
	s_or_b32 exec_lo, exec_lo, s1
	v_mov_b32_e32 v4, 0
	s_wait_dscnt 0x0
	s_barrier_signal -1
	s_barrier_wait -1
	s_and_saveexec_b32 s8, s3
	s_cbranch_execz .LBB115_180
; %bb.175:                              ;   in Loop: Header=BB115_3 Depth=1
	ds_load_b32 v4, v40 offset:2096
	ds_load_b32 v32, v36 offset:2080
	s_wait_dscnt 0x0
	v_fma_f32 v4, v4, v32, 0
	s_and_saveexec_b32 s1, s13
	s_cbranch_execnz .LBB115_1121
; %bb.176:                              ;   in Loop: Header=BB115_3 Depth=1
	s_or_b32 exec_lo, exec_lo, s1
	s_and_saveexec_b32 s1, s14
	s_cbranch_execnz .LBB115_1122
.LBB115_177:                            ;   in Loop: Header=BB115_3 Depth=1
	s_or_b32 exec_lo, exec_lo, s1
	s_and_saveexec_b32 s1, s2
	s_cbranch_execz .LBB115_179
.LBB115_178:                            ;   in Loop: Header=BB115_3 Depth=1
	ds_load_b32 v32, v38 offset:2864
	ds_load_b32 v33, v5 offset:2092
	s_wait_dscnt 0x0
	v_fmac_f32_e32 v4, v32, v33
.LBB115_179:                            ;   in Loop: Header=BB115_3 Depth=1
	s_or_b32 exec_lo, exec_lo, s1
	s_delay_alu instid0(VALU_DEP_1)
	v_xor_b32_e32 v4, 0x80000000, v4
.LBB115_180:                            ;   in Loop: Header=BB115_3 Depth=1
	s_or_b32 exec_lo, exec_lo, s8
	s_and_saveexec_b32 s1, s101
; %bb.181:                              ;   in Loop: Header=BB115_3 Depth=1
	ds_store_b32 v39, v4
; %bb.182:                              ;   in Loop: Header=BB115_3 Depth=1
	s_or_b32 exec_lo, exec_lo, s1
	s_wait_dscnt 0x0
	s_barrier_signal -1
	s_barrier_wait -1
	s_and_saveexec_b32 s1, s102
	s_cbranch_execz .LBB115_184
; %bb.183:                              ;   in Loop: Header=BB115_3 Depth=1
	ds_load_b32 v32, v37 offset:3120
	ds_load_b32 v33, v39
	s_wait_dscnt 0x0
	v_fmac_f32_e32 v4, v32, v33
.LBB115_184:                            ;   in Loop: Header=BB115_3 Depth=1
	s_or_b32 exec_lo, exec_lo, s1
	s_barrier_signal -1
	s_barrier_wait -1
	s_and_saveexec_b32 s1, s103
; %bb.185:                              ;   in Loop: Header=BB115_3 Depth=1
	ds_store_b32 v39, v4
; %bb.186:                              ;   in Loop: Header=BB115_3 Depth=1
	s_or_b32 exec_lo, exec_lo, s1
	s_wait_dscnt 0x0
	s_barrier_signal -1
	s_barrier_wait -1
	s_and_saveexec_b32 s1, s104
	s_cbranch_execz .LBB115_188
; %bb.187:                              ;   in Loop: Header=BB115_3 Depth=1
	ds_load_b32 v32, v37 offset:3376
	ds_load_b32 v33, v39
	s_wait_dscnt 0x0
	v_fmac_f32_e32 v4, v32, v33
.LBB115_188:                            ;   in Loop: Header=BB115_3 Depth=1
	s_or_b32 exec_lo, exec_lo, s1
	s_barrier_signal -1
	s_barrier_wait -1
	s_and_saveexec_b32 s1, vcc_hi
; %bb.189:                              ;   in Loop: Header=BB115_3 Depth=1
	ds_store_b32 v39, v4
; %bb.190:                              ;   in Loop: Header=BB115_3 Depth=1
	s_or_b32 exec_lo, exec_lo, s1
	s_wait_dscnt 0x0
	s_barrier_signal -1
	s_barrier_wait -1
	s_and_saveexec_b32 s1, s31
	s_cbranch_execz .LBB115_192
; %bb.191:                              ;   in Loop: Header=BB115_3 Depth=1
	ds_load_b32 v32, v5 offset:3644
	ds_load_b32 v33, v39
	s_wait_dscnt 0x0
	v_fmac_f32_e32 v4, v32, v33
.LBB115_192:                            ;   in Loop: Header=BB115_3 Depth=1
	s_or_b32 exec_lo, exec_lo, s1
	s_barrier_signal -1
	s_barrier_wait -1
	s_and_saveexec_b32 s1, s31
; %bb.193:                              ;   in Loop: Header=BB115_3 Depth=1
	ds_store_b32 v39, v4
; %bb.194:                              ;   in Loop: Header=BB115_3 Depth=1
	s_or_b32 exec_lo, exec_lo, s1
	s_wait_dscnt 0x0
	s_barrier_signal -1
	s_barrier_wait -1
	s_barrier_signal -1
	s_barrier_wait -1
	s_and_saveexec_b32 s1, s3
; %bb.195:                              ;   in Loop: Header=BB115_3 Depth=1
	v_xor_b32_e32 v4, 0x80000000, v4
	ds_store_b32 v40, v4 offset:2096
; %bb.196:                              ;   in Loop: Header=BB115_3 Depth=1
	s_or_b32 exec_lo, exec_lo, s1
	s_wait_dscnt 0x0
	s_barrier_signal -1
	s_barrier_wait -1
	s_barrier_signal -1
	s_barrier_wait -1
	s_and_saveexec_b32 s1, s11
; %bb.197:                              ;   in Loop: Header=BB115_3 Depth=1
	v_add_nc_u32_e64 v4, 0xc00, 0
	ds_store_2addr_b32 v4, v65, v65 offset0:12 offset1:77
; %bb.198:                              ;   in Loop: Header=BB115_3 Depth=1
	s_or_b32 exec_lo, exec_lo, s1
	v_mov_b32_e32 v4, 0
	s_wait_dscnt 0x0
	s_barrier_signal -1
	s_barrier_wait -1
	s_and_saveexec_b32 s8, s2
	s_cbranch_execz .LBB115_202
; %bb.199:                              ;   in Loop: Header=BB115_3 Depth=1
	ds_load_b32 v4, v34 offset:3128
	ds_load_b32 v32, v35 offset:3120
	s_wait_dscnt 0x0
	v_fma_f32 v4, v4, v32, 0
	s_and_saveexec_b32 s1, s12
	s_cbranch_execz .LBB115_201
; %bb.200:                              ;   in Loop: Header=BB115_3 Depth=1
	ds_load_b32 v32, v38 offset:3384
	ds_load_b32 v33, v5 offset:3124
	s_wait_dscnt 0x0
	v_fmac_f32_e32 v4, v32, v33
.LBB115_201:                            ;   in Loop: Header=BB115_3 Depth=1
	s_or_b32 exec_lo, exec_lo, s1
	s_delay_alu instid0(VALU_DEP_1)
	v_xor_b32_e32 v4, 0x80000000, v4
.LBB115_202:                            ;   in Loop: Header=BB115_3 Depth=1
	s_or_b32 exec_lo, exec_lo, s8
	s_and_saveexec_b32 s1, s99
; %bb.203:                              ;   in Loop: Header=BB115_3 Depth=1
	ds_store_b32 v9, v4
; %bb.204:                              ;   in Loop: Header=BB115_3 Depth=1
	s_or_b32 exec_lo, exec_lo, s1
	s_wait_dscnt 0x0
	s_barrier_signal -1
	s_barrier_wait -1
	s_and_saveexec_b32 s1, s100
	s_cbranch_execz .LBB115_206
; %bb.205:                              ;   in Loop: Header=BB115_3 Depth=1
	ds_load_b32 v32, v5 offset:3644
	ds_load_b32 v33, v9
	s_wait_dscnt 0x0
	v_fmac_f32_e32 v4, v32, v33
.LBB115_206:                            ;   in Loop: Header=BB115_3 Depth=1
	s_or_b32 exec_lo, exec_lo, s1
	s_barrier_signal -1
	s_barrier_wait -1
	s_and_saveexec_b32 s1, s100
; %bb.207:                              ;   in Loop: Header=BB115_3 Depth=1
	ds_store_b32 v9, v4
; %bb.208:                              ;   in Loop: Header=BB115_3 Depth=1
	s_or_b32 exec_lo, exec_lo, s1
	s_wait_dscnt 0x0
	s_barrier_signal -1
	s_barrier_wait -1
	s_barrier_signal -1
	s_barrier_wait -1
	s_and_saveexec_b32 s1, s2
; %bb.209:                              ;   in Loop: Header=BB115_3 Depth=1
	v_xor_b32_e32 v4, 0x80000000, v4
	ds_store_b32 v34, v4 offset:3128
; %bb.210:                              ;   in Loop: Header=BB115_3 Depth=1
	s_or_b32 exec_lo, exec_lo, s1
	s_wait_dscnt 0x0
	s_barrier_signal -1
	s_barrier_wait -1
	s_barrier_signal -1
	s_barrier_wait -1
	s_and_saveexec_b32 s1, s11
; %bb.211:                              ;   in Loop: Header=BB115_3 Depth=1
	v_add_nc_u32_e64 v4, 0xc00, 0
	ds_store_2addr_b32 v4, v65, v65 offset0:142 offset1:207
; %bb.212:                              ;   in Loop: Header=BB115_3 Depth=1
	s_or_b32 exec_lo, exec_lo, s1
	v_mov_b32_e32 v4, 0
	s_wait_dscnt 0x0
	s_barrier_signal -1
	s_barrier_wait -1
	s_and_saveexec_b32 s65, s5
	s_cbranch_execz .LBB115_240
; %bb.213:                              ;   in Loop: Header=BB115_3 Depth=1
	ds_load_b32 v4, v53 offset:64
	ds_load_b32 v32, v45
	s_wait_dscnt 0x0
	v_fma_f32 v4, v4, v32, 0
	s_mov_b32 s1, exec_lo
	v_readlane_b32 s8, v77, 16
	s_and_b32 s8, s1, s8
	s_delay_alu instid0(SALU_CYCLE_1)
	s_mov_b32 exec_lo, s8
	s_cbranch_execz .LBB115_215
; %bb.214:                              ;   in Loop: Header=BB115_3 Depth=1
	ds_load_b32 v32, v54 offset:320
	ds_load_b32 v33, v45 offset:4
	s_wait_dscnt 0x0
	v_fmac_f32_e32 v4, v32, v33
.LBB115_215:                            ;   in Loop: Header=BB115_3 Depth=1
	s_or_b32 exec_lo, exec_lo, s1
	s_delay_alu instid0(SALU_CYCLE_1) | instskip(SKIP_2) | instid1(SALU_CYCLE_1)
	s_mov_b32 s1, exec_lo
	v_readlane_b32 s8, v77, 17
	s_and_b32 s8, s1, s8
	s_mov_b32 exec_lo, s8
	s_cbranch_execz .LBB115_217
; %bb.216:                              ;   in Loop: Header=BB115_3 Depth=1
	ds_load_b32 v32, v54 offset:576
	ds_load_b32 v33, v45 offset:8
	s_wait_dscnt 0x0
	v_fmac_f32_e32 v4, v32, v33
.LBB115_217:                            ;   in Loop: Header=BB115_3 Depth=1
	s_or_b32 exec_lo, exec_lo, s1
	s_delay_alu instid0(SALU_CYCLE_1) | instskip(SKIP_2) | instid1(SALU_CYCLE_1)
	s_mov_b32 s1, exec_lo
	v_readlane_b32 s8, v77, 18
	s_and_b32 s8, s1, s8
	;; [unrolled: 13-line block ×10, first 2 shown]
	s_mov_b32 exec_lo, s8
	s_cbranch_execnz .LBB115_1123
; %bb.234:                              ;   in Loop: Header=BB115_3 Depth=1
	s_or_b32 exec_lo, exec_lo, s1
	s_and_saveexec_b32 s1, s4
	s_cbranch_execnz .LBB115_1124
.LBB115_235:                            ;   in Loop: Header=BB115_3 Depth=1
	s_or_b32 exec_lo, exec_lo, s1
	s_and_saveexec_b32 s1, s16
	s_cbranch_execnz .LBB115_1125
.LBB115_236:                            ;   in Loop: Header=BB115_3 Depth=1
	s_or_b32 exec_lo, exec_lo, s1
	s_and_saveexec_b32 s1, s18
	s_cbranch_execnz .LBB115_1126
.LBB115_237:                            ;   in Loop: Header=BB115_3 Depth=1
	s_or_b32 exec_lo, exec_lo, s1
	s_and_saveexec_b32 s1, s3
	s_cbranch_execz .LBB115_239
.LBB115_238:                            ;   in Loop: Header=BB115_3 Depth=1
	ds_load_b32 v32, v38 offset:3904
	ds_load_b32 v33, v5 offset:60
	s_wait_dscnt 0x0
	v_fmac_f32_e32 v4, v32, v33
.LBB115_239:                            ;   in Loop: Header=BB115_3 Depth=1
	s_or_b32 exec_lo, exec_lo, s1
	s_delay_alu instid0(VALU_DEP_1)
	v_xor_b32_e32 v4, 0x80000000, v4
.LBB115_240:                            ;   in Loop: Header=BB115_3 Depth=1
	s_or_b32 exec_lo, exec_lo, s65
	s_delay_alu instid0(SALU_CYCLE_1) | instskip(SKIP_2) | instid1(SALU_CYCLE_1)
	s_mov_b32 s1, exec_lo
	v_readlane_b32 s8, v79, 3
	s_and_b32 s8, s1, s8
	s_mov_b32 exec_lo, s8
; %bb.241:                              ;   in Loop: Header=BB115_3 Depth=1
	ds_store_b32 v52, v4
; %bb.242:                              ;   in Loop: Header=BB115_3 Depth=1
	s_or_b32 exec_lo, exec_lo, s1
	s_wait_dscnt 0x0
	s_barrier_signal -1
	s_barrier_wait -1
	s_mov_b32 s1, exec_lo
	v_readlane_b32 s8, v79, 4
	s_and_b32 s8, s1, s8
	s_delay_alu instid0(SALU_CYCLE_1)
	s_mov_b32 exec_lo, s8
	s_cbranch_execz .LBB115_244
; %bb.243:                              ;   in Loop: Header=BB115_3 Depth=1
	ds_load_b32 v32, v48 offset:4160
	ds_load_b32 v33, v52
	s_wait_dscnt 0x0
	v_fmac_f32_e32 v4, v32, v33
.LBB115_244:                            ;   in Loop: Header=BB115_3 Depth=1
	s_or_b32 exec_lo, exec_lo, s1
	s_barrier_signal -1
	s_barrier_wait -1
	s_and_saveexec_b32 s1, s49
; %bb.245:                              ;   in Loop: Header=BB115_3 Depth=1
	ds_store_b32 v52, v4
; %bb.246:                              ;   in Loop: Header=BB115_3 Depth=1
	s_or_b32 exec_lo, exec_lo, s1
	s_wait_dscnt 0x0
	s_barrier_signal -1
	s_barrier_wait -1
	s_and_saveexec_b32 s1, s50
	s_cbranch_execz .LBB115_248
; %bb.247:                              ;   in Loop: Header=BB115_3 Depth=1
	ds_load_b32 v32, v48 offset:4416
	ds_load_b32 v33, v52
	s_wait_dscnt 0x0
	v_fmac_f32_e32 v4, v32, v33
.LBB115_248:                            ;   in Loop: Header=BB115_3 Depth=1
	s_or_b32 exec_lo, exec_lo, s1
	s_barrier_signal -1
	s_barrier_wait -1
	s_and_saveexec_b32 s1, s51
; %bb.249:                              ;   in Loop: Header=BB115_3 Depth=1
	ds_store_b32 v52, v4
; %bb.250:                              ;   in Loop: Header=BB115_3 Depth=1
	s_or_b32 exec_lo, exec_lo, s1
	s_wait_dscnt 0x0
	s_barrier_signal -1
	s_barrier_wait -1
	s_and_saveexec_b32 s1, s52
	s_cbranch_execz .LBB115_252
; %bb.251:                              ;   in Loop: Header=BB115_3 Depth=1
	ds_load_b32 v32, v48 offset:4672
	ds_load_b32 v33, v52
	s_wait_dscnt 0x0
	v_fmac_f32_e32 v4, v32, v33
.LBB115_252:                            ;   in Loop: Header=BB115_3 Depth=1
	s_or_b32 exec_lo, exec_lo, s1
	s_barrier_signal -1
	s_barrier_wait -1
	s_and_saveexec_b32 s1, s53
; %bb.253:                              ;   in Loop: Header=BB115_3 Depth=1
	ds_store_b32 v52, v4
; %bb.254:                              ;   in Loop: Header=BB115_3 Depth=1
	s_or_b32 exec_lo, exec_lo, s1
	s_wait_dscnt 0x0
	s_barrier_signal -1
	s_barrier_wait -1
	s_and_saveexec_b32 s1, s54
	s_cbranch_execz .LBB115_256
; %bb.255:                              ;   in Loop: Header=BB115_3 Depth=1
	ds_load_b32 v32, v48 offset:4928
	ds_load_b32 v33, v52
	s_wait_dscnt 0x0
	v_fmac_f32_e32 v4, v32, v33
.LBB115_256:                            ;   in Loop: Header=BB115_3 Depth=1
	s_or_b32 exec_lo, exec_lo, s1
	s_barrier_signal -1
	s_barrier_wait -1
	s_and_saveexec_b32 s1, s94
; %bb.257:                              ;   in Loop: Header=BB115_3 Depth=1
	ds_store_b32 v52, v4
; %bb.258:                              ;   in Loop: Header=BB115_3 Depth=1
	s_or_b32 exec_lo, exec_lo, s1
	s_wait_dscnt 0x0
	s_barrier_signal -1
	s_barrier_wait -1
	s_and_saveexec_b32 s1, s20
	s_cbranch_execz .LBB115_260
; %bb.259:                              ;   in Loop: Header=BB115_3 Depth=1
	ds_load_b32 v32, v48 offset:5184
	ds_load_b32 v33, v52
	s_wait_dscnt 0x0
	v_fmac_f32_e32 v4, v32, v33
.LBB115_260:                            ;   in Loop: Header=BB115_3 Depth=1
	s_or_b32 exec_lo, exec_lo, s1
	s_barrier_signal -1
	s_barrier_wait -1
	s_and_saveexec_b32 s1, s22
; %bb.261:                              ;   in Loop: Header=BB115_3 Depth=1
	ds_store_b32 v52, v4
; %bb.262:                              ;   in Loop: Header=BB115_3 Depth=1
	s_or_b32 exec_lo, exec_lo, s1
	s_wait_dscnt 0x0
	s_barrier_signal -1
	s_barrier_wait -1
	s_and_saveexec_b32 s1, s24
	s_cbranch_execz .LBB115_264
; %bb.263:                              ;   in Loop: Header=BB115_3 Depth=1
	ds_load_b32 v32, v48 offset:5440
	ds_load_b32 v33, v52
	s_wait_dscnt 0x0
	v_fmac_f32_e32 v4, v32, v33
.LBB115_264:                            ;   in Loop: Header=BB115_3 Depth=1
	s_or_b32 exec_lo, exec_lo, s1
	s_barrier_signal -1
	s_barrier_wait -1
	s_and_saveexec_b32 s1, s26
; %bb.265:                              ;   in Loop: Header=BB115_3 Depth=1
	ds_store_b32 v52, v4
; %bb.266:                              ;   in Loop: Header=BB115_3 Depth=1
	s_or_b32 exec_lo, exec_lo, s1
	s_wait_dscnt 0x0
	s_barrier_signal -1
	s_barrier_wait -1
	s_and_saveexec_b32 s1, s28
	s_cbranch_execz .LBB115_268
; %bb.267:                              ;   in Loop: Header=BB115_3 Depth=1
	ds_load_b32 v32, v48 offset:5696
	ds_load_b32 v33, v52
	s_wait_dscnt 0x0
	v_fmac_f32_e32 v4, v32, v33
.LBB115_268:                            ;   in Loop: Header=BB115_3 Depth=1
	s_or_b32 exec_lo, exec_lo, s1
	s_barrier_signal -1
	s_barrier_wait -1
	s_and_saveexec_b32 s1, s30
; %bb.269:                              ;   in Loop: Header=BB115_3 Depth=1
	ds_store_b32 v52, v4
; %bb.270:                              ;   in Loop: Header=BB115_3 Depth=1
	s_or_b32 exec_lo, exec_lo, s1
	s_wait_dscnt 0x0
	s_barrier_signal -1
	s_barrier_wait -1
	s_and_saveexec_b32 s1, s57
	s_cbranch_execz .LBB115_272
; %bb.271:                              ;   in Loop: Header=BB115_3 Depth=1
	ds_load_b32 v32, v48 offset:5952
	ds_load_b32 v33, v52
	s_wait_dscnt 0x0
	v_fmac_f32_e32 v4, v32, v33
.LBB115_272:                            ;   in Loop: Header=BB115_3 Depth=1
	s_or_b32 exec_lo, exec_lo, s1
	s_barrier_signal -1
	s_barrier_wait -1
	s_and_saveexec_b32 s1, s58
; %bb.273:                              ;   in Loop: Header=BB115_3 Depth=1
	ds_store_b32 v52, v4
; %bb.274:                              ;   in Loop: Header=BB115_3 Depth=1
	s_or_b32 exec_lo, exec_lo, s1
	s_wait_dscnt 0x0
	s_barrier_signal -1
	s_barrier_wait -1
	s_and_saveexec_b32 s1, s59
	s_cbranch_execz .LBB115_276
; %bb.275:                              ;   in Loop: Header=BB115_3 Depth=1
	ds_load_b32 v32, v48 offset:6208
	ds_load_b32 v33, v52
	s_wait_dscnt 0x0
	v_fmac_f32_e32 v4, v32, v33
.LBB115_276:                            ;   in Loop: Header=BB115_3 Depth=1
	s_or_b32 exec_lo, exec_lo, s1
	s_barrier_signal -1
	s_barrier_wait -1
	s_and_saveexec_b32 s1, s60
; %bb.277:                              ;   in Loop: Header=BB115_3 Depth=1
	ds_store_b32 v52, v4
; %bb.278:                              ;   in Loop: Header=BB115_3 Depth=1
	s_or_b32 exec_lo, exec_lo, s1
	s_wait_dscnt 0x0
	s_barrier_signal -1
	s_barrier_wait -1
	s_and_saveexec_b32 s1, s61
	s_cbranch_execz .LBB115_280
; %bb.279:                              ;   in Loop: Header=BB115_3 Depth=1
	ds_load_b32 v32, v48 offset:6464
	ds_load_b32 v33, v52
	s_wait_dscnt 0x0
	v_fmac_f32_e32 v4, v32, v33
.LBB115_280:                            ;   in Loop: Header=BB115_3 Depth=1
	s_or_b32 exec_lo, exec_lo, s1
	s_barrier_signal -1
	s_barrier_wait -1
	s_and_saveexec_b32 s1, s62
; %bb.281:                              ;   in Loop: Header=BB115_3 Depth=1
	ds_store_b32 v52, v4
; %bb.282:                              ;   in Loop: Header=BB115_3 Depth=1
	s_or_b32 exec_lo, exec_lo, s1
	s_wait_dscnt 0x0
	s_barrier_signal -1
	s_barrier_wait -1
	s_and_saveexec_b32 s1, s63
	s_cbranch_execz .LBB115_284
; %bb.283:                              ;   in Loop: Header=BB115_3 Depth=1
	ds_load_b32 v32, v48 offset:6720
	ds_load_b32 v33, v52
	s_wait_dscnt 0x0
	v_fmac_f32_e32 v4, v32, v33
.LBB115_284:                            ;   in Loop: Header=BB115_3 Depth=1
	s_or_b32 exec_lo, exec_lo, s1
	s_barrier_signal -1
	s_barrier_wait -1
	s_and_saveexec_b32 s1, s64
; %bb.285:                              ;   in Loop: Header=BB115_3 Depth=1
	ds_store_b32 v52, v4
; %bb.286:                              ;   in Loop: Header=BB115_3 Depth=1
	s_or_b32 exec_lo, exec_lo, s1
	s_wait_dscnt 0x0
	s_barrier_signal -1
	s_barrier_wait -1
	s_and_saveexec_b32 s1, s21
	s_cbranch_execz .LBB115_288
; %bb.287:                              ;   in Loop: Header=BB115_3 Depth=1
	ds_load_b32 v32, v48 offset:6976
	ds_load_b32 v33, v52
	s_wait_dscnt 0x0
	v_fmac_f32_e32 v4, v32, v33
.LBB115_288:                            ;   in Loop: Header=BB115_3 Depth=1
	s_or_b32 exec_lo, exec_lo, s1
	s_barrier_signal -1
	s_barrier_wait -1
	s_and_saveexec_b32 s1, s23
; %bb.289:                              ;   in Loop: Header=BB115_3 Depth=1
	ds_store_b32 v52, v4
; %bb.290:                              ;   in Loop: Header=BB115_3 Depth=1
	s_or_b32 exec_lo, exec_lo, s1
	s_wait_dscnt 0x0
	s_barrier_signal -1
	s_barrier_wait -1
	s_and_saveexec_b32 s1, s25
	s_cbranch_execz .LBB115_292
; %bb.291:                              ;   in Loop: Header=BB115_3 Depth=1
	ds_load_b32 v32, v48 offset:7232
	ds_load_b32 v33, v52
	s_wait_dscnt 0x0
	v_fmac_f32_e32 v4, v32, v33
.LBB115_292:                            ;   in Loop: Header=BB115_3 Depth=1
	s_or_b32 exec_lo, exec_lo, s1
	s_barrier_signal -1
	s_barrier_wait -1
	s_and_saveexec_b32 s1, s27
; %bb.293:                              ;   in Loop: Header=BB115_3 Depth=1
	ds_store_b32 v52, v4
; %bb.294:                              ;   in Loop: Header=BB115_3 Depth=1
	s_or_b32 exec_lo, exec_lo, s1
	s_wait_dscnt 0x0
	s_barrier_signal -1
	s_barrier_wait -1
	s_and_saveexec_b32 s1, s29
	s_cbranch_execz .LBB115_296
; %bb.295:                              ;   in Loop: Header=BB115_3 Depth=1
	ds_load_b32 v32, v48 offset:7488
	ds_load_b32 v33, v52
	s_wait_dscnt 0x0
	v_fmac_f32_e32 v4, v32, v33
.LBB115_296:                            ;   in Loop: Header=BB115_3 Depth=1
	s_or_b32 exec_lo, exec_lo, s1
	s_barrier_signal -1
	s_barrier_wait -1
	s_and_saveexec_b32 s1, s92
; %bb.297:                              ;   in Loop: Header=BB115_3 Depth=1
	ds_store_b32 v52, v4
; %bb.298:                              ;   in Loop: Header=BB115_3 Depth=1
	s_or_b32 exec_lo, exec_lo, s1
	s_wait_dscnt 0x0
	s_barrier_signal -1
	s_barrier_wait -1
	s_and_saveexec_b32 s1, s96
	s_cbranch_execz .LBB115_300
; %bb.299:                              ;   in Loop: Header=BB115_3 Depth=1
	ds_load_b32 v32, v5 offset:7804
	ds_load_b32 v33, v52
	s_wait_dscnt 0x0
	v_fmac_f32_e32 v4, v32, v33
.LBB115_300:                            ;   in Loop: Header=BB115_3 Depth=1
	s_or_b32 exec_lo, exec_lo, s1
	s_barrier_signal -1
	s_barrier_wait -1
	s_and_saveexec_b32 s1, s96
; %bb.301:                              ;   in Loop: Header=BB115_3 Depth=1
	ds_store_b32 v52, v4
; %bb.302:                              ;   in Loop: Header=BB115_3 Depth=1
	s_or_b32 exec_lo, exec_lo, s1
	s_wait_dscnt 0x0
	s_barrier_signal -1
	s_barrier_wait -1
	s_barrier_signal -1
	s_barrier_wait -1
	s_and_saveexec_b32 s1, s5
; %bb.303:                              ;   in Loop: Header=BB115_3 Depth=1
	v_xor_b32_e32 v4, 0x80000000, v4
	ds_store_b32 v53, v4 offset:64
; %bb.304:                              ;   in Loop: Header=BB115_3 Depth=1
	s_or_b32 exec_lo, exec_lo, s1
	s_wait_dscnt 0x0
	s_barrier_signal -1
	s_barrier_wait -1
	s_barrier_signal -1
	s_barrier_wait -1
	s_and_saveexec_b32 s1, s11
; %bb.305:                              ;   in Loop: Header=BB115_3 Depth=1
	v_add_nc_u32_e64 v4, 0x1000, 0
	ds_store_2addr_b32 v4, v65, v65 offset0:16 offset1:81
; %bb.306:                              ;   in Loop: Header=BB115_3 Depth=1
	s_or_b32 exec_lo, exec_lo, s1
	v_mov_b32_e32 v4, 0
	s_wait_dscnt 0x0
	s_barrier_signal -1
	s_barrier_wait -1
	s_and_saveexec_b32 s8, s2
	s_cbranch_execz .LBB115_310
; %bb.307:                              ;   in Loop: Header=BB115_3 Depth=1
	ds_load_b32 v4, v34 offset:4168
	ds_load_b32 v32, v35 offset:4160
	s_wait_dscnt 0x0
	v_fma_f32 v4, v4, v32, 0
	s_and_saveexec_b32 s1, s12
	s_cbranch_execz .LBB115_309
; %bb.308:                              ;   in Loop: Header=BB115_3 Depth=1
	ds_load_b32 v32, v38 offset:4424
	ds_load_b32 v33, v5 offset:4164
	s_wait_dscnt 0x0
	v_fmac_f32_e32 v4, v32, v33
.LBB115_309:                            ;   in Loop: Header=BB115_3 Depth=1
	s_or_b32 exec_lo, exec_lo, s1
	s_delay_alu instid0(VALU_DEP_1)
	v_xor_b32_e32 v4, 0x80000000, v4
.LBB115_310:                            ;   in Loop: Header=BB115_3 Depth=1
	s_or_b32 exec_lo, exec_lo, s8
	s_and_saveexec_b32 s1, s99
; %bb.311:                              ;   in Loop: Header=BB115_3 Depth=1
	ds_store_b32 v9, v4
; %bb.312:                              ;   in Loop: Header=BB115_3 Depth=1
	s_or_b32 exec_lo, exec_lo, s1
	s_wait_dscnt 0x0
	s_barrier_signal -1
	s_barrier_wait -1
	s_and_saveexec_b32 s1, s100
	s_cbranch_execz .LBB115_314
; %bb.313:                              ;   in Loop: Header=BB115_3 Depth=1
	ds_load_b32 v32, v5 offset:4684
	ds_load_b32 v33, v9
	s_wait_dscnt 0x0
	v_fmac_f32_e32 v4, v32, v33
.LBB115_314:                            ;   in Loop: Header=BB115_3 Depth=1
	s_or_b32 exec_lo, exec_lo, s1
	s_barrier_signal -1
	s_barrier_wait -1
	s_and_saveexec_b32 s1, s100
; %bb.315:                              ;   in Loop: Header=BB115_3 Depth=1
	ds_store_b32 v9, v4
; %bb.316:                              ;   in Loop: Header=BB115_3 Depth=1
	s_or_b32 exec_lo, exec_lo, s1
	s_wait_dscnt 0x0
	s_barrier_signal -1
	s_barrier_wait -1
	s_barrier_signal -1
	s_barrier_wait -1
	s_and_saveexec_b32 s1, s2
; %bb.317:                              ;   in Loop: Header=BB115_3 Depth=1
	v_xor_b32_e32 v4, 0x80000000, v4
	ds_store_b32 v34, v4 offset:4168
; %bb.318:                              ;   in Loop: Header=BB115_3 Depth=1
	s_or_b32 exec_lo, exec_lo, s1
	s_wait_dscnt 0x0
	s_barrier_signal -1
	s_barrier_wait -1
	s_barrier_signal -1
	s_barrier_wait -1
	s_and_saveexec_b32 s1, s11
; %bb.319:                              ;   in Loop: Header=BB115_3 Depth=1
	v_add_nc_u32_e64 v4, 0x1000, 0
	ds_store_2addr_b32 v4, v65, v65 offset0:146 offset1:211
; %bb.320:                              ;   in Loop: Header=BB115_3 Depth=1
	s_or_b32 exec_lo, exec_lo, s1
	v_mov_b32_e32 v4, 0
	s_wait_dscnt 0x0
	s_barrier_signal -1
	s_barrier_wait -1
	s_and_saveexec_b32 s8, s3
	s_cbranch_execz .LBB115_326
; %bb.321:                              ;   in Loop: Header=BB115_3 Depth=1
	ds_load_b32 v4, v40 offset:4176
	ds_load_b32 v32, v36 offset:4160
	s_wait_dscnt 0x0
	v_fma_f32 v4, v4, v32, 0
	s_and_saveexec_b32 s1, s13
	s_cbranch_execnz .LBB115_1127
; %bb.322:                              ;   in Loop: Header=BB115_3 Depth=1
	s_or_b32 exec_lo, exec_lo, s1
	s_and_saveexec_b32 s1, s14
	s_cbranch_execnz .LBB115_1128
.LBB115_323:                            ;   in Loop: Header=BB115_3 Depth=1
	s_or_b32 exec_lo, exec_lo, s1
	s_and_saveexec_b32 s1, s2
	s_cbranch_execz .LBB115_325
.LBB115_324:                            ;   in Loop: Header=BB115_3 Depth=1
	ds_load_b32 v32, v38 offset:4944
	ds_load_b32 v33, v5 offset:4172
	s_wait_dscnt 0x0
	v_fmac_f32_e32 v4, v32, v33
.LBB115_325:                            ;   in Loop: Header=BB115_3 Depth=1
	s_or_b32 exec_lo, exec_lo, s1
	s_delay_alu instid0(VALU_DEP_1)
	v_xor_b32_e32 v4, 0x80000000, v4
.LBB115_326:                            ;   in Loop: Header=BB115_3 Depth=1
	s_or_b32 exec_lo, exec_lo, s8
	s_and_saveexec_b32 s1, s101
; %bb.327:                              ;   in Loop: Header=BB115_3 Depth=1
	ds_store_b32 v39, v4
; %bb.328:                              ;   in Loop: Header=BB115_3 Depth=1
	s_or_b32 exec_lo, exec_lo, s1
	s_wait_dscnt 0x0
	s_barrier_signal -1
	s_barrier_wait -1
	s_and_saveexec_b32 s1, s102
	s_cbranch_execz .LBB115_330
; %bb.329:                              ;   in Loop: Header=BB115_3 Depth=1
	ds_load_b32 v32, v37 offset:5200
	ds_load_b32 v33, v39
	s_wait_dscnt 0x0
	v_fmac_f32_e32 v4, v32, v33
.LBB115_330:                            ;   in Loop: Header=BB115_3 Depth=1
	s_or_b32 exec_lo, exec_lo, s1
	s_barrier_signal -1
	s_barrier_wait -1
	s_and_saveexec_b32 s1, s103
; %bb.331:                              ;   in Loop: Header=BB115_3 Depth=1
	ds_store_b32 v39, v4
; %bb.332:                              ;   in Loop: Header=BB115_3 Depth=1
	s_or_b32 exec_lo, exec_lo, s1
	s_wait_dscnt 0x0
	s_barrier_signal -1
	s_barrier_wait -1
	s_and_saveexec_b32 s1, s104
	s_cbranch_execz .LBB115_334
; %bb.333:                              ;   in Loop: Header=BB115_3 Depth=1
	ds_load_b32 v32, v37 offset:5456
	ds_load_b32 v33, v39
	s_wait_dscnt 0x0
	v_fmac_f32_e32 v4, v32, v33
.LBB115_334:                            ;   in Loop: Header=BB115_3 Depth=1
	s_or_b32 exec_lo, exec_lo, s1
	s_barrier_signal -1
	s_barrier_wait -1
	s_and_saveexec_b32 s1, vcc_hi
; %bb.335:                              ;   in Loop: Header=BB115_3 Depth=1
	ds_store_b32 v39, v4
; %bb.336:                              ;   in Loop: Header=BB115_3 Depth=1
	s_or_b32 exec_lo, exec_lo, s1
	s_wait_dscnt 0x0
	s_barrier_signal -1
	s_barrier_wait -1
	s_and_saveexec_b32 s1, s31
	s_cbranch_execz .LBB115_338
; %bb.337:                              ;   in Loop: Header=BB115_3 Depth=1
	ds_load_b32 v32, v5 offset:5724
	ds_load_b32 v33, v39
	s_wait_dscnt 0x0
	v_fmac_f32_e32 v4, v32, v33
.LBB115_338:                            ;   in Loop: Header=BB115_3 Depth=1
	s_or_b32 exec_lo, exec_lo, s1
	s_barrier_signal -1
	s_barrier_wait -1
	s_and_saveexec_b32 s1, s31
; %bb.339:                              ;   in Loop: Header=BB115_3 Depth=1
	ds_store_b32 v39, v4
; %bb.340:                              ;   in Loop: Header=BB115_3 Depth=1
	s_or_b32 exec_lo, exec_lo, s1
	s_wait_dscnt 0x0
	s_barrier_signal -1
	s_barrier_wait -1
	s_barrier_signal -1
	s_barrier_wait -1
	s_and_saveexec_b32 s1, s3
; %bb.341:                              ;   in Loop: Header=BB115_3 Depth=1
	v_xor_b32_e32 v4, 0x80000000, v4
	ds_store_b32 v40, v4 offset:4176
; %bb.342:                              ;   in Loop: Header=BB115_3 Depth=1
	s_or_b32 exec_lo, exec_lo, s1
	s_wait_dscnt 0x0
	s_barrier_signal -1
	s_barrier_wait -1
	s_barrier_signal -1
	s_barrier_wait -1
	s_and_saveexec_b32 s1, s11
; %bb.343:                              ;   in Loop: Header=BB115_3 Depth=1
	v_add_nc_u32_e64 v4, 0x1400, 0
	ds_store_2addr_b32 v4, v65, v65 offset0:20 offset1:85
; %bb.344:                              ;   in Loop: Header=BB115_3 Depth=1
	s_or_b32 exec_lo, exec_lo, s1
	v_mov_b32_e32 v4, 0
	s_wait_dscnt 0x0
	s_barrier_signal -1
	s_barrier_wait -1
	s_and_saveexec_b32 s8, s2
	s_cbranch_execz .LBB115_348
; %bb.345:                              ;   in Loop: Header=BB115_3 Depth=1
	ds_load_b32 v4, v34 offset:5208
	ds_load_b32 v32, v35 offset:5200
	s_wait_dscnt 0x0
	v_fma_f32 v4, v4, v32, 0
	s_and_saveexec_b32 s1, s12
	s_cbranch_execz .LBB115_347
; %bb.346:                              ;   in Loop: Header=BB115_3 Depth=1
	ds_load_b32 v32, v38 offset:5464
	ds_load_b32 v33, v5 offset:5204
	s_wait_dscnt 0x0
	v_fmac_f32_e32 v4, v32, v33
.LBB115_347:                            ;   in Loop: Header=BB115_3 Depth=1
	s_or_b32 exec_lo, exec_lo, s1
	s_delay_alu instid0(VALU_DEP_1)
	v_xor_b32_e32 v4, 0x80000000, v4
.LBB115_348:                            ;   in Loop: Header=BB115_3 Depth=1
	s_or_b32 exec_lo, exec_lo, s8
	s_and_saveexec_b32 s1, s99
; %bb.349:                              ;   in Loop: Header=BB115_3 Depth=1
	ds_store_b32 v9, v4
; %bb.350:                              ;   in Loop: Header=BB115_3 Depth=1
	s_or_b32 exec_lo, exec_lo, s1
	s_wait_dscnt 0x0
	s_barrier_signal -1
	s_barrier_wait -1
	s_and_saveexec_b32 s1, s100
	s_cbranch_execz .LBB115_352
; %bb.351:                              ;   in Loop: Header=BB115_3 Depth=1
	ds_load_b32 v32, v5 offset:5724
	ds_load_b32 v33, v9
	s_wait_dscnt 0x0
	v_fmac_f32_e32 v4, v32, v33
.LBB115_352:                            ;   in Loop: Header=BB115_3 Depth=1
	s_or_b32 exec_lo, exec_lo, s1
	s_barrier_signal -1
	s_barrier_wait -1
	s_and_saveexec_b32 s1, s100
; %bb.353:                              ;   in Loop: Header=BB115_3 Depth=1
	ds_store_b32 v9, v4
; %bb.354:                              ;   in Loop: Header=BB115_3 Depth=1
	s_or_b32 exec_lo, exec_lo, s1
	s_wait_dscnt 0x0
	s_barrier_signal -1
	s_barrier_wait -1
	s_barrier_signal -1
	s_barrier_wait -1
	s_and_saveexec_b32 s1, s2
; %bb.355:                              ;   in Loop: Header=BB115_3 Depth=1
	v_xor_b32_e32 v4, 0x80000000, v4
	ds_store_b32 v34, v4 offset:5208
; %bb.356:                              ;   in Loop: Header=BB115_3 Depth=1
	s_or_b32 exec_lo, exec_lo, s1
	s_wait_dscnt 0x0
	s_barrier_signal -1
	s_barrier_wait -1
	s_barrier_signal -1
	s_barrier_wait -1
	s_and_saveexec_b32 s1, s11
; %bb.357:                              ;   in Loop: Header=BB115_3 Depth=1
	v_add_nc_u32_e64 v4, 0x1400, 0
	ds_store_2addr_b32 v4, v65, v65 offset0:150 offset1:215
; %bb.358:                              ;   in Loop: Header=BB115_3 Depth=1
	s_or_b32 exec_lo, exec_lo, s1
	v_mov_b32_e32 v4, 0
	s_wait_dscnt 0x0
	s_barrier_signal -1
	s_barrier_wait -1
	s_and_saveexec_b32 s8, s4
	s_cbranch_execz .LBB115_368
; %bb.359:                              ;   in Loop: Header=BB115_3 Depth=1
	ds_load_b32 v4, v46 offset:4192
	ds_load_b32 v32, v41 offset:4160
	s_wait_dscnt 0x0
	v_fma_f32 v4, v4, v32, 0
	s_and_saveexec_b32 s1, s15
	s_cbranch_execnz .LBB115_1129
; %bb.360:                              ;   in Loop: Header=BB115_3 Depth=1
	s_or_b32 exec_lo, exec_lo, s1
	s_and_saveexec_b32 s1, s16
	s_cbranch_execnz .LBB115_1130
.LBB115_361:                            ;   in Loop: Header=BB115_3 Depth=1
	s_or_b32 exec_lo, exec_lo, s1
	s_and_saveexec_b32 s1, s17
	s_cbranch_execnz .LBB115_1131
.LBB115_362:                            ;   in Loop: Header=BB115_3 Depth=1
	s_or_b32 exec_lo, exec_lo, s1
	s_and_saveexec_b32 s1, s18
	s_cbranch_execnz .LBB115_1132
.LBB115_363:                            ;   in Loop: Header=BB115_3 Depth=1
	s_or_b32 exec_lo, exec_lo, s1
	s_and_saveexec_b32 s1, s19
	s_cbranch_execnz .LBB115_1133
.LBB115_364:                            ;   in Loop: Header=BB115_3 Depth=1
	s_or_b32 exec_lo, exec_lo, s1
	s_and_saveexec_b32 s1, s3
	s_cbranch_execnz .LBB115_1134
.LBB115_365:                            ;   in Loop: Header=BB115_3 Depth=1
	s_or_b32 exec_lo, exec_lo, s1
	s_and_saveexec_b32 s1, s14
	s_cbranch_execz .LBB115_367
.LBB115_366:                            ;   in Loop: Header=BB115_3 Depth=1
	ds_load_b32 v32, v38 offset:5984
	ds_load_b32 v33, v5 offset:4188
	s_wait_dscnt 0x0
	v_fmac_f32_e32 v4, v32, v33
.LBB115_367:                            ;   in Loop: Header=BB115_3 Depth=1
	s_or_b32 exec_lo, exec_lo, s1
	s_delay_alu instid0(VALU_DEP_1)
	v_xor_b32_e32 v4, 0x80000000, v4
.LBB115_368:                            ;   in Loop: Header=BB115_3 Depth=1
	s_or_b32 exec_lo, exec_lo, s8
	s_and_saveexec_b32 s1, s33
; %bb.369:                              ;   in Loop: Header=BB115_3 Depth=1
	ds_store_b32 v43, v4
; %bb.370:                              ;   in Loop: Header=BB115_3 Depth=1
	s_or_b32 exec_lo, exec_lo, s1
	s_wait_dscnt 0x0
	s_barrier_signal -1
	s_barrier_wait -1
	s_and_saveexec_b32 s1, s34
	s_cbranch_execz .LBB115_372
; %bb.371:                              ;   in Loop: Header=BB115_3 Depth=1
	ds_load_b32 v32, v44 offset:6240
	ds_load_b32 v33, v43
	s_wait_dscnt 0x0
	v_fmac_f32_e32 v4, v32, v33
.LBB115_372:                            ;   in Loop: Header=BB115_3 Depth=1
	s_or_b32 exec_lo, exec_lo, s1
	s_barrier_signal -1
	s_barrier_wait -1
	s_and_saveexec_b32 s1, s35
; %bb.373:                              ;   in Loop: Header=BB115_3 Depth=1
	ds_store_b32 v43, v4
; %bb.374:                              ;   in Loop: Header=BB115_3 Depth=1
	s_or_b32 exec_lo, exec_lo, s1
	s_wait_dscnt 0x0
	s_barrier_signal -1
	s_barrier_wait -1
	s_and_saveexec_b32 s1, s36
	s_cbranch_execz .LBB115_376
; %bb.375:                              ;   in Loop: Header=BB115_3 Depth=1
	ds_load_b32 v32, v44 offset:6496
	ds_load_b32 v33, v43
	s_wait_dscnt 0x0
	v_fmac_f32_e32 v4, v32, v33
.LBB115_376:                            ;   in Loop: Header=BB115_3 Depth=1
	s_or_b32 exec_lo, exec_lo, s1
	s_barrier_signal -1
	s_barrier_wait -1
	;; [unrolled: 19-line block ×7, first 2 shown]
	s_and_saveexec_b32 s1, s46
; %bb.397:                              ;   in Loop: Header=BB115_3 Depth=1
	ds_store_b32 v43, v4
; %bb.398:                              ;   in Loop: Header=BB115_3 Depth=1
	s_or_b32 exec_lo, exec_lo, s1
	s_wait_dscnt 0x0
	s_barrier_signal -1
	s_barrier_wait -1
	s_barrier_signal -1
	s_barrier_wait -1
	s_and_saveexec_b32 s1, s4
; %bb.399:                              ;   in Loop: Header=BB115_3 Depth=1
	v_xor_b32_e32 v4, 0x80000000, v4
	ds_store_b32 v46, v4 offset:4192
; %bb.400:                              ;   in Loop: Header=BB115_3 Depth=1
	s_or_b32 exec_lo, exec_lo, s1
	s_wait_dscnt 0x0
	s_barrier_signal -1
	s_barrier_wait -1
	s_barrier_signal -1
	s_barrier_wait -1
	s_and_saveexec_b32 s1, s11
; %bb.401:                              ;   in Loop: Header=BB115_3 Depth=1
	v_add_nc_u32_e64 v4, 0x1800, 0
	ds_store_2addr_b32 v4, v65, v65 offset0:24 offset1:89
; %bb.402:                              ;   in Loop: Header=BB115_3 Depth=1
	s_or_b32 exec_lo, exec_lo, s1
	v_mov_b32_e32 v4, 0
	s_wait_dscnt 0x0
	s_barrier_signal -1
	s_barrier_wait -1
	s_and_saveexec_b32 s8, s2
	s_cbranch_execz .LBB115_406
; %bb.403:                              ;   in Loop: Header=BB115_3 Depth=1
	ds_load_b32 v4, v34 offset:6248
	ds_load_b32 v32, v35 offset:6240
	s_wait_dscnt 0x0
	v_fma_f32 v4, v4, v32, 0
	s_and_saveexec_b32 s1, s12
	s_cbranch_execz .LBB115_405
; %bb.404:                              ;   in Loop: Header=BB115_3 Depth=1
	ds_load_b32 v32, v38 offset:6504
	ds_load_b32 v33, v5 offset:6244
	s_wait_dscnt 0x0
	v_fmac_f32_e32 v4, v32, v33
.LBB115_405:                            ;   in Loop: Header=BB115_3 Depth=1
	s_or_b32 exec_lo, exec_lo, s1
	s_delay_alu instid0(VALU_DEP_1)
	v_xor_b32_e32 v4, 0x80000000, v4
.LBB115_406:                            ;   in Loop: Header=BB115_3 Depth=1
	s_or_b32 exec_lo, exec_lo, s8
	s_and_saveexec_b32 s1, s99
; %bb.407:                              ;   in Loop: Header=BB115_3 Depth=1
	ds_store_b32 v9, v4
; %bb.408:                              ;   in Loop: Header=BB115_3 Depth=1
	s_or_b32 exec_lo, exec_lo, s1
	s_wait_dscnt 0x0
	s_barrier_signal -1
	s_barrier_wait -1
	s_and_saveexec_b32 s1, s100
	s_cbranch_execz .LBB115_410
; %bb.409:                              ;   in Loop: Header=BB115_3 Depth=1
	ds_load_b32 v32, v5 offset:6764
	ds_load_b32 v33, v9
	s_wait_dscnt 0x0
	v_fmac_f32_e32 v4, v32, v33
.LBB115_410:                            ;   in Loop: Header=BB115_3 Depth=1
	s_or_b32 exec_lo, exec_lo, s1
	s_barrier_signal -1
	s_barrier_wait -1
	s_and_saveexec_b32 s1, s100
; %bb.411:                              ;   in Loop: Header=BB115_3 Depth=1
	ds_store_b32 v9, v4
; %bb.412:                              ;   in Loop: Header=BB115_3 Depth=1
	s_or_b32 exec_lo, exec_lo, s1
	s_wait_dscnt 0x0
	s_barrier_signal -1
	s_barrier_wait -1
	s_barrier_signal -1
	s_barrier_wait -1
	s_and_saveexec_b32 s1, s2
; %bb.413:                              ;   in Loop: Header=BB115_3 Depth=1
	v_xor_b32_e32 v4, 0x80000000, v4
	ds_store_b32 v34, v4 offset:6248
; %bb.414:                              ;   in Loop: Header=BB115_3 Depth=1
	s_or_b32 exec_lo, exec_lo, s1
	s_wait_dscnt 0x0
	s_barrier_signal -1
	s_barrier_wait -1
	s_barrier_signal -1
	s_barrier_wait -1
	s_and_saveexec_b32 s1, s11
; %bb.415:                              ;   in Loop: Header=BB115_3 Depth=1
	v_add_nc_u32_e64 v4, 0x1800, 0
	ds_store_2addr_b32 v4, v65, v65 offset0:154 offset1:219
; %bb.416:                              ;   in Loop: Header=BB115_3 Depth=1
	s_or_b32 exec_lo, exec_lo, s1
	v_mov_b32_e32 v4, 0
	s_wait_dscnt 0x0
	s_barrier_signal -1
	s_barrier_wait -1
	s_and_saveexec_b32 s8, s3
	s_cbranch_execz .LBB115_422
; %bb.417:                              ;   in Loop: Header=BB115_3 Depth=1
	ds_load_b32 v4, v40 offset:6256
	ds_load_b32 v32, v36 offset:6240
	s_wait_dscnt 0x0
	v_fma_f32 v4, v4, v32, 0
	s_and_saveexec_b32 s1, s13
	s_cbranch_execnz .LBB115_1135
; %bb.418:                              ;   in Loop: Header=BB115_3 Depth=1
	s_or_b32 exec_lo, exec_lo, s1
	s_and_saveexec_b32 s1, s14
	s_cbranch_execnz .LBB115_1136
.LBB115_419:                            ;   in Loop: Header=BB115_3 Depth=1
	s_or_b32 exec_lo, exec_lo, s1
	s_and_saveexec_b32 s1, s2
	s_cbranch_execz .LBB115_421
.LBB115_420:                            ;   in Loop: Header=BB115_3 Depth=1
	ds_load_b32 v32, v38 offset:7024
	ds_load_b32 v33, v5 offset:6252
	s_wait_dscnt 0x0
	v_fmac_f32_e32 v4, v32, v33
.LBB115_421:                            ;   in Loop: Header=BB115_3 Depth=1
	s_or_b32 exec_lo, exec_lo, s1
	s_delay_alu instid0(VALU_DEP_1)
	v_xor_b32_e32 v4, 0x80000000, v4
.LBB115_422:                            ;   in Loop: Header=BB115_3 Depth=1
	s_or_b32 exec_lo, exec_lo, s8
	s_and_saveexec_b32 s1, s101
; %bb.423:                              ;   in Loop: Header=BB115_3 Depth=1
	ds_store_b32 v39, v4
; %bb.424:                              ;   in Loop: Header=BB115_3 Depth=1
	s_or_b32 exec_lo, exec_lo, s1
	s_wait_dscnt 0x0
	s_barrier_signal -1
	s_barrier_wait -1
	s_and_saveexec_b32 s1, s102
	s_cbranch_execz .LBB115_426
; %bb.425:                              ;   in Loop: Header=BB115_3 Depth=1
	ds_load_b32 v32, v37 offset:7280
	ds_load_b32 v33, v39
	s_wait_dscnt 0x0
	v_fmac_f32_e32 v4, v32, v33
.LBB115_426:                            ;   in Loop: Header=BB115_3 Depth=1
	s_or_b32 exec_lo, exec_lo, s1
	s_barrier_signal -1
	s_barrier_wait -1
	s_and_saveexec_b32 s1, s103
; %bb.427:                              ;   in Loop: Header=BB115_3 Depth=1
	ds_store_b32 v39, v4
; %bb.428:                              ;   in Loop: Header=BB115_3 Depth=1
	s_or_b32 exec_lo, exec_lo, s1
	s_wait_dscnt 0x0
	s_barrier_signal -1
	s_barrier_wait -1
	s_and_saveexec_b32 s1, s104
	s_cbranch_execz .LBB115_430
; %bb.429:                              ;   in Loop: Header=BB115_3 Depth=1
	ds_load_b32 v32, v37 offset:7536
	ds_load_b32 v33, v39
	s_wait_dscnt 0x0
	v_fmac_f32_e32 v4, v32, v33
.LBB115_430:                            ;   in Loop: Header=BB115_3 Depth=1
	s_or_b32 exec_lo, exec_lo, s1
	s_barrier_signal -1
	s_barrier_wait -1
	s_and_saveexec_b32 s1, vcc_hi
; %bb.431:                              ;   in Loop: Header=BB115_3 Depth=1
	ds_store_b32 v39, v4
; %bb.432:                              ;   in Loop: Header=BB115_3 Depth=1
	s_or_b32 exec_lo, exec_lo, s1
	s_wait_dscnt 0x0
	s_barrier_signal -1
	s_barrier_wait -1
	s_and_saveexec_b32 s1, s31
	s_cbranch_execz .LBB115_434
; %bb.433:                              ;   in Loop: Header=BB115_3 Depth=1
	ds_load_b32 v32, v5 offset:7804
	ds_load_b32 v33, v39
	s_wait_dscnt 0x0
	v_fmac_f32_e32 v4, v32, v33
.LBB115_434:                            ;   in Loop: Header=BB115_3 Depth=1
	s_or_b32 exec_lo, exec_lo, s1
	s_barrier_signal -1
	s_barrier_wait -1
	s_and_saveexec_b32 s1, s31
; %bb.435:                              ;   in Loop: Header=BB115_3 Depth=1
	ds_store_b32 v39, v4
; %bb.436:                              ;   in Loop: Header=BB115_3 Depth=1
	s_or_b32 exec_lo, exec_lo, s1
	s_wait_dscnt 0x0
	s_barrier_signal -1
	s_barrier_wait -1
	s_barrier_signal -1
	s_barrier_wait -1
	s_and_saveexec_b32 s1, s3
; %bb.437:                              ;   in Loop: Header=BB115_3 Depth=1
	v_xor_b32_e32 v4, 0x80000000, v4
	ds_store_b32 v40, v4 offset:6256
; %bb.438:                              ;   in Loop: Header=BB115_3 Depth=1
	s_or_b32 exec_lo, exec_lo, s1
	s_wait_dscnt 0x0
	s_barrier_signal -1
	s_barrier_wait -1
	s_barrier_signal -1
	s_barrier_wait -1
	s_and_saveexec_b32 s1, s11
; %bb.439:                              ;   in Loop: Header=BB115_3 Depth=1
	v_add_nc_u32_e64 v4, 0x1c00, 0
	ds_store_2addr_b32 v4, v65, v65 offset0:28 offset1:93
; %bb.440:                              ;   in Loop: Header=BB115_3 Depth=1
	s_or_b32 exec_lo, exec_lo, s1
	v_mov_b32_e32 v4, 0
	s_wait_dscnt 0x0
	s_barrier_signal -1
	s_barrier_wait -1
	s_and_saveexec_b32 s8, s2
	s_cbranch_execz .LBB115_444
; %bb.441:                              ;   in Loop: Header=BB115_3 Depth=1
	ds_load_b32 v4, v34 offset:7288
	ds_load_b32 v32, v35 offset:7280
	s_wait_dscnt 0x0
	v_fma_f32 v4, v4, v32, 0
	s_and_saveexec_b32 s1, s12
	s_cbranch_execz .LBB115_443
; %bb.442:                              ;   in Loop: Header=BB115_3 Depth=1
	ds_load_b32 v32, v38 offset:7544
	ds_load_b32 v33, v5 offset:7284
	s_wait_dscnt 0x0
	v_fmac_f32_e32 v4, v32, v33
.LBB115_443:                            ;   in Loop: Header=BB115_3 Depth=1
	s_or_b32 exec_lo, exec_lo, s1
	s_delay_alu instid0(VALU_DEP_1)
	v_xor_b32_e32 v4, 0x80000000, v4
.LBB115_444:                            ;   in Loop: Header=BB115_3 Depth=1
	s_or_b32 exec_lo, exec_lo, s8
	s_and_saveexec_b32 s1, s99
; %bb.445:                              ;   in Loop: Header=BB115_3 Depth=1
	ds_store_b32 v9, v4
; %bb.446:                              ;   in Loop: Header=BB115_3 Depth=1
	s_or_b32 exec_lo, exec_lo, s1
	s_wait_dscnt 0x0
	s_barrier_signal -1
	s_barrier_wait -1
	s_and_saveexec_b32 s1, s100
	s_cbranch_execz .LBB115_448
; %bb.447:                              ;   in Loop: Header=BB115_3 Depth=1
	ds_load_b32 v32, v5 offset:7804
	ds_load_b32 v33, v9
	s_wait_dscnt 0x0
	v_fmac_f32_e32 v4, v32, v33
.LBB115_448:                            ;   in Loop: Header=BB115_3 Depth=1
	s_or_b32 exec_lo, exec_lo, s1
	s_barrier_signal -1
	s_barrier_wait -1
	s_and_saveexec_b32 s1, s100
; %bb.449:                              ;   in Loop: Header=BB115_3 Depth=1
	ds_store_b32 v9, v4
; %bb.450:                              ;   in Loop: Header=BB115_3 Depth=1
	s_or_b32 exec_lo, exec_lo, s1
	s_wait_dscnt 0x0
	s_barrier_signal -1
	s_barrier_wait -1
	s_barrier_signal -1
	s_barrier_wait -1
	s_and_saveexec_b32 s1, s2
; %bb.451:                              ;   in Loop: Header=BB115_3 Depth=1
	v_xor_b32_e32 v4, 0x80000000, v4
	ds_store_b32 v34, v4 offset:7288
; %bb.452:                              ;   in Loop: Header=BB115_3 Depth=1
	s_or_b32 exec_lo, exec_lo, s1
	s_wait_dscnt 0x0
	s_barrier_signal -1
	s_barrier_wait -1
	s_barrier_signal -1
	s_barrier_wait -1
	s_and_saveexec_b32 s1, s11
; %bb.453:                              ;   in Loop: Header=BB115_3 Depth=1
	v_add_nc_u32_e64 v4, 0x1c00, 0
	ds_store_2addr_b32 v4, v65, v65 offset0:158 offset1:223
; %bb.454:                              ;   in Loop: Header=BB115_3 Depth=1
	s_or_b32 exec_lo, exec_lo, s1
	v_mov_b32_e32 v4, 0
	s_wait_dscnt 0x0
	s_barrier_signal -1
	s_barrier_wait -1
	s_and_saveexec_b32 s65, s6
	s_cbranch_execz .LBB115_516
; %bb.455:                              ;   in Loop: Header=BB115_3 Depth=1
	v_add_nc_u32_e32 v32, v50, v49
	ds_load_b32 v4, v56 offset:128
	ds_load_b32 v33, v32
	s_wait_dscnt 0x0
	v_fma_f32 v4, v4, v33, 0
	s_mov_b32 s1, exec_lo
	v_readlane_b32 s8, v77, 27
	s_and_b32 s8, s1, s8
	s_delay_alu instid0(SALU_CYCLE_1)
	s_mov_b32 exec_lo, s8
	s_cbranch_execz .LBB115_457
; %bb.456:                              ;   in Loop: Header=BB115_3 Depth=1
	ds_load_b32 v33, v56 offset:384
	ds_load_b32 v70, v32 offset:4
	s_wait_dscnt 0x0
	v_fmac_f32_e32 v4, v33, v70
.LBB115_457:                            ;   in Loop: Header=BB115_3 Depth=1
	s_or_b32 exec_lo, exec_lo, s1
	s_delay_alu instid0(SALU_CYCLE_1) | instskip(SKIP_2) | instid1(SALU_CYCLE_1)
	s_mov_b32 s1, exec_lo
	v_readlane_b32 s8, v77, 28
	s_and_b32 s8, s1, s8
	s_mov_b32 exec_lo, s8
	s_cbranch_execz .LBB115_459
; %bb.458:                              ;   in Loop: Header=BB115_3 Depth=1
	ds_load_b32 v33, v56 offset:640
	ds_load_b32 v70, v32 offset:8
	s_wait_dscnt 0x0
	v_fmac_f32_e32 v4, v33, v70
.LBB115_459:                            ;   in Loop: Header=BB115_3 Depth=1
	s_or_b32 exec_lo, exec_lo, s1
	s_delay_alu instid0(SALU_CYCLE_1) | instskip(SKIP_2) | instid1(SALU_CYCLE_1)
	s_mov_b32 s1, exec_lo
	v_readlane_b32 s8, v77, 29
	s_and_b32 s8, s1, s8
	;; [unrolled: 13-line block ×22, first 2 shown]
	s_mov_b32 exec_lo, s8
	s_cbranch_execz .LBB115_501
; %bb.500:                              ;   in Loop: Header=BB115_3 Depth=1
	ds_load_b32 v33, v56 offset:6016
	ds_load_b32 v70, v32 offset:92
	s_wait_dscnt 0x0
	v_fmac_f32_e32 v4, v33, v70
.LBB115_501:                            ;   in Loop: Header=BB115_3 Depth=1
	s_or_b32 exec_lo, exec_lo, s1
	s_and_saveexec_b32 s1, s5
	s_cbranch_execz .LBB115_503
; %bb.502:                              ;   in Loop: Header=BB115_3 Depth=1
	ds_load_b32 v33, v56 offset:6272
	ds_load_b32 v70, v32 offset:96
	s_wait_dscnt 0x0
	v_fmac_f32_e32 v4, v33, v70
.LBB115_503:                            ;   in Loop: Header=BB115_3 Depth=1
	s_or_b32 exec_lo, exec_lo, s1
	s_delay_alu instid0(SALU_CYCLE_1) | instskip(SKIP_2) | instid1(SALU_CYCLE_1)
	s_mov_b32 s1, exec_lo
	v_readlane_b32 s8, v77, 17
	s_and_b32 s8, s1, s8
	s_mov_b32 exec_lo, s8
	s_cbranch_execz .LBB115_505
; %bb.504:                              ;   in Loop: Header=BB115_3 Depth=1
	ds_load_b32 v33, v56 offset:6528
	ds_load_b32 v70, v32 offset:100
	s_wait_dscnt 0x0
	v_fmac_f32_e32 v4, v33, v70
.LBB115_505:                            ;   in Loop: Header=BB115_3 Depth=1
	s_or_b32 exec_lo, exec_lo, s1
	s_delay_alu instid0(SALU_CYCLE_1) | instskip(SKIP_2) | instid1(SALU_CYCLE_1)
	s_mov_b32 s1, exec_lo
	v_readlane_b32 s8, v77, 19
	s_and_b32 s8, s1, s8
	s_mov_b32 exec_lo, s8
	;; [unrolled: 13-line block ×5, first 2 shown]
	s_cbranch_execnz .LBB115_1137
; %bb.512:                              ;   in Loop: Header=BB115_3 Depth=1
	s_or_b32 exec_lo, exec_lo, s1
	s_and_saveexec_b32 s1, s4
	s_cbranch_execnz .LBB115_1138
.LBB115_513:                            ;   in Loop: Header=BB115_3 Depth=1
	s_or_b32 exec_lo, exec_lo, s1
	s_and_saveexec_b32 s1, s18
	s_cbranch_execz .LBB115_515
.LBB115_514:                            ;   in Loop: Header=BB115_3 Depth=1
	ds_load_b32 v32, v38 offset:8064
	ds_load_b32 v33, v5 offset:124
	s_wait_dscnt 0x0
	v_fmac_f32_e32 v4, v32, v33
.LBB115_515:                            ;   in Loop: Header=BB115_3 Depth=1
	s_or_b32 exec_lo, exec_lo, s1
	s_delay_alu instid0(VALU_DEP_1)
	v_xor_b32_e32 v4, 0x80000000, v4
.LBB115_516:                            ;   in Loop: Header=BB115_3 Depth=1
	s_or_b32 exec_lo, exec_lo, s65
	s_delay_alu instid0(SALU_CYCLE_1) | instskip(SKIP_2) | instid1(SALU_CYCLE_1)
	s_mov_b32 s1, exec_lo
	v_readlane_b32 s8, v79, 5
	s_and_b32 s8, s1, s8
	s_mov_b32 exec_lo, s8
; %bb.517:                              ;   in Loop: Header=BB115_3 Depth=1
	ds_store_b32 v55, v4
; %bb.518:                              ;   in Loop: Header=BB115_3 Depth=1
	s_or_b32 exec_lo, exec_lo, s1
	s_wait_dscnt 0x0
	s_barrier_signal -1
	s_barrier_wait -1
	s_mov_b32 s1, exec_lo
	v_readlane_b32 s8, v79, 6
	s_and_b32 s8, s1, s8
	s_delay_alu instid0(SALU_CYCLE_1)
	s_mov_b32 exec_lo, s8
	s_cbranch_execz .LBB115_520
; %bb.519:                              ;   in Loop: Header=BB115_3 Depth=1
	ds_load_b32 v32, v51 offset:8320
	ds_load_b32 v33, v55
	s_wait_dscnt 0x0
	v_fmac_f32_e32 v4, v32, v33
.LBB115_520:                            ;   in Loop: Header=BB115_3 Depth=1
	s_or_b32 exec_lo, exec_lo, s1
	s_barrier_signal -1
	s_barrier_wait -1
	s_mov_b32 s1, exec_lo
	v_readlane_b32 s8, v79, 7
	s_and_b32 s8, s1, s8
	s_delay_alu instid0(SALU_CYCLE_1)
	s_mov_b32 exec_lo, s8
; %bb.521:                              ;   in Loop: Header=BB115_3 Depth=1
	ds_store_b32 v55, v4
; %bb.522:                              ;   in Loop: Header=BB115_3 Depth=1
	s_or_b32 exec_lo, exec_lo, s1
	s_wait_dscnt 0x0
	s_barrier_signal -1
	s_barrier_wait -1
	s_mov_b32 s1, exec_lo
	v_readlane_b32 s8, v79, 8
	s_and_b32 s8, s1, s8
	s_delay_alu instid0(SALU_CYCLE_1)
	s_mov_b32 exec_lo, s8
	s_cbranch_execz .LBB115_524
; %bb.523:                              ;   in Loop: Header=BB115_3 Depth=1
	ds_load_b32 v32, v51 offset:8576
	ds_load_b32 v33, v55
	s_wait_dscnt 0x0
	v_fmac_f32_e32 v4, v32, v33
.LBB115_524:                            ;   in Loop: Header=BB115_3 Depth=1
	s_or_b32 exec_lo, exec_lo, s1
	s_barrier_signal -1
	s_barrier_wait -1
	s_mov_b32 s1, exec_lo
	v_readlane_b32 s8, v79, 9
	s_and_b32 s8, s1, s8
	s_delay_alu instid0(SALU_CYCLE_1)
	;; [unrolled: 27-line block ×30, first 2 shown]
	s_mov_b32 exec_lo, s8
; %bb.637:                              ;   in Loop: Header=BB115_3 Depth=1
	ds_store_b32 v55, v4
; %bb.638:                              ;   in Loop: Header=BB115_3 Depth=1
	s_or_b32 exec_lo, exec_lo, s1
	s_wait_dscnt 0x0
	s_barrier_signal -1
	s_barrier_wait -1
	s_and_saveexec_b32 s1, s9
	s_cbranch_execz .LBB115_640
; %bb.639:                              ;   in Loop: Header=BB115_3 Depth=1
	ds_load_b32 v32, v5 offset:16124
	ds_load_b32 v33, v55
	s_wait_dscnt 0x0
	v_fmac_f32_e32 v4, v32, v33
.LBB115_640:                            ;   in Loop: Header=BB115_3 Depth=1
	s_or_b32 exec_lo, exec_lo, s1
	s_barrier_signal -1
	s_barrier_wait -1
	s_and_saveexec_b32 s1, s9
; %bb.641:                              ;   in Loop: Header=BB115_3 Depth=1
	ds_store_b32 v55, v4
; %bb.642:                              ;   in Loop: Header=BB115_3 Depth=1
	s_or_b32 exec_lo, exec_lo, s1
	s_wait_dscnt 0x0
	s_barrier_signal -1
	s_barrier_wait -1
	s_barrier_signal -1
	s_barrier_wait -1
	s_and_saveexec_b32 s1, s6
; %bb.643:                              ;   in Loop: Header=BB115_3 Depth=1
	v_xor_b32_e32 v4, 0x80000000, v4
	ds_store_b32 v56, v4 offset:128
; %bb.644:                              ;   in Loop: Header=BB115_3 Depth=1
	s_or_b32 exec_lo, exec_lo, s1
	s_wait_dscnt 0x0
	s_barrier_signal -1
	s_barrier_wait -1
	s_barrier_signal -1
	s_barrier_wait -1
	s_and_saveexec_b32 s1, s11
; %bb.645:                              ;   in Loop: Header=BB115_3 Depth=1
	v_add_nc_u32_e64 v4, 0x2000, 0
	ds_store_2addr_b32 v4, v65, v65 offset0:32 offset1:97
; %bb.646:                              ;   in Loop: Header=BB115_3 Depth=1
	s_or_b32 exec_lo, exec_lo, s1
	v_mov_b32_e32 v4, 0
	s_wait_dscnt 0x0
	s_barrier_signal -1
	s_barrier_wait -1
	s_and_saveexec_b32 s8, s2
	s_cbranch_execz .LBB115_650
; %bb.647:                              ;   in Loop: Header=BB115_3 Depth=1
	ds_load_b32 v4, v34 offset:8328
	ds_load_b32 v32, v35 offset:8320
	s_wait_dscnt 0x0
	v_fma_f32 v4, v4, v32, 0
	s_and_saveexec_b32 s1, s12
	s_cbranch_execz .LBB115_649
; %bb.648:                              ;   in Loop: Header=BB115_3 Depth=1
	ds_load_b32 v32, v38 offset:8584
	ds_load_b32 v33, v5 offset:8324
	s_wait_dscnt 0x0
	v_fmac_f32_e32 v4, v32, v33
.LBB115_649:                            ;   in Loop: Header=BB115_3 Depth=1
	s_or_b32 exec_lo, exec_lo, s1
	s_delay_alu instid0(VALU_DEP_1)
	v_xor_b32_e32 v4, 0x80000000, v4
.LBB115_650:                            ;   in Loop: Header=BB115_3 Depth=1
	s_or_b32 exec_lo, exec_lo, s8
	s_and_saveexec_b32 s1, s99
; %bb.651:                              ;   in Loop: Header=BB115_3 Depth=1
	ds_store_b32 v9, v4
; %bb.652:                              ;   in Loop: Header=BB115_3 Depth=1
	s_or_b32 exec_lo, exec_lo, s1
	s_wait_dscnt 0x0
	s_barrier_signal -1
	s_barrier_wait -1
	s_and_saveexec_b32 s1, s100
	s_cbranch_execz .LBB115_654
; %bb.653:                              ;   in Loop: Header=BB115_3 Depth=1
	ds_load_b32 v32, v5 offset:8844
	ds_load_b32 v33, v9
	s_wait_dscnt 0x0
	v_fmac_f32_e32 v4, v32, v33
.LBB115_654:                            ;   in Loop: Header=BB115_3 Depth=1
	s_or_b32 exec_lo, exec_lo, s1
	s_barrier_signal -1
	s_barrier_wait -1
	s_and_saveexec_b32 s1, s100
; %bb.655:                              ;   in Loop: Header=BB115_3 Depth=1
	ds_store_b32 v9, v4
; %bb.656:                              ;   in Loop: Header=BB115_3 Depth=1
	s_or_b32 exec_lo, exec_lo, s1
	s_wait_dscnt 0x0
	s_barrier_signal -1
	s_barrier_wait -1
	s_barrier_signal -1
	s_barrier_wait -1
	s_and_saveexec_b32 s1, s2
; %bb.657:                              ;   in Loop: Header=BB115_3 Depth=1
	v_xor_b32_e32 v4, 0x80000000, v4
	ds_store_b32 v34, v4 offset:8328
; %bb.658:                              ;   in Loop: Header=BB115_3 Depth=1
	s_or_b32 exec_lo, exec_lo, s1
	s_wait_dscnt 0x0
	s_barrier_signal -1
	s_barrier_wait -1
	s_barrier_signal -1
	s_barrier_wait -1
	s_and_saveexec_b32 s1, s11
; %bb.659:                              ;   in Loop: Header=BB115_3 Depth=1
	v_add_nc_u32_e64 v4, 0x2000, 0
	ds_store_2addr_b32 v4, v65, v65 offset0:162 offset1:227
; %bb.660:                              ;   in Loop: Header=BB115_3 Depth=1
	s_or_b32 exec_lo, exec_lo, s1
	v_mov_b32_e32 v4, 0
	s_wait_dscnt 0x0
	s_barrier_signal -1
	s_barrier_wait -1
	s_and_saveexec_b32 s8, s3
	s_cbranch_execz .LBB115_666
; %bb.661:                              ;   in Loop: Header=BB115_3 Depth=1
	ds_load_b32 v4, v40 offset:8336
	ds_load_b32 v32, v36 offset:8320
	s_wait_dscnt 0x0
	v_fma_f32 v4, v4, v32, 0
	s_and_saveexec_b32 s1, s13
	s_cbranch_execnz .LBB115_1139
; %bb.662:                              ;   in Loop: Header=BB115_3 Depth=1
	s_or_b32 exec_lo, exec_lo, s1
	s_and_saveexec_b32 s1, s14
	s_cbranch_execnz .LBB115_1140
.LBB115_663:                            ;   in Loop: Header=BB115_3 Depth=1
	s_or_b32 exec_lo, exec_lo, s1
	s_and_saveexec_b32 s1, s2
	s_cbranch_execz .LBB115_665
.LBB115_664:                            ;   in Loop: Header=BB115_3 Depth=1
	ds_load_b32 v32, v38 offset:9104
	ds_load_b32 v33, v5 offset:8332
	s_wait_dscnt 0x0
	v_fmac_f32_e32 v4, v32, v33
.LBB115_665:                            ;   in Loop: Header=BB115_3 Depth=1
	s_or_b32 exec_lo, exec_lo, s1
	s_delay_alu instid0(VALU_DEP_1)
	v_xor_b32_e32 v4, 0x80000000, v4
.LBB115_666:                            ;   in Loop: Header=BB115_3 Depth=1
	s_or_b32 exec_lo, exec_lo, s8
	s_and_saveexec_b32 s1, s101
; %bb.667:                              ;   in Loop: Header=BB115_3 Depth=1
	ds_store_b32 v39, v4
; %bb.668:                              ;   in Loop: Header=BB115_3 Depth=1
	s_or_b32 exec_lo, exec_lo, s1
	s_wait_dscnt 0x0
	s_barrier_signal -1
	s_barrier_wait -1
	s_and_saveexec_b32 s1, s102
	s_cbranch_execz .LBB115_670
; %bb.669:                              ;   in Loop: Header=BB115_3 Depth=1
	ds_load_b32 v32, v37 offset:9360
	ds_load_b32 v33, v39
	s_wait_dscnt 0x0
	v_fmac_f32_e32 v4, v32, v33
.LBB115_670:                            ;   in Loop: Header=BB115_3 Depth=1
	s_or_b32 exec_lo, exec_lo, s1
	s_barrier_signal -1
	s_barrier_wait -1
	s_and_saveexec_b32 s1, s103
; %bb.671:                              ;   in Loop: Header=BB115_3 Depth=1
	ds_store_b32 v39, v4
; %bb.672:                              ;   in Loop: Header=BB115_3 Depth=1
	s_or_b32 exec_lo, exec_lo, s1
	s_wait_dscnt 0x0
	s_barrier_signal -1
	s_barrier_wait -1
	s_and_saveexec_b32 s1, s104
	s_cbranch_execz .LBB115_674
; %bb.673:                              ;   in Loop: Header=BB115_3 Depth=1
	ds_load_b32 v32, v37 offset:9616
	ds_load_b32 v33, v39
	s_wait_dscnt 0x0
	v_fmac_f32_e32 v4, v32, v33
.LBB115_674:                            ;   in Loop: Header=BB115_3 Depth=1
	s_or_b32 exec_lo, exec_lo, s1
	s_barrier_signal -1
	s_barrier_wait -1
	s_and_saveexec_b32 s1, vcc_hi
; %bb.675:                              ;   in Loop: Header=BB115_3 Depth=1
	ds_store_b32 v39, v4
; %bb.676:                              ;   in Loop: Header=BB115_3 Depth=1
	s_or_b32 exec_lo, exec_lo, s1
	s_wait_dscnt 0x0
	s_barrier_signal -1
	s_barrier_wait -1
	s_and_saveexec_b32 s1, s31
	s_cbranch_execz .LBB115_678
; %bb.677:                              ;   in Loop: Header=BB115_3 Depth=1
	ds_load_b32 v32, v5 offset:9884
	ds_load_b32 v33, v39
	s_wait_dscnt 0x0
	v_fmac_f32_e32 v4, v32, v33
.LBB115_678:                            ;   in Loop: Header=BB115_3 Depth=1
	s_or_b32 exec_lo, exec_lo, s1
	s_barrier_signal -1
	s_barrier_wait -1
	s_and_saveexec_b32 s1, s31
; %bb.679:                              ;   in Loop: Header=BB115_3 Depth=1
	ds_store_b32 v39, v4
; %bb.680:                              ;   in Loop: Header=BB115_3 Depth=1
	s_or_b32 exec_lo, exec_lo, s1
	s_wait_dscnt 0x0
	s_barrier_signal -1
	s_barrier_wait -1
	s_barrier_signal -1
	s_barrier_wait -1
	s_and_saveexec_b32 s1, s3
; %bb.681:                              ;   in Loop: Header=BB115_3 Depth=1
	v_xor_b32_e32 v4, 0x80000000, v4
	ds_store_b32 v40, v4 offset:8336
; %bb.682:                              ;   in Loop: Header=BB115_3 Depth=1
	s_or_b32 exec_lo, exec_lo, s1
	s_wait_dscnt 0x0
	s_barrier_signal -1
	s_barrier_wait -1
	s_barrier_signal -1
	s_barrier_wait -1
	s_and_saveexec_b32 s1, s11
; %bb.683:                              ;   in Loop: Header=BB115_3 Depth=1
	v_add_nc_u32_e64 v4, 0x2400, 0
	ds_store_2addr_b32 v4, v65, v65 offset0:36 offset1:101
; %bb.684:                              ;   in Loop: Header=BB115_3 Depth=1
	s_or_b32 exec_lo, exec_lo, s1
	v_mov_b32_e32 v4, 0
	s_wait_dscnt 0x0
	s_barrier_signal -1
	s_barrier_wait -1
	s_and_saveexec_b32 s8, s2
	s_cbranch_execz .LBB115_688
; %bb.685:                              ;   in Loop: Header=BB115_3 Depth=1
	ds_load_b32 v4, v34 offset:9368
	ds_load_b32 v32, v35 offset:9360
	s_wait_dscnt 0x0
	v_fma_f32 v4, v4, v32, 0
	s_and_saveexec_b32 s1, s12
	s_cbranch_execz .LBB115_687
; %bb.686:                              ;   in Loop: Header=BB115_3 Depth=1
	ds_load_b32 v32, v38 offset:9624
	ds_load_b32 v33, v5 offset:9364
	s_wait_dscnt 0x0
	v_fmac_f32_e32 v4, v32, v33
.LBB115_687:                            ;   in Loop: Header=BB115_3 Depth=1
	s_or_b32 exec_lo, exec_lo, s1
	s_delay_alu instid0(VALU_DEP_1)
	v_xor_b32_e32 v4, 0x80000000, v4
.LBB115_688:                            ;   in Loop: Header=BB115_3 Depth=1
	s_or_b32 exec_lo, exec_lo, s8
	s_and_saveexec_b32 s1, s99
; %bb.689:                              ;   in Loop: Header=BB115_3 Depth=1
	ds_store_b32 v9, v4
; %bb.690:                              ;   in Loop: Header=BB115_3 Depth=1
	s_or_b32 exec_lo, exec_lo, s1
	s_wait_dscnt 0x0
	s_barrier_signal -1
	s_barrier_wait -1
	s_and_saveexec_b32 s1, s100
	s_cbranch_execz .LBB115_692
; %bb.691:                              ;   in Loop: Header=BB115_3 Depth=1
	ds_load_b32 v32, v5 offset:9884
	ds_load_b32 v33, v9
	s_wait_dscnt 0x0
	v_fmac_f32_e32 v4, v32, v33
.LBB115_692:                            ;   in Loop: Header=BB115_3 Depth=1
	s_or_b32 exec_lo, exec_lo, s1
	s_barrier_signal -1
	s_barrier_wait -1
	s_and_saveexec_b32 s1, s100
; %bb.693:                              ;   in Loop: Header=BB115_3 Depth=1
	ds_store_b32 v9, v4
; %bb.694:                              ;   in Loop: Header=BB115_3 Depth=1
	s_or_b32 exec_lo, exec_lo, s1
	s_wait_dscnt 0x0
	s_barrier_signal -1
	s_barrier_wait -1
	s_barrier_signal -1
	s_barrier_wait -1
	s_and_saveexec_b32 s1, s2
; %bb.695:                              ;   in Loop: Header=BB115_3 Depth=1
	v_xor_b32_e32 v4, 0x80000000, v4
	ds_store_b32 v34, v4 offset:9368
; %bb.696:                              ;   in Loop: Header=BB115_3 Depth=1
	s_or_b32 exec_lo, exec_lo, s1
	s_wait_dscnt 0x0
	s_barrier_signal -1
	s_barrier_wait -1
	s_barrier_signal -1
	s_barrier_wait -1
	s_and_saveexec_b32 s1, s11
; %bb.697:                              ;   in Loop: Header=BB115_3 Depth=1
	v_add_nc_u32_e64 v4, 0x2400, 0
	ds_store_2addr_b32 v4, v65, v65 offset0:166 offset1:231
; %bb.698:                              ;   in Loop: Header=BB115_3 Depth=1
	s_or_b32 exec_lo, exec_lo, s1
	v_mov_b32_e32 v4, 0
	s_wait_dscnt 0x0
	s_barrier_signal -1
	s_barrier_wait -1
	s_and_saveexec_b32 s8, s4
	s_cbranch_execz .LBB115_708
; %bb.699:                              ;   in Loop: Header=BB115_3 Depth=1
	ds_load_b32 v4, v46 offset:8352
	ds_load_b32 v32, v41 offset:8320
	s_wait_dscnt 0x0
	v_fma_f32 v4, v4, v32, 0
	s_and_saveexec_b32 s1, s15
	s_cbranch_execnz .LBB115_1141
; %bb.700:                              ;   in Loop: Header=BB115_3 Depth=1
	s_or_b32 exec_lo, exec_lo, s1
	s_and_saveexec_b32 s1, s16
	s_cbranch_execnz .LBB115_1142
.LBB115_701:                            ;   in Loop: Header=BB115_3 Depth=1
	s_or_b32 exec_lo, exec_lo, s1
	s_and_saveexec_b32 s1, s17
	s_cbranch_execnz .LBB115_1143
.LBB115_702:                            ;   in Loop: Header=BB115_3 Depth=1
	s_or_b32 exec_lo, exec_lo, s1
	s_and_saveexec_b32 s1, s18
	s_cbranch_execnz .LBB115_1144
.LBB115_703:                            ;   in Loop: Header=BB115_3 Depth=1
	s_or_b32 exec_lo, exec_lo, s1
	s_and_saveexec_b32 s1, s19
	s_cbranch_execnz .LBB115_1145
.LBB115_704:                            ;   in Loop: Header=BB115_3 Depth=1
	s_or_b32 exec_lo, exec_lo, s1
	s_and_saveexec_b32 s1, s3
	s_cbranch_execnz .LBB115_1146
.LBB115_705:                            ;   in Loop: Header=BB115_3 Depth=1
	s_or_b32 exec_lo, exec_lo, s1
	s_and_saveexec_b32 s1, s14
	s_cbranch_execz .LBB115_707
.LBB115_706:                            ;   in Loop: Header=BB115_3 Depth=1
	ds_load_b32 v32, v38 offset:10144
	ds_load_b32 v33, v5 offset:8348
	s_wait_dscnt 0x0
	v_fmac_f32_e32 v4, v32, v33
.LBB115_707:                            ;   in Loop: Header=BB115_3 Depth=1
	s_or_b32 exec_lo, exec_lo, s1
	s_delay_alu instid0(VALU_DEP_1)
	v_xor_b32_e32 v4, 0x80000000, v4
.LBB115_708:                            ;   in Loop: Header=BB115_3 Depth=1
	s_or_b32 exec_lo, exec_lo, s8
	s_and_saveexec_b32 s1, s33
; %bb.709:                              ;   in Loop: Header=BB115_3 Depth=1
	ds_store_b32 v43, v4
; %bb.710:                              ;   in Loop: Header=BB115_3 Depth=1
	s_or_b32 exec_lo, exec_lo, s1
	s_wait_dscnt 0x0
	s_barrier_signal -1
	s_barrier_wait -1
	s_and_saveexec_b32 s1, s34
	s_cbranch_execz .LBB115_712
; %bb.711:                              ;   in Loop: Header=BB115_3 Depth=1
	ds_load_b32 v32, v44 offset:10400
	ds_load_b32 v33, v43
	s_wait_dscnt 0x0
	v_fmac_f32_e32 v4, v32, v33
.LBB115_712:                            ;   in Loop: Header=BB115_3 Depth=1
	s_or_b32 exec_lo, exec_lo, s1
	s_barrier_signal -1
	s_barrier_wait -1
	s_and_saveexec_b32 s1, s35
; %bb.713:                              ;   in Loop: Header=BB115_3 Depth=1
	ds_store_b32 v43, v4
; %bb.714:                              ;   in Loop: Header=BB115_3 Depth=1
	s_or_b32 exec_lo, exec_lo, s1
	s_wait_dscnt 0x0
	s_barrier_signal -1
	s_barrier_wait -1
	s_and_saveexec_b32 s1, s36
	s_cbranch_execz .LBB115_716
; %bb.715:                              ;   in Loop: Header=BB115_3 Depth=1
	ds_load_b32 v32, v44 offset:10656
	ds_load_b32 v33, v43
	s_wait_dscnt 0x0
	v_fmac_f32_e32 v4, v32, v33
.LBB115_716:                            ;   in Loop: Header=BB115_3 Depth=1
	s_or_b32 exec_lo, exec_lo, s1
	s_barrier_signal -1
	s_barrier_wait -1
	;; [unrolled: 19-line block ×7, first 2 shown]
	s_and_saveexec_b32 s1, s46
; %bb.737:                              ;   in Loop: Header=BB115_3 Depth=1
	ds_store_b32 v43, v4
; %bb.738:                              ;   in Loop: Header=BB115_3 Depth=1
	s_or_b32 exec_lo, exec_lo, s1
	s_wait_dscnt 0x0
	s_barrier_signal -1
	s_barrier_wait -1
	s_barrier_signal -1
	s_barrier_wait -1
	s_and_saveexec_b32 s1, s4
; %bb.739:                              ;   in Loop: Header=BB115_3 Depth=1
	v_xor_b32_e32 v4, 0x80000000, v4
	ds_store_b32 v46, v4 offset:8352
; %bb.740:                              ;   in Loop: Header=BB115_3 Depth=1
	s_or_b32 exec_lo, exec_lo, s1
	s_wait_dscnt 0x0
	s_barrier_signal -1
	s_barrier_wait -1
	s_barrier_signal -1
	s_barrier_wait -1
	s_and_saveexec_b32 s1, s11
; %bb.741:                              ;   in Loop: Header=BB115_3 Depth=1
	v_add_nc_u32_e64 v4, 0x2800, 0
	ds_store_2addr_b32 v4, v65, v65 offset0:40 offset1:105
; %bb.742:                              ;   in Loop: Header=BB115_3 Depth=1
	s_or_b32 exec_lo, exec_lo, s1
	v_mov_b32_e32 v4, 0
	s_wait_dscnt 0x0
	s_barrier_signal -1
	s_barrier_wait -1
	s_and_saveexec_b32 s8, s2
	s_cbranch_execz .LBB115_746
; %bb.743:                              ;   in Loop: Header=BB115_3 Depth=1
	ds_load_b32 v4, v34 offset:10408
	ds_load_b32 v32, v35 offset:10400
	s_wait_dscnt 0x0
	v_fma_f32 v4, v4, v32, 0
	s_and_saveexec_b32 s1, s12
	s_cbranch_execz .LBB115_745
; %bb.744:                              ;   in Loop: Header=BB115_3 Depth=1
	ds_load_b32 v32, v38 offset:10664
	ds_load_b32 v33, v5 offset:10404
	s_wait_dscnt 0x0
	v_fmac_f32_e32 v4, v32, v33
.LBB115_745:                            ;   in Loop: Header=BB115_3 Depth=1
	s_or_b32 exec_lo, exec_lo, s1
	s_delay_alu instid0(VALU_DEP_1)
	v_xor_b32_e32 v4, 0x80000000, v4
.LBB115_746:                            ;   in Loop: Header=BB115_3 Depth=1
	s_or_b32 exec_lo, exec_lo, s8
	s_and_saveexec_b32 s1, s99
; %bb.747:                              ;   in Loop: Header=BB115_3 Depth=1
	ds_store_b32 v9, v4
; %bb.748:                              ;   in Loop: Header=BB115_3 Depth=1
	s_or_b32 exec_lo, exec_lo, s1
	s_wait_dscnt 0x0
	s_barrier_signal -1
	s_barrier_wait -1
	s_and_saveexec_b32 s1, s100
	s_cbranch_execz .LBB115_750
; %bb.749:                              ;   in Loop: Header=BB115_3 Depth=1
	ds_load_b32 v32, v5 offset:10924
	ds_load_b32 v33, v9
	s_wait_dscnt 0x0
	v_fmac_f32_e32 v4, v32, v33
.LBB115_750:                            ;   in Loop: Header=BB115_3 Depth=1
	s_or_b32 exec_lo, exec_lo, s1
	s_barrier_signal -1
	s_barrier_wait -1
	s_and_saveexec_b32 s1, s100
; %bb.751:                              ;   in Loop: Header=BB115_3 Depth=1
	ds_store_b32 v9, v4
; %bb.752:                              ;   in Loop: Header=BB115_3 Depth=1
	s_or_b32 exec_lo, exec_lo, s1
	s_wait_dscnt 0x0
	s_barrier_signal -1
	s_barrier_wait -1
	s_barrier_signal -1
	s_barrier_wait -1
	s_and_saveexec_b32 s1, s2
; %bb.753:                              ;   in Loop: Header=BB115_3 Depth=1
	v_xor_b32_e32 v4, 0x80000000, v4
	ds_store_b32 v34, v4 offset:10408
; %bb.754:                              ;   in Loop: Header=BB115_3 Depth=1
	s_or_b32 exec_lo, exec_lo, s1
	s_wait_dscnt 0x0
	s_barrier_signal -1
	s_barrier_wait -1
	s_barrier_signal -1
	s_barrier_wait -1
	s_and_saveexec_b32 s1, s11
; %bb.755:                              ;   in Loop: Header=BB115_3 Depth=1
	v_add_nc_u32_e64 v4, 0x2800, 0
	ds_store_2addr_b32 v4, v65, v65 offset0:170 offset1:235
; %bb.756:                              ;   in Loop: Header=BB115_3 Depth=1
	s_or_b32 exec_lo, exec_lo, s1
	v_mov_b32_e32 v4, 0
	s_wait_dscnt 0x0
	s_barrier_signal -1
	s_barrier_wait -1
	s_and_saveexec_b32 s8, s3
	s_cbranch_execz .LBB115_762
; %bb.757:                              ;   in Loop: Header=BB115_3 Depth=1
	ds_load_b32 v4, v40 offset:10416
	ds_load_b32 v32, v36 offset:10400
	s_wait_dscnt 0x0
	v_fma_f32 v4, v4, v32, 0
	s_and_saveexec_b32 s1, s13
	s_cbranch_execnz .LBB115_1147
; %bb.758:                              ;   in Loop: Header=BB115_3 Depth=1
	s_or_b32 exec_lo, exec_lo, s1
	s_and_saveexec_b32 s1, s14
	s_cbranch_execnz .LBB115_1148
.LBB115_759:                            ;   in Loop: Header=BB115_3 Depth=1
	s_or_b32 exec_lo, exec_lo, s1
	s_and_saveexec_b32 s1, s2
	s_cbranch_execz .LBB115_761
.LBB115_760:                            ;   in Loop: Header=BB115_3 Depth=1
	ds_load_b32 v32, v38 offset:11184
	ds_load_b32 v33, v5 offset:10412
	s_wait_dscnt 0x0
	v_fmac_f32_e32 v4, v32, v33
.LBB115_761:                            ;   in Loop: Header=BB115_3 Depth=1
	s_or_b32 exec_lo, exec_lo, s1
	s_delay_alu instid0(VALU_DEP_1)
	v_xor_b32_e32 v4, 0x80000000, v4
.LBB115_762:                            ;   in Loop: Header=BB115_3 Depth=1
	s_or_b32 exec_lo, exec_lo, s8
	s_and_saveexec_b32 s1, s101
; %bb.763:                              ;   in Loop: Header=BB115_3 Depth=1
	ds_store_b32 v39, v4
; %bb.764:                              ;   in Loop: Header=BB115_3 Depth=1
	s_or_b32 exec_lo, exec_lo, s1
	s_wait_dscnt 0x0
	s_barrier_signal -1
	s_barrier_wait -1
	s_and_saveexec_b32 s1, s102
	s_cbranch_execz .LBB115_766
; %bb.765:                              ;   in Loop: Header=BB115_3 Depth=1
	ds_load_b32 v32, v37 offset:11440
	ds_load_b32 v33, v39
	s_wait_dscnt 0x0
	v_fmac_f32_e32 v4, v32, v33
.LBB115_766:                            ;   in Loop: Header=BB115_3 Depth=1
	s_or_b32 exec_lo, exec_lo, s1
	s_barrier_signal -1
	s_barrier_wait -1
	s_and_saveexec_b32 s1, s103
; %bb.767:                              ;   in Loop: Header=BB115_3 Depth=1
	ds_store_b32 v39, v4
; %bb.768:                              ;   in Loop: Header=BB115_3 Depth=1
	s_or_b32 exec_lo, exec_lo, s1
	s_wait_dscnt 0x0
	s_barrier_signal -1
	s_barrier_wait -1
	s_and_saveexec_b32 s1, s104
	s_cbranch_execz .LBB115_770
; %bb.769:                              ;   in Loop: Header=BB115_3 Depth=1
	ds_load_b32 v32, v37 offset:11696
	ds_load_b32 v33, v39
	s_wait_dscnt 0x0
	v_fmac_f32_e32 v4, v32, v33
.LBB115_770:                            ;   in Loop: Header=BB115_3 Depth=1
	s_or_b32 exec_lo, exec_lo, s1
	s_barrier_signal -1
	s_barrier_wait -1
	s_and_saveexec_b32 s1, vcc_hi
; %bb.771:                              ;   in Loop: Header=BB115_3 Depth=1
	ds_store_b32 v39, v4
; %bb.772:                              ;   in Loop: Header=BB115_3 Depth=1
	s_or_b32 exec_lo, exec_lo, s1
	s_wait_dscnt 0x0
	s_barrier_signal -1
	s_barrier_wait -1
	s_and_saveexec_b32 s1, s31
	s_cbranch_execz .LBB115_774
; %bb.773:                              ;   in Loop: Header=BB115_3 Depth=1
	ds_load_b32 v32, v5 offset:11964
	ds_load_b32 v33, v39
	s_wait_dscnt 0x0
	v_fmac_f32_e32 v4, v32, v33
.LBB115_774:                            ;   in Loop: Header=BB115_3 Depth=1
	s_or_b32 exec_lo, exec_lo, s1
	s_barrier_signal -1
	s_barrier_wait -1
	s_and_saveexec_b32 s1, s31
; %bb.775:                              ;   in Loop: Header=BB115_3 Depth=1
	ds_store_b32 v39, v4
; %bb.776:                              ;   in Loop: Header=BB115_3 Depth=1
	s_or_b32 exec_lo, exec_lo, s1
	s_wait_dscnt 0x0
	s_barrier_signal -1
	s_barrier_wait -1
	s_barrier_signal -1
	s_barrier_wait -1
	s_and_saveexec_b32 s1, s3
; %bb.777:                              ;   in Loop: Header=BB115_3 Depth=1
	v_xor_b32_e32 v4, 0x80000000, v4
	ds_store_b32 v40, v4 offset:10416
; %bb.778:                              ;   in Loop: Header=BB115_3 Depth=1
	s_or_b32 exec_lo, exec_lo, s1
	s_wait_dscnt 0x0
	s_barrier_signal -1
	s_barrier_wait -1
	s_barrier_signal -1
	s_barrier_wait -1
	s_and_saveexec_b32 s1, s11
; %bb.779:                              ;   in Loop: Header=BB115_3 Depth=1
	v_add_nc_u32_e64 v4, 0x2c00, 0
	ds_store_2addr_b32 v4, v65, v65 offset0:44 offset1:109
; %bb.780:                              ;   in Loop: Header=BB115_3 Depth=1
	s_or_b32 exec_lo, exec_lo, s1
	v_mov_b32_e32 v4, 0
	s_wait_dscnt 0x0
	s_barrier_signal -1
	s_barrier_wait -1
	s_and_saveexec_b32 s8, s2
	s_cbranch_execz .LBB115_784
; %bb.781:                              ;   in Loop: Header=BB115_3 Depth=1
	ds_load_b32 v4, v34 offset:11448
	ds_load_b32 v32, v35 offset:11440
	s_wait_dscnt 0x0
	v_fma_f32 v4, v4, v32, 0
	s_and_saveexec_b32 s1, s12
	s_cbranch_execz .LBB115_783
; %bb.782:                              ;   in Loop: Header=BB115_3 Depth=1
	ds_load_b32 v32, v38 offset:11704
	ds_load_b32 v33, v5 offset:11444
	s_wait_dscnt 0x0
	v_fmac_f32_e32 v4, v32, v33
.LBB115_783:                            ;   in Loop: Header=BB115_3 Depth=1
	s_or_b32 exec_lo, exec_lo, s1
	s_delay_alu instid0(VALU_DEP_1)
	v_xor_b32_e32 v4, 0x80000000, v4
.LBB115_784:                            ;   in Loop: Header=BB115_3 Depth=1
	s_or_b32 exec_lo, exec_lo, s8
	s_and_saveexec_b32 s1, s99
; %bb.785:                              ;   in Loop: Header=BB115_3 Depth=1
	ds_store_b32 v9, v4
; %bb.786:                              ;   in Loop: Header=BB115_3 Depth=1
	s_or_b32 exec_lo, exec_lo, s1
	s_wait_dscnt 0x0
	s_barrier_signal -1
	s_barrier_wait -1
	s_and_saveexec_b32 s1, s100
	s_cbranch_execz .LBB115_788
; %bb.787:                              ;   in Loop: Header=BB115_3 Depth=1
	ds_load_b32 v32, v5 offset:11964
	ds_load_b32 v33, v9
	s_wait_dscnt 0x0
	v_fmac_f32_e32 v4, v32, v33
.LBB115_788:                            ;   in Loop: Header=BB115_3 Depth=1
	s_or_b32 exec_lo, exec_lo, s1
	s_barrier_signal -1
	s_barrier_wait -1
	s_and_saveexec_b32 s1, s100
; %bb.789:                              ;   in Loop: Header=BB115_3 Depth=1
	ds_store_b32 v9, v4
; %bb.790:                              ;   in Loop: Header=BB115_3 Depth=1
	s_or_b32 exec_lo, exec_lo, s1
	s_wait_dscnt 0x0
	s_barrier_signal -1
	s_barrier_wait -1
	s_barrier_signal -1
	s_barrier_wait -1
	s_and_saveexec_b32 s1, s2
; %bb.791:                              ;   in Loop: Header=BB115_3 Depth=1
	v_xor_b32_e32 v4, 0x80000000, v4
	ds_store_b32 v34, v4 offset:11448
; %bb.792:                              ;   in Loop: Header=BB115_3 Depth=1
	s_or_b32 exec_lo, exec_lo, s1
	s_wait_dscnt 0x0
	s_barrier_signal -1
	s_barrier_wait -1
	s_barrier_signal -1
	s_barrier_wait -1
	s_and_saveexec_b32 s1, s11
; %bb.793:                              ;   in Loop: Header=BB115_3 Depth=1
	v_add_nc_u32_e64 v4, 0x2c00, 0
	ds_store_2addr_b32 v4, v65, v65 offset0:174 offset1:239
; %bb.794:                              ;   in Loop: Header=BB115_3 Depth=1
	s_or_b32 exec_lo, exec_lo, s1
	v_mov_b32_e32 v4, 0
	s_wait_dscnt 0x0
	s_barrier_signal -1
	s_barrier_wait -1
	s_and_saveexec_b32 s65, s5
	s_cbranch_execz .LBB115_822
; %bb.795:                              ;   in Loop: Header=BB115_3 Depth=1
	ds_load_b32 v4, v53 offset:8384
	ds_load_b32 v32, v45 offset:8320
	s_wait_dscnt 0x0
	v_fma_f32 v4, v4, v32, 0
	s_mov_b32 s1, exec_lo
	v_readlane_b32 s8, v77, 16
	s_and_b32 s8, s1, s8
	s_delay_alu instid0(SALU_CYCLE_1)
	s_mov_b32 exec_lo, s8
	s_cbranch_execz .LBB115_797
; %bb.796:                              ;   in Loop: Header=BB115_3 Depth=1
	ds_load_b32 v32, v54 offset:8640
	ds_load_b32 v33, v45 offset:8324
	s_wait_dscnt 0x0
	v_fmac_f32_e32 v4, v32, v33
.LBB115_797:                            ;   in Loop: Header=BB115_3 Depth=1
	s_or_b32 exec_lo, exec_lo, s1
	s_delay_alu instid0(SALU_CYCLE_1) | instskip(SKIP_2) | instid1(SALU_CYCLE_1)
	s_mov_b32 s1, exec_lo
	v_readlane_b32 s8, v77, 17
	s_and_b32 s8, s1, s8
	s_mov_b32 exec_lo, s8
	s_cbranch_execz .LBB115_799
; %bb.798:                              ;   in Loop: Header=BB115_3 Depth=1
	ds_load_b32 v32, v54 offset:8896
	ds_load_b32 v33, v45 offset:8328
	s_wait_dscnt 0x0
	v_fmac_f32_e32 v4, v32, v33
.LBB115_799:                            ;   in Loop: Header=BB115_3 Depth=1
	s_or_b32 exec_lo, exec_lo, s1
	s_delay_alu instid0(SALU_CYCLE_1) | instskip(SKIP_2) | instid1(SALU_CYCLE_1)
	s_mov_b32 s1, exec_lo
	v_readlane_b32 s8, v77, 18
	s_and_b32 s8, s1, s8
	;; [unrolled: 13-line block ×10, first 2 shown]
	s_mov_b32 exec_lo, s8
	s_cbranch_execnz .LBB115_1149
; %bb.816:                              ;   in Loop: Header=BB115_3 Depth=1
	s_or_b32 exec_lo, exec_lo, s1
	s_and_saveexec_b32 s1, s4
	s_cbranch_execnz .LBB115_1150
.LBB115_817:                            ;   in Loop: Header=BB115_3 Depth=1
	s_or_b32 exec_lo, exec_lo, s1
	s_and_saveexec_b32 s1, s16
	s_cbranch_execnz .LBB115_1151
.LBB115_818:                            ;   in Loop: Header=BB115_3 Depth=1
	s_or_b32 exec_lo, exec_lo, s1
	s_and_saveexec_b32 s1, s18
	s_cbranch_execnz .LBB115_1152
.LBB115_819:                            ;   in Loop: Header=BB115_3 Depth=1
	s_or_b32 exec_lo, exec_lo, s1
	s_and_saveexec_b32 s1, s3
	s_cbranch_execz .LBB115_821
.LBB115_820:                            ;   in Loop: Header=BB115_3 Depth=1
	ds_load_b32 v32, v38 offset:12224
	ds_load_b32 v33, v5 offset:8380
	s_wait_dscnt 0x0
	v_fmac_f32_e32 v4, v32, v33
.LBB115_821:                            ;   in Loop: Header=BB115_3 Depth=1
	s_or_b32 exec_lo, exec_lo, s1
	s_delay_alu instid0(VALU_DEP_1)
	v_xor_b32_e32 v4, 0x80000000, v4
.LBB115_822:                            ;   in Loop: Header=BB115_3 Depth=1
	s_or_b32 exec_lo, exec_lo, s65
	s_delay_alu instid0(SALU_CYCLE_1) | instskip(SKIP_2) | instid1(SALU_CYCLE_1)
	s_mov_b32 s1, exec_lo
	v_readlane_b32 s8, v79, 3
	s_and_b32 s8, s1, s8
	s_mov_b32 exec_lo, s8
; %bb.823:                              ;   in Loop: Header=BB115_3 Depth=1
	ds_store_b32 v52, v4
; %bb.824:                              ;   in Loop: Header=BB115_3 Depth=1
	s_or_b32 exec_lo, exec_lo, s1
	s_wait_dscnt 0x0
	s_barrier_signal -1
	s_barrier_wait -1
	s_mov_b32 s1, exec_lo
	v_readlane_b32 s8, v79, 4
	s_and_b32 s8, s1, s8
	s_delay_alu instid0(SALU_CYCLE_1)
	s_mov_b32 exec_lo, s8
	s_cbranch_execz .LBB115_826
; %bb.825:                              ;   in Loop: Header=BB115_3 Depth=1
	ds_load_b32 v32, v48 offset:12480
	ds_load_b32 v33, v52
	s_wait_dscnt 0x0
	v_fmac_f32_e32 v4, v32, v33
.LBB115_826:                            ;   in Loop: Header=BB115_3 Depth=1
	s_or_b32 exec_lo, exec_lo, s1
	s_barrier_signal -1
	s_barrier_wait -1
	s_and_saveexec_b32 s1, s49
; %bb.827:                              ;   in Loop: Header=BB115_3 Depth=1
	ds_store_b32 v52, v4
; %bb.828:                              ;   in Loop: Header=BB115_3 Depth=1
	s_or_b32 exec_lo, exec_lo, s1
	s_wait_dscnt 0x0
	s_barrier_signal -1
	s_barrier_wait -1
	s_and_saveexec_b32 s1, s50
	s_cbranch_execz .LBB115_830
; %bb.829:                              ;   in Loop: Header=BB115_3 Depth=1
	ds_load_b32 v32, v48 offset:12736
	ds_load_b32 v33, v52
	s_wait_dscnt 0x0
	v_fmac_f32_e32 v4, v32, v33
.LBB115_830:                            ;   in Loop: Header=BB115_3 Depth=1
	s_or_b32 exec_lo, exec_lo, s1
	s_barrier_signal -1
	s_barrier_wait -1
	s_and_saveexec_b32 s1, s51
; %bb.831:                              ;   in Loop: Header=BB115_3 Depth=1
	ds_store_b32 v52, v4
; %bb.832:                              ;   in Loop: Header=BB115_3 Depth=1
	s_or_b32 exec_lo, exec_lo, s1
	s_wait_dscnt 0x0
	s_barrier_signal -1
	s_barrier_wait -1
	s_and_saveexec_b32 s1, s52
	;; [unrolled: 19-line block ×14, first 2 shown]
	s_cbranch_execz .LBB115_882
; %bb.881:                              ;   in Loop: Header=BB115_3 Depth=1
	ds_load_b32 v32, v5 offset:16124
	ds_load_b32 v33, v52
	s_wait_dscnt 0x0
	v_fmac_f32_e32 v4, v32, v33
.LBB115_882:                            ;   in Loop: Header=BB115_3 Depth=1
	s_or_b32 exec_lo, exec_lo, s1
	s_barrier_signal -1
	s_barrier_wait -1
	s_and_saveexec_b32 s1, s96
; %bb.883:                              ;   in Loop: Header=BB115_3 Depth=1
	ds_store_b32 v52, v4
; %bb.884:                              ;   in Loop: Header=BB115_3 Depth=1
	s_or_b32 exec_lo, exec_lo, s1
	s_wait_dscnt 0x0
	s_barrier_signal -1
	s_barrier_wait -1
	s_barrier_signal -1
	s_barrier_wait -1
	s_and_saveexec_b32 s1, s5
; %bb.885:                              ;   in Loop: Header=BB115_3 Depth=1
	v_xor_b32_e32 v4, 0x80000000, v4
	ds_store_b32 v53, v4 offset:8384
; %bb.886:                              ;   in Loop: Header=BB115_3 Depth=1
	s_or_b32 exec_lo, exec_lo, s1
	s_wait_dscnt 0x0
	s_barrier_signal -1
	s_barrier_wait -1
	s_barrier_signal -1
	s_barrier_wait -1
	s_and_saveexec_b32 s1, s11
; %bb.887:                              ;   in Loop: Header=BB115_3 Depth=1
	v_add_nc_u32_e64 v4, 0x3000, 0
	ds_store_2addr_b32 v4, v65, v65 offset0:48 offset1:113
; %bb.888:                              ;   in Loop: Header=BB115_3 Depth=1
	s_or_b32 exec_lo, exec_lo, s1
	v_mov_b32_e32 v4, 0
	s_wait_dscnt 0x0
	s_barrier_signal -1
	s_barrier_wait -1
	s_and_saveexec_b32 s8, s2
	s_cbranch_execz .LBB115_892
; %bb.889:                              ;   in Loop: Header=BB115_3 Depth=1
	ds_load_b32 v4, v34 offset:12488
	ds_load_b32 v32, v35 offset:12480
	s_wait_dscnt 0x0
	v_fma_f32 v4, v4, v32, 0
	s_and_saveexec_b32 s1, s12
	s_cbranch_execz .LBB115_891
; %bb.890:                              ;   in Loop: Header=BB115_3 Depth=1
	ds_load_b32 v32, v38 offset:12744
	ds_load_b32 v33, v5 offset:12484
	s_wait_dscnt 0x0
	v_fmac_f32_e32 v4, v32, v33
.LBB115_891:                            ;   in Loop: Header=BB115_3 Depth=1
	s_or_b32 exec_lo, exec_lo, s1
	s_delay_alu instid0(VALU_DEP_1)
	v_xor_b32_e32 v4, 0x80000000, v4
.LBB115_892:                            ;   in Loop: Header=BB115_3 Depth=1
	s_or_b32 exec_lo, exec_lo, s8
	s_and_saveexec_b32 s1, s99
; %bb.893:                              ;   in Loop: Header=BB115_3 Depth=1
	ds_store_b32 v9, v4
; %bb.894:                              ;   in Loop: Header=BB115_3 Depth=1
	s_or_b32 exec_lo, exec_lo, s1
	s_wait_dscnt 0x0
	s_barrier_signal -1
	s_barrier_wait -1
	s_and_saveexec_b32 s1, s100
	s_cbranch_execz .LBB115_896
; %bb.895:                              ;   in Loop: Header=BB115_3 Depth=1
	ds_load_b32 v32, v5 offset:13004
	ds_load_b32 v33, v9
	s_wait_dscnt 0x0
	v_fmac_f32_e32 v4, v32, v33
.LBB115_896:                            ;   in Loop: Header=BB115_3 Depth=1
	s_or_b32 exec_lo, exec_lo, s1
	s_barrier_signal -1
	s_barrier_wait -1
	s_and_saveexec_b32 s1, s100
; %bb.897:                              ;   in Loop: Header=BB115_3 Depth=1
	ds_store_b32 v9, v4
; %bb.898:                              ;   in Loop: Header=BB115_3 Depth=1
	s_or_b32 exec_lo, exec_lo, s1
	s_wait_dscnt 0x0
	s_barrier_signal -1
	s_barrier_wait -1
	s_barrier_signal -1
	s_barrier_wait -1
	s_and_saveexec_b32 s1, s2
; %bb.899:                              ;   in Loop: Header=BB115_3 Depth=1
	v_xor_b32_e32 v4, 0x80000000, v4
	ds_store_b32 v34, v4 offset:12488
; %bb.900:                              ;   in Loop: Header=BB115_3 Depth=1
	s_or_b32 exec_lo, exec_lo, s1
	s_wait_dscnt 0x0
	s_barrier_signal -1
	s_barrier_wait -1
	s_barrier_signal -1
	s_barrier_wait -1
	s_and_saveexec_b32 s1, s11
; %bb.901:                              ;   in Loop: Header=BB115_3 Depth=1
	v_add_nc_u32_e64 v4, 0x3000, 0
	ds_store_2addr_b32 v4, v65, v65 offset0:178 offset1:243
; %bb.902:                              ;   in Loop: Header=BB115_3 Depth=1
	s_or_b32 exec_lo, exec_lo, s1
	v_mov_b32_e32 v4, 0
	s_wait_dscnt 0x0
	s_barrier_signal -1
	s_barrier_wait -1
	s_and_saveexec_b32 s8, s3
	s_cbranch_execz .LBB115_908
; %bb.903:                              ;   in Loop: Header=BB115_3 Depth=1
	ds_load_b32 v4, v40 offset:12496
	ds_load_b32 v32, v36 offset:12480
	s_wait_dscnt 0x0
	v_fma_f32 v4, v4, v32, 0
	s_and_saveexec_b32 s1, s13
	s_cbranch_execnz .LBB115_1153
; %bb.904:                              ;   in Loop: Header=BB115_3 Depth=1
	s_or_b32 exec_lo, exec_lo, s1
	s_and_saveexec_b32 s1, s14
	s_cbranch_execnz .LBB115_1154
.LBB115_905:                            ;   in Loop: Header=BB115_3 Depth=1
	s_or_b32 exec_lo, exec_lo, s1
	s_and_saveexec_b32 s1, s2
	s_cbranch_execz .LBB115_907
.LBB115_906:                            ;   in Loop: Header=BB115_3 Depth=1
	ds_load_b32 v32, v38 offset:13264
	ds_load_b32 v33, v5 offset:12492
	s_wait_dscnt 0x0
	v_fmac_f32_e32 v4, v32, v33
.LBB115_907:                            ;   in Loop: Header=BB115_3 Depth=1
	s_or_b32 exec_lo, exec_lo, s1
	s_delay_alu instid0(VALU_DEP_1)
	v_xor_b32_e32 v4, 0x80000000, v4
.LBB115_908:                            ;   in Loop: Header=BB115_3 Depth=1
	s_or_b32 exec_lo, exec_lo, s8
	s_and_saveexec_b32 s1, s101
; %bb.909:                              ;   in Loop: Header=BB115_3 Depth=1
	ds_store_b32 v39, v4
; %bb.910:                              ;   in Loop: Header=BB115_3 Depth=1
	s_or_b32 exec_lo, exec_lo, s1
	s_wait_dscnt 0x0
	s_barrier_signal -1
	s_barrier_wait -1
	s_and_saveexec_b32 s1, s102
	s_cbranch_execz .LBB115_912
; %bb.911:                              ;   in Loop: Header=BB115_3 Depth=1
	ds_load_b32 v32, v37 offset:13520
	ds_load_b32 v33, v39
	s_wait_dscnt 0x0
	v_fmac_f32_e32 v4, v32, v33
.LBB115_912:                            ;   in Loop: Header=BB115_3 Depth=1
	s_or_b32 exec_lo, exec_lo, s1
	s_barrier_signal -1
	s_barrier_wait -1
	s_and_saveexec_b32 s1, s103
; %bb.913:                              ;   in Loop: Header=BB115_3 Depth=1
	ds_store_b32 v39, v4
; %bb.914:                              ;   in Loop: Header=BB115_3 Depth=1
	s_or_b32 exec_lo, exec_lo, s1
	s_wait_dscnt 0x0
	s_barrier_signal -1
	s_barrier_wait -1
	s_and_saveexec_b32 s1, s104
	s_cbranch_execz .LBB115_916
; %bb.915:                              ;   in Loop: Header=BB115_3 Depth=1
	ds_load_b32 v32, v37 offset:13776
	ds_load_b32 v33, v39
	s_wait_dscnt 0x0
	v_fmac_f32_e32 v4, v32, v33
.LBB115_916:                            ;   in Loop: Header=BB115_3 Depth=1
	s_or_b32 exec_lo, exec_lo, s1
	s_barrier_signal -1
	s_barrier_wait -1
	s_and_saveexec_b32 s1, vcc_hi
; %bb.917:                              ;   in Loop: Header=BB115_3 Depth=1
	ds_store_b32 v39, v4
; %bb.918:                              ;   in Loop: Header=BB115_3 Depth=1
	s_or_b32 exec_lo, exec_lo, s1
	s_wait_dscnt 0x0
	s_barrier_signal -1
	s_barrier_wait -1
	s_and_saveexec_b32 s1, s31
	s_cbranch_execz .LBB115_920
; %bb.919:                              ;   in Loop: Header=BB115_3 Depth=1
	ds_load_b32 v32, v5 offset:14044
	ds_load_b32 v33, v39
	s_wait_dscnt 0x0
	v_fmac_f32_e32 v4, v32, v33
.LBB115_920:                            ;   in Loop: Header=BB115_3 Depth=1
	s_or_b32 exec_lo, exec_lo, s1
	s_barrier_signal -1
	s_barrier_wait -1
	s_and_saveexec_b32 s1, s31
; %bb.921:                              ;   in Loop: Header=BB115_3 Depth=1
	ds_store_b32 v39, v4
; %bb.922:                              ;   in Loop: Header=BB115_3 Depth=1
	s_or_b32 exec_lo, exec_lo, s1
	s_wait_dscnt 0x0
	s_barrier_signal -1
	s_barrier_wait -1
	s_barrier_signal -1
	s_barrier_wait -1
	s_and_saveexec_b32 s1, s3
; %bb.923:                              ;   in Loop: Header=BB115_3 Depth=1
	v_xor_b32_e32 v4, 0x80000000, v4
	ds_store_b32 v40, v4 offset:12496
; %bb.924:                              ;   in Loop: Header=BB115_3 Depth=1
	s_or_b32 exec_lo, exec_lo, s1
	s_wait_dscnt 0x0
	s_barrier_signal -1
	s_barrier_wait -1
	s_barrier_signal -1
	s_barrier_wait -1
	s_and_saveexec_b32 s1, s11
; %bb.925:                              ;   in Loop: Header=BB115_3 Depth=1
	v_add_nc_u32_e64 v4, 0x3400, 0
	ds_store_2addr_b32 v4, v65, v65 offset0:52 offset1:117
; %bb.926:                              ;   in Loop: Header=BB115_3 Depth=1
	s_or_b32 exec_lo, exec_lo, s1
	v_mov_b32_e32 v4, 0
	s_wait_dscnt 0x0
	s_barrier_signal -1
	s_barrier_wait -1
	s_and_saveexec_b32 s8, s2
	s_cbranch_execz .LBB115_930
; %bb.927:                              ;   in Loop: Header=BB115_3 Depth=1
	ds_load_b32 v4, v34 offset:13528
	ds_load_b32 v32, v35 offset:13520
	s_wait_dscnt 0x0
	v_fma_f32 v4, v4, v32, 0
	s_and_saveexec_b32 s1, s12
	s_cbranch_execz .LBB115_929
; %bb.928:                              ;   in Loop: Header=BB115_3 Depth=1
	ds_load_b32 v32, v38 offset:13784
	ds_load_b32 v33, v5 offset:13524
	s_wait_dscnt 0x0
	v_fmac_f32_e32 v4, v32, v33
.LBB115_929:                            ;   in Loop: Header=BB115_3 Depth=1
	s_or_b32 exec_lo, exec_lo, s1
	s_delay_alu instid0(VALU_DEP_1)
	v_xor_b32_e32 v4, 0x80000000, v4
.LBB115_930:                            ;   in Loop: Header=BB115_3 Depth=1
	s_or_b32 exec_lo, exec_lo, s8
	s_and_saveexec_b32 s1, s99
; %bb.931:                              ;   in Loop: Header=BB115_3 Depth=1
	ds_store_b32 v9, v4
; %bb.932:                              ;   in Loop: Header=BB115_3 Depth=1
	s_or_b32 exec_lo, exec_lo, s1
	s_wait_dscnt 0x0
	s_barrier_signal -1
	s_barrier_wait -1
	s_and_saveexec_b32 s1, s100
	s_cbranch_execz .LBB115_934
; %bb.933:                              ;   in Loop: Header=BB115_3 Depth=1
	ds_load_b32 v32, v5 offset:14044
	ds_load_b32 v33, v9
	s_wait_dscnt 0x0
	v_fmac_f32_e32 v4, v32, v33
.LBB115_934:                            ;   in Loop: Header=BB115_3 Depth=1
	s_or_b32 exec_lo, exec_lo, s1
	s_barrier_signal -1
	s_barrier_wait -1
	s_and_saveexec_b32 s1, s100
; %bb.935:                              ;   in Loop: Header=BB115_3 Depth=1
	ds_store_b32 v9, v4
; %bb.936:                              ;   in Loop: Header=BB115_3 Depth=1
	s_or_b32 exec_lo, exec_lo, s1
	s_wait_dscnt 0x0
	s_barrier_signal -1
	s_barrier_wait -1
	s_barrier_signal -1
	s_barrier_wait -1
	s_and_saveexec_b32 s1, s2
; %bb.937:                              ;   in Loop: Header=BB115_3 Depth=1
	v_xor_b32_e32 v4, 0x80000000, v4
	ds_store_b32 v34, v4 offset:13528
; %bb.938:                              ;   in Loop: Header=BB115_3 Depth=1
	s_or_b32 exec_lo, exec_lo, s1
	s_wait_dscnt 0x0
	s_barrier_signal -1
	s_barrier_wait -1
	s_barrier_signal -1
	s_barrier_wait -1
	s_and_saveexec_b32 s1, s11
; %bb.939:                              ;   in Loop: Header=BB115_3 Depth=1
	v_add_nc_u32_e64 v4, 0x3400, 0
	ds_store_2addr_b32 v4, v65, v65 offset0:182 offset1:247
; %bb.940:                              ;   in Loop: Header=BB115_3 Depth=1
	s_or_b32 exec_lo, exec_lo, s1
	v_mov_b32_e32 v4, 0
	s_wait_dscnt 0x0
	s_barrier_signal -1
	s_barrier_wait -1
	s_and_saveexec_b32 s8, s4
	s_cbranch_execz .LBB115_950
; %bb.941:                              ;   in Loop: Header=BB115_3 Depth=1
	ds_load_b32 v4, v46 offset:12512
	ds_load_b32 v32, v41 offset:12480
	s_wait_dscnt 0x0
	v_fma_f32 v4, v4, v32, 0
	s_and_saveexec_b32 s1, s15
	s_cbranch_execnz .LBB115_1155
; %bb.942:                              ;   in Loop: Header=BB115_3 Depth=1
	s_or_b32 exec_lo, exec_lo, s1
	s_and_saveexec_b32 s1, s16
	s_cbranch_execnz .LBB115_1156
.LBB115_943:                            ;   in Loop: Header=BB115_3 Depth=1
	s_or_b32 exec_lo, exec_lo, s1
	s_and_saveexec_b32 s1, s17
	s_cbranch_execnz .LBB115_1157
.LBB115_944:                            ;   in Loop: Header=BB115_3 Depth=1
	s_or_b32 exec_lo, exec_lo, s1
	s_and_saveexec_b32 s1, s18
	s_cbranch_execnz .LBB115_1158
.LBB115_945:                            ;   in Loop: Header=BB115_3 Depth=1
	s_or_b32 exec_lo, exec_lo, s1
	s_and_saveexec_b32 s1, s19
	s_cbranch_execnz .LBB115_1159
.LBB115_946:                            ;   in Loop: Header=BB115_3 Depth=1
	s_or_b32 exec_lo, exec_lo, s1
	s_and_saveexec_b32 s1, s3
	s_cbranch_execnz .LBB115_1160
.LBB115_947:                            ;   in Loop: Header=BB115_3 Depth=1
	s_or_b32 exec_lo, exec_lo, s1
	s_and_saveexec_b32 s1, s14
	s_cbranch_execz .LBB115_949
.LBB115_948:                            ;   in Loop: Header=BB115_3 Depth=1
	ds_load_b32 v32, v38 offset:14304
	ds_load_b32 v33, v5 offset:12508
	s_wait_dscnt 0x0
	v_fmac_f32_e32 v4, v32, v33
.LBB115_949:                            ;   in Loop: Header=BB115_3 Depth=1
	s_or_b32 exec_lo, exec_lo, s1
	s_delay_alu instid0(VALU_DEP_1)
	v_xor_b32_e32 v4, 0x80000000, v4
.LBB115_950:                            ;   in Loop: Header=BB115_3 Depth=1
	s_or_b32 exec_lo, exec_lo, s8
	s_and_saveexec_b32 s1, s33
; %bb.951:                              ;   in Loop: Header=BB115_3 Depth=1
	ds_store_b32 v43, v4
; %bb.952:                              ;   in Loop: Header=BB115_3 Depth=1
	s_or_b32 exec_lo, exec_lo, s1
	s_wait_dscnt 0x0
	s_barrier_signal -1
	s_barrier_wait -1
	s_and_saveexec_b32 s1, s34
	s_cbranch_execz .LBB115_954
; %bb.953:                              ;   in Loop: Header=BB115_3 Depth=1
	ds_load_b32 v32, v44 offset:14560
	ds_load_b32 v33, v43
	s_wait_dscnt 0x0
	v_fmac_f32_e32 v4, v32, v33
.LBB115_954:                            ;   in Loop: Header=BB115_3 Depth=1
	s_or_b32 exec_lo, exec_lo, s1
	s_barrier_signal -1
	s_barrier_wait -1
	s_and_saveexec_b32 s1, s35
; %bb.955:                              ;   in Loop: Header=BB115_3 Depth=1
	ds_store_b32 v43, v4
; %bb.956:                              ;   in Loop: Header=BB115_3 Depth=1
	s_or_b32 exec_lo, exec_lo, s1
	s_wait_dscnt 0x0
	s_barrier_signal -1
	s_barrier_wait -1
	s_and_saveexec_b32 s1, s36
	s_cbranch_execz .LBB115_958
; %bb.957:                              ;   in Loop: Header=BB115_3 Depth=1
	ds_load_b32 v32, v44 offset:14816
	ds_load_b32 v33, v43
	s_wait_dscnt 0x0
	v_fmac_f32_e32 v4, v32, v33
.LBB115_958:                            ;   in Loop: Header=BB115_3 Depth=1
	s_or_b32 exec_lo, exec_lo, s1
	s_barrier_signal -1
	s_barrier_wait -1
	;; [unrolled: 19-line block ×7, first 2 shown]
	s_and_saveexec_b32 s1, s46
; %bb.979:                              ;   in Loop: Header=BB115_3 Depth=1
	ds_store_b32 v43, v4
; %bb.980:                              ;   in Loop: Header=BB115_3 Depth=1
	s_or_b32 exec_lo, exec_lo, s1
	s_wait_dscnt 0x0
	s_barrier_signal -1
	s_barrier_wait -1
	s_barrier_signal -1
	s_barrier_wait -1
	s_and_saveexec_b32 s1, s4
; %bb.981:                              ;   in Loop: Header=BB115_3 Depth=1
	v_xor_b32_e32 v4, 0x80000000, v4
	ds_store_b32 v46, v4 offset:12512
; %bb.982:                              ;   in Loop: Header=BB115_3 Depth=1
	s_or_b32 exec_lo, exec_lo, s1
	s_wait_dscnt 0x0
	s_barrier_signal -1
	s_barrier_wait -1
	s_barrier_signal -1
	s_barrier_wait -1
	s_and_saveexec_b32 s1, s11
; %bb.983:                              ;   in Loop: Header=BB115_3 Depth=1
	v_add_nc_u32_e64 v4, 0x3800, 0
	ds_store_2addr_b32 v4, v65, v65 offset0:56 offset1:121
; %bb.984:                              ;   in Loop: Header=BB115_3 Depth=1
	s_or_b32 exec_lo, exec_lo, s1
	v_mov_b32_e32 v4, 0
	s_wait_dscnt 0x0
	s_barrier_signal -1
	s_barrier_wait -1
	s_and_saveexec_b32 s8, s2
	s_cbranch_execz .LBB115_988
; %bb.985:                              ;   in Loop: Header=BB115_3 Depth=1
	ds_load_b32 v4, v34 offset:14568
	ds_load_b32 v32, v35 offset:14560
	s_wait_dscnt 0x0
	v_fma_f32 v4, v4, v32, 0
	s_and_saveexec_b32 s1, s12
	s_cbranch_execz .LBB115_987
; %bb.986:                              ;   in Loop: Header=BB115_3 Depth=1
	ds_load_b32 v32, v38 offset:14824
	ds_load_b32 v33, v5 offset:14564
	s_wait_dscnt 0x0
	v_fmac_f32_e32 v4, v32, v33
.LBB115_987:                            ;   in Loop: Header=BB115_3 Depth=1
	s_or_b32 exec_lo, exec_lo, s1
	s_delay_alu instid0(VALU_DEP_1)
	v_xor_b32_e32 v4, 0x80000000, v4
.LBB115_988:                            ;   in Loop: Header=BB115_3 Depth=1
	s_or_b32 exec_lo, exec_lo, s8
	s_and_saveexec_b32 s1, s99
; %bb.989:                              ;   in Loop: Header=BB115_3 Depth=1
	ds_store_b32 v9, v4
; %bb.990:                              ;   in Loop: Header=BB115_3 Depth=1
	s_or_b32 exec_lo, exec_lo, s1
	s_wait_dscnt 0x0
	s_barrier_signal -1
	s_barrier_wait -1
	s_and_saveexec_b32 s1, s100
	s_cbranch_execz .LBB115_992
; %bb.991:                              ;   in Loop: Header=BB115_3 Depth=1
	ds_load_b32 v32, v5 offset:15084
	ds_load_b32 v33, v9
	s_wait_dscnt 0x0
	v_fmac_f32_e32 v4, v32, v33
.LBB115_992:                            ;   in Loop: Header=BB115_3 Depth=1
	s_or_b32 exec_lo, exec_lo, s1
	s_barrier_signal -1
	s_barrier_wait -1
	s_and_saveexec_b32 s1, s100
; %bb.993:                              ;   in Loop: Header=BB115_3 Depth=1
	ds_store_b32 v9, v4
; %bb.994:                              ;   in Loop: Header=BB115_3 Depth=1
	s_or_b32 exec_lo, exec_lo, s1
	s_wait_dscnt 0x0
	s_barrier_signal -1
	s_barrier_wait -1
	s_barrier_signal -1
	s_barrier_wait -1
	s_and_saveexec_b32 s1, s2
; %bb.995:                              ;   in Loop: Header=BB115_3 Depth=1
	v_xor_b32_e32 v4, 0x80000000, v4
	ds_store_b32 v34, v4 offset:14568
; %bb.996:                              ;   in Loop: Header=BB115_3 Depth=1
	s_or_b32 exec_lo, exec_lo, s1
	s_wait_dscnt 0x0
	s_barrier_signal -1
	s_barrier_wait -1
	s_barrier_signal -1
	s_barrier_wait -1
	s_and_saveexec_b32 s1, s11
; %bb.997:                              ;   in Loop: Header=BB115_3 Depth=1
	v_add_nc_u32_e64 v4, 0x3800, 0
	ds_store_2addr_b32 v4, v65, v65 offset0:186 offset1:251
; %bb.998:                              ;   in Loop: Header=BB115_3 Depth=1
	s_or_b32 exec_lo, exec_lo, s1
	v_mov_b32_e32 v4, 0
	s_wait_dscnt 0x0
	s_barrier_signal -1
	s_barrier_wait -1
	s_and_saveexec_b32 s8, s3
	s_cbranch_execz .LBB115_1004
; %bb.999:                              ;   in Loop: Header=BB115_3 Depth=1
	ds_load_b32 v4, v40 offset:14576
	ds_load_b32 v32, v36 offset:14560
	s_wait_dscnt 0x0
	v_fma_f32 v4, v4, v32, 0
	s_and_saveexec_b32 s1, s13
	s_cbranch_execnz .LBB115_1161
; %bb.1000:                             ;   in Loop: Header=BB115_3 Depth=1
	s_or_b32 exec_lo, exec_lo, s1
	s_and_saveexec_b32 s1, s14
	s_cbranch_execnz .LBB115_1162
.LBB115_1001:                           ;   in Loop: Header=BB115_3 Depth=1
	s_or_b32 exec_lo, exec_lo, s1
	s_and_saveexec_b32 s1, s2
	s_cbranch_execz .LBB115_1003
.LBB115_1002:                           ;   in Loop: Header=BB115_3 Depth=1
	ds_load_b32 v32, v38 offset:15344
	ds_load_b32 v33, v5 offset:14572
	s_wait_dscnt 0x0
	v_fmac_f32_e32 v4, v32, v33
.LBB115_1003:                           ;   in Loop: Header=BB115_3 Depth=1
	s_or_b32 exec_lo, exec_lo, s1
	s_delay_alu instid0(VALU_DEP_1)
	v_xor_b32_e32 v4, 0x80000000, v4
.LBB115_1004:                           ;   in Loop: Header=BB115_3 Depth=1
	s_or_b32 exec_lo, exec_lo, s8
	s_and_saveexec_b32 s1, s101
; %bb.1005:                             ;   in Loop: Header=BB115_3 Depth=1
	ds_store_b32 v39, v4
; %bb.1006:                             ;   in Loop: Header=BB115_3 Depth=1
	s_or_b32 exec_lo, exec_lo, s1
	s_wait_dscnt 0x0
	s_barrier_signal -1
	s_barrier_wait -1
	s_and_saveexec_b32 s1, s102
	s_cbranch_execz .LBB115_1008
; %bb.1007:                             ;   in Loop: Header=BB115_3 Depth=1
	ds_load_b32 v32, v37 offset:15600
	ds_load_b32 v33, v39
	s_wait_dscnt 0x0
	v_fmac_f32_e32 v4, v32, v33
.LBB115_1008:                           ;   in Loop: Header=BB115_3 Depth=1
	s_or_b32 exec_lo, exec_lo, s1
	s_barrier_signal -1
	s_barrier_wait -1
	s_and_saveexec_b32 s1, s103
; %bb.1009:                             ;   in Loop: Header=BB115_3 Depth=1
	ds_store_b32 v39, v4
; %bb.1010:                             ;   in Loop: Header=BB115_3 Depth=1
	s_or_b32 exec_lo, exec_lo, s1
	s_wait_dscnt 0x0
	s_barrier_signal -1
	s_barrier_wait -1
	s_and_saveexec_b32 s1, s104
	s_cbranch_execz .LBB115_1012
; %bb.1011:                             ;   in Loop: Header=BB115_3 Depth=1
	ds_load_b32 v32, v37 offset:15856
	ds_load_b32 v33, v39
	s_wait_dscnt 0x0
	v_fmac_f32_e32 v4, v32, v33
.LBB115_1012:                           ;   in Loop: Header=BB115_3 Depth=1
	s_or_b32 exec_lo, exec_lo, s1
	s_barrier_signal -1
	s_barrier_wait -1
	s_and_saveexec_b32 s1, vcc_hi
; %bb.1013:                             ;   in Loop: Header=BB115_3 Depth=1
	ds_store_b32 v39, v4
; %bb.1014:                             ;   in Loop: Header=BB115_3 Depth=1
	s_or_b32 exec_lo, exec_lo, s1
	s_wait_dscnt 0x0
	s_barrier_signal -1
	s_barrier_wait -1
	s_and_saveexec_b32 s1, s31
	s_cbranch_execz .LBB115_1016
; %bb.1015:                             ;   in Loop: Header=BB115_3 Depth=1
	ds_load_b32 v32, v5 offset:16124
	ds_load_b32 v33, v39
	s_wait_dscnt 0x0
	v_fmac_f32_e32 v4, v32, v33
.LBB115_1016:                           ;   in Loop: Header=BB115_3 Depth=1
	s_or_b32 exec_lo, exec_lo, s1
	s_barrier_signal -1
	s_barrier_wait -1
	s_and_saveexec_b32 s1, s31
; %bb.1017:                             ;   in Loop: Header=BB115_3 Depth=1
	ds_store_b32 v39, v4
; %bb.1018:                             ;   in Loop: Header=BB115_3 Depth=1
	s_or_b32 exec_lo, exec_lo, s1
	s_wait_dscnt 0x0
	s_barrier_signal -1
	s_barrier_wait -1
	s_barrier_signal -1
	s_barrier_wait -1
	s_and_saveexec_b32 s1, s3
; %bb.1019:                             ;   in Loop: Header=BB115_3 Depth=1
	v_xor_b32_e32 v4, 0x80000000, v4
	ds_store_b32 v40, v4 offset:14576
; %bb.1020:                             ;   in Loop: Header=BB115_3 Depth=1
	s_or_b32 exec_lo, exec_lo, s1
	s_wait_dscnt 0x0
	s_barrier_signal -1
	s_barrier_wait -1
	s_barrier_signal -1
	s_barrier_wait -1
	s_and_saveexec_b32 s1, s11
; %bb.1021:                             ;   in Loop: Header=BB115_3 Depth=1
	v_add_nc_u32_e64 v4, 0x3c00, 0
	ds_store_2addr_b32 v4, v65, v65 offset0:60 offset1:125
; %bb.1022:                             ;   in Loop: Header=BB115_3 Depth=1
	s_or_b32 exec_lo, exec_lo, s1
	v_mov_b32_e32 v4, 0
	s_wait_dscnt 0x0
	s_barrier_signal -1
	s_barrier_wait -1
	s_and_saveexec_b32 s8, s2
	s_cbranch_execz .LBB115_1026
; %bb.1023:                             ;   in Loop: Header=BB115_3 Depth=1
	ds_load_b32 v4, v34 offset:15608
	ds_load_b32 v32, v35 offset:15600
	s_wait_dscnt 0x0
	v_fma_f32 v4, v4, v32, 0
	s_and_saveexec_b32 s1, s12
	s_cbranch_execz .LBB115_1025
; %bb.1024:                             ;   in Loop: Header=BB115_3 Depth=1
	ds_load_b32 v32, v38 offset:15864
	ds_load_b32 v33, v5 offset:15604
	s_wait_dscnt 0x0
	v_fmac_f32_e32 v4, v32, v33
.LBB115_1025:                           ;   in Loop: Header=BB115_3 Depth=1
	s_or_b32 exec_lo, exec_lo, s1
	s_delay_alu instid0(VALU_DEP_1)
	v_xor_b32_e32 v4, 0x80000000, v4
.LBB115_1026:                           ;   in Loop: Header=BB115_3 Depth=1
	s_or_b32 exec_lo, exec_lo, s8
	s_and_saveexec_b32 s1, s99
; %bb.1027:                             ;   in Loop: Header=BB115_3 Depth=1
	ds_store_b32 v9, v4
; %bb.1028:                             ;   in Loop: Header=BB115_3 Depth=1
	s_or_b32 exec_lo, exec_lo, s1
	s_wait_dscnt 0x0
	s_barrier_signal -1
	s_barrier_wait -1
	s_and_saveexec_b32 s1, s100
	s_cbranch_execz .LBB115_1030
; %bb.1029:                             ;   in Loop: Header=BB115_3 Depth=1
	ds_load_b32 v32, v5 offset:16124
	ds_load_b32 v33, v9
	s_wait_dscnt 0x0
	v_fmac_f32_e32 v4, v32, v33
.LBB115_1030:                           ;   in Loop: Header=BB115_3 Depth=1
	s_or_b32 exec_lo, exec_lo, s1
	s_barrier_signal -1
	s_barrier_wait -1
	s_and_saveexec_b32 s1, s100
; %bb.1031:                             ;   in Loop: Header=BB115_3 Depth=1
	ds_store_b32 v9, v4
; %bb.1032:                             ;   in Loop: Header=BB115_3 Depth=1
	s_or_b32 exec_lo, exec_lo, s1
	s_wait_dscnt 0x0
	s_barrier_signal -1
	s_barrier_wait -1
	s_barrier_signal -1
	s_barrier_wait -1
	s_and_saveexec_b32 s1, s2
; %bb.1033:                             ;   in Loop: Header=BB115_3 Depth=1
	v_xor_b32_e32 v4, 0x80000000, v4
	ds_store_b32 v34, v4 offset:15608
; %bb.1034:                             ;   in Loop: Header=BB115_3 Depth=1
	s_or_b32 exec_lo, exec_lo, s1
	s_wait_dscnt 0x0
	s_barrier_signal -1
	s_barrier_wait -1
	s_barrier_signal -1
	s_barrier_wait -1
	s_and_saveexec_b32 s1, s11
; %bb.1035:                             ;   in Loop: Header=BB115_3 Depth=1
	v_add_nc_u32_e64 v4, 0x3c00, 0
	ds_store_2addr_b32 v4, v65, v65 offset0:190 offset1:255
; %bb.1036:                             ;   in Loop: Header=BB115_3 Depth=1
	s_or_b32 exec_lo, exec_lo, s1
.LBB115_1037:                           ;   in Loop: Header=BB115_3 Depth=1
	v_add_nc_u64_e32 v[30:31], s[74:75], v[30:31]
	v_mov_b32_e32 v70, 0
	s_wait_dscnt 0x0
	s_barrier_signal -1
	s_barrier_wait -1
	s_wait_xcnt 0x0
	s_and_saveexec_b32 s1, s10
	s_cbranch_execz .LBB115_1039
; %bb.1038:                             ;   in Loop: Header=BB115_3 Depth=1
	v_lshl_add_u64 v[32:33], v[0:1], 2, v[30:31]
	v_readlane_b32 s8, v79, 1
	flat_load_b32 v4, v[32:33]
	s_wait_loadcnt_dscnt 0x0
	v_mul_f32_e64 v70, v4, -s8
.LBB115_1039:                           ;   in Loop: Header=BB115_3 Depth=1
	s_or_b32 exec_lo, exec_lo, s1
	s_delay_alu instid0(SALU_CYCLE_1)
	s_and_not1_b32 vcc_lo, exec_lo, s47
	s_cbranch_vccnz .LBB115_1065
; %bb.1040:                             ;   in Loop: Header=BB115_3 Depth=1
	v_lshl_add_u64 v[28:29], v[10:11], 2, v[28:29]
	v_mov_b32_e32 v71, -1
	s_lshl_b64 s[90:91], s[66:67], 2
	s_mov_b32 s8, 0
	s_add_nc_u64 s[90:91], s[78:79], s[90:91]
	s_branch .LBB115_1043
.LBB115_1041:                           ;   in Loop: Header=BB115_1043 Depth=2
	s_wait_xcnt 0x0
	ds_load_b32 v32, v57 offset:192
	s_wait_loadcnt_dscnt 0x0
	v_fmac_f32_e32 v70, v4, v32
.LBB115_1042:                           ;   in Loop: Header=BB115_1043 Depth=2
	s_or_b32 exec_lo, exec_lo, s1
	s_add_co_i32 s8, s8, 1
	s_delay_alu instid0(SALU_CYCLE_1)
	s_cmp_eq_u32 s8, s95
	s_cbranch_scc1 .LBB115_1065
.LBB115_1043:                           ;   Parent Loop BB115_3 Depth=1
                                        ; =>  This Loop Header: Depth=2
                                        ;       Child Loop BB115_1045 Depth 3
	v_cmp_gt_i32_e32 vcc_lo, s8, v71
	s_and_b32 s48, s55, vcc_lo
	s_delay_alu instid0(SALU_CYCLE_1)
	s_and_saveexec_b32 s1, s48
	s_cbranch_execz .LBB115_1046
; %bb.1044:                             ;   in Loop: Header=BB115_1043 Depth=2
	global_load_b32 v71, v5, s[90:91]
	s_wait_loadcnt 0x0
	v_cmp_le_i32_e32 vcc_lo, s8, v71
	s_cbranch_vccnz .LBB115_1046
.LBB115_1045:                           ;   Parent Loop BB115_3 Depth=1
                                        ;     Parent Loop BB115_1043 Depth=2
                                        ; =>    This Inner Loop Header: Depth=3
	global_wb scope:SCOPE_DEV
	s_wait_storecnt 0x0
	global_inv scope:SCOPE_DEV
	global_load_b32 v71, v5, s[90:91]
	s_wait_loadcnt 0x0
	v_cmp_gt_i32_e32 vcc_lo, s8, v71
	s_cbranch_vccnz .LBB115_1045
.LBB115_1046:                           ;   in Loop: Header=BB115_1043 Depth=2
	s_or_b32 exec_lo, exec_lo, s1
	s_lshl_b32 s65, s8, 6
	global_wb scope:SCOPE_DEV
	s_wait_storecnt 0x0
	global_inv scope:SCOPE_DEV
	s_wait_loadcnt 0x0
	s_barrier_signal -1
	s_barrier_wait -1
	s_and_saveexec_b32 s1, s56
	s_cbranch_execz .LBB115_1050
; %bb.1047:                             ;   in Loop: Header=BB115_1043 Depth=2
	v_dual_mov_b32 v32, 0 :: v_dual_bitop2_b32 v4, s65, v8 bitop3:0x54
	s_mov_b32 s48, exec_lo
	s_delay_alu instid0(VALU_DEP_1)
	v_cmpx_gt_i32_e64 s93, v4
	s_cbranch_execz .LBB115_1049
; %bb.1048:                             ;   in Loop: Header=BB115_1043 Depth=2
	v_mul_u64_e32 v[32:33], s[80:81], v[4:5]
	s_delay_alu instid0(VALU_DEP_1)
	v_lshl_add_u64 v[32:33], v[32:33], 2, v[30:31]
	flat_load_b32 v32, v[32:33]
.LBB115_1049:                           ;   in Loop: Header=BB115_1043 Depth=2
	s_wait_xcnt 0x0
	s_or_b32 exec_lo, exec_lo, s48
	s_wait_loadcnt_dscnt 0x0
	ds_store_b32 v58, v32
.LBB115_1050:                           ;   in Loop: Header=BB115_1043 Depth=2
	s_or_b32 exec_lo, exec_lo, s1
	v_add_nc_u32_e32 v4, s65, v2
	v_cmp_ne_u32_e32 vcc_lo, s8, v7
	s_wait_dscnt 0x0
	s_barrier_signal -1
	s_barrier_wait -1
	v_mul_u64_e32 v[32:33], s[76:77], v[4:5]
	v_cmp_gt_i32_e64 s65, s93, v4
	v_cndmask_b32_e64 v72, 0, 1, vcc_lo
	s_and_b32 s48, s0, s65
	v_lshl_add_u64 v[32:33], v[32:33], 2, v[28:29]
	s_and_saveexec_b32 s1, s48
	s_cbranch_execz .LBB115_1054
; %bb.1051:                             ;   in Loop: Header=BB115_1043 Depth=2
	v_mov_b32_e32 v73, v66
	s_and_not1_b32 vcc_lo, exec_lo, vcc_lo
	s_cbranch_vccnz .LBB115_1053
; %bb.1052:                             ;   in Loop: Header=BB115_1043 Depth=2
	flat_load_b32 v73, v[32:33]
.LBB115_1053:                           ;   in Loop: Header=BB115_1043 Depth=2
	ds_load_b32 v74, v57
	s_wait_loadcnt_dscnt 0x0
	v_fmac_f32_e32 v70, v73, v74
.LBB115_1054:                           ;   in Loop: Header=BB115_1043 Depth=2
	s_or_b32 exec_lo, exec_lo, s1
	v_add_nc_u32_e32 v73, 16, v4
	s_delay_alu instid0(VALU_DEP_1) | instskip(SKIP_1) | instid1(SALU_CYCLE_1)
	v_cmp_gt_i32_e32 vcc_lo, s93, v73
	s_and_b32 s48, s0, vcc_lo
	s_and_saveexec_b32 s1, s48
	s_cbranch_execz .LBB115_1058
; %bb.1055:                             ;   in Loop: Header=BB115_1043 Depth=2
	v_cmp_ne_u32_e32 vcc_lo, 1, v72
	v_mov_b32_e32 v73, v67
	s_cbranch_vccnz .LBB115_1057
; %bb.1056:                             ;   in Loop: Header=BB115_1043 Depth=2
	v_add_nc_u64_e32 v[74:75], s[84:85], v[32:33]
	flat_load_b32 v73, v[74:75]
.LBB115_1057:                           ;   in Loop: Header=BB115_1043 Depth=2
	s_wait_xcnt 0x0
	ds_load_b32 v74, v57 offset:64
	s_wait_loadcnt_dscnt 0x0
	v_fmac_f32_e32 v70, v73, v74
.LBB115_1058:                           ;   in Loop: Header=BB115_1043 Depth=2
	s_or_b32 exec_lo, exec_lo, s1
	v_add_nc_u32_e32 v73, 32, v4
	s_delay_alu instid0(VALU_DEP_1) | instskip(SKIP_1) | instid1(SALU_CYCLE_1)
	v_cmp_gt_i32_e32 vcc_lo, s93, v73
	s_and_b32 s48, s0, vcc_lo
	s_and_saveexec_b32 s1, s48
	s_cbranch_execz .LBB115_1062
; %bb.1059:                             ;   in Loop: Header=BB115_1043 Depth=2
	v_cmp_ne_u32_e32 vcc_lo, 1, v72
	v_mov_b32_e32 v73, v68
	s_cbranch_vccnz .LBB115_1061
; %bb.1060:                             ;   in Loop: Header=BB115_1043 Depth=2
	v_add_nc_u64_e32 v[74:75], s[86:87], v[32:33]
	flat_load_b32 v73, v[74:75]
.LBB115_1061:                           ;   in Loop: Header=BB115_1043 Depth=2
	s_wait_xcnt 0x0
	ds_load_b32 v74, v57 offset:128
	s_wait_loadcnt_dscnt 0x0
	v_fmac_f32_e32 v70, v73, v74
.LBB115_1062:                           ;   in Loop: Header=BB115_1043 Depth=2
	s_or_b32 exec_lo, exec_lo, s1
	v_add_nc_u32_e32 v4, 48, v4
	s_delay_alu instid0(VALU_DEP_1) | instskip(SKIP_1) | instid1(SALU_CYCLE_1)
	v_cmp_gt_i32_e32 vcc_lo, s93, v4
	s_and_b32 s48, s0, vcc_lo
	s_and_saveexec_b32 s1, s48
	s_cbranch_execz .LBB115_1042
; %bb.1063:                             ;   in Loop: Header=BB115_1043 Depth=2
	v_cmp_ne_u32_e32 vcc_lo, 1, v72
	v_mov_b32_e32 v4, v69
	s_cbranch_vccnz .LBB115_1041
; %bb.1064:                             ;   in Loop: Header=BB115_1043 Depth=2
	v_add_nc_u64_e32 v[32:33], s[88:89], v[32:33]
	flat_load_b32 v4, v[32:33]
	s_branch .LBB115_1041
.LBB115_1065:                           ;   in Loop: Header=BB115_3 Depth=1
	ds_store_b32 v59, v70
	s_wait_dscnt 0x0
	s_barrier_signal -1
	s_barrier_wait -1
	s_and_saveexec_b32 s8, s7
	s_cbranch_execz .LBB115_1067
; %bb.1066:                             ;   in Loop: Header=BB115_3 Depth=1
	ds_load_2addr_stride64_b32 v[28:29], v60 offset0:1 offset1:2
	ds_load_2addr_stride64_b32 v[32:33], v60 offset0:3 offset1:4
	;; [unrolled: 1-line block ×4, first 2 shown]
	v_readlane_b32 s1, v77, 2
	s_wait_dscnt 0x3
	v_add_f32_e32 v4, v70, v28
	s_delay_alu instid0(VALU_DEP_1) | instskip(SKIP_3) | instid1(VALU_DEP_1)
	v_add_f32_e32 v4, v4, v29
	ds_load_2addr_stride64_b32 v[28:29], v60 offset0:9 offset1:10
	s_wait_dscnt 0x3
	v_add_f32_e32 v4, v4, v32
	v_add_f32_e32 v4, v4, v33
	ds_load_2addr_stride64_b32 v[32:33], v60 offset0:11 offset1:12
	s_wait_dscnt 0x3
	v_add_f32_e32 v4, v4, v72
	ds_load_2addr_stride64_b32 v[70:71], v60 offset0:13 offset1:14
	ds_load_b32 v72, v60 offset:3840
	v_add_f32_e32 v4, v4, v73
	s_wait_dscnt 0x4
	s_delay_alu instid0(VALU_DEP_1) | instskip(NEXT) | instid1(VALU_DEP_1)
	v_add_f32_e32 v4, v4, v74
	v_add_f32_e32 v4, v4, v75
	s_wait_dscnt 0x3
	s_delay_alu instid0(VALU_DEP_1) | instskip(NEXT) | instid1(VALU_DEP_1)
	v_add_f32_e32 v4, v4, v28
	;; [unrolled: 4-line block ×5, first 2 shown]
	v_cndmask_b32_e64 v70, -v4, 0, s1
.LBB115_1067:                           ;   in Loop: Header=BB115_3 Depth=1
	s_or_b32 exec_lo, exec_lo, s8
	s_delay_alu instid0(SALU_CYCLE_1)
	s_and_not1_b32 vcc_lo, exec_lo, s98
	s_cbranch_vccnz .LBB115_1080
; %bb.1068:                             ;   in Loop: Header=BB115_3 Depth=1
	s_and_saveexec_b32 s1, s7
; %bb.1069:                             ;   in Loop: Header=BB115_3 Depth=1
	ds_store_b32 v62, v70
; %bb.1070:                             ;   in Loop: Header=BB115_3 Depth=1
	s_or_b32 exec_lo, exec_lo, s1
	v_mov_b32_e32 v4, 0
	s_wait_dscnt 0x0
	s_barrier_signal -1
	s_barrier_wait -1
	s_mov_b32 s1, exec_lo
	v_readlane_b32 s8, v76, 18
	s_and_b32 s8, s1, s8
	s_delay_alu instid0(SALU_CYCLE_1)
	s_mov_b32 exec_lo, s8
	s_cbranch_execz .LBB115_1072
; %bb.1071:                             ;   in Loop: Header=BB115_3 Depth=1
	ds_load_b32 v4, v61
	ds_load_b32 v28, v57
	s_wait_dscnt 0x0
	v_fma_f32 v4, v4, v28, 0
.LBB115_1072:                           ;   in Loop: Header=BB115_3 Depth=1
	s_or_b32 exec_lo, exec_lo, s1
	s_delay_alu instid0(SALU_CYCLE_1) | instskip(SKIP_2) | instid1(SALU_CYCLE_1)
	s_mov_b32 s1, exec_lo
	v_readlane_b32 s8, v76, 19
	s_and_b32 s8, s1, s8
	s_mov_b32 exec_lo, s8
	s_cbranch_execz .LBB115_1074
; %bb.1073:                             ;   in Loop: Header=BB115_3 Depth=1
	ds_load_b32 v28, v61 offset:4096
	ds_load_b32 v29, v57 offset:64
	s_wait_dscnt 0x0
	v_fmac_f32_e32 v4, v28, v29
.LBB115_1074:                           ;   in Loop: Header=BB115_3 Depth=1
	s_or_b32 exec_lo, exec_lo, s1
	s_delay_alu instid0(SALU_CYCLE_1) | instskip(SKIP_2) | instid1(SALU_CYCLE_1)
	s_mov_b32 s1, exec_lo
	v_readlane_b32 s8, v76, 20
	s_and_b32 s8, s1, s8
	s_mov_b32 exec_lo, s8
	s_cbranch_execz .LBB115_1076
; %bb.1075:                             ;   in Loop: Header=BB115_3 Depth=1
	ds_load_b32 v28, v61 offset:8192
	ds_load_b32 v29, v57 offset:128
	s_wait_dscnt 0x0
	v_fmac_f32_e32 v4, v28, v29
.LBB115_1076:                           ;   in Loop: Header=BB115_3 Depth=1
	;; [unrolled: 13-line block ×3, first 2 shown]
	s_or_b32 exec_lo, exec_lo, s1
	s_mov_b32 s8, 0
	s_mov_b32 s65, 0
	ds_store_b32 v59, v4
	s_wait_dscnt 0x0
	s_barrier_signal -1
	s_barrier_wait -1
                                        ; implicit-def: $vgpr28
	s_and_saveexec_b32 s90, s7
	s_cbranch_execz .LBB115_1108
; %bb.1079:                             ;   in Loop: Header=BB115_3 Depth=1
	ds_load_2addr_stride64_b32 v[28:29], v60 offset0:1 offset1:2
	ds_load_2addr_stride64_b32 v[32:33], v60 offset0:3 offset1:4
	;; [unrolled: 1-line block ×4, first 2 shown]
	s_mov_b32 s65, exec_lo
	s_wait_dscnt 0x3
	v_add_f32_e32 v4, v4, v28
	s_delay_alu instid0(VALU_DEP_1) | instskip(SKIP_3) | instid1(VALU_DEP_1)
	v_add_f32_e32 v4, v29, v4
	ds_load_2addr_stride64_b32 v[28:29], v60 offset0:9 offset1:10
	s_wait_dscnt 0x3
	v_add_f32_e32 v4, v32, v4
	v_add_f32_e32 v4, v33, v4
	ds_load_2addr_stride64_b32 v[32:33], v60 offset0:11 offset1:12
	s_wait_dscnt 0x3
	v_add_f32_e32 v4, v72, v4
	s_delay_alu instid0(VALU_DEP_1) | instskip(SKIP_4) | instid1(VALU_DEP_1)
	v_add_f32_e32 v4, v73, v4
	ds_load_2addr_stride64_b32 v[72:73], v60 offset0:13 offset1:14
	ds_load_b32 v71, v60 offset:3840
	s_wait_dscnt 0x4
	v_add_f32_e32 v4, v74, v4
	v_add_f32_e32 v4, v75, v4
	s_wait_dscnt 0x3
	s_delay_alu instid0(VALU_DEP_1) | instskip(NEXT) | instid1(VALU_DEP_1)
	v_add_f32_e32 v4, v28, v4
	v_add_f32_e32 v4, v29, v4
	s_wait_dscnt 0x2
	s_delay_alu instid0(VALU_DEP_1) | instskip(NEXT) | instid1(VALU_DEP_1)
	;; [unrolled: 4-line block ×3, first 2 shown]
	v_add_f32_e32 v4, v72, v4
	v_add_f32_e32 v4, v73, v4
	s_wait_dscnt 0x0
	s_delay_alu instid0(VALU_DEP_1) | instskip(SKIP_1) | instid1(SALU_CYCLE_1)
	v_add_f32_e32 v28, v71, v4
	s_or_b32 exec_lo, exec_lo, s90
	s_and_b32 vcc_lo, exec_lo, s8
	s_cbranch_vccnz .LBB115_1081
	s_branch .LBB115_1109
.LBB115_1080:                           ;   in Loop: Header=BB115_3 Depth=1
	s_mov_b32 s65, 0
                                        ; implicit-def: $vgpr28
	s_cbranch_execz .LBB115_1109
.LBB115_1081:                           ;   in Loop: Header=BB115_3 Depth=1
	v_dual_mov_b32 v4, v6 :: v_dual_mov_b32 v28, v38
	s_mov_b32 s8, 0
	s_branch .LBB115_1083
.LBB115_1082:                           ;   in Loop: Header=BB115_1083 Depth=2
	s_or_b32 exec_lo, exec_lo, s1
	v_add_nc_u32_e32 v28, 0x400, v28
	v_add_nc_u32_e32 v4, -4, v4
	s_add_co_i32 s8, s8, 4
	s_delay_alu instid0(SALU_CYCLE_1)
	s_cmp_lg_u32 s8, 64
	s_barrier_signal -1
	s_barrier_wait -1
	s_cbranch_scc0 .LBB115_1099
.LBB115_1083:                           ;   Parent Loop BB115_3 Depth=1
                                        ; =>  This Inner Loop Header: Depth=2
	s_delay_alu instid0(VALU_DEP_1) | instskip(SKIP_1) | instid1(SALU_CYCLE_1)
	v_cmp_eq_u32_e32 vcc_lo, 0, v4
	s_and_b32 s48, s7, vcc_lo
	s_and_saveexec_b32 s1, s48
; %bb.1084:                             ;   in Loop: Header=BB115_1083 Depth=2
	ds_store_b32 v5, v70 offset:20736
; %bb.1085:                             ;   in Loop: Header=BB115_1083 Depth=2
	s_or_b32 exec_lo, exec_lo, s1
	v_cmp_lt_u32_e32 vcc_lo, s8, v6
	s_wait_dscnt 0x0
	s_barrier_signal -1
	s_barrier_wait -1
	s_and_b32 s48, s7, vcc_lo
	s_delay_alu instid0(SALU_CYCLE_1)
	s_and_saveexec_b32 s1, s48
	s_cbranch_execz .LBB115_1087
; %bb.1086:                             ;   in Loop: Header=BB115_1083 Depth=2
	ds_load_b32 v29, v28
	ds_load_b32 v32, v5 offset:20736
	s_wait_dscnt 0x0
	v_fmac_f32_e32 v70, v29, v32
.LBB115_1087:                           ;   in Loop: Header=BB115_1083 Depth=2
	s_or_b32 exec_lo, exec_lo, s1
	s_or_b32 s1, s8, 1
	s_delay_alu instid0(SALU_CYCLE_1) | instskip(SKIP_3) | instid1(SALU_CYCLE_1)
	v_cmp_eq_u32_e32 vcc_lo, s1, v6
	s_barrier_signal -1
	s_barrier_wait -1
	s_and_b32 s90, s7, vcc_lo
	s_and_saveexec_b32 s48, s90
; %bb.1088:                             ;   in Loop: Header=BB115_1083 Depth=2
	ds_store_b32 v5, v70 offset:20736
; %bb.1089:                             ;   in Loop: Header=BB115_1083 Depth=2
	s_or_b32 exec_lo, exec_lo, s48
	v_cmp_lt_u32_e32 vcc_lo, s1, v6
	s_wait_dscnt 0x0
	s_barrier_signal -1
	s_barrier_wait -1
	s_and_b32 s48, s7, vcc_lo
	s_delay_alu instid0(SALU_CYCLE_1)
	s_and_saveexec_b32 s1, s48
	s_cbranch_execz .LBB115_1091
; %bb.1090:                             ;   in Loop: Header=BB115_1083 Depth=2
	ds_load_b32 v29, v28 offset:256
	ds_load_b32 v32, v5 offset:20736
	s_wait_dscnt 0x0
	v_fmac_f32_e32 v70, v29, v32
.LBB115_1091:                           ;   in Loop: Header=BB115_1083 Depth=2
	s_or_b32 exec_lo, exec_lo, s1
	s_or_b32 s1, s8, 2
	s_delay_alu instid0(SALU_CYCLE_1) | instskip(SKIP_3) | instid1(SALU_CYCLE_1)
	v_cmp_eq_u32_e32 vcc_lo, s1, v6
	s_barrier_signal -1
	s_barrier_wait -1
	s_and_b32 s90, s7, vcc_lo
	s_and_saveexec_b32 s48, s90
; %bb.1092:                             ;   in Loop: Header=BB115_1083 Depth=2
	ds_store_b32 v5, v70 offset:20736
; %bb.1093:                             ;   in Loop: Header=BB115_1083 Depth=2
	s_or_b32 exec_lo, exec_lo, s48
	v_cmp_lt_u32_e32 vcc_lo, s1, v6
	s_wait_dscnt 0x0
	s_barrier_signal -1
	s_barrier_wait -1
	s_and_b32 s48, s7, vcc_lo
	s_delay_alu instid0(SALU_CYCLE_1)
	s_and_saveexec_b32 s1, s48
	s_cbranch_execz .LBB115_1095
; %bb.1094:                             ;   in Loop: Header=BB115_1083 Depth=2
	ds_load_b32 v29, v28 offset:512
	ds_load_b32 v32, v5 offset:20736
	s_wait_dscnt 0x0
	v_fmac_f32_e32 v70, v29, v32
.LBB115_1095:                           ;   in Loop: Header=BB115_1083 Depth=2
	s_or_b32 exec_lo, exec_lo, s1
	s_or_b32 s1, s8, 3
	s_delay_alu instid0(SALU_CYCLE_1) | instskip(SKIP_3) | instid1(SALU_CYCLE_1)
	v_cmp_eq_u32_e32 vcc_lo, s1, v6
	s_barrier_signal -1
	s_barrier_wait -1
	s_and_b32 s90, s7, vcc_lo
	s_and_saveexec_b32 s48, s90
; %bb.1096:                             ;   in Loop: Header=BB115_1083 Depth=2
	ds_store_b32 v5, v70 offset:20736
; %bb.1097:                             ;   in Loop: Header=BB115_1083 Depth=2
	s_or_b32 exec_lo, exec_lo, s48
	v_cmp_lt_u32_e32 vcc_lo, s1, v6
	s_wait_dscnt 0x0
	s_barrier_signal -1
	s_barrier_wait -1
	s_and_b32 s48, s7, vcc_lo
	s_delay_alu instid0(SALU_CYCLE_1)
	s_and_saveexec_b32 s1, s48
	s_cbranch_execz .LBB115_1082
; %bb.1098:                             ;   in Loop: Header=BB115_1083 Depth=2
	ds_load_b32 v29, v28 offset:768
	ds_load_b32 v32, v5 offset:20736
	s_wait_dscnt 0x0
	v_fmac_f32_e32 v70, v29, v32
	s_branch .LBB115_1082
.LBB115_1099:                           ;   in Loop: Header=BB115_3 Depth=1
	s_and_b32 vcc_lo, exec_lo, s97
	s_mov_b32 s1, -1
	s_cbranch_vccz .LBB115_1101
; %bb.1100:                             ;   in Loop: Header=BB115_3 Depth=1
	s_and_not1_b32 s8, s65, exec_lo
	s_and_b32 s48, s7, exec_lo
	s_mov_b32 s1, 0
	s_or_b32 s65, s8, s48
.LBB115_1101:                           ;   in Loop: Header=BB115_3 Depth=1
	s_and_not1_b32 vcc_lo, exec_lo, s1
	s_cbranch_vccnz .LBB115_1103
; %bb.1102:                             ;   in Loop: Header=BB115_3 Depth=1
	v_readlane_b32 s8, v77, 3
	s_and_not1_b32 s1, s65, exec_lo
	s_and_b32 s8, s8, exec_lo
	s_delay_alu instid0(SALU_CYCLE_1)
	s_or_b32 s65, s1, s8
.LBB115_1103:                           ;   in Loop: Header=BB115_3 Depth=1
	v_mov_b64_e32 v[28:29], v[16:17]
	s_and_saveexec_b32 s1, s65
	s_cbranch_execnz .LBB115_1110
	s_branch .LBB115_1111
.LBB115_1104:                           ;   in Loop: Header=BB115_3 Depth=1
	v_readlane_b32 s8, v76, 22
	s_and_b32 s8, s8, exec_lo
	s_or_saveexec_b32 s1, s1
	v_mov_b32_e32 v4, 0
	s_xor_b32 exec_lo, exec_lo, s1
	s_cbranch_execz .LBB115_16
.LBB115_1105:                           ;   in Loop: Header=BB115_3 Depth=1
	v_lshl_add_u64 v[70:71], v[18:19], 2, v[32:33]
	s_or_b32 s8, s8, exec_lo
	flat_load_b32 v4, v[70:71]
	s_wait_loadcnt_dscnt 0x0
	v_xor_b32_e32 v4, 0x80000000, v4
	s_or_b32 exec_lo, exec_lo, s1
	s_and_saveexec_b32 s1, s8
	s_cbranch_execnz .LBB115_17
	s_branch .LBB115_18
.LBB115_1106:                           ;   in Loop: Header=BB115_3 Depth=1
	v_readlane_b32 s8, v76, 22
	s_and_b32 s8, s8, exec_lo
	s_or_saveexec_b32 s1, s1
	v_mov_b32_e32 v4, 0
	s_xor_b32 exec_lo, exec_lo, s1
	s_cbranch_execz .LBB115_40
.LBB115_1107:                           ;   in Loop: Header=BB115_3 Depth=1
	v_lshl_add_u64 v[70:71], v[18:19], 2, v[32:33]
	s_or_b32 s8, s8, exec_lo
	flat_load_b32 v4, v[70:71]
	s_wait_loadcnt_dscnt 0x0
	v_xor_b32_e32 v4, 0x80000000, v4
	s_or_b32 exec_lo, exec_lo, s1
	s_and_saveexec_b32 s1, s8
	s_cbranch_execnz .LBB115_41
	s_branch .LBB115_42
.LBB115_1108:                           ;   in Loop: Header=BB115_3 Depth=1
	s_or_b32 exec_lo, exec_lo, s90
	s_delay_alu instid0(SALU_CYCLE_1)
	s_and_b32 vcc_lo, exec_lo, s8
	s_cbranch_vccnz .LBB115_1081
.LBB115_1109:                           ;   in Loop: Header=BB115_3 Depth=1
	v_mov_b32_e32 v70, v28
	v_mov_b64_e32 v[28:29], v[14:15]
	s_and_saveexec_b32 s1, s65
	s_cbranch_execz .LBB115_1111
.LBB115_1110:                           ;   in Loop: Header=BB115_3 Depth=1
	s_delay_alu instid0(VALU_DEP_1)
	v_lshl_add_u64 v[28:29], v[28:29], 2, v[30:31]
	flat_store_b32 v[28:29], v70
.LBB115_1111:                           ;   in Loop: Header=BB115_3 Depth=1
	s_wait_xcnt 0x0
	s_or_b32 exec_lo, exec_lo, s1
	global_wb scope:SCOPE_DEV
	s_wait_storecnt_dscnt 0x0
	global_inv scope:SCOPE_DEV
	s_wait_loadcnt 0x0
	s_barrier_signal -1
	s_barrier_wait -1
	s_and_saveexec_b32 s1, s55
	s_cbranch_execz .LBB115_2
; %bb.1112:                             ;   in Loop: Header=BB115_3 Depth=1
	s_lshl_b64 s[90:91], s[66:67], 2
	s_delay_alu instid0(SALU_CYCLE_1)
	s_add_nc_u64 s[90:91], s[78:79], s[90:91]
	global_load_b32 v4, v5, s[90:91]
	s_wait_loadcnt 0x0
	v_add_nc_u32_e32 v4, 1, v4
	global_store_b32 v5, v4, s[90:91]
	s_branch .LBB115_2
.LBB115_1113:                           ;   in Loop: Header=BB115_3 Depth=1
	ds_load_b32 v32, v42 offset:272
	ds_load_b32 v33, v36 offset:4
	s_wait_dscnt 0x0
	v_fmac_f32_e32 v4, v32, v33
	s_or_b32 exec_lo, exec_lo, s1
	s_and_saveexec_b32 s1, s14
	s_cbranch_execz .LBB115_81
.LBB115_1114:                           ;   in Loop: Header=BB115_3 Depth=1
	ds_load_b32 v32, v40 offset:528
	ds_load_b32 v33, v36 offset:8
	s_wait_dscnt 0x0
	v_fmac_f32_e32 v4, v32, v33
	s_or_b32 exec_lo, exec_lo, s1
	s_and_saveexec_b32 s1, s2
	s_cbranch_execnz .LBB115_82
	s_branch .LBB115_83
.LBB115_1115:                           ;   in Loop: Header=BB115_3 Depth=1
	ds_load_b32 v32, v47 offset:288
	ds_load_b32 v33, v41 offset:4
	s_wait_dscnt 0x0
	v_fmac_f32_e32 v4, v32, v33
	s_or_b32 exec_lo, exec_lo, s1
	s_and_saveexec_b32 s1, s16
	s_cbranch_execz .LBB115_119
.LBB115_1116:                           ;   in Loop: Header=BB115_3 Depth=1
	ds_load_b32 v32, v47 offset:544
	ds_load_b32 v33, v41 offset:8
	s_wait_dscnt 0x0
	v_fmac_f32_e32 v4, v32, v33
	s_or_b32 exec_lo, exec_lo, s1
	s_and_saveexec_b32 s1, s17
	s_cbranch_execz .LBB115_120
.LBB115_1117:                           ;   in Loop: Header=BB115_3 Depth=1
	ds_load_b32 v32, v47 offset:800
	ds_load_b32 v33, v41 offset:12
	s_wait_dscnt 0x0
	v_fmac_f32_e32 v4, v32, v33
	s_or_b32 exec_lo, exec_lo, s1
	s_and_saveexec_b32 s1, s18
	s_cbranch_execz .LBB115_121
.LBB115_1118:                           ;   in Loop: Header=BB115_3 Depth=1
	ds_load_b32 v32, v46 offset:1056
	ds_load_b32 v33, v41 offset:16
	s_wait_dscnt 0x0
	v_fmac_f32_e32 v4, v32, v33
	s_or_b32 exec_lo, exec_lo, s1
	s_and_saveexec_b32 s1, s19
	s_cbranch_execz .LBB115_122
.LBB115_1119:                           ;   in Loop: Header=BB115_3 Depth=1
	ds_load_b32 v32, v47 offset:1312
	ds_load_b32 v33, v41 offset:20
	s_wait_dscnt 0x0
	v_fmac_f32_e32 v4, v32, v33
	s_or_b32 exec_lo, exec_lo, s1
	s_and_saveexec_b32 s1, s3
	s_cbranch_execz .LBB115_123
.LBB115_1120:                           ;   in Loop: Header=BB115_3 Depth=1
	ds_load_b32 v32, v46 offset:1568
	ds_load_b32 v33, v41 offset:24
	s_wait_dscnt 0x0
	v_fmac_f32_e32 v4, v32, v33
	s_or_b32 exec_lo, exec_lo, s1
	s_and_saveexec_b32 s1, s14
	s_cbranch_execnz .LBB115_124
	s_branch .LBB115_125
.LBB115_1121:                           ;   in Loop: Header=BB115_3 Depth=1
	ds_load_b32 v32, v42 offset:2352
	ds_load_b32 v33, v36 offset:2084
	s_wait_dscnt 0x0
	v_fmac_f32_e32 v4, v32, v33
	s_or_b32 exec_lo, exec_lo, s1
	s_and_saveexec_b32 s1, s14
	s_cbranch_execz .LBB115_177
.LBB115_1122:                           ;   in Loop: Header=BB115_3 Depth=1
	ds_load_b32 v32, v40 offset:2608
	ds_load_b32 v33, v36 offset:2088
	s_wait_dscnt 0x0
	v_fmac_f32_e32 v4, v32, v33
	s_or_b32 exec_lo, exec_lo, s1
	s_and_saveexec_b32 s1, s2
	s_cbranch_execnz .LBB115_178
	s_branch .LBB115_179
.LBB115_1123:                           ;   in Loop: Header=BB115_3 Depth=1
	ds_load_b32 v32, v54 offset:2880
	ds_load_b32 v33, v45 offset:44
	s_wait_dscnt 0x0
	v_fmac_f32_e32 v4, v32, v33
	s_or_b32 exec_lo, exec_lo, s1
	s_and_saveexec_b32 s1, s4
	s_cbranch_execz .LBB115_235
.LBB115_1124:                           ;   in Loop: Header=BB115_3 Depth=1
	ds_load_b32 v32, v53 offset:3136
	ds_load_b32 v33, v45 offset:48
	s_wait_dscnt 0x0
	v_fmac_f32_e32 v4, v32, v33
	s_or_b32 exec_lo, exec_lo, s1
	s_and_saveexec_b32 s1, s16
	s_cbranch_execz .LBB115_236
.LBB115_1125:                           ;   in Loop: Header=BB115_3 Depth=1
	ds_load_b32 v32, v54 offset:3392
	ds_load_b32 v33, v45 offset:52
	s_wait_dscnt 0x0
	v_fmac_f32_e32 v4, v32, v33
	s_or_b32 exec_lo, exec_lo, s1
	s_and_saveexec_b32 s1, s18
	s_cbranch_execz .LBB115_237
.LBB115_1126:                           ;   in Loop: Header=BB115_3 Depth=1
	ds_load_b32 v32, v53 offset:3648
	ds_load_b32 v33, v45 offset:56
	s_wait_dscnt 0x0
	v_fmac_f32_e32 v4, v32, v33
	s_or_b32 exec_lo, exec_lo, s1
	s_and_saveexec_b32 s1, s3
	s_cbranch_execnz .LBB115_238
	s_branch .LBB115_239
.LBB115_1127:                           ;   in Loop: Header=BB115_3 Depth=1
	ds_load_b32 v32, v42 offset:4432
	ds_load_b32 v33, v36 offset:4164
	s_wait_dscnt 0x0
	v_fmac_f32_e32 v4, v32, v33
	s_or_b32 exec_lo, exec_lo, s1
	s_and_saveexec_b32 s1, s14
	s_cbranch_execz .LBB115_323
.LBB115_1128:                           ;   in Loop: Header=BB115_3 Depth=1
	ds_load_b32 v32, v40 offset:4688
	ds_load_b32 v33, v36 offset:4168
	s_wait_dscnt 0x0
	v_fmac_f32_e32 v4, v32, v33
	s_or_b32 exec_lo, exec_lo, s1
	s_and_saveexec_b32 s1, s2
	s_cbranch_execnz .LBB115_324
	s_branch .LBB115_325
.LBB115_1129:                           ;   in Loop: Header=BB115_3 Depth=1
	ds_load_b32 v32, v47 offset:4448
	ds_load_b32 v33, v41 offset:4164
	s_wait_dscnt 0x0
	v_fmac_f32_e32 v4, v32, v33
	s_or_b32 exec_lo, exec_lo, s1
	s_and_saveexec_b32 s1, s16
	s_cbranch_execz .LBB115_361
.LBB115_1130:                           ;   in Loop: Header=BB115_3 Depth=1
	ds_load_b32 v32, v47 offset:4704
	ds_load_b32 v33, v41 offset:4168
	s_wait_dscnt 0x0
	v_fmac_f32_e32 v4, v32, v33
	s_or_b32 exec_lo, exec_lo, s1
	s_and_saveexec_b32 s1, s17
	s_cbranch_execz .LBB115_362
.LBB115_1131:                           ;   in Loop: Header=BB115_3 Depth=1
	ds_load_b32 v32, v47 offset:4960
	ds_load_b32 v33, v41 offset:4172
	s_wait_dscnt 0x0
	v_fmac_f32_e32 v4, v32, v33
	s_or_b32 exec_lo, exec_lo, s1
	s_and_saveexec_b32 s1, s18
	s_cbranch_execz .LBB115_363
.LBB115_1132:                           ;   in Loop: Header=BB115_3 Depth=1
	ds_load_b32 v32, v46 offset:5216
	ds_load_b32 v33, v41 offset:4176
	s_wait_dscnt 0x0
	v_fmac_f32_e32 v4, v32, v33
	s_or_b32 exec_lo, exec_lo, s1
	s_and_saveexec_b32 s1, s19
	s_cbranch_execz .LBB115_364
.LBB115_1133:                           ;   in Loop: Header=BB115_3 Depth=1
	ds_load_b32 v32, v47 offset:5472
	ds_load_b32 v33, v41 offset:4180
	s_wait_dscnt 0x0
	v_fmac_f32_e32 v4, v32, v33
	s_or_b32 exec_lo, exec_lo, s1
	s_and_saveexec_b32 s1, s3
	s_cbranch_execz .LBB115_365
.LBB115_1134:                           ;   in Loop: Header=BB115_3 Depth=1
	ds_load_b32 v32, v46 offset:5728
	ds_load_b32 v33, v41 offset:4184
	s_wait_dscnt 0x0
	v_fmac_f32_e32 v4, v32, v33
	s_or_b32 exec_lo, exec_lo, s1
	s_and_saveexec_b32 s1, s14
	s_cbranch_execnz .LBB115_366
	s_branch .LBB115_367
.LBB115_1135:                           ;   in Loop: Header=BB115_3 Depth=1
	ds_load_b32 v32, v42 offset:6512
	ds_load_b32 v33, v36 offset:6244
	s_wait_dscnt 0x0
	v_fmac_f32_e32 v4, v32, v33
	s_or_b32 exec_lo, exec_lo, s1
	s_and_saveexec_b32 s1, s14
	s_cbranch_execz .LBB115_419
.LBB115_1136:                           ;   in Loop: Header=BB115_3 Depth=1
	ds_load_b32 v32, v40 offset:6768
	ds_load_b32 v33, v36 offset:6248
	s_wait_dscnt 0x0
	v_fmac_f32_e32 v4, v32, v33
	s_or_b32 exec_lo, exec_lo, s1
	s_and_saveexec_b32 s1, s2
	s_cbranch_execnz .LBB115_420
	s_branch .LBB115_421
.LBB115_1137:                           ;   in Loop: Header=BB115_3 Depth=1
	ds_load_b32 v33, v56 offset:7552
	ds_load_b32 v70, v32 offset:116
	s_wait_dscnt 0x0
	v_fmac_f32_e32 v4, v33, v70
	s_or_b32 exec_lo, exec_lo, s1
	s_and_saveexec_b32 s1, s4
	s_cbranch_execz .LBB115_513
.LBB115_1138:                           ;   in Loop: Header=BB115_3 Depth=1
	ds_load_b32 v33, v56 offset:7808
	ds_load_b32 v32, v32 offset:120
	s_wait_dscnt 0x0
	v_fmac_f32_e32 v4, v33, v32
	s_or_b32 exec_lo, exec_lo, s1
	s_and_saveexec_b32 s1, s18
	s_cbranch_execnz .LBB115_514
	s_branch .LBB115_515
.LBB115_1139:                           ;   in Loop: Header=BB115_3 Depth=1
	ds_load_b32 v32, v42 offset:8592
	ds_load_b32 v33, v36 offset:8324
	s_wait_dscnt 0x0
	v_fmac_f32_e32 v4, v32, v33
	s_or_b32 exec_lo, exec_lo, s1
	s_and_saveexec_b32 s1, s14
	s_cbranch_execz .LBB115_663
.LBB115_1140:                           ;   in Loop: Header=BB115_3 Depth=1
	ds_load_b32 v32, v40 offset:8848
	ds_load_b32 v33, v36 offset:8328
	s_wait_dscnt 0x0
	v_fmac_f32_e32 v4, v32, v33
	s_or_b32 exec_lo, exec_lo, s1
	s_and_saveexec_b32 s1, s2
	s_cbranch_execnz .LBB115_664
	s_branch .LBB115_665
.LBB115_1141:                           ;   in Loop: Header=BB115_3 Depth=1
	ds_load_b32 v32, v47 offset:8608
	ds_load_b32 v33, v41 offset:8324
	s_wait_dscnt 0x0
	v_fmac_f32_e32 v4, v32, v33
	s_or_b32 exec_lo, exec_lo, s1
	s_and_saveexec_b32 s1, s16
	s_cbranch_execz .LBB115_701
.LBB115_1142:                           ;   in Loop: Header=BB115_3 Depth=1
	ds_load_b32 v32, v47 offset:8864
	ds_load_b32 v33, v41 offset:8328
	s_wait_dscnt 0x0
	v_fmac_f32_e32 v4, v32, v33
	s_or_b32 exec_lo, exec_lo, s1
	s_and_saveexec_b32 s1, s17
	s_cbranch_execz .LBB115_702
.LBB115_1143:                           ;   in Loop: Header=BB115_3 Depth=1
	ds_load_b32 v32, v47 offset:9120
	ds_load_b32 v33, v41 offset:8332
	s_wait_dscnt 0x0
	v_fmac_f32_e32 v4, v32, v33
	s_or_b32 exec_lo, exec_lo, s1
	s_and_saveexec_b32 s1, s18
	s_cbranch_execz .LBB115_703
.LBB115_1144:                           ;   in Loop: Header=BB115_3 Depth=1
	ds_load_b32 v32, v46 offset:9376
	ds_load_b32 v33, v41 offset:8336
	s_wait_dscnt 0x0
	v_fmac_f32_e32 v4, v32, v33
	s_or_b32 exec_lo, exec_lo, s1
	s_and_saveexec_b32 s1, s19
	s_cbranch_execz .LBB115_704
.LBB115_1145:                           ;   in Loop: Header=BB115_3 Depth=1
	ds_load_b32 v32, v47 offset:9632
	ds_load_b32 v33, v41 offset:8340
	s_wait_dscnt 0x0
	v_fmac_f32_e32 v4, v32, v33
	s_or_b32 exec_lo, exec_lo, s1
	s_and_saveexec_b32 s1, s3
	s_cbranch_execz .LBB115_705
.LBB115_1146:                           ;   in Loop: Header=BB115_3 Depth=1
	ds_load_b32 v32, v46 offset:9888
	ds_load_b32 v33, v41 offset:8344
	s_wait_dscnt 0x0
	v_fmac_f32_e32 v4, v32, v33
	s_or_b32 exec_lo, exec_lo, s1
	s_and_saveexec_b32 s1, s14
	s_cbranch_execnz .LBB115_706
	s_branch .LBB115_707
.LBB115_1147:                           ;   in Loop: Header=BB115_3 Depth=1
	ds_load_b32 v32, v42 offset:10672
	ds_load_b32 v33, v36 offset:10404
	s_wait_dscnt 0x0
	v_fmac_f32_e32 v4, v32, v33
	s_or_b32 exec_lo, exec_lo, s1
	s_and_saveexec_b32 s1, s14
	s_cbranch_execz .LBB115_759
.LBB115_1148:                           ;   in Loop: Header=BB115_3 Depth=1
	ds_load_b32 v32, v40 offset:10928
	ds_load_b32 v33, v36 offset:10408
	s_wait_dscnt 0x0
	v_fmac_f32_e32 v4, v32, v33
	s_or_b32 exec_lo, exec_lo, s1
	s_and_saveexec_b32 s1, s2
	s_cbranch_execnz .LBB115_760
	s_branch .LBB115_761
.LBB115_1149:                           ;   in Loop: Header=BB115_3 Depth=1
	ds_load_b32 v32, v54 offset:11200
	ds_load_b32 v33, v45 offset:8364
	s_wait_dscnt 0x0
	v_fmac_f32_e32 v4, v32, v33
	s_or_b32 exec_lo, exec_lo, s1
	s_and_saveexec_b32 s1, s4
	s_cbranch_execz .LBB115_817
.LBB115_1150:                           ;   in Loop: Header=BB115_3 Depth=1
	ds_load_b32 v32, v53 offset:11456
	ds_load_b32 v33, v45 offset:8368
	s_wait_dscnt 0x0
	v_fmac_f32_e32 v4, v32, v33
	s_or_b32 exec_lo, exec_lo, s1
	s_and_saveexec_b32 s1, s16
	s_cbranch_execz .LBB115_818
.LBB115_1151:                           ;   in Loop: Header=BB115_3 Depth=1
	ds_load_b32 v32, v54 offset:11712
	ds_load_b32 v33, v45 offset:8372
	s_wait_dscnt 0x0
	v_fmac_f32_e32 v4, v32, v33
	s_or_b32 exec_lo, exec_lo, s1
	s_and_saveexec_b32 s1, s18
	s_cbranch_execz .LBB115_819
.LBB115_1152:                           ;   in Loop: Header=BB115_3 Depth=1
	ds_load_b32 v32, v53 offset:11968
	ds_load_b32 v33, v45 offset:8376
	s_wait_dscnt 0x0
	v_fmac_f32_e32 v4, v32, v33
	s_or_b32 exec_lo, exec_lo, s1
	s_and_saveexec_b32 s1, s3
	s_cbranch_execnz .LBB115_820
	s_branch .LBB115_821
.LBB115_1153:                           ;   in Loop: Header=BB115_3 Depth=1
	ds_load_b32 v32, v42 offset:12752
	ds_load_b32 v33, v36 offset:12484
	s_wait_dscnt 0x0
	v_fmac_f32_e32 v4, v32, v33
	s_or_b32 exec_lo, exec_lo, s1
	s_and_saveexec_b32 s1, s14
	s_cbranch_execz .LBB115_905
.LBB115_1154:                           ;   in Loop: Header=BB115_3 Depth=1
	ds_load_b32 v32, v40 offset:13008
	ds_load_b32 v33, v36 offset:12488
	s_wait_dscnt 0x0
	v_fmac_f32_e32 v4, v32, v33
	s_or_b32 exec_lo, exec_lo, s1
	s_and_saveexec_b32 s1, s2
	s_cbranch_execnz .LBB115_906
	s_branch .LBB115_907
.LBB115_1155:                           ;   in Loop: Header=BB115_3 Depth=1
	ds_load_b32 v32, v47 offset:12768
	ds_load_b32 v33, v41 offset:12484
	s_wait_dscnt 0x0
	v_fmac_f32_e32 v4, v32, v33
	s_or_b32 exec_lo, exec_lo, s1
	s_and_saveexec_b32 s1, s16
	s_cbranch_execz .LBB115_943
.LBB115_1156:                           ;   in Loop: Header=BB115_3 Depth=1
	ds_load_b32 v32, v47 offset:13024
	ds_load_b32 v33, v41 offset:12488
	s_wait_dscnt 0x0
	v_fmac_f32_e32 v4, v32, v33
	s_or_b32 exec_lo, exec_lo, s1
	s_and_saveexec_b32 s1, s17
	s_cbranch_execz .LBB115_944
.LBB115_1157:                           ;   in Loop: Header=BB115_3 Depth=1
	ds_load_b32 v32, v47 offset:13280
	ds_load_b32 v33, v41 offset:12492
	s_wait_dscnt 0x0
	v_fmac_f32_e32 v4, v32, v33
	s_or_b32 exec_lo, exec_lo, s1
	s_and_saveexec_b32 s1, s18
	s_cbranch_execz .LBB115_945
.LBB115_1158:                           ;   in Loop: Header=BB115_3 Depth=1
	ds_load_b32 v32, v46 offset:13536
	ds_load_b32 v33, v41 offset:12496
	s_wait_dscnt 0x0
	v_fmac_f32_e32 v4, v32, v33
	s_or_b32 exec_lo, exec_lo, s1
	s_and_saveexec_b32 s1, s19
	s_cbranch_execz .LBB115_946
.LBB115_1159:                           ;   in Loop: Header=BB115_3 Depth=1
	ds_load_b32 v32, v47 offset:13792
	ds_load_b32 v33, v41 offset:12500
	s_wait_dscnt 0x0
	v_fmac_f32_e32 v4, v32, v33
	s_or_b32 exec_lo, exec_lo, s1
	s_and_saveexec_b32 s1, s3
	s_cbranch_execz .LBB115_947
.LBB115_1160:                           ;   in Loop: Header=BB115_3 Depth=1
	ds_load_b32 v32, v46 offset:14048
	ds_load_b32 v33, v41 offset:12504
	s_wait_dscnt 0x0
	v_fmac_f32_e32 v4, v32, v33
	s_or_b32 exec_lo, exec_lo, s1
	s_and_saveexec_b32 s1, s14
	s_cbranch_execnz .LBB115_948
	s_branch .LBB115_949
.LBB115_1161:                           ;   in Loop: Header=BB115_3 Depth=1
	ds_load_b32 v32, v42 offset:14832
	ds_load_b32 v33, v36 offset:14564
	s_wait_dscnt 0x0
	v_fmac_f32_e32 v4, v32, v33
	s_or_b32 exec_lo, exec_lo, s1
	s_and_saveexec_b32 s1, s14
	s_cbranch_execz .LBB115_1001
.LBB115_1162:                           ;   in Loop: Header=BB115_3 Depth=1
	ds_load_b32 v32, v40 offset:15088
	ds_load_b32 v33, v36 offset:14568
	s_wait_dscnt 0x0
	v_fmac_f32_e32 v4, v32, v33
	s_or_b32 exec_lo, exec_lo, s1
	s_and_saveexec_b32 s1, s2
	s_cbranch_execnz .LBB115_1002
	s_branch .LBB115_1003
.LBB115_1163:
	s_endpgm
	.section	.rodata,"a",@progbits
	.p2align	6, 0x0
	.amdhsa_kernel _ZL19rocblas_trsv_deviceILi64ELi16ELb1ELb0ELb0ELb1EffPKPKfPKPfEviT7_lllT6_T8_lllPii
		.amdhsa_group_segment_fixed_size 20740
		.amdhsa_private_segment_fixed_size 0
		.amdhsa_kernarg_size 352
		.amdhsa_user_sgpr_count 2
		.amdhsa_user_sgpr_dispatch_ptr 0
		.amdhsa_user_sgpr_queue_ptr 0
		.amdhsa_user_sgpr_kernarg_segment_ptr 1
		.amdhsa_user_sgpr_dispatch_id 0
		.amdhsa_user_sgpr_kernarg_preload_length 0
		.amdhsa_user_sgpr_kernarg_preload_offset 0
		.amdhsa_user_sgpr_private_segment_size 0
		.amdhsa_wavefront_size32 1
		.amdhsa_uses_dynamic_stack 0
		.amdhsa_enable_private_segment 0
		.amdhsa_system_sgpr_workgroup_id_x 1
		.amdhsa_system_sgpr_workgroup_id_y 0
		.amdhsa_system_sgpr_workgroup_id_z 1
		.amdhsa_system_sgpr_workgroup_info 0
		.amdhsa_system_vgpr_workitem_id 1
		.amdhsa_next_free_vgpr 80
		.amdhsa_next_free_sgpr 105
		.amdhsa_named_barrier_count 0
		.amdhsa_reserve_vcc 1
		.amdhsa_float_round_mode_32 0
		.amdhsa_float_round_mode_16_64 0
		.amdhsa_float_denorm_mode_32 3
		.amdhsa_float_denorm_mode_16_64 3
		.amdhsa_fp16_overflow 0
		.amdhsa_memory_ordered 1
		.amdhsa_forward_progress 1
		.amdhsa_inst_pref_size 234
		.amdhsa_round_robin_scheduling 0
		.amdhsa_exception_fp_ieee_invalid_op 0
		.amdhsa_exception_fp_denorm_src 0
		.amdhsa_exception_fp_ieee_div_zero 0
		.amdhsa_exception_fp_ieee_overflow 0
		.amdhsa_exception_fp_ieee_underflow 0
		.amdhsa_exception_fp_ieee_inexact 0
		.amdhsa_exception_int_div_zero 0
	.end_amdhsa_kernel
	.section	.text._ZL19rocblas_trsv_deviceILi64ELi16ELb1ELb0ELb0ELb1EffPKPKfPKPfEviT7_lllT6_T8_lllPii,"axG",@progbits,_ZL19rocblas_trsv_deviceILi64ELi16ELb1ELb0ELb0ELb1EffPKPKfPKPfEviT7_lllT6_T8_lllPii,comdat
.Lfunc_end115:
	.size	_ZL19rocblas_trsv_deviceILi64ELi16ELb1ELb0ELb0ELb1EffPKPKfPKPfEviT7_lllT6_T8_lllPii, .Lfunc_end115-_ZL19rocblas_trsv_deviceILi64ELi16ELb1ELb0ELb0ELb1EffPKPKfPKPfEviT7_lllT6_T8_lllPii
                                        ; -- End function
	.set _ZL19rocblas_trsv_deviceILi64ELi16ELb1ELb0ELb0ELb1EffPKPKfPKPfEviT7_lllT6_T8_lllPii.num_vgpr, 80
	.set _ZL19rocblas_trsv_deviceILi64ELi16ELb1ELb0ELb0ELb1EffPKPKfPKPfEviT7_lllT6_T8_lllPii.num_agpr, 0
	.set _ZL19rocblas_trsv_deviceILi64ELi16ELb1ELb0ELb0ELb1EffPKPKfPKPfEviT7_lllT6_T8_lllPii.numbered_sgpr, 105
	.set _ZL19rocblas_trsv_deviceILi64ELi16ELb1ELb0ELb0ELb1EffPKPKfPKPfEviT7_lllT6_T8_lllPii.num_named_barrier, 0
	.set _ZL19rocblas_trsv_deviceILi64ELi16ELb1ELb0ELb0ELb1EffPKPKfPKPfEviT7_lllT6_T8_lllPii.private_seg_size, 0
	.set _ZL19rocblas_trsv_deviceILi64ELi16ELb1ELb0ELb0ELb1EffPKPKfPKPfEviT7_lllT6_T8_lllPii.uses_vcc, 1
	.set _ZL19rocblas_trsv_deviceILi64ELi16ELb1ELb0ELb0ELb1EffPKPKfPKPfEviT7_lllT6_T8_lllPii.uses_flat_scratch, 0
	.set _ZL19rocblas_trsv_deviceILi64ELi16ELb1ELb0ELb0ELb1EffPKPKfPKPfEviT7_lllT6_T8_lllPii.has_dyn_sized_stack, 0
	.set _ZL19rocblas_trsv_deviceILi64ELi16ELb1ELb0ELb0ELb1EffPKPKfPKPfEviT7_lllT6_T8_lllPii.has_recursion, 0
	.set _ZL19rocblas_trsv_deviceILi64ELi16ELb1ELb0ELb0ELb1EffPKPKfPKPfEviT7_lllT6_T8_lllPii.has_indirect_call, 0
	.section	.AMDGPU.csdata,"",@progbits
; Kernel info:
; codeLenInByte = 29916
; TotalNumSgprs: 107
; NumVgprs: 80
; ScratchSize: 0
; MemoryBound: 0
; FloatMode: 240
; IeeeMode: 1
; LDSByteSize: 20740 bytes/workgroup (compile time only)
; SGPRBlocks: 0
; VGPRBlocks: 4
; NumSGPRsForWavesPerEU: 107
; NumVGPRsForWavesPerEU: 80
; NamedBarCnt: 0
; Occupancy: 12
; WaveLimiterHint : 1
; COMPUTE_PGM_RSRC2:SCRATCH_EN: 0
; COMPUTE_PGM_RSRC2:USER_SGPR: 2
; COMPUTE_PGM_RSRC2:TRAP_HANDLER: 0
; COMPUTE_PGM_RSRC2:TGID_X_EN: 1
; COMPUTE_PGM_RSRC2:TGID_Y_EN: 0
; COMPUTE_PGM_RSRC2:TGID_Z_EN: 1
; COMPUTE_PGM_RSRC2:TIDIG_COMP_CNT: 1
	.section	.text._ZL19rocblas_trsv_deviceILi64ELi16ELb1ELb1ELb0ELb1EffPKPKfPKPfEviT7_lllT6_T8_lllPii,"axG",@progbits,_ZL19rocblas_trsv_deviceILi64ELi16ELb1ELb1ELb0ELb1EffPKPKfPKPfEviT7_lllT6_T8_lllPii,comdat
	.globl	_ZL19rocblas_trsv_deviceILi64ELi16ELb1ELb1ELb0ELb1EffPKPKfPKPfEviT7_lllT6_T8_lllPii ; -- Begin function _ZL19rocblas_trsv_deviceILi64ELi16ELb1ELb1ELb0ELb1EffPKPKfPKPfEviT7_lllT6_T8_lllPii
	.p2align	8
	.type	_ZL19rocblas_trsv_deviceILi64ELi16ELb1ELb1ELb0ELb1EffPKPKfPKPfEviT7_lllT6_T8_lllPii,@function
_ZL19rocblas_trsv_deviceILi64ELi16ELb1ELb1ELb0ELb1EffPKPKfPKPfEviT7_lllT6_T8_lllPii: ; @_ZL19rocblas_trsv_deviceILi64ELi16ELb1ELb1ELb0ELb1EffPKPKfPKPfEviT7_lllT6_T8_lllPii
; %bb.0:
	s_load_b32 s6, s[0:1], 0x58
	s_bfe_u32 s2, ttmp6, 0x40014
	s_lshr_b32 s3, ttmp7, 16
	s_add_co_i32 s2, s2, 1
	s_bfe_u32 s5, ttmp6, 0x40008
	s_mul_i32 s4, s3, s2
	s_getreg_b32 s2, hwreg(HW_REG_IB_STS2, 6, 4)
	s_add_co_i32 s5, s5, s4
	s_cmp_eq_u32 s2, 0
	s_mov_b32 s63, 0
	s_cselect_b32 s62, s3, s5
                                        ; implicit-def: $vgpr95 : SGPR spill to VGPR lane
	s_wait_kmcnt 0x0
	s_cmp_ge_u32 s62, s6
	v_writelane_b32 v95, s6, 0
	s_cbranch_scc1 .LBB116_1225
; %bb.1:
	s_clause 0x2
	s_load_b32 s3, s[0:1], 0x6c
	s_load_b32 s83, s[0:1], 0x60
	;; [unrolled: 1-line block ×3, first 2 shown]
	s_bfe_u32 s5, ttmp6, 0x4000c
	s_and_b32 s4, ttmp6, 15
	s_add_co_i32 s5, s5, 1
	s_clause 0x1
	s_load_b64 s[14:15], s[0:1], 0x18
	s_load_b128 s[64:67], s[0:1], 0x8
	s_mul_i32 s5, ttmp9, s5
	s_load_b64 s[74:75], s[0:1], 0x50
	s_add_co_i32 s4, s4, s5
	s_cmp_eq_u32 s2, 0
	v_dual_mov_b32 v5, 0 :: v_dual_bitop2_b32 v1, 1, v0 bitop3:0x40
	s_cselect_b32 s82, ttmp9, s4
	v_and_b32_e32 v6, 0x3ff, v0
	v_bfe_u32 v2, v0, 10, 10
	s_delay_alu instid0(VALU_DEP_3)
	v_mov_b32_e32 v9, v5
	v_cmp_eq_u32_e32 vcc_lo, 1, v1
	v_and_b32_e32 v45, 3, v0
	s_wait_kmcnt 0x0
	s_and_b32 s2, s3, 0xffff
	s_add_co_i32 s83, s83, -1
	s_add_co_i32 s3, s72, -1
	s_ashr_i32 s73, s72, 31
	s_ashr_i32 s4, s3, 31
	s_lshr_b32 s5, s73, 26
	s_lshr_b32 s4, s4, 26
	s_add_co_i32 s5, s72, s5
	s_add_co_i32 s3, s3, s4
	s_and_not1_b32 s5, s5, 63
	s_sub_co_i32 s39, s83, s82
	s_ashr_i32 s3, s3, 6
	s_sub_co_i32 s13, s72, s5
	s_cmp_eq_u32 s3, s39
	v_lshlrev_b32_e32 v7, 6, v6
	s_cselect_b32 s3, -1, 0
	s_cmp_lg_u32 s13, 0
	v_add_nc_u32_e32 v4, 16, v2
	s_cselect_b32 s4, -1, 0
	v_lshl_add_u32 v30, v2, 6, v6
	s_and_b32 s55, s4, s3
	v_add_nc_u32_e32 v3, v2, v7
	s_xor_b32 s84, s55, -1
	s_cmp_lg_u32 s82, 0
	v_mad_u32_u24 v8, v2, s2, v6
	s_cselect_b32 s3, -1, 0
	s_lshl_b32 s18, s39, 6
	v_writelane_b32 v95, s3, 1
	s_load_b32 s3, s[0:1], 0x28
	s_cmp_lt_i32 s82, 5
	v_dual_add_nc_u32 v24, s18, v6 :: v_dual_add_nc_u32 v12, v4, v7
	s_cselect_b32 s2, -1, 0
	v_lshl_add_u32 v13, v4, 6, v6
	s_or_b32 s8, s2, s55
	v_cndmask_b32_e64 v31, v30, v3, s2
	v_cmp_gt_u32_e64 s2, 4, v30
	s_add_nc_u64 s[4:5], s[14:15], 1
	s_ashr_i32 s19, s18, 31
	v_mov_b32_e32 v3, v5
	s_mul_u64 s[16:17], s[4:5], s[18:19]
	s_and_b32 s89, vcc_lo, s2
	v_cmp_gt_u32_e64 s4, 16, v30
	v_cmp_ne_u32_e64 s6, 0, v45
	v_cmp_eq_u32_e64 s5, 0, v45
	v_dual_add_nc_u32 v28, 32, v2 :: v_dual_bitop2_b32 v51, 7, v0 bitop3:0x40
	v_cmp_lt_u32_e64 s9, 1, v45
	s_wait_kmcnt 0x0
	v_writelane_b32 v95, s3, 2
	s_xor_b32 s3, vcc_lo, -1
	v_cmp_gt_u32_e32 vcc_lo, 2, v6
	s_and_b32 s88, s3, s2
	v_cmp_eq_u32_e64 s3, 0, v2
	s_and_b32 s92, s6, s4
	v_cmp_eq_u32_e64 s6, 3, v45
	s_and_b32 s91, s5, s4
	v_cmp_gt_u32_e64 s5, 64, v30
	s_and_b32 s90, s3, vcc_lo
	v_cmp_eq_u32_e32 vcc_lo, 2, v45
	s_and_b32 s96, s6, s4
	v_cmp_eq_u32_e64 s6, 1, v51
	v_cmp_eq_u32_e64 s7, 1, v45
	s_and_b32 s94, s9, s4
	s_and_b32 s95, vcc_lo, s4
	v_cmp_ne_u32_e32 vcc_lo, 0, v51
	v_cmp_eq_u32_e64 s9, 0, v51
	s_and_b32 s100, s6, s5
	v_cmp_eq_u32_e64 s6, 3, v51
	s_and_b32 s93, s7, s4
	s_and_b32 s99, vcc_lo, s5
	v_cmp_lt_u32_e32 vcc_lo, 1, v51
	v_cmp_gt_u32_e64 s7, 4, v6
	s_and_b32 s98, s9, s5
	v_cmp_lt_u32_e64 s9, 2, v51
	s_and_b32 s104, s6, s5
	s_and_b32 s101, vcc_lo, s5
	v_cmp_lt_u32_e32 vcc_lo, 3, v51
	v_cmp_eq_u32_e64 s6, 4, v51
	s_and_b32 s97, s3, s7
	v_cmp_eq_u32_e64 s7, 2, v51
	s_and_b32 s103, s9, s5
	v_cmp_eq_u32_e64 s9, 5, v51
	s_and_b32 vcc_hi, vcc_lo, s5
	v_cmp_lt_u32_e32 vcc_lo, 5, v51
	s_and_b32 s31, s6, s5
	v_cmp_eq_u32_e64 s6, 6, v51
	v_dual_add_nc_u32 v26, 48, v2 :: v_dual_bitop2_b32 v60, 15, v0 bitop3:0x40
	s_and_b32 s102, s7, s5
	v_cmp_lt_u32_e64 s7, 4, v51
	s_and_b32 s34, s9, s5
	s_and_b32 s35, vcc_lo, s5
	v_cmp_eq_u32_e32 vcc_lo, 7, v51
	s_and_b32 s36, s6, s5
	v_cmp_gt_u32_e64 s6, 0x100, v30
	v_cmp_eq_u32_e64 s9, 0, v60
	s_and_b32 s33, s7, s5
	v_cmp_gt_u32_e64 s7, 8, v6
	s_and_b32 s37, vcc_lo, s5
	v_cmp_ne_u32_e32 vcc_lo, 0, v60
	s_and_b32 s9, s9, s6
	v_cmp_eq_u32_e64 s10, 2, v60
	v_writelane_b32 v95, s9, 3
	s_and_b32 s38, s3, s7
	v_cmp_eq_u32_e64 s7, 1, v60
	s_and_b32 s11, vcc_lo, s6
	v_cmp_lt_u32_e64 s9, 1, v60
	v_writelane_b32 v95, s11, 4
	v_cmp_lt_u32_e32 vcc_lo, 2, v60
	s_and_b32 s7, s7, s6
	v_dual_mov_b32 v29, v5 :: v_dual_bitop2_b32 v63, 31, v0 bitop3:0x40
	v_writelane_b32 v95, s7, 5
	s_and_b32 s7, s9, s6
	v_cmp_lt_u32_e64 s9, 3, v60
	s_delay_alu instid0(VALU_DEP_3)
	v_cmp_eq_u32_e64 s11, 1, v63
	v_cmp_lt_u32_e64 s12, 1, v63
	v_writelane_b32 v95, s7, 6
	s_and_b32 s7, s10, s6
	s_and_b32 s10, vcc_lo, s6
	v_cmp_eq_u32_e32 vcc_lo, 4, v60
	s_and_b32 s46, s9, s6
	v_writelane_b32 v95, s7, 7
	v_cmp_eq_u32_e64 s7, 3, v60
	v_cmp_eq_u32_e64 s9, 6, v60
	s_and_b32 s47, vcc_lo, s6
	v_cmp_lt_u32_e32 vcc_lo, 5, v60
	v_writelane_b32 v95, s10, 8
	s_and_b32 s45, s7, s6
	v_cmp_eq_u32_e64 s7, 5, v60
	v_cmp_lt_u32_e64 s10, 4, v60
	s_and_b32 s51, s9, s6
	v_cmp_lt_u32_e64 s9, 8, v60
	s_and_b32 s50, vcc_lo, s6
	s_and_b32 s49, s7, s6
	v_cmp_lt_u32_e64 s7, 6, v60
	s_and_b32 s48, s10, s6
	v_cmp_eq_u32_e64 s10, 7, v60
	v_cmp_lt_u32_e32 vcc_lo, 7, v60
	s_and_b32 s20, s9, s6
	s_and_b32 s52, s7, s6
	v_cmp_eq_u32_e64 s7, 8, v60
	s_and_b32 s53, s10, s6
	v_cmp_lt_u32_e64 s10, 9, v60
	v_cmp_eq_u32_e64 s9, 11, v60
	s_and_b32 s54, vcc_lo, s6
	s_and_b32 s86, s7, s6
	v_cmp_eq_u32_e64 s7, 10, v60
	v_cmp_eq_u32_e32 vcc_lo, 9, v60
	s_and_b32 s24, s10, s6
	v_cmp_eq_u32_e64 s10, 12, v60
	s_and_b32 s30, s9, s6
	s_and_b32 s26, s7, s6
	v_cmp_lt_u32_e64 s7, 11, v60
	v_cmp_lt_u32_e64 s9, 13, v60
	s_and_b32 s22, vcc_lo, s6
	v_cmp_lt_u32_e32 vcc_lo, 10, v60
	s_and_b32 s58, s10, s6
	s_and_b32 s57, s7, s6
	v_cmp_eq_u32_e64 s7, 13, v60
	v_cmp_eq_u32_e64 s10, 15, v60
	s_and_b32 s21, s9, s6
	v_cmp_eq_u32_e64 s9, 0, v63
	s_and_b32 s28, vcc_lo, s6
	s_and_b32 s60, s7, s6
	v_cmp_gt_u32_e64 s7, 0x400, v30
	v_cmp_lt_u32_e32 vcc_lo, 12, v60
	s_and_b32 s25, s10, s6
	v_cmp_ne_u32_e64 s10, 0, v63
	v_dual_ashrrev_i32 v25, 31, v24 :: v_dual_add_nc_u32 v33, s18, v2
	s_and_b32 s9, s9, s7
	s_and_b32 s59, vcc_lo, s6
	v_writelane_b32 v95, s9, 9
	v_cmp_eq_u32_e32 vcc_lo, 14, v60
	s_and_b32 s9, s10, s7
	v_cmp_eq_u32_e64 s10, 3, v63
	v_add_nc_u64_e32 v[22:23], s[18:19], v[8:9]
	v_writelane_b32 v95, s9, 10
	s_and_b32 s23, vcc_lo, s6
	v_cmp_gt_u32_e32 vcc_lo, 16, v6
	s_and_b32 s9, s11, s7
	v_cmp_lt_u32_e64 s11, 3, v63
	v_writelane_b32 v95, s9, 11
	s_and_b32 s9, s12, s7
	s_and_b32 s27, s3, vcc_lo
	v_cmp_eq_u32_e32 vcc_lo, 2, v63
	v_cmp_eq_u32_e64 s12, 4, v63
	v_writelane_b32 v95, s9, 12
	v_cmp_lt_u32_e64 s9, 2, v63
	v_cndmask_b32_e64 v32, v13, v12, s8
	s_and_b32 s29, vcc_lo, s7
	v_cmp_lt_u32_e32 vcc_lo, 4, v63
	v_writelane_b32 v95, s29, 13
	s_and_b32 s9, s9, s7
	v_mul_u64_e32 v[12:13], s[14:15], v[2:3]
	v_dual_add_nc_u32 v3, v28, v7 :: v_dual_mov_b32 v27, v5
	v_writelane_b32 v95, s9, 14
	s_and_b32 s9, s10, s7
	s_and_b32 s18, vcc_lo, s7
	v_cmp_lt_u32_e64 s10, 5, v63
	v_cmp_eq_u32_e32 vcc_lo, 7, v63
	v_writelane_b32 v95, s9, 15
	s_and_b32 s9, s11, s7
	v_cmp_eq_u32_e64 s11, 6, v63
	v_lshl_add_u32 v9, v28, 6, v6
	v_add_nc_u32_e32 v7, v26, v7
	v_writelane_b32 v95, s9, 16
	s_and_b32 s9, s12, s7
	v_cmp_lt_u32_e64 s12, 6, v63
	v_lshl_add_u32 v20, v26, 6, v6
	s_xor_b32 s87, s8, -1
	v_writelane_b32 v95, s9, 17
	v_cmp_eq_u32_e64 s9, 5, v63
	v_mul_u64_e32 v[16:17], s[14:15], v[28:29]
	v_mul_u64_e32 v[18:19], s[14:15], v[26:27]
	v_cndmask_b32_e64 v29, v9, v3, s8
	v_writelane_b32 v95, s18, 18
	s_and_b32 s9, s9, s7
	v_dual_lshlrev_b32 v3, 2, v6 :: v_dual_cndmask_b32 v27, v20, v7, s8
	v_cmp_eq_u32_e64 s8, 8, v63
	v_writelane_b32 v95, s9, 19
	s_and_b32 s9, s10, s7
	s_and_b32 s10, s11, s7
                                        ; implicit-def: $vgpr94 : SGPR spill to VGPR lane
                                        ; implicit-def: $vgpr93 : SGPR spill to VGPR lane
	v_dual_lshrrev_b32 v37, 10, v0 :: v_dual_lshrrev_b32 v40, 1, v30
	v_writelane_b32 v95, s9, 20
	v_cmp_lt_u32_e64 s9, 7, v63
	s_and_b32 s8, s8, s7
	v_lshlrev_b32_e32 v1, 2, v1
	v_bitop3_b32 v87, v0, v37, 0x3ff bitop3:0xa8
	v_writelane_b32 v95, s10, 21
	s_and_b32 s10, s12, s7
	s_and_b32 s9, s9, s7
	v_lshrrev_b32_e32 v0, 2, v30
	v_lshl_or_b32 v39, v40, 8, v1
	v_writelane_b32 v95, s10, 22
	s_and_b32 s10, vcc_lo, s7
	v_cmp_lt_u32_e32 vcc_lo, 8, v63
	v_dual_lshlrev_b32 v45, 2, v45 :: v_dual_bitop2_b32 v1, -4, v30 bitop3:0x40
	v_writelane_b32 v95, s10, 23
	v_mul_u32_u24_e32 v41, 0x104, v0
	v_lshlrev_b32_e32 v43, 8, v6
	s_delay_alu instid0(VALU_DEP_4)
	v_add_nc_u32_e32 v47, 0x4000, v1
	s_clause 0x1
	s_load_b64 s[76:77], s[0:1], 0x40
	s_load_b128 s[68:71], s[0:1], 0x30
	v_writelane_b32 v95, s9, 24
	v_dual_sub_nc_u32 v49, v41, v1 :: v_dual_lshrrev_b32 v1, 3, v30
	v_lshl_or_b32 v48, v0, 8, v45
	v_lshlrev_b32_e32 v51, 2, v51
	v_writelane_b32 v95, s8, 25
	s_and_b32 s8, vcc_lo, s7
	v_cmp_eq_u32_e32 vcc_lo, 9, v63
	v_add_nc_u32_e32 v49, v49, v45
	v_lshlrev_b32_e32 v0, 2, v1
	v_writelane_b32 v95, s8, 26
	v_mul_u32_u24_e32 v52, 0x104, v1
	s_and_b32 s8, vcc_lo, s7
	v_cmp_lt_u32_e32 vcc_lo, 9, v63
	v_lshrrev_b32_e32 v65, 4, v30
	v_writelane_b32 v95, s8, 27
	v_add_nc_u32_e32 v54, 0x4000, v0
	v_lshl_or_b32 v55, v1, 8, v51
	s_and_b32 s8, vcc_lo, s7
	v_cmp_eq_u32_e32 vcc_lo, 10, v63
	v_writelane_b32 v95, s8, 28
	v_dual_sub_nc_u32 v0, v52, v0 :: v_dual_lshlrev_b32 v1, 2, v65
	v_lshrrev_b32_e32 v62, 5, v30
	s_and_b32 s8, vcc_lo, s7
	v_cmp_lt_u32_e32 vcc_lo, 10, v63
	v_writelane_b32 v95, s8, 29
	v_mul_u32_u24_e32 v57, 0x104, v65
	v_dual_add_nc_u32 v20, 64, v33 :: v_dual_add_nc_u32 v58, v0, v51
	v_lshlrev_b32_e32 v60, 2, v60
	s_and_b32 s8, vcc_lo, s7
	v_cmp_eq_u32_e32 vcc_lo, 11, v63
	v_writelane_b32 v95, s8, 30
	v_dual_sub_nc_u32 v0, v57, v1 :: v_dual_lshlrev_b32 v61, 2, v62
	v_mul_u64_e32 v[10:11], s[14:15], v[24:25]
	s_and_b32 s8, vcc_lo, s7
	v_cmp_lt_u32_e32 vcc_lo, 11, v63
	v_writelane_b32 v95, s8, 31
	v_lshlrev_b32_e32 v62, 8, v62
	v_add_nc_u32_e32 v64, 0x4000, v1
	v_cmp_gt_u32_e64 s40, 0xf0, v30
	s_and_b32 s8, vcc_lo, s7
	v_cmp_eq_u32_e32 vcc_lo, 12, v63
	v_writelane_b32 v94, s8, 0
                                        ; implicit-def: $vgpr92 : SGPR spill to VGPR lane
	v_mad_u32_u24 v7, 0xfc, v6, v3
	v_mul_u64_e32 v[14:15], s[14:15], v[4:5]
	s_wait_kmcnt 0x0
	v_mul_u64_e32 v[22:23], s[76:77], v[22:23]
	s_and_b32 s8, vcc_lo, s7
	v_cmp_lt_u32_e32 vcc_lo, 12, v63
	v_writelane_b32 v94, s8, 1
	v_mad_i32_i24 v9, 0xffffff04, v6, v7
	v_mul_i32_i24_e32 v81, 0xffffff04, v6
	v_lshlrev_b32_e32 v76, 2, v31
	s_and_b32 s8, vcc_lo, s7
	v_cmp_eq_u32_e32 vcc_lo, 13, v63
	v_writelane_b32 v94, s8, 2
	v_mad_u32_u24 v34, 0xfc, v6, v9
	v_dual_lshlrev_b32 v80, 2, v2 :: v_dual_lshlrev_b32 v77, 2, v32
	v_or_b32_e32 v31, v28, v6
	s_and_b32 s8, vcc_lo, s7
	v_cmp_lt_u32_e32 vcc_lo, 13, v63
	v_writelane_b32 v94, s8, 3
	v_mad_i32_i24 v35, 0xffffff04, v6, v34
	v_mad_i32_i24 v69, 0xffffff04, v6, v43
	v_or_b32_e32 v71, 0x5000, v80
	s_and_b32 s8, vcc_lo, s7
	v_cmp_eq_u32_e32 vcc_lo, 14, v63
	v_writelane_b32 v94, s8, 4
	v_mad_u32_u24 v36, 0xfc, v6, v35
	v_dual_lshlrev_b32 v78, 2, v29 :: v_dual_bitop2_b32 v29, v26, v6 bitop3:0x54
	s_and_b32 s8, vcc_lo, s7
	v_cmp_lt_u32_e32 vcc_lo, 14, v63
	v_writelane_b32 v94, s8, 5
	v_mad_i32_i24 v38, 0xffffff04, v6, v36
	v_ashrrev_i32_e32 v21, 31, v20
	v_lshl_add_u32 v37, v40, 2, 0x4000
	s_and_b32 s8, vcc_lo, s7
	v_cmp_eq_u32_e32 vcc_lo, 15, v63
	v_writelane_b32 v94, s8, 6
	v_mad_u32_u24 v42, 0xfc, v6, v38
	v_mul_u32_u24_e32 v40, 0x104, v40
	v_mul_u32_u24_e32 v44, 0xfc, v6
	s_and_b32 s8, vcc_lo, s7
	v_cmp_lt_u32_e32 vcc_lo, 15, v63
	v_writelane_b32 v94, s8, 7
	v_mad_i32_i24 v46, 0xffffff04, v6, v42
	v_lshl_or_b32 v65, v65, 8, v60
	v_add_nc_u32_e32 v67, 0x4000, v61
	s_and_b32 s8, vcc_lo, s7
	v_cmp_eq_u32_e32 vcc_lo, 16, v63
	v_writelane_b32 v94, s8, 8
	v_mad_u32_u24 v50, 0xfc, v6, v46
	v_lshl_add_u32 v70, v8, 2, 0x5000
	v_lshl_add_u32 v72, v30, 2, 0x4000
	s_and_b32 s8, vcc_lo, s7
	v_cmp_lt_u32_e32 vcc_lo, 16, v63
	v_writelane_b32 v94, s8, 9
	v_mad_i32_i24 v53, 0xffffff04, v6, v50
	v_add_nc_u32_e32 v73, 0x4000, v3
	v_lshl_add_u32 v74, v2, 8, v69
	s_and_b32 s8, vcc_lo, s7
	v_cmp_eq_u32_e32 vcc_lo, 17, v63
	v_writelane_b32 v94, s8, 10
	v_mad_u32_u24 v56, 0xfc, v6, v53
	v_add_nc_u32_e32 v75, v71, v3
	v_dual_lshlrev_b32 v79, 2, v27 :: v_dual_add_nc_u32 v80, v43, v80
	s_and_b32 s8, vcc_lo, s7
	v_cmp_lt_u32_e32 vcc_lo, 17, v63
	v_writelane_b32 v94, s8, 11
	v_mad_i32_i24 v59, 0xffffff04, v6, v56
	v_subrev_nc_u32_e32 v82, 63, v6
	v_cmp_gt_u32_e64 s14, 8, v30
	s_and_b32 s8, vcc_lo, s7
	v_cmp_eq_u32_e32 vcc_lo, 18, v63
	v_writelane_b32 v94, s8, 12
	v_cmp_gt_u32_e64 s15, 56, v30
	v_cmp_gt_u32_e64 s18, 32, v30
	;; [unrolled: 1-line block ×3, first 2 shown]
	s_and_b32 s8, vcc_lo, s7
	v_cmp_lt_u32_e32 vcc_lo, 18, v63
	v_writelane_b32 v94, s8, 13
	v_cmp_gt_u32_e64 s56, 64, v8
                                        ; implicit-def: $vgpr83
                                        ; implicit-def: $vgpr84
                                        ; implicit-def: $vgpr85
                                        ; implicit-def: $vgpr86
	s_and_b32 s8, vcc_lo, s7
	v_cmp_eq_u32_e32 vcc_lo, 19, v63
	v_writelane_b32 v94, s8, 14
	s_and_b32 s8, vcc_lo, s7
	v_cmp_lt_u32_e32 vcc_lo, 19, v63
	v_writelane_b32 v94, s8, 15
	s_and_b32 s8, vcc_lo, s7
	v_cmp_eq_u32_e32 vcc_lo, 20, v63
	v_writelane_b32 v94, s8, 16
	s_and_b32 s8, vcc_lo, s7
	v_cmp_lt_u32_e32 vcc_lo, 20, v63
	v_writelane_b32 v94, s8, 17
	;; [unrolled: 6-line block ×11, first 2 shown]
	s_and_b32 s8, vcc_lo, s7
	v_cmp_eq_u32_e32 vcc_lo, 30, v63
	v_writelane_b32 v93, s8, 4
	s_and_b32 s8, vcc_lo, s7
	v_cmp_eq_u32_e32 vcc_lo, 31, v63
	v_writelane_b32 v93, s8, 5
	v_cmp_gt_u32_e64 s8, 32, v6
	v_dual_lshlrev_b32 v63, 2, v63 :: v_dual_add_nc_u32 v66, v0, v60
	s_and_b32 s29, vcc_lo, s7
	v_cmp_le_i32_e32 vcc_lo, s13, v6
	s_and_b32 s8, s3, s8
	v_mul_u64_e32 v[0:1], s[76:77], v[24:25]
	v_writelane_b32 v93, s8, 6
	v_add_nc_u32_e32 v25, 0x50, v33
	s_and_b32 s9, vcc_lo, s55
	v_or_b32_e32 v68, v62, v63
	s_xor_b32 s8, s9, -1
	v_writelane_b32 v93, s9, 7
	s_and_b32 s61, s3, s8
	v_cmp_le_i32_e64 s8, s13, v2
	s_cmp_gt_i32 s82, 0
	v_cmp_eq_u32_e64 s55, 0, v8
	s_cselect_b32 s85, -1, 0
	s_lshl_b64 s[78:79], s[16:17], 2
	s_or_b32 s9, s8, vcc_lo
	v_cmp_le_i32_e64 s8, s13, v4
	v_cmp_gt_u32_e64 s16, 48, v30
	v_cmp_gt_u32_e64 s17, 40, v30
	s_add_co_i32 s39, s39, 1
	s_lshl_b64 s[66:67], s[66:67], 2
	s_or_b32 s10, s8, vcc_lo
	v_cmp_le_i32_e64 s8, s13, v28
	s_lshl_b64 s[70:71], s[70:71], 2
	s_or_b32 s11, s8, vcc_lo
	v_cmp_le_i32_e64 s8, s13, v26
	s_or_b32 s12, s8, vcc_lo
	v_cmp_gt_i32_e32 vcc_lo, s13, v6
	v_cmp_gt_u32_e64 s13, 12, v30
	s_and_b32 s0, s3, vcc_lo
	v_cmp_gt_i32_e32 vcc_lo, s72, v20
	v_writelane_b32 v93, s0, 8
	v_cmp_gt_i32_e64 s0, s72, v24
	v_add_nc_u32_e32 v24, 0x60, v33
	s_and_b32 s1, vcc_lo, s0
	v_cmp_gt_i32_e32 vcc_lo, s72, v25
	v_writelane_b32 v93, s1, 9
	v_add_nc_u32_e32 v25, 0x70, v33
	s_and_b32 s1, vcc_lo, s0
	v_cmp_gt_i32_e32 vcc_lo, s72, v24
	v_writelane_b32 v93, s1, 10
	v_or_b32_e32 v24, v4, v6
	s_and_b32 s1, vcc_lo, s0
	v_cmp_gt_i32_e32 vcc_lo, s72, v25
	v_writelane_b32 v93, s1, 11
	v_mad_u32_u24 v25, 0xfc, v6, v81
	s_and_b32 s1, vcc_lo, s0
	s_delay_alu instid0(SALU_CYCLE_1) | instskip(SKIP_2) | instid1(SALU_CYCLE_1)
	v_writelane_b32 v93, s1, 12
	v_cmp_le_u32_e64 s1, v6, v2
	s_or_b32 s8, s9, s1
	v_writelane_b32 v93, s8, 13
	v_cmp_le_u32_e64 s8, v6, v4
	v_mul_lo_u32 v4, v25, 7
	v_mov_b32_e32 v25, 1.0
	s_or_b32 s9, s10, s8
	s_delay_alu instid0(SALU_CYCLE_1) | instskip(SKIP_1) | instid1(VALU_DEP_4)
	v_writelane_b32 v93, s9, 14
	v_cmp_le_u32_e64 s9, v6, v28
	v_add3_u32 v81, v4, v3, 0x3c00
	s_or_b32 s10, s11, s9
	v_lshlrev_b32_e32 v4, 2, v6
	v_writelane_b32 v93, s10, 15
	v_cmp_le_u32_e64 s10, v6, v26
	s_or_b32 s11, s12, s10
	v_cmp_gt_u32_e64 s12, 2, v30
	v_writelane_b32 v93, s11, 16
	v_cmp_eq_u32_e64 s11, 0, v87
	v_writelane_b32 v93, s40, 17
	v_cmp_gt_u32_e64 s40, 0xe0, v30
	s_delay_alu instid0(VALU_DEP_1) | instskip(SKIP_1) | instid1(VALU_DEP_1)
	v_writelane_b32 v93, s40, 18
	v_cmp_gt_u32_e64 s40, 0xd0, v30
	v_writelane_b32 v93, s40, 19
	v_cmp_gt_u32_e64 s40, 0xc0, v30
	s_delay_alu instid0(VALU_DEP_1) | instskip(SKIP_1) | instid1(VALU_DEP_1)
	v_writelane_b32 v93, s40, 20
	v_cmp_gt_u32_e64 s40, 0xb0, v30
	;; [unrolled: 5-line block ×18, first 2 shown]
	v_writelane_b32 v92, s40, 21
	v_cmp_gt_u32_e64 s40, 64, v29
	s_delay_alu instid0(VALU_DEP_1)
	v_writelane_b32 v92, s40, 22
	s_branch .LBB116_3
.LBB116_2:                              ;   in Loop: Header=BB116_3 Depth=1
	s_wait_xcnt 0x0
	s_or_b32 exec_lo, exec_lo, s40
	v_readlane_b32 s40, v95, 0
	s_add_co_i32 s62, s62, 0x10000
	global_wb scope:SCOPE_DEV
	s_wait_storecnt 0x0
	global_inv scope:SCOPE_DEV
	s_cmp_lt_u32 s62, s40
	s_cbranch_scc0 .LBB116_1225
.LBB116_3:                              ; =>This Loop Header: Depth=1
                                        ;     Child Loop BB116_1094 Depth 2
                                        ;       Child Loop BB116_1096 Depth 3
                                        ;     Child Loop BB116_1131 Depth 2
	v_mov_b32_e32 v24, s62
	v_readlane_b32 s40, v95, 1
	s_clause 0x1
	global_load_b64 v[26:27], v24, s[64:65] scale_offset
	global_load_b64 v[28:29], v24, s[68:69] scale_offset
	s_and_not1_b32 vcc_lo, exec_lo, s40
	s_wait_loadcnt 0x1
	v_add_nc_u64_e32 v[30:31], s[66:67], v[26:27]
	s_delay_alu instid0(VALU_DEP_1)
	v_lshl_add_u64 v[26:27], v[10:11], 2, v[30:31]
	s_cbranch_vccnz .LBB116_13
; %bb.4:                                ;   in Loop: Header=BB116_3 Depth=1
	s_delay_alu instid0(VALU_DEP_1)
	v_lshl_add_u64 v[32:33], v[20:21], 2, v[26:27]
	v_dual_mov_b32 v84, 0 :: v_dual_mov_b32 v83, 0
	s_wait_loadcnt 0x0
	s_barrier_signal -1
	s_barrier_wait -1
	s_wait_xcnt 0x0
	s_mov_b32 s40, exec_lo
	v_readlane_b32 s41, v93, 9
	s_and_b32 s41, s40, s41
	s_delay_alu instid0(SALU_CYCLE_1)
	s_mov_b32 exec_lo, s41
	s_cbranch_execz .LBB116_6
; %bb.5:                                ;   in Loop: Header=BB116_3 Depth=1
	flat_load_b32 v83, v[32:33]
.LBB116_6:                              ;   in Loop: Header=BB116_3 Depth=1
	s_wait_xcnt 0x0
	s_or_b32 exec_lo, exec_lo, s40
	s_wait_loadcnt_dscnt 0x0
	s_barrier_signal -1
	s_barrier_wait -1
	s_mov_b32 s40, exec_lo
	v_readlane_b32 s41, v93, 10
	s_and_b32 s41, s40, s41
	s_delay_alu instid0(SALU_CYCLE_1)
	s_mov_b32 exec_lo, s41
	s_cbranch_execz .LBB116_8
; %bb.7:                                ;   in Loop: Header=BB116_3 Depth=1
	flat_load_b32 v84, v[32:33] offset:64
.LBB116_8:                              ;   in Loop: Header=BB116_3 Depth=1
	s_wait_xcnt 0x0
	s_or_b32 exec_lo, exec_lo, s40
	v_dual_mov_b32 v86, 0 :: v_dual_mov_b32 v85, 0
	s_wait_loadcnt_dscnt 0x0
	s_barrier_signal -1
	s_barrier_wait -1
	s_mov_b32 s40, exec_lo
	v_readlane_b32 s41, v93, 11
	s_and_b32 s41, s40, s41
	s_delay_alu instid0(SALU_CYCLE_1)
	s_mov_b32 exec_lo, s41
	s_cbranch_execz .LBB116_10
; %bb.9:                                ;   in Loop: Header=BB116_3 Depth=1
	flat_load_b32 v85, v[32:33] offset:128
.LBB116_10:                             ;   in Loop: Header=BB116_3 Depth=1
	s_wait_xcnt 0x0
	s_or_b32 exec_lo, exec_lo, s40
	s_wait_loadcnt_dscnt 0x0
	s_barrier_signal -1
	s_barrier_wait -1
	s_mov_b32 s40, exec_lo
	v_readlane_b32 s41, v93, 12
	s_and_b32 s41, s40, s41
	s_delay_alu instid0(SALU_CYCLE_1)
	s_mov_b32 exec_lo, s41
	s_cbranch_execz .LBB116_12
; %bb.11:                               ;   in Loop: Header=BB116_3 Depth=1
	flat_load_b32 v86, v[32:33] offset:192
.LBB116_12:                             ;   in Loop: Header=BB116_3 Depth=1
	s_wait_xcnt 0x0
	s_or_b32 exec_lo, exec_lo, s40
.LBB116_13:                             ;   in Loop: Header=BB116_3 Depth=1
	v_add_nc_u64_e32 v[30:31], s[78:79], v[30:31]
	s_and_not1_b32 vcc_lo, exec_lo, s84
	s_mov_b32 s40, -1
	s_delay_alu instid0(VALU_DEP_1)
	v_add_nc_u64_e32 v[30:31], v[30:31], v[4:5]
	s_cbranch_vccnz .LBB116_24
; %bb.14:                               ;   in Loop: Header=BB116_3 Depth=1
	s_wait_xcnt 0x0
	s_and_saveexec_b32 s40, s1
	s_delay_alu instid0(SALU_CYCLE_1)
	s_xor_b32 s40, exec_lo, s40
	s_cbranch_execnz .LBB116_1153
; %bb.15:                               ;   in Loop: Header=BB116_3 Depth=1
	s_and_not1_saveexec_b32 s40, s40
	s_cbranch_execnz .LBB116_1156
.LBB116_16:                             ;   in Loop: Header=BB116_3 Depth=1
	s_or_b32 exec_lo, exec_lo, s40
	s_and_saveexec_b32 s40, s8
	s_delay_alu instid0(SALU_CYCLE_1)
	s_xor_b32 s40, exec_lo, s40
	s_cbranch_execnz .LBB116_1157
.LBB116_17:                             ;   in Loop: Header=BB116_3 Depth=1
	s_and_not1_saveexec_b32 s40, s40
	s_cbranch_execnz .LBB116_1160
.LBB116_18:                             ;   in Loop: Header=BB116_3 Depth=1
	s_or_b32 exec_lo, exec_lo, s40
	s_and_saveexec_b32 s40, s9
	s_delay_alu instid0(SALU_CYCLE_1)
	s_xor_b32 s40, exec_lo, s40
	s_cbranch_execnz .LBB116_1161
.LBB116_19:                             ;   in Loop: Header=BB116_3 Depth=1
	s_and_not1_saveexec_b32 s40, s40
	s_cbranch_execnz .LBB116_1164
.LBB116_20:                             ;   in Loop: Header=BB116_3 Depth=1
	s_or_b32 exec_lo, exec_lo, s40
	s_and_saveexec_b32 s40, s10
	s_delay_alu instid0(SALU_CYCLE_1)
	s_xor_b32 s40, exec_lo, s40
	s_cbranch_execnz .LBB116_1165
.LBB116_21:                             ;   in Loop: Header=BB116_3 Depth=1
	s_and_not1_saveexec_b32 s40, s40
	s_cbranch_execz .LBB116_23
.LBB116_22:                             ;   in Loop: Header=BB116_3 Depth=1
	v_lshl_add_u64 v[32:33], v[18:19], 2, v[30:31]
	flat_load_b32 v24, v[32:33]
	s_wait_loadcnt_dscnt 0x0
	v_xor_b32_e32 v24, 0x80000000, v24
	ds_store_b32 v79, v24
.LBB116_23:                             ;   in Loop: Header=BB116_3 Depth=1
	s_or_b32 exec_lo, exec_lo, s40
	s_mov_b32 s40, 0
.LBB116_24:                             ;   in Loop: Header=BB116_3 Depth=1
	s_delay_alu instid0(SALU_CYCLE_1)
	s_and_b32 vcc_lo, exec_lo, s40
	s_cbranch_vccz .LBB116_50
; %bb.25:                               ;   in Loop: Header=BB116_3 Depth=1
	s_wait_xcnt 0x0
	s_mov_b32 s40, exec_lo
	v_readlane_b32 s41, v93, 13
	s_and_b32 s41, s40, s41
	s_delay_alu instid0(SALU_CYCLE_1)
	s_xor_b32 s40, s41, s40
	s_mov_b32 exec_lo, s41
	s_cbranch_execz .LBB116_29
; %bb.26:                               ;   in Loop: Header=BB116_3 Depth=1
	s_mov_b32 s41, exec_lo
	v_readlane_b32 s42, v92, 19
	s_and_b32 s42, s41, s42
	s_delay_alu instid0(SALU_CYCLE_1)
	s_mov_b32 exec_lo, s42
; %bb.27:                               ;   in Loop: Header=BB116_3 Depth=1
	ds_store_b32 v80, v5
; %bb.28:                               ;   in Loop: Header=BB116_3 Depth=1
	s_or_b32 exec_lo, exec_lo, s41
.LBB116_29:                             ;   in Loop: Header=BB116_3 Depth=1
	s_and_not1_saveexec_b32 s40, s40
	s_cbranch_execz .LBB116_31
; %bb.30:                               ;   in Loop: Header=BB116_3 Depth=1
	v_lshl_add_u64 v[32:33], v[12:13], 2, v[30:31]
	flat_load_b32 v24, v[32:33]
	s_wait_loadcnt_dscnt 0x0
	v_xor_b32_e32 v24, 0x80000000, v24
	ds_store_b32 v80, v24
.LBB116_31:                             ;   in Loop: Header=BB116_3 Depth=1
	s_or_b32 exec_lo, exec_lo, s40
	s_delay_alu instid0(SALU_CYCLE_1) | instskip(SKIP_2) | instid1(SALU_CYCLE_1)
	s_mov_b32 s40, exec_lo
	v_readlane_b32 s41, v93, 14
	s_and_b32 s41, s40, s41
	s_xor_b32 s40, s41, s40
	s_mov_b32 exec_lo, s41
	s_cbranch_execz .LBB116_35
; %bb.32:                               ;   in Loop: Header=BB116_3 Depth=1
	s_mov_b32 s41, exec_lo
	v_readlane_b32 s42, v92, 20
	s_and_b32 s42, s41, s42
	s_delay_alu instid0(SALU_CYCLE_1)
	s_mov_b32 exec_lo, s42
; %bb.33:                               ;   in Loop: Header=BB116_3 Depth=1
	ds_store_b32 v77, v5
; %bb.34:                               ;   in Loop: Header=BB116_3 Depth=1
	s_or_b32 exec_lo, exec_lo, s41
.LBB116_35:                             ;   in Loop: Header=BB116_3 Depth=1
	s_and_not1_saveexec_b32 s40, s40
	s_cbranch_execz .LBB116_37
; %bb.36:                               ;   in Loop: Header=BB116_3 Depth=1
	v_lshl_add_u64 v[32:33], v[14:15], 2, v[30:31]
	flat_load_b32 v24, v[32:33]
	s_wait_loadcnt_dscnt 0x0
	v_xor_b32_e32 v24, 0x80000000, v24
	ds_store_b32 v77, v24
.LBB116_37:                             ;   in Loop: Header=BB116_3 Depth=1
	s_or_b32 exec_lo, exec_lo, s40
	s_delay_alu instid0(SALU_CYCLE_1) | instskip(SKIP_2) | instid1(SALU_CYCLE_1)
	s_mov_b32 s40, exec_lo
	v_readlane_b32 s41, v93, 15
	s_and_b32 s41, s40, s41
	;; [unrolled: 28-line block ×3, first 2 shown]
	s_xor_b32 s40, s41, s40
	s_mov_b32 exec_lo, s41
	s_cbranch_execz .LBB116_47
; %bb.44:                               ;   in Loop: Header=BB116_3 Depth=1
	s_mov_b32 s41, exec_lo
	v_readlane_b32 s42, v92, 22
	s_and_b32 s42, s41, s42
	s_delay_alu instid0(SALU_CYCLE_1)
	s_mov_b32 exec_lo, s42
; %bb.45:                               ;   in Loop: Header=BB116_3 Depth=1
	ds_store_b32 v79, v5
; %bb.46:                               ;   in Loop: Header=BB116_3 Depth=1
	s_or_b32 exec_lo, exec_lo, s41
                                        ; implicit-def: $vgpr30_vgpr31
.LBB116_47:                             ;   in Loop: Header=BB116_3 Depth=1
	s_and_not1_saveexec_b32 s40, s40
	s_cbranch_execz .LBB116_49
; %bb.48:                               ;   in Loop: Header=BB116_3 Depth=1
	v_lshl_add_u64 v[30:31], v[18:19], 2, v[30:31]
	flat_load_b32 v24, v[30:31]
	s_wait_loadcnt_dscnt 0x0
	v_xor_b32_e32 v24, 0x80000000, v24
	ds_store_b32 v79, v24
.LBB116_49:                             ;   in Loop: Header=BB116_3 Depth=1
	s_or_b32 exec_lo, exec_lo, s40
.LBB116_50:                             ;   in Loop: Header=BB116_3 Depth=1
	s_delay_alu instid0(SALU_CYCLE_1)
	s_and_not1_b32 vcc_lo, exec_lo, s87
	s_wait_loadcnt_dscnt 0x0
	s_barrier_signal -1
	s_barrier_wait -1
	s_cbranch_vccnz .LBB116_1088
; %bb.51:                               ;   in Loop: Header=BB116_3 Depth=1
	s_wait_xcnt 0x0
	s_and_saveexec_b32 s40, s11
	s_cbranch_execz .LBB116_53
; %bb.52:                               ;   in Loop: Header=BB116_3 Depth=1
	ds_load_b32 v24, v5 offset:4
	ds_store_b32 v5, v25
	s_wait_dscnt 0x1
	ds_store_b64 v5, v[24:25] offset:256
.LBB116_53:                             ;   in Loop: Header=BB116_3 Depth=1
	s_or_b32 exec_lo, exec_lo, s40
	v_mov_b32_e32 v24, 0
	s_wait_dscnt 0x0
	s_barrier_signal -1
	s_barrier_wait -1
	s_and_saveexec_b32 s40, s2
	s_cbranch_execz .LBB116_57
; %bb.54:                               ;   in Loop: Header=BB116_3 Depth=1
	ds_load_b32 v24, v39 offset:8
	ds_load_b32 v30, v40
	s_wait_dscnt 0x0
	v_fma_f32 v24, v24, v30, 0
	s_and_saveexec_b32 s41, s12
	s_cbranch_execz .LBB116_56
; %bb.55:                               ;   in Loop: Header=BB116_3 Depth=1
	ds_load_b32 v30, v3 offset:264
	ds_load_b32 v31, v5 offset:4
	s_wait_dscnt 0x0
	v_fmac_f32_e32 v24, v30, v31
.LBB116_56:                             ;   in Loop: Header=BB116_3 Depth=1
	s_or_b32 exec_lo, exec_lo, s41
	s_delay_alu instid0(VALU_DEP_1)
	v_xor_b32_e32 v24, 0x80000000, v24
.LBB116_57:                             ;   in Loop: Header=BB116_3 Depth=1
	s_or_b32 exec_lo, exec_lo, s40
	s_and_saveexec_b32 s40, s88
; %bb.58:                               ;   in Loop: Header=BB116_3 Depth=1
	ds_store_b32 v37, v24
; %bb.59:                               ;   in Loop: Header=BB116_3 Depth=1
	s_or_b32 exec_lo, exec_lo, s40
	s_wait_dscnt 0x0
	s_barrier_signal -1
	s_barrier_wait -1
	s_and_saveexec_b32 s40, s89
	s_cbranch_execz .LBB116_61
; %bb.60:                               ;   in Loop: Header=BB116_3 Depth=1
	ds_load_b32 v30, v5 offset:524
	ds_load_b32 v31, v37
	s_wait_dscnt 0x0
	v_fmac_f32_e32 v24, v30, v31
.LBB116_61:                             ;   in Loop: Header=BB116_3 Depth=1
	s_or_b32 exec_lo, exec_lo, s40
	s_barrier_signal -1
	s_barrier_wait -1
	s_and_saveexec_b32 s40, s89
; %bb.62:                               ;   in Loop: Header=BB116_3 Depth=1
	ds_store_b32 v37, v24
; %bb.63:                               ;   in Loop: Header=BB116_3 Depth=1
	s_or_b32 exec_lo, exec_lo, s40
	s_wait_dscnt 0x0
	s_barrier_signal -1
	s_barrier_wait -1
	s_barrier_signal -1
	s_barrier_wait -1
	s_and_saveexec_b32 s40, s2
; %bb.64:                               ;   in Loop: Header=BB116_3 Depth=1
	v_xor_b32_e32 v24, 0x80000000, v24
	ds_store_b32 v39, v24 offset:8
; %bb.65:                               ;   in Loop: Header=BB116_3 Depth=1
	s_or_b32 exec_lo, exec_lo, s40
	s_wait_dscnt 0x0
	s_barrier_signal -1
	s_barrier_wait -1
	s_barrier_signal -1
	s_barrier_wait -1
	s_and_saveexec_b32 s40, s90
	s_cbranch_execz .LBB116_67
; %bb.66:                               ;   in Loop: Header=BB116_3 Depth=1
	ds_load_b32 v24, v7 offset:8
	s_wait_dscnt 0x0
	ds_store_b32 v3, v24 offset:512
	ds_load_b32 v24, v7 offset:12
	s_wait_dscnt 0x0
	ds_store_b32 v3, v24 offset:768
.LBB116_67:                             ;   in Loop: Header=BB116_3 Depth=1
	s_or_b32 exec_lo, exec_lo, s40
	s_wait_dscnt 0x0
	s_barrier_signal -1
	s_barrier_wait -1
	s_and_saveexec_b32 s40, s11
	s_cbranch_execz .LBB116_69
; %bb.68:                               ;   in Loop: Header=BB116_3 Depth=1
	ds_load_b32 v24, v5 offset:524
	ds_store_b32 v5, v25 offset:520
	s_wait_dscnt 0x1
	ds_store_b64 v5, v[24:25] offset:776
.LBB116_69:                             ;   in Loop: Header=BB116_3 Depth=1
	s_or_b32 exec_lo, exec_lo, s40
	v_mov_b32_e32 v24, 0
	s_wait_dscnt 0x0
	s_barrier_signal -1
	s_barrier_wait -1
	s_and_saveexec_b32 s40, s4
	s_cbranch_execz .LBB116_75
; %bb.70:                               ;   in Loop: Header=BB116_3 Depth=1
	ds_load_b32 v24, v48 offset:16
	ds_load_b32 v30, v41
	s_wait_dscnt 0x0
	v_fma_f32 v24, v24, v30, 0
	s_and_saveexec_b32 s41, s13
	s_cbranch_execnz .LBB116_1175
; %bb.71:                               ;   in Loop: Header=BB116_3 Depth=1
	s_or_b32 exec_lo, exec_lo, s41
	s_and_saveexec_b32 s41, s14
	s_cbranch_execnz .LBB116_1176
.LBB116_72:                             ;   in Loop: Header=BB116_3 Depth=1
	s_or_b32 exec_lo, exec_lo, s41
	s_and_saveexec_b32 s41, s2
	s_cbranch_execz .LBB116_74
.LBB116_73:                             ;   in Loop: Header=BB116_3 Depth=1
	ds_load_b32 v30, v9 offset:784
	ds_load_b32 v31, v5 offset:12
	s_wait_dscnt 0x0
	v_fmac_f32_e32 v24, v30, v31
.LBB116_74:                             ;   in Loop: Header=BB116_3 Depth=1
	s_or_b32 exec_lo, exec_lo, s41
	s_delay_alu instid0(VALU_DEP_1)
	v_xor_b32_e32 v24, 0x80000000, v24
.LBB116_75:                             ;   in Loop: Header=BB116_3 Depth=1
	s_or_b32 exec_lo, exec_lo, s40
	s_and_saveexec_b32 s40, s91
; %bb.76:                               ;   in Loop: Header=BB116_3 Depth=1
	ds_store_b32 v47, v24
; %bb.77:                               ;   in Loop: Header=BB116_3 Depth=1
	s_or_b32 exec_lo, exec_lo, s40
	s_wait_dscnt 0x0
	s_barrier_signal -1
	s_barrier_wait -1
	s_and_saveexec_b32 s40, s92
	s_cbranch_execz .LBB116_79
; %bb.78:                               ;   in Loop: Header=BB116_3 Depth=1
	ds_load_b32 v30, v45 offset:1040
	ds_load_b32 v31, v47
	s_wait_dscnt 0x0
	v_fmac_f32_e32 v24, v30, v31
.LBB116_79:                             ;   in Loop: Header=BB116_3 Depth=1
	s_or_b32 exec_lo, exec_lo, s40
	s_barrier_signal -1
	s_barrier_wait -1
	s_and_saveexec_b32 s40, s93
; %bb.80:                               ;   in Loop: Header=BB116_3 Depth=1
	ds_store_b32 v47, v24
; %bb.81:                               ;   in Loop: Header=BB116_3 Depth=1
	s_or_b32 exec_lo, exec_lo, s40
	s_wait_dscnt 0x0
	s_barrier_signal -1
	s_barrier_wait -1
	s_and_saveexec_b32 s40, s94
	s_cbranch_execz .LBB116_83
; %bb.82:                               ;   in Loop: Header=BB116_3 Depth=1
	ds_load_b32 v30, v45 offset:1296
	ds_load_b32 v31, v47
	s_wait_dscnt 0x0
	v_fmac_f32_e32 v24, v30, v31
.LBB116_83:                             ;   in Loop: Header=BB116_3 Depth=1
	s_or_b32 exec_lo, exec_lo, s40
	s_barrier_signal -1
	s_barrier_wait -1
	;; [unrolled: 19-line block ×3, first 2 shown]
	s_and_saveexec_b32 s40, s96
; %bb.88:                               ;   in Loop: Header=BB116_3 Depth=1
	ds_store_b32 v47, v24
; %bb.89:                               ;   in Loop: Header=BB116_3 Depth=1
	s_or_b32 exec_lo, exec_lo, s40
	s_wait_dscnt 0x0
	s_barrier_signal -1
	s_barrier_wait -1
	s_barrier_signal -1
	s_barrier_wait -1
	s_and_saveexec_b32 s40, s4
; %bb.90:                               ;   in Loop: Header=BB116_3 Depth=1
	v_xor_b32_e32 v24, 0x80000000, v24
	ds_store_b32 v48, v24 offset:16
; %bb.91:                               ;   in Loop: Header=BB116_3 Depth=1
	s_or_b32 exec_lo, exec_lo, s40
	s_wait_dscnt 0x0
	s_barrier_signal -1
	s_barrier_wait -1
	s_barrier_signal -1
	s_barrier_wait -1
	s_and_saveexec_b32 s40, s97
	s_cbranch_execz .LBB116_93
; %bb.92:                               ;   in Loop: Header=BB116_3 Depth=1
	ds_load_b32 v24, v34 offset:16
	s_wait_dscnt 0x0
	ds_store_b32 v35, v24 offset:1024
	ds_load_b32 v24, v34 offset:20
	s_wait_dscnt 0x0
	ds_store_b32 v35, v24 offset:1280
	ds_load_b32 v24, v34 offset:24
	s_wait_dscnt 0x0
	ds_store_b32 v35, v24 offset:1536
	ds_load_b32 v24, v34 offset:28
	s_wait_dscnt 0x0
	ds_store_b32 v35, v24 offset:1792
.LBB116_93:                             ;   in Loop: Header=BB116_3 Depth=1
	s_or_b32 exec_lo, exec_lo, s40
	s_wait_dscnt 0x0
	s_barrier_signal -1
	s_barrier_wait -1
	s_and_saveexec_b32 s40, s11
	s_cbranch_execz .LBB116_95
; %bb.94:                               ;   in Loop: Header=BB116_3 Depth=1
	ds_load_b32 v24, v5 offset:1044
	ds_store_b32 v5, v25 offset:1040
	s_wait_dscnt 0x1
	ds_store_b64 v5, v[24:25] offset:1296
.LBB116_95:                             ;   in Loop: Header=BB116_3 Depth=1
	s_or_b32 exec_lo, exec_lo, s40
	v_mov_b32_e32 v24, 0
	s_wait_dscnt 0x0
	s_barrier_signal -1
	s_barrier_wait -1
	s_and_saveexec_b32 s40, s2
	s_cbranch_execz .LBB116_99
; %bb.96:                               ;   in Loop: Header=BB116_3 Depth=1
	ds_load_b32 v24, v39 offset:1048
	ds_load_b32 v30, v40 offset:1040
	s_wait_dscnt 0x0
	v_fma_f32 v24, v24, v30, 0
	s_and_saveexec_b32 s41, s12
	s_cbranch_execz .LBB116_98
; %bb.97:                               ;   in Loop: Header=BB116_3 Depth=1
	ds_load_b32 v30, v35 offset:1304
	ds_load_b32 v31, v5 offset:1044
	s_wait_dscnt 0x0
	v_fmac_f32_e32 v24, v30, v31
.LBB116_98:                             ;   in Loop: Header=BB116_3 Depth=1
	s_or_b32 exec_lo, exec_lo, s41
	s_delay_alu instid0(VALU_DEP_1)
	v_xor_b32_e32 v24, 0x80000000, v24
.LBB116_99:                             ;   in Loop: Header=BB116_3 Depth=1
	s_or_b32 exec_lo, exec_lo, s40
	s_and_saveexec_b32 s40, s88
; %bb.100:                              ;   in Loop: Header=BB116_3 Depth=1
	ds_store_b32 v37, v24
; %bb.101:                              ;   in Loop: Header=BB116_3 Depth=1
	s_or_b32 exec_lo, exec_lo, s40
	s_wait_dscnt 0x0
	s_barrier_signal -1
	s_barrier_wait -1
	s_and_saveexec_b32 s40, s89
	s_cbranch_execz .LBB116_103
; %bb.102:                              ;   in Loop: Header=BB116_3 Depth=1
	ds_load_b32 v30, v5 offset:1564
	ds_load_b32 v31, v37
	s_wait_dscnt 0x0
	v_fmac_f32_e32 v24, v30, v31
.LBB116_103:                            ;   in Loop: Header=BB116_3 Depth=1
	s_or_b32 exec_lo, exec_lo, s40
	s_barrier_signal -1
	s_barrier_wait -1
	s_and_saveexec_b32 s40, s89
; %bb.104:                              ;   in Loop: Header=BB116_3 Depth=1
	ds_store_b32 v37, v24
; %bb.105:                              ;   in Loop: Header=BB116_3 Depth=1
	s_or_b32 exec_lo, exec_lo, s40
	s_wait_dscnt 0x0
	s_barrier_signal -1
	s_barrier_wait -1
	s_barrier_signal -1
	s_barrier_wait -1
	s_and_saveexec_b32 s40, s2
; %bb.106:                              ;   in Loop: Header=BB116_3 Depth=1
	v_xor_b32_e32 v24, 0x80000000, v24
	ds_store_b32 v39, v24 offset:1048
; %bb.107:                              ;   in Loop: Header=BB116_3 Depth=1
	s_or_b32 exec_lo, exec_lo, s40
	s_wait_dscnt 0x0
	s_barrier_signal -1
	s_barrier_wait -1
	s_barrier_signal -1
	s_barrier_wait -1
	s_and_saveexec_b32 s40, s90
	s_cbranch_execz .LBB116_109
; %bb.108:                              ;   in Loop: Header=BB116_3 Depth=1
	ds_load_b32 v24, v36 offset:1048
	s_wait_dscnt 0x0
	ds_store_b32 v35, v24 offset:1552
	ds_load_b32 v24, v36 offset:1052
	s_wait_dscnt 0x0
	ds_store_b32 v35, v24 offset:1808
.LBB116_109:                            ;   in Loop: Header=BB116_3 Depth=1
	s_or_b32 exec_lo, exec_lo, s40
	s_wait_dscnt 0x0
	s_barrier_signal -1
	s_barrier_wait -1
	s_and_saveexec_b32 s40, s11
	s_cbranch_execz .LBB116_111
; %bb.110:                              ;   in Loop: Header=BB116_3 Depth=1
	ds_load_b32 v24, v5 offset:1564
	ds_store_b32 v5, v25 offset:1560
	s_wait_dscnt 0x1
	ds_store_b64 v5, v[24:25] offset:1816
.LBB116_111:                            ;   in Loop: Header=BB116_3 Depth=1
	s_or_b32 exec_lo, exec_lo, s40
	v_mov_b32_e32 v24, 0
	s_wait_dscnt 0x0
	s_barrier_signal -1
	s_barrier_wait -1
	s_and_saveexec_b32 s40, s5
	s_cbranch_execz .LBB116_121
; %bb.112:                              ;   in Loop: Header=BB116_3 Depth=1
	ds_load_b32 v24, v55 offset:32
	ds_load_b32 v30, v52
	s_wait_dscnt 0x0
	v_fma_f32 v24, v24, v30, 0
	s_and_saveexec_b32 s41, s15
	s_cbranch_execnz .LBB116_1177
; %bb.113:                              ;   in Loop: Header=BB116_3 Depth=1
	s_or_b32 exec_lo, exec_lo, s41
	s_and_saveexec_b32 s41, s16
	s_cbranch_execnz .LBB116_1178
.LBB116_114:                            ;   in Loop: Header=BB116_3 Depth=1
	s_or_b32 exec_lo, exec_lo, s41
	s_and_saveexec_b32 s41, s17
	s_cbranch_execnz .LBB116_1179
.LBB116_115:                            ;   in Loop: Header=BB116_3 Depth=1
	s_or_b32 exec_lo, exec_lo, s41
	s_and_saveexec_b32 s41, s18
	s_cbranch_execnz .LBB116_1180
.LBB116_116:                            ;   in Loop: Header=BB116_3 Depth=1
	s_or_b32 exec_lo, exec_lo, s41
	s_and_saveexec_b32 s41, s19
	s_cbranch_execnz .LBB116_1181
.LBB116_117:                            ;   in Loop: Header=BB116_3 Depth=1
	s_or_b32 exec_lo, exec_lo, s41
	s_and_saveexec_b32 s41, s4
	s_cbranch_execnz .LBB116_1182
.LBB116_118:                            ;   in Loop: Header=BB116_3 Depth=1
	s_or_b32 exec_lo, exec_lo, s41
	s_and_saveexec_b32 s41, s14
	s_cbranch_execz .LBB116_120
.LBB116_119:                            ;   in Loop: Header=BB116_3 Depth=1
	ds_load_b32 v30, v38 offset:1824
	ds_load_b32 v31, v5 offset:28
	s_wait_dscnt 0x0
	v_fmac_f32_e32 v24, v30, v31
.LBB116_120:                            ;   in Loop: Header=BB116_3 Depth=1
	s_or_b32 exec_lo, exec_lo, s41
	s_delay_alu instid0(VALU_DEP_1)
	v_xor_b32_e32 v24, 0x80000000, v24
.LBB116_121:                            ;   in Loop: Header=BB116_3 Depth=1
	s_or_b32 exec_lo, exec_lo, s40
	s_and_saveexec_b32 s40, s98
; %bb.122:                              ;   in Loop: Header=BB116_3 Depth=1
	ds_store_b32 v54, v24
; %bb.123:                              ;   in Loop: Header=BB116_3 Depth=1
	s_or_b32 exec_lo, exec_lo, s40
	s_wait_dscnt 0x0
	s_barrier_signal -1
	s_barrier_wait -1
	s_and_saveexec_b32 s40, s99
	s_cbranch_execz .LBB116_125
; %bb.124:                              ;   in Loop: Header=BB116_3 Depth=1
	ds_load_b32 v30, v51 offset:2080
	ds_load_b32 v31, v54
	s_wait_dscnt 0x0
	v_fmac_f32_e32 v24, v30, v31
.LBB116_125:                            ;   in Loop: Header=BB116_3 Depth=1
	s_or_b32 exec_lo, exec_lo, s40
	s_barrier_signal -1
	s_barrier_wait -1
	s_and_saveexec_b32 s40, s100
; %bb.126:                              ;   in Loop: Header=BB116_3 Depth=1
	ds_store_b32 v54, v24
; %bb.127:                              ;   in Loop: Header=BB116_3 Depth=1
	s_or_b32 exec_lo, exec_lo, s40
	s_wait_dscnt 0x0
	s_barrier_signal -1
	s_barrier_wait -1
	s_and_saveexec_b32 s40, s101
	s_cbranch_execz .LBB116_129
; %bb.128:                              ;   in Loop: Header=BB116_3 Depth=1
	ds_load_b32 v30, v51 offset:2336
	ds_load_b32 v31, v54
	s_wait_dscnt 0x0
	v_fmac_f32_e32 v24, v30, v31
.LBB116_129:                            ;   in Loop: Header=BB116_3 Depth=1
	s_or_b32 exec_lo, exec_lo, s40
	s_barrier_signal -1
	s_barrier_wait -1
	;; [unrolled: 19-line block ×3, first 2 shown]
	s_and_saveexec_b32 s40, s104
; %bb.134:                              ;   in Loop: Header=BB116_3 Depth=1
	ds_store_b32 v54, v24
; %bb.135:                              ;   in Loop: Header=BB116_3 Depth=1
	s_or_b32 exec_lo, exec_lo, s40
	s_wait_dscnt 0x0
	s_barrier_signal -1
	s_barrier_wait -1
	s_and_saveexec_b32 s40, vcc_hi
	s_cbranch_execz .LBB116_137
; %bb.136:                              ;   in Loop: Header=BB116_3 Depth=1
	ds_load_b32 v30, v51 offset:2848
	ds_load_b32 v31, v54
	s_wait_dscnt 0x0
	v_fmac_f32_e32 v24, v30, v31
.LBB116_137:                            ;   in Loop: Header=BB116_3 Depth=1
	s_or_b32 exec_lo, exec_lo, s40
	s_barrier_signal -1
	s_barrier_wait -1
	s_and_saveexec_b32 s40, s31
; %bb.138:                              ;   in Loop: Header=BB116_3 Depth=1
	ds_store_b32 v54, v24
; %bb.139:                              ;   in Loop: Header=BB116_3 Depth=1
	s_or_b32 exec_lo, exec_lo, s40
	s_wait_dscnt 0x0
	s_barrier_signal -1
	s_barrier_wait -1
	s_and_saveexec_b32 s40, s33
	s_cbranch_execz .LBB116_141
; %bb.140:                              ;   in Loop: Header=BB116_3 Depth=1
	ds_load_b32 v30, v51 offset:3104
	ds_load_b32 v31, v54
	s_wait_dscnt 0x0
	v_fmac_f32_e32 v24, v30, v31
.LBB116_141:                            ;   in Loop: Header=BB116_3 Depth=1
	s_or_b32 exec_lo, exec_lo, s40
	s_barrier_signal -1
	s_barrier_wait -1
	s_and_saveexec_b32 s40, s34
; %bb.142:                              ;   in Loop: Header=BB116_3 Depth=1
	ds_store_b32 v54, v24
; %bb.143:                              ;   in Loop: Header=BB116_3 Depth=1
	s_or_b32 exec_lo, exec_lo, s40
	s_wait_dscnt 0x0
	s_barrier_signal -1
	s_barrier_wait -1
	s_and_saveexec_b32 s40, s35
	;; [unrolled: 19-line block ×3, first 2 shown]
	s_cbranch_execz .LBB116_149
; %bb.148:                              ;   in Loop: Header=BB116_3 Depth=1
	ds_load_b32 v30, v5 offset:3644
	ds_load_b32 v31, v54
	s_wait_dscnt 0x0
	v_fmac_f32_e32 v24, v30, v31
.LBB116_149:                            ;   in Loop: Header=BB116_3 Depth=1
	s_or_b32 exec_lo, exec_lo, s40
	s_barrier_signal -1
	s_barrier_wait -1
	s_and_saveexec_b32 s40, s37
; %bb.150:                              ;   in Loop: Header=BB116_3 Depth=1
	ds_store_b32 v54, v24
; %bb.151:                              ;   in Loop: Header=BB116_3 Depth=1
	s_or_b32 exec_lo, exec_lo, s40
	s_wait_dscnt 0x0
	s_barrier_signal -1
	s_barrier_wait -1
	s_barrier_signal -1
	s_barrier_wait -1
	s_and_saveexec_b32 s40, s5
; %bb.152:                              ;   in Loop: Header=BB116_3 Depth=1
	v_xor_b32_e32 v24, 0x80000000, v24
	ds_store_b32 v55, v24 offset:32
; %bb.153:                              ;   in Loop: Header=BB116_3 Depth=1
	s_or_b32 exec_lo, exec_lo, s40
	s_wait_dscnt 0x0
	s_barrier_signal -1
	s_barrier_wait -1
	s_barrier_signal -1
	s_barrier_wait -1
	s_and_saveexec_b32 s40, s38
	s_cbranch_execz .LBB116_155
; %bb.154:                              ;   in Loop: Header=BB116_3 Depth=1
	ds_load_b32 v24, v42 offset:32
	s_wait_dscnt 0x0
	ds_store_b32 v46, v24 offset:2048
	ds_load_b32 v24, v42 offset:36
	s_wait_dscnt 0x0
	ds_store_b32 v46, v24 offset:2304
	;; [unrolled: 3-line block ×8, first 2 shown]
.LBB116_155:                            ;   in Loop: Header=BB116_3 Depth=1
	s_or_b32 exec_lo, exec_lo, s40
	s_wait_dscnt 0x0
	s_barrier_signal -1
	s_barrier_wait -1
	s_and_saveexec_b32 s40, s11
	s_cbranch_execz .LBB116_157
; %bb.156:                              ;   in Loop: Header=BB116_3 Depth=1
	ds_load_b32 v24, v5 offset:2084
	ds_store_b32 v5, v25 offset:2080
	s_wait_dscnt 0x1
	ds_store_b64 v5, v[24:25] offset:2336
.LBB116_157:                            ;   in Loop: Header=BB116_3 Depth=1
	s_or_b32 exec_lo, exec_lo, s40
	v_mov_b32_e32 v24, 0
	s_wait_dscnt 0x0
	s_barrier_signal -1
	s_barrier_wait -1
	s_and_saveexec_b32 s40, s2
	s_cbranch_execz .LBB116_161
; %bb.158:                              ;   in Loop: Header=BB116_3 Depth=1
	ds_load_b32 v24, v39 offset:2088
	ds_load_b32 v30, v40 offset:2080
	s_wait_dscnt 0x0
	v_fma_f32 v24, v24, v30, 0
	s_and_saveexec_b32 s41, s12
	s_cbranch_execz .LBB116_160
; %bb.159:                              ;   in Loop: Header=BB116_3 Depth=1
	ds_load_b32 v30, v46 offset:2344
	ds_load_b32 v31, v5 offset:2084
	s_wait_dscnt 0x0
	v_fmac_f32_e32 v24, v30, v31
.LBB116_160:                            ;   in Loop: Header=BB116_3 Depth=1
	s_or_b32 exec_lo, exec_lo, s41
	s_delay_alu instid0(VALU_DEP_1)
	v_xor_b32_e32 v24, 0x80000000, v24
.LBB116_161:                            ;   in Loop: Header=BB116_3 Depth=1
	s_or_b32 exec_lo, exec_lo, s40
	s_and_saveexec_b32 s40, s88
; %bb.162:                              ;   in Loop: Header=BB116_3 Depth=1
	ds_store_b32 v37, v24
; %bb.163:                              ;   in Loop: Header=BB116_3 Depth=1
	s_or_b32 exec_lo, exec_lo, s40
	s_wait_dscnt 0x0
	s_barrier_signal -1
	s_barrier_wait -1
	s_and_saveexec_b32 s40, s89
	s_cbranch_execz .LBB116_165
; %bb.164:                              ;   in Loop: Header=BB116_3 Depth=1
	ds_load_b32 v30, v5 offset:2604
	ds_load_b32 v31, v37
	s_wait_dscnt 0x0
	v_fmac_f32_e32 v24, v30, v31
.LBB116_165:                            ;   in Loop: Header=BB116_3 Depth=1
	s_or_b32 exec_lo, exec_lo, s40
	s_barrier_signal -1
	s_barrier_wait -1
	s_and_saveexec_b32 s40, s89
; %bb.166:                              ;   in Loop: Header=BB116_3 Depth=1
	ds_store_b32 v37, v24
; %bb.167:                              ;   in Loop: Header=BB116_3 Depth=1
	s_or_b32 exec_lo, exec_lo, s40
	s_wait_dscnt 0x0
	s_barrier_signal -1
	s_barrier_wait -1
	s_barrier_signal -1
	s_barrier_wait -1
	s_and_saveexec_b32 s40, s2
; %bb.168:                              ;   in Loop: Header=BB116_3 Depth=1
	v_xor_b32_e32 v24, 0x80000000, v24
	ds_store_b32 v39, v24 offset:2088
; %bb.169:                              ;   in Loop: Header=BB116_3 Depth=1
	s_or_b32 exec_lo, exec_lo, s40
	s_wait_dscnt 0x0
	s_barrier_signal -1
	s_barrier_wait -1
	s_barrier_signal -1
	s_barrier_wait -1
	s_and_saveexec_b32 s40, s90
	s_cbranch_execz .LBB116_171
; %bb.170:                              ;   in Loop: Header=BB116_3 Depth=1
	ds_load_b32 v24, v50 offset:2088
	s_wait_dscnt 0x0
	ds_store_b32 v46, v24 offset:2592
	ds_load_b32 v24, v50 offset:2092
	s_wait_dscnt 0x0
	ds_store_b32 v46, v24 offset:2848
.LBB116_171:                            ;   in Loop: Header=BB116_3 Depth=1
	s_or_b32 exec_lo, exec_lo, s40
	s_wait_dscnt 0x0
	s_barrier_signal -1
	s_barrier_wait -1
	s_and_saveexec_b32 s40, s11
	s_cbranch_execz .LBB116_173
; %bb.172:                              ;   in Loop: Header=BB116_3 Depth=1
	ds_load_b32 v24, v5 offset:2604
	ds_store_b32 v5, v25 offset:2600
	s_wait_dscnt 0x1
	ds_store_b64 v5, v[24:25] offset:2856
.LBB116_173:                            ;   in Loop: Header=BB116_3 Depth=1
	s_or_b32 exec_lo, exec_lo, s40
	v_mov_b32_e32 v24, 0
	s_wait_dscnt 0x0
	s_barrier_signal -1
	s_barrier_wait -1
	s_and_saveexec_b32 s40, s4
	s_cbranch_execz .LBB116_179
; %bb.174:                              ;   in Loop: Header=BB116_3 Depth=1
	ds_load_b32 v24, v48 offset:2096
	ds_load_b32 v30, v41 offset:2080
	s_wait_dscnt 0x0
	v_fma_f32 v24, v24, v30, 0
	s_and_saveexec_b32 s41, s13
	s_cbranch_execnz .LBB116_1183
; %bb.175:                              ;   in Loop: Header=BB116_3 Depth=1
	s_or_b32 exec_lo, exec_lo, s41
	s_and_saveexec_b32 s41, s14
	s_cbranch_execnz .LBB116_1184
.LBB116_176:                            ;   in Loop: Header=BB116_3 Depth=1
	s_or_b32 exec_lo, exec_lo, s41
	s_and_saveexec_b32 s41, s2
	s_cbranch_execz .LBB116_178
.LBB116_177:                            ;   in Loop: Header=BB116_3 Depth=1
	ds_load_b32 v30, v53 offset:2864
	ds_load_b32 v31, v5 offset:2092
	s_wait_dscnt 0x0
	v_fmac_f32_e32 v24, v30, v31
.LBB116_178:                            ;   in Loop: Header=BB116_3 Depth=1
	s_or_b32 exec_lo, exec_lo, s41
	s_delay_alu instid0(VALU_DEP_1)
	v_xor_b32_e32 v24, 0x80000000, v24
.LBB116_179:                            ;   in Loop: Header=BB116_3 Depth=1
	s_or_b32 exec_lo, exec_lo, s40
	s_and_saveexec_b32 s40, s91
; %bb.180:                              ;   in Loop: Header=BB116_3 Depth=1
	ds_store_b32 v47, v24
; %bb.181:                              ;   in Loop: Header=BB116_3 Depth=1
	s_or_b32 exec_lo, exec_lo, s40
	s_wait_dscnt 0x0
	s_barrier_signal -1
	s_barrier_wait -1
	s_and_saveexec_b32 s40, s92
	s_cbranch_execz .LBB116_183
; %bb.182:                              ;   in Loop: Header=BB116_3 Depth=1
	ds_load_b32 v30, v45 offset:3120
	ds_load_b32 v31, v47
	s_wait_dscnt 0x0
	v_fmac_f32_e32 v24, v30, v31
.LBB116_183:                            ;   in Loop: Header=BB116_3 Depth=1
	s_or_b32 exec_lo, exec_lo, s40
	s_barrier_signal -1
	s_barrier_wait -1
	s_and_saveexec_b32 s40, s93
; %bb.184:                              ;   in Loop: Header=BB116_3 Depth=1
	ds_store_b32 v47, v24
; %bb.185:                              ;   in Loop: Header=BB116_3 Depth=1
	s_or_b32 exec_lo, exec_lo, s40
	s_wait_dscnt 0x0
	s_barrier_signal -1
	s_barrier_wait -1
	s_and_saveexec_b32 s40, s94
	s_cbranch_execz .LBB116_187
; %bb.186:                              ;   in Loop: Header=BB116_3 Depth=1
	ds_load_b32 v30, v45 offset:3376
	ds_load_b32 v31, v47
	s_wait_dscnt 0x0
	v_fmac_f32_e32 v24, v30, v31
.LBB116_187:                            ;   in Loop: Header=BB116_3 Depth=1
	s_or_b32 exec_lo, exec_lo, s40
	s_barrier_signal -1
	s_barrier_wait -1
	;; [unrolled: 19-line block ×3, first 2 shown]
	s_and_saveexec_b32 s40, s96
; %bb.192:                              ;   in Loop: Header=BB116_3 Depth=1
	ds_store_b32 v47, v24
; %bb.193:                              ;   in Loop: Header=BB116_3 Depth=1
	s_or_b32 exec_lo, exec_lo, s40
	s_wait_dscnt 0x0
	s_barrier_signal -1
	s_barrier_wait -1
	s_barrier_signal -1
	s_barrier_wait -1
	s_and_saveexec_b32 s40, s4
; %bb.194:                              ;   in Loop: Header=BB116_3 Depth=1
	v_xor_b32_e32 v24, 0x80000000, v24
	ds_store_b32 v48, v24 offset:2096
; %bb.195:                              ;   in Loop: Header=BB116_3 Depth=1
	s_or_b32 exec_lo, exec_lo, s40
	s_wait_dscnt 0x0
	s_barrier_signal -1
	s_barrier_wait -1
	s_barrier_signal -1
	s_barrier_wait -1
	s_and_saveexec_b32 s40, s97
	s_cbranch_execz .LBB116_197
; %bb.196:                              ;   in Loop: Header=BB116_3 Depth=1
	ds_load_b32 v24, v56 offset:2096
	s_wait_dscnt 0x0
	ds_store_b32 v59, v24 offset:3104
	ds_load_b32 v24, v56 offset:2100
	s_wait_dscnt 0x0
	ds_store_b32 v59, v24 offset:3360
	;; [unrolled: 3-line block ×4, first 2 shown]
.LBB116_197:                            ;   in Loop: Header=BB116_3 Depth=1
	s_or_b32 exec_lo, exec_lo, s40
	s_wait_dscnt 0x0
	s_barrier_signal -1
	s_barrier_wait -1
	s_and_saveexec_b32 s40, s11
	s_cbranch_execz .LBB116_199
; %bb.198:                              ;   in Loop: Header=BB116_3 Depth=1
	ds_load_b32 v24, v5 offset:3124
	ds_store_b32 v5, v25 offset:3120
	s_wait_dscnt 0x1
	ds_store_b64 v5, v[24:25] offset:3376
.LBB116_199:                            ;   in Loop: Header=BB116_3 Depth=1
	s_or_b32 exec_lo, exec_lo, s40
	v_mov_b32_e32 v24, 0
	s_wait_dscnt 0x0
	s_barrier_signal -1
	s_barrier_wait -1
	s_and_saveexec_b32 s40, s2
	s_cbranch_execz .LBB116_203
; %bb.200:                              ;   in Loop: Header=BB116_3 Depth=1
	ds_load_b32 v24, v39 offset:3128
	ds_load_b32 v30, v40 offset:3120
	s_wait_dscnt 0x0
	v_fma_f32 v24, v24, v30, 0
	s_and_saveexec_b32 s41, s12
	s_cbranch_execz .LBB116_202
; %bb.201:                              ;   in Loop: Header=BB116_3 Depth=1
	ds_load_b32 v30, v59 offset:3384
	ds_load_b32 v31, v5 offset:3124
	s_wait_dscnt 0x0
	v_fmac_f32_e32 v24, v30, v31
.LBB116_202:                            ;   in Loop: Header=BB116_3 Depth=1
	s_or_b32 exec_lo, exec_lo, s41
	s_delay_alu instid0(VALU_DEP_1)
	v_xor_b32_e32 v24, 0x80000000, v24
.LBB116_203:                            ;   in Loop: Header=BB116_3 Depth=1
	s_or_b32 exec_lo, exec_lo, s40
	s_and_saveexec_b32 s40, s88
; %bb.204:                              ;   in Loop: Header=BB116_3 Depth=1
	ds_store_b32 v37, v24
; %bb.205:                              ;   in Loop: Header=BB116_3 Depth=1
	s_or_b32 exec_lo, exec_lo, s40
	s_wait_dscnt 0x0
	s_barrier_signal -1
	s_barrier_wait -1
	s_and_saveexec_b32 s40, s89
	s_cbranch_execz .LBB116_207
; %bb.206:                              ;   in Loop: Header=BB116_3 Depth=1
	ds_load_b32 v30, v5 offset:3644
	ds_load_b32 v31, v37
	s_wait_dscnt 0x0
	v_fmac_f32_e32 v24, v30, v31
.LBB116_207:                            ;   in Loop: Header=BB116_3 Depth=1
	s_or_b32 exec_lo, exec_lo, s40
	s_barrier_signal -1
	s_barrier_wait -1
	s_and_saveexec_b32 s40, s89
; %bb.208:                              ;   in Loop: Header=BB116_3 Depth=1
	ds_store_b32 v37, v24
; %bb.209:                              ;   in Loop: Header=BB116_3 Depth=1
	s_or_b32 exec_lo, exec_lo, s40
	s_wait_dscnt 0x0
	s_barrier_signal -1
	s_barrier_wait -1
	s_barrier_signal -1
	s_barrier_wait -1
	s_and_saveexec_b32 s40, s2
; %bb.210:                              ;   in Loop: Header=BB116_3 Depth=1
	v_xor_b32_e32 v24, 0x80000000, v24
	ds_store_b32 v39, v24 offset:3128
; %bb.211:                              ;   in Loop: Header=BB116_3 Depth=1
	s_or_b32 exec_lo, exec_lo, s40
	s_wait_dscnt 0x0
	s_barrier_signal -1
	s_barrier_wait -1
	s_barrier_signal -1
	s_barrier_wait -1
	s_and_saveexec_b32 s40, s90
	s_cbranch_execz .LBB116_213
; %bb.212:                              ;   in Loop: Header=BB116_3 Depth=1
	v_add_nc_u32_e32 v24, v59, v44
	ds_load_b32 v30, v24 offset:3128
	s_wait_dscnt 0x0
	ds_store_b32 v59, v30 offset:3632
	ds_load_b32 v24, v24 offset:3132
	s_wait_dscnt 0x0
	ds_store_b32 v59, v24 offset:3888
.LBB116_213:                            ;   in Loop: Header=BB116_3 Depth=1
	s_or_b32 exec_lo, exec_lo, s40
	s_wait_dscnt 0x0
	s_barrier_signal -1
	s_barrier_wait -1
	s_and_saveexec_b32 s40, s11
	s_cbranch_execz .LBB116_215
; %bb.214:                              ;   in Loop: Header=BB116_3 Depth=1
	ds_load_b32 v24, v5 offset:3644
	ds_store_b32 v5, v25 offset:3640
	s_wait_dscnt 0x1
	ds_store_b64 v5, v[24:25] offset:3896
.LBB116_215:                            ;   in Loop: Header=BB116_3 Depth=1
	s_or_b32 exec_lo, exec_lo, s40
	v_mov_b32_e32 v24, 0
	s_wait_dscnt 0x0
	s_barrier_signal -1
	s_barrier_wait -1
	s_and_saveexec_b32 s40, s6
	s_cbranch_execz .LBB116_243
; %bb.216:                              ;   in Loop: Header=BB116_3 Depth=1
	ds_load_b32 v24, v65 offset:64
	ds_load_b32 v30, v57
	s_wait_dscnt 0x0
	v_fma_f32 v24, v24, v30, 0
	s_mov_b32 s41, exec_lo
	v_readlane_b32 s42, v93, 17
	s_and_b32 s42, s41, s42
	s_delay_alu instid0(SALU_CYCLE_1)
	s_mov_b32 exec_lo, s42
	s_cbranch_execz .LBB116_218
; %bb.217:                              ;   in Loop: Header=BB116_3 Depth=1
	ds_load_b32 v30, v66 offset:320
	ds_load_b32 v31, v57 offset:4
	s_wait_dscnt 0x0
	v_fmac_f32_e32 v24, v30, v31
.LBB116_218:                            ;   in Loop: Header=BB116_3 Depth=1
	s_or_b32 exec_lo, exec_lo, s41
	s_delay_alu instid0(SALU_CYCLE_1) | instskip(SKIP_2) | instid1(SALU_CYCLE_1)
	s_mov_b32 s41, exec_lo
	v_readlane_b32 s42, v93, 18
	s_and_b32 s42, s41, s42
	s_mov_b32 exec_lo, s42
	s_cbranch_execz .LBB116_220
; %bb.219:                              ;   in Loop: Header=BB116_3 Depth=1
	ds_load_b32 v30, v66 offset:576
	ds_load_b32 v31, v57 offset:8
	s_wait_dscnt 0x0
	v_fmac_f32_e32 v24, v30, v31
.LBB116_220:                            ;   in Loop: Header=BB116_3 Depth=1
	s_or_b32 exec_lo, exec_lo, s41
	s_delay_alu instid0(SALU_CYCLE_1) | instskip(SKIP_2) | instid1(SALU_CYCLE_1)
	s_mov_b32 s41, exec_lo
	v_readlane_b32 s42, v93, 19
	s_and_b32 s42, s41, s42
	s_mov_b32 exec_lo, s42
	s_cbranch_execz .LBB116_222
; %bb.221:                              ;   in Loop: Header=BB116_3 Depth=1
	ds_load_b32 v30, v66 offset:832
	ds_load_b32 v31, v57 offset:12
	s_wait_dscnt 0x0
	v_fmac_f32_e32 v24, v30, v31
.LBB116_222:                            ;   in Loop: Header=BB116_3 Depth=1
	s_or_b32 exec_lo, exec_lo, s41
	s_delay_alu instid0(SALU_CYCLE_1) | instskip(SKIP_2) | instid1(SALU_CYCLE_1)
	s_mov_b32 s41, exec_lo
	v_readlane_b32 s42, v93, 20
	s_and_b32 s42, s41, s42
	s_mov_b32 exec_lo, s42
	s_cbranch_execz .LBB116_224
; %bb.223:                              ;   in Loop: Header=BB116_3 Depth=1
	ds_load_b32 v30, v66 offset:1088
	ds_load_b32 v31, v57 offset:16
	s_wait_dscnt 0x0
	v_fmac_f32_e32 v24, v30, v31
.LBB116_224:                            ;   in Loop: Header=BB116_3 Depth=1
	s_or_b32 exec_lo, exec_lo, s41
	s_delay_alu instid0(SALU_CYCLE_1) | instskip(SKIP_2) | instid1(SALU_CYCLE_1)
	s_mov_b32 s41, exec_lo
	v_readlane_b32 s42, v93, 21
	s_and_b32 s42, s41, s42
	s_mov_b32 exec_lo, s42
	s_cbranch_execz .LBB116_226
; %bb.225:                              ;   in Loop: Header=BB116_3 Depth=1
	ds_load_b32 v30, v66 offset:1344
	ds_load_b32 v31, v57 offset:20
	s_wait_dscnt 0x0
	v_fmac_f32_e32 v24, v30, v31
.LBB116_226:                            ;   in Loop: Header=BB116_3 Depth=1
	s_or_b32 exec_lo, exec_lo, s41
	s_delay_alu instid0(SALU_CYCLE_1) | instskip(SKIP_2) | instid1(SALU_CYCLE_1)
	s_mov_b32 s41, exec_lo
	v_readlane_b32 s42, v93, 22
	s_and_b32 s42, s41, s42
	s_mov_b32 exec_lo, s42
	s_cbranch_execz .LBB116_228
; %bb.227:                              ;   in Loop: Header=BB116_3 Depth=1
	ds_load_b32 v30, v66 offset:1600
	ds_load_b32 v31, v57 offset:24
	s_wait_dscnt 0x0
	v_fmac_f32_e32 v24, v30, v31
.LBB116_228:                            ;   in Loop: Header=BB116_3 Depth=1
	s_or_b32 exec_lo, exec_lo, s41
	s_delay_alu instid0(SALU_CYCLE_1) | instskip(SKIP_2) | instid1(SALU_CYCLE_1)
	s_mov_b32 s41, exec_lo
	v_readlane_b32 s42, v93, 23
	s_and_b32 s42, s41, s42
	s_mov_b32 exec_lo, s42
	s_cbranch_execz .LBB116_230
; %bb.229:                              ;   in Loop: Header=BB116_3 Depth=1
	ds_load_b32 v30, v66 offset:1856
	ds_load_b32 v31, v57 offset:28
	s_wait_dscnt 0x0
	v_fmac_f32_e32 v24, v30, v31
.LBB116_230:                            ;   in Loop: Header=BB116_3 Depth=1
	s_or_b32 exec_lo, exec_lo, s41
	s_delay_alu instid0(SALU_CYCLE_1) | instskip(SKIP_2) | instid1(SALU_CYCLE_1)
	s_mov_b32 s41, exec_lo
	v_readlane_b32 s42, v93, 24
	s_and_b32 s42, s41, s42
	s_mov_b32 exec_lo, s42
	s_cbranch_execz .LBB116_232
; %bb.231:                              ;   in Loop: Header=BB116_3 Depth=1
	ds_load_b32 v30, v65 offset:2112
	ds_load_b32 v31, v57 offset:32
	s_wait_dscnt 0x0
	v_fmac_f32_e32 v24, v30, v31
.LBB116_232:                            ;   in Loop: Header=BB116_3 Depth=1
	s_or_b32 exec_lo, exec_lo, s41
	s_delay_alu instid0(SALU_CYCLE_1) | instskip(SKIP_2) | instid1(SALU_CYCLE_1)
	s_mov_b32 s41, exec_lo
	v_readlane_b32 s42, v93, 25
	s_and_b32 s42, s41, s42
	s_mov_b32 exec_lo, s42
	s_cbranch_execz .LBB116_234
; %bb.233:                              ;   in Loop: Header=BB116_3 Depth=1
	ds_load_b32 v30, v66 offset:2368
	ds_load_b32 v31, v57 offset:36
	s_wait_dscnt 0x0
	v_fmac_f32_e32 v24, v30, v31
.LBB116_234:                            ;   in Loop: Header=BB116_3 Depth=1
	s_or_b32 exec_lo, exec_lo, s41
	s_delay_alu instid0(SALU_CYCLE_1) | instskip(SKIP_2) | instid1(SALU_CYCLE_1)
	s_mov_b32 s41, exec_lo
	v_readlane_b32 s42, v93, 26
	s_and_b32 s42, s41, s42
	s_mov_b32 exec_lo, s42
	s_cbranch_execz .LBB116_236
; %bb.235:                              ;   in Loop: Header=BB116_3 Depth=1
	ds_load_b32 v30, v66 offset:2624
	ds_load_b32 v31, v57 offset:40
	s_wait_dscnt 0x0
	v_fmac_f32_e32 v24, v30, v31
.LBB116_236:                            ;   in Loop: Header=BB116_3 Depth=1
	s_or_b32 exec_lo, exec_lo, s41
	s_delay_alu instid0(SALU_CYCLE_1) | instskip(SKIP_2) | instid1(SALU_CYCLE_1)
	s_mov_b32 s41, exec_lo
	v_readlane_b32 s42, v93, 27
	s_and_b32 s42, s41, s42
	s_mov_b32 exec_lo, s42
	s_cbranch_execnz .LBB116_1185
; %bb.237:                              ;   in Loop: Header=BB116_3 Depth=1
	s_or_b32 exec_lo, exec_lo, s41
	s_and_saveexec_b32 s41, s5
	s_cbranch_execnz .LBB116_1186
.LBB116_238:                            ;   in Loop: Header=BB116_3 Depth=1
	s_or_b32 exec_lo, exec_lo, s41
	s_and_saveexec_b32 s41, s16
	s_cbranch_execnz .LBB116_1187
.LBB116_239:                            ;   in Loop: Header=BB116_3 Depth=1
	s_or_b32 exec_lo, exec_lo, s41
	s_and_saveexec_b32 s41, s18
	s_cbranch_execnz .LBB116_1188
.LBB116_240:                            ;   in Loop: Header=BB116_3 Depth=1
	s_or_b32 exec_lo, exec_lo, s41
	s_and_saveexec_b32 s41, s4
	s_cbranch_execz .LBB116_242
.LBB116_241:                            ;   in Loop: Header=BB116_3 Depth=1
	ds_load_b32 v30, v3 offset:3904
	ds_load_b32 v31, v5 offset:60
	s_wait_dscnt 0x0
	v_fmac_f32_e32 v24, v30, v31
.LBB116_242:                            ;   in Loop: Header=BB116_3 Depth=1
	s_or_b32 exec_lo, exec_lo, s41
	s_delay_alu instid0(VALU_DEP_1)
	v_xor_b32_e32 v24, 0x80000000, v24
.LBB116_243:                            ;   in Loop: Header=BB116_3 Depth=1
	s_or_b32 exec_lo, exec_lo, s40
	s_delay_alu instid0(SALU_CYCLE_1) | instskip(SKIP_2) | instid1(SALU_CYCLE_1)
	s_mov_b32 s40, exec_lo
	v_readlane_b32 s41, v95, 3
	s_and_b32 s41, s40, s41
	s_mov_b32 exec_lo, s41
; %bb.244:                              ;   in Loop: Header=BB116_3 Depth=1
	ds_store_b32 v64, v24
; %bb.245:                              ;   in Loop: Header=BB116_3 Depth=1
	s_or_b32 exec_lo, exec_lo, s40
	s_wait_dscnt 0x0
	s_barrier_signal -1
	s_barrier_wait -1
	s_mov_b32 s40, exec_lo
	v_readlane_b32 s41, v95, 4
	s_and_b32 s41, s40, s41
	s_delay_alu instid0(SALU_CYCLE_1)
	s_mov_b32 exec_lo, s41
	s_cbranch_execz .LBB116_247
; %bb.246:                              ;   in Loop: Header=BB116_3 Depth=1
	ds_load_b32 v30, v60 offset:4160
	ds_load_b32 v31, v64
	s_wait_dscnt 0x0
	v_fmac_f32_e32 v24, v30, v31
.LBB116_247:                            ;   in Loop: Header=BB116_3 Depth=1
	s_or_b32 exec_lo, exec_lo, s40
	s_barrier_signal -1
	s_barrier_wait -1
	s_mov_b32 s40, exec_lo
	v_readlane_b32 s41, v95, 5
	s_and_b32 s41, s40, s41
	s_delay_alu instid0(SALU_CYCLE_1)
	s_mov_b32 exec_lo, s41
; %bb.248:                              ;   in Loop: Header=BB116_3 Depth=1
	ds_store_b32 v64, v24
; %bb.249:                              ;   in Loop: Header=BB116_3 Depth=1
	s_or_b32 exec_lo, exec_lo, s40
	s_wait_dscnt 0x0
	s_barrier_signal -1
	s_barrier_wait -1
	s_mov_b32 s40, exec_lo
	v_readlane_b32 s41, v95, 6
	s_and_b32 s41, s40, s41
	s_delay_alu instid0(SALU_CYCLE_1)
	s_mov_b32 exec_lo, s41
	s_cbranch_execz .LBB116_251
; %bb.250:                              ;   in Loop: Header=BB116_3 Depth=1
	ds_load_b32 v30, v60 offset:4416
	ds_load_b32 v31, v64
	s_wait_dscnt 0x0
	v_fmac_f32_e32 v24, v30, v31
.LBB116_251:                            ;   in Loop: Header=BB116_3 Depth=1
	s_or_b32 exec_lo, exec_lo, s40
	s_barrier_signal -1
	s_barrier_wait -1
	s_mov_b32 s40, exec_lo
	v_readlane_b32 s41, v95, 7
	s_and_b32 s41, s40, s41
	s_delay_alu instid0(SALU_CYCLE_1)
	s_mov_b32 exec_lo, s41
; %bb.252:                              ;   in Loop: Header=BB116_3 Depth=1
	ds_store_b32 v64, v24
; %bb.253:                              ;   in Loop: Header=BB116_3 Depth=1
	s_or_b32 exec_lo, exec_lo, s40
	s_wait_dscnt 0x0
	s_barrier_signal -1
	s_barrier_wait -1
	s_mov_b32 s40, exec_lo
	v_readlane_b32 s41, v95, 8
	s_and_b32 s41, s40, s41
	s_delay_alu instid0(SALU_CYCLE_1)
	s_mov_b32 exec_lo, s41
	s_cbranch_execz .LBB116_255
; %bb.254:                              ;   in Loop: Header=BB116_3 Depth=1
	ds_load_b32 v30, v60 offset:4672
	ds_load_b32 v31, v64
	s_wait_dscnt 0x0
	v_fmac_f32_e32 v24, v30, v31
.LBB116_255:                            ;   in Loop: Header=BB116_3 Depth=1
	s_or_b32 exec_lo, exec_lo, s40
	s_barrier_signal -1
	s_barrier_wait -1
	s_and_saveexec_b32 s40, s45
; %bb.256:                              ;   in Loop: Header=BB116_3 Depth=1
	ds_store_b32 v64, v24
; %bb.257:                              ;   in Loop: Header=BB116_3 Depth=1
	s_or_b32 exec_lo, exec_lo, s40
	s_wait_dscnt 0x0
	s_barrier_signal -1
	s_barrier_wait -1
	s_and_saveexec_b32 s40, s46
	s_cbranch_execz .LBB116_259
; %bb.258:                              ;   in Loop: Header=BB116_3 Depth=1
	ds_load_b32 v30, v60 offset:4928
	ds_load_b32 v31, v64
	s_wait_dscnt 0x0
	v_fmac_f32_e32 v24, v30, v31
.LBB116_259:                            ;   in Loop: Header=BB116_3 Depth=1
	s_or_b32 exec_lo, exec_lo, s40
	s_barrier_signal -1
	s_barrier_wait -1
	s_and_saveexec_b32 s40, s47
; %bb.260:                              ;   in Loop: Header=BB116_3 Depth=1
	ds_store_b32 v64, v24
; %bb.261:                              ;   in Loop: Header=BB116_3 Depth=1
	s_or_b32 exec_lo, exec_lo, s40
	s_wait_dscnt 0x0
	s_barrier_signal -1
	s_barrier_wait -1
	s_and_saveexec_b32 s40, s48
	;; [unrolled: 19-line block ×12, first 2 shown]
	s_cbranch_execz .LBB116_303
; %bb.302:                              ;   in Loop: Header=BB116_3 Depth=1
	ds_load_b32 v30, v5 offset:7804
	ds_load_b32 v31, v64
	s_wait_dscnt 0x0
	v_fmac_f32_e32 v24, v30, v31
.LBB116_303:                            ;   in Loop: Header=BB116_3 Depth=1
	s_or_b32 exec_lo, exec_lo, s40
	s_barrier_signal -1
	s_barrier_wait -1
	s_and_saveexec_b32 s40, s25
; %bb.304:                              ;   in Loop: Header=BB116_3 Depth=1
	ds_store_b32 v64, v24
; %bb.305:                              ;   in Loop: Header=BB116_3 Depth=1
	s_or_b32 exec_lo, exec_lo, s40
	s_wait_dscnt 0x0
	s_barrier_signal -1
	s_barrier_wait -1
	s_barrier_signal -1
	s_barrier_wait -1
	s_and_saveexec_b32 s40, s6
; %bb.306:                              ;   in Loop: Header=BB116_3 Depth=1
	v_xor_b32_e32 v24, 0x80000000, v24
	ds_store_b32 v65, v24 offset:64
; %bb.307:                              ;   in Loop: Header=BB116_3 Depth=1
	s_or_b32 exec_lo, exec_lo, s40
	s_wait_dscnt 0x0
	s_barrier_signal -1
	s_barrier_wait -1
	s_barrier_signal -1
	s_barrier_wait -1
	s_and_saveexec_b32 s40, s27
	s_cbranch_execz .LBB116_309
; %bb.308:                              ;   in Loop: Header=BB116_3 Depth=1
	ds_load_b32 v24, v7 offset:64
	s_wait_dscnt 0x0
	ds_store_b32 v9, v24 offset:4096
	ds_load_b32 v24, v7 offset:68
	s_wait_dscnt 0x0
	ds_store_b32 v9, v24 offset:4352
	;; [unrolled: 3-line block ×16, first 2 shown]
.LBB116_309:                            ;   in Loop: Header=BB116_3 Depth=1
	s_or_b32 exec_lo, exec_lo, s40
	s_wait_dscnt 0x0
	s_barrier_signal -1
	s_barrier_wait -1
	s_and_saveexec_b32 s40, s11
	s_cbranch_execz .LBB116_311
; %bb.310:                              ;   in Loop: Header=BB116_3 Depth=1
	ds_load_b32 v24, v5 offset:4164
	ds_store_b32 v5, v25 offset:4160
	s_wait_dscnt 0x1
	ds_store_b64 v5, v[24:25] offset:4416
.LBB116_311:                            ;   in Loop: Header=BB116_3 Depth=1
	s_or_b32 exec_lo, exec_lo, s40
	v_mov_b32_e32 v24, 0
	s_wait_dscnt 0x0
	s_barrier_signal -1
	s_barrier_wait -1
	s_and_saveexec_b32 s40, s2
	s_cbranch_execz .LBB116_315
; %bb.312:                              ;   in Loop: Header=BB116_3 Depth=1
	ds_load_b32 v24, v39 offset:4168
	ds_load_b32 v30, v40 offset:4160
	s_wait_dscnt 0x0
	v_fma_f32 v24, v24, v30, 0
	s_and_saveexec_b32 s41, s12
	s_cbranch_execz .LBB116_314
; %bb.313:                              ;   in Loop: Header=BB116_3 Depth=1
	ds_load_b32 v30, v3 offset:4424
	ds_load_b32 v31, v5 offset:4164
	s_wait_dscnt 0x0
	v_fmac_f32_e32 v24, v30, v31
.LBB116_314:                            ;   in Loop: Header=BB116_3 Depth=1
	s_or_b32 exec_lo, exec_lo, s41
	s_delay_alu instid0(VALU_DEP_1)
	v_xor_b32_e32 v24, 0x80000000, v24
.LBB116_315:                            ;   in Loop: Header=BB116_3 Depth=1
	s_or_b32 exec_lo, exec_lo, s40
	s_and_saveexec_b32 s40, s88
; %bb.316:                              ;   in Loop: Header=BB116_3 Depth=1
	ds_store_b32 v37, v24
; %bb.317:                              ;   in Loop: Header=BB116_3 Depth=1
	s_or_b32 exec_lo, exec_lo, s40
	s_wait_dscnt 0x0
	s_barrier_signal -1
	s_barrier_wait -1
	s_and_saveexec_b32 s40, s89
	s_cbranch_execz .LBB116_319
; %bb.318:                              ;   in Loop: Header=BB116_3 Depth=1
	ds_load_b32 v30, v5 offset:4684
	ds_load_b32 v31, v37
	s_wait_dscnt 0x0
	v_fmac_f32_e32 v24, v30, v31
.LBB116_319:                            ;   in Loop: Header=BB116_3 Depth=1
	s_or_b32 exec_lo, exec_lo, s40
	s_barrier_signal -1
	s_barrier_wait -1
	s_and_saveexec_b32 s40, s89
; %bb.320:                              ;   in Loop: Header=BB116_3 Depth=1
	ds_store_b32 v37, v24
; %bb.321:                              ;   in Loop: Header=BB116_3 Depth=1
	s_or_b32 exec_lo, exec_lo, s40
	s_wait_dscnt 0x0
	s_barrier_signal -1
	s_barrier_wait -1
	s_barrier_signal -1
	s_barrier_wait -1
	s_and_saveexec_b32 s40, s2
; %bb.322:                              ;   in Loop: Header=BB116_3 Depth=1
	v_xor_b32_e32 v24, 0x80000000, v24
	ds_store_b32 v39, v24 offset:4168
; %bb.323:                              ;   in Loop: Header=BB116_3 Depth=1
	s_or_b32 exec_lo, exec_lo, s40
	s_wait_dscnt 0x0
	s_barrier_signal -1
	s_barrier_wait -1
	s_barrier_signal -1
	s_barrier_wait -1
	s_and_saveexec_b32 s40, s90
	s_cbranch_execz .LBB116_325
; %bb.324:                              ;   in Loop: Header=BB116_3 Depth=1
	ds_load_b32 v24, v7 offset:4168
	s_wait_dscnt 0x0
	ds_store_b32 v3, v24 offset:4672
	ds_load_b32 v24, v7 offset:4172
	s_wait_dscnt 0x0
	ds_store_b32 v3, v24 offset:4928
.LBB116_325:                            ;   in Loop: Header=BB116_3 Depth=1
	s_or_b32 exec_lo, exec_lo, s40
	s_wait_dscnt 0x0
	s_barrier_signal -1
	s_barrier_wait -1
	s_and_saveexec_b32 s40, s11
	s_cbranch_execz .LBB116_327
; %bb.326:                              ;   in Loop: Header=BB116_3 Depth=1
	ds_load_b32 v24, v5 offset:4684
	ds_store_b32 v5, v25 offset:4680
	s_wait_dscnt 0x1
	ds_store_b64 v5, v[24:25] offset:4936
.LBB116_327:                            ;   in Loop: Header=BB116_3 Depth=1
	s_or_b32 exec_lo, exec_lo, s40
	v_mov_b32_e32 v24, 0
	s_wait_dscnt 0x0
	s_barrier_signal -1
	s_barrier_wait -1
	s_and_saveexec_b32 s40, s4
	s_cbranch_execz .LBB116_333
; %bb.328:                              ;   in Loop: Header=BB116_3 Depth=1
	ds_load_b32 v24, v48 offset:4176
	ds_load_b32 v30, v41 offset:4160
	s_wait_dscnt 0x0
	v_fma_f32 v24, v24, v30, 0
	s_and_saveexec_b32 s41, s13
	s_cbranch_execnz .LBB116_1189
; %bb.329:                              ;   in Loop: Header=BB116_3 Depth=1
	s_or_b32 exec_lo, exec_lo, s41
	s_and_saveexec_b32 s41, s14
	s_cbranch_execnz .LBB116_1190
.LBB116_330:                            ;   in Loop: Header=BB116_3 Depth=1
	s_or_b32 exec_lo, exec_lo, s41
	s_and_saveexec_b32 s41, s2
	s_cbranch_execz .LBB116_332
.LBB116_331:                            ;   in Loop: Header=BB116_3 Depth=1
	ds_load_b32 v30, v9 offset:4944
	ds_load_b32 v31, v5 offset:4172
	s_wait_dscnt 0x0
	v_fmac_f32_e32 v24, v30, v31
.LBB116_332:                            ;   in Loop: Header=BB116_3 Depth=1
	s_or_b32 exec_lo, exec_lo, s41
	s_delay_alu instid0(VALU_DEP_1)
	v_xor_b32_e32 v24, 0x80000000, v24
.LBB116_333:                            ;   in Loop: Header=BB116_3 Depth=1
	s_or_b32 exec_lo, exec_lo, s40
	s_and_saveexec_b32 s40, s91
; %bb.334:                              ;   in Loop: Header=BB116_3 Depth=1
	ds_store_b32 v47, v24
; %bb.335:                              ;   in Loop: Header=BB116_3 Depth=1
	s_or_b32 exec_lo, exec_lo, s40
	s_wait_dscnt 0x0
	s_barrier_signal -1
	s_barrier_wait -1
	s_and_saveexec_b32 s40, s92
	s_cbranch_execz .LBB116_337
; %bb.336:                              ;   in Loop: Header=BB116_3 Depth=1
	ds_load_b32 v30, v45 offset:5200
	ds_load_b32 v31, v47
	s_wait_dscnt 0x0
	v_fmac_f32_e32 v24, v30, v31
.LBB116_337:                            ;   in Loop: Header=BB116_3 Depth=1
	s_or_b32 exec_lo, exec_lo, s40
	s_barrier_signal -1
	s_barrier_wait -1
	s_and_saveexec_b32 s40, s93
; %bb.338:                              ;   in Loop: Header=BB116_3 Depth=1
	ds_store_b32 v47, v24
; %bb.339:                              ;   in Loop: Header=BB116_3 Depth=1
	s_or_b32 exec_lo, exec_lo, s40
	s_wait_dscnt 0x0
	s_barrier_signal -1
	s_barrier_wait -1
	s_and_saveexec_b32 s40, s94
	s_cbranch_execz .LBB116_341
; %bb.340:                              ;   in Loop: Header=BB116_3 Depth=1
	ds_load_b32 v30, v45 offset:5456
	ds_load_b32 v31, v47
	s_wait_dscnt 0x0
	v_fmac_f32_e32 v24, v30, v31
.LBB116_341:                            ;   in Loop: Header=BB116_3 Depth=1
	s_or_b32 exec_lo, exec_lo, s40
	s_barrier_signal -1
	s_barrier_wait -1
	;; [unrolled: 19-line block ×3, first 2 shown]
	s_and_saveexec_b32 s40, s96
; %bb.346:                              ;   in Loop: Header=BB116_3 Depth=1
	ds_store_b32 v47, v24
; %bb.347:                              ;   in Loop: Header=BB116_3 Depth=1
	s_or_b32 exec_lo, exec_lo, s40
	s_wait_dscnt 0x0
	s_barrier_signal -1
	s_barrier_wait -1
	s_barrier_signal -1
	s_barrier_wait -1
	s_and_saveexec_b32 s40, s4
; %bb.348:                              ;   in Loop: Header=BB116_3 Depth=1
	v_xor_b32_e32 v24, 0x80000000, v24
	ds_store_b32 v48, v24 offset:4176
; %bb.349:                              ;   in Loop: Header=BB116_3 Depth=1
	s_or_b32 exec_lo, exec_lo, s40
	s_wait_dscnt 0x0
	s_barrier_signal -1
	s_barrier_wait -1
	s_barrier_signal -1
	s_barrier_wait -1
	s_and_saveexec_b32 s40, s97
	s_cbranch_execz .LBB116_351
; %bb.350:                              ;   in Loop: Header=BB116_3 Depth=1
	ds_load_b32 v24, v34 offset:4176
	s_wait_dscnt 0x0
	ds_store_b32 v35, v24 offset:5184
	ds_load_b32 v24, v34 offset:4180
	s_wait_dscnt 0x0
	ds_store_b32 v35, v24 offset:5440
	;; [unrolled: 3-line block ×4, first 2 shown]
.LBB116_351:                            ;   in Loop: Header=BB116_3 Depth=1
	s_or_b32 exec_lo, exec_lo, s40
	s_wait_dscnt 0x0
	s_barrier_signal -1
	s_barrier_wait -1
	s_and_saveexec_b32 s40, s11
	s_cbranch_execz .LBB116_353
; %bb.352:                              ;   in Loop: Header=BB116_3 Depth=1
	ds_load_b32 v24, v5 offset:5204
	ds_store_b32 v5, v25 offset:5200
	s_wait_dscnt 0x1
	ds_store_b64 v5, v[24:25] offset:5456
.LBB116_353:                            ;   in Loop: Header=BB116_3 Depth=1
	s_or_b32 exec_lo, exec_lo, s40
	v_mov_b32_e32 v24, 0
	s_wait_dscnt 0x0
	s_barrier_signal -1
	s_barrier_wait -1
	s_and_saveexec_b32 s40, s2
	s_cbranch_execz .LBB116_357
; %bb.354:                              ;   in Loop: Header=BB116_3 Depth=1
	ds_load_b32 v24, v39 offset:5208
	ds_load_b32 v30, v40 offset:5200
	s_wait_dscnt 0x0
	v_fma_f32 v24, v24, v30, 0
	s_and_saveexec_b32 s41, s12
	s_cbranch_execz .LBB116_356
; %bb.355:                              ;   in Loop: Header=BB116_3 Depth=1
	ds_load_b32 v30, v35 offset:5464
	ds_load_b32 v31, v5 offset:5204
	s_wait_dscnt 0x0
	v_fmac_f32_e32 v24, v30, v31
.LBB116_356:                            ;   in Loop: Header=BB116_3 Depth=1
	s_or_b32 exec_lo, exec_lo, s41
	s_delay_alu instid0(VALU_DEP_1)
	v_xor_b32_e32 v24, 0x80000000, v24
.LBB116_357:                            ;   in Loop: Header=BB116_3 Depth=1
	s_or_b32 exec_lo, exec_lo, s40
	s_and_saveexec_b32 s40, s88
; %bb.358:                              ;   in Loop: Header=BB116_3 Depth=1
	ds_store_b32 v37, v24
; %bb.359:                              ;   in Loop: Header=BB116_3 Depth=1
	s_or_b32 exec_lo, exec_lo, s40
	s_wait_dscnt 0x0
	s_barrier_signal -1
	s_barrier_wait -1
	s_and_saveexec_b32 s40, s89
	s_cbranch_execz .LBB116_361
; %bb.360:                              ;   in Loop: Header=BB116_3 Depth=1
	ds_load_b32 v30, v5 offset:5724
	ds_load_b32 v31, v37
	s_wait_dscnt 0x0
	v_fmac_f32_e32 v24, v30, v31
.LBB116_361:                            ;   in Loop: Header=BB116_3 Depth=1
	s_or_b32 exec_lo, exec_lo, s40
	s_barrier_signal -1
	s_barrier_wait -1
	s_and_saveexec_b32 s40, s89
; %bb.362:                              ;   in Loop: Header=BB116_3 Depth=1
	ds_store_b32 v37, v24
; %bb.363:                              ;   in Loop: Header=BB116_3 Depth=1
	s_or_b32 exec_lo, exec_lo, s40
	s_wait_dscnt 0x0
	s_barrier_signal -1
	s_barrier_wait -1
	s_barrier_signal -1
	s_barrier_wait -1
	s_and_saveexec_b32 s40, s2
; %bb.364:                              ;   in Loop: Header=BB116_3 Depth=1
	v_xor_b32_e32 v24, 0x80000000, v24
	ds_store_b32 v39, v24 offset:5208
; %bb.365:                              ;   in Loop: Header=BB116_3 Depth=1
	s_or_b32 exec_lo, exec_lo, s40
	s_wait_dscnt 0x0
	s_barrier_signal -1
	s_barrier_wait -1
	s_barrier_signal -1
	s_barrier_wait -1
	s_and_saveexec_b32 s40, s90
	s_cbranch_execz .LBB116_367
; %bb.366:                              ;   in Loop: Header=BB116_3 Depth=1
	ds_load_b32 v24, v36 offset:5208
	s_wait_dscnt 0x0
	ds_store_b32 v35, v24 offset:5712
	ds_load_b32 v24, v36 offset:5212
	s_wait_dscnt 0x0
	ds_store_b32 v35, v24 offset:5968
.LBB116_367:                            ;   in Loop: Header=BB116_3 Depth=1
	s_or_b32 exec_lo, exec_lo, s40
	s_wait_dscnt 0x0
	s_barrier_signal -1
	s_barrier_wait -1
	s_and_saveexec_b32 s40, s11
	s_cbranch_execz .LBB116_369
; %bb.368:                              ;   in Loop: Header=BB116_3 Depth=1
	ds_load_b32 v24, v5 offset:5724
	ds_store_b32 v5, v25 offset:5720
	s_wait_dscnt 0x1
	ds_store_b64 v5, v[24:25] offset:5976
.LBB116_369:                            ;   in Loop: Header=BB116_3 Depth=1
	s_or_b32 exec_lo, exec_lo, s40
	v_mov_b32_e32 v24, 0
	s_wait_dscnt 0x0
	s_barrier_signal -1
	s_barrier_wait -1
	s_and_saveexec_b32 s40, s5
	s_cbranch_execz .LBB116_379
; %bb.370:                              ;   in Loop: Header=BB116_3 Depth=1
	ds_load_b32 v24, v55 offset:4192
	ds_load_b32 v30, v52 offset:4160
	s_wait_dscnt 0x0
	v_fma_f32 v24, v24, v30, 0
	s_and_saveexec_b32 s41, s15
	s_cbranch_execnz .LBB116_1191
; %bb.371:                              ;   in Loop: Header=BB116_3 Depth=1
	s_or_b32 exec_lo, exec_lo, s41
	s_and_saveexec_b32 s41, s16
	s_cbranch_execnz .LBB116_1192
.LBB116_372:                            ;   in Loop: Header=BB116_3 Depth=1
	s_or_b32 exec_lo, exec_lo, s41
	s_and_saveexec_b32 s41, s17
	s_cbranch_execnz .LBB116_1193
.LBB116_373:                            ;   in Loop: Header=BB116_3 Depth=1
	s_or_b32 exec_lo, exec_lo, s41
	s_and_saveexec_b32 s41, s18
	s_cbranch_execnz .LBB116_1194
.LBB116_374:                            ;   in Loop: Header=BB116_3 Depth=1
	s_or_b32 exec_lo, exec_lo, s41
	s_and_saveexec_b32 s41, s19
	s_cbranch_execnz .LBB116_1195
.LBB116_375:                            ;   in Loop: Header=BB116_3 Depth=1
	s_or_b32 exec_lo, exec_lo, s41
	s_and_saveexec_b32 s41, s4
	s_cbranch_execnz .LBB116_1196
.LBB116_376:                            ;   in Loop: Header=BB116_3 Depth=1
	s_or_b32 exec_lo, exec_lo, s41
	s_and_saveexec_b32 s41, s14
	s_cbranch_execz .LBB116_378
.LBB116_377:                            ;   in Loop: Header=BB116_3 Depth=1
	ds_load_b32 v30, v38 offset:5984
	ds_load_b32 v31, v5 offset:4188
	s_wait_dscnt 0x0
	v_fmac_f32_e32 v24, v30, v31
.LBB116_378:                            ;   in Loop: Header=BB116_3 Depth=1
	s_or_b32 exec_lo, exec_lo, s41
	s_delay_alu instid0(VALU_DEP_1)
	v_xor_b32_e32 v24, 0x80000000, v24
.LBB116_379:                            ;   in Loop: Header=BB116_3 Depth=1
	s_or_b32 exec_lo, exec_lo, s40
	s_and_saveexec_b32 s40, s98
; %bb.380:                              ;   in Loop: Header=BB116_3 Depth=1
	ds_store_b32 v54, v24
; %bb.381:                              ;   in Loop: Header=BB116_3 Depth=1
	s_or_b32 exec_lo, exec_lo, s40
	s_wait_dscnt 0x0
	s_barrier_signal -1
	s_barrier_wait -1
	s_and_saveexec_b32 s40, s99
	s_cbranch_execz .LBB116_383
; %bb.382:                              ;   in Loop: Header=BB116_3 Depth=1
	ds_load_b32 v30, v51 offset:6240
	ds_load_b32 v31, v54
	s_wait_dscnt 0x0
	v_fmac_f32_e32 v24, v30, v31
.LBB116_383:                            ;   in Loop: Header=BB116_3 Depth=1
	s_or_b32 exec_lo, exec_lo, s40
	s_barrier_signal -1
	s_barrier_wait -1
	s_and_saveexec_b32 s40, s100
; %bb.384:                              ;   in Loop: Header=BB116_3 Depth=1
	ds_store_b32 v54, v24
; %bb.385:                              ;   in Loop: Header=BB116_3 Depth=1
	s_or_b32 exec_lo, exec_lo, s40
	s_wait_dscnt 0x0
	s_barrier_signal -1
	s_barrier_wait -1
	s_and_saveexec_b32 s40, s101
	s_cbranch_execz .LBB116_387
; %bb.386:                              ;   in Loop: Header=BB116_3 Depth=1
	ds_load_b32 v30, v51 offset:6496
	ds_load_b32 v31, v54
	s_wait_dscnt 0x0
	v_fmac_f32_e32 v24, v30, v31
.LBB116_387:                            ;   in Loop: Header=BB116_3 Depth=1
	s_or_b32 exec_lo, exec_lo, s40
	s_barrier_signal -1
	s_barrier_wait -1
	;; [unrolled: 19-line block ×3, first 2 shown]
	s_and_saveexec_b32 s40, s104
; %bb.392:                              ;   in Loop: Header=BB116_3 Depth=1
	ds_store_b32 v54, v24
; %bb.393:                              ;   in Loop: Header=BB116_3 Depth=1
	s_or_b32 exec_lo, exec_lo, s40
	s_wait_dscnt 0x0
	s_barrier_signal -1
	s_barrier_wait -1
	s_and_saveexec_b32 s40, vcc_hi
	s_cbranch_execz .LBB116_395
; %bb.394:                              ;   in Loop: Header=BB116_3 Depth=1
	ds_load_b32 v30, v51 offset:7008
	ds_load_b32 v31, v54
	s_wait_dscnt 0x0
	v_fmac_f32_e32 v24, v30, v31
.LBB116_395:                            ;   in Loop: Header=BB116_3 Depth=1
	s_or_b32 exec_lo, exec_lo, s40
	s_barrier_signal -1
	s_barrier_wait -1
	s_and_saveexec_b32 s40, s31
; %bb.396:                              ;   in Loop: Header=BB116_3 Depth=1
	ds_store_b32 v54, v24
; %bb.397:                              ;   in Loop: Header=BB116_3 Depth=1
	s_or_b32 exec_lo, exec_lo, s40
	s_wait_dscnt 0x0
	s_barrier_signal -1
	s_barrier_wait -1
	s_and_saveexec_b32 s40, s33
	s_cbranch_execz .LBB116_399
; %bb.398:                              ;   in Loop: Header=BB116_3 Depth=1
	ds_load_b32 v30, v51 offset:7264
	ds_load_b32 v31, v54
	s_wait_dscnt 0x0
	v_fmac_f32_e32 v24, v30, v31
.LBB116_399:                            ;   in Loop: Header=BB116_3 Depth=1
	s_or_b32 exec_lo, exec_lo, s40
	s_barrier_signal -1
	s_barrier_wait -1
	s_and_saveexec_b32 s40, s34
; %bb.400:                              ;   in Loop: Header=BB116_3 Depth=1
	ds_store_b32 v54, v24
; %bb.401:                              ;   in Loop: Header=BB116_3 Depth=1
	s_or_b32 exec_lo, exec_lo, s40
	s_wait_dscnt 0x0
	s_barrier_signal -1
	s_barrier_wait -1
	s_and_saveexec_b32 s40, s35
	s_cbranch_execz .LBB116_403
; %bb.402:                              ;   in Loop: Header=BB116_3 Depth=1
	ds_load_b32 v30, v51 offset:7520
	ds_load_b32 v31, v54
	s_wait_dscnt 0x0
	v_fmac_f32_e32 v24, v30, v31
.LBB116_403:                            ;   in Loop: Header=BB116_3 Depth=1
	s_or_b32 exec_lo, exec_lo, s40
	s_barrier_signal -1
	s_barrier_wait -1
	s_and_saveexec_b32 s40, s36
; %bb.404:                              ;   in Loop: Header=BB116_3 Depth=1
	ds_store_b32 v54, v24
; %bb.405:                              ;   in Loop: Header=BB116_3 Depth=1
	s_or_b32 exec_lo, exec_lo, s40
	s_wait_dscnt 0x0
	s_barrier_signal -1
	s_barrier_wait -1
	s_and_saveexec_b32 s40, s37
	s_cbranch_execz .LBB116_407
; %bb.406:                              ;   in Loop: Header=BB116_3 Depth=1
	ds_load_b32 v30, v5 offset:7804
	ds_load_b32 v31, v54
	s_wait_dscnt 0x0
	v_fmac_f32_e32 v24, v30, v31
.LBB116_407:                            ;   in Loop: Header=BB116_3 Depth=1
	s_or_b32 exec_lo, exec_lo, s40
	s_barrier_signal -1
	s_barrier_wait -1
	s_and_saveexec_b32 s40, s37
; %bb.408:                              ;   in Loop: Header=BB116_3 Depth=1
	ds_store_b32 v54, v24
; %bb.409:                              ;   in Loop: Header=BB116_3 Depth=1
	s_or_b32 exec_lo, exec_lo, s40
	s_wait_dscnt 0x0
	s_barrier_signal -1
	s_barrier_wait -1
	s_barrier_signal -1
	s_barrier_wait -1
	s_and_saveexec_b32 s40, s5
; %bb.410:                              ;   in Loop: Header=BB116_3 Depth=1
	v_xor_b32_e32 v24, 0x80000000, v24
	ds_store_b32 v55, v24 offset:4192
; %bb.411:                              ;   in Loop: Header=BB116_3 Depth=1
	s_or_b32 exec_lo, exec_lo, s40
	s_wait_dscnt 0x0
	s_barrier_signal -1
	s_barrier_wait -1
	s_barrier_signal -1
	s_barrier_wait -1
	s_and_saveexec_b32 s40, s38
	s_cbranch_execz .LBB116_413
; %bb.412:                              ;   in Loop: Header=BB116_3 Depth=1
	ds_load_b32 v24, v42 offset:4192
	s_wait_dscnt 0x0
	ds_store_b32 v46, v24 offset:6208
	ds_load_b32 v24, v42 offset:4196
	s_wait_dscnt 0x0
	ds_store_b32 v46, v24 offset:6464
	;; [unrolled: 3-line block ×8, first 2 shown]
.LBB116_413:                            ;   in Loop: Header=BB116_3 Depth=1
	s_or_b32 exec_lo, exec_lo, s40
	s_wait_dscnt 0x0
	s_barrier_signal -1
	s_barrier_wait -1
	s_and_saveexec_b32 s40, s11
	s_cbranch_execz .LBB116_415
; %bb.414:                              ;   in Loop: Header=BB116_3 Depth=1
	ds_load_b32 v24, v5 offset:6244
	ds_store_b32 v5, v25 offset:6240
	s_wait_dscnt 0x1
	ds_store_b64 v5, v[24:25] offset:6496
.LBB116_415:                            ;   in Loop: Header=BB116_3 Depth=1
	s_or_b32 exec_lo, exec_lo, s40
	v_mov_b32_e32 v24, 0
	s_wait_dscnt 0x0
	s_barrier_signal -1
	s_barrier_wait -1
	s_and_saveexec_b32 s40, s2
	s_cbranch_execz .LBB116_419
; %bb.416:                              ;   in Loop: Header=BB116_3 Depth=1
	ds_load_b32 v24, v39 offset:6248
	ds_load_b32 v30, v40 offset:6240
	s_wait_dscnt 0x0
	v_fma_f32 v24, v24, v30, 0
	s_and_saveexec_b32 s41, s12
	s_cbranch_execz .LBB116_418
; %bb.417:                              ;   in Loop: Header=BB116_3 Depth=1
	ds_load_b32 v30, v46 offset:6504
	ds_load_b32 v31, v5 offset:6244
	s_wait_dscnt 0x0
	v_fmac_f32_e32 v24, v30, v31
.LBB116_418:                            ;   in Loop: Header=BB116_3 Depth=1
	s_or_b32 exec_lo, exec_lo, s41
	s_delay_alu instid0(VALU_DEP_1)
	v_xor_b32_e32 v24, 0x80000000, v24
.LBB116_419:                            ;   in Loop: Header=BB116_3 Depth=1
	s_or_b32 exec_lo, exec_lo, s40
	s_and_saveexec_b32 s40, s88
; %bb.420:                              ;   in Loop: Header=BB116_3 Depth=1
	ds_store_b32 v37, v24
; %bb.421:                              ;   in Loop: Header=BB116_3 Depth=1
	s_or_b32 exec_lo, exec_lo, s40
	s_wait_dscnt 0x0
	s_barrier_signal -1
	s_barrier_wait -1
	s_and_saveexec_b32 s40, s89
	s_cbranch_execz .LBB116_423
; %bb.422:                              ;   in Loop: Header=BB116_3 Depth=1
	ds_load_b32 v30, v5 offset:6764
	ds_load_b32 v31, v37
	s_wait_dscnt 0x0
	v_fmac_f32_e32 v24, v30, v31
.LBB116_423:                            ;   in Loop: Header=BB116_3 Depth=1
	s_or_b32 exec_lo, exec_lo, s40
	s_barrier_signal -1
	s_barrier_wait -1
	s_and_saveexec_b32 s40, s89
; %bb.424:                              ;   in Loop: Header=BB116_3 Depth=1
	ds_store_b32 v37, v24
; %bb.425:                              ;   in Loop: Header=BB116_3 Depth=1
	s_or_b32 exec_lo, exec_lo, s40
	s_wait_dscnt 0x0
	s_barrier_signal -1
	s_barrier_wait -1
	s_barrier_signal -1
	s_barrier_wait -1
	s_and_saveexec_b32 s40, s2
; %bb.426:                              ;   in Loop: Header=BB116_3 Depth=1
	v_xor_b32_e32 v24, 0x80000000, v24
	ds_store_b32 v39, v24 offset:6248
; %bb.427:                              ;   in Loop: Header=BB116_3 Depth=1
	s_or_b32 exec_lo, exec_lo, s40
	s_wait_dscnt 0x0
	s_barrier_signal -1
	s_barrier_wait -1
	s_barrier_signal -1
	s_barrier_wait -1
	s_and_saveexec_b32 s40, s90
	s_cbranch_execz .LBB116_429
; %bb.428:                              ;   in Loop: Header=BB116_3 Depth=1
	ds_load_b32 v24, v50 offset:6248
	s_wait_dscnt 0x0
	ds_store_b32 v46, v24 offset:6752
	ds_load_b32 v24, v50 offset:6252
	s_wait_dscnt 0x0
	ds_store_b32 v46, v24 offset:7008
.LBB116_429:                            ;   in Loop: Header=BB116_3 Depth=1
	s_or_b32 exec_lo, exec_lo, s40
	s_wait_dscnt 0x0
	s_barrier_signal -1
	s_barrier_wait -1
	s_and_saveexec_b32 s40, s11
	s_cbranch_execz .LBB116_431
; %bb.430:                              ;   in Loop: Header=BB116_3 Depth=1
	ds_load_b32 v24, v5 offset:6764
	ds_store_b32 v5, v25 offset:6760
	s_wait_dscnt 0x1
	ds_store_b64 v5, v[24:25] offset:7016
.LBB116_431:                            ;   in Loop: Header=BB116_3 Depth=1
	s_or_b32 exec_lo, exec_lo, s40
	v_mov_b32_e32 v24, 0
	s_wait_dscnt 0x0
	s_barrier_signal -1
	s_barrier_wait -1
	s_and_saveexec_b32 s40, s4
	s_cbranch_execz .LBB116_437
; %bb.432:                              ;   in Loop: Header=BB116_3 Depth=1
	ds_load_b32 v24, v48 offset:6256
	ds_load_b32 v30, v41 offset:6240
	s_wait_dscnt 0x0
	v_fma_f32 v24, v24, v30, 0
	s_and_saveexec_b32 s41, s13
	s_cbranch_execnz .LBB116_1197
; %bb.433:                              ;   in Loop: Header=BB116_3 Depth=1
	s_or_b32 exec_lo, exec_lo, s41
	s_and_saveexec_b32 s41, s14
	s_cbranch_execnz .LBB116_1198
.LBB116_434:                            ;   in Loop: Header=BB116_3 Depth=1
	s_or_b32 exec_lo, exec_lo, s41
	s_and_saveexec_b32 s41, s2
	s_cbranch_execz .LBB116_436
.LBB116_435:                            ;   in Loop: Header=BB116_3 Depth=1
	ds_load_b32 v30, v53 offset:7024
	ds_load_b32 v31, v5 offset:6252
	s_wait_dscnt 0x0
	v_fmac_f32_e32 v24, v30, v31
.LBB116_436:                            ;   in Loop: Header=BB116_3 Depth=1
	s_or_b32 exec_lo, exec_lo, s41
	s_delay_alu instid0(VALU_DEP_1)
	v_xor_b32_e32 v24, 0x80000000, v24
.LBB116_437:                            ;   in Loop: Header=BB116_3 Depth=1
	s_or_b32 exec_lo, exec_lo, s40
	s_and_saveexec_b32 s40, s91
; %bb.438:                              ;   in Loop: Header=BB116_3 Depth=1
	ds_store_b32 v47, v24
; %bb.439:                              ;   in Loop: Header=BB116_3 Depth=1
	s_or_b32 exec_lo, exec_lo, s40
	s_wait_dscnt 0x0
	s_barrier_signal -1
	s_barrier_wait -1
	s_and_saveexec_b32 s40, s92
	s_cbranch_execz .LBB116_441
; %bb.440:                              ;   in Loop: Header=BB116_3 Depth=1
	ds_load_b32 v30, v45 offset:7280
	ds_load_b32 v31, v47
	s_wait_dscnt 0x0
	v_fmac_f32_e32 v24, v30, v31
.LBB116_441:                            ;   in Loop: Header=BB116_3 Depth=1
	s_or_b32 exec_lo, exec_lo, s40
	s_barrier_signal -1
	s_barrier_wait -1
	s_and_saveexec_b32 s40, s93
; %bb.442:                              ;   in Loop: Header=BB116_3 Depth=1
	ds_store_b32 v47, v24
; %bb.443:                              ;   in Loop: Header=BB116_3 Depth=1
	s_or_b32 exec_lo, exec_lo, s40
	s_wait_dscnt 0x0
	s_barrier_signal -1
	s_barrier_wait -1
	s_and_saveexec_b32 s40, s94
	s_cbranch_execz .LBB116_445
; %bb.444:                              ;   in Loop: Header=BB116_3 Depth=1
	ds_load_b32 v30, v45 offset:7536
	ds_load_b32 v31, v47
	s_wait_dscnt 0x0
	v_fmac_f32_e32 v24, v30, v31
.LBB116_445:                            ;   in Loop: Header=BB116_3 Depth=1
	s_or_b32 exec_lo, exec_lo, s40
	s_barrier_signal -1
	s_barrier_wait -1
	;; [unrolled: 19-line block ×3, first 2 shown]
	s_and_saveexec_b32 s40, s96
; %bb.450:                              ;   in Loop: Header=BB116_3 Depth=1
	ds_store_b32 v47, v24
; %bb.451:                              ;   in Loop: Header=BB116_3 Depth=1
	s_or_b32 exec_lo, exec_lo, s40
	s_wait_dscnt 0x0
	s_barrier_signal -1
	s_barrier_wait -1
	s_barrier_signal -1
	s_barrier_wait -1
	s_and_saveexec_b32 s40, s4
; %bb.452:                              ;   in Loop: Header=BB116_3 Depth=1
	v_xor_b32_e32 v24, 0x80000000, v24
	ds_store_b32 v48, v24 offset:6256
; %bb.453:                              ;   in Loop: Header=BB116_3 Depth=1
	s_or_b32 exec_lo, exec_lo, s40
	s_wait_dscnt 0x0
	s_barrier_signal -1
	s_barrier_wait -1
	s_barrier_signal -1
	s_barrier_wait -1
	s_and_saveexec_b32 s40, s97
	s_cbranch_execz .LBB116_455
; %bb.454:                              ;   in Loop: Header=BB116_3 Depth=1
	ds_load_b32 v24, v56 offset:6256
	s_wait_dscnt 0x0
	ds_store_b32 v59, v24 offset:7264
	ds_load_b32 v24, v56 offset:6260
	s_wait_dscnt 0x0
	ds_store_b32 v59, v24 offset:7520
	ds_load_b32 v24, v56 offset:6264
	s_wait_dscnt 0x0
	ds_store_b32 v59, v24 offset:7776
	ds_load_b32 v24, v56 offset:6268
	s_wait_dscnt 0x0
	ds_store_b32 v59, v24 offset:8032
.LBB116_455:                            ;   in Loop: Header=BB116_3 Depth=1
	s_or_b32 exec_lo, exec_lo, s40
	s_wait_dscnt 0x0
	s_barrier_signal -1
	s_barrier_wait -1
	s_and_saveexec_b32 s40, s11
	s_cbranch_execz .LBB116_457
; %bb.456:                              ;   in Loop: Header=BB116_3 Depth=1
	ds_load_b32 v24, v5 offset:7284
	ds_store_b32 v5, v25 offset:7280
	s_wait_dscnt 0x1
	ds_store_b64 v5, v[24:25] offset:7536
.LBB116_457:                            ;   in Loop: Header=BB116_3 Depth=1
	s_or_b32 exec_lo, exec_lo, s40
	v_mov_b32_e32 v24, 0
	s_wait_dscnt 0x0
	s_barrier_signal -1
	s_barrier_wait -1
	s_and_saveexec_b32 s40, s2
	s_cbranch_execz .LBB116_461
; %bb.458:                              ;   in Loop: Header=BB116_3 Depth=1
	ds_load_b32 v24, v39 offset:7288
	ds_load_b32 v30, v40 offset:7280
	s_wait_dscnt 0x0
	v_fma_f32 v24, v24, v30, 0
	s_and_saveexec_b32 s41, s12
	s_cbranch_execz .LBB116_460
; %bb.459:                              ;   in Loop: Header=BB116_3 Depth=1
	ds_load_b32 v30, v59 offset:7544
	ds_load_b32 v31, v5 offset:7284
	s_wait_dscnt 0x0
	v_fmac_f32_e32 v24, v30, v31
.LBB116_460:                            ;   in Loop: Header=BB116_3 Depth=1
	s_or_b32 exec_lo, exec_lo, s41
	s_delay_alu instid0(VALU_DEP_1)
	v_xor_b32_e32 v24, 0x80000000, v24
.LBB116_461:                            ;   in Loop: Header=BB116_3 Depth=1
	s_or_b32 exec_lo, exec_lo, s40
	s_and_saveexec_b32 s40, s88
; %bb.462:                              ;   in Loop: Header=BB116_3 Depth=1
	ds_store_b32 v37, v24
; %bb.463:                              ;   in Loop: Header=BB116_3 Depth=1
	s_or_b32 exec_lo, exec_lo, s40
	s_wait_dscnt 0x0
	s_barrier_signal -1
	s_barrier_wait -1
	s_and_saveexec_b32 s40, s89
	s_cbranch_execz .LBB116_465
; %bb.464:                              ;   in Loop: Header=BB116_3 Depth=1
	ds_load_b32 v30, v5 offset:7804
	ds_load_b32 v31, v37
	s_wait_dscnt 0x0
	v_fmac_f32_e32 v24, v30, v31
.LBB116_465:                            ;   in Loop: Header=BB116_3 Depth=1
	s_or_b32 exec_lo, exec_lo, s40
	s_barrier_signal -1
	s_barrier_wait -1
	s_and_saveexec_b32 s40, s89
; %bb.466:                              ;   in Loop: Header=BB116_3 Depth=1
	ds_store_b32 v37, v24
; %bb.467:                              ;   in Loop: Header=BB116_3 Depth=1
	s_or_b32 exec_lo, exec_lo, s40
	s_wait_dscnt 0x0
	s_barrier_signal -1
	s_barrier_wait -1
	s_barrier_signal -1
	s_barrier_wait -1
	s_and_saveexec_b32 s40, s2
; %bb.468:                              ;   in Loop: Header=BB116_3 Depth=1
	v_xor_b32_e32 v24, 0x80000000, v24
	ds_store_b32 v39, v24 offset:7288
; %bb.469:                              ;   in Loop: Header=BB116_3 Depth=1
	s_or_b32 exec_lo, exec_lo, s40
	s_wait_dscnt 0x0
	s_barrier_signal -1
	s_barrier_wait -1
	s_barrier_signal -1
	s_barrier_wait -1
	s_and_saveexec_b32 s40, s90
	s_cbranch_execz .LBB116_471
; %bb.470:                              ;   in Loop: Header=BB116_3 Depth=1
	v_add_nc_u32_e32 v24, v59, v44
	ds_load_b32 v30, v24 offset:7288
	s_wait_dscnt 0x0
	ds_store_b32 v59, v30 offset:7792
	ds_load_b32 v24, v24 offset:7292
	s_wait_dscnt 0x0
	ds_store_b32 v59, v24 offset:8048
.LBB116_471:                            ;   in Loop: Header=BB116_3 Depth=1
	s_or_b32 exec_lo, exec_lo, s40
	s_wait_dscnt 0x0
	s_barrier_signal -1
	s_barrier_wait -1
	s_and_saveexec_b32 s40, s11
	s_cbranch_execz .LBB116_473
; %bb.472:                              ;   in Loop: Header=BB116_3 Depth=1
	ds_load_b32 v24, v5 offset:7804
	ds_store_b32 v5, v25 offset:7800
	s_wait_dscnt 0x1
	ds_store_b64 v5, v[24:25] offset:8056
.LBB116_473:                            ;   in Loop: Header=BB116_3 Depth=1
	s_or_b32 exec_lo, exec_lo, s40
	v_mov_b32_e32 v24, 0
	s_wait_dscnt 0x0
	s_barrier_signal -1
	s_barrier_wait -1
	s_and_saveexec_b32 s80, s7
	s_cbranch_execz .LBB116_535
; %bb.474:                              ;   in Loop: Header=BB116_3 Depth=1
	v_add_nc_u32_e32 v30, v62, v61
	ds_load_b32 v24, v68 offset:128
	ds_load_b32 v31, v30
	s_wait_dscnt 0x0
	v_fma_f32 v24, v24, v31, 0
	s_mov_b32 s40, exec_lo
	v_readlane_b32 s41, v93, 28
	s_and_b32 s41, s40, s41
	s_delay_alu instid0(SALU_CYCLE_1)
	s_mov_b32 exec_lo, s41
	s_cbranch_execz .LBB116_476
; %bb.475:                              ;   in Loop: Header=BB116_3 Depth=1
	ds_load_b32 v31, v68 offset:384
	ds_load_b32 v32, v30 offset:4
	s_wait_dscnt 0x0
	v_fmac_f32_e32 v24, v31, v32
.LBB116_476:                            ;   in Loop: Header=BB116_3 Depth=1
	s_or_b32 exec_lo, exec_lo, s40
	s_delay_alu instid0(SALU_CYCLE_1) | instskip(SKIP_2) | instid1(SALU_CYCLE_1)
	s_mov_b32 s40, exec_lo
	v_readlane_b32 s41, v93, 29
	s_and_b32 s41, s40, s41
	s_mov_b32 exec_lo, s41
	s_cbranch_execz .LBB116_478
; %bb.477:                              ;   in Loop: Header=BB116_3 Depth=1
	ds_load_b32 v31, v68 offset:640
	ds_load_b32 v32, v30 offset:8
	s_wait_dscnt 0x0
	v_fmac_f32_e32 v24, v31, v32
.LBB116_478:                            ;   in Loop: Header=BB116_3 Depth=1
	s_or_b32 exec_lo, exec_lo, s40
	s_delay_alu instid0(SALU_CYCLE_1) | instskip(SKIP_2) | instid1(SALU_CYCLE_1)
	s_mov_b32 s40, exec_lo
	v_readlane_b32 s41, v93, 30
	s_and_b32 s41, s40, s41
	;; [unrolled: 13-line block ×22, first 2 shown]
	s_mov_b32 exec_lo, s41
	s_cbranch_execz .LBB116_520
; %bb.519:                              ;   in Loop: Header=BB116_3 Depth=1
	ds_load_b32 v31, v68 offset:6016
	ds_load_b32 v32, v30 offset:92
	s_wait_dscnt 0x0
	v_fmac_f32_e32 v24, v31, v32
.LBB116_520:                            ;   in Loop: Header=BB116_3 Depth=1
	s_or_b32 exec_lo, exec_lo, s40
	s_and_saveexec_b32 s40, s6
	s_cbranch_execz .LBB116_522
; %bb.521:                              ;   in Loop: Header=BB116_3 Depth=1
	ds_load_b32 v31, v68 offset:6272
	ds_load_b32 v32, v30 offset:96
	s_wait_dscnt 0x0
	v_fmac_f32_e32 v24, v31, v32
.LBB116_522:                            ;   in Loop: Header=BB116_3 Depth=1
	s_or_b32 exec_lo, exec_lo, s40
	s_delay_alu instid0(SALU_CYCLE_1) | instskip(SKIP_2) | instid1(SALU_CYCLE_1)
	s_mov_b32 s40, exec_lo
	v_readlane_b32 s41, v93, 18
	s_and_b32 s41, s40, s41
	s_mov_b32 exec_lo, s41
	s_cbranch_execz .LBB116_524
; %bb.523:                              ;   in Loop: Header=BB116_3 Depth=1
	ds_load_b32 v31, v68 offset:6528
	ds_load_b32 v32, v30 offset:100
	s_wait_dscnt 0x0
	v_fmac_f32_e32 v24, v31, v32
.LBB116_524:                            ;   in Loop: Header=BB116_3 Depth=1
	s_or_b32 exec_lo, exec_lo, s40
	s_delay_alu instid0(SALU_CYCLE_1) | instskip(SKIP_2) | instid1(SALU_CYCLE_1)
	s_mov_b32 s40, exec_lo
	v_readlane_b32 s41, v93, 20
	s_and_b32 s41, s40, s41
	s_mov_b32 exec_lo, s41
	;; [unrolled: 13-line block ×5, first 2 shown]
	s_cbranch_execnz .LBB116_1199
; %bb.531:                              ;   in Loop: Header=BB116_3 Depth=1
	s_or_b32 exec_lo, exec_lo, s40
	s_and_saveexec_b32 s40, s5
	s_cbranch_execnz .LBB116_1200
.LBB116_532:                            ;   in Loop: Header=BB116_3 Depth=1
	s_or_b32 exec_lo, exec_lo, s40
	s_and_saveexec_b32 s40, s18
	s_cbranch_execz .LBB116_534
.LBB116_533:                            ;   in Loop: Header=BB116_3 Depth=1
	ds_load_b32 v30, v3 offset:8064
	ds_load_b32 v31, v5 offset:124
	s_wait_dscnt 0x0
	v_fmac_f32_e32 v24, v30, v31
.LBB116_534:                            ;   in Loop: Header=BB116_3 Depth=1
	s_or_b32 exec_lo, exec_lo, s40
	s_delay_alu instid0(VALU_DEP_1)
	v_xor_b32_e32 v24, 0x80000000, v24
.LBB116_535:                            ;   in Loop: Header=BB116_3 Depth=1
	s_or_b32 exec_lo, exec_lo, s80
	s_delay_alu instid0(SALU_CYCLE_1) | instskip(SKIP_2) | instid1(SALU_CYCLE_1)
	s_mov_b32 s40, exec_lo
	v_readlane_b32 s41, v95, 9
	s_and_b32 s41, s40, s41
	s_mov_b32 exec_lo, s41
; %bb.536:                              ;   in Loop: Header=BB116_3 Depth=1
	ds_store_b32 v67, v24
; %bb.537:                              ;   in Loop: Header=BB116_3 Depth=1
	s_or_b32 exec_lo, exec_lo, s40
	s_wait_dscnt 0x0
	s_barrier_signal -1
	s_barrier_wait -1
	s_mov_b32 s40, exec_lo
	v_readlane_b32 s41, v95, 10
	s_and_b32 s41, s40, s41
	s_delay_alu instid0(SALU_CYCLE_1)
	s_mov_b32 exec_lo, s41
	s_cbranch_execz .LBB116_539
; %bb.538:                              ;   in Loop: Header=BB116_3 Depth=1
	ds_load_b32 v30, v63 offset:8320
	ds_load_b32 v31, v67
	s_wait_dscnt 0x0
	v_fmac_f32_e32 v24, v30, v31
.LBB116_539:                            ;   in Loop: Header=BB116_3 Depth=1
	s_or_b32 exec_lo, exec_lo, s40
	s_barrier_signal -1
	s_barrier_wait -1
	s_mov_b32 s40, exec_lo
	v_readlane_b32 s41, v95, 11
	s_and_b32 s41, s40, s41
	s_delay_alu instid0(SALU_CYCLE_1)
	s_mov_b32 exec_lo, s41
; %bb.540:                              ;   in Loop: Header=BB116_3 Depth=1
	ds_store_b32 v67, v24
; %bb.541:                              ;   in Loop: Header=BB116_3 Depth=1
	s_or_b32 exec_lo, exec_lo, s40
	s_wait_dscnt 0x0
	s_barrier_signal -1
	s_barrier_wait -1
	s_mov_b32 s40, exec_lo
	v_readlane_b32 s41, v95, 12
	s_and_b32 s41, s40, s41
	s_delay_alu instid0(SALU_CYCLE_1)
	s_mov_b32 exec_lo, s41
	s_cbranch_execz .LBB116_543
; %bb.542:                              ;   in Loop: Header=BB116_3 Depth=1
	ds_load_b32 v30, v63 offset:8576
	ds_load_b32 v31, v67
	s_wait_dscnt 0x0
	v_fmac_f32_e32 v24, v30, v31
.LBB116_543:                            ;   in Loop: Header=BB116_3 Depth=1
	s_or_b32 exec_lo, exec_lo, s40
	s_barrier_signal -1
	s_barrier_wait -1
	s_mov_b32 s40, exec_lo
	v_readlane_b32 s41, v95, 13
	s_and_b32 s41, s40, s41
	s_delay_alu instid0(SALU_CYCLE_1)
	;; [unrolled: 27-line block ×30, first 2 shown]
	s_mov_b32 exec_lo, s41
; %bb.656:                              ;   in Loop: Header=BB116_3 Depth=1
	ds_store_b32 v67, v24
; %bb.657:                              ;   in Loop: Header=BB116_3 Depth=1
	s_or_b32 exec_lo, exec_lo, s40
	s_wait_dscnt 0x0
	s_barrier_signal -1
	s_barrier_wait -1
	s_and_saveexec_b32 s40, s29
	s_cbranch_execz .LBB116_659
; %bb.658:                              ;   in Loop: Header=BB116_3 Depth=1
	ds_load_b32 v30, v5 offset:16124
	ds_load_b32 v31, v67
	s_wait_dscnt 0x0
	v_fmac_f32_e32 v24, v30, v31
.LBB116_659:                            ;   in Loop: Header=BB116_3 Depth=1
	s_or_b32 exec_lo, exec_lo, s40
	s_barrier_signal -1
	s_barrier_wait -1
	s_and_saveexec_b32 s40, s29
; %bb.660:                              ;   in Loop: Header=BB116_3 Depth=1
	ds_store_b32 v67, v24
; %bb.661:                              ;   in Loop: Header=BB116_3 Depth=1
	s_or_b32 exec_lo, exec_lo, s40
	s_wait_dscnt 0x0
	s_barrier_signal -1
	s_barrier_wait -1
	s_barrier_signal -1
	s_barrier_wait -1
	s_and_saveexec_b32 s40, s7
; %bb.662:                              ;   in Loop: Header=BB116_3 Depth=1
	v_xor_b32_e32 v24, 0x80000000, v24
	ds_store_b32 v68, v24 offset:128
; %bb.663:                              ;   in Loop: Header=BB116_3 Depth=1
	s_or_b32 exec_lo, exec_lo, s40
	s_wait_dscnt 0x0
	s_barrier_signal -1
	s_barrier_wait -1
	s_barrier_signal -1
	s_barrier_wait -1
	s_mov_b32 s40, exec_lo
	v_readlane_b32 s41, v93, 6
	s_and_b32 s41, s40, s41
	s_delay_alu instid0(SALU_CYCLE_1)
	s_mov_b32 exec_lo, s41
	s_cbranch_execz .LBB116_665
; %bb.664:                              ;   in Loop: Header=BB116_3 Depth=1
	ds_load_b32 v24, v43 offset:128
	s_wait_dscnt 0x0
	ds_store_b32 v69, v24 offset:8192
	ds_load_b32 v24, v43 offset:132
	s_wait_dscnt 0x0
	ds_store_b32 v69, v24 offset:8448
	;; [unrolled: 3-line block ×32, first 2 shown]
.LBB116_665:                            ;   in Loop: Header=BB116_3 Depth=1
	s_or_b32 exec_lo, exec_lo, s40
	s_wait_dscnt 0x0
	s_barrier_signal -1
	s_barrier_wait -1
	s_and_saveexec_b32 s40, s11
	s_cbranch_execz .LBB116_667
; %bb.666:                              ;   in Loop: Header=BB116_3 Depth=1
	ds_load_b32 v24, v5 offset:8324
	ds_store_b32 v5, v25 offset:8320
	s_wait_dscnt 0x1
	ds_store_b64 v5, v[24:25] offset:8576
.LBB116_667:                            ;   in Loop: Header=BB116_3 Depth=1
	s_or_b32 exec_lo, exec_lo, s40
	v_mov_b32_e32 v24, 0
	s_wait_dscnt 0x0
	s_barrier_signal -1
	s_barrier_wait -1
	s_and_saveexec_b32 s40, s2
	s_cbranch_execz .LBB116_671
; %bb.668:                              ;   in Loop: Header=BB116_3 Depth=1
	ds_load_b32 v24, v39 offset:8328
	ds_load_b32 v30, v40 offset:8320
	s_wait_dscnt 0x0
	v_fma_f32 v24, v24, v30, 0
	s_and_saveexec_b32 s41, s12
	s_cbranch_execz .LBB116_670
; %bb.669:                              ;   in Loop: Header=BB116_3 Depth=1
	ds_load_b32 v30, v3 offset:8584
	ds_load_b32 v31, v5 offset:8324
	s_wait_dscnt 0x0
	v_fmac_f32_e32 v24, v30, v31
.LBB116_670:                            ;   in Loop: Header=BB116_3 Depth=1
	s_or_b32 exec_lo, exec_lo, s41
	s_delay_alu instid0(VALU_DEP_1)
	v_xor_b32_e32 v24, 0x80000000, v24
.LBB116_671:                            ;   in Loop: Header=BB116_3 Depth=1
	s_or_b32 exec_lo, exec_lo, s40
	s_and_saveexec_b32 s40, s88
; %bb.672:                              ;   in Loop: Header=BB116_3 Depth=1
	ds_store_b32 v37, v24
; %bb.673:                              ;   in Loop: Header=BB116_3 Depth=1
	s_or_b32 exec_lo, exec_lo, s40
	s_wait_dscnt 0x0
	s_barrier_signal -1
	s_barrier_wait -1
	s_and_saveexec_b32 s40, s89
	s_cbranch_execz .LBB116_675
; %bb.674:                              ;   in Loop: Header=BB116_3 Depth=1
	ds_load_b32 v30, v5 offset:8844
	ds_load_b32 v31, v37
	s_wait_dscnt 0x0
	v_fmac_f32_e32 v24, v30, v31
.LBB116_675:                            ;   in Loop: Header=BB116_3 Depth=1
	s_or_b32 exec_lo, exec_lo, s40
	s_barrier_signal -1
	s_barrier_wait -1
	s_and_saveexec_b32 s40, s89
; %bb.676:                              ;   in Loop: Header=BB116_3 Depth=1
	ds_store_b32 v37, v24
; %bb.677:                              ;   in Loop: Header=BB116_3 Depth=1
	s_or_b32 exec_lo, exec_lo, s40
	s_wait_dscnt 0x0
	s_barrier_signal -1
	s_barrier_wait -1
	s_barrier_signal -1
	s_barrier_wait -1
	s_and_saveexec_b32 s40, s2
; %bb.678:                              ;   in Loop: Header=BB116_3 Depth=1
	v_xor_b32_e32 v24, 0x80000000, v24
	ds_store_b32 v39, v24 offset:8328
; %bb.679:                              ;   in Loop: Header=BB116_3 Depth=1
	s_or_b32 exec_lo, exec_lo, s40
	s_wait_dscnt 0x0
	s_barrier_signal -1
	s_barrier_wait -1
	s_barrier_signal -1
	s_barrier_wait -1
	s_and_saveexec_b32 s40, s90
	s_cbranch_execz .LBB116_681
; %bb.680:                              ;   in Loop: Header=BB116_3 Depth=1
	ds_load_b32 v24, v7 offset:8328
	s_wait_dscnt 0x0
	ds_store_b32 v3, v24 offset:8832
	ds_load_b32 v24, v7 offset:8332
	s_wait_dscnt 0x0
	ds_store_b32 v3, v24 offset:9088
.LBB116_681:                            ;   in Loop: Header=BB116_3 Depth=1
	s_or_b32 exec_lo, exec_lo, s40
	s_wait_dscnt 0x0
	s_barrier_signal -1
	s_barrier_wait -1
	s_and_saveexec_b32 s40, s11
	s_cbranch_execz .LBB116_683
; %bb.682:                              ;   in Loop: Header=BB116_3 Depth=1
	ds_load_b32 v24, v5 offset:8844
	ds_store_b32 v5, v25 offset:8840
	s_wait_dscnt 0x1
	ds_store_b64 v5, v[24:25] offset:9096
.LBB116_683:                            ;   in Loop: Header=BB116_3 Depth=1
	s_or_b32 exec_lo, exec_lo, s40
	v_mov_b32_e32 v24, 0
	s_wait_dscnt 0x0
	s_barrier_signal -1
	s_barrier_wait -1
	s_and_saveexec_b32 s40, s4
	s_cbranch_execz .LBB116_689
; %bb.684:                              ;   in Loop: Header=BB116_3 Depth=1
	ds_load_b32 v24, v48 offset:8336
	ds_load_b32 v30, v41 offset:8320
	s_wait_dscnt 0x0
	v_fma_f32 v24, v24, v30, 0
	s_and_saveexec_b32 s41, s13
	s_cbranch_execnz .LBB116_1201
; %bb.685:                              ;   in Loop: Header=BB116_3 Depth=1
	s_or_b32 exec_lo, exec_lo, s41
	s_and_saveexec_b32 s41, s14
	s_cbranch_execnz .LBB116_1202
.LBB116_686:                            ;   in Loop: Header=BB116_3 Depth=1
	s_or_b32 exec_lo, exec_lo, s41
	s_and_saveexec_b32 s41, s2
	s_cbranch_execz .LBB116_688
.LBB116_687:                            ;   in Loop: Header=BB116_3 Depth=1
	ds_load_b32 v30, v9 offset:9104
	ds_load_b32 v31, v5 offset:8332
	s_wait_dscnt 0x0
	v_fmac_f32_e32 v24, v30, v31
.LBB116_688:                            ;   in Loop: Header=BB116_3 Depth=1
	s_or_b32 exec_lo, exec_lo, s41
	s_delay_alu instid0(VALU_DEP_1)
	v_xor_b32_e32 v24, 0x80000000, v24
.LBB116_689:                            ;   in Loop: Header=BB116_3 Depth=1
	s_or_b32 exec_lo, exec_lo, s40
	s_and_saveexec_b32 s40, s91
; %bb.690:                              ;   in Loop: Header=BB116_3 Depth=1
	ds_store_b32 v47, v24
; %bb.691:                              ;   in Loop: Header=BB116_3 Depth=1
	s_or_b32 exec_lo, exec_lo, s40
	s_wait_dscnt 0x0
	s_barrier_signal -1
	s_barrier_wait -1
	s_and_saveexec_b32 s40, s92
	s_cbranch_execz .LBB116_693
; %bb.692:                              ;   in Loop: Header=BB116_3 Depth=1
	ds_load_b32 v30, v45 offset:9360
	ds_load_b32 v31, v47
	s_wait_dscnt 0x0
	v_fmac_f32_e32 v24, v30, v31
.LBB116_693:                            ;   in Loop: Header=BB116_3 Depth=1
	s_or_b32 exec_lo, exec_lo, s40
	s_barrier_signal -1
	s_barrier_wait -1
	s_and_saveexec_b32 s40, s93
; %bb.694:                              ;   in Loop: Header=BB116_3 Depth=1
	ds_store_b32 v47, v24
; %bb.695:                              ;   in Loop: Header=BB116_3 Depth=1
	s_or_b32 exec_lo, exec_lo, s40
	s_wait_dscnt 0x0
	s_barrier_signal -1
	s_barrier_wait -1
	s_and_saveexec_b32 s40, s94
	s_cbranch_execz .LBB116_697
; %bb.696:                              ;   in Loop: Header=BB116_3 Depth=1
	ds_load_b32 v30, v45 offset:9616
	ds_load_b32 v31, v47
	s_wait_dscnt 0x0
	v_fmac_f32_e32 v24, v30, v31
.LBB116_697:                            ;   in Loop: Header=BB116_3 Depth=1
	s_or_b32 exec_lo, exec_lo, s40
	s_barrier_signal -1
	s_barrier_wait -1
	;; [unrolled: 19-line block ×3, first 2 shown]
	s_and_saveexec_b32 s40, s96
; %bb.702:                              ;   in Loop: Header=BB116_3 Depth=1
	ds_store_b32 v47, v24
; %bb.703:                              ;   in Loop: Header=BB116_3 Depth=1
	s_or_b32 exec_lo, exec_lo, s40
	s_wait_dscnt 0x0
	s_barrier_signal -1
	s_barrier_wait -1
	s_barrier_signal -1
	s_barrier_wait -1
	s_and_saveexec_b32 s40, s4
; %bb.704:                              ;   in Loop: Header=BB116_3 Depth=1
	v_xor_b32_e32 v24, 0x80000000, v24
	ds_store_b32 v48, v24 offset:8336
; %bb.705:                              ;   in Loop: Header=BB116_3 Depth=1
	s_or_b32 exec_lo, exec_lo, s40
	s_wait_dscnt 0x0
	s_barrier_signal -1
	s_barrier_wait -1
	s_barrier_signal -1
	s_barrier_wait -1
	s_and_saveexec_b32 s40, s97
	s_cbranch_execz .LBB116_707
; %bb.706:                              ;   in Loop: Header=BB116_3 Depth=1
	ds_load_b32 v24, v34 offset:8336
	s_wait_dscnt 0x0
	ds_store_b32 v35, v24 offset:9344
	ds_load_b32 v24, v34 offset:8340
	s_wait_dscnt 0x0
	ds_store_b32 v35, v24 offset:9600
	;; [unrolled: 3-line block ×4, first 2 shown]
.LBB116_707:                            ;   in Loop: Header=BB116_3 Depth=1
	s_or_b32 exec_lo, exec_lo, s40
	s_wait_dscnt 0x0
	s_barrier_signal -1
	s_barrier_wait -1
	s_and_saveexec_b32 s40, s11
	s_cbranch_execz .LBB116_709
; %bb.708:                              ;   in Loop: Header=BB116_3 Depth=1
	ds_load_b32 v24, v5 offset:9364
	ds_store_b32 v5, v25 offset:9360
	s_wait_dscnt 0x1
	ds_store_b64 v5, v[24:25] offset:9616
.LBB116_709:                            ;   in Loop: Header=BB116_3 Depth=1
	s_or_b32 exec_lo, exec_lo, s40
	v_mov_b32_e32 v24, 0
	s_wait_dscnt 0x0
	s_barrier_signal -1
	s_barrier_wait -1
	s_and_saveexec_b32 s40, s2
	s_cbranch_execz .LBB116_713
; %bb.710:                              ;   in Loop: Header=BB116_3 Depth=1
	ds_load_b32 v24, v39 offset:9368
	ds_load_b32 v30, v40 offset:9360
	s_wait_dscnt 0x0
	v_fma_f32 v24, v24, v30, 0
	s_and_saveexec_b32 s41, s12
	s_cbranch_execz .LBB116_712
; %bb.711:                              ;   in Loop: Header=BB116_3 Depth=1
	ds_load_b32 v30, v35 offset:9624
	ds_load_b32 v31, v5 offset:9364
	s_wait_dscnt 0x0
	v_fmac_f32_e32 v24, v30, v31
.LBB116_712:                            ;   in Loop: Header=BB116_3 Depth=1
	s_or_b32 exec_lo, exec_lo, s41
	s_delay_alu instid0(VALU_DEP_1)
	v_xor_b32_e32 v24, 0x80000000, v24
.LBB116_713:                            ;   in Loop: Header=BB116_3 Depth=1
	s_or_b32 exec_lo, exec_lo, s40
	s_and_saveexec_b32 s40, s88
; %bb.714:                              ;   in Loop: Header=BB116_3 Depth=1
	ds_store_b32 v37, v24
; %bb.715:                              ;   in Loop: Header=BB116_3 Depth=1
	s_or_b32 exec_lo, exec_lo, s40
	s_wait_dscnt 0x0
	s_barrier_signal -1
	s_barrier_wait -1
	s_and_saveexec_b32 s40, s89
	s_cbranch_execz .LBB116_717
; %bb.716:                              ;   in Loop: Header=BB116_3 Depth=1
	ds_load_b32 v30, v5 offset:9884
	ds_load_b32 v31, v37
	s_wait_dscnt 0x0
	v_fmac_f32_e32 v24, v30, v31
.LBB116_717:                            ;   in Loop: Header=BB116_3 Depth=1
	s_or_b32 exec_lo, exec_lo, s40
	s_barrier_signal -1
	s_barrier_wait -1
	s_and_saveexec_b32 s40, s89
; %bb.718:                              ;   in Loop: Header=BB116_3 Depth=1
	ds_store_b32 v37, v24
; %bb.719:                              ;   in Loop: Header=BB116_3 Depth=1
	s_or_b32 exec_lo, exec_lo, s40
	s_wait_dscnt 0x0
	s_barrier_signal -1
	s_barrier_wait -1
	s_barrier_signal -1
	s_barrier_wait -1
	s_and_saveexec_b32 s40, s2
; %bb.720:                              ;   in Loop: Header=BB116_3 Depth=1
	v_xor_b32_e32 v24, 0x80000000, v24
	ds_store_b32 v39, v24 offset:9368
; %bb.721:                              ;   in Loop: Header=BB116_3 Depth=1
	s_or_b32 exec_lo, exec_lo, s40
	s_wait_dscnt 0x0
	s_barrier_signal -1
	s_barrier_wait -1
	s_barrier_signal -1
	s_barrier_wait -1
	s_and_saveexec_b32 s40, s90
	s_cbranch_execz .LBB116_723
; %bb.722:                              ;   in Loop: Header=BB116_3 Depth=1
	ds_load_b32 v24, v36 offset:9368
	s_wait_dscnt 0x0
	ds_store_b32 v35, v24 offset:9872
	ds_load_b32 v24, v36 offset:9372
	s_wait_dscnt 0x0
	ds_store_b32 v35, v24 offset:10128
.LBB116_723:                            ;   in Loop: Header=BB116_3 Depth=1
	s_or_b32 exec_lo, exec_lo, s40
	s_wait_dscnt 0x0
	s_barrier_signal -1
	s_barrier_wait -1
	s_and_saveexec_b32 s40, s11
	s_cbranch_execz .LBB116_725
; %bb.724:                              ;   in Loop: Header=BB116_3 Depth=1
	ds_load_b32 v24, v5 offset:9884
	ds_store_b32 v5, v25 offset:9880
	s_wait_dscnt 0x1
	ds_store_b64 v5, v[24:25] offset:10136
.LBB116_725:                            ;   in Loop: Header=BB116_3 Depth=1
	s_or_b32 exec_lo, exec_lo, s40
	v_mov_b32_e32 v24, 0
	s_wait_dscnt 0x0
	s_barrier_signal -1
	s_barrier_wait -1
	s_and_saveexec_b32 s40, s5
	s_cbranch_execz .LBB116_735
; %bb.726:                              ;   in Loop: Header=BB116_3 Depth=1
	ds_load_b32 v24, v55 offset:8352
	ds_load_b32 v30, v52 offset:8320
	s_wait_dscnt 0x0
	v_fma_f32 v24, v24, v30, 0
	s_and_saveexec_b32 s41, s15
	s_cbranch_execnz .LBB116_1203
; %bb.727:                              ;   in Loop: Header=BB116_3 Depth=1
	s_or_b32 exec_lo, exec_lo, s41
	s_and_saveexec_b32 s41, s16
	s_cbranch_execnz .LBB116_1204
.LBB116_728:                            ;   in Loop: Header=BB116_3 Depth=1
	s_or_b32 exec_lo, exec_lo, s41
	s_and_saveexec_b32 s41, s17
	s_cbranch_execnz .LBB116_1205
.LBB116_729:                            ;   in Loop: Header=BB116_3 Depth=1
	s_or_b32 exec_lo, exec_lo, s41
	s_and_saveexec_b32 s41, s18
	s_cbranch_execnz .LBB116_1206
.LBB116_730:                            ;   in Loop: Header=BB116_3 Depth=1
	s_or_b32 exec_lo, exec_lo, s41
	s_and_saveexec_b32 s41, s19
	s_cbranch_execnz .LBB116_1207
.LBB116_731:                            ;   in Loop: Header=BB116_3 Depth=1
	s_or_b32 exec_lo, exec_lo, s41
	s_and_saveexec_b32 s41, s4
	s_cbranch_execnz .LBB116_1208
.LBB116_732:                            ;   in Loop: Header=BB116_3 Depth=1
	s_or_b32 exec_lo, exec_lo, s41
	s_and_saveexec_b32 s41, s14
	s_cbranch_execz .LBB116_734
.LBB116_733:                            ;   in Loop: Header=BB116_3 Depth=1
	ds_load_b32 v30, v38 offset:10144
	ds_load_b32 v31, v5 offset:8348
	s_wait_dscnt 0x0
	v_fmac_f32_e32 v24, v30, v31
.LBB116_734:                            ;   in Loop: Header=BB116_3 Depth=1
	s_or_b32 exec_lo, exec_lo, s41
	s_delay_alu instid0(VALU_DEP_1)
	v_xor_b32_e32 v24, 0x80000000, v24
.LBB116_735:                            ;   in Loop: Header=BB116_3 Depth=1
	s_or_b32 exec_lo, exec_lo, s40
	s_and_saveexec_b32 s40, s98
; %bb.736:                              ;   in Loop: Header=BB116_3 Depth=1
	ds_store_b32 v54, v24
; %bb.737:                              ;   in Loop: Header=BB116_3 Depth=1
	s_or_b32 exec_lo, exec_lo, s40
	s_wait_dscnt 0x0
	s_barrier_signal -1
	s_barrier_wait -1
	s_and_saveexec_b32 s40, s99
	s_cbranch_execz .LBB116_739
; %bb.738:                              ;   in Loop: Header=BB116_3 Depth=1
	ds_load_b32 v30, v51 offset:10400
	ds_load_b32 v31, v54
	s_wait_dscnt 0x0
	v_fmac_f32_e32 v24, v30, v31
.LBB116_739:                            ;   in Loop: Header=BB116_3 Depth=1
	s_or_b32 exec_lo, exec_lo, s40
	s_barrier_signal -1
	s_barrier_wait -1
	s_and_saveexec_b32 s40, s100
; %bb.740:                              ;   in Loop: Header=BB116_3 Depth=1
	ds_store_b32 v54, v24
; %bb.741:                              ;   in Loop: Header=BB116_3 Depth=1
	s_or_b32 exec_lo, exec_lo, s40
	s_wait_dscnt 0x0
	s_barrier_signal -1
	s_barrier_wait -1
	s_and_saveexec_b32 s40, s101
	s_cbranch_execz .LBB116_743
; %bb.742:                              ;   in Loop: Header=BB116_3 Depth=1
	ds_load_b32 v30, v51 offset:10656
	ds_load_b32 v31, v54
	s_wait_dscnt 0x0
	v_fmac_f32_e32 v24, v30, v31
.LBB116_743:                            ;   in Loop: Header=BB116_3 Depth=1
	s_or_b32 exec_lo, exec_lo, s40
	s_barrier_signal -1
	s_barrier_wait -1
	;; [unrolled: 19-line block ×3, first 2 shown]
	s_and_saveexec_b32 s40, s104
; %bb.748:                              ;   in Loop: Header=BB116_3 Depth=1
	ds_store_b32 v54, v24
; %bb.749:                              ;   in Loop: Header=BB116_3 Depth=1
	s_or_b32 exec_lo, exec_lo, s40
	s_wait_dscnt 0x0
	s_barrier_signal -1
	s_barrier_wait -1
	s_and_saveexec_b32 s40, vcc_hi
	s_cbranch_execz .LBB116_751
; %bb.750:                              ;   in Loop: Header=BB116_3 Depth=1
	ds_load_b32 v30, v51 offset:11168
	ds_load_b32 v31, v54
	s_wait_dscnt 0x0
	v_fmac_f32_e32 v24, v30, v31
.LBB116_751:                            ;   in Loop: Header=BB116_3 Depth=1
	s_or_b32 exec_lo, exec_lo, s40
	s_barrier_signal -1
	s_barrier_wait -1
	s_and_saveexec_b32 s40, s31
; %bb.752:                              ;   in Loop: Header=BB116_3 Depth=1
	ds_store_b32 v54, v24
; %bb.753:                              ;   in Loop: Header=BB116_3 Depth=1
	s_or_b32 exec_lo, exec_lo, s40
	s_wait_dscnt 0x0
	s_barrier_signal -1
	s_barrier_wait -1
	s_and_saveexec_b32 s40, s33
	s_cbranch_execz .LBB116_755
; %bb.754:                              ;   in Loop: Header=BB116_3 Depth=1
	ds_load_b32 v30, v51 offset:11424
	ds_load_b32 v31, v54
	s_wait_dscnt 0x0
	v_fmac_f32_e32 v24, v30, v31
.LBB116_755:                            ;   in Loop: Header=BB116_3 Depth=1
	s_or_b32 exec_lo, exec_lo, s40
	s_barrier_signal -1
	s_barrier_wait -1
	s_and_saveexec_b32 s40, s34
; %bb.756:                              ;   in Loop: Header=BB116_3 Depth=1
	ds_store_b32 v54, v24
; %bb.757:                              ;   in Loop: Header=BB116_3 Depth=1
	s_or_b32 exec_lo, exec_lo, s40
	s_wait_dscnt 0x0
	s_barrier_signal -1
	s_barrier_wait -1
	s_and_saveexec_b32 s40, s35
	;; [unrolled: 19-line block ×3, first 2 shown]
	s_cbranch_execz .LBB116_763
; %bb.762:                              ;   in Loop: Header=BB116_3 Depth=1
	ds_load_b32 v30, v5 offset:11964
	ds_load_b32 v31, v54
	s_wait_dscnt 0x0
	v_fmac_f32_e32 v24, v30, v31
.LBB116_763:                            ;   in Loop: Header=BB116_3 Depth=1
	s_or_b32 exec_lo, exec_lo, s40
	s_barrier_signal -1
	s_barrier_wait -1
	s_and_saveexec_b32 s40, s37
; %bb.764:                              ;   in Loop: Header=BB116_3 Depth=1
	ds_store_b32 v54, v24
; %bb.765:                              ;   in Loop: Header=BB116_3 Depth=1
	s_or_b32 exec_lo, exec_lo, s40
	s_wait_dscnt 0x0
	s_barrier_signal -1
	s_barrier_wait -1
	s_barrier_signal -1
	s_barrier_wait -1
	s_and_saveexec_b32 s40, s5
; %bb.766:                              ;   in Loop: Header=BB116_3 Depth=1
	v_xor_b32_e32 v24, 0x80000000, v24
	ds_store_b32 v55, v24 offset:8352
; %bb.767:                              ;   in Loop: Header=BB116_3 Depth=1
	s_or_b32 exec_lo, exec_lo, s40
	s_wait_dscnt 0x0
	s_barrier_signal -1
	s_barrier_wait -1
	s_barrier_signal -1
	s_barrier_wait -1
	s_and_saveexec_b32 s40, s38
	s_cbranch_execz .LBB116_769
; %bb.768:                              ;   in Loop: Header=BB116_3 Depth=1
	ds_load_b32 v24, v42 offset:8352
	s_wait_dscnt 0x0
	ds_store_b32 v46, v24 offset:10368
	ds_load_b32 v24, v42 offset:8356
	s_wait_dscnt 0x0
	ds_store_b32 v46, v24 offset:10624
	;; [unrolled: 3-line block ×8, first 2 shown]
.LBB116_769:                            ;   in Loop: Header=BB116_3 Depth=1
	s_or_b32 exec_lo, exec_lo, s40
	s_wait_dscnt 0x0
	s_barrier_signal -1
	s_barrier_wait -1
	s_and_saveexec_b32 s40, s11
	s_cbranch_execz .LBB116_771
; %bb.770:                              ;   in Loop: Header=BB116_3 Depth=1
	ds_load_b32 v24, v5 offset:10404
	ds_store_b32 v5, v25 offset:10400
	s_wait_dscnt 0x1
	ds_store_b64 v5, v[24:25] offset:10656
.LBB116_771:                            ;   in Loop: Header=BB116_3 Depth=1
	s_or_b32 exec_lo, exec_lo, s40
	v_mov_b32_e32 v24, 0
	s_wait_dscnt 0x0
	s_barrier_signal -1
	s_barrier_wait -1
	s_and_saveexec_b32 s40, s2
	s_cbranch_execz .LBB116_775
; %bb.772:                              ;   in Loop: Header=BB116_3 Depth=1
	ds_load_b32 v24, v39 offset:10408
	ds_load_b32 v30, v40 offset:10400
	s_wait_dscnt 0x0
	v_fma_f32 v24, v24, v30, 0
	s_and_saveexec_b32 s41, s12
	s_cbranch_execz .LBB116_774
; %bb.773:                              ;   in Loop: Header=BB116_3 Depth=1
	ds_load_b32 v30, v46 offset:10664
	ds_load_b32 v31, v5 offset:10404
	s_wait_dscnt 0x0
	v_fmac_f32_e32 v24, v30, v31
.LBB116_774:                            ;   in Loop: Header=BB116_3 Depth=1
	s_or_b32 exec_lo, exec_lo, s41
	s_delay_alu instid0(VALU_DEP_1)
	v_xor_b32_e32 v24, 0x80000000, v24
.LBB116_775:                            ;   in Loop: Header=BB116_3 Depth=1
	s_or_b32 exec_lo, exec_lo, s40
	s_and_saveexec_b32 s40, s88
; %bb.776:                              ;   in Loop: Header=BB116_3 Depth=1
	ds_store_b32 v37, v24
; %bb.777:                              ;   in Loop: Header=BB116_3 Depth=1
	s_or_b32 exec_lo, exec_lo, s40
	s_wait_dscnt 0x0
	s_barrier_signal -1
	s_barrier_wait -1
	s_and_saveexec_b32 s40, s89
	s_cbranch_execz .LBB116_779
; %bb.778:                              ;   in Loop: Header=BB116_3 Depth=1
	ds_load_b32 v30, v5 offset:10924
	ds_load_b32 v31, v37
	s_wait_dscnt 0x0
	v_fmac_f32_e32 v24, v30, v31
.LBB116_779:                            ;   in Loop: Header=BB116_3 Depth=1
	s_or_b32 exec_lo, exec_lo, s40
	s_barrier_signal -1
	s_barrier_wait -1
	s_and_saveexec_b32 s40, s89
; %bb.780:                              ;   in Loop: Header=BB116_3 Depth=1
	ds_store_b32 v37, v24
; %bb.781:                              ;   in Loop: Header=BB116_3 Depth=1
	s_or_b32 exec_lo, exec_lo, s40
	s_wait_dscnt 0x0
	s_barrier_signal -1
	s_barrier_wait -1
	s_barrier_signal -1
	s_barrier_wait -1
	s_and_saveexec_b32 s40, s2
; %bb.782:                              ;   in Loop: Header=BB116_3 Depth=1
	v_xor_b32_e32 v24, 0x80000000, v24
	ds_store_b32 v39, v24 offset:10408
; %bb.783:                              ;   in Loop: Header=BB116_3 Depth=1
	s_or_b32 exec_lo, exec_lo, s40
	s_wait_dscnt 0x0
	s_barrier_signal -1
	s_barrier_wait -1
	s_barrier_signal -1
	s_barrier_wait -1
	s_and_saveexec_b32 s40, s90
	s_cbranch_execz .LBB116_785
; %bb.784:                              ;   in Loop: Header=BB116_3 Depth=1
	ds_load_b32 v24, v50 offset:10408
	s_wait_dscnt 0x0
	ds_store_b32 v46, v24 offset:10912
	ds_load_b32 v24, v50 offset:10412
	s_wait_dscnt 0x0
	ds_store_b32 v46, v24 offset:11168
.LBB116_785:                            ;   in Loop: Header=BB116_3 Depth=1
	s_or_b32 exec_lo, exec_lo, s40
	s_wait_dscnt 0x0
	s_barrier_signal -1
	s_barrier_wait -1
	s_and_saveexec_b32 s40, s11
	s_cbranch_execz .LBB116_787
; %bb.786:                              ;   in Loop: Header=BB116_3 Depth=1
	ds_load_b32 v24, v5 offset:10924
	ds_store_b32 v5, v25 offset:10920
	s_wait_dscnt 0x1
	ds_store_b64 v5, v[24:25] offset:11176
.LBB116_787:                            ;   in Loop: Header=BB116_3 Depth=1
	s_or_b32 exec_lo, exec_lo, s40
	v_mov_b32_e32 v24, 0
	s_wait_dscnt 0x0
	s_barrier_signal -1
	s_barrier_wait -1
	s_and_saveexec_b32 s40, s4
	s_cbranch_execz .LBB116_793
; %bb.788:                              ;   in Loop: Header=BB116_3 Depth=1
	ds_load_b32 v24, v48 offset:10416
	ds_load_b32 v30, v41 offset:10400
	s_wait_dscnt 0x0
	v_fma_f32 v24, v24, v30, 0
	s_and_saveexec_b32 s41, s13
	s_cbranch_execnz .LBB116_1209
; %bb.789:                              ;   in Loop: Header=BB116_3 Depth=1
	s_or_b32 exec_lo, exec_lo, s41
	s_and_saveexec_b32 s41, s14
	s_cbranch_execnz .LBB116_1210
.LBB116_790:                            ;   in Loop: Header=BB116_3 Depth=1
	s_or_b32 exec_lo, exec_lo, s41
	s_and_saveexec_b32 s41, s2
	s_cbranch_execz .LBB116_792
.LBB116_791:                            ;   in Loop: Header=BB116_3 Depth=1
	ds_load_b32 v30, v53 offset:11184
	ds_load_b32 v31, v5 offset:10412
	s_wait_dscnt 0x0
	v_fmac_f32_e32 v24, v30, v31
.LBB116_792:                            ;   in Loop: Header=BB116_3 Depth=1
	s_or_b32 exec_lo, exec_lo, s41
	s_delay_alu instid0(VALU_DEP_1)
	v_xor_b32_e32 v24, 0x80000000, v24
.LBB116_793:                            ;   in Loop: Header=BB116_3 Depth=1
	s_or_b32 exec_lo, exec_lo, s40
	s_and_saveexec_b32 s40, s91
; %bb.794:                              ;   in Loop: Header=BB116_3 Depth=1
	ds_store_b32 v47, v24
; %bb.795:                              ;   in Loop: Header=BB116_3 Depth=1
	s_or_b32 exec_lo, exec_lo, s40
	s_wait_dscnt 0x0
	s_barrier_signal -1
	s_barrier_wait -1
	s_and_saveexec_b32 s40, s92
	s_cbranch_execz .LBB116_797
; %bb.796:                              ;   in Loop: Header=BB116_3 Depth=1
	ds_load_b32 v30, v45 offset:11440
	ds_load_b32 v31, v47
	s_wait_dscnt 0x0
	v_fmac_f32_e32 v24, v30, v31
.LBB116_797:                            ;   in Loop: Header=BB116_3 Depth=1
	s_or_b32 exec_lo, exec_lo, s40
	s_barrier_signal -1
	s_barrier_wait -1
	s_and_saveexec_b32 s40, s93
; %bb.798:                              ;   in Loop: Header=BB116_3 Depth=1
	ds_store_b32 v47, v24
; %bb.799:                              ;   in Loop: Header=BB116_3 Depth=1
	s_or_b32 exec_lo, exec_lo, s40
	s_wait_dscnt 0x0
	s_barrier_signal -1
	s_barrier_wait -1
	s_and_saveexec_b32 s40, s94
	s_cbranch_execz .LBB116_801
; %bb.800:                              ;   in Loop: Header=BB116_3 Depth=1
	ds_load_b32 v30, v45 offset:11696
	ds_load_b32 v31, v47
	s_wait_dscnt 0x0
	v_fmac_f32_e32 v24, v30, v31
.LBB116_801:                            ;   in Loop: Header=BB116_3 Depth=1
	s_or_b32 exec_lo, exec_lo, s40
	s_barrier_signal -1
	s_barrier_wait -1
	;; [unrolled: 19-line block ×3, first 2 shown]
	s_and_saveexec_b32 s40, s96
; %bb.806:                              ;   in Loop: Header=BB116_3 Depth=1
	ds_store_b32 v47, v24
; %bb.807:                              ;   in Loop: Header=BB116_3 Depth=1
	s_or_b32 exec_lo, exec_lo, s40
	s_wait_dscnt 0x0
	s_barrier_signal -1
	s_barrier_wait -1
	s_barrier_signal -1
	s_barrier_wait -1
	s_and_saveexec_b32 s40, s4
; %bb.808:                              ;   in Loop: Header=BB116_3 Depth=1
	v_xor_b32_e32 v24, 0x80000000, v24
	ds_store_b32 v48, v24 offset:10416
; %bb.809:                              ;   in Loop: Header=BB116_3 Depth=1
	s_or_b32 exec_lo, exec_lo, s40
	s_wait_dscnt 0x0
	s_barrier_signal -1
	s_barrier_wait -1
	s_barrier_signal -1
	s_barrier_wait -1
	s_and_saveexec_b32 s40, s97
	s_cbranch_execz .LBB116_811
; %bb.810:                              ;   in Loop: Header=BB116_3 Depth=1
	ds_load_b32 v24, v56 offset:10416
	s_wait_dscnt 0x0
	ds_store_b32 v59, v24 offset:11424
	ds_load_b32 v24, v56 offset:10420
	s_wait_dscnt 0x0
	ds_store_b32 v59, v24 offset:11680
	;; [unrolled: 3-line block ×4, first 2 shown]
.LBB116_811:                            ;   in Loop: Header=BB116_3 Depth=1
	s_or_b32 exec_lo, exec_lo, s40
	s_wait_dscnt 0x0
	s_barrier_signal -1
	s_barrier_wait -1
	s_and_saveexec_b32 s40, s11
	s_cbranch_execz .LBB116_813
; %bb.812:                              ;   in Loop: Header=BB116_3 Depth=1
	ds_load_b32 v24, v5 offset:11444
	ds_store_b32 v5, v25 offset:11440
	s_wait_dscnt 0x1
	ds_store_b64 v5, v[24:25] offset:11696
.LBB116_813:                            ;   in Loop: Header=BB116_3 Depth=1
	s_or_b32 exec_lo, exec_lo, s40
	v_mov_b32_e32 v24, 0
	s_wait_dscnt 0x0
	s_barrier_signal -1
	s_barrier_wait -1
	s_and_saveexec_b32 s40, s2
	s_cbranch_execz .LBB116_817
; %bb.814:                              ;   in Loop: Header=BB116_3 Depth=1
	ds_load_b32 v24, v39 offset:11448
	ds_load_b32 v30, v40 offset:11440
	s_wait_dscnt 0x0
	v_fma_f32 v24, v24, v30, 0
	s_and_saveexec_b32 s41, s12
	s_cbranch_execz .LBB116_816
; %bb.815:                              ;   in Loop: Header=BB116_3 Depth=1
	ds_load_b32 v30, v59 offset:11704
	ds_load_b32 v31, v5 offset:11444
	s_wait_dscnt 0x0
	v_fmac_f32_e32 v24, v30, v31
.LBB116_816:                            ;   in Loop: Header=BB116_3 Depth=1
	s_or_b32 exec_lo, exec_lo, s41
	s_delay_alu instid0(VALU_DEP_1)
	v_xor_b32_e32 v24, 0x80000000, v24
.LBB116_817:                            ;   in Loop: Header=BB116_3 Depth=1
	s_or_b32 exec_lo, exec_lo, s40
	s_and_saveexec_b32 s40, s88
; %bb.818:                              ;   in Loop: Header=BB116_3 Depth=1
	ds_store_b32 v37, v24
; %bb.819:                              ;   in Loop: Header=BB116_3 Depth=1
	s_or_b32 exec_lo, exec_lo, s40
	s_wait_dscnt 0x0
	s_barrier_signal -1
	s_barrier_wait -1
	s_and_saveexec_b32 s40, s89
	s_cbranch_execz .LBB116_821
; %bb.820:                              ;   in Loop: Header=BB116_3 Depth=1
	ds_load_b32 v30, v5 offset:11964
	ds_load_b32 v31, v37
	s_wait_dscnt 0x0
	v_fmac_f32_e32 v24, v30, v31
.LBB116_821:                            ;   in Loop: Header=BB116_3 Depth=1
	s_or_b32 exec_lo, exec_lo, s40
	s_barrier_signal -1
	s_barrier_wait -1
	s_and_saveexec_b32 s40, s89
; %bb.822:                              ;   in Loop: Header=BB116_3 Depth=1
	ds_store_b32 v37, v24
; %bb.823:                              ;   in Loop: Header=BB116_3 Depth=1
	s_or_b32 exec_lo, exec_lo, s40
	s_wait_dscnt 0x0
	s_barrier_signal -1
	s_barrier_wait -1
	s_barrier_signal -1
	s_barrier_wait -1
	s_and_saveexec_b32 s40, s2
; %bb.824:                              ;   in Loop: Header=BB116_3 Depth=1
	v_xor_b32_e32 v24, 0x80000000, v24
	ds_store_b32 v39, v24 offset:11448
; %bb.825:                              ;   in Loop: Header=BB116_3 Depth=1
	s_or_b32 exec_lo, exec_lo, s40
	s_wait_dscnt 0x0
	s_barrier_signal -1
	s_barrier_wait -1
	s_barrier_signal -1
	s_barrier_wait -1
	s_and_saveexec_b32 s40, s90
	s_cbranch_execz .LBB116_827
; %bb.826:                              ;   in Loop: Header=BB116_3 Depth=1
	v_add_nc_u32_e32 v24, v59, v44
	ds_load_b32 v30, v24 offset:11448
	s_wait_dscnt 0x0
	ds_store_b32 v59, v30 offset:11952
	ds_load_b32 v24, v24 offset:11452
	s_wait_dscnt 0x0
	ds_store_b32 v59, v24 offset:12208
.LBB116_827:                            ;   in Loop: Header=BB116_3 Depth=1
	s_or_b32 exec_lo, exec_lo, s40
	s_wait_dscnt 0x0
	s_barrier_signal -1
	s_barrier_wait -1
	s_and_saveexec_b32 s40, s11
	s_cbranch_execz .LBB116_829
; %bb.828:                              ;   in Loop: Header=BB116_3 Depth=1
	ds_load_b32 v24, v5 offset:11964
	ds_store_b32 v5, v25 offset:11960
	s_wait_dscnt 0x1
	ds_store_b64 v5, v[24:25] offset:12216
.LBB116_829:                            ;   in Loop: Header=BB116_3 Depth=1
	s_or_b32 exec_lo, exec_lo, s40
	v_mov_b32_e32 v24, 0
	s_wait_dscnt 0x0
	s_barrier_signal -1
	s_barrier_wait -1
	s_and_saveexec_b32 s40, s6
	s_cbranch_execz .LBB116_857
; %bb.830:                              ;   in Loop: Header=BB116_3 Depth=1
	ds_load_b32 v24, v65 offset:8384
	ds_load_b32 v30, v57 offset:8320
	s_wait_dscnt 0x0
	v_fma_f32 v24, v24, v30, 0
	s_mov_b32 s41, exec_lo
	v_readlane_b32 s42, v93, 17
	s_and_b32 s42, s41, s42
	s_delay_alu instid0(SALU_CYCLE_1)
	s_mov_b32 exec_lo, s42
	s_cbranch_execz .LBB116_832
; %bb.831:                              ;   in Loop: Header=BB116_3 Depth=1
	ds_load_b32 v30, v66 offset:8640
	ds_load_b32 v31, v57 offset:8324
	s_wait_dscnt 0x0
	v_fmac_f32_e32 v24, v30, v31
.LBB116_832:                            ;   in Loop: Header=BB116_3 Depth=1
	s_or_b32 exec_lo, exec_lo, s41
	s_delay_alu instid0(SALU_CYCLE_1) | instskip(SKIP_2) | instid1(SALU_CYCLE_1)
	s_mov_b32 s41, exec_lo
	v_readlane_b32 s42, v93, 18
	s_and_b32 s42, s41, s42
	s_mov_b32 exec_lo, s42
	s_cbranch_execz .LBB116_834
; %bb.833:                              ;   in Loop: Header=BB116_3 Depth=1
	ds_load_b32 v30, v66 offset:8896
	ds_load_b32 v31, v57 offset:8328
	s_wait_dscnt 0x0
	v_fmac_f32_e32 v24, v30, v31
.LBB116_834:                            ;   in Loop: Header=BB116_3 Depth=1
	s_or_b32 exec_lo, exec_lo, s41
	s_delay_alu instid0(SALU_CYCLE_1) | instskip(SKIP_2) | instid1(SALU_CYCLE_1)
	s_mov_b32 s41, exec_lo
	v_readlane_b32 s42, v93, 19
	s_and_b32 s42, s41, s42
	;; [unrolled: 13-line block ×10, first 2 shown]
	s_mov_b32 exec_lo, s42
	s_cbranch_execnz .LBB116_1211
; %bb.851:                              ;   in Loop: Header=BB116_3 Depth=1
	s_or_b32 exec_lo, exec_lo, s41
	s_and_saveexec_b32 s41, s5
	s_cbranch_execnz .LBB116_1212
.LBB116_852:                            ;   in Loop: Header=BB116_3 Depth=1
	s_or_b32 exec_lo, exec_lo, s41
	s_and_saveexec_b32 s41, s16
	s_cbranch_execnz .LBB116_1213
.LBB116_853:                            ;   in Loop: Header=BB116_3 Depth=1
	s_or_b32 exec_lo, exec_lo, s41
	s_and_saveexec_b32 s41, s18
	s_cbranch_execnz .LBB116_1214
.LBB116_854:                            ;   in Loop: Header=BB116_3 Depth=1
	s_or_b32 exec_lo, exec_lo, s41
	s_and_saveexec_b32 s41, s4
	s_cbranch_execz .LBB116_856
.LBB116_855:                            ;   in Loop: Header=BB116_3 Depth=1
	ds_load_b32 v30, v3 offset:12224
	ds_load_b32 v31, v5 offset:8380
	s_wait_dscnt 0x0
	v_fmac_f32_e32 v24, v30, v31
.LBB116_856:                            ;   in Loop: Header=BB116_3 Depth=1
	s_or_b32 exec_lo, exec_lo, s41
	s_delay_alu instid0(VALU_DEP_1)
	v_xor_b32_e32 v24, 0x80000000, v24
.LBB116_857:                            ;   in Loop: Header=BB116_3 Depth=1
	s_or_b32 exec_lo, exec_lo, s40
	s_delay_alu instid0(SALU_CYCLE_1) | instskip(SKIP_2) | instid1(SALU_CYCLE_1)
	s_mov_b32 s40, exec_lo
	v_readlane_b32 s41, v95, 3
	s_and_b32 s41, s40, s41
	s_mov_b32 exec_lo, s41
; %bb.858:                              ;   in Loop: Header=BB116_3 Depth=1
	ds_store_b32 v64, v24
; %bb.859:                              ;   in Loop: Header=BB116_3 Depth=1
	s_or_b32 exec_lo, exec_lo, s40
	s_wait_dscnt 0x0
	s_barrier_signal -1
	s_barrier_wait -1
	s_mov_b32 s40, exec_lo
	v_readlane_b32 s41, v95, 4
	s_and_b32 s41, s40, s41
	s_delay_alu instid0(SALU_CYCLE_1)
	s_mov_b32 exec_lo, s41
	s_cbranch_execz .LBB116_861
; %bb.860:                              ;   in Loop: Header=BB116_3 Depth=1
	ds_load_b32 v30, v60 offset:12480
	ds_load_b32 v31, v64
	s_wait_dscnt 0x0
	v_fmac_f32_e32 v24, v30, v31
.LBB116_861:                            ;   in Loop: Header=BB116_3 Depth=1
	s_or_b32 exec_lo, exec_lo, s40
	s_barrier_signal -1
	s_barrier_wait -1
	s_mov_b32 s40, exec_lo
	v_readlane_b32 s41, v95, 5
	s_and_b32 s41, s40, s41
	s_delay_alu instid0(SALU_CYCLE_1)
	s_mov_b32 exec_lo, s41
; %bb.862:                              ;   in Loop: Header=BB116_3 Depth=1
	ds_store_b32 v64, v24
; %bb.863:                              ;   in Loop: Header=BB116_3 Depth=1
	s_or_b32 exec_lo, exec_lo, s40
	s_wait_dscnt 0x0
	s_barrier_signal -1
	s_barrier_wait -1
	s_mov_b32 s40, exec_lo
	v_readlane_b32 s41, v95, 6
	s_and_b32 s41, s40, s41
	s_delay_alu instid0(SALU_CYCLE_1)
	s_mov_b32 exec_lo, s41
	s_cbranch_execz .LBB116_865
; %bb.864:                              ;   in Loop: Header=BB116_3 Depth=1
	ds_load_b32 v30, v60 offset:12736
	ds_load_b32 v31, v64
	s_wait_dscnt 0x0
	v_fmac_f32_e32 v24, v30, v31
.LBB116_865:                            ;   in Loop: Header=BB116_3 Depth=1
	s_or_b32 exec_lo, exec_lo, s40
	s_barrier_signal -1
	s_barrier_wait -1
	s_mov_b32 s40, exec_lo
	v_readlane_b32 s41, v95, 7
	s_and_b32 s41, s40, s41
	s_delay_alu instid0(SALU_CYCLE_1)
	s_mov_b32 exec_lo, s41
; %bb.866:                              ;   in Loop: Header=BB116_3 Depth=1
	ds_store_b32 v64, v24
; %bb.867:                              ;   in Loop: Header=BB116_3 Depth=1
	s_or_b32 exec_lo, exec_lo, s40
	s_wait_dscnt 0x0
	s_barrier_signal -1
	s_barrier_wait -1
	s_mov_b32 s40, exec_lo
	v_readlane_b32 s41, v95, 8
	s_and_b32 s41, s40, s41
	s_delay_alu instid0(SALU_CYCLE_1)
	s_mov_b32 exec_lo, s41
	s_cbranch_execz .LBB116_869
; %bb.868:                              ;   in Loop: Header=BB116_3 Depth=1
	ds_load_b32 v30, v60 offset:12992
	ds_load_b32 v31, v64
	s_wait_dscnt 0x0
	v_fmac_f32_e32 v24, v30, v31
.LBB116_869:                            ;   in Loop: Header=BB116_3 Depth=1
	s_or_b32 exec_lo, exec_lo, s40
	s_barrier_signal -1
	s_barrier_wait -1
	s_and_saveexec_b32 s40, s45
; %bb.870:                              ;   in Loop: Header=BB116_3 Depth=1
	ds_store_b32 v64, v24
; %bb.871:                              ;   in Loop: Header=BB116_3 Depth=1
	s_or_b32 exec_lo, exec_lo, s40
	s_wait_dscnt 0x0
	s_barrier_signal -1
	s_barrier_wait -1
	s_and_saveexec_b32 s40, s46
	s_cbranch_execz .LBB116_873
; %bb.872:                              ;   in Loop: Header=BB116_3 Depth=1
	ds_load_b32 v30, v60 offset:13248
	ds_load_b32 v31, v64
	s_wait_dscnt 0x0
	v_fmac_f32_e32 v24, v30, v31
.LBB116_873:                            ;   in Loop: Header=BB116_3 Depth=1
	s_or_b32 exec_lo, exec_lo, s40
	s_barrier_signal -1
	s_barrier_wait -1
	s_and_saveexec_b32 s40, s47
; %bb.874:                              ;   in Loop: Header=BB116_3 Depth=1
	ds_store_b32 v64, v24
; %bb.875:                              ;   in Loop: Header=BB116_3 Depth=1
	s_or_b32 exec_lo, exec_lo, s40
	s_wait_dscnt 0x0
	s_barrier_signal -1
	s_barrier_wait -1
	s_and_saveexec_b32 s40, s48
	;; [unrolled: 19-line block ×12, first 2 shown]
	s_cbranch_execz .LBB116_917
; %bb.916:                              ;   in Loop: Header=BB116_3 Depth=1
	ds_load_b32 v30, v5 offset:16124
	ds_load_b32 v31, v64
	s_wait_dscnt 0x0
	v_fmac_f32_e32 v24, v30, v31
.LBB116_917:                            ;   in Loop: Header=BB116_3 Depth=1
	s_or_b32 exec_lo, exec_lo, s40
	s_barrier_signal -1
	s_barrier_wait -1
	s_and_saveexec_b32 s40, s25
; %bb.918:                              ;   in Loop: Header=BB116_3 Depth=1
	ds_store_b32 v64, v24
; %bb.919:                              ;   in Loop: Header=BB116_3 Depth=1
	s_or_b32 exec_lo, exec_lo, s40
	s_wait_dscnt 0x0
	s_barrier_signal -1
	s_barrier_wait -1
	s_barrier_signal -1
	s_barrier_wait -1
	s_and_saveexec_b32 s40, s6
; %bb.920:                              ;   in Loop: Header=BB116_3 Depth=1
	v_xor_b32_e32 v24, 0x80000000, v24
	ds_store_b32 v65, v24 offset:8384
; %bb.921:                              ;   in Loop: Header=BB116_3 Depth=1
	s_or_b32 exec_lo, exec_lo, s40
	s_wait_dscnt 0x0
	s_barrier_signal -1
	s_barrier_wait -1
	s_barrier_signal -1
	s_barrier_wait -1
	s_and_saveexec_b32 s40, s27
	s_cbranch_execz .LBB116_923
; %bb.922:                              ;   in Loop: Header=BB116_3 Depth=1
	ds_load_b32 v24, v7 offset:8384
	s_wait_dscnt 0x0
	ds_store_b32 v9, v24 offset:12416
	ds_load_b32 v24, v7 offset:8388
	s_wait_dscnt 0x0
	ds_store_b32 v9, v24 offset:12672
	ds_load_b32 v24, v7 offset:8392
	s_wait_dscnt 0x0
	ds_store_b32 v9, v24 offset:12928
	ds_load_b32 v24, v7 offset:8396
	s_wait_dscnt 0x0
	ds_store_b32 v9, v24 offset:13184
	ds_load_b32 v24, v7 offset:8400
	s_wait_dscnt 0x0
	ds_store_b32 v9, v24 offset:13440
	ds_load_b32 v24, v7 offset:8404
	s_wait_dscnt 0x0
	ds_store_b32 v9, v24 offset:13696
	ds_load_b32 v24, v7 offset:8408
	s_wait_dscnt 0x0
	ds_store_b32 v9, v24 offset:13952
	ds_load_b32 v24, v7 offset:8412
	s_wait_dscnt 0x0
	ds_store_b32 v9, v24 offset:14208
	ds_load_b32 v24, v7 offset:8416
	s_wait_dscnt 0x0
	ds_store_b32 v9, v24 offset:14464
	ds_load_b32 v24, v7 offset:8420
	s_wait_dscnt 0x0
	ds_store_b32 v9, v24 offset:14720
	ds_load_b32 v24, v7 offset:8424
	s_wait_dscnt 0x0
	ds_store_b32 v9, v24 offset:14976
	ds_load_b32 v24, v7 offset:8428
	s_wait_dscnt 0x0
	ds_store_b32 v9, v24 offset:15232
	ds_load_b32 v24, v7 offset:8432
	s_wait_dscnt 0x0
	ds_store_b32 v9, v24 offset:15488
	ds_load_b32 v24, v7 offset:8436
	s_wait_dscnt 0x0
	ds_store_b32 v9, v24 offset:15744
	ds_load_b32 v24, v7 offset:8440
	s_wait_dscnt 0x0
	ds_store_b32 v9, v24 offset:16000
	ds_load_b32 v24, v7 offset:8444
	s_wait_dscnt 0x0
	ds_store_b32 v9, v24 offset:16256
.LBB116_923:                            ;   in Loop: Header=BB116_3 Depth=1
	s_or_b32 exec_lo, exec_lo, s40
	s_wait_dscnt 0x0
	s_barrier_signal -1
	s_barrier_wait -1
	s_and_saveexec_b32 s40, s11
	s_cbranch_execz .LBB116_925
; %bb.924:                              ;   in Loop: Header=BB116_3 Depth=1
	ds_load_b32 v24, v5 offset:12484
	ds_store_b32 v5, v25 offset:12480
	s_wait_dscnt 0x1
	ds_store_b64 v5, v[24:25] offset:12736
.LBB116_925:                            ;   in Loop: Header=BB116_3 Depth=1
	s_or_b32 exec_lo, exec_lo, s40
	v_mov_b32_e32 v24, 0
	s_wait_dscnt 0x0
	s_barrier_signal -1
	s_barrier_wait -1
	s_and_saveexec_b32 s40, s2
	s_cbranch_execz .LBB116_929
; %bb.926:                              ;   in Loop: Header=BB116_3 Depth=1
	ds_load_b32 v24, v39 offset:12488
	ds_load_b32 v30, v40 offset:12480
	s_wait_dscnt 0x0
	v_fma_f32 v24, v24, v30, 0
	s_and_saveexec_b32 s41, s12
	s_cbranch_execz .LBB116_928
; %bb.927:                              ;   in Loop: Header=BB116_3 Depth=1
	ds_load_b32 v30, v3 offset:12744
	ds_load_b32 v31, v5 offset:12484
	s_wait_dscnt 0x0
	v_fmac_f32_e32 v24, v30, v31
.LBB116_928:                            ;   in Loop: Header=BB116_3 Depth=1
	s_or_b32 exec_lo, exec_lo, s41
	s_delay_alu instid0(VALU_DEP_1)
	v_xor_b32_e32 v24, 0x80000000, v24
.LBB116_929:                            ;   in Loop: Header=BB116_3 Depth=1
	s_or_b32 exec_lo, exec_lo, s40
	s_and_saveexec_b32 s40, s88
; %bb.930:                              ;   in Loop: Header=BB116_3 Depth=1
	ds_store_b32 v37, v24
; %bb.931:                              ;   in Loop: Header=BB116_3 Depth=1
	s_or_b32 exec_lo, exec_lo, s40
	s_wait_dscnt 0x0
	s_barrier_signal -1
	s_barrier_wait -1
	s_and_saveexec_b32 s40, s89
	s_cbranch_execz .LBB116_933
; %bb.932:                              ;   in Loop: Header=BB116_3 Depth=1
	ds_load_b32 v30, v5 offset:13004
	ds_load_b32 v31, v37
	s_wait_dscnt 0x0
	v_fmac_f32_e32 v24, v30, v31
.LBB116_933:                            ;   in Loop: Header=BB116_3 Depth=1
	s_or_b32 exec_lo, exec_lo, s40
	s_barrier_signal -1
	s_barrier_wait -1
	s_and_saveexec_b32 s40, s89
; %bb.934:                              ;   in Loop: Header=BB116_3 Depth=1
	ds_store_b32 v37, v24
; %bb.935:                              ;   in Loop: Header=BB116_3 Depth=1
	s_or_b32 exec_lo, exec_lo, s40
	s_wait_dscnt 0x0
	s_barrier_signal -1
	s_barrier_wait -1
	s_barrier_signal -1
	s_barrier_wait -1
	s_and_saveexec_b32 s40, s2
; %bb.936:                              ;   in Loop: Header=BB116_3 Depth=1
	v_xor_b32_e32 v24, 0x80000000, v24
	ds_store_b32 v39, v24 offset:12488
; %bb.937:                              ;   in Loop: Header=BB116_3 Depth=1
	s_or_b32 exec_lo, exec_lo, s40
	s_wait_dscnt 0x0
	s_barrier_signal -1
	s_barrier_wait -1
	s_barrier_signal -1
	s_barrier_wait -1
	s_and_saveexec_b32 s40, s90
	s_cbranch_execz .LBB116_939
; %bb.938:                              ;   in Loop: Header=BB116_3 Depth=1
	ds_load_b32 v24, v7 offset:12488
	s_wait_dscnt 0x0
	ds_store_b32 v3, v24 offset:12992
	ds_load_b32 v24, v7 offset:12492
	s_wait_dscnt 0x0
	ds_store_b32 v3, v24 offset:13248
.LBB116_939:                            ;   in Loop: Header=BB116_3 Depth=1
	s_or_b32 exec_lo, exec_lo, s40
	s_wait_dscnt 0x0
	s_barrier_signal -1
	s_barrier_wait -1
	s_and_saveexec_b32 s40, s11
	s_cbranch_execz .LBB116_941
; %bb.940:                              ;   in Loop: Header=BB116_3 Depth=1
	ds_load_b32 v24, v5 offset:13004
	ds_store_b32 v5, v25 offset:13000
	s_wait_dscnt 0x1
	ds_store_b64 v5, v[24:25] offset:13256
.LBB116_941:                            ;   in Loop: Header=BB116_3 Depth=1
	s_or_b32 exec_lo, exec_lo, s40
	v_mov_b32_e32 v24, 0
	s_wait_dscnt 0x0
	s_barrier_signal -1
	s_barrier_wait -1
	s_and_saveexec_b32 s40, s4
	s_cbranch_execz .LBB116_947
; %bb.942:                              ;   in Loop: Header=BB116_3 Depth=1
	ds_load_b32 v24, v48 offset:12496
	ds_load_b32 v30, v41 offset:12480
	s_wait_dscnt 0x0
	v_fma_f32 v24, v24, v30, 0
	s_and_saveexec_b32 s41, s13
	s_cbranch_execnz .LBB116_1215
; %bb.943:                              ;   in Loop: Header=BB116_3 Depth=1
	s_or_b32 exec_lo, exec_lo, s41
	s_and_saveexec_b32 s41, s14
	s_cbranch_execnz .LBB116_1216
.LBB116_944:                            ;   in Loop: Header=BB116_3 Depth=1
	s_or_b32 exec_lo, exec_lo, s41
	s_and_saveexec_b32 s41, s2
	s_cbranch_execz .LBB116_946
.LBB116_945:                            ;   in Loop: Header=BB116_3 Depth=1
	ds_load_b32 v30, v9 offset:13264
	ds_load_b32 v31, v5 offset:12492
	s_wait_dscnt 0x0
	v_fmac_f32_e32 v24, v30, v31
.LBB116_946:                            ;   in Loop: Header=BB116_3 Depth=1
	s_or_b32 exec_lo, exec_lo, s41
	s_delay_alu instid0(VALU_DEP_1)
	v_xor_b32_e32 v24, 0x80000000, v24
.LBB116_947:                            ;   in Loop: Header=BB116_3 Depth=1
	s_or_b32 exec_lo, exec_lo, s40
	s_and_saveexec_b32 s40, s91
; %bb.948:                              ;   in Loop: Header=BB116_3 Depth=1
	ds_store_b32 v47, v24
; %bb.949:                              ;   in Loop: Header=BB116_3 Depth=1
	s_or_b32 exec_lo, exec_lo, s40
	s_wait_dscnt 0x0
	s_barrier_signal -1
	s_barrier_wait -1
	s_and_saveexec_b32 s40, s92
	s_cbranch_execz .LBB116_951
; %bb.950:                              ;   in Loop: Header=BB116_3 Depth=1
	ds_load_b32 v30, v45 offset:13520
	ds_load_b32 v31, v47
	s_wait_dscnt 0x0
	v_fmac_f32_e32 v24, v30, v31
.LBB116_951:                            ;   in Loop: Header=BB116_3 Depth=1
	s_or_b32 exec_lo, exec_lo, s40
	s_barrier_signal -1
	s_barrier_wait -1
	s_and_saveexec_b32 s40, s93
; %bb.952:                              ;   in Loop: Header=BB116_3 Depth=1
	ds_store_b32 v47, v24
; %bb.953:                              ;   in Loop: Header=BB116_3 Depth=1
	s_or_b32 exec_lo, exec_lo, s40
	s_wait_dscnt 0x0
	s_barrier_signal -1
	s_barrier_wait -1
	s_and_saveexec_b32 s40, s94
	s_cbranch_execz .LBB116_955
; %bb.954:                              ;   in Loop: Header=BB116_3 Depth=1
	ds_load_b32 v30, v45 offset:13776
	ds_load_b32 v31, v47
	s_wait_dscnt 0x0
	v_fmac_f32_e32 v24, v30, v31
.LBB116_955:                            ;   in Loop: Header=BB116_3 Depth=1
	s_or_b32 exec_lo, exec_lo, s40
	s_barrier_signal -1
	s_barrier_wait -1
	;; [unrolled: 19-line block ×3, first 2 shown]
	s_and_saveexec_b32 s40, s96
; %bb.960:                              ;   in Loop: Header=BB116_3 Depth=1
	ds_store_b32 v47, v24
; %bb.961:                              ;   in Loop: Header=BB116_3 Depth=1
	s_or_b32 exec_lo, exec_lo, s40
	s_wait_dscnt 0x0
	s_barrier_signal -1
	s_barrier_wait -1
	s_barrier_signal -1
	s_barrier_wait -1
	s_and_saveexec_b32 s40, s4
; %bb.962:                              ;   in Loop: Header=BB116_3 Depth=1
	v_xor_b32_e32 v24, 0x80000000, v24
	ds_store_b32 v48, v24 offset:12496
; %bb.963:                              ;   in Loop: Header=BB116_3 Depth=1
	s_or_b32 exec_lo, exec_lo, s40
	s_wait_dscnt 0x0
	s_barrier_signal -1
	s_barrier_wait -1
	s_barrier_signal -1
	s_barrier_wait -1
	s_and_saveexec_b32 s40, s97
	s_cbranch_execz .LBB116_965
; %bb.964:                              ;   in Loop: Header=BB116_3 Depth=1
	ds_load_b32 v24, v34 offset:12496
	s_wait_dscnt 0x0
	ds_store_b32 v35, v24 offset:13504
	ds_load_b32 v24, v34 offset:12500
	s_wait_dscnt 0x0
	ds_store_b32 v35, v24 offset:13760
	;; [unrolled: 3-line block ×4, first 2 shown]
.LBB116_965:                            ;   in Loop: Header=BB116_3 Depth=1
	s_or_b32 exec_lo, exec_lo, s40
	s_wait_dscnt 0x0
	s_barrier_signal -1
	s_barrier_wait -1
	s_and_saveexec_b32 s40, s11
	s_cbranch_execz .LBB116_967
; %bb.966:                              ;   in Loop: Header=BB116_3 Depth=1
	ds_load_b32 v24, v5 offset:13524
	ds_store_b32 v5, v25 offset:13520
	s_wait_dscnt 0x1
	ds_store_b64 v5, v[24:25] offset:13776
.LBB116_967:                            ;   in Loop: Header=BB116_3 Depth=1
	s_or_b32 exec_lo, exec_lo, s40
	v_mov_b32_e32 v24, 0
	s_wait_dscnt 0x0
	s_barrier_signal -1
	s_barrier_wait -1
	s_and_saveexec_b32 s40, s2
	s_cbranch_execz .LBB116_971
; %bb.968:                              ;   in Loop: Header=BB116_3 Depth=1
	ds_load_b32 v24, v39 offset:13528
	ds_load_b32 v30, v40 offset:13520
	s_wait_dscnt 0x0
	v_fma_f32 v24, v24, v30, 0
	s_and_saveexec_b32 s41, s12
	s_cbranch_execz .LBB116_970
; %bb.969:                              ;   in Loop: Header=BB116_3 Depth=1
	ds_load_b32 v30, v35 offset:13784
	ds_load_b32 v31, v5 offset:13524
	s_wait_dscnt 0x0
	v_fmac_f32_e32 v24, v30, v31
.LBB116_970:                            ;   in Loop: Header=BB116_3 Depth=1
	s_or_b32 exec_lo, exec_lo, s41
	s_delay_alu instid0(VALU_DEP_1)
	v_xor_b32_e32 v24, 0x80000000, v24
.LBB116_971:                            ;   in Loop: Header=BB116_3 Depth=1
	s_or_b32 exec_lo, exec_lo, s40
	s_and_saveexec_b32 s40, s88
; %bb.972:                              ;   in Loop: Header=BB116_3 Depth=1
	ds_store_b32 v37, v24
; %bb.973:                              ;   in Loop: Header=BB116_3 Depth=1
	s_or_b32 exec_lo, exec_lo, s40
	s_wait_dscnt 0x0
	s_barrier_signal -1
	s_barrier_wait -1
	s_and_saveexec_b32 s40, s89
	s_cbranch_execz .LBB116_975
; %bb.974:                              ;   in Loop: Header=BB116_3 Depth=1
	ds_load_b32 v30, v5 offset:14044
	ds_load_b32 v31, v37
	s_wait_dscnt 0x0
	v_fmac_f32_e32 v24, v30, v31
.LBB116_975:                            ;   in Loop: Header=BB116_3 Depth=1
	s_or_b32 exec_lo, exec_lo, s40
	s_barrier_signal -1
	s_barrier_wait -1
	s_and_saveexec_b32 s40, s89
; %bb.976:                              ;   in Loop: Header=BB116_3 Depth=1
	ds_store_b32 v37, v24
; %bb.977:                              ;   in Loop: Header=BB116_3 Depth=1
	s_or_b32 exec_lo, exec_lo, s40
	s_wait_dscnt 0x0
	s_barrier_signal -1
	s_barrier_wait -1
	s_barrier_signal -1
	s_barrier_wait -1
	s_and_saveexec_b32 s40, s2
; %bb.978:                              ;   in Loop: Header=BB116_3 Depth=1
	v_xor_b32_e32 v24, 0x80000000, v24
	ds_store_b32 v39, v24 offset:13528
; %bb.979:                              ;   in Loop: Header=BB116_3 Depth=1
	s_or_b32 exec_lo, exec_lo, s40
	s_wait_dscnt 0x0
	s_barrier_signal -1
	s_barrier_wait -1
	s_barrier_signal -1
	s_barrier_wait -1
	s_and_saveexec_b32 s40, s90
	s_cbranch_execz .LBB116_981
; %bb.980:                              ;   in Loop: Header=BB116_3 Depth=1
	ds_load_b32 v24, v36 offset:13528
	s_wait_dscnt 0x0
	ds_store_b32 v35, v24 offset:14032
	ds_load_b32 v24, v36 offset:13532
	s_wait_dscnt 0x0
	ds_store_b32 v35, v24 offset:14288
.LBB116_981:                            ;   in Loop: Header=BB116_3 Depth=1
	s_or_b32 exec_lo, exec_lo, s40
	s_wait_dscnt 0x0
	s_barrier_signal -1
	s_barrier_wait -1
	s_and_saveexec_b32 s40, s11
	s_cbranch_execz .LBB116_983
; %bb.982:                              ;   in Loop: Header=BB116_3 Depth=1
	ds_load_b32 v24, v5 offset:14044
	ds_store_b32 v5, v25 offset:14040
	s_wait_dscnt 0x1
	ds_store_b64 v5, v[24:25] offset:14296
.LBB116_983:                            ;   in Loop: Header=BB116_3 Depth=1
	s_or_b32 exec_lo, exec_lo, s40
	v_mov_b32_e32 v24, 0
	s_wait_dscnt 0x0
	s_barrier_signal -1
	s_barrier_wait -1
	s_and_saveexec_b32 s40, s5
	s_cbranch_execz .LBB116_993
; %bb.984:                              ;   in Loop: Header=BB116_3 Depth=1
	ds_load_b32 v24, v55 offset:12512
	ds_load_b32 v30, v52 offset:12480
	s_wait_dscnt 0x0
	v_fma_f32 v24, v24, v30, 0
	s_and_saveexec_b32 s41, s15
	s_cbranch_execnz .LBB116_1217
; %bb.985:                              ;   in Loop: Header=BB116_3 Depth=1
	s_or_b32 exec_lo, exec_lo, s41
	s_and_saveexec_b32 s41, s16
	s_cbranch_execnz .LBB116_1218
.LBB116_986:                            ;   in Loop: Header=BB116_3 Depth=1
	s_or_b32 exec_lo, exec_lo, s41
	s_and_saveexec_b32 s41, s17
	s_cbranch_execnz .LBB116_1219
.LBB116_987:                            ;   in Loop: Header=BB116_3 Depth=1
	s_or_b32 exec_lo, exec_lo, s41
	s_and_saveexec_b32 s41, s18
	s_cbranch_execnz .LBB116_1220
.LBB116_988:                            ;   in Loop: Header=BB116_3 Depth=1
	s_or_b32 exec_lo, exec_lo, s41
	s_and_saveexec_b32 s41, s19
	s_cbranch_execnz .LBB116_1221
.LBB116_989:                            ;   in Loop: Header=BB116_3 Depth=1
	s_or_b32 exec_lo, exec_lo, s41
	s_and_saveexec_b32 s41, s4
	s_cbranch_execnz .LBB116_1222
.LBB116_990:                            ;   in Loop: Header=BB116_3 Depth=1
	s_or_b32 exec_lo, exec_lo, s41
	s_and_saveexec_b32 s41, s14
	s_cbranch_execz .LBB116_992
.LBB116_991:                            ;   in Loop: Header=BB116_3 Depth=1
	ds_load_b32 v30, v38 offset:14304
	ds_load_b32 v31, v5 offset:12508
	s_wait_dscnt 0x0
	v_fmac_f32_e32 v24, v30, v31
.LBB116_992:                            ;   in Loop: Header=BB116_3 Depth=1
	s_or_b32 exec_lo, exec_lo, s41
	s_delay_alu instid0(VALU_DEP_1)
	v_xor_b32_e32 v24, 0x80000000, v24
.LBB116_993:                            ;   in Loop: Header=BB116_3 Depth=1
	s_or_b32 exec_lo, exec_lo, s40
	s_and_saveexec_b32 s40, s98
; %bb.994:                              ;   in Loop: Header=BB116_3 Depth=1
	ds_store_b32 v54, v24
; %bb.995:                              ;   in Loop: Header=BB116_3 Depth=1
	s_or_b32 exec_lo, exec_lo, s40
	s_wait_dscnt 0x0
	s_barrier_signal -1
	s_barrier_wait -1
	s_and_saveexec_b32 s40, s99
	s_cbranch_execz .LBB116_997
; %bb.996:                              ;   in Loop: Header=BB116_3 Depth=1
	ds_load_b32 v30, v51 offset:14560
	ds_load_b32 v31, v54
	s_wait_dscnt 0x0
	v_fmac_f32_e32 v24, v30, v31
.LBB116_997:                            ;   in Loop: Header=BB116_3 Depth=1
	s_or_b32 exec_lo, exec_lo, s40
	s_barrier_signal -1
	s_barrier_wait -1
	s_and_saveexec_b32 s40, s100
; %bb.998:                              ;   in Loop: Header=BB116_3 Depth=1
	ds_store_b32 v54, v24
; %bb.999:                              ;   in Loop: Header=BB116_3 Depth=1
	s_or_b32 exec_lo, exec_lo, s40
	s_wait_dscnt 0x0
	s_barrier_signal -1
	s_barrier_wait -1
	s_and_saveexec_b32 s40, s101
	s_cbranch_execz .LBB116_1001
; %bb.1000:                             ;   in Loop: Header=BB116_3 Depth=1
	ds_load_b32 v30, v51 offset:14816
	ds_load_b32 v31, v54
	s_wait_dscnt 0x0
	v_fmac_f32_e32 v24, v30, v31
.LBB116_1001:                           ;   in Loop: Header=BB116_3 Depth=1
	s_or_b32 exec_lo, exec_lo, s40
	s_barrier_signal -1
	s_barrier_wait -1
	s_and_saveexec_b32 s40, s102
; %bb.1002:                             ;   in Loop: Header=BB116_3 Depth=1
	ds_store_b32 v54, v24
; %bb.1003:                             ;   in Loop: Header=BB116_3 Depth=1
	s_or_b32 exec_lo, exec_lo, s40
	s_wait_dscnt 0x0
	s_barrier_signal -1
	s_barrier_wait -1
	s_and_saveexec_b32 s40, s103
	s_cbranch_execz .LBB116_1005
; %bb.1004:                             ;   in Loop: Header=BB116_3 Depth=1
	ds_load_b32 v30, v51 offset:15072
	ds_load_b32 v31, v54
	s_wait_dscnt 0x0
	v_fmac_f32_e32 v24, v30, v31
.LBB116_1005:                           ;   in Loop: Header=BB116_3 Depth=1
	s_or_b32 exec_lo, exec_lo, s40
	s_barrier_signal -1
	s_barrier_wait -1
	s_and_saveexec_b32 s40, s104
; %bb.1006:                             ;   in Loop: Header=BB116_3 Depth=1
	ds_store_b32 v54, v24
; %bb.1007:                             ;   in Loop: Header=BB116_3 Depth=1
	s_or_b32 exec_lo, exec_lo, s40
	s_wait_dscnt 0x0
	s_barrier_signal -1
	s_barrier_wait -1
	s_and_saveexec_b32 s40, vcc_hi
	s_cbranch_execz .LBB116_1009
; %bb.1008:                             ;   in Loop: Header=BB116_3 Depth=1
	ds_load_b32 v30, v51 offset:15328
	ds_load_b32 v31, v54
	s_wait_dscnt 0x0
	v_fmac_f32_e32 v24, v30, v31
.LBB116_1009:                           ;   in Loop: Header=BB116_3 Depth=1
	s_or_b32 exec_lo, exec_lo, s40
	s_barrier_signal -1
	s_barrier_wait -1
	s_and_saveexec_b32 s40, s31
; %bb.1010:                             ;   in Loop: Header=BB116_3 Depth=1
	ds_store_b32 v54, v24
; %bb.1011:                             ;   in Loop: Header=BB116_3 Depth=1
	s_or_b32 exec_lo, exec_lo, s40
	s_wait_dscnt 0x0
	s_barrier_signal -1
	s_barrier_wait -1
	s_and_saveexec_b32 s40, s33
	s_cbranch_execz .LBB116_1013
; %bb.1012:                             ;   in Loop: Header=BB116_3 Depth=1
	ds_load_b32 v30, v51 offset:15584
	ds_load_b32 v31, v54
	s_wait_dscnt 0x0
	v_fmac_f32_e32 v24, v30, v31
.LBB116_1013:                           ;   in Loop: Header=BB116_3 Depth=1
	s_or_b32 exec_lo, exec_lo, s40
	s_barrier_signal -1
	s_barrier_wait -1
	s_and_saveexec_b32 s40, s34
; %bb.1014:                             ;   in Loop: Header=BB116_3 Depth=1
	ds_store_b32 v54, v24
; %bb.1015:                             ;   in Loop: Header=BB116_3 Depth=1
	s_or_b32 exec_lo, exec_lo, s40
	s_wait_dscnt 0x0
	s_barrier_signal -1
	s_barrier_wait -1
	s_and_saveexec_b32 s40, s35
	;; [unrolled: 19-line block ×3, first 2 shown]
	s_cbranch_execz .LBB116_1021
; %bb.1020:                             ;   in Loop: Header=BB116_3 Depth=1
	ds_load_b32 v30, v5 offset:16124
	ds_load_b32 v31, v54
	s_wait_dscnt 0x0
	v_fmac_f32_e32 v24, v30, v31
.LBB116_1021:                           ;   in Loop: Header=BB116_3 Depth=1
	s_or_b32 exec_lo, exec_lo, s40
	s_barrier_signal -1
	s_barrier_wait -1
	s_and_saveexec_b32 s40, s37
; %bb.1022:                             ;   in Loop: Header=BB116_3 Depth=1
	ds_store_b32 v54, v24
; %bb.1023:                             ;   in Loop: Header=BB116_3 Depth=1
	s_or_b32 exec_lo, exec_lo, s40
	s_wait_dscnt 0x0
	s_barrier_signal -1
	s_barrier_wait -1
	s_barrier_signal -1
	s_barrier_wait -1
	s_and_saveexec_b32 s40, s5
; %bb.1024:                             ;   in Loop: Header=BB116_3 Depth=1
	v_xor_b32_e32 v24, 0x80000000, v24
	ds_store_b32 v55, v24 offset:12512
; %bb.1025:                             ;   in Loop: Header=BB116_3 Depth=1
	s_or_b32 exec_lo, exec_lo, s40
	s_wait_dscnt 0x0
	s_barrier_signal -1
	s_barrier_wait -1
	s_barrier_signal -1
	s_barrier_wait -1
	s_and_saveexec_b32 s40, s38
	s_cbranch_execz .LBB116_1027
; %bb.1026:                             ;   in Loop: Header=BB116_3 Depth=1
	ds_load_b32 v24, v42 offset:12512
	s_wait_dscnt 0x0
	ds_store_b32 v46, v24 offset:14528
	ds_load_b32 v24, v42 offset:12516
	s_wait_dscnt 0x0
	ds_store_b32 v46, v24 offset:14784
	;; [unrolled: 3-line block ×8, first 2 shown]
.LBB116_1027:                           ;   in Loop: Header=BB116_3 Depth=1
	s_or_b32 exec_lo, exec_lo, s40
	s_wait_dscnt 0x0
	s_barrier_signal -1
	s_barrier_wait -1
	s_and_saveexec_b32 s40, s11
	s_cbranch_execz .LBB116_1029
; %bb.1028:                             ;   in Loop: Header=BB116_3 Depth=1
	ds_load_b32 v24, v5 offset:14564
	ds_store_b32 v5, v25 offset:14560
	s_wait_dscnt 0x1
	ds_store_b64 v5, v[24:25] offset:14816
.LBB116_1029:                           ;   in Loop: Header=BB116_3 Depth=1
	s_or_b32 exec_lo, exec_lo, s40
	v_mov_b32_e32 v24, 0
	s_wait_dscnt 0x0
	s_barrier_signal -1
	s_barrier_wait -1
	s_and_saveexec_b32 s40, s2
	s_cbranch_execz .LBB116_1033
; %bb.1030:                             ;   in Loop: Header=BB116_3 Depth=1
	ds_load_b32 v24, v39 offset:14568
	ds_load_b32 v30, v40 offset:14560
	s_wait_dscnt 0x0
	v_fma_f32 v24, v24, v30, 0
	s_and_saveexec_b32 s41, s12
	s_cbranch_execz .LBB116_1032
; %bb.1031:                             ;   in Loop: Header=BB116_3 Depth=1
	ds_load_b32 v30, v46 offset:14824
	ds_load_b32 v31, v5 offset:14564
	s_wait_dscnt 0x0
	v_fmac_f32_e32 v24, v30, v31
.LBB116_1032:                           ;   in Loop: Header=BB116_3 Depth=1
	s_or_b32 exec_lo, exec_lo, s41
	s_delay_alu instid0(VALU_DEP_1)
	v_xor_b32_e32 v24, 0x80000000, v24
.LBB116_1033:                           ;   in Loop: Header=BB116_3 Depth=1
	s_or_b32 exec_lo, exec_lo, s40
	s_and_saveexec_b32 s40, s88
; %bb.1034:                             ;   in Loop: Header=BB116_3 Depth=1
	ds_store_b32 v37, v24
; %bb.1035:                             ;   in Loop: Header=BB116_3 Depth=1
	s_or_b32 exec_lo, exec_lo, s40
	s_wait_dscnt 0x0
	s_barrier_signal -1
	s_barrier_wait -1
	s_and_saveexec_b32 s40, s89
	s_cbranch_execz .LBB116_1037
; %bb.1036:                             ;   in Loop: Header=BB116_3 Depth=1
	ds_load_b32 v30, v5 offset:15084
	ds_load_b32 v31, v37
	s_wait_dscnt 0x0
	v_fmac_f32_e32 v24, v30, v31
.LBB116_1037:                           ;   in Loop: Header=BB116_3 Depth=1
	s_or_b32 exec_lo, exec_lo, s40
	s_barrier_signal -1
	s_barrier_wait -1
	s_and_saveexec_b32 s40, s89
; %bb.1038:                             ;   in Loop: Header=BB116_3 Depth=1
	ds_store_b32 v37, v24
; %bb.1039:                             ;   in Loop: Header=BB116_3 Depth=1
	s_or_b32 exec_lo, exec_lo, s40
	s_wait_dscnt 0x0
	s_barrier_signal -1
	s_barrier_wait -1
	s_barrier_signal -1
	s_barrier_wait -1
	s_and_saveexec_b32 s40, s2
; %bb.1040:                             ;   in Loop: Header=BB116_3 Depth=1
	v_xor_b32_e32 v24, 0x80000000, v24
	ds_store_b32 v39, v24 offset:14568
; %bb.1041:                             ;   in Loop: Header=BB116_3 Depth=1
	s_or_b32 exec_lo, exec_lo, s40
	s_wait_dscnt 0x0
	s_barrier_signal -1
	s_barrier_wait -1
	s_barrier_signal -1
	s_barrier_wait -1
	s_and_saveexec_b32 s40, s90
	s_cbranch_execz .LBB116_1043
; %bb.1042:                             ;   in Loop: Header=BB116_3 Depth=1
	ds_load_b32 v24, v50 offset:14568
	s_wait_dscnt 0x0
	ds_store_b32 v46, v24 offset:15072
	ds_load_b32 v24, v50 offset:14572
	s_wait_dscnt 0x0
	ds_store_b32 v46, v24 offset:15328
.LBB116_1043:                           ;   in Loop: Header=BB116_3 Depth=1
	s_or_b32 exec_lo, exec_lo, s40
	s_wait_dscnt 0x0
	s_barrier_signal -1
	s_barrier_wait -1
	s_and_saveexec_b32 s40, s11
	s_cbranch_execz .LBB116_1045
; %bb.1044:                             ;   in Loop: Header=BB116_3 Depth=1
	ds_load_b32 v24, v5 offset:15084
	ds_store_b32 v5, v25 offset:15080
	s_wait_dscnt 0x1
	ds_store_b64 v5, v[24:25] offset:15336
.LBB116_1045:                           ;   in Loop: Header=BB116_3 Depth=1
	s_or_b32 exec_lo, exec_lo, s40
	v_mov_b32_e32 v24, 0
	s_wait_dscnt 0x0
	s_barrier_signal -1
	s_barrier_wait -1
	s_and_saveexec_b32 s40, s4
	s_cbranch_execz .LBB116_1051
; %bb.1046:                             ;   in Loop: Header=BB116_3 Depth=1
	ds_load_b32 v24, v48 offset:14576
	ds_load_b32 v30, v41 offset:14560
	s_wait_dscnt 0x0
	v_fma_f32 v24, v24, v30, 0
	s_and_saveexec_b32 s41, s13
	s_cbranch_execnz .LBB116_1223
; %bb.1047:                             ;   in Loop: Header=BB116_3 Depth=1
	s_or_b32 exec_lo, exec_lo, s41
	s_and_saveexec_b32 s41, s14
	s_cbranch_execnz .LBB116_1224
.LBB116_1048:                           ;   in Loop: Header=BB116_3 Depth=1
	s_or_b32 exec_lo, exec_lo, s41
	s_and_saveexec_b32 s41, s2
	s_cbranch_execz .LBB116_1050
.LBB116_1049:                           ;   in Loop: Header=BB116_3 Depth=1
	ds_load_b32 v30, v53 offset:15344
	ds_load_b32 v31, v5 offset:14572
	s_wait_dscnt 0x0
	v_fmac_f32_e32 v24, v30, v31
.LBB116_1050:                           ;   in Loop: Header=BB116_3 Depth=1
	s_or_b32 exec_lo, exec_lo, s41
	s_delay_alu instid0(VALU_DEP_1)
	v_xor_b32_e32 v24, 0x80000000, v24
.LBB116_1051:                           ;   in Loop: Header=BB116_3 Depth=1
	s_or_b32 exec_lo, exec_lo, s40
	s_and_saveexec_b32 s40, s91
; %bb.1052:                             ;   in Loop: Header=BB116_3 Depth=1
	ds_store_b32 v47, v24
; %bb.1053:                             ;   in Loop: Header=BB116_3 Depth=1
	s_or_b32 exec_lo, exec_lo, s40
	s_wait_dscnt 0x0
	s_barrier_signal -1
	s_barrier_wait -1
	s_and_saveexec_b32 s40, s92
	s_cbranch_execz .LBB116_1055
; %bb.1054:                             ;   in Loop: Header=BB116_3 Depth=1
	ds_load_b32 v30, v45 offset:15600
	ds_load_b32 v31, v47
	s_wait_dscnt 0x0
	v_fmac_f32_e32 v24, v30, v31
.LBB116_1055:                           ;   in Loop: Header=BB116_3 Depth=1
	s_or_b32 exec_lo, exec_lo, s40
	s_barrier_signal -1
	s_barrier_wait -1
	s_and_saveexec_b32 s40, s93
; %bb.1056:                             ;   in Loop: Header=BB116_3 Depth=1
	ds_store_b32 v47, v24
; %bb.1057:                             ;   in Loop: Header=BB116_3 Depth=1
	s_or_b32 exec_lo, exec_lo, s40
	s_wait_dscnt 0x0
	s_barrier_signal -1
	s_barrier_wait -1
	s_and_saveexec_b32 s40, s94
	s_cbranch_execz .LBB116_1059
; %bb.1058:                             ;   in Loop: Header=BB116_3 Depth=1
	ds_load_b32 v30, v45 offset:15856
	ds_load_b32 v31, v47
	s_wait_dscnt 0x0
	v_fmac_f32_e32 v24, v30, v31
.LBB116_1059:                           ;   in Loop: Header=BB116_3 Depth=1
	s_or_b32 exec_lo, exec_lo, s40
	s_barrier_signal -1
	s_barrier_wait -1
	;; [unrolled: 19-line block ×3, first 2 shown]
	s_and_saveexec_b32 s40, s96
; %bb.1064:                             ;   in Loop: Header=BB116_3 Depth=1
	ds_store_b32 v47, v24
; %bb.1065:                             ;   in Loop: Header=BB116_3 Depth=1
	s_or_b32 exec_lo, exec_lo, s40
	s_wait_dscnt 0x0
	s_barrier_signal -1
	s_barrier_wait -1
	s_barrier_signal -1
	s_barrier_wait -1
	s_and_saveexec_b32 s40, s4
; %bb.1066:                             ;   in Loop: Header=BB116_3 Depth=1
	v_xor_b32_e32 v24, 0x80000000, v24
	ds_store_b32 v48, v24 offset:14576
; %bb.1067:                             ;   in Loop: Header=BB116_3 Depth=1
	s_or_b32 exec_lo, exec_lo, s40
	s_wait_dscnt 0x0
	s_barrier_signal -1
	s_barrier_wait -1
	s_barrier_signal -1
	s_barrier_wait -1
	s_and_saveexec_b32 s40, s97
	s_cbranch_execz .LBB116_1069
; %bb.1068:                             ;   in Loop: Header=BB116_3 Depth=1
	ds_load_b32 v24, v56 offset:14576
	s_wait_dscnt 0x0
	ds_store_b32 v59, v24 offset:15584
	ds_load_b32 v24, v56 offset:14580
	s_wait_dscnt 0x0
	ds_store_b32 v59, v24 offset:15840
	ds_load_b32 v24, v56 offset:14584
	s_wait_dscnt 0x0
	ds_store_b32 v59, v24 offset:16096
	ds_load_b32 v24, v56 offset:14588
	s_wait_dscnt 0x0
	ds_store_b32 v59, v24 offset:16352
.LBB116_1069:                           ;   in Loop: Header=BB116_3 Depth=1
	s_or_b32 exec_lo, exec_lo, s40
	s_wait_dscnt 0x0
	s_barrier_signal -1
	s_barrier_wait -1
	s_and_saveexec_b32 s40, s11
	s_cbranch_execz .LBB116_1071
; %bb.1070:                             ;   in Loop: Header=BB116_3 Depth=1
	ds_load_b32 v24, v5 offset:15604
	ds_store_b32 v5, v25 offset:15600
	s_wait_dscnt 0x1
	ds_store_b64 v5, v[24:25] offset:15856
.LBB116_1071:                           ;   in Loop: Header=BB116_3 Depth=1
	s_or_b32 exec_lo, exec_lo, s40
	v_mov_b32_e32 v24, 0
	s_wait_dscnt 0x0
	s_barrier_signal -1
	s_barrier_wait -1
	s_and_saveexec_b32 s40, s2
	s_cbranch_execz .LBB116_1075
; %bb.1072:                             ;   in Loop: Header=BB116_3 Depth=1
	ds_load_b32 v24, v39 offset:15608
	ds_load_b32 v30, v40 offset:15600
	s_wait_dscnt 0x0
	v_fma_f32 v24, v24, v30, 0
	s_and_saveexec_b32 s41, s12
	s_cbranch_execz .LBB116_1074
; %bb.1073:                             ;   in Loop: Header=BB116_3 Depth=1
	ds_load_b32 v30, v59 offset:15864
	ds_load_b32 v31, v5 offset:15604
	s_wait_dscnt 0x0
	v_fmac_f32_e32 v24, v30, v31
.LBB116_1074:                           ;   in Loop: Header=BB116_3 Depth=1
	s_or_b32 exec_lo, exec_lo, s41
	s_delay_alu instid0(VALU_DEP_1)
	v_xor_b32_e32 v24, 0x80000000, v24
.LBB116_1075:                           ;   in Loop: Header=BB116_3 Depth=1
	s_or_b32 exec_lo, exec_lo, s40
	s_and_saveexec_b32 s40, s88
; %bb.1076:                             ;   in Loop: Header=BB116_3 Depth=1
	ds_store_b32 v37, v24
; %bb.1077:                             ;   in Loop: Header=BB116_3 Depth=1
	s_or_b32 exec_lo, exec_lo, s40
	s_wait_dscnt 0x0
	s_barrier_signal -1
	s_barrier_wait -1
	s_and_saveexec_b32 s40, s89
	s_cbranch_execz .LBB116_1079
; %bb.1078:                             ;   in Loop: Header=BB116_3 Depth=1
	ds_load_b32 v30, v5 offset:16124
	ds_load_b32 v31, v37
	s_wait_dscnt 0x0
	v_fmac_f32_e32 v24, v30, v31
.LBB116_1079:                           ;   in Loop: Header=BB116_3 Depth=1
	s_or_b32 exec_lo, exec_lo, s40
	s_barrier_signal -1
	s_barrier_wait -1
	s_and_saveexec_b32 s40, s89
; %bb.1080:                             ;   in Loop: Header=BB116_3 Depth=1
	ds_store_b32 v37, v24
; %bb.1081:                             ;   in Loop: Header=BB116_3 Depth=1
	s_or_b32 exec_lo, exec_lo, s40
	s_wait_dscnt 0x0
	s_barrier_signal -1
	s_barrier_wait -1
	s_barrier_signal -1
	s_barrier_wait -1
	s_and_saveexec_b32 s40, s2
; %bb.1082:                             ;   in Loop: Header=BB116_3 Depth=1
	v_xor_b32_e32 v24, 0x80000000, v24
	ds_store_b32 v39, v24 offset:15608
; %bb.1083:                             ;   in Loop: Header=BB116_3 Depth=1
	s_or_b32 exec_lo, exec_lo, s40
	s_wait_dscnt 0x0
	s_barrier_signal -1
	s_barrier_wait -1
	s_barrier_signal -1
	s_barrier_wait -1
	s_and_saveexec_b32 s40, s90
	s_cbranch_execz .LBB116_1085
; %bb.1084:                             ;   in Loop: Header=BB116_3 Depth=1
	v_add_nc_u32_e32 v24, v59, v44
	ds_load_b32 v30, v24 offset:15608
	s_wait_dscnt 0x0
	ds_store_b32 v59, v30 offset:16112
	ds_load_b32 v24, v24 offset:15612
	s_wait_dscnt 0x0
	ds_store_b32 v59, v24 offset:16368
.LBB116_1085:                           ;   in Loop: Header=BB116_3 Depth=1
	s_or_b32 exec_lo, exec_lo, s40
	s_wait_dscnt 0x0
	s_barrier_signal -1
	s_barrier_wait -1
	s_and_saveexec_b32 s40, s11
	s_cbranch_execz .LBB116_1087
; %bb.1086:                             ;   in Loop: Header=BB116_3 Depth=1
	ds_load_b32 v24, v5 offset:16124
	ds_store_b32 v5, v25 offset:16120
	s_wait_dscnt 0x1
	ds_store_b64 v5, v[24:25] offset:16376
.LBB116_1087:                           ;   in Loop: Header=BB116_3 Depth=1
	s_or_b32 exec_lo, exec_lo, s40
.LBB116_1088:                           ;   in Loop: Header=BB116_3 Depth=1
	v_add_nc_u64_e32 v[28:29], s[70:71], v[28:29]
	s_wait_xcnt 0x0
	v_mov_b32_e32 v24, 0
	s_wait_dscnt 0x0
	s_barrier_signal -1
	s_barrier_wait -1
	s_and_saveexec_b32 s40, s61
	s_cbranch_execz .LBB116_1090
; %bb.1089:                             ;   in Loop: Header=BB116_3 Depth=1
	v_lshl_add_u64 v[30:31], v[0:1], 2, v[28:29]
	v_readlane_b32 s41, v95, 2
	flat_load_b32 v24, v[30:31]
	s_wait_loadcnt_dscnt 0x0
	v_mul_f32_e64 v24, v24, -s41
.LBB116_1090:                           ;   in Loop: Header=BB116_3 Depth=1
	s_or_b32 exec_lo, exec_lo, s40
	s_delay_alu instid0(SALU_CYCLE_1)
	s_and_not1_b32 vcc_lo, exec_lo, s85
	s_cbranch_vccnz .LBB116_1116
; %bb.1091:                             ;   in Loop: Header=BB116_3 Depth=1
	v_mov_b32_e32 v87, -1
	s_lshl_b64 s[40:41], s[62:63], 2
	s_delay_alu instid0(SALU_CYCLE_1)
	s_add_nc_u64 s[80:81], s[74:75], s[40:41]
	s_mov_b32 s40, 0
	s_branch .LBB116_1094
.LBB116_1092:                           ;   in Loop: Header=BB116_1094 Depth=2
	s_wait_xcnt 0x0
	ds_load_b32 v30, v71 offset:192
	s_wait_loadcnt_dscnt 0x0
	v_fmac_f32_e32 v24, v32, v30
.LBB116_1093:                           ;   in Loop: Header=BB116_1094 Depth=2
	s_or_b32 exec_lo, exec_lo, s41
	s_add_co_i32 s40, s40, 1
	s_delay_alu instid0(SALU_CYCLE_1)
	s_cmp_eq_u32 s40, s82
	s_cbranch_scc1 .LBB116_1116
.LBB116_1094:                           ;   Parent Loop BB116_3 Depth=1
                                        ; =>  This Loop Header: Depth=2
                                        ;       Child Loop BB116_1096 Depth 3
	v_cmp_gt_i32_e32 vcc_lo, s40, v87
	s_and_b32 s42, s55, vcc_lo
	s_delay_alu instid0(SALU_CYCLE_1)
	s_and_saveexec_b32 s41, s42
	s_cbranch_execz .LBB116_1097
; %bb.1095:                             ;   in Loop: Header=BB116_1094 Depth=2
	global_load_b32 v87, v5, s[80:81]
	s_wait_loadcnt 0x0
	v_cmp_le_i32_e32 vcc_lo, s40, v87
	s_cbranch_vccnz .LBB116_1097
.LBB116_1096:                           ;   Parent Loop BB116_3 Depth=1
                                        ;     Parent Loop BB116_1094 Depth=2
                                        ; =>    This Inner Loop Header: Depth=3
	global_wb scope:SCOPE_DEV
	s_wait_storecnt 0x0
	global_inv scope:SCOPE_DEV
	global_load_b32 v87, v5, s[80:81]
	s_wait_loadcnt 0x0
	v_cmp_gt_i32_e32 vcc_lo, s40, v87
	s_cbranch_vccnz .LBB116_1096
.LBB116_1097:                           ;   in Loop: Header=BB116_1094 Depth=2
	s_or_b32 exec_lo, exec_lo, s41
	s_sub_co_i32 s41, s83, s40
	global_wb scope:SCOPE_DEV
	s_wait_storecnt 0x0
	global_inv scope:SCOPE_DEV
	s_lshl_b32 s42, s41, 6
	s_wait_loadcnt 0x0
	s_barrier_signal -1
	s_barrier_wait -1
	s_and_saveexec_b32 s43, s56
	s_cbranch_execz .LBB116_1101
; %bb.1098:                             ;   in Loop: Header=BB116_1094 Depth=2
	s_ashr_i32 s44, s42, 31
	s_delay_alu instid0(SALU_CYCLE_1) | instskip(SKIP_2) | instid1(VALU_DEP_1)
	v_dual_mov_b32 v32, 0 :: v_dual_mov_b32 v31, s44
	v_or_b32_e32 v30, s42, v8
	s_mov_b32 s44, exec_lo
	v_cmpx_gt_i64_e64 s[72:73], v[30:31]
	s_cbranch_execz .LBB116_1100
; %bb.1099:                             ;   in Loop: Header=BB116_1094 Depth=2
	v_mul_u64_e32 v[30:31], s[76:77], v[30:31]
	s_delay_alu instid0(VALU_DEP_1)
	v_lshl_add_u64 v[30:31], v[30:31], 2, v[28:29]
	flat_load_b32 v32, v[30:31]
.LBB116_1100:                           ;   in Loop: Header=BB116_1094 Depth=2
	s_wait_xcnt 0x0
	s_or_b32 exec_lo, exec_lo, s44
	s_wait_loadcnt_dscnt 0x0
	ds_store_b32 v70, v32
.LBB116_1101:                           ;   in Loop: Header=BB116_1094 Depth=2
	s_or_b32 exec_lo, exec_lo, s43
	v_add_nc_u32_e32 v32, s42, v2
	s_cmp_lg_u32 s41, s39
	s_wait_dscnt 0x0
	s_cselect_b32 s42, -1, 0
	s_barrier_signal -1
	v_ashrrev_i32_e32 v33, 31, v32
	v_cmp_gt_i32_e32 vcc_lo, s72, v32
	s_barrier_wait -1
	s_delay_alu instid0(VALU_DEP_2) | instskip(SKIP_2) | instid1(SALU_CYCLE_1)
	v_lshl_add_u64 v[30:31], v[32:33], 2, v[26:27]
	v_cndmask_b32_e64 v33, 0, 1, s42
	s_and_b32 s43, vcc_lo, s0
	s_and_saveexec_b32 s41, s43
	s_cbranch_execz .LBB116_1105
; %bb.1102:                             ;   in Loop: Header=BB116_1094 Depth=2
	v_mov_b32_e32 v88, v83
	s_and_not1_b32 vcc_lo, exec_lo, s42
	s_cbranch_vccnz .LBB116_1104
; %bb.1103:                             ;   in Loop: Header=BB116_1094 Depth=2
	flat_load_b32 v88, v[30:31]
.LBB116_1104:                           ;   in Loop: Header=BB116_1094 Depth=2
	ds_load_b32 v89, v71
	s_wait_loadcnt_dscnt 0x0
	v_fmac_f32_e32 v24, v88, v89
.LBB116_1105:                           ;   in Loop: Header=BB116_1094 Depth=2
	s_or_b32 exec_lo, exec_lo, s41
	v_add_nc_u32_e32 v88, 16, v32
	s_delay_alu instid0(VALU_DEP_1) | instskip(SKIP_1) | instid1(SALU_CYCLE_1)
	v_cmp_gt_i32_e32 vcc_lo, s72, v88
	s_and_b32 s42, vcc_lo, s0
	s_and_saveexec_b32 s41, s42
	s_cbranch_execz .LBB116_1109
; %bb.1106:                             ;   in Loop: Header=BB116_1094 Depth=2
	v_cmp_ne_u32_e32 vcc_lo, 1, v33
	v_mov_b32_e32 v88, v84
	s_cbranch_vccnz .LBB116_1108
; %bb.1107:                             ;   in Loop: Header=BB116_1094 Depth=2
	flat_load_b32 v88, v[30:31] offset:64
.LBB116_1108:                           ;   in Loop: Header=BB116_1094 Depth=2
	ds_load_b32 v89, v71 offset:64
	s_wait_loadcnt_dscnt 0x0
	v_fmac_f32_e32 v24, v88, v89
.LBB116_1109:                           ;   in Loop: Header=BB116_1094 Depth=2
	s_or_b32 exec_lo, exec_lo, s41
	v_add_nc_u32_e32 v88, 32, v32
	s_delay_alu instid0(VALU_DEP_1) | instskip(SKIP_1) | instid1(SALU_CYCLE_1)
	v_cmp_gt_i32_e32 vcc_lo, s72, v88
	s_and_b32 s42, vcc_lo, s0
	s_and_saveexec_b32 s41, s42
	s_cbranch_execz .LBB116_1113
; %bb.1110:                             ;   in Loop: Header=BB116_1094 Depth=2
	v_cmp_ne_u32_e32 vcc_lo, 1, v33
	v_mov_b32_e32 v88, v85
	s_cbranch_vccnz .LBB116_1112
; %bb.1111:                             ;   in Loop: Header=BB116_1094 Depth=2
	flat_load_b32 v88, v[30:31] offset:128
.LBB116_1112:                           ;   in Loop: Header=BB116_1094 Depth=2
	ds_load_b32 v89, v71 offset:128
	s_wait_loadcnt_dscnt 0x0
	v_fmac_f32_e32 v24, v88, v89
.LBB116_1113:                           ;   in Loop: Header=BB116_1094 Depth=2
	s_or_b32 exec_lo, exec_lo, s41
	v_add_nc_u32_e32 v32, 48, v32
	s_delay_alu instid0(VALU_DEP_1) | instskip(SKIP_1) | instid1(SALU_CYCLE_1)
	v_cmp_gt_i32_e32 vcc_lo, s72, v32
	s_and_b32 s42, vcc_lo, s0
	s_and_saveexec_b32 s41, s42
	s_cbranch_execz .LBB116_1093
; %bb.1114:                             ;   in Loop: Header=BB116_1094 Depth=2
	v_cmp_ne_u32_e32 vcc_lo, 1, v33
	v_mov_b32_e32 v32, v86
	s_cbranch_vccnz .LBB116_1092
; %bb.1115:                             ;   in Loop: Header=BB116_1094 Depth=2
	flat_load_b32 v32, v[30:31] offset:192
	s_branch .LBB116_1092
.LBB116_1116:                           ;   in Loop: Header=BB116_3 Depth=1
	ds_store_b32 v72, v24
	s_wait_dscnt 0x0
	s_barrier_signal -1
	s_barrier_wait -1
	s_and_saveexec_b32 s40, s3
	s_cbranch_execz .LBB116_1118
; %bb.1117:                             ;   in Loop: Header=BB116_3 Depth=1
	ds_load_2addr_stride64_b32 v[26:27], v73 offset0:1 offset1:2
	ds_load_2addr_stride64_b32 v[30:31], v73 offset0:3 offset1:4
	;; [unrolled: 1-line block ×4, first 2 shown]
	v_readlane_b32 s41, v93, 7
	s_wait_dscnt 0x3
	v_add_f32_e32 v24, v24, v26
	s_delay_alu instid0(VALU_DEP_1) | instskip(SKIP_3) | instid1(VALU_DEP_1)
	v_add_f32_e32 v24, v24, v27
	ds_load_2addr_stride64_b32 v[26:27], v73 offset0:9 offset1:10
	s_wait_dscnt 0x3
	v_add_f32_e32 v24, v24, v30
	v_add_f32_e32 v24, v24, v31
	ds_load_2addr_stride64_b32 v[30:31], v73 offset0:11 offset1:12
	s_wait_dscnt 0x3
	v_add_f32_e32 v24, v24, v32
	s_delay_alu instid0(VALU_DEP_1) | instskip(SKIP_4) | instid1(VALU_DEP_1)
	v_add_f32_e32 v24, v24, v33
	ds_load_2addr_stride64_b32 v[32:33], v73 offset0:13 offset1:14
	ds_load_b32 v87, v73 offset:3840
	s_wait_dscnt 0x4
	v_add_f32_e32 v24, v24, v88
	v_add_f32_e32 v24, v24, v89
	s_wait_dscnt 0x3
	s_delay_alu instid0(VALU_DEP_1) | instskip(NEXT) | instid1(VALU_DEP_1)
	v_add_f32_e32 v24, v24, v26
	v_add_f32_e32 v24, v24, v27
	s_wait_dscnt 0x2
	s_delay_alu instid0(VALU_DEP_1) | instskip(NEXT) | instid1(VALU_DEP_1)
	;; [unrolled: 4-line block ×4, first 2 shown]
	v_add_f32_e32 v24, v24, v87
	v_cndmask_b32_e64 v24, -v24, 0, s41
.LBB116_1118:                           ;   in Loop: Header=BB116_3 Depth=1
	s_or_b32 exec_lo, exec_lo, s40
	s_delay_alu instid0(SALU_CYCLE_1)
	s_and_not1_b32 vcc_lo, exec_lo, s87
	s_cbranch_vccnz .LBB116_1128
; %bb.1119:                             ;   in Loop: Header=BB116_3 Depth=1
	s_and_saveexec_b32 s40, s3
; %bb.1120:                             ;   in Loop: Header=BB116_3 Depth=1
	ds_store_b32 v75, v24
; %bb.1121:                             ;   in Loop: Header=BB116_3 Depth=1
	s_or_b32 exec_lo, exec_lo, s40
	v_mov_b32_e32 v26, 0
	s_wait_dscnt 0x0
	s_barrier_signal -1
	s_barrier_wait -1
	s_and_saveexec_b32 s40, s1
	s_cbranch_execnz .LBB116_1168
; %bb.1122:                             ;   in Loop: Header=BB116_3 Depth=1
	s_or_b32 exec_lo, exec_lo, s40
	s_and_saveexec_b32 s40, s8
	s_cbranch_execnz .LBB116_1169
.LBB116_1123:                           ;   in Loop: Header=BB116_3 Depth=1
	s_or_b32 exec_lo, exec_lo, s40
	s_and_saveexec_b32 s40, s9
	s_cbranch_execnz .LBB116_1170
.LBB116_1124:                           ;   in Loop: Header=BB116_3 Depth=1
	s_or_b32 exec_lo, exec_lo, s40
	s_and_saveexec_b32 s40, s10
	s_cbranch_execz .LBB116_1126
.LBB116_1125:                           ;   in Loop: Header=BB116_3 Depth=1
	ds_load_b32 v27, v74 offset:12288
	ds_load_b32 v30, v71 offset:192
	s_wait_dscnt 0x0
	v_fmac_f32_e32 v26, v27, v30
.LBB116_1126:                           ;   in Loop: Header=BB116_3 Depth=1
	s_or_b32 exec_lo, exec_lo, s40
	s_mov_b32 s40, 0
	s_mov_b32 s80, 0
	ds_store_b32 v72, v26
	s_wait_dscnt 0x0
	s_barrier_signal -1
	s_barrier_wait -1
                                        ; implicit-def: $vgpr27
	s_and_saveexec_b32 s81, s3
	s_cbranch_execz .LBB116_1171
; %bb.1127:                             ;   in Loop: Header=BB116_3 Depth=1
	ds_load_2addr_stride64_b32 v[30:31], v73 offset0:1 offset1:2
	ds_load_2addr_stride64_b32 v[32:33], v73 offset0:3 offset1:4
	;; [unrolled: 1-line block ×4, first 2 shown]
	s_mov_b32 s80, exec_lo
	s_wait_dscnt 0x3
	v_add_f32_e32 v26, v26, v30
	s_delay_alu instid0(VALU_DEP_1) | instskip(SKIP_1) | instid1(VALU_DEP_1)
	v_add_f32_e32 v26, v31, v26
	s_wait_dscnt 0x2
	v_add_f32_e32 v26, v32, v26
	s_delay_alu instid0(VALU_DEP_1) | instskip(SKIP_1) | instid1(VALU_DEP_1)
	v_add_f32_e32 v26, v33, v26
	s_wait_dscnt 0x1
	v_add_f32_e32 v30, v88, v26
	ds_load_2addr_stride64_b32 v[26:27], v73 offset0:9 offset1:10
	v_add_f32_e32 v30, v89, v30
	s_wait_dscnt 0x1
	s_delay_alu instid0(VALU_DEP_1)
	v_add_f32_e32 v32, v90, v30
	ds_load_2addr_stride64_b32 v[30:31], v73 offset0:11 offset1:12
	v_add_f32_e32 v87, v91, v32
	ds_load_2addr_stride64_b32 v[32:33], v73 offset0:13 offset1:14
	ds_load_b32 v88, v73 offset:3840
	s_wait_dscnt 0x3
	v_add_f32_e32 v26, v26, v87
	s_delay_alu instid0(VALU_DEP_1) | instskip(SKIP_1) | instid1(VALU_DEP_1)
	v_add_f32_e32 v26, v27, v26
	s_wait_dscnt 0x2
	v_add_f32_e32 v26, v30, v26
	s_delay_alu instid0(VALU_DEP_1) | instskip(SKIP_1) | instid1(VALU_DEP_1)
	v_add_f32_e32 v26, v31, v26
	;; [unrolled: 4-line block ×3, first 2 shown]
	s_wait_dscnt 0x0
	v_add_f32_e32 v27, v88, v26
	s_or_b32 exec_lo, exec_lo, s81
	s_delay_alu instid0(SALU_CYCLE_1)
	s_and_b32 vcc_lo, exec_lo, s40
	s_cbranch_vccnz .LBB116_1129
	s_branch .LBB116_1172
.LBB116_1128:                           ;   in Loop: Header=BB116_3 Depth=1
	s_mov_b32 s80, 0
                                        ; implicit-def: $vgpr27
	s_cbranch_execz .LBB116_1172
.LBB116_1129:                           ;   in Loop: Header=BB116_3 Depth=1
	v_dual_mov_b32 v26, v82 :: v_dual_mov_b32 v27, v81
	s_mov_b32 s40, 63
	s_branch .LBB116_1131
.LBB116_1130:                           ;   in Loop: Header=BB116_1131 Depth=2
	s_or_b32 exec_lo, exec_lo, s42
	v_add_nc_u32_e32 v27, 0xfffffc00, v27
	v_add_nc_u32_e32 v26, 4, v26
	s_add_co_i32 s40, s40, -4
	s_cmp_lg_u32 s41, 0
	s_barrier_signal -1
	s_barrier_wait -1
	s_cbranch_scc0 .LBB116_1147
.LBB116_1131:                           ;   Parent Loop BB116_3 Depth=1
                                        ; =>  This Inner Loop Header: Depth=2
	s_delay_alu instid0(VALU_DEP_1) | instskip(SKIP_1) | instid1(SALU_CYCLE_1)
	v_cmp_eq_u32_e32 vcc_lo, 0, v26
	s_and_b32 s42, s3, vcc_lo
	s_and_saveexec_b32 s41, s42
; %bb.1132:                             ;   in Loop: Header=BB116_1131 Depth=2
	ds_store_b32 v5, v24 offset:20736
; %bb.1133:                             ;   in Loop: Header=BB116_1131 Depth=2
	s_or_b32 exec_lo, exec_lo, s41
	v_cmp_gt_u32_e32 vcc_lo, s40, v6
	s_wait_dscnt 0x0
	s_barrier_signal -1
	s_barrier_wait -1
	s_and_b32 s42, s3, vcc_lo
	s_delay_alu instid0(SALU_CYCLE_1)
	s_and_saveexec_b32 s41, s42
	s_cbranch_execz .LBB116_1135
; %bb.1134:                             ;   in Loop: Header=BB116_1131 Depth=2
	ds_load_b32 v30, v27 offset:768
	ds_load_b32 v31, v5 offset:20736
	s_wait_dscnt 0x0
	v_fmac_f32_e32 v24, v30, v31
.LBB116_1135:                           ;   in Loop: Header=BB116_1131 Depth=2
	s_or_b32 exec_lo, exec_lo, s41
	s_add_co_i32 s41, s40, -1
	s_delay_alu instid0(SALU_CYCLE_1) | instskip(SKIP_3) | instid1(SALU_CYCLE_1)
	v_cmp_eq_u32_e32 vcc_lo, s41, v6
	s_barrier_signal -1
	s_barrier_wait -1
	s_and_b32 s43, s3, vcc_lo
	s_and_saveexec_b32 s42, s43
; %bb.1136:                             ;   in Loop: Header=BB116_1131 Depth=2
	ds_store_b32 v5, v24 offset:20736
; %bb.1137:                             ;   in Loop: Header=BB116_1131 Depth=2
	s_or_b32 exec_lo, exec_lo, s42
	v_cmp_gt_u32_e32 vcc_lo, s41, v6
	s_wait_dscnt 0x0
	s_barrier_signal -1
	s_barrier_wait -1
	s_and_b32 s42, s3, vcc_lo
	s_delay_alu instid0(SALU_CYCLE_1)
	s_and_saveexec_b32 s41, s42
	s_cbranch_execz .LBB116_1139
; %bb.1138:                             ;   in Loop: Header=BB116_1131 Depth=2
	ds_load_b32 v30, v27 offset:512
	ds_load_b32 v31, v5 offset:20736
	s_wait_dscnt 0x0
	v_fmac_f32_e32 v24, v30, v31
.LBB116_1139:                           ;   in Loop: Header=BB116_1131 Depth=2
	s_or_b32 exec_lo, exec_lo, s41
	s_add_co_i32 s41, s40, -2
	s_delay_alu instid0(SALU_CYCLE_1) | instskip(SKIP_3) | instid1(SALU_CYCLE_1)
	v_cmp_eq_u32_e32 vcc_lo, s41, v6
	s_barrier_signal -1
	s_barrier_wait -1
	;; [unrolled: 26-line block ×3, first 2 shown]
	s_and_b32 s43, s3, vcc_lo
	s_and_saveexec_b32 s42, s43
; %bb.1144:                             ;   in Loop: Header=BB116_1131 Depth=2
	ds_store_b32 v5, v24 offset:20736
; %bb.1145:                             ;   in Loop: Header=BB116_1131 Depth=2
	s_or_b32 exec_lo, exec_lo, s42
	v_cmp_gt_u32_e32 vcc_lo, s41, v6
	s_wait_dscnt 0x0
	s_barrier_signal -1
	s_barrier_wait -1
	s_and_b32 s43, s3, vcc_lo
	s_delay_alu instid0(SALU_CYCLE_1)
	s_and_saveexec_b32 s42, s43
	s_cbranch_execz .LBB116_1130
; %bb.1146:                             ;   in Loop: Header=BB116_1131 Depth=2
	ds_load_b32 v30, v27
	ds_load_b32 v31, v5 offset:20736
	s_wait_dscnt 0x0
	v_fmac_f32_e32 v24, v30, v31
	s_branch .LBB116_1130
.LBB116_1147:                           ;   in Loop: Header=BB116_3 Depth=1
	s_and_b32 vcc_lo, exec_lo, s84
	s_mov_b32 s40, -1
	s_cbranch_vccnz .LBB116_1173
; %bb.1148:                             ;   in Loop: Header=BB116_3 Depth=1
	s_and_not1_b32 vcc_lo, exec_lo, s40
	s_cbranch_vccz .LBB116_1174
.LBB116_1149:                           ;   in Loop: Header=BB116_3 Depth=1
	s_and_saveexec_b32 s40, s80
	s_cbranch_execz .LBB116_1151
.LBB116_1150:                           ;   in Loop: Header=BB116_3 Depth=1
	v_lshl_add_u64 v[26:27], v[22:23], 2, v[28:29]
	flat_store_b32 v[26:27], v24
.LBB116_1151:                           ;   in Loop: Header=BB116_3 Depth=1
	s_wait_xcnt 0x0
	s_or_b32 exec_lo, exec_lo, s40
	global_wb scope:SCOPE_DEV
	s_wait_storecnt_dscnt 0x0
	global_inv scope:SCOPE_DEV
	s_wait_loadcnt 0x0
	s_barrier_signal -1
	s_barrier_wait -1
	s_and_saveexec_b32 s40, s55
	s_cbranch_execz .LBB116_2
; %bb.1152:                             ;   in Loop: Header=BB116_3 Depth=1
	s_lshl_b64 s[42:43], s[62:63], 2
	s_delay_alu instid0(SALU_CYCLE_1)
	s_add_nc_u64 s[42:43], s[74:75], s[42:43]
	global_load_b32 v24, v5, s[42:43]
	s_wait_loadcnt 0x0
	v_add_nc_u32_e32 v24, 1, v24
	global_store_b32 v5, v24, s[42:43]
	s_branch .LBB116_2
.LBB116_1153:                           ;   in Loop: Header=BB116_3 Depth=1
	s_mov_b32 s41, exec_lo
	v_readlane_b32 s42, v92, 19
	s_and_b32 s42, s41, s42
	s_delay_alu instid0(SALU_CYCLE_1)
	s_mov_b32 exec_lo, s42
; %bb.1154:                             ;   in Loop: Header=BB116_3 Depth=1
	ds_store_b32 v76, v5
; %bb.1155:                             ;   in Loop: Header=BB116_3 Depth=1
	s_or_b32 exec_lo, exec_lo, s41
	s_and_not1_saveexec_b32 s40, s40
	s_cbranch_execz .LBB116_16
.LBB116_1156:                           ;   in Loop: Header=BB116_3 Depth=1
	v_lshl_add_u64 v[32:33], v[12:13], 2, v[30:31]
	flat_load_b32 v24, v[32:33]
	s_wait_loadcnt_dscnt 0x0
	v_xor_b32_e32 v24, 0x80000000, v24
	ds_store_b32 v76, v24
	s_or_b32 exec_lo, exec_lo, s40
	s_and_saveexec_b32 s40, s8
	s_delay_alu instid0(SALU_CYCLE_1)
	s_xor_b32 s40, exec_lo, s40
	s_cbranch_execz .LBB116_17
.LBB116_1157:                           ;   in Loop: Header=BB116_3 Depth=1
	s_mov_b32 s41, exec_lo
	v_readlane_b32 s42, v92, 20
	s_and_b32 s42, s41, s42
	s_delay_alu instid0(SALU_CYCLE_1)
	s_mov_b32 exec_lo, s42
; %bb.1158:                             ;   in Loop: Header=BB116_3 Depth=1
	ds_store_b32 v77, v5
; %bb.1159:                             ;   in Loop: Header=BB116_3 Depth=1
	s_or_b32 exec_lo, exec_lo, s41
	s_and_not1_saveexec_b32 s40, s40
	s_cbranch_execz .LBB116_18
.LBB116_1160:                           ;   in Loop: Header=BB116_3 Depth=1
	v_lshl_add_u64 v[32:33], v[14:15], 2, v[30:31]
	flat_load_b32 v24, v[32:33]
	s_wait_loadcnt_dscnt 0x0
	v_xor_b32_e32 v24, 0x80000000, v24
	ds_store_b32 v77, v24
	s_or_b32 exec_lo, exec_lo, s40
	s_and_saveexec_b32 s40, s9
	s_delay_alu instid0(SALU_CYCLE_1)
	s_xor_b32 s40, exec_lo, s40
	s_cbranch_execz .LBB116_19
.LBB116_1161:                           ;   in Loop: Header=BB116_3 Depth=1
	s_mov_b32 s41, exec_lo
	v_readlane_b32 s42, v92, 21
	s_and_b32 s42, s41, s42
	s_delay_alu instid0(SALU_CYCLE_1)
	s_mov_b32 exec_lo, s42
; %bb.1162:                             ;   in Loop: Header=BB116_3 Depth=1
	ds_store_b32 v78, v5
; %bb.1163:                             ;   in Loop: Header=BB116_3 Depth=1
	s_or_b32 exec_lo, exec_lo, s41
	s_and_not1_saveexec_b32 s40, s40
	s_cbranch_execz .LBB116_20
.LBB116_1164:                           ;   in Loop: Header=BB116_3 Depth=1
	v_lshl_add_u64 v[32:33], v[16:17], 2, v[30:31]
	flat_load_b32 v24, v[32:33]
	s_wait_loadcnt_dscnt 0x0
	v_xor_b32_e32 v24, 0x80000000, v24
	ds_store_b32 v78, v24
	s_or_b32 exec_lo, exec_lo, s40
	s_and_saveexec_b32 s40, s10
	s_delay_alu instid0(SALU_CYCLE_1)
	s_xor_b32 s40, exec_lo, s40
	s_cbranch_execz .LBB116_21
.LBB116_1165:                           ;   in Loop: Header=BB116_3 Depth=1
	s_mov_b32 s41, exec_lo
	v_readlane_b32 s42, v92, 22
	s_and_b32 s42, s41, s42
	s_delay_alu instid0(SALU_CYCLE_1)
	s_mov_b32 exec_lo, s42
; %bb.1166:                             ;   in Loop: Header=BB116_3 Depth=1
	ds_store_b32 v79, v5
; %bb.1167:                             ;   in Loop: Header=BB116_3 Depth=1
	s_or_b32 exec_lo, exec_lo, s41
	s_and_not1_saveexec_b32 s40, s40
	s_cbranch_execnz .LBB116_22
	s_branch .LBB116_23
.LBB116_1168:                           ;   in Loop: Header=BB116_3 Depth=1
	ds_load_b32 v26, v74
	ds_load_b32 v27, v71
	s_wait_dscnt 0x0
	v_fma_f32 v26, v26, v27, 0
	s_or_b32 exec_lo, exec_lo, s40
	s_and_saveexec_b32 s40, s8
	s_cbranch_execz .LBB116_1123
.LBB116_1169:                           ;   in Loop: Header=BB116_3 Depth=1
	ds_load_b32 v27, v74 offset:4096
	ds_load_b32 v30, v71 offset:64
	s_wait_dscnt 0x0
	v_fmac_f32_e32 v26, v27, v30
	s_or_b32 exec_lo, exec_lo, s40
	s_and_saveexec_b32 s40, s9
	s_cbranch_execz .LBB116_1124
.LBB116_1170:                           ;   in Loop: Header=BB116_3 Depth=1
	ds_load_b32 v27, v74 offset:8192
	ds_load_b32 v30, v71 offset:128
	s_wait_dscnt 0x0
	v_fmac_f32_e32 v26, v27, v30
	s_or_b32 exec_lo, exec_lo, s40
	s_and_saveexec_b32 s40, s10
	s_cbranch_execnz .LBB116_1125
	s_branch .LBB116_1126
.LBB116_1171:                           ;   in Loop: Header=BB116_3 Depth=1
	s_or_b32 exec_lo, exec_lo, s81
	s_delay_alu instid0(SALU_CYCLE_1)
	s_and_b32 vcc_lo, exec_lo, s40
	s_cbranch_vccnz .LBB116_1129
.LBB116_1172:                           ;   in Loop: Header=BB116_3 Depth=1
	v_mov_b32_e32 v24, v27
	s_and_saveexec_b32 s40, s80
	s_cbranch_execnz .LBB116_1150
	s_branch .LBB116_1151
.LBB116_1173:                           ;   in Loop: Header=BB116_3 Depth=1
	s_and_not1_b32 s41, s80, exec_lo
	s_and_b32 s42, s3, exec_lo
	s_delay_alu instid0(SALU_CYCLE_1)
	s_or_b32 s80, s41, s42
	s_cbranch_execnz .LBB116_1149
.LBB116_1174:                           ;   in Loop: Header=BB116_3 Depth=1
	v_readlane_b32 s41, v93, 8
	s_and_not1_b32 s40, s80, exec_lo
	s_and_b32 s41, s41, exec_lo
	s_delay_alu instid0(SALU_CYCLE_1) | instskip(NEXT) | instid1(SALU_CYCLE_1)
	s_or_b32 s80, s40, s41
	s_and_saveexec_b32 s40, s80
	s_cbranch_execnz .LBB116_1150
	s_branch .LBB116_1151
.LBB116_1175:                           ;   in Loop: Header=BB116_3 Depth=1
	ds_load_b32 v30, v49 offset:272
	ds_load_b32 v31, v41 offset:4
	s_wait_dscnt 0x0
	v_fmac_f32_e32 v24, v30, v31
	s_or_b32 exec_lo, exec_lo, s41
	s_and_saveexec_b32 s41, s14
	s_cbranch_execz .LBB116_72
.LBB116_1176:                           ;   in Loop: Header=BB116_3 Depth=1
	ds_load_b32 v30, v48 offset:528
	ds_load_b32 v31, v41 offset:8
	s_wait_dscnt 0x0
	v_fmac_f32_e32 v24, v30, v31
	s_or_b32 exec_lo, exec_lo, s41
	s_and_saveexec_b32 s41, s2
	s_cbranch_execnz .LBB116_73
	s_branch .LBB116_74
.LBB116_1177:                           ;   in Loop: Header=BB116_3 Depth=1
	ds_load_b32 v30, v58 offset:288
	ds_load_b32 v31, v52 offset:4
	s_wait_dscnt 0x0
	v_fmac_f32_e32 v24, v30, v31
	s_or_b32 exec_lo, exec_lo, s41
	s_and_saveexec_b32 s41, s16
	s_cbranch_execz .LBB116_114
.LBB116_1178:                           ;   in Loop: Header=BB116_3 Depth=1
	ds_load_b32 v30, v58 offset:544
	ds_load_b32 v31, v52 offset:8
	s_wait_dscnt 0x0
	v_fmac_f32_e32 v24, v30, v31
	s_or_b32 exec_lo, exec_lo, s41
	s_and_saveexec_b32 s41, s17
	s_cbranch_execz .LBB116_115
.LBB116_1179:                           ;   in Loop: Header=BB116_3 Depth=1
	ds_load_b32 v30, v58 offset:800
	ds_load_b32 v31, v52 offset:12
	s_wait_dscnt 0x0
	v_fmac_f32_e32 v24, v30, v31
	s_or_b32 exec_lo, exec_lo, s41
	s_and_saveexec_b32 s41, s18
	s_cbranch_execz .LBB116_116
.LBB116_1180:                           ;   in Loop: Header=BB116_3 Depth=1
	ds_load_b32 v30, v55 offset:1056
	ds_load_b32 v31, v52 offset:16
	s_wait_dscnt 0x0
	v_fmac_f32_e32 v24, v30, v31
	s_or_b32 exec_lo, exec_lo, s41
	s_and_saveexec_b32 s41, s19
	s_cbranch_execz .LBB116_117
.LBB116_1181:                           ;   in Loop: Header=BB116_3 Depth=1
	ds_load_b32 v30, v58 offset:1312
	ds_load_b32 v31, v52 offset:20
	s_wait_dscnt 0x0
	v_fmac_f32_e32 v24, v30, v31
	s_or_b32 exec_lo, exec_lo, s41
	s_and_saveexec_b32 s41, s4
	s_cbranch_execz .LBB116_118
.LBB116_1182:                           ;   in Loop: Header=BB116_3 Depth=1
	ds_load_b32 v30, v55 offset:1568
	ds_load_b32 v31, v52 offset:24
	s_wait_dscnt 0x0
	v_fmac_f32_e32 v24, v30, v31
	s_or_b32 exec_lo, exec_lo, s41
	s_and_saveexec_b32 s41, s14
	s_cbranch_execnz .LBB116_119
	s_branch .LBB116_120
.LBB116_1183:                           ;   in Loop: Header=BB116_3 Depth=1
	ds_load_b32 v30, v49 offset:2352
	ds_load_b32 v31, v41 offset:2084
	s_wait_dscnt 0x0
	v_fmac_f32_e32 v24, v30, v31
	s_or_b32 exec_lo, exec_lo, s41
	s_and_saveexec_b32 s41, s14
	s_cbranch_execz .LBB116_176
.LBB116_1184:                           ;   in Loop: Header=BB116_3 Depth=1
	ds_load_b32 v30, v48 offset:2608
	ds_load_b32 v31, v41 offset:2088
	s_wait_dscnt 0x0
	v_fmac_f32_e32 v24, v30, v31
	s_or_b32 exec_lo, exec_lo, s41
	s_and_saveexec_b32 s41, s2
	s_cbranch_execnz .LBB116_177
	s_branch .LBB116_178
.LBB116_1185:                           ;   in Loop: Header=BB116_3 Depth=1
	ds_load_b32 v30, v66 offset:2880
	ds_load_b32 v31, v57 offset:44
	s_wait_dscnt 0x0
	v_fmac_f32_e32 v24, v30, v31
	s_or_b32 exec_lo, exec_lo, s41
	s_and_saveexec_b32 s41, s5
	s_cbranch_execz .LBB116_238
.LBB116_1186:                           ;   in Loop: Header=BB116_3 Depth=1
	ds_load_b32 v30, v65 offset:3136
	ds_load_b32 v31, v57 offset:48
	s_wait_dscnt 0x0
	v_fmac_f32_e32 v24, v30, v31
	s_or_b32 exec_lo, exec_lo, s41
	s_and_saveexec_b32 s41, s16
	s_cbranch_execz .LBB116_239
.LBB116_1187:                           ;   in Loop: Header=BB116_3 Depth=1
	ds_load_b32 v30, v66 offset:3392
	ds_load_b32 v31, v57 offset:52
	s_wait_dscnt 0x0
	v_fmac_f32_e32 v24, v30, v31
	s_or_b32 exec_lo, exec_lo, s41
	s_and_saveexec_b32 s41, s18
	s_cbranch_execz .LBB116_240
.LBB116_1188:                           ;   in Loop: Header=BB116_3 Depth=1
	ds_load_b32 v30, v65 offset:3648
	ds_load_b32 v31, v57 offset:56
	s_wait_dscnt 0x0
	v_fmac_f32_e32 v24, v30, v31
	s_or_b32 exec_lo, exec_lo, s41
	s_and_saveexec_b32 s41, s4
	s_cbranch_execnz .LBB116_241
	s_branch .LBB116_242
.LBB116_1189:                           ;   in Loop: Header=BB116_3 Depth=1
	ds_load_b32 v30, v49 offset:4432
	ds_load_b32 v31, v41 offset:4164
	s_wait_dscnt 0x0
	v_fmac_f32_e32 v24, v30, v31
	s_or_b32 exec_lo, exec_lo, s41
	s_and_saveexec_b32 s41, s14
	s_cbranch_execz .LBB116_330
.LBB116_1190:                           ;   in Loop: Header=BB116_3 Depth=1
	ds_load_b32 v30, v48 offset:4688
	ds_load_b32 v31, v41 offset:4168
	s_wait_dscnt 0x0
	v_fmac_f32_e32 v24, v30, v31
	s_or_b32 exec_lo, exec_lo, s41
	s_and_saveexec_b32 s41, s2
	s_cbranch_execnz .LBB116_331
	s_branch .LBB116_332
.LBB116_1191:                           ;   in Loop: Header=BB116_3 Depth=1
	ds_load_b32 v30, v58 offset:4448
	ds_load_b32 v31, v52 offset:4164
	s_wait_dscnt 0x0
	v_fmac_f32_e32 v24, v30, v31
	s_or_b32 exec_lo, exec_lo, s41
	s_and_saveexec_b32 s41, s16
	s_cbranch_execz .LBB116_372
.LBB116_1192:                           ;   in Loop: Header=BB116_3 Depth=1
	ds_load_b32 v30, v58 offset:4704
	ds_load_b32 v31, v52 offset:4168
	s_wait_dscnt 0x0
	v_fmac_f32_e32 v24, v30, v31
	s_or_b32 exec_lo, exec_lo, s41
	s_and_saveexec_b32 s41, s17
	s_cbranch_execz .LBB116_373
.LBB116_1193:                           ;   in Loop: Header=BB116_3 Depth=1
	ds_load_b32 v30, v58 offset:4960
	ds_load_b32 v31, v52 offset:4172
	s_wait_dscnt 0x0
	v_fmac_f32_e32 v24, v30, v31
	s_or_b32 exec_lo, exec_lo, s41
	s_and_saveexec_b32 s41, s18
	s_cbranch_execz .LBB116_374
.LBB116_1194:                           ;   in Loop: Header=BB116_3 Depth=1
	ds_load_b32 v30, v55 offset:5216
	ds_load_b32 v31, v52 offset:4176
	s_wait_dscnt 0x0
	v_fmac_f32_e32 v24, v30, v31
	s_or_b32 exec_lo, exec_lo, s41
	s_and_saveexec_b32 s41, s19
	s_cbranch_execz .LBB116_375
.LBB116_1195:                           ;   in Loop: Header=BB116_3 Depth=1
	ds_load_b32 v30, v58 offset:5472
	ds_load_b32 v31, v52 offset:4180
	s_wait_dscnt 0x0
	v_fmac_f32_e32 v24, v30, v31
	s_or_b32 exec_lo, exec_lo, s41
	s_and_saveexec_b32 s41, s4
	s_cbranch_execz .LBB116_376
.LBB116_1196:                           ;   in Loop: Header=BB116_3 Depth=1
	ds_load_b32 v30, v55 offset:5728
	ds_load_b32 v31, v52 offset:4184
	s_wait_dscnt 0x0
	v_fmac_f32_e32 v24, v30, v31
	s_or_b32 exec_lo, exec_lo, s41
	s_and_saveexec_b32 s41, s14
	s_cbranch_execnz .LBB116_377
	s_branch .LBB116_378
.LBB116_1197:                           ;   in Loop: Header=BB116_3 Depth=1
	ds_load_b32 v30, v49 offset:6512
	ds_load_b32 v31, v41 offset:6244
	s_wait_dscnt 0x0
	v_fmac_f32_e32 v24, v30, v31
	s_or_b32 exec_lo, exec_lo, s41
	s_and_saveexec_b32 s41, s14
	s_cbranch_execz .LBB116_434
.LBB116_1198:                           ;   in Loop: Header=BB116_3 Depth=1
	ds_load_b32 v30, v48 offset:6768
	ds_load_b32 v31, v41 offset:6248
	s_wait_dscnt 0x0
	v_fmac_f32_e32 v24, v30, v31
	s_or_b32 exec_lo, exec_lo, s41
	s_and_saveexec_b32 s41, s2
	s_cbranch_execnz .LBB116_435
	s_branch .LBB116_436
.LBB116_1199:                           ;   in Loop: Header=BB116_3 Depth=1
	ds_load_b32 v31, v68 offset:7552
	ds_load_b32 v32, v30 offset:116
	s_wait_dscnt 0x0
	v_fmac_f32_e32 v24, v31, v32
	s_or_b32 exec_lo, exec_lo, s40
	s_and_saveexec_b32 s40, s5
	s_cbranch_execz .LBB116_532
.LBB116_1200:                           ;   in Loop: Header=BB116_3 Depth=1
	ds_load_b32 v31, v68 offset:7808
	ds_load_b32 v30, v30 offset:120
	s_wait_dscnt 0x0
	v_fmac_f32_e32 v24, v31, v30
	s_or_b32 exec_lo, exec_lo, s40
	s_and_saveexec_b32 s40, s18
	s_cbranch_execnz .LBB116_533
	s_branch .LBB116_534
.LBB116_1201:                           ;   in Loop: Header=BB116_3 Depth=1
	ds_load_b32 v30, v49 offset:8592
	ds_load_b32 v31, v41 offset:8324
	s_wait_dscnt 0x0
	v_fmac_f32_e32 v24, v30, v31
	s_or_b32 exec_lo, exec_lo, s41
	s_and_saveexec_b32 s41, s14
	s_cbranch_execz .LBB116_686
.LBB116_1202:                           ;   in Loop: Header=BB116_3 Depth=1
	ds_load_b32 v30, v48 offset:8848
	ds_load_b32 v31, v41 offset:8328
	s_wait_dscnt 0x0
	v_fmac_f32_e32 v24, v30, v31
	s_or_b32 exec_lo, exec_lo, s41
	s_and_saveexec_b32 s41, s2
	s_cbranch_execnz .LBB116_687
	s_branch .LBB116_688
.LBB116_1203:                           ;   in Loop: Header=BB116_3 Depth=1
	ds_load_b32 v30, v58 offset:8608
	ds_load_b32 v31, v52 offset:8324
	s_wait_dscnt 0x0
	v_fmac_f32_e32 v24, v30, v31
	s_or_b32 exec_lo, exec_lo, s41
	s_and_saveexec_b32 s41, s16
	s_cbranch_execz .LBB116_728
.LBB116_1204:                           ;   in Loop: Header=BB116_3 Depth=1
	ds_load_b32 v30, v58 offset:8864
	ds_load_b32 v31, v52 offset:8328
	s_wait_dscnt 0x0
	v_fmac_f32_e32 v24, v30, v31
	s_or_b32 exec_lo, exec_lo, s41
	s_and_saveexec_b32 s41, s17
	s_cbranch_execz .LBB116_729
.LBB116_1205:                           ;   in Loop: Header=BB116_3 Depth=1
	ds_load_b32 v30, v58 offset:9120
	ds_load_b32 v31, v52 offset:8332
	s_wait_dscnt 0x0
	v_fmac_f32_e32 v24, v30, v31
	s_or_b32 exec_lo, exec_lo, s41
	s_and_saveexec_b32 s41, s18
	s_cbranch_execz .LBB116_730
.LBB116_1206:                           ;   in Loop: Header=BB116_3 Depth=1
	ds_load_b32 v30, v55 offset:9376
	ds_load_b32 v31, v52 offset:8336
	s_wait_dscnt 0x0
	v_fmac_f32_e32 v24, v30, v31
	s_or_b32 exec_lo, exec_lo, s41
	s_and_saveexec_b32 s41, s19
	s_cbranch_execz .LBB116_731
.LBB116_1207:                           ;   in Loop: Header=BB116_3 Depth=1
	ds_load_b32 v30, v58 offset:9632
	ds_load_b32 v31, v52 offset:8340
	s_wait_dscnt 0x0
	v_fmac_f32_e32 v24, v30, v31
	s_or_b32 exec_lo, exec_lo, s41
	s_and_saveexec_b32 s41, s4
	s_cbranch_execz .LBB116_732
.LBB116_1208:                           ;   in Loop: Header=BB116_3 Depth=1
	ds_load_b32 v30, v55 offset:9888
	ds_load_b32 v31, v52 offset:8344
	s_wait_dscnt 0x0
	v_fmac_f32_e32 v24, v30, v31
	s_or_b32 exec_lo, exec_lo, s41
	s_and_saveexec_b32 s41, s14
	s_cbranch_execnz .LBB116_733
	s_branch .LBB116_734
.LBB116_1209:                           ;   in Loop: Header=BB116_3 Depth=1
	ds_load_b32 v30, v49 offset:10672
	ds_load_b32 v31, v41 offset:10404
	s_wait_dscnt 0x0
	v_fmac_f32_e32 v24, v30, v31
	s_or_b32 exec_lo, exec_lo, s41
	s_and_saveexec_b32 s41, s14
	s_cbranch_execz .LBB116_790
.LBB116_1210:                           ;   in Loop: Header=BB116_3 Depth=1
	ds_load_b32 v30, v48 offset:10928
	ds_load_b32 v31, v41 offset:10408
	s_wait_dscnt 0x0
	v_fmac_f32_e32 v24, v30, v31
	s_or_b32 exec_lo, exec_lo, s41
	s_and_saveexec_b32 s41, s2
	s_cbranch_execnz .LBB116_791
	s_branch .LBB116_792
.LBB116_1211:                           ;   in Loop: Header=BB116_3 Depth=1
	ds_load_b32 v30, v66 offset:11200
	ds_load_b32 v31, v57 offset:8364
	s_wait_dscnt 0x0
	v_fmac_f32_e32 v24, v30, v31
	s_or_b32 exec_lo, exec_lo, s41
	s_and_saveexec_b32 s41, s5
	s_cbranch_execz .LBB116_852
.LBB116_1212:                           ;   in Loop: Header=BB116_3 Depth=1
	ds_load_b32 v30, v65 offset:11456
	ds_load_b32 v31, v57 offset:8368
	s_wait_dscnt 0x0
	v_fmac_f32_e32 v24, v30, v31
	s_or_b32 exec_lo, exec_lo, s41
	s_and_saveexec_b32 s41, s16
	s_cbranch_execz .LBB116_853
.LBB116_1213:                           ;   in Loop: Header=BB116_3 Depth=1
	ds_load_b32 v30, v66 offset:11712
	ds_load_b32 v31, v57 offset:8372
	s_wait_dscnt 0x0
	v_fmac_f32_e32 v24, v30, v31
	s_or_b32 exec_lo, exec_lo, s41
	s_and_saveexec_b32 s41, s18
	s_cbranch_execz .LBB116_854
.LBB116_1214:                           ;   in Loop: Header=BB116_3 Depth=1
	ds_load_b32 v30, v65 offset:11968
	ds_load_b32 v31, v57 offset:8376
	s_wait_dscnt 0x0
	v_fmac_f32_e32 v24, v30, v31
	s_or_b32 exec_lo, exec_lo, s41
	s_and_saveexec_b32 s41, s4
	s_cbranch_execnz .LBB116_855
	s_branch .LBB116_856
.LBB116_1215:                           ;   in Loop: Header=BB116_3 Depth=1
	ds_load_b32 v30, v49 offset:12752
	ds_load_b32 v31, v41 offset:12484
	s_wait_dscnt 0x0
	v_fmac_f32_e32 v24, v30, v31
	s_or_b32 exec_lo, exec_lo, s41
	s_and_saveexec_b32 s41, s14
	s_cbranch_execz .LBB116_944
.LBB116_1216:                           ;   in Loop: Header=BB116_3 Depth=1
	ds_load_b32 v30, v48 offset:13008
	ds_load_b32 v31, v41 offset:12488
	s_wait_dscnt 0x0
	v_fmac_f32_e32 v24, v30, v31
	s_or_b32 exec_lo, exec_lo, s41
	s_and_saveexec_b32 s41, s2
	s_cbranch_execnz .LBB116_945
	s_branch .LBB116_946
.LBB116_1217:                           ;   in Loop: Header=BB116_3 Depth=1
	ds_load_b32 v30, v58 offset:12768
	ds_load_b32 v31, v52 offset:12484
	s_wait_dscnt 0x0
	v_fmac_f32_e32 v24, v30, v31
	s_or_b32 exec_lo, exec_lo, s41
	s_and_saveexec_b32 s41, s16
	s_cbranch_execz .LBB116_986
.LBB116_1218:                           ;   in Loop: Header=BB116_3 Depth=1
	ds_load_b32 v30, v58 offset:13024
	ds_load_b32 v31, v52 offset:12488
	s_wait_dscnt 0x0
	v_fmac_f32_e32 v24, v30, v31
	s_or_b32 exec_lo, exec_lo, s41
	s_and_saveexec_b32 s41, s17
	s_cbranch_execz .LBB116_987
.LBB116_1219:                           ;   in Loop: Header=BB116_3 Depth=1
	ds_load_b32 v30, v58 offset:13280
	ds_load_b32 v31, v52 offset:12492
	s_wait_dscnt 0x0
	v_fmac_f32_e32 v24, v30, v31
	s_or_b32 exec_lo, exec_lo, s41
	s_and_saveexec_b32 s41, s18
	s_cbranch_execz .LBB116_988
.LBB116_1220:                           ;   in Loop: Header=BB116_3 Depth=1
	ds_load_b32 v30, v55 offset:13536
	ds_load_b32 v31, v52 offset:12496
	s_wait_dscnt 0x0
	v_fmac_f32_e32 v24, v30, v31
	s_or_b32 exec_lo, exec_lo, s41
	s_and_saveexec_b32 s41, s19
	s_cbranch_execz .LBB116_989
.LBB116_1221:                           ;   in Loop: Header=BB116_3 Depth=1
	ds_load_b32 v30, v58 offset:13792
	ds_load_b32 v31, v52 offset:12500
	s_wait_dscnt 0x0
	v_fmac_f32_e32 v24, v30, v31
	s_or_b32 exec_lo, exec_lo, s41
	s_and_saveexec_b32 s41, s4
	s_cbranch_execz .LBB116_990
.LBB116_1222:                           ;   in Loop: Header=BB116_3 Depth=1
	ds_load_b32 v30, v55 offset:14048
	ds_load_b32 v31, v52 offset:12504
	s_wait_dscnt 0x0
	v_fmac_f32_e32 v24, v30, v31
	s_or_b32 exec_lo, exec_lo, s41
	s_and_saveexec_b32 s41, s14
	s_cbranch_execnz .LBB116_991
	s_branch .LBB116_992
.LBB116_1223:                           ;   in Loop: Header=BB116_3 Depth=1
	ds_load_b32 v30, v49 offset:14832
	ds_load_b32 v31, v41 offset:14564
	s_wait_dscnt 0x0
	v_fmac_f32_e32 v24, v30, v31
	s_or_b32 exec_lo, exec_lo, s41
	s_and_saveexec_b32 s41, s14
	s_cbranch_execz .LBB116_1048
.LBB116_1224:                           ;   in Loop: Header=BB116_3 Depth=1
	ds_load_b32 v30, v48 offset:15088
	ds_load_b32 v31, v41 offset:14568
	s_wait_dscnt 0x0
	v_fmac_f32_e32 v24, v30, v31
	s_or_b32 exec_lo, exec_lo, s41
	s_and_saveexec_b32 s41, s2
	s_cbranch_execnz .LBB116_1049
	s_branch .LBB116_1050
.LBB116_1225:
	s_endpgm
	.section	.rodata,"a",@progbits
	.p2align	6, 0x0
	.amdhsa_kernel _ZL19rocblas_trsv_deviceILi64ELi16ELb1ELb1ELb0ELb1EffPKPKfPKPfEviT7_lllT6_T8_lllPii
		.amdhsa_group_segment_fixed_size 20740
		.amdhsa_private_segment_fixed_size 0
		.amdhsa_kernarg_size 352
		.amdhsa_user_sgpr_count 2
		.amdhsa_user_sgpr_dispatch_ptr 0
		.amdhsa_user_sgpr_queue_ptr 0
		.amdhsa_user_sgpr_kernarg_segment_ptr 1
		.amdhsa_user_sgpr_dispatch_id 0
		.amdhsa_user_sgpr_kernarg_preload_length 0
		.amdhsa_user_sgpr_kernarg_preload_offset 0
		.amdhsa_user_sgpr_private_segment_size 0
		.amdhsa_wavefront_size32 1
		.amdhsa_uses_dynamic_stack 0
		.amdhsa_enable_private_segment 0
		.amdhsa_system_sgpr_workgroup_id_x 1
		.amdhsa_system_sgpr_workgroup_id_y 0
		.amdhsa_system_sgpr_workgroup_id_z 1
		.amdhsa_system_sgpr_workgroup_info 0
		.amdhsa_system_vgpr_workitem_id 1
		.amdhsa_next_free_vgpr 96
		.amdhsa_next_free_sgpr 105
		.amdhsa_named_barrier_count 0
		.amdhsa_reserve_vcc 1
		.amdhsa_float_round_mode_32 0
		.amdhsa_float_round_mode_16_64 0
		.amdhsa_float_denorm_mode_32 3
		.amdhsa_float_denorm_mode_16_64 3
		.amdhsa_fp16_overflow 0
		.amdhsa_memory_ordered 1
		.amdhsa_forward_progress 1
		.amdhsa_inst_pref_size 255
		.amdhsa_round_robin_scheduling 0
		.amdhsa_exception_fp_ieee_invalid_op 0
		.amdhsa_exception_fp_denorm_src 0
		.amdhsa_exception_fp_ieee_div_zero 0
		.amdhsa_exception_fp_ieee_overflow 0
		.amdhsa_exception_fp_ieee_underflow 0
		.amdhsa_exception_fp_ieee_inexact 0
		.amdhsa_exception_int_div_zero 0
	.end_amdhsa_kernel
	.section	.text._ZL19rocblas_trsv_deviceILi64ELi16ELb1ELb1ELb0ELb1EffPKPKfPKPfEviT7_lllT6_T8_lllPii,"axG",@progbits,_ZL19rocblas_trsv_deviceILi64ELi16ELb1ELb1ELb0ELb1EffPKPKfPKPfEviT7_lllT6_T8_lllPii,comdat
.Lfunc_end116:
	.size	_ZL19rocblas_trsv_deviceILi64ELi16ELb1ELb1ELb0ELb1EffPKPKfPKPfEviT7_lllT6_T8_lllPii, .Lfunc_end116-_ZL19rocblas_trsv_deviceILi64ELi16ELb1ELb1ELb0ELb1EffPKPKfPKPfEviT7_lllT6_T8_lllPii
                                        ; -- End function
	.set _ZL19rocblas_trsv_deviceILi64ELi16ELb1ELb1ELb0ELb1EffPKPKfPKPfEviT7_lllT6_T8_lllPii.num_vgpr, 96
	.set _ZL19rocblas_trsv_deviceILi64ELi16ELb1ELb1ELb0ELb1EffPKPKfPKPfEviT7_lllT6_T8_lllPii.num_agpr, 0
	.set _ZL19rocblas_trsv_deviceILi64ELi16ELb1ELb1ELb0ELb1EffPKPKfPKPfEviT7_lllT6_T8_lllPii.numbered_sgpr, 105
	.set _ZL19rocblas_trsv_deviceILi64ELi16ELb1ELb1ELb0ELb1EffPKPKfPKPfEviT7_lllT6_T8_lllPii.num_named_barrier, 0
	.set _ZL19rocblas_trsv_deviceILi64ELi16ELb1ELb1ELb0ELb1EffPKPKfPKPfEviT7_lllT6_T8_lllPii.private_seg_size, 0
	.set _ZL19rocblas_trsv_deviceILi64ELi16ELb1ELb1ELb0ELb1EffPKPKfPKPfEviT7_lllT6_T8_lllPii.uses_vcc, 1
	.set _ZL19rocblas_trsv_deviceILi64ELi16ELb1ELb1ELb0ELb1EffPKPKfPKPfEviT7_lllT6_T8_lllPii.uses_flat_scratch, 0
	.set _ZL19rocblas_trsv_deviceILi64ELi16ELb1ELb1ELb0ELb1EffPKPKfPKPfEviT7_lllT6_T8_lllPii.has_dyn_sized_stack, 0
	.set _ZL19rocblas_trsv_deviceILi64ELi16ELb1ELb1ELb0ELb1EffPKPKfPKPfEviT7_lllT6_T8_lllPii.has_recursion, 0
	.set _ZL19rocblas_trsv_deviceILi64ELi16ELb1ELb1ELb0ELb1EffPKPKfPKPfEviT7_lllT6_T8_lllPii.has_indirect_call, 0
	.section	.AMDGPU.csdata,"",@progbits
; Kernel info:
; codeLenInByte = 34580
; TotalNumSgprs: 107
; NumVgprs: 96
; ScratchSize: 0
; MemoryBound: 0
; FloatMode: 240
; IeeeMode: 1
; LDSByteSize: 20740 bytes/workgroup (compile time only)
; SGPRBlocks: 0
; VGPRBlocks: 5
; NumSGPRsForWavesPerEU: 107
; NumVGPRsForWavesPerEU: 96
; NamedBarCnt: 0
; Occupancy: 10
; WaveLimiterHint : 1
; COMPUTE_PGM_RSRC2:SCRATCH_EN: 0
; COMPUTE_PGM_RSRC2:USER_SGPR: 2
; COMPUTE_PGM_RSRC2:TRAP_HANDLER: 0
; COMPUTE_PGM_RSRC2:TGID_X_EN: 1
; COMPUTE_PGM_RSRC2:TGID_Y_EN: 0
; COMPUTE_PGM_RSRC2:TGID_Z_EN: 1
; COMPUTE_PGM_RSRC2:TIDIG_COMP_CNT: 1
	.section	.text._ZL19rocblas_trsv_deviceILi64ELi16ELb1ELb1ELb1ELb1EffPKPKfPKPfEviT7_lllT6_T8_lllPii,"axG",@progbits,_ZL19rocblas_trsv_deviceILi64ELi16ELb1ELb1ELb1ELb1EffPKPKfPKPfEviT7_lllT6_T8_lllPii,comdat
	.globl	_ZL19rocblas_trsv_deviceILi64ELi16ELb1ELb1ELb1ELb1EffPKPKfPKPfEviT7_lllT6_T8_lllPii ; -- Begin function _ZL19rocblas_trsv_deviceILi64ELi16ELb1ELb1ELb1ELb1EffPKPKfPKPfEviT7_lllT6_T8_lllPii
	.p2align	8
	.type	_ZL19rocblas_trsv_deviceILi64ELi16ELb1ELb1ELb1ELb1EffPKPKfPKPfEviT7_lllT6_T8_lllPii,@function
_ZL19rocblas_trsv_deviceILi64ELi16ELb1ELb1ELb1ELb1EffPKPKfPKPfEviT7_lllT6_T8_lllPii: ; @_ZL19rocblas_trsv_deviceILi64ELi16ELb1ELb1ELb1ELb1EffPKPKfPKPfEviT7_lllT6_T8_lllPii
; %bb.0:
	s_load_b32 s6, s[0:1], 0x58
	s_bfe_u32 s2, ttmp6, 0x40014
	s_lshr_b32 s3, ttmp7, 16
	s_add_co_i32 s2, s2, 1
	s_bfe_u32 s5, ttmp6, 0x40008
	s_mul_i32 s4, s3, s2
	s_getreg_b32 s2, hwreg(HW_REG_IB_STS2, 6, 4)
	s_add_co_i32 s5, s5, s4
	s_cmp_eq_u32 s2, 0
	s_mov_b32 s63, 0
	s_cselect_b32 s62, s3, s5
                                        ; implicit-def: $vgpr95 : SGPR spill to VGPR lane
	s_wait_kmcnt 0x0
	s_cmp_ge_u32 s62, s6
	v_writelane_b32 v95, s6, 0
	s_cbranch_scc1 .LBB117_1225
; %bb.1:
	s_clause 0x2
	s_load_b32 s3, s[0:1], 0x6c
	s_load_b32 s83, s[0:1], 0x60
	;; [unrolled: 1-line block ×3, first 2 shown]
	s_bfe_u32 s5, ttmp6, 0x4000c
	s_and_b32 s4, ttmp6, 15
	s_add_co_i32 s5, s5, 1
	s_clause 0x1
	s_load_b64 s[14:15], s[0:1], 0x18
	s_load_b128 s[64:67], s[0:1], 0x8
	s_mul_i32 s5, ttmp9, s5
	s_load_b64 s[74:75], s[0:1], 0x50
	s_add_co_i32 s4, s4, s5
	s_cmp_eq_u32 s2, 0
	v_dual_mov_b32 v5, 0 :: v_dual_bitop2_b32 v1, 1, v0 bitop3:0x40
	s_cselect_b32 s82, ttmp9, s4
	v_and_b32_e32 v6, 0x3ff, v0
	v_bfe_u32 v2, v0, 10, 10
	s_delay_alu instid0(VALU_DEP_3)
	v_mov_b32_e32 v9, v5
	v_cmp_eq_u32_e32 vcc_lo, 1, v1
	v_and_b32_e32 v45, 3, v0
	s_wait_kmcnt 0x0
	s_and_b32 s2, s3, 0xffff
	s_add_co_i32 s83, s83, -1
	s_add_co_i32 s3, s72, -1
	s_ashr_i32 s73, s72, 31
	s_ashr_i32 s4, s3, 31
	s_lshr_b32 s5, s73, 26
	s_lshr_b32 s4, s4, 26
	s_add_co_i32 s5, s72, s5
	s_add_co_i32 s3, s3, s4
	s_and_not1_b32 s5, s5, 63
	s_sub_co_i32 s39, s83, s82
	s_ashr_i32 s3, s3, 6
	s_sub_co_i32 s13, s72, s5
	s_cmp_eq_u32 s3, s39
	v_lshlrev_b32_e32 v7, 6, v6
	s_cselect_b32 s3, -1, 0
	s_cmp_lg_u32 s13, 0
	v_add_nc_u32_e32 v4, 16, v2
	s_cselect_b32 s4, -1, 0
	v_lshl_add_u32 v30, v2, 6, v6
	s_and_b32 s55, s4, s3
	v_add_nc_u32_e32 v3, v2, v7
	s_xor_b32 s84, s55, -1
	s_cmp_lg_u32 s82, 0
	v_mad_u32_u24 v8, v2, s2, v6
	s_cselect_b32 s3, -1, 0
	s_lshl_b32 s18, s39, 6
	v_writelane_b32 v95, s3, 1
	s_load_b32 s3, s[0:1], 0x28
	s_cmp_lt_i32 s82, 5
	v_dual_add_nc_u32 v24, s18, v6 :: v_dual_add_nc_u32 v12, v4, v7
	s_cselect_b32 s2, -1, 0
	v_lshl_add_u32 v13, v4, 6, v6
	s_or_b32 s8, s2, s55
	v_cndmask_b32_e64 v31, v30, v3, s2
	v_cmp_gt_u32_e64 s2, 4, v30
	s_add_nc_u64 s[4:5], s[14:15], 1
	s_ashr_i32 s19, s18, 31
	v_mov_b32_e32 v3, v5
	s_mul_u64 s[16:17], s[4:5], s[18:19]
	s_and_b32 s89, vcc_lo, s2
	v_cmp_gt_u32_e64 s4, 16, v30
	v_cmp_ne_u32_e64 s6, 0, v45
	v_cmp_eq_u32_e64 s5, 0, v45
	v_dual_add_nc_u32 v28, 32, v2 :: v_dual_bitop2_b32 v51, 7, v0 bitop3:0x40
	v_cmp_lt_u32_e64 s9, 1, v45
	s_wait_kmcnt 0x0
	v_writelane_b32 v95, s3, 2
	s_xor_b32 s3, vcc_lo, -1
	v_cmp_gt_u32_e32 vcc_lo, 2, v6
	s_and_b32 s88, s3, s2
	v_cmp_eq_u32_e64 s3, 0, v2
	s_and_b32 s92, s6, s4
	v_cmp_eq_u32_e64 s6, 3, v45
	s_and_b32 s91, s5, s4
	v_cmp_gt_u32_e64 s5, 64, v30
	s_and_b32 s90, s3, vcc_lo
	v_cmp_eq_u32_e32 vcc_lo, 2, v45
	s_and_b32 s96, s6, s4
	v_cmp_eq_u32_e64 s6, 1, v51
	v_cmp_eq_u32_e64 s7, 1, v45
	s_and_b32 s94, s9, s4
	s_and_b32 s95, vcc_lo, s4
	v_cmp_ne_u32_e32 vcc_lo, 0, v51
	v_cmp_eq_u32_e64 s9, 0, v51
	s_and_b32 s100, s6, s5
	v_cmp_eq_u32_e64 s6, 3, v51
	s_and_b32 s93, s7, s4
	s_and_b32 s99, vcc_lo, s5
	v_cmp_lt_u32_e32 vcc_lo, 1, v51
	v_cmp_gt_u32_e64 s7, 4, v6
	s_and_b32 s98, s9, s5
	v_cmp_lt_u32_e64 s9, 2, v51
	s_and_b32 s104, s6, s5
	s_and_b32 s101, vcc_lo, s5
	v_cmp_lt_u32_e32 vcc_lo, 3, v51
	v_cmp_eq_u32_e64 s6, 4, v51
	s_and_b32 s97, s3, s7
	v_cmp_eq_u32_e64 s7, 2, v51
	s_and_b32 s103, s9, s5
	v_cmp_eq_u32_e64 s9, 5, v51
	s_and_b32 vcc_hi, vcc_lo, s5
	v_cmp_lt_u32_e32 vcc_lo, 5, v51
	s_and_b32 s31, s6, s5
	v_cmp_eq_u32_e64 s6, 6, v51
	v_dual_add_nc_u32 v26, 48, v2 :: v_dual_bitop2_b32 v60, 15, v0 bitop3:0x40
	s_and_b32 s102, s7, s5
	v_cmp_lt_u32_e64 s7, 4, v51
	s_and_b32 s34, s9, s5
	s_and_b32 s35, vcc_lo, s5
	v_cmp_eq_u32_e32 vcc_lo, 7, v51
	s_and_b32 s36, s6, s5
	v_cmp_gt_u32_e64 s6, 0x100, v30
	v_cmp_eq_u32_e64 s9, 0, v60
	s_and_b32 s33, s7, s5
	v_cmp_gt_u32_e64 s7, 8, v6
	s_and_b32 s37, vcc_lo, s5
	v_cmp_ne_u32_e32 vcc_lo, 0, v60
	s_and_b32 s9, s9, s6
	v_cmp_eq_u32_e64 s10, 2, v60
	v_writelane_b32 v95, s9, 3
	s_and_b32 s38, s3, s7
	v_cmp_eq_u32_e64 s7, 1, v60
	s_and_b32 s11, vcc_lo, s6
	v_cmp_lt_u32_e64 s9, 1, v60
	v_writelane_b32 v95, s11, 4
	v_cmp_lt_u32_e32 vcc_lo, 2, v60
	s_and_b32 s7, s7, s6
	v_dual_mov_b32 v29, v5 :: v_dual_bitop2_b32 v63, 31, v0 bitop3:0x40
	v_writelane_b32 v95, s7, 5
	s_and_b32 s7, s9, s6
	v_cmp_lt_u32_e64 s9, 3, v60
	s_delay_alu instid0(VALU_DEP_3)
	v_cmp_eq_u32_e64 s11, 1, v63
	v_cmp_lt_u32_e64 s12, 1, v63
	v_writelane_b32 v95, s7, 6
	s_and_b32 s7, s10, s6
	s_and_b32 s10, vcc_lo, s6
	v_cmp_eq_u32_e32 vcc_lo, 4, v60
	s_and_b32 s46, s9, s6
	v_writelane_b32 v95, s7, 7
	v_cmp_eq_u32_e64 s7, 3, v60
	v_cmp_eq_u32_e64 s9, 6, v60
	s_and_b32 s47, vcc_lo, s6
	v_cmp_lt_u32_e32 vcc_lo, 5, v60
	v_writelane_b32 v95, s10, 8
	s_and_b32 s45, s7, s6
	v_cmp_eq_u32_e64 s7, 5, v60
	v_cmp_lt_u32_e64 s10, 4, v60
	s_and_b32 s51, s9, s6
	v_cmp_lt_u32_e64 s9, 8, v60
	s_and_b32 s50, vcc_lo, s6
	s_and_b32 s49, s7, s6
	v_cmp_lt_u32_e64 s7, 6, v60
	s_and_b32 s48, s10, s6
	v_cmp_eq_u32_e64 s10, 7, v60
	v_cmp_lt_u32_e32 vcc_lo, 7, v60
	s_and_b32 s20, s9, s6
	s_and_b32 s52, s7, s6
	v_cmp_eq_u32_e64 s7, 8, v60
	s_and_b32 s53, s10, s6
	v_cmp_lt_u32_e64 s10, 9, v60
	v_cmp_eq_u32_e64 s9, 11, v60
	s_and_b32 s54, vcc_lo, s6
	s_and_b32 s86, s7, s6
	v_cmp_eq_u32_e64 s7, 10, v60
	v_cmp_eq_u32_e32 vcc_lo, 9, v60
	s_and_b32 s24, s10, s6
	v_cmp_eq_u32_e64 s10, 12, v60
	s_and_b32 s30, s9, s6
	s_and_b32 s26, s7, s6
	v_cmp_lt_u32_e64 s7, 11, v60
	v_cmp_lt_u32_e64 s9, 13, v60
	s_and_b32 s22, vcc_lo, s6
	v_cmp_lt_u32_e32 vcc_lo, 10, v60
	s_and_b32 s58, s10, s6
	s_and_b32 s57, s7, s6
	v_cmp_eq_u32_e64 s7, 13, v60
	v_cmp_eq_u32_e64 s10, 15, v60
	s_and_b32 s21, s9, s6
	v_cmp_eq_u32_e64 s9, 0, v63
	s_and_b32 s28, vcc_lo, s6
	s_and_b32 s60, s7, s6
	v_cmp_gt_u32_e64 s7, 0x400, v30
	v_cmp_lt_u32_e32 vcc_lo, 12, v60
	s_and_b32 s25, s10, s6
	v_cmp_ne_u32_e64 s10, 0, v63
	v_dual_ashrrev_i32 v25, 31, v24 :: v_dual_add_nc_u32 v33, s18, v2
	s_and_b32 s9, s9, s7
	s_and_b32 s59, vcc_lo, s6
	v_writelane_b32 v95, s9, 9
	v_cmp_eq_u32_e32 vcc_lo, 14, v60
	s_and_b32 s9, s10, s7
	v_cmp_eq_u32_e64 s10, 3, v63
	v_add_nc_u64_e32 v[22:23], s[18:19], v[8:9]
	v_writelane_b32 v95, s9, 10
	s_and_b32 s23, vcc_lo, s6
	v_cmp_gt_u32_e32 vcc_lo, 16, v6
	s_and_b32 s9, s11, s7
	v_cmp_lt_u32_e64 s11, 3, v63
	v_writelane_b32 v95, s9, 11
	s_and_b32 s9, s12, s7
	s_and_b32 s27, s3, vcc_lo
	v_cmp_eq_u32_e32 vcc_lo, 2, v63
	v_cmp_eq_u32_e64 s12, 4, v63
	v_writelane_b32 v95, s9, 12
	v_cmp_lt_u32_e64 s9, 2, v63
	v_cndmask_b32_e64 v32, v13, v12, s8
	s_and_b32 s29, vcc_lo, s7
	v_cmp_lt_u32_e32 vcc_lo, 4, v63
	v_writelane_b32 v95, s29, 13
	s_and_b32 s9, s9, s7
	v_mul_u64_e32 v[12:13], s[14:15], v[2:3]
	v_dual_add_nc_u32 v3, v28, v7 :: v_dual_mov_b32 v27, v5
	v_writelane_b32 v95, s9, 14
	s_and_b32 s9, s10, s7
	s_and_b32 s18, vcc_lo, s7
	v_cmp_lt_u32_e64 s10, 5, v63
	v_cmp_eq_u32_e32 vcc_lo, 7, v63
	v_writelane_b32 v95, s9, 15
	s_and_b32 s9, s11, s7
	v_cmp_eq_u32_e64 s11, 6, v63
	v_lshl_add_u32 v9, v28, 6, v6
	v_add_nc_u32_e32 v7, v26, v7
	v_writelane_b32 v95, s9, 16
	s_and_b32 s9, s12, s7
	v_cmp_lt_u32_e64 s12, 6, v63
	v_lshl_add_u32 v20, v26, 6, v6
	s_xor_b32 s87, s8, -1
	v_writelane_b32 v95, s9, 17
	v_cmp_eq_u32_e64 s9, 5, v63
	v_mul_u64_e32 v[16:17], s[14:15], v[28:29]
	v_mul_u64_e32 v[18:19], s[14:15], v[26:27]
	v_cndmask_b32_e64 v29, v9, v3, s8
	v_writelane_b32 v95, s18, 18
	s_and_b32 s9, s9, s7
	v_dual_lshlrev_b32 v3, 2, v6 :: v_dual_cndmask_b32 v27, v20, v7, s8
	v_cmp_eq_u32_e64 s8, 8, v63
	v_writelane_b32 v95, s9, 19
	s_and_b32 s9, s10, s7
	s_and_b32 s10, s11, s7
                                        ; implicit-def: $vgpr94 : SGPR spill to VGPR lane
                                        ; implicit-def: $vgpr93 : SGPR spill to VGPR lane
	v_dual_lshrrev_b32 v37, 10, v0 :: v_dual_lshrrev_b32 v40, 1, v30
	v_writelane_b32 v95, s9, 20
	v_cmp_lt_u32_e64 s9, 7, v63
	s_and_b32 s8, s8, s7
	v_lshlrev_b32_e32 v1, 2, v1
	v_bitop3_b32 v87, v0, v37, 0x3ff bitop3:0xa8
	v_writelane_b32 v95, s10, 21
	s_and_b32 s10, s12, s7
	s_and_b32 s9, s9, s7
	v_lshrrev_b32_e32 v0, 2, v30
	v_lshl_or_b32 v39, v40, 8, v1
	v_writelane_b32 v95, s10, 22
	s_and_b32 s10, vcc_lo, s7
	v_cmp_lt_u32_e32 vcc_lo, 8, v63
	v_dual_lshlrev_b32 v45, 2, v45 :: v_dual_bitop2_b32 v1, -4, v30 bitop3:0x40
	v_writelane_b32 v95, s10, 23
	v_mul_u32_u24_e32 v41, 0x104, v0
	v_lshlrev_b32_e32 v43, 8, v6
	s_delay_alu instid0(VALU_DEP_4)
	v_add_nc_u32_e32 v47, 0x4000, v1
	s_clause 0x1
	s_load_b64 s[76:77], s[0:1], 0x40
	s_load_b128 s[68:71], s[0:1], 0x30
	v_writelane_b32 v95, s9, 24
	v_dual_sub_nc_u32 v49, v41, v1 :: v_dual_lshrrev_b32 v1, 3, v30
	v_lshl_or_b32 v48, v0, 8, v45
	v_lshlrev_b32_e32 v51, 2, v51
	v_writelane_b32 v95, s8, 25
	s_and_b32 s8, vcc_lo, s7
	v_cmp_eq_u32_e32 vcc_lo, 9, v63
	v_add_nc_u32_e32 v49, v49, v45
	v_lshlrev_b32_e32 v0, 2, v1
	v_writelane_b32 v95, s8, 26
	v_mul_u32_u24_e32 v52, 0x104, v1
	s_and_b32 s8, vcc_lo, s7
	v_cmp_lt_u32_e32 vcc_lo, 9, v63
	v_lshrrev_b32_e32 v65, 4, v30
	v_writelane_b32 v95, s8, 27
	v_add_nc_u32_e32 v54, 0x4000, v0
	v_lshl_or_b32 v55, v1, 8, v51
	s_and_b32 s8, vcc_lo, s7
	v_cmp_eq_u32_e32 vcc_lo, 10, v63
	v_writelane_b32 v95, s8, 28
	v_dual_sub_nc_u32 v0, v52, v0 :: v_dual_lshlrev_b32 v1, 2, v65
	v_lshrrev_b32_e32 v62, 5, v30
	s_and_b32 s8, vcc_lo, s7
	v_cmp_lt_u32_e32 vcc_lo, 10, v63
	v_writelane_b32 v95, s8, 29
	v_mul_u32_u24_e32 v57, 0x104, v65
	v_dual_add_nc_u32 v20, 64, v33 :: v_dual_add_nc_u32 v58, v0, v51
	v_lshlrev_b32_e32 v60, 2, v60
	s_and_b32 s8, vcc_lo, s7
	v_cmp_eq_u32_e32 vcc_lo, 11, v63
	v_writelane_b32 v95, s8, 30
	v_dual_sub_nc_u32 v0, v57, v1 :: v_dual_lshlrev_b32 v61, 2, v62
	v_mul_u64_e32 v[10:11], s[14:15], v[24:25]
	s_and_b32 s8, vcc_lo, s7
	v_cmp_lt_u32_e32 vcc_lo, 11, v63
	v_writelane_b32 v95, s8, 31
	v_lshlrev_b32_e32 v62, 8, v62
	v_add_nc_u32_e32 v64, 0x4000, v1
	v_cmp_gt_u32_e64 s40, 0xf0, v30
	s_and_b32 s8, vcc_lo, s7
	v_cmp_eq_u32_e32 vcc_lo, 12, v63
	v_writelane_b32 v94, s8, 0
                                        ; implicit-def: $vgpr92 : SGPR spill to VGPR lane
	v_mad_u32_u24 v7, 0xfc, v6, v3
	v_mul_u64_e32 v[14:15], s[14:15], v[4:5]
	s_wait_kmcnt 0x0
	v_mul_u64_e32 v[22:23], s[76:77], v[22:23]
	s_and_b32 s8, vcc_lo, s7
	v_cmp_lt_u32_e32 vcc_lo, 12, v63
	v_writelane_b32 v94, s8, 1
	v_mad_i32_i24 v9, 0xffffff04, v6, v7
	v_mul_i32_i24_e32 v81, 0xffffff04, v6
	v_lshlrev_b32_e32 v76, 2, v31
	s_and_b32 s8, vcc_lo, s7
	v_cmp_eq_u32_e32 vcc_lo, 13, v63
	v_writelane_b32 v94, s8, 2
	v_mad_u32_u24 v34, 0xfc, v6, v9
	v_dual_lshlrev_b32 v80, 2, v2 :: v_dual_lshlrev_b32 v77, 2, v32
	v_or_b32_e32 v31, v28, v6
	s_and_b32 s8, vcc_lo, s7
	v_cmp_lt_u32_e32 vcc_lo, 13, v63
	v_writelane_b32 v94, s8, 3
	v_mad_i32_i24 v35, 0xffffff04, v6, v34
	v_mad_i32_i24 v69, 0xffffff04, v6, v43
	v_or_b32_e32 v71, 0x5000, v80
	s_and_b32 s8, vcc_lo, s7
	v_cmp_eq_u32_e32 vcc_lo, 14, v63
	v_writelane_b32 v94, s8, 4
	v_mad_u32_u24 v36, 0xfc, v6, v35
	v_dual_lshlrev_b32 v78, 2, v29 :: v_dual_bitop2_b32 v29, v26, v6 bitop3:0x54
	s_and_b32 s8, vcc_lo, s7
	v_cmp_lt_u32_e32 vcc_lo, 14, v63
	v_writelane_b32 v94, s8, 5
	v_mad_i32_i24 v38, 0xffffff04, v6, v36
	v_ashrrev_i32_e32 v21, 31, v20
	v_lshl_add_u32 v37, v40, 2, 0x4000
	s_and_b32 s8, vcc_lo, s7
	v_cmp_eq_u32_e32 vcc_lo, 15, v63
	v_writelane_b32 v94, s8, 6
	v_mad_u32_u24 v42, 0xfc, v6, v38
	v_mul_u32_u24_e32 v40, 0x104, v40
	v_mul_u32_u24_e32 v44, 0xfc, v6
	s_and_b32 s8, vcc_lo, s7
	v_cmp_lt_u32_e32 vcc_lo, 15, v63
	v_writelane_b32 v94, s8, 7
	v_mad_i32_i24 v46, 0xffffff04, v6, v42
	v_lshl_or_b32 v65, v65, 8, v60
	v_add_nc_u32_e32 v67, 0x4000, v61
	s_and_b32 s8, vcc_lo, s7
	v_cmp_eq_u32_e32 vcc_lo, 16, v63
	v_writelane_b32 v94, s8, 8
	v_mad_u32_u24 v50, 0xfc, v6, v46
	v_lshl_add_u32 v70, v8, 2, 0x5000
	v_lshl_add_u32 v72, v30, 2, 0x4000
	s_and_b32 s8, vcc_lo, s7
	v_cmp_lt_u32_e32 vcc_lo, 16, v63
	v_writelane_b32 v94, s8, 9
	v_mad_i32_i24 v53, 0xffffff04, v6, v50
	v_add_nc_u32_e32 v73, 0x4000, v3
	v_lshl_add_u32 v74, v2, 8, v69
	s_and_b32 s8, vcc_lo, s7
	v_cmp_eq_u32_e32 vcc_lo, 17, v63
	v_writelane_b32 v94, s8, 10
	v_mad_u32_u24 v56, 0xfc, v6, v53
	v_add_nc_u32_e32 v75, v71, v3
	v_dual_lshlrev_b32 v79, 2, v27 :: v_dual_add_nc_u32 v80, v43, v80
	s_and_b32 s8, vcc_lo, s7
	v_cmp_lt_u32_e32 vcc_lo, 17, v63
	v_writelane_b32 v94, s8, 11
	v_mad_i32_i24 v59, 0xffffff04, v6, v56
	v_subrev_nc_u32_e32 v82, 63, v6
	v_cmp_gt_u32_e64 s14, 8, v30
	s_and_b32 s8, vcc_lo, s7
	v_cmp_eq_u32_e32 vcc_lo, 18, v63
	v_writelane_b32 v94, s8, 12
	v_cmp_gt_u32_e64 s15, 56, v30
	v_cmp_gt_u32_e64 s18, 32, v30
	v_cmp_gt_u32_e64 s19, 24, v30
	s_and_b32 s8, vcc_lo, s7
	v_cmp_lt_u32_e32 vcc_lo, 18, v63
	v_writelane_b32 v94, s8, 13
	v_cmp_gt_u32_e64 s56, 64, v8
                                        ; implicit-def: $vgpr83
                                        ; implicit-def: $vgpr84
                                        ; implicit-def: $vgpr85
                                        ; implicit-def: $vgpr86
	s_and_b32 s8, vcc_lo, s7
	v_cmp_eq_u32_e32 vcc_lo, 19, v63
	v_writelane_b32 v94, s8, 14
	s_and_b32 s8, vcc_lo, s7
	v_cmp_lt_u32_e32 vcc_lo, 19, v63
	v_writelane_b32 v94, s8, 15
	s_and_b32 s8, vcc_lo, s7
	v_cmp_eq_u32_e32 vcc_lo, 20, v63
	v_writelane_b32 v94, s8, 16
	s_and_b32 s8, vcc_lo, s7
	v_cmp_lt_u32_e32 vcc_lo, 20, v63
	v_writelane_b32 v94, s8, 17
	;; [unrolled: 6-line block ×11, first 2 shown]
	s_and_b32 s8, vcc_lo, s7
	v_cmp_eq_u32_e32 vcc_lo, 30, v63
	v_writelane_b32 v93, s8, 4
	s_and_b32 s8, vcc_lo, s7
	v_cmp_eq_u32_e32 vcc_lo, 31, v63
	v_writelane_b32 v93, s8, 5
	v_cmp_gt_u32_e64 s8, 32, v6
	v_dual_lshlrev_b32 v63, 2, v63 :: v_dual_add_nc_u32 v66, v0, v60
	s_and_b32 s29, vcc_lo, s7
	v_cmp_le_i32_e32 vcc_lo, s13, v6
	s_and_b32 s8, s3, s8
	v_mul_u64_e32 v[0:1], s[76:77], v[24:25]
	v_writelane_b32 v93, s8, 6
	v_add_nc_u32_e32 v25, 0x50, v33
	s_and_b32 s9, vcc_lo, s55
	v_or_b32_e32 v68, v62, v63
	s_xor_b32 s8, s9, -1
	v_writelane_b32 v93, s9, 7
	s_and_b32 s61, s3, s8
	v_cmp_le_i32_e64 s8, s13, v2
	s_cmp_gt_i32 s82, 0
	v_cmp_eq_u32_e64 s55, 0, v8
	s_cselect_b32 s85, -1, 0
	s_lshl_b64 s[78:79], s[16:17], 2
	s_or_b32 s9, s8, vcc_lo
	v_cmp_le_i32_e64 s8, s13, v4
	v_cmp_gt_u32_e64 s16, 48, v30
	v_cmp_gt_u32_e64 s17, 40, v30
	s_add_co_i32 s39, s39, 1
	s_lshl_b64 s[66:67], s[66:67], 2
	s_or_b32 s10, s8, vcc_lo
	v_cmp_le_i32_e64 s8, s13, v28
	s_lshl_b64 s[70:71], s[70:71], 2
	s_or_b32 s11, s8, vcc_lo
	v_cmp_le_i32_e64 s8, s13, v26
	s_or_b32 s12, s8, vcc_lo
	v_cmp_gt_i32_e32 vcc_lo, s13, v6
	v_cmp_gt_u32_e64 s13, 12, v30
	s_and_b32 s0, s3, vcc_lo
	v_cmp_gt_i32_e32 vcc_lo, s72, v20
	v_writelane_b32 v93, s0, 8
	v_cmp_gt_i32_e64 s0, s72, v24
	v_add_nc_u32_e32 v24, 0x60, v33
	s_and_b32 s1, vcc_lo, s0
	v_cmp_gt_i32_e32 vcc_lo, s72, v25
	v_writelane_b32 v93, s1, 9
	v_add_nc_u32_e32 v25, 0x70, v33
	s_and_b32 s1, vcc_lo, s0
	v_cmp_gt_i32_e32 vcc_lo, s72, v24
	v_writelane_b32 v93, s1, 10
	v_or_b32_e32 v24, v4, v6
	s_and_b32 s1, vcc_lo, s0
	v_cmp_gt_i32_e32 vcc_lo, s72, v25
	v_writelane_b32 v93, s1, 11
	v_mad_u32_u24 v25, 0xfc, v6, v81
	s_and_b32 s1, vcc_lo, s0
	s_delay_alu instid0(SALU_CYCLE_1) | instskip(SKIP_2) | instid1(SALU_CYCLE_1)
	v_writelane_b32 v93, s1, 12
	v_cmp_le_u32_e64 s1, v6, v2
	s_or_b32 s8, s9, s1
	v_writelane_b32 v93, s8, 13
	v_cmp_le_u32_e64 s8, v6, v4
	v_mul_lo_u32 v4, v25, 7
	v_mov_b32_e32 v25, 1.0
	s_or_b32 s9, s10, s8
	s_delay_alu instid0(SALU_CYCLE_1) | instskip(SKIP_1) | instid1(VALU_DEP_4)
	v_writelane_b32 v93, s9, 14
	v_cmp_le_u32_e64 s9, v6, v28
	v_add3_u32 v81, v4, v3, 0x3c00
	s_or_b32 s10, s11, s9
	v_lshlrev_b32_e32 v4, 2, v6
	v_writelane_b32 v93, s10, 15
	v_cmp_le_u32_e64 s10, v6, v26
	s_or_b32 s11, s12, s10
	v_cmp_gt_u32_e64 s12, 2, v30
	v_writelane_b32 v93, s11, 16
	v_cmp_eq_u32_e64 s11, 0, v87
	v_writelane_b32 v93, s40, 17
	v_cmp_gt_u32_e64 s40, 0xe0, v30
	s_delay_alu instid0(VALU_DEP_1) | instskip(SKIP_1) | instid1(VALU_DEP_1)
	v_writelane_b32 v93, s40, 18
	v_cmp_gt_u32_e64 s40, 0xd0, v30
	v_writelane_b32 v93, s40, 19
	v_cmp_gt_u32_e64 s40, 0xc0, v30
	s_delay_alu instid0(VALU_DEP_1) | instskip(SKIP_1) | instid1(VALU_DEP_1)
	v_writelane_b32 v93, s40, 20
	v_cmp_gt_u32_e64 s40, 0xb0, v30
	;; [unrolled: 5-line block ×18, first 2 shown]
	v_writelane_b32 v92, s40, 21
	v_cmp_gt_u32_e64 s40, 64, v29
	s_delay_alu instid0(VALU_DEP_1)
	v_writelane_b32 v92, s40, 22
	s_branch .LBB117_3
.LBB117_2:                              ;   in Loop: Header=BB117_3 Depth=1
	s_wait_xcnt 0x0
	s_or_b32 exec_lo, exec_lo, s40
	v_readlane_b32 s40, v95, 0
	s_add_co_i32 s62, s62, 0x10000
	global_wb scope:SCOPE_DEV
	s_wait_storecnt 0x0
	global_inv scope:SCOPE_DEV
	s_cmp_lt_u32 s62, s40
	s_cbranch_scc0 .LBB117_1225
.LBB117_3:                              ; =>This Loop Header: Depth=1
                                        ;     Child Loop BB117_1094 Depth 2
                                        ;       Child Loop BB117_1096 Depth 3
                                        ;     Child Loop BB117_1131 Depth 2
	v_mov_b32_e32 v24, s62
	v_readlane_b32 s40, v95, 1
	s_clause 0x1
	global_load_b64 v[26:27], v24, s[64:65] scale_offset
	global_load_b64 v[28:29], v24, s[68:69] scale_offset
	s_and_not1_b32 vcc_lo, exec_lo, s40
	s_wait_loadcnt 0x1
	v_add_nc_u64_e32 v[30:31], s[66:67], v[26:27]
	s_delay_alu instid0(VALU_DEP_1)
	v_lshl_add_u64 v[26:27], v[10:11], 2, v[30:31]
	s_cbranch_vccnz .LBB117_13
; %bb.4:                                ;   in Loop: Header=BB117_3 Depth=1
	s_delay_alu instid0(VALU_DEP_1)
	v_lshl_add_u64 v[32:33], v[20:21], 2, v[26:27]
	v_dual_mov_b32 v84, 0 :: v_dual_mov_b32 v83, 0
	s_wait_loadcnt 0x0
	s_barrier_signal -1
	s_barrier_wait -1
	s_wait_xcnt 0x0
	s_mov_b32 s40, exec_lo
	v_readlane_b32 s41, v93, 9
	s_and_b32 s41, s40, s41
	s_delay_alu instid0(SALU_CYCLE_1)
	s_mov_b32 exec_lo, s41
	s_cbranch_execz .LBB117_6
; %bb.5:                                ;   in Loop: Header=BB117_3 Depth=1
	flat_load_b32 v83, v[32:33]
.LBB117_6:                              ;   in Loop: Header=BB117_3 Depth=1
	s_wait_xcnt 0x0
	s_or_b32 exec_lo, exec_lo, s40
	s_wait_loadcnt_dscnt 0x0
	s_barrier_signal -1
	s_barrier_wait -1
	s_mov_b32 s40, exec_lo
	v_readlane_b32 s41, v93, 10
	s_and_b32 s41, s40, s41
	s_delay_alu instid0(SALU_CYCLE_1)
	s_mov_b32 exec_lo, s41
	s_cbranch_execz .LBB117_8
; %bb.7:                                ;   in Loop: Header=BB117_3 Depth=1
	flat_load_b32 v84, v[32:33] offset:64
.LBB117_8:                              ;   in Loop: Header=BB117_3 Depth=1
	s_wait_xcnt 0x0
	s_or_b32 exec_lo, exec_lo, s40
	v_dual_mov_b32 v86, 0 :: v_dual_mov_b32 v85, 0
	s_wait_loadcnt_dscnt 0x0
	s_barrier_signal -1
	s_barrier_wait -1
	s_mov_b32 s40, exec_lo
	v_readlane_b32 s41, v93, 11
	s_and_b32 s41, s40, s41
	s_delay_alu instid0(SALU_CYCLE_1)
	s_mov_b32 exec_lo, s41
	s_cbranch_execz .LBB117_10
; %bb.9:                                ;   in Loop: Header=BB117_3 Depth=1
	flat_load_b32 v85, v[32:33] offset:128
.LBB117_10:                             ;   in Loop: Header=BB117_3 Depth=1
	s_wait_xcnt 0x0
	s_or_b32 exec_lo, exec_lo, s40
	s_wait_loadcnt_dscnt 0x0
	s_barrier_signal -1
	s_barrier_wait -1
	s_mov_b32 s40, exec_lo
	v_readlane_b32 s41, v93, 12
	s_and_b32 s41, s40, s41
	s_delay_alu instid0(SALU_CYCLE_1)
	s_mov_b32 exec_lo, s41
	s_cbranch_execz .LBB117_12
; %bb.11:                               ;   in Loop: Header=BB117_3 Depth=1
	flat_load_b32 v86, v[32:33] offset:192
.LBB117_12:                             ;   in Loop: Header=BB117_3 Depth=1
	s_wait_xcnt 0x0
	s_or_b32 exec_lo, exec_lo, s40
.LBB117_13:                             ;   in Loop: Header=BB117_3 Depth=1
	v_add_nc_u64_e32 v[30:31], s[78:79], v[30:31]
	s_and_not1_b32 vcc_lo, exec_lo, s84
	s_mov_b32 s40, -1
	s_delay_alu instid0(VALU_DEP_1)
	v_add_nc_u64_e32 v[30:31], v[30:31], v[4:5]
	s_cbranch_vccnz .LBB117_24
; %bb.14:                               ;   in Loop: Header=BB117_3 Depth=1
	s_wait_xcnt 0x0
	s_and_saveexec_b32 s40, s1
	s_delay_alu instid0(SALU_CYCLE_1)
	s_xor_b32 s40, exec_lo, s40
	s_cbranch_execnz .LBB117_1153
; %bb.15:                               ;   in Loop: Header=BB117_3 Depth=1
	s_and_not1_saveexec_b32 s40, s40
	s_cbranch_execnz .LBB117_1156
.LBB117_16:                             ;   in Loop: Header=BB117_3 Depth=1
	s_or_b32 exec_lo, exec_lo, s40
	s_and_saveexec_b32 s40, s8
	s_delay_alu instid0(SALU_CYCLE_1)
	s_xor_b32 s40, exec_lo, s40
	s_cbranch_execnz .LBB117_1157
.LBB117_17:                             ;   in Loop: Header=BB117_3 Depth=1
	s_and_not1_saveexec_b32 s40, s40
	s_cbranch_execnz .LBB117_1160
.LBB117_18:                             ;   in Loop: Header=BB117_3 Depth=1
	s_or_b32 exec_lo, exec_lo, s40
	s_and_saveexec_b32 s40, s9
	s_delay_alu instid0(SALU_CYCLE_1)
	s_xor_b32 s40, exec_lo, s40
	s_cbranch_execnz .LBB117_1161
.LBB117_19:                             ;   in Loop: Header=BB117_3 Depth=1
	s_and_not1_saveexec_b32 s40, s40
	s_cbranch_execnz .LBB117_1164
.LBB117_20:                             ;   in Loop: Header=BB117_3 Depth=1
	s_or_b32 exec_lo, exec_lo, s40
	s_and_saveexec_b32 s40, s10
	s_delay_alu instid0(SALU_CYCLE_1)
	s_xor_b32 s40, exec_lo, s40
	s_cbranch_execnz .LBB117_1165
.LBB117_21:                             ;   in Loop: Header=BB117_3 Depth=1
	s_and_not1_saveexec_b32 s40, s40
	s_cbranch_execz .LBB117_23
.LBB117_22:                             ;   in Loop: Header=BB117_3 Depth=1
	v_lshl_add_u64 v[32:33], v[18:19], 2, v[30:31]
	flat_load_b32 v24, v[32:33]
	s_wait_loadcnt_dscnt 0x0
	v_xor_b32_e32 v24, 0x80000000, v24
	ds_store_b32 v79, v24
.LBB117_23:                             ;   in Loop: Header=BB117_3 Depth=1
	s_or_b32 exec_lo, exec_lo, s40
	s_mov_b32 s40, 0
.LBB117_24:                             ;   in Loop: Header=BB117_3 Depth=1
	s_delay_alu instid0(SALU_CYCLE_1)
	s_and_b32 vcc_lo, exec_lo, s40
	s_cbranch_vccz .LBB117_50
; %bb.25:                               ;   in Loop: Header=BB117_3 Depth=1
	s_wait_xcnt 0x0
	s_mov_b32 s40, exec_lo
	v_readlane_b32 s41, v93, 13
	s_and_b32 s41, s40, s41
	s_delay_alu instid0(SALU_CYCLE_1)
	s_xor_b32 s40, s41, s40
	s_mov_b32 exec_lo, s41
	s_cbranch_execz .LBB117_29
; %bb.26:                               ;   in Loop: Header=BB117_3 Depth=1
	s_mov_b32 s41, exec_lo
	v_readlane_b32 s42, v92, 19
	s_and_b32 s42, s41, s42
	s_delay_alu instid0(SALU_CYCLE_1)
	s_mov_b32 exec_lo, s42
; %bb.27:                               ;   in Loop: Header=BB117_3 Depth=1
	ds_store_b32 v80, v5
; %bb.28:                               ;   in Loop: Header=BB117_3 Depth=1
	s_or_b32 exec_lo, exec_lo, s41
.LBB117_29:                             ;   in Loop: Header=BB117_3 Depth=1
	s_and_not1_saveexec_b32 s40, s40
	s_cbranch_execz .LBB117_31
; %bb.30:                               ;   in Loop: Header=BB117_3 Depth=1
	v_lshl_add_u64 v[32:33], v[12:13], 2, v[30:31]
	flat_load_b32 v24, v[32:33]
	s_wait_loadcnt_dscnt 0x0
	v_xor_b32_e32 v24, 0x80000000, v24
	ds_store_b32 v80, v24
.LBB117_31:                             ;   in Loop: Header=BB117_3 Depth=1
	s_or_b32 exec_lo, exec_lo, s40
	s_delay_alu instid0(SALU_CYCLE_1) | instskip(SKIP_2) | instid1(SALU_CYCLE_1)
	s_mov_b32 s40, exec_lo
	v_readlane_b32 s41, v93, 14
	s_and_b32 s41, s40, s41
	s_xor_b32 s40, s41, s40
	s_mov_b32 exec_lo, s41
	s_cbranch_execz .LBB117_35
; %bb.32:                               ;   in Loop: Header=BB117_3 Depth=1
	s_mov_b32 s41, exec_lo
	v_readlane_b32 s42, v92, 20
	s_and_b32 s42, s41, s42
	s_delay_alu instid0(SALU_CYCLE_1)
	s_mov_b32 exec_lo, s42
; %bb.33:                               ;   in Loop: Header=BB117_3 Depth=1
	ds_store_b32 v77, v5
; %bb.34:                               ;   in Loop: Header=BB117_3 Depth=1
	s_or_b32 exec_lo, exec_lo, s41
.LBB117_35:                             ;   in Loop: Header=BB117_3 Depth=1
	s_and_not1_saveexec_b32 s40, s40
	s_cbranch_execz .LBB117_37
; %bb.36:                               ;   in Loop: Header=BB117_3 Depth=1
	v_lshl_add_u64 v[32:33], v[14:15], 2, v[30:31]
	flat_load_b32 v24, v[32:33]
	s_wait_loadcnt_dscnt 0x0
	v_xor_b32_e32 v24, 0x80000000, v24
	ds_store_b32 v77, v24
.LBB117_37:                             ;   in Loop: Header=BB117_3 Depth=1
	s_or_b32 exec_lo, exec_lo, s40
	s_delay_alu instid0(SALU_CYCLE_1) | instskip(SKIP_2) | instid1(SALU_CYCLE_1)
	s_mov_b32 s40, exec_lo
	v_readlane_b32 s41, v93, 15
	s_and_b32 s41, s40, s41
	;; [unrolled: 28-line block ×3, first 2 shown]
	s_xor_b32 s40, s41, s40
	s_mov_b32 exec_lo, s41
	s_cbranch_execz .LBB117_47
; %bb.44:                               ;   in Loop: Header=BB117_3 Depth=1
	s_mov_b32 s41, exec_lo
	v_readlane_b32 s42, v92, 22
	s_and_b32 s42, s41, s42
	s_delay_alu instid0(SALU_CYCLE_1)
	s_mov_b32 exec_lo, s42
; %bb.45:                               ;   in Loop: Header=BB117_3 Depth=1
	ds_store_b32 v79, v5
; %bb.46:                               ;   in Loop: Header=BB117_3 Depth=1
	s_or_b32 exec_lo, exec_lo, s41
                                        ; implicit-def: $vgpr30_vgpr31
.LBB117_47:                             ;   in Loop: Header=BB117_3 Depth=1
	s_and_not1_saveexec_b32 s40, s40
	s_cbranch_execz .LBB117_49
; %bb.48:                               ;   in Loop: Header=BB117_3 Depth=1
	v_lshl_add_u64 v[30:31], v[18:19], 2, v[30:31]
	flat_load_b32 v24, v[30:31]
	s_wait_loadcnt_dscnt 0x0
	v_xor_b32_e32 v24, 0x80000000, v24
	ds_store_b32 v79, v24
.LBB117_49:                             ;   in Loop: Header=BB117_3 Depth=1
	s_or_b32 exec_lo, exec_lo, s40
.LBB117_50:                             ;   in Loop: Header=BB117_3 Depth=1
	s_delay_alu instid0(SALU_CYCLE_1)
	s_and_not1_b32 vcc_lo, exec_lo, s87
	s_wait_loadcnt_dscnt 0x0
	s_barrier_signal -1
	s_barrier_wait -1
	s_cbranch_vccnz .LBB117_1088
; %bb.51:                               ;   in Loop: Header=BB117_3 Depth=1
	s_wait_xcnt 0x0
	s_and_saveexec_b32 s40, s11
	s_cbranch_execz .LBB117_53
; %bb.52:                               ;   in Loop: Header=BB117_3 Depth=1
	ds_load_b32 v24, v5 offset:4
	ds_store_b32 v5, v25
	s_wait_dscnt 0x1
	ds_store_b64 v5, v[24:25] offset:256
.LBB117_53:                             ;   in Loop: Header=BB117_3 Depth=1
	s_or_b32 exec_lo, exec_lo, s40
	v_mov_b32_e32 v24, 0
	s_wait_dscnt 0x0
	s_barrier_signal -1
	s_barrier_wait -1
	s_and_saveexec_b32 s40, s2
	s_cbranch_execz .LBB117_57
; %bb.54:                               ;   in Loop: Header=BB117_3 Depth=1
	ds_load_b32 v24, v39 offset:8
	ds_load_b32 v30, v40
	s_wait_dscnt 0x0
	v_fma_f32 v24, v24, v30, 0
	s_and_saveexec_b32 s41, s12
	s_cbranch_execz .LBB117_56
; %bb.55:                               ;   in Loop: Header=BB117_3 Depth=1
	ds_load_b32 v30, v3 offset:264
	ds_load_b32 v31, v5 offset:4
	s_wait_dscnt 0x0
	v_fmac_f32_e32 v24, v30, v31
.LBB117_56:                             ;   in Loop: Header=BB117_3 Depth=1
	s_or_b32 exec_lo, exec_lo, s41
	s_delay_alu instid0(VALU_DEP_1)
	v_xor_b32_e32 v24, 0x80000000, v24
.LBB117_57:                             ;   in Loop: Header=BB117_3 Depth=1
	s_or_b32 exec_lo, exec_lo, s40
	s_and_saveexec_b32 s40, s88
; %bb.58:                               ;   in Loop: Header=BB117_3 Depth=1
	ds_store_b32 v37, v24
; %bb.59:                               ;   in Loop: Header=BB117_3 Depth=1
	s_or_b32 exec_lo, exec_lo, s40
	s_wait_dscnt 0x0
	s_barrier_signal -1
	s_barrier_wait -1
	s_and_saveexec_b32 s40, s89
	s_cbranch_execz .LBB117_61
; %bb.60:                               ;   in Loop: Header=BB117_3 Depth=1
	ds_load_b32 v30, v5 offset:524
	ds_load_b32 v31, v37
	s_wait_dscnt 0x0
	v_fmac_f32_e32 v24, v30, v31
.LBB117_61:                             ;   in Loop: Header=BB117_3 Depth=1
	s_or_b32 exec_lo, exec_lo, s40
	s_barrier_signal -1
	s_barrier_wait -1
	s_and_saveexec_b32 s40, s89
; %bb.62:                               ;   in Loop: Header=BB117_3 Depth=1
	ds_store_b32 v37, v24
; %bb.63:                               ;   in Loop: Header=BB117_3 Depth=1
	s_or_b32 exec_lo, exec_lo, s40
	s_wait_dscnt 0x0
	s_barrier_signal -1
	s_barrier_wait -1
	s_barrier_signal -1
	s_barrier_wait -1
	s_and_saveexec_b32 s40, s2
; %bb.64:                               ;   in Loop: Header=BB117_3 Depth=1
	v_xor_b32_e32 v24, 0x80000000, v24
	ds_store_b32 v39, v24 offset:8
; %bb.65:                               ;   in Loop: Header=BB117_3 Depth=1
	s_or_b32 exec_lo, exec_lo, s40
	s_wait_dscnt 0x0
	s_barrier_signal -1
	s_barrier_wait -1
	s_barrier_signal -1
	s_barrier_wait -1
	s_and_saveexec_b32 s40, s90
	s_cbranch_execz .LBB117_67
; %bb.66:                               ;   in Loop: Header=BB117_3 Depth=1
	ds_load_b32 v24, v7 offset:8
	s_wait_dscnt 0x0
	ds_store_b32 v3, v24 offset:512
	ds_load_b32 v24, v7 offset:12
	s_wait_dscnt 0x0
	ds_store_b32 v3, v24 offset:768
.LBB117_67:                             ;   in Loop: Header=BB117_3 Depth=1
	s_or_b32 exec_lo, exec_lo, s40
	s_wait_dscnt 0x0
	s_barrier_signal -1
	s_barrier_wait -1
	s_and_saveexec_b32 s40, s11
	s_cbranch_execz .LBB117_69
; %bb.68:                               ;   in Loop: Header=BB117_3 Depth=1
	ds_load_b32 v24, v5 offset:524
	ds_store_b32 v5, v25 offset:520
	s_wait_dscnt 0x1
	ds_store_b64 v5, v[24:25] offset:776
.LBB117_69:                             ;   in Loop: Header=BB117_3 Depth=1
	s_or_b32 exec_lo, exec_lo, s40
	v_mov_b32_e32 v24, 0
	s_wait_dscnt 0x0
	s_barrier_signal -1
	s_barrier_wait -1
	s_and_saveexec_b32 s40, s4
	s_cbranch_execz .LBB117_75
; %bb.70:                               ;   in Loop: Header=BB117_3 Depth=1
	ds_load_b32 v24, v48 offset:16
	ds_load_b32 v30, v41
	s_wait_dscnt 0x0
	v_fma_f32 v24, v24, v30, 0
	s_and_saveexec_b32 s41, s13
	s_cbranch_execnz .LBB117_1175
; %bb.71:                               ;   in Loop: Header=BB117_3 Depth=1
	s_or_b32 exec_lo, exec_lo, s41
	s_and_saveexec_b32 s41, s14
	s_cbranch_execnz .LBB117_1176
.LBB117_72:                             ;   in Loop: Header=BB117_3 Depth=1
	s_or_b32 exec_lo, exec_lo, s41
	s_and_saveexec_b32 s41, s2
	s_cbranch_execz .LBB117_74
.LBB117_73:                             ;   in Loop: Header=BB117_3 Depth=1
	ds_load_b32 v30, v9 offset:784
	ds_load_b32 v31, v5 offset:12
	s_wait_dscnt 0x0
	v_fmac_f32_e32 v24, v30, v31
.LBB117_74:                             ;   in Loop: Header=BB117_3 Depth=1
	s_or_b32 exec_lo, exec_lo, s41
	s_delay_alu instid0(VALU_DEP_1)
	v_xor_b32_e32 v24, 0x80000000, v24
.LBB117_75:                             ;   in Loop: Header=BB117_3 Depth=1
	s_or_b32 exec_lo, exec_lo, s40
	s_and_saveexec_b32 s40, s91
; %bb.76:                               ;   in Loop: Header=BB117_3 Depth=1
	ds_store_b32 v47, v24
; %bb.77:                               ;   in Loop: Header=BB117_3 Depth=1
	s_or_b32 exec_lo, exec_lo, s40
	s_wait_dscnt 0x0
	s_barrier_signal -1
	s_barrier_wait -1
	s_and_saveexec_b32 s40, s92
	s_cbranch_execz .LBB117_79
; %bb.78:                               ;   in Loop: Header=BB117_3 Depth=1
	ds_load_b32 v30, v45 offset:1040
	ds_load_b32 v31, v47
	s_wait_dscnt 0x0
	v_fmac_f32_e32 v24, v30, v31
.LBB117_79:                             ;   in Loop: Header=BB117_3 Depth=1
	s_or_b32 exec_lo, exec_lo, s40
	s_barrier_signal -1
	s_barrier_wait -1
	s_and_saveexec_b32 s40, s93
; %bb.80:                               ;   in Loop: Header=BB117_3 Depth=1
	ds_store_b32 v47, v24
; %bb.81:                               ;   in Loop: Header=BB117_3 Depth=1
	s_or_b32 exec_lo, exec_lo, s40
	s_wait_dscnt 0x0
	s_barrier_signal -1
	s_barrier_wait -1
	s_and_saveexec_b32 s40, s94
	s_cbranch_execz .LBB117_83
; %bb.82:                               ;   in Loop: Header=BB117_3 Depth=1
	ds_load_b32 v30, v45 offset:1296
	ds_load_b32 v31, v47
	s_wait_dscnt 0x0
	v_fmac_f32_e32 v24, v30, v31
.LBB117_83:                             ;   in Loop: Header=BB117_3 Depth=1
	s_or_b32 exec_lo, exec_lo, s40
	s_barrier_signal -1
	s_barrier_wait -1
	;; [unrolled: 19-line block ×3, first 2 shown]
	s_and_saveexec_b32 s40, s96
; %bb.88:                               ;   in Loop: Header=BB117_3 Depth=1
	ds_store_b32 v47, v24
; %bb.89:                               ;   in Loop: Header=BB117_3 Depth=1
	s_or_b32 exec_lo, exec_lo, s40
	s_wait_dscnt 0x0
	s_barrier_signal -1
	s_barrier_wait -1
	s_barrier_signal -1
	s_barrier_wait -1
	s_and_saveexec_b32 s40, s4
; %bb.90:                               ;   in Loop: Header=BB117_3 Depth=1
	v_xor_b32_e32 v24, 0x80000000, v24
	ds_store_b32 v48, v24 offset:16
; %bb.91:                               ;   in Loop: Header=BB117_3 Depth=1
	s_or_b32 exec_lo, exec_lo, s40
	s_wait_dscnt 0x0
	s_barrier_signal -1
	s_barrier_wait -1
	s_barrier_signal -1
	s_barrier_wait -1
	s_and_saveexec_b32 s40, s97
	s_cbranch_execz .LBB117_93
; %bb.92:                               ;   in Loop: Header=BB117_3 Depth=1
	ds_load_b32 v24, v34 offset:16
	s_wait_dscnt 0x0
	ds_store_b32 v35, v24 offset:1024
	ds_load_b32 v24, v34 offset:20
	s_wait_dscnt 0x0
	ds_store_b32 v35, v24 offset:1280
	;; [unrolled: 3-line block ×4, first 2 shown]
.LBB117_93:                             ;   in Loop: Header=BB117_3 Depth=1
	s_or_b32 exec_lo, exec_lo, s40
	s_wait_dscnt 0x0
	s_barrier_signal -1
	s_barrier_wait -1
	s_and_saveexec_b32 s40, s11
	s_cbranch_execz .LBB117_95
; %bb.94:                               ;   in Loop: Header=BB117_3 Depth=1
	ds_load_b32 v24, v5 offset:1044
	ds_store_b32 v5, v25 offset:1040
	s_wait_dscnt 0x1
	ds_store_b64 v5, v[24:25] offset:1296
.LBB117_95:                             ;   in Loop: Header=BB117_3 Depth=1
	s_or_b32 exec_lo, exec_lo, s40
	v_mov_b32_e32 v24, 0
	s_wait_dscnt 0x0
	s_barrier_signal -1
	s_barrier_wait -1
	s_and_saveexec_b32 s40, s2
	s_cbranch_execz .LBB117_99
; %bb.96:                               ;   in Loop: Header=BB117_3 Depth=1
	ds_load_b32 v24, v39 offset:1048
	ds_load_b32 v30, v40 offset:1040
	s_wait_dscnt 0x0
	v_fma_f32 v24, v24, v30, 0
	s_and_saveexec_b32 s41, s12
	s_cbranch_execz .LBB117_98
; %bb.97:                               ;   in Loop: Header=BB117_3 Depth=1
	ds_load_b32 v30, v35 offset:1304
	ds_load_b32 v31, v5 offset:1044
	s_wait_dscnt 0x0
	v_fmac_f32_e32 v24, v30, v31
.LBB117_98:                             ;   in Loop: Header=BB117_3 Depth=1
	s_or_b32 exec_lo, exec_lo, s41
	s_delay_alu instid0(VALU_DEP_1)
	v_xor_b32_e32 v24, 0x80000000, v24
.LBB117_99:                             ;   in Loop: Header=BB117_3 Depth=1
	s_or_b32 exec_lo, exec_lo, s40
	s_and_saveexec_b32 s40, s88
; %bb.100:                              ;   in Loop: Header=BB117_3 Depth=1
	ds_store_b32 v37, v24
; %bb.101:                              ;   in Loop: Header=BB117_3 Depth=1
	s_or_b32 exec_lo, exec_lo, s40
	s_wait_dscnt 0x0
	s_barrier_signal -1
	s_barrier_wait -1
	s_and_saveexec_b32 s40, s89
	s_cbranch_execz .LBB117_103
; %bb.102:                              ;   in Loop: Header=BB117_3 Depth=1
	ds_load_b32 v30, v5 offset:1564
	ds_load_b32 v31, v37
	s_wait_dscnt 0x0
	v_fmac_f32_e32 v24, v30, v31
.LBB117_103:                            ;   in Loop: Header=BB117_3 Depth=1
	s_or_b32 exec_lo, exec_lo, s40
	s_barrier_signal -1
	s_barrier_wait -1
	s_and_saveexec_b32 s40, s89
; %bb.104:                              ;   in Loop: Header=BB117_3 Depth=1
	ds_store_b32 v37, v24
; %bb.105:                              ;   in Loop: Header=BB117_3 Depth=1
	s_or_b32 exec_lo, exec_lo, s40
	s_wait_dscnt 0x0
	s_barrier_signal -1
	s_barrier_wait -1
	s_barrier_signal -1
	s_barrier_wait -1
	s_and_saveexec_b32 s40, s2
; %bb.106:                              ;   in Loop: Header=BB117_3 Depth=1
	v_xor_b32_e32 v24, 0x80000000, v24
	ds_store_b32 v39, v24 offset:1048
; %bb.107:                              ;   in Loop: Header=BB117_3 Depth=1
	s_or_b32 exec_lo, exec_lo, s40
	s_wait_dscnt 0x0
	s_barrier_signal -1
	s_barrier_wait -1
	s_barrier_signal -1
	s_barrier_wait -1
	s_and_saveexec_b32 s40, s90
	s_cbranch_execz .LBB117_109
; %bb.108:                              ;   in Loop: Header=BB117_3 Depth=1
	ds_load_b32 v24, v36 offset:1048
	s_wait_dscnt 0x0
	ds_store_b32 v35, v24 offset:1552
	ds_load_b32 v24, v36 offset:1052
	s_wait_dscnt 0x0
	ds_store_b32 v35, v24 offset:1808
.LBB117_109:                            ;   in Loop: Header=BB117_3 Depth=1
	s_or_b32 exec_lo, exec_lo, s40
	s_wait_dscnt 0x0
	s_barrier_signal -1
	s_barrier_wait -1
	s_and_saveexec_b32 s40, s11
	s_cbranch_execz .LBB117_111
; %bb.110:                              ;   in Loop: Header=BB117_3 Depth=1
	ds_load_b32 v24, v5 offset:1564
	ds_store_b32 v5, v25 offset:1560
	s_wait_dscnt 0x1
	ds_store_b64 v5, v[24:25] offset:1816
.LBB117_111:                            ;   in Loop: Header=BB117_3 Depth=1
	s_or_b32 exec_lo, exec_lo, s40
	v_mov_b32_e32 v24, 0
	s_wait_dscnt 0x0
	s_barrier_signal -1
	s_barrier_wait -1
	s_and_saveexec_b32 s40, s5
	s_cbranch_execz .LBB117_121
; %bb.112:                              ;   in Loop: Header=BB117_3 Depth=1
	ds_load_b32 v24, v55 offset:32
	ds_load_b32 v30, v52
	s_wait_dscnt 0x0
	v_fma_f32 v24, v24, v30, 0
	s_and_saveexec_b32 s41, s15
	s_cbranch_execnz .LBB117_1177
; %bb.113:                              ;   in Loop: Header=BB117_3 Depth=1
	s_or_b32 exec_lo, exec_lo, s41
	s_and_saveexec_b32 s41, s16
	s_cbranch_execnz .LBB117_1178
.LBB117_114:                            ;   in Loop: Header=BB117_3 Depth=1
	s_or_b32 exec_lo, exec_lo, s41
	s_and_saveexec_b32 s41, s17
	s_cbranch_execnz .LBB117_1179
.LBB117_115:                            ;   in Loop: Header=BB117_3 Depth=1
	s_or_b32 exec_lo, exec_lo, s41
	s_and_saveexec_b32 s41, s18
	s_cbranch_execnz .LBB117_1180
.LBB117_116:                            ;   in Loop: Header=BB117_3 Depth=1
	s_or_b32 exec_lo, exec_lo, s41
	s_and_saveexec_b32 s41, s19
	s_cbranch_execnz .LBB117_1181
.LBB117_117:                            ;   in Loop: Header=BB117_3 Depth=1
	s_or_b32 exec_lo, exec_lo, s41
	s_and_saveexec_b32 s41, s4
	s_cbranch_execnz .LBB117_1182
.LBB117_118:                            ;   in Loop: Header=BB117_3 Depth=1
	s_or_b32 exec_lo, exec_lo, s41
	s_and_saveexec_b32 s41, s14
	s_cbranch_execz .LBB117_120
.LBB117_119:                            ;   in Loop: Header=BB117_3 Depth=1
	ds_load_b32 v30, v38 offset:1824
	ds_load_b32 v31, v5 offset:28
	s_wait_dscnt 0x0
	v_fmac_f32_e32 v24, v30, v31
.LBB117_120:                            ;   in Loop: Header=BB117_3 Depth=1
	s_or_b32 exec_lo, exec_lo, s41
	s_delay_alu instid0(VALU_DEP_1)
	v_xor_b32_e32 v24, 0x80000000, v24
.LBB117_121:                            ;   in Loop: Header=BB117_3 Depth=1
	s_or_b32 exec_lo, exec_lo, s40
	s_and_saveexec_b32 s40, s98
; %bb.122:                              ;   in Loop: Header=BB117_3 Depth=1
	ds_store_b32 v54, v24
; %bb.123:                              ;   in Loop: Header=BB117_3 Depth=1
	s_or_b32 exec_lo, exec_lo, s40
	s_wait_dscnt 0x0
	s_barrier_signal -1
	s_barrier_wait -1
	s_and_saveexec_b32 s40, s99
	s_cbranch_execz .LBB117_125
; %bb.124:                              ;   in Loop: Header=BB117_3 Depth=1
	ds_load_b32 v30, v51 offset:2080
	ds_load_b32 v31, v54
	s_wait_dscnt 0x0
	v_fmac_f32_e32 v24, v30, v31
.LBB117_125:                            ;   in Loop: Header=BB117_3 Depth=1
	s_or_b32 exec_lo, exec_lo, s40
	s_barrier_signal -1
	s_barrier_wait -1
	s_and_saveexec_b32 s40, s100
; %bb.126:                              ;   in Loop: Header=BB117_3 Depth=1
	ds_store_b32 v54, v24
; %bb.127:                              ;   in Loop: Header=BB117_3 Depth=1
	s_or_b32 exec_lo, exec_lo, s40
	s_wait_dscnt 0x0
	s_barrier_signal -1
	s_barrier_wait -1
	s_and_saveexec_b32 s40, s101
	s_cbranch_execz .LBB117_129
; %bb.128:                              ;   in Loop: Header=BB117_3 Depth=1
	ds_load_b32 v30, v51 offset:2336
	ds_load_b32 v31, v54
	s_wait_dscnt 0x0
	v_fmac_f32_e32 v24, v30, v31
.LBB117_129:                            ;   in Loop: Header=BB117_3 Depth=1
	s_or_b32 exec_lo, exec_lo, s40
	s_barrier_signal -1
	s_barrier_wait -1
	;; [unrolled: 19-line block ×3, first 2 shown]
	s_and_saveexec_b32 s40, s104
; %bb.134:                              ;   in Loop: Header=BB117_3 Depth=1
	ds_store_b32 v54, v24
; %bb.135:                              ;   in Loop: Header=BB117_3 Depth=1
	s_or_b32 exec_lo, exec_lo, s40
	s_wait_dscnt 0x0
	s_barrier_signal -1
	s_barrier_wait -1
	s_and_saveexec_b32 s40, vcc_hi
	s_cbranch_execz .LBB117_137
; %bb.136:                              ;   in Loop: Header=BB117_3 Depth=1
	ds_load_b32 v30, v51 offset:2848
	ds_load_b32 v31, v54
	s_wait_dscnt 0x0
	v_fmac_f32_e32 v24, v30, v31
.LBB117_137:                            ;   in Loop: Header=BB117_3 Depth=1
	s_or_b32 exec_lo, exec_lo, s40
	s_barrier_signal -1
	s_barrier_wait -1
	s_and_saveexec_b32 s40, s31
; %bb.138:                              ;   in Loop: Header=BB117_3 Depth=1
	ds_store_b32 v54, v24
; %bb.139:                              ;   in Loop: Header=BB117_3 Depth=1
	s_or_b32 exec_lo, exec_lo, s40
	s_wait_dscnt 0x0
	s_barrier_signal -1
	s_barrier_wait -1
	s_and_saveexec_b32 s40, s33
	s_cbranch_execz .LBB117_141
; %bb.140:                              ;   in Loop: Header=BB117_3 Depth=1
	ds_load_b32 v30, v51 offset:3104
	ds_load_b32 v31, v54
	s_wait_dscnt 0x0
	v_fmac_f32_e32 v24, v30, v31
.LBB117_141:                            ;   in Loop: Header=BB117_3 Depth=1
	s_or_b32 exec_lo, exec_lo, s40
	s_barrier_signal -1
	s_barrier_wait -1
	s_and_saveexec_b32 s40, s34
; %bb.142:                              ;   in Loop: Header=BB117_3 Depth=1
	ds_store_b32 v54, v24
; %bb.143:                              ;   in Loop: Header=BB117_3 Depth=1
	s_or_b32 exec_lo, exec_lo, s40
	s_wait_dscnt 0x0
	s_barrier_signal -1
	s_barrier_wait -1
	s_and_saveexec_b32 s40, s35
	;; [unrolled: 19-line block ×3, first 2 shown]
	s_cbranch_execz .LBB117_149
; %bb.148:                              ;   in Loop: Header=BB117_3 Depth=1
	ds_load_b32 v30, v5 offset:3644
	ds_load_b32 v31, v54
	s_wait_dscnt 0x0
	v_fmac_f32_e32 v24, v30, v31
.LBB117_149:                            ;   in Loop: Header=BB117_3 Depth=1
	s_or_b32 exec_lo, exec_lo, s40
	s_barrier_signal -1
	s_barrier_wait -1
	s_and_saveexec_b32 s40, s37
; %bb.150:                              ;   in Loop: Header=BB117_3 Depth=1
	ds_store_b32 v54, v24
; %bb.151:                              ;   in Loop: Header=BB117_3 Depth=1
	s_or_b32 exec_lo, exec_lo, s40
	s_wait_dscnt 0x0
	s_barrier_signal -1
	s_barrier_wait -1
	s_barrier_signal -1
	s_barrier_wait -1
	s_and_saveexec_b32 s40, s5
; %bb.152:                              ;   in Loop: Header=BB117_3 Depth=1
	v_xor_b32_e32 v24, 0x80000000, v24
	ds_store_b32 v55, v24 offset:32
; %bb.153:                              ;   in Loop: Header=BB117_3 Depth=1
	s_or_b32 exec_lo, exec_lo, s40
	s_wait_dscnt 0x0
	s_barrier_signal -1
	s_barrier_wait -1
	s_barrier_signal -1
	s_barrier_wait -1
	s_and_saveexec_b32 s40, s38
	s_cbranch_execz .LBB117_155
; %bb.154:                              ;   in Loop: Header=BB117_3 Depth=1
	ds_load_b32 v24, v42 offset:32
	s_wait_dscnt 0x0
	ds_store_b32 v46, v24 offset:2048
	ds_load_b32 v24, v42 offset:36
	s_wait_dscnt 0x0
	ds_store_b32 v46, v24 offset:2304
	;; [unrolled: 3-line block ×8, first 2 shown]
.LBB117_155:                            ;   in Loop: Header=BB117_3 Depth=1
	s_or_b32 exec_lo, exec_lo, s40
	s_wait_dscnt 0x0
	s_barrier_signal -1
	s_barrier_wait -1
	s_and_saveexec_b32 s40, s11
	s_cbranch_execz .LBB117_157
; %bb.156:                              ;   in Loop: Header=BB117_3 Depth=1
	ds_load_b32 v24, v5 offset:2084
	ds_store_b32 v5, v25 offset:2080
	s_wait_dscnt 0x1
	ds_store_b64 v5, v[24:25] offset:2336
.LBB117_157:                            ;   in Loop: Header=BB117_3 Depth=1
	s_or_b32 exec_lo, exec_lo, s40
	v_mov_b32_e32 v24, 0
	s_wait_dscnt 0x0
	s_barrier_signal -1
	s_barrier_wait -1
	s_and_saveexec_b32 s40, s2
	s_cbranch_execz .LBB117_161
; %bb.158:                              ;   in Loop: Header=BB117_3 Depth=1
	ds_load_b32 v24, v39 offset:2088
	ds_load_b32 v30, v40 offset:2080
	s_wait_dscnt 0x0
	v_fma_f32 v24, v24, v30, 0
	s_and_saveexec_b32 s41, s12
	s_cbranch_execz .LBB117_160
; %bb.159:                              ;   in Loop: Header=BB117_3 Depth=1
	ds_load_b32 v30, v46 offset:2344
	ds_load_b32 v31, v5 offset:2084
	s_wait_dscnt 0x0
	v_fmac_f32_e32 v24, v30, v31
.LBB117_160:                            ;   in Loop: Header=BB117_3 Depth=1
	s_or_b32 exec_lo, exec_lo, s41
	s_delay_alu instid0(VALU_DEP_1)
	v_xor_b32_e32 v24, 0x80000000, v24
.LBB117_161:                            ;   in Loop: Header=BB117_3 Depth=1
	s_or_b32 exec_lo, exec_lo, s40
	s_and_saveexec_b32 s40, s88
; %bb.162:                              ;   in Loop: Header=BB117_3 Depth=1
	ds_store_b32 v37, v24
; %bb.163:                              ;   in Loop: Header=BB117_3 Depth=1
	s_or_b32 exec_lo, exec_lo, s40
	s_wait_dscnt 0x0
	s_barrier_signal -1
	s_barrier_wait -1
	s_and_saveexec_b32 s40, s89
	s_cbranch_execz .LBB117_165
; %bb.164:                              ;   in Loop: Header=BB117_3 Depth=1
	ds_load_b32 v30, v5 offset:2604
	ds_load_b32 v31, v37
	s_wait_dscnt 0x0
	v_fmac_f32_e32 v24, v30, v31
.LBB117_165:                            ;   in Loop: Header=BB117_3 Depth=1
	s_or_b32 exec_lo, exec_lo, s40
	s_barrier_signal -1
	s_barrier_wait -1
	s_and_saveexec_b32 s40, s89
; %bb.166:                              ;   in Loop: Header=BB117_3 Depth=1
	ds_store_b32 v37, v24
; %bb.167:                              ;   in Loop: Header=BB117_3 Depth=1
	s_or_b32 exec_lo, exec_lo, s40
	s_wait_dscnt 0x0
	s_barrier_signal -1
	s_barrier_wait -1
	s_barrier_signal -1
	s_barrier_wait -1
	s_and_saveexec_b32 s40, s2
; %bb.168:                              ;   in Loop: Header=BB117_3 Depth=1
	v_xor_b32_e32 v24, 0x80000000, v24
	ds_store_b32 v39, v24 offset:2088
; %bb.169:                              ;   in Loop: Header=BB117_3 Depth=1
	s_or_b32 exec_lo, exec_lo, s40
	s_wait_dscnt 0x0
	s_barrier_signal -1
	s_barrier_wait -1
	s_barrier_signal -1
	s_barrier_wait -1
	s_and_saveexec_b32 s40, s90
	s_cbranch_execz .LBB117_171
; %bb.170:                              ;   in Loop: Header=BB117_3 Depth=1
	ds_load_b32 v24, v50 offset:2088
	s_wait_dscnt 0x0
	ds_store_b32 v46, v24 offset:2592
	ds_load_b32 v24, v50 offset:2092
	s_wait_dscnt 0x0
	ds_store_b32 v46, v24 offset:2848
.LBB117_171:                            ;   in Loop: Header=BB117_3 Depth=1
	s_or_b32 exec_lo, exec_lo, s40
	s_wait_dscnt 0x0
	s_barrier_signal -1
	s_barrier_wait -1
	s_and_saveexec_b32 s40, s11
	s_cbranch_execz .LBB117_173
; %bb.172:                              ;   in Loop: Header=BB117_3 Depth=1
	ds_load_b32 v24, v5 offset:2604
	ds_store_b32 v5, v25 offset:2600
	s_wait_dscnt 0x1
	ds_store_b64 v5, v[24:25] offset:2856
.LBB117_173:                            ;   in Loop: Header=BB117_3 Depth=1
	s_or_b32 exec_lo, exec_lo, s40
	v_mov_b32_e32 v24, 0
	s_wait_dscnt 0x0
	s_barrier_signal -1
	s_barrier_wait -1
	s_and_saveexec_b32 s40, s4
	s_cbranch_execz .LBB117_179
; %bb.174:                              ;   in Loop: Header=BB117_3 Depth=1
	ds_load_b32 v24, v48 offset:2096
	ds_load_b32 v30, v41 offset:2080
	s_wait_dscnt 0x0
	v_fma_f32 v24, v24, v30, 0
	s_and_saveexec_b32 s41, s13
	s_cbranch_execnz .LBB117_1183
; %bb.175:                              ;   in Loop: Header=BB117_3 Depth=1
	s_or_b32 exec_lo, exec_lo, s41
	s_and_saveexec_b32 s41, s14
	s_cbranch_execnz .LBB117_1184
.LBB117_176:                            ;   in Loop: Header=BB117_3 Depth=1
	s_or_b32 exec_lo, exec_lo, s41
	s_and_saveexec_b32 s41, s2
	s_cbranch_execz .LBB117_178
.LBB117_177:                            ;   in Loop: Header=BB117_3 Depth=1
	ds_load_b32 v30, v53 offset:2864
	ds_load_b32 v31, v5 offset:2092
	s_wait_dscnt 0x0
	v_fmac_f32_e32 v24, v30, v31
.LBB117_178:                            ;   in Loop: Header=BB117_3 Depth=1
	s_or_b32 exec_lo, exec_lo, s41
	s_delay_alu instid0(VALU_DEP_1)
	v_xor_b32_e32 v24, 0x80000000, v24
.LBB117_179:                            ;   in Loop: Header=BB117_3 Depth=1
	s_or_b32 exec_lo, exec_lo, s40
	s_and_saveexec_b32 s40, s91
; %bb.180:                              ;   in Loop: Header=BB117_3 Depth=1
	ds_store_b32 v47, v24
; %bb.181:                              ;   in Loop: Header=BB117_3 Depth=1
	s_or_b32 exec_lo, exec_lo, s40
	s_wait_dscnt 0x0
	s_barrier_signal -1
	s_barrier_wait -1
	s_and_saveexec_b32 s40, s92
	s_cbranch_execz .LBB117_183
; %bb.182:                              ;   in Loop: Header=BB117_3 Depth=1
	ds_load_b32 v30, v45 offset:3120
	ds_load_b32 v31, v47
	s_wait_dscnt 0x0
	v_fmac_f32_e32 v24, v30, v31
.LBB117_183:                            ;   in Loop: Header=BB117_3 Depth=1
	s_or_b32 exec_lo, exec_lo, s40
	s_barrier_signal -1
	s_barrier_wait -1
	s_and_saveexec_b32 s40, s93
; %bb.184:                              ;   in Loop: Header=BB117_3 Depth=1
	ds_store_b32 v47, v24
; %bb.185:                              ;   in Loop: Header=BB117_3 Depth=1
	s_or_b32 exec_lo, exec_lo, s40
	s_wait_dscnt 0x0
	s_barrier_signal -1
	s_barrier_wait -1
	s_and_saveexec_b32 s40, s94
	s_cbranch_execz .LBB117_187
; %bb.186:                              ;   in Loop: Header=BB117_3 Depth=1
	ds_load_b32 v30, v45 offset:3376
	ds_load_b32 v31, v47
	s_wait_dscnt 0x0
	v_fmac_f32_e32 v24, v30, v31
.LBB117_187:                            ;   in Loop: Header=BB117_3 Depth=1
	s_or_b32 exec_lo, exec_lo, s40
	s_barrier_signal -1
	s_barrier_wait -1
	;; [unrolled: 19-line block ×3, first 2 shown]
	s_and_saveexec_b32 s40, s96
; %bb.192:                              ;   in Loop: Header=BB117_3 Depth=1
	ds_store_b32 v47, v24
; %bb.193:                              ;   in Loop: Header=BB117_3 Depth=1
	s_or_b32 exec_lo, exec_lo, s40
	s_wait_dscnt 0x0
	s_barrier_signal -1
	s_barrier_wait -1
	s_barrier_signal -1
	s_barrier_wait -1
	s_and_saveexec_b32 s40, s4
; %bb.194:                              ;   in Loop: Header=BB117_3 Depth=1
	v_xor_b32_e32 v24, 0x80000000, v24
	ds_store_b32 v48, v24 offset:2096
; %bb.195:                              ;   in Loop: Header=BB117_3 Depth=1
	s_or_b32 exec_lo, exec_lo, s40
	s_wait_dscnt 0x0
	s_barrier_signal -1
	s_barrier_wait -1
	s_barrier_signal -1
	s_barrier_wait -1
	s_and_saveexec_b32 s40, s97
	s_cbranch_execz .LBB117_197
; %bb.196:                              ;   in Loop: Header=BB117_3 Depth=1
	ds_load_b32 v24, v56 offset:2096
	s_wait_dscnt 0x0
	ds_store_b32 v59, v24 offset:3104
	ds_load_b32 v24, v56 offset:2100
	s_wait_dscnt 0x0
	ds_store_b32 v59, v24 offset:3360
	;; [unrolled: 3-line block ×4, first 2 shown]
.LBB117_197:                            ;   in Loop: Header=BB117_3 Depth=1
	s_or_b32 exec_lo, exec_lo, s40
	s_wait_dscnt 0x0
	s_barrier_signal -1
	s_barrier_wait -1
	s_and_saveexec_b32 s40, s11
	s_cbranch_execz .LBB117_199
; %bb.198:                              ;   in Loop: Header=BB117_3 Depth=1
	ds_load_b32 v24, v5 offset:3124
	ds_store_b32 v5, v25 offset:3120
	s_wait_dscnt 0x1
	ds_store_b64 v5, v[24:25] offset:3376
.LBB117_199:                            ;   in Loop: Header=BB117_3 Depth=1
	s_or_b32 exec_lo, exec_lo, s40
	v_mov_b32_e32 v24, 0
	s_wait_dscnt 0x0
	s_barrier_signal -1
	s_barrier_wait -1
	s_and_saveexec_b32 s40, s2
	s_cbranch_execz .LBB117_203
; %bb.200:                              ;   in Loop: Header=BB117_3 Depth=1
	ds_load_b32 v24, v39 offset:3128
	ds_load_b32 v30, v40 offset:3120
	s_wait_dscnt 0x0
	v_fma_f32 v24, v24, v30, 0
	s_and_saveexec_b32 s41, s12
	s_cbranch_execz .LBB117_202
; %bb.201:                              ;   in Loop: Header=BB117_3 Depth=1
	ds_load_b32 v30, v59 offset:3384
	ds_load_b32 v31, v5 offset:3124
	s_wait_dscnt 0x0
	v_fmac_f32_e32 v24, v30, v31
.LBB117_202:                            ;   in Loop: Header=BB117_3 Depth=1
	s_or_b32 exec_lo, exec_lo, s41
	s_delay_alu instid0(VALU_DEP_1)
	v_xor_b32_e32 v24, 0x80000000, v24
.LBB117_203:                            ;   in Loop: Header=BB117_3 Depth=1
	s_or_b32 exec_lo, exec_lo, s40
	s_and_saveexec_b32 s40, s88
; %bb.204:                              ;   in Loop: Header=BB117_3 Depth=1
	ds_store_b32 v37, v24
; %bb.205:                              ;   in Loop: Header=BB117_3 Depth=1
	s_or_b32 exec_lo, exec_lo, s40
	s_wait_dscnt 0x0
	s_barrier_signal -1
	s_barrier_wait -1
	s_and_saveexec_b32 s40, s89
	s_cbranch_execz .LBB117_207
; %bb.206:                              ;   in Loop: Header=BB117_3 Depth=1
	ds_load_b32 v30, v5 offset:3644
	ds_load_b32 v31, v37
	s_wait_dscnt 0x0
	v_fmac_f32_e32 v24, v30, v31
.LBB117_207:                            ;   in Loop: Header=BB117_3 Depth=1
	s_or_b32 exec_lo, exec_lo, s40
	s_barrier_signal -1
	s_barrier_wait -1
	s_and_saveexec_b32 s40, s89
; %bb.208:                              ;   in Loop: Header=BB117_3 Depth=1
	ds_store_b32 v37, v24
; %bb.209:                              ;   in Loop: Header=BB117_3 Depth=1
	s_or_b32 exec_lo, exec_lo, s40
	s_wait_dscnt 0x0
	s_barrier_signal -1
	s_barrier_wait -1
	s_barrier_signal -1
	s_barrier_wait -1
	s_and_saveexec_b32 s40, s2
; %bb.210:                              ;   in Loop: Header=BB117_3 Depth=1
	v_xor_b32_e32 v24, 0x80000000, v24
	ds_store_b32 v39, v24 offset:3128
; %bb.211:                              ;   in Loop: Header=BB117_3 Depth=1
	s_or_b32 exec_lo, exec_lo, s40
	s_wait_dscnt 0x0
	s_barrier_signal -1
	s_barrier_wait -1
	s_barrier_signal -1
	s_barrier_wait -1
	s_and_saveexec_b32 s40, s90
	s_cbranch_execz .LBB117_213
; %bb.212:                              ;   in Loop: Header=BB117_3 Depth=1
	v_add_nc_u32_e32 v24, v59, v44
	ds_load_b32 v30, v24 offset:3128
	s_wait_dscnt 0x0
	ds_store_b32 v59, v30 offset:3632
	ds_load_b32 v24, v24 offset:3132
	s_wait_dscnt 0x0
	ds_store_b32 v59, v24 offset:3888
.LBB117_213:                            ;   in Loop: Header=BB117_3 Depth=1
	s_or_b32 exec_lo, exec_lo, s40
	s_wait_dscnt 0x0
	s_barrier_signal -1
	s_barrier_wait -1
	s_and_saveexec_b32 s40, s11
	s_cbranch_execz .LBB117_215
; %bb.214:                              ;   in Loop: Header=BB117_3 Depth=1
	ds_load_b32 v24, v5 offset:3644
	ds_store_b32 v5, v25 offset:3640
	s_wait_dscnt 0x1
	ds_store_b64 v5, v[24:25] offset:3896
.LBB117_215:                            ;   in Loop: Header=BB117_3 Depth=1
	s_or_b32 exec_lo, exec_lo, s40
	v_mov_b32_e32 v24, 0
	s_wait_dscnt 0x0
	s_barrier_signal -1
	s_barrier_wait -1
	s_and_saveexec_b32 s40, s6
	s_cbranch_execz .LBB117_243
; %bb.216:                              ;   in Loop: Header=BB117_3 Depth=1
	ds_load_b32 v24, v65 offset:64
	ds_load_b32 v30, v57
	s_wait_dscnt 0x0
	v_fma_f32 v24, v24, v30, 0
	s_mov_b32 s41, exec_lo
	v_readlane_b32 s42, v93, 17
	s_and_b32 s42, s41, s42
	s_delay_alu instid0(SALU_CYCLE_1)
	s_mov_b32 exec_lo, s42
	s_cbranch_execz .LBB117_218
; %bb.217:                              ;   in Loop: Header=BB117_3 Depth=1
	ds_load_b32 v30, v66 offset:320
	ds_load_b32 v31, v57 offset:4
	s_wait_dscnt 0x0
	v_fmac_f32_e32 v24, v30, v31
.LBB117_218:                            ;   in Loop: Header=BB117_3 Depth=1
	s_or_b32 exec_lo, exec_lo, s41
	s_delay_alu instid0(SALU_CYCLE_1) | instskip(SKIP_2) | instid1(SALU_CYCLE_1)
	s_mov_b32 s41, exec_lo
	v_readlane_b32 s42, v93, 18
	s_and_b32 s42, s41, s42
	s_mov_b32 exec_lo, s42
	s_cbranch_execz .LBB117_220
; %bb.219:                              ;   in Loop: Header=BB117_3 Depth=1
	ds_load_b32 v30, v66 offset:576
	ds_load_b32 v31, v57 offset:8
	s_wait_dscnt 0x0
	v_fmac_f32_e32 v24, v30, v31
.LBB117_220:                            ;   in Loop: Header=BB117_3 Depth=1
	s_or_b32 exec_lo, exec_lo, s41
	s_delay_alu instid0(SALU_CYCLE_1) | instskip(SKIP_2) | instid1(SALU_CYCLE_1)
	s_mov_b32 s41, exec_lo
	v_readlane_b32 s42, v93, 19
	s_and_b32 s42, s41, s42
	;; [unrolled: 13-line block ×10, first 2 shown]
	s_mov_b32 exec_lo, s42
	s_cbranch_execnz .LBB117_1185
; %bb.237:                              ;   in Loop: Header=BB117_3 Depth=1
	s_or_b32 exec_lo, exec_lo, s41
	s_and_saveexec_b32 s41, s5
	s_cbranch_execnz .LBB117_1186
.LBB117_238:                            ;   in Loop: Header=BB117_3 Depth=1
	s_or_b32 exec_lo, exec_lo, s41
	s_and_saveexec_b32 s41, s16
	s_cbranch_execnz .LBB117_1187
.LBB117_239:                            ;   in Loop: Header=BB117_3 Depth=1
	s_or_b32 exec_lo, exec_lo, s41
	s_and_saveexec_b32 s41, s18
	s_cbranch_execnz .LBB117_1188
.LBB117_240:                            ;   in Loop: Header=BB117_3 Depth=1
	s_or_b32 exec_lo, exec_lo, s41
	s_and_saveexec_b32 s41, s4
	s_cbranch_execz .LBB117_242
.LBB117_241:                            ;   in Loop: Header=BB117_3 Depth=1
	ds_load_b32 v30, v3 offset:3904
	ds_load_b32 v31, v5 offset:60
	s_wait_dscnt 0x0
	v_fmac_f32_e32 v24, v30, v31
.LBB117_242:                            ;   in Loop: Header=BB117_3 Depth=1
	s_or_b32 exec_lo, exec_lo, s41
	s_delay_alu instid0(VALU_DEP_1)
	v_xor_b32_e32 v24, 0x80000000, v24
.LBB117_243:                            ;   in Loop: Header=BB117_3 Depth=1
	s_or_b32 exec_lo, exec_lo, s40
	s_delay_alu instid0(SALU_CYCLE_1) | instskip(SKIP_2) | instid1(SALU_CYCLE_1)
	s_mov_b32 s40, exec_lo
	v_readlane_b32 s41, v95, 3
	s_and_b32 s41, s40, s41
	s_mov_b32 exec_lo, s41
; %bb.244:                              ;   in Loop: Header=BB117_3 Depth=1
	ds_store_b32 v64, v24
; %bb.245:                              ;   in Loop: Header=BB117_3 Depth=1
	s_or_b32 exec_lo, exec_lo, s40
	s_wait_dscnt 0x0
	s_barrier_signal -1
	s_barrier_wait -1
	s_mov_b32 s40, exec_lo
	v_readlane_b32 s41, v95, 4
	s_and_b32 s41, s40, s41
	s_delay_alu instid0(SALU_CYCLE_1)
	s_mov_b32 exec_lo, s41
	s_cbranch_execz .LBB117_247
; %bb.246:                              ;   in Loop: Header=BB117_3 Depth=1
	ds_load_b32 v30, v60 offset:4160
	ds_load_b32 v31, v64
	s_wait_dscnt 0x0
	v_fmac_f32_e32 v24, v30, v31
.LBB117_247:                            ;   in Loop: Header=BB117_3 Depth=1
	s_or_b32 exec_lo, exec_lo, s40
	s_barrier_signal -1
	s_barrier_wait -1
	s_mov_b32 s40, exec_lo
	v_readlane_b32 s41, v95, 5
	s_and_b32 s41, s40, s41
	s_delay_alu instid0(SALU_CYCLE_1)
	s_mov_b32 exec_lo, s41
; %bb.248:                              ;   in Loop: Header=BB117_3 Depth=1
	ds_store_b32 v64, v24
; %bb.249:                              ;   in Loop: Header=BB117_3 Depth=1
	s_or_b32 exec_lo, exec_lo, s40
	s_wait_dscnt 0x0
	s_barrier_signal -1
	s_barrier_wait -1
	s_mov_b32 s40, exec_lo
	v_readlane_b32 s41, v95, 6
	s_and_b32 s41, s40, s41
	s_delay_alu instid0(SALU_CYCLE_1)
	s_mov_b32 exec_lo, s41
	s_cbranch_execz .LBB117_251
; %bb.250:                              ;   in Loop: Header=BB117_3 Depth=1
	ds_load_b32 v30, v60 offset:4416
	ds_load_b32 v31, v64
	s_wait_dscnt 0x0
	v_fmac_f32_e32 v24, v30, v31
.LBB117_251:                            ;   in Loop: Header=BB117_3 Depth=1
	s_or_b32 exec_lo, exec_lo, s40
	s_barrier_signal -1
	s_barrier_wait -1
	s_mov_b32 s40, exec_lo
	v_readlane_b32 s41, v95, 7
	s_and_b32 s41, s40, s41
	s_delay_alu instid0(SALU_CYCLE_1)
	s_mov_b32 exec_lo, s41
; %bb.252:                              ;   in Loop: Header=BB117_3 Depth=1
	ds_store_b32 v64, v24
; %bb.253:                              ;   in Loop: Header=BB117_3 Depth=1
	s_or_b32 exec_lo, exec_lo, s40
	s_wait_dscnt 0x0
	s_barrier_signal -1
	s_barrier_wait -1
	s_mov_b32 s40, exec_lo
	v_readlane_b32 s41, v95, 8
	s_and_b32 s41, s40, s41
	s_delay_alu instid0(SALU_CYCLE_1)
	s_mov_b32 exec_lo, s41
	s_cbranch_execz .LBB117_255
; %bb.254:                              ;   in Loop: Header=BB117_3 Depth=1
	ds_load_b32 v30, v60 offset:4672
	ds_load_b32 v31, v64
	s_wait_dscnt 0x0
	v_fmac_f32_e32 v24, v30, v31
.LBB117_255:                            ;   in Loop: Header=BB117_3 Depth=1
	s_or_b32 exec_lo, exec_lo, s40
	s_barrier_signal -1
	s_barrier_wait -1
	s_and_saveexec_b32 s40, s45
; %bb.256:                              ;   in Loop: Header=BB117_3 Depth=1
	ds_store_b32 v64, v24
; %bb.257:                              ;   in Loop: Header=BB117_3 Depth=1
	s_or_b32 exec_lo, exec_lo, s40
	s_wait_dscnt 0x0
	s_barrier_signal -1
	s_barrier_wait -1
	s_and_saveexec_b32 s40, s46
	s_cbranch_execz .LBB117_259
; %bb.258:                              ;   in Loop: Header=BB117_3 Depth=1
	ds_load_b32 v30, v60 offset:4928
	ds_load_b32 v31, v64
	s_wait_dscnt 0x0
	v_fmac_f32_e32 v24, v30, v31
.LBB117_259:                            ;   in Loop: Header=BB117_3 Depth=1
	s_or_b32 exec_lo, exec_lo, s40
	s_barrier_signal -1
	s_barrier_wait -1
	s_and_saveexec_b32 s40, s47
; %bb.260:                              ;   in Loop: Header=BB117_3 Depth=1
	ds_store_b32 v64, v24
; %bb.261:                              ;   in Loop: Header=BB117_3 Depth=1
	s_or_b32 exec_lo, exec_lo, s40
	s_wait_dscnt 0x0
	s_barrier_signal -1
	s_barrier_wait -1
	s_and_saveexec_b32 s40, s48
	;; [unrolled: 19-line block ×12, first 2 shown]
	s_cbranch_execz .LBB117_303
; %bb.302:                              ;   in Loop: Header=BB117_3 Depth=1
	ds_load_b32 v30, v5 offset:7804
	ds_load_b32 v31, v64
	s_wait_dscnt 0x0
	v_fmac_f32_e32 v24, v30, v31
.LBB117_303:                            ;   in Loop: Header=BB117_3 Depth=1
	s_or_b32 exec_lo, exec_lo, s40
	s_barrier_signal -1
	s_barrier_wait -1
	s_and_saveexec_b32 s40, s25
; %bb.304:                              ;   in Loop: Header=BB117_3 Depth=1
	ds_store_b32 v64, v24
; %bb.305:                              ;   in Loop: Header=BB117_3 Depth=1
	s_or_b32 exec_lo, exec_lo, s40
	s_wait_dscnt 0x0
	s_barrier_signal -1
	s_barrier_wait -1
	s_barrier_signal -1
	s_barrier_wait -1
	s_and_saveexec_b32 s40, s6
; %bb.306:                              ;   in Loop: Header=BB117_3 Depth=1
	v_xor_b32_e32 v24, 0x80000000, v24
	ds_store_b32 v65, v24 offset:64
; %bb.307:                              ;   in Loop: Header=BB117_3 Depth=1
	s_or_b32 exec_lo, exec_lo, s40
	s_wait_dscnt 0x0
	s_barrier_signal -1
	s_barrier_wait -1
	s_barrier_signal -1
	s_barrier_wait -1
	s_and_saveexec_b32 s40, s27
	s_cbranch_execz .LBB117_309
; %bb.308:                              ;   in Loop: Header=BB117_3 Depth=1
	ds_load_b32 v24, v7 offset:64
	s_wait_dscnt 0x0
	ds_store_b32 v9, v24 offset:4096
	ds_load_b32 v24, v7 offset:68
	s_wait_dscnt 0x0
	ds_store_b32 v9, v24 offset:4352
	;; [unrolled: 3-line block ×16, first 2 shown]
.LBB117_309:                            ;   in Loop: Header=BB117_3 Depth=1
	s_or_b32 exec_lo, exec_lo, s40
	s_wait_dscnt 0x0
	s_barrier_signal -1
	s_barrier_wait -1
	s_and_saveexec_b32 s40, s11
	s_cbranch_execz .LBB117_311
; %bb.310:                              ;   in Loop: Header=BB117_3 Depth=1
	ds_load_b32 v24, v5 offset:4164
	ds_store_b32 v5, v25 offset:4160
	s_wait_dscnt 0x1
	ds_store_b64 v5, v[24:25] offset:4416
.LBB117_311:                            ;   in Loop: Header=BB117_3 Depth=1
	s_or_b32 exec_lo, exec_lo, s40
	v_mov_b32_e32 v24, 0
	s_wait_dscnt 0x0
	s_barrier_signal -1
	s_barrier_wait -1
	s_and_saveexec_b32 s40, s2
	s_cbranch_execz .LBB117_315
; %bb.312:                              ;   in Loop: Header=BB117_3 Depth=1
	ds_load_b32 v24, v39 offset:4168
	ds_load_b32 v30, v40 offset:4160
	s_wait_dscnt 0x0
	v_fma_f32 v24, v24, v30, 0
	s_and_saveexec_b32 s41, s12
	s_cbranch_execz .LBB117_314
; %bb.313:                              ;   in Loop: Header=BB117_3 Depth=1
	ds_load_b32 v30, v3 offset:4424
	ds_load_b32 v31, v5 offset:4164
	s_wait_dscnt 0x0
	v_fmac_f32_e32 v24, v30, v31
.LBB117_314:                            ;   in Loop: Header=BB117_3 Depth=1
	s_or_b32 exec_lo, exec_lo, s41
	s_delay_alu instid0(VALU_DEP_1)
	v_xor_b32_e32 v24, 0x80000000, v24
.LBB117_315:                            ;   in Loop: Header=BB117_3 Depth=1
	s_or_b32 exec_lo, exec_lo, s40
	s_and_saveexec_b32 s40, s88
; %bb.316:                              ;   in Loop: Header=BB117_3 Depth=1
	ds_store_b32 v37, v24
; %bb.317:                              ;   in Loop: Header=BB117_3 Depth=1
	s_or_b32 exec_lo, exec_lo, s40
	s_wait_dscnt 0x0
	s_barrier_signal -1
	s_barrier_wait -1
	s_and_saveexec_b32 s40, s89
	s_cbranch_execz .LBB117_319
; %bb.318:                              ;   in Loop: Header=BB117_3 Depth=1
	ds_load_b32 v30, v5 offset:4684
	ds_load_b32 v31, v37
	s_wait_dscnt 0x0
	v_fmac_f32_e32 v24, v30, v31
.LBB117_319:                            ;   in Loop: Header=BB117_3 Depth=1
	s_or_b32 exec_lo, exec_lo, s40
	s_barrier_signal -1
	s_barrier_wait -1
	s_and_saveexec_b32 s40, s89
; %bb.320:                              ;   in Loop: Header=BB117_3 Depth=1
	ds_store_b32 v37, v24
; %bb.321:                              ;   in Loop: Header=BB117_3 Depth=1
	s_or_b32 exec_lo, exec_lo, s40
	s_wait_dscnt 0x0
	s_barrier_signal -1
	s_barrier_wait -1
	s_barrier_signal -1
	s_barrier_wait -1
	s_and_saveexec_b32 s40, s2
; %bb.322:                              ;   in Loop: Header=BB117_3 Depth=1
	v_xor_b32_e32 v24, 0x80000000, v24
	ds_store_b32 v39, v24 offset:4168
; %bb.323:                              ;   in Loop: Header=BB117_3 Depth=1
	s_or_b32 exec_lo, exec_lo, s40
	s_wait_dscnt 0x0
	s_barrier_signal -1
	s_barrier_wait -1
	s_barrier_signal -1
	s_barrier_wait -1
	s_and_saveexec_b32 s40, s90
	s_cbranch_execz .LBB117_325
; %bb.324:                              ;   in Loop: Header=BB117_3 Depth=1
	ds_load_b32 v24, v7 offset:4168
	s_wait_dscnt 0x0
	ds_store_b32 v3, v24 offset:4672
	ds_load_b32 v24, v7 offset:4172
	s_wait_dscnt 0x0
	ds_store_b32 v3, v24 offset:4928
.LBB117_325:                            ;   in Loop: Header=BB117_3 Depth=1
	s_or_b32 exec_lo, exec_lo, s40
	s_wait_dscnt 0x0
	s_barrier_signal -1
	s_barrier_wait -1
	s_and_saveexec_b32 s40, s11
	s_cbranch_execz .LBB117_327
; %bb.326:                              ;   in Loop: Header=BB117_3 Depth=1
	ds_load_b32 v24, v5 offset:4684
	ds_store_b32 v5, v25 offset:4680
	s_wait_dscnt 0x1
	ds_store_b64 v5, v[24:25] offset:4936
.LBB117_327:                            ;   in Loop: Header=BB117_3 Depth=1
	s_or_b32 exec_lo, exec_lo, s40
	v_mov_b32_e32 v24, 0
	s_wait_dscnt 0x0
	s_barrier_signal -1
	s_barrier_wait -1
	s_and_saveexec_b32 s40, s4
	s_cbranch_execz .LBB117_333
; %bb.328:                              ;   in Loop: Header=BB117_3 Depth=1
	ds_load_b32 v24, v48 offset:4176
	ds_load_b32 v30, v41 offset:4160
	s_wait_dscnt 0x0
	v_fma_f32 v24, v24, v30, 0
	s_and_saveexec_b32 s41, s13
	s_cbranch_execnz .LBB117_1189
; %bb.329:                              ;   in Loop: Header=BB117_3 Depth=1
	s_or_b32 exec_lo, exec_lo, s41
	s_and_saveexec_b32 s41, s14
	s_cbranch_execnz .LBB117_1190
.LBB117_330:                            ;   in Loop: Header=BB117_3 Depth=1
	s_or_b32 exec_lo, exec_lo, s41
	s_and_saveexec_b32 s41, s2
	s_cbranch_execz .LBB117_332
.LBB117_331:                            ;   in Loop: Header=BB117_3 Depth=1
	ds_load_b32 v30, v9 offset:4944
	ds_load_b32 v31, v5 offset:4172
	s_wait_dscnt 0x0
	v_fmac_f32_e32 v24, v30, v31
.LBB117_332:                            ;   in Loop: Header=BB117_3 Depth=1
	s_or_b32 exec_lo, exec_lo, s41
	s_delay_alu instid0(VALU_DEP_1)
	v_xor_b32_e32 v24, 0x80000000, v24
.LBB117_333:                            ;   in Loop: Header=BB117_3 Depth=1
	s_or_b32 exec_lo, exec_lo, s40
	s_and_saveexec_b32 s40, s91
; %bb.334:                              ;   in Loop: Header=BB117_3 Depth=1
	ds_store_b32 v47, v24
; %bb.335:                              ;   in Loop: Header=BB117_3 Depth=1
	s_or_b32 exec_lo, exec_lo, s40
	s_wait_dscnt 0x0
	s_barrier_signal -1
	s_barrier_wait -1
	s_and_saveexec_b32 s40, s92
	s_cbranch_execz .LBB117_337
; %bb.336:                              ;   in Loop: Header=BB117_3 Depth=1
	ds_load_b32 v30, v45 offset:5200
	ds_load_b32 v31, v47
	s_wait_dscnt 0x0
	v_fmac_f32_e32 v24, v30, v31
.LBB117_337:                            ;   in Loop: Header=BB117_3 Depth=1
	s_or_b32 exec_lo, exec_lo, s40
	s_barrier_signal -1
	s_barrier_wait -1
	s_and_saveexec_b32 s40, s93
; %bb.338:                              ;   in Loop: Header=BB117_3 Depth=1
	ds_store_b32 v47, v24
; %bb.339:                              ;   in Loop: Header=BB117_3 Depth=1
	s_or_b32 exec_lo, exec_lo, s40
	s_wait_dscnt 0x0
	s_barrier_signal -1
	s_barrier_wait -1
	s_and_saveexec_b32 s40, s94
	s_cbranch_execz .LBB117_341
; %bb.340:                              ;   in Loop: Header=BB117_3 Depth=1
	ds_load_b32 v30, v45 offset:5456
	ds_load_b32 v31, v47
	s_wait_dscnt 0x0
	v_fmac_f32_e32 v24, v30, v31
.LBB117_341:                            ;   in Loop: Header=BB117_3 Depth=1
	s_or_b32 exec_lo, exec_lo, s40
	s_barrier_signal -1
	s_barrier_wait -1
	;; [unrolled: 19-line block ×3, first 2 shown]
	s_and_saveexec_b32 s40, s96
; %bb.346:                              ;   in Loop: Header=BB117_3 Depth=1
	ds_store_b32 v47, v24
; %bb.347:                              ;   in Loop: Header=BB117_3 Depth=1
	s_or_b32 exec_lo, exec_lo, s40
	s_wait_dscnt 0x0
	s_barrier_signal -1
	s_barrier_wait -1
	s_barrier_signal -1
	s_barrier_wait -1
	s_and_saveexec_b32 s40, s4
; %bb.348:                              ;   in Loop: Header=BB117_3 Depth=1
	v_xor_b32_e32 v24, 0x80000000, v24
	ds_store_b32 v48, v24 offset:4176
; %bb.349:                              ;   in Loop: Header=BB117_3 Depth=1
	s_or_b32 exec_lo, exec_lo, s40
	s_wait_dscnt 0x0
	s_barrier_signal -1
	s_barrier_wait -1
	s_barrier_signal -1
	s_barrier_wait -1
	s_and_saveexec_b32 s40, s97
	s_cbranch_execz .LBB117_351
; %bb.350:                              ;   in Loop: Header=BB117_3 Depth=1
	ds_load_b32 v24, v34 offset:4176
	s_wait_dscnt 0x0
	ds_store_b32 v35, v24 offset:5184
	ds_load_b32 v24, v34 offset:4180
	s_wait_dscnt 0x0
	ds_store_b32 v35, v24 offset:5440
	;; [unrolled: 3-line block ×4, first 2 shown]
.LBB117_351:                            ;   in Loop: Header=BB117_3 Depth=1
	s_or_b32 exec_lo, exec_lo, s40
	s_wait_dscnt 0x0
	s_barrier_signal -1
	s_barrier_wait -1
	s_and_saveexec_b32 s40, s11
	s_cbranch_execz .LBB117_353
; %bb.352:                              ;   in Loop: Header=BB117_3 Depth=1
	ds_load_b32 v24, v5 offset:5204
	ds_store_b32 v5, v25 offset:5200
	s_wait_dscnt 0x1
	ds_store_b64 v5, v[24:25] offset:5456
.LBB117_353:                            ;   in Loop: Header=BB117_3 Depth=1
	s_or_b32 exec_lo, exec_lo, s40
	v_mov_b32_e32 v24, 0
	s_wait_dscnt 0x0
	s_barrier_signal -1
	s_barrier_wait -1
	s_and_saveexec_b32 s40, s2
	s_cbranch_execz .LBB117_357
; %bb.354:                              ;   in Loop: Header=BB117_3 Depth=1
	ds_load_b32 v24, v39 offset:5208
	ds_load_b32 v30, v40 offset:5200
	s_wait_dscnt 0x0
	v_fma_f32 v24, v24, v30, 0
	s_and_saveexec_b32 s41, s12
	s_cbranch_execz .LBB117_356
; %bb.355:                              ;   in Loop: Header=BB117_3 Depth=1
	ds_load_b32 v30, v35 offset:5464
	ds_load_b32 v31, v5 offset:5204
	s_wait_dscnt 0x0
	v_fmac_f32_e32 v24, v30, v31
.LBB117_356:                            ;   in Loop: Header=BB117_3 Depth=1
	s_or_b32 exec_lo, exec_lo, s41
	s_delay_alu instid0(VALU_DEP_1)
	v_xor_b32_e32 v24, 0x80000000, v24
.LBB117_357:                            ;   in Loop: Header=BB117_3 Depth=1
	s_or_b32 exec_lo, exec_lo, s40
	s_and_saveexec_b32 s40, s88
; %bb.358:                              ;   in Loop: Header=BB117_3 Depth=1
	ds_store_b32 v37, v24
; %bb.359:                              ;   in Loop: Header=BB117_3 Depth=1
	s_or_b32 exec_lo, exec_lo, s40
	s_wait_dscnt 0x0
	s_barrier_signal -1
	s_barrier_wait -1
	s_and_saveexec_b32 s40, s89
	s_cbranch_execz .LBB117_361
; %bb.360:                              ;   in Loop: Header=BB117_3 Depth=1
	ds_load_b32 v30, v5 offset:5724
	ds_load_b32 v31, v37
	s_wait_dscnt 0x0
	v_fmac_f32_e32 v24, v30, v31
.LBB117_361:                            ;   in Loop: Header=BB117_3 Depth=1
	s_or_b32 exec_lo, exec_lo, s40
	s_barrier_signal -1
	s_barrier_wait -1
	s_and_saveexec_b32 s40, s89
; %bb.362:                              ;   in Loop: Header=BB117_3 Depth=1
	ds_store_b32 v37, v24
; %bb.363:                              ;   in Loop: Header=BB117_3 Depth=1
	s_or_b32 exec_lo, exec_lo, s40
	s_wait_dscnt 0x0
	s_barrier_signal -1
	s_barrier_wait -1
	s_barrier_signal -1
	s_barrier_wait -1
	s_and_saveexec_b32 s40, s2
; %bb.364:                              ;   in Loop: Header=BB117_3 Depth=1
	v_xor_b32_e32 v24, 0x80000000, v24
	ds_store_b32 v39, v24 offset:5208
; %bb.365:                              ;   in Loop: Header=BB117_3 Depth=1
	s_or_b32 exec_lo, exec_lo, s40
	s_wait_dscnt 0x0
	s_barrier_signal -1
	s_barrier_wait -1
	s_barrier_signal -1
	s_barrier_wait -1
	s_and_saveexec_b32 s40, s90
	s_cbranch_execz .LBB117_367
; %bb.366:                              ;   in Loop: Header=BB117_3 Depth=1
	ds_load_b32 v24, v36 offset:5208
	s_wait_dscnt 0x0
	ds_store_b32 v35, v24 offset:5712
	ds_load_b32 v24, v36 offset:5212
	s_wait_dscnt 0x0
	ds_store_b32 v35, v24 offset:5968
.LBB117_367:                            ;   in Loop: Header=BB117_3 Depth=1
	s_or_b32 exec_lo, exec_lo, s40
	s_wait_dscnt 0x0
	s_barrier_signal -1
	s_barrier_wait -1
	s_and_saveexec_b32 s40, s11
	s_cbranch_execz .LBB117_369
; %bb.368:                              ;   in Loop: Header=BB117_3 Depth=1
	ds_load_b32 v24, v5 offset:5724
	ds_store_b32 v5, v25 offset:5720
	s_wait_dscnt 0x1
	ds_store_b64 v5, v[24:25] offset:5976
.LBB117_369:                            ;   in Loop: Header=BB117_3 Depth=1
	s_or_b32 exec_lo, exec_lo, s40
	v_mov_b32_e32 v24, 0
	s_wait_dscnt 0x0
	s_barrier_signal -1
	s_barrier_wait -1
	s_and_saveexec_b32 s40, s5
	s_cbranch_execz .LBB117_379
; %bb.370:                              ;   in Loop: Header=BB117_3 Depth=1
	ds_load_b32 v24, v55 offset:4192
	ds_load_b32 v30, v52 offset:4160
	s_wait_dscnt 0x0
	v_fma_f32 v24, v24, v30, 0
	s_and_saveexec_b32 s41, s15
	s_cbranch_execnz .LBB117_1191
; %bb.371:                              ;   in Loop: Header=BB117_3 Depth=1
	s_or_b32 exec_lo, exec_lo, s41
	s_and_saveexec_b32 s41, s16
	s_cbranch_execnz .LBB117_1192
.LBB117_372:                            ;   in Loop: Header=BB117_3 Depth=1
	s_or_b32 exec_lo, exec_lo, s41
	s_and_saveexec_b32 s41, s17
	s_cbranch_execnz .LBB117_1193
.LBB117_373:                            ;   in Loop: Header=BB117_3 Depth=1
	s_or_b32 exec_lo, exec_lo, s41
	s_and_saveexec_b32 s41, s18
	s_cbranch_execnz .LBB117_1194
.LBB117_374:                            ;   in Loop: Header=BB117_3 Depth=1
	s_or_b32 exec_lo, exec_lo, s41
	s_and_saveexec_b32 s41, s19
	s_cbranch_execnz .LBB117_1195
.LBB117_375:                            ;   in Loop: Header=BB117_3 Depth=1
	s_or_b32 exec_lo, exec_lo, s41
	s_and_saveexec_b32 s41, s4
	s_cbranch_execnz .LBB117_1196
.LBB117_376:                            ;   in Loop: Header=BB117_3 Depth=1
	s_or_b32 exec_lo, exec_lo, s41
	s_and_saveexec_b32 s41, s14
	s_cbranch_execz .LBB117_378
.LBB117_377:                            ;   in Loop: Header=BB117_3 Depth=1
	ds_load_b32 v30, v38 offset:5984
	ds_load_b32 v31, v5 offset:4188
	s_wait_dscnt 0x0
	v_fmac_f32_e32 v24, v30, v31
.LBB117_378:                            ;   in Loop: Header=BB117_3 Depth=1
	s_or_b32 exec_lo, exec_lo, s41
	s_delay_alu instid0(VALU_DEP_1)
	v_xor_b32_e32 v24, 0x80000000, v24
.LBB117_379:                            ;   in Loop: Header=BB117_3 Depth=1
	s_or_b32 exec_lo, exec_lo, s40
	s_and_saveexec_b32 s40, s98
; %bb.380:                              ;   in Loop: Header=BB117_3 Depth=1
	ds_store_b32 v54, v24
; %bb.381:                              ;   in Loop: Header=BB117_3 Depth=1
	s_or_b32 exec_lo, exec_lo, s40
	s_wait_dscnt 0x0
	s_barrier_signal -1
	s_barrier_wait -1
	s_and_saveexec_b32 s40, s99
	s_cbranch_execz .LBB117_383
; %bb.382:                              ;   in Loop: Header=BB117_3 Depth=1
	ds_load_b32 v30, v51 offset:6240
	ds_load_b32 v31, v54
	s_wait_dscnt 0x0
	v_fmac_f32_e32 v24, v30, v31
.LBB117_383:                            ;   in Loop: Header=BB117_3 Depth=1
	s_or_b32 exec_lo, exec_lo, s40
	s_barrier_signal -1
	s_barrier_wait -1
	s_and_saveexec_b32 s40, s100
; %bb.384:                              ;   in Loop: Header=BB117_3 Depth=1
	ds_store_b32 v54, v24
; %bb.385:                              ;   in Loop: Header=BB117_3 Depth=1
	s_or_b32 exec_lo, exec_lo, s40
	s_wait_dscnt 0x0
	s_barrier_signal -1
	s_barrier_wait -1
	s_and_saveexec_b32 s40, s101
	s_cbranch_execz .LBB117_387
; %bb.386:                              ;   in Loop: Header=BB117_3 Depth=1
	ds_load_b32 v30, v51 offset:6496
	ds_load_b32 v31, v54
	s_wait_dscnt 0x0
	v_fmac_f32_e32 v24, v30, v31
.LBB117_387:                            ;   in Loop: Header=BB117_3 Depth=1
	s_or_b32 exec_lo, exec_lo, s40
	s_barrier_signal -1
	s_barrier_wait -1
	s_and_saveexec_b32 s40, s102
; %bb.388:                              ;   in Loop: Header=BB117_3 Depth=1
	ds_store_b32 v54, v24
; %bb.389:                              ;   in Loop: Header=BB117_3 Depth=1
	s_or_b32 exec_lo, exec_lo, s40
	s_wait_dscnt 0x0
	s_barrier_signal -1
	s_barrier_wait -1
	s_and_saveexec_b32 s40, s103
	s_cbranch_execz .LBB117_391
; %bb.390:                              ;   in Loop: Header=BB117_3 Depth=1
	ds_load_b32 v30, v51 offset:6752
	ds_load_b32 v31, v54
	s_wait_dscnt 0x0
	v_fmac_f32_e32 v24, v30, v31
.LBB117_391:                            ;   in Loop: Header=BB117_3 Depth=1
	s_or_b32 exec_lo, exec_lo, s40
	s_barrier_signal -1
	s_barrier_wait -1
	s_and_saveexec_b32 s40, s104
; %bb.392:                              ;   in Loop: Header=BB117_3 Depth=1
	ds_store_b32 v54, v24
; %bb.393:                              ;   in Loop: Header=BB117_3 Depth=1
	s_or_b32 exec_lo, exec_lo, s40
	s_wait_dscnt 0x0
	s_barrier_signal -1
	s_barrier_wait -1
	s_and_saveexec_b32 s40, vcc_hi
	s_cbranch_execz .LBB117_395
; %bb.394:                              ;   in Loop: Header=BB117_3 Depth=1
	ds_load_b32 v30, v51 offset:7008
	ds_load_b32 v31, v54
	s_wait_dscnt 0x0
	v_fmac_f32_e32 v24, v30, v31
.LBB117_395:                            ;   in Loop: Header=BB117_3 Depth=1
	s_or_b32 exec_lo, exec_lo, s40
	s_barrier_signal -1
	s_barrier_wait -1
	s_and_saveexec_b32 s40, s31
; %bb.396:                              ;   in Loop: Header=BB117_3 Depth=1
	ds_store_b32 v54, v24
; %bb.397:                              ;   in Loop: Header=BB117_3 Depth=1
	s_or_b32 exec_lo, exec_lo, s40
	s_wait_dscnt 0x0
	s_barrier_signal -1
	s_barrier_wait -1
	s_and_saveexec_b32 s40, s33
	s_cbranch_execz .LBB117_399
; %bb.398:                              ;   in Loop: Header=BB117_3 Depth=1
	ds_load_b32 v30, v51 offset:7264
	ds_load_b32 v31, v54
	s_wait_dscnt 0x0
	v_fmac_f32_e32 v24, v30, v31
.LBB117_399:                            ;   in Loop: Header=BB117_3 Depth=1
	s_or_b32 exec_lo, exec_lo, s40
	s_barrier_signal -1
	s_barrier_wait -1
	s_and_saveexec_b32 s40, s34
; %bb.400:                              ;   in Loop: Header=BB117_3 Depth=1
	ds_store_b32 v54, v24
; %bb.401:                              ;   in Loop: Header=BB117_3 Depth=1
	s_or_b32 exec_lo, exec_lo, s40
	s_wait_dscnt 0x0
	s_barrier_signal -1
	s_barrier_wait -1
	s_and_saveexec_b32 s40, s35
	;; [unrolled: 19-line block ×3, first 2 shown]
	s_cbranch_execz .LBB117_407
; %bb.406:                              ;   in Loop: Header=BB117_3 Depth=1
	ds_load_b32 v30, v5 offset:7804
	ds_load_b32 v31, v54
	s_wait_dscnt 0x0
	v_fmac_f32_e32 v24, v30, v31
.LBB117_407:                            ;   in Loop: Header=BB117_3 Depth=1
	s_or_b32 exec_lo, exec_lo, s40
	s_barrier_signal -1
	s_barrier_wait -1
	s_and_saveexec_b32 s40, s37
; %bb.408:                              ;   in Loop: Header=BB117_3 Depth=1
	ds_store_b32 v54, v24
; %bb.409:                              ;   in Loop: Header=BB117_3 Depth=1
	s_or_b32 exec_lo, exec_lo, s40
	s_wait_dscnt 0x0
	s_barrier_signal -1
	s_barrier_wait -1
	s_barrier_signal -1
	s_barrier_wait -1
	s_and_saveexec_b32 s40, s5
; %bb.410:                              ;   in Loop: Header=BB117_3 Depth=1
	v_xor_b32_e32 v24, 0x80000000, v24
	ds_store_b32 v55, v24 offset:4192
; %bb.411:                              ;   in Loop: Header=BB117_3 Depth=1
	s_or_b32 exec_lo, exec_lo, s40
	s_wait_dscnt 0x0
	s_barrier_signal -1
	s_barrier_wait -1
	s_barrier_signal -1
	s_barrier_wait -1
	s_and_saveexec_b32 s40, s38
	s_cbranch_execz .LBB117_413
; %bb.412:                              ;   in Loop: Header=BB117_3 Depth=1
	ds_load_b32 v24, v42 offset:4192
	s_wait_dscnt 0x0
	ds_store_b32 v46, v24 offset:6208
	ds_load_b32 v24, v42 offset:4196
	s_wait_dscnt 0x0
	ds_store_b32 v46, v24 offset:6464
	;; [unrolled: 3-line block ×8, first 2 shown]
.LBB117_413:                            ;   in Loop: Header=BB117_3 Depth=1
	s_or_b32 exec_lo, exec_lo, s40
	s_wait_dscnt 0x0
	s_barrier_signal -1
	s_barrier_wait -1
	s_and_saveexec_b32 s40, s11
	s_cbranch_execz .LBB117_415
; %bb.414:                              ;   in Loop: Header=BB117_3 Depth=1
	ds_load_b32 v24, v5 offset:6244
	ds_store_b32 v5, v25 offset:6240
	s_wait_dscnt 0x1
	ds_store_b64 v5, v[24:25] offset:6496
.LBB117_415:                            ;   in Loop: Header=BB117_3 Depth=1
	s_or_b32 exec_lo, exec_lo, s40
	v_mov_b32_e32 v24, 0
	s_wait_dscnt 0x0
	s_barrier_signal -1
	s_barrier_wait -1
	s_and_saveexec_b32 s40, s2
	s_cbranch_execz .LBB117_419
; %bb.416:                              ;   in Loop: Header=BB117_3 Depth=1
	ds_load_b32 v24, v39 offset:6248
	ds_load_b32 v30, v40 offset:6240
	s_wait_dscnt 0x0
	v_fma_f32 v24, v24, v30, 0
	s_and_saveexec_b32 s41, s12
	s_cbranch_execz .LBB117_418
; %bb.417:                              ;   in Loop: Header=BB117_3 Depth=1
	ds_load_b32 v30, v46 offset:6504
	ds_load_b32 v31, v5 offset:6244
	s_wait_dscnt 0x0
	v_fmac_f32_e32 v24, v30, v31
.LBB117_418:                            ;   in Loop: Header=BB117_3 Depth=1
	s_or_b32 exec_lo, exec_lo, s41
	s_delay_alu instid0(VALU_DEP_1)
	v_xor_b32_e32 v24, 0x80000000, v24
.LBB117_419:                            ;   in Loop: Header=BB117_3 Depth=1
	s_or_b32 exec_lo, exec_lo, s40
	s_and_saveexec_b32 s40, s88
; %bb.420:                              ;   in Loop: Header=BB117_3 Depth=1
	ds_store_b32 v37, v24
; %bb.421:                              ;   in Loop: Header=BB117_3 Depth=1
	s_or_b32 exec_lo, exec_lo, s40
	s_wait_dscnt 0x0
	s_barrier_signal -1
	s_barrier_wait -1
	s_and_saveexec_b32 s40, s89
	s_cbranch_execz .LBB117_423
; %bb.422:                              ;   in Loop: Header=BB117_3 Depth=1
	ds_load_b32 v30, v5 offset:6764
	ds_load_b32 v31, v37
	s_wait_dscnt 0x0
	v_fmac_f32_e32 v24, v30, v31
.LBB117_423:                            ;   in Loop: Header=BB117_3 Depth=1
	s_or_b32 exec_lo, exec_lo, s40
	s_barrier_signal -1
	s_barrier_wait -1
	s_and_saveexec_b32 s40, s89
; %bb.424:                              ;   in Loop: Header=BB117_3 Depth=1
	ds_store_b32 v37, v24
; %bb.425:                              ;   in Loop: Header=BB117_3 Depth=1
	s_or_b32 exec_lo, exec_lo, s40
	s_wait_dscnt 0x0
	s_barrier_signal -1
	s_barrier_wait -1
	s_barrier_signal -1
	s_barrier_wait -1
	s_and_saveexec_b32 s40, s2
; %bb.426:                              ;   in Loop: Header=BB117_3 Depth=1
	v_xor_b32_e32 v24, 0x80000000, v24
	ds_store_b32 v39, v24 offset:6248
; %bb.427:                              ;   in Loop: Header=BB117_3 Depth=1
	s_or_b32 exec_lo, exec_lo, s40
	s_wait_dscnt 0x0
	s_barrier_signal -1
	s_barrier_wait -1
	s_barrier_signal -1
	s_barrier_wait -1
	s_and_saveexec_b32 s40, s90
	s_cbranch_execz .LBB117_429
; %bb.428:                              ;   in Loop: Header=BB117_3 Depth=1
	ds_load_b32 v24, v50 offset:6248
	s_wait_dscnt 0x0
	ds_store_b32 v46, v24 offset:6752
	ds_load_b32 v24, v50 offset:6252
	s_wait_dscnt 0x0
	ds_store_b32 v46, v24 offset:7008
.LBB117_429:                            ;   in Loop: Header=BB117_3 Depth=1
	s_or_b32 exec_lo, exec_lo, s40
	s_wait_dscnt 0x0
	s_barrier_signal -1
	s_barrier_wait -1
	s_and_saveexec_b32 s40, s11
	s_cbranch_execz .LBB117_431
; %bb.430:                              ;   in Loop: Header=BB117_3 Depth=1
	ds_load_b32 v24, v5 offset:6764
	ds_store_b32 v5, v25 offset:6760
	s_wait_dscnt 0x1
	ds_store_b64 v5, v[24:25] offset:7016
.LBB117_431:                            ;   in Loop: Header=BB117_3 Depth=1
	s_or_b32 exec_lo, exec_lo, s40
	v_mov_b32_e32 v24, 0
	s_wait_dscnt 0x0
	s_barrier_signal -1
	s_barrier_wait -1
	s_and_saveexec_b32 s40, s4
	s_cbranch_execz .LBB117_437
; %bb.432:                              ;   in Loop: Header=BB117_3 Depth=1
	ds_load_b32 v24, v48 offset:6256
	ds_load_b32 v30, v41 offset:6240
	s_wait_dscnt 0x0
	v_fma_f32 v24, v24, v30, 0
	s_and_saveexec_b32 s41, s13
	s_cbranch_execnz .LBB117_1197
; %bb.433:                              ;   in Loop: Header=BB117_3 Depth=1
	s_or_b32 exec_lo, exec_lo, s41
	s_and_saveexec_b32 s41, s14
	s_cbranch_execnz .LBB117_1198
.LBB117_434:                            ;   in Loop: Header=BB117_3 Depth=1
	s_or_b32 exec_lo, exec_lo, s41
	s_and_saveexec_b32 s41, s2
	s_cbranch_execz .LBB117_436
.LBB117_435:                            ;   in Loop: Header=BB117_3 Depth=1
	ds_load_b32 v30, v53 offset:7024
	ds_load_b32 v31, v5 offset:6252
	s_wait_dscnt 0x0
	v_fmac_f32_e32 v24, v30, v31
.LBB117_436:                            ;   in Loop: Header=BB117_3 Depth=1
	s_or_b32 exec_lo, exec_lo, s41
	s_delay_alu instid0(VALU_DEP_1)
	v_xor_b32_e32 v24, 0x80000000, v24
.LBB117_437:                            ;   in Loop: Header=BB117_3 Depth=1
	s_or_b32 exec_lo, exec_lo, s40
	s_and_saveexec_b32 s40, s91
; %bb.438:                              ;   in Loop: Header=BB117_3 Depth=1
	ds_store_b32 v47, v24
; %bb.439:                              ;   in Loop: Header=BB117_3 Depth=1
	s_or_b32 exec_lo, exec_lo, s40
	s_wait_dscnt 0x0
	s_barrier_signal -1
	s_barrier_wait -1
	s_and_saveexec_b32 s40, s92
	s_cbranch_execz .LBB117_441
; %bb.440:                              ;   in Loop: Header=BB117_3 Depth=1
	ds_load_b32 v30, v45 offset:7280
	ds_load_b32 v31, v47
	s_wait_dscnt 0x0
	v_fmac_f32_e32 v24, v30, v31
.LBB117_441:                            ;   in Loop: Header=BB117_3 Depth=1
	s_or_b32 exec_lo, exec_lo, s40
	s_barrier_signal -1
	s_barrier_wait -1
	s_and_saveexec_b32 s40, s93
; %bb.442:                              ;   in Loop: Header=BB117_3 Depth=1
	ds_store_b32 v47, v24
; %bb.443:                              ;   in Loop: Header=BB117_3 Depth=1
	s_or_b32 exec_lo, exec_lo, s40
	s_wait_dscnt 0x0
	s_barrier_signal -1
	s_barrier_wait -1
	s_and_saveexec_b32 s40, s94
	s_cbranch_execz .LBB117_445
; %bb.444:                              ;   in Loop: Header=BB117_3 Depth=1
	ds_load_b32 v30, v45 offset:7536
	ds_load_b32 v31, v47
	s_wait_dscnt 0x0
	v_fmac_f32_e32 v24, v30, v31
.LBB117_445:                            ;   in Loop: Header=BB117_3 Depth=1
	s_or_b32 exec_lo, exec_lo, s40
	s_barrier_signal -1
	s_barrier_wait -1
	s_and_saveexec_b32 s40, s95
; %bb.446:                              ;   in Loop: Header=BB117_3 Depth=1
	ds_store_b32 v47, v24
; %bb.447:                              ;   in Loop: Header=BB117_3 Depth=1
	s_or_b32 exec_lo, exec_lo, s40
	s_wait_dscnt 0x0
	s_barrier_signal -1
	s_barrier_wait -1
	s_and_saveexec_b32 s40, s96
	s_cbranch_execz .LBB117_449
; %bb.448:                              ;   in Loop: Header=BB117_3 Depth=1
	ds_load_b32 v30, v5 offset:7804
	ds_load_b32 v31, v47
	s_wait_dscnt 0x0
	v_fmac_f32_e32 v24, v30, v31
.LBB117_449:                            ;   in Loop: Header=BB117_3 Depth=1
	s_or_b32 exec_lo, exec_lo, s40
	s_barrier_signal -1
	s_barrier_wait -1
	s_and_saveexec_b32 s40, s96
; %bb.450:                              ;   in Loop: Header=BB117_3 Depth=1
	ds_store_b32 v47, v24
; %bb.451:                              ;   in Loop: Header=BB117_3 Depth=1
	s_or_b32 exec_lo, exec_lo, s40
	s_wait_dscnt 0x0
	s_barrier_signal -1
	s_barrier_wait -1
	s_barrier_signal -1
	s_barrier_wait -1
	s_and_saveexec_b32 s40, s4
; %bb.452:                              ;   in Loop: Header=BB117_3 Depth=1
	v_xor_b32_e32 v24, 0x80000000, v24
	ds_store_b32 v48, v24 offset:6256
; %bb.453:                              ;   in Loop: Header=BB117_3 Depth=1
	s_or_b32 exec_lo, exec_lo, s40
	s_wait_dscnt 0x0
	s_barrier_signal -1
	s_barrier_wait -1
	s_barrier_signal -1
	s_barrier_wait -1
	s_and_saveexec_b32 s40, s97
	s_cbranch_execz .LBB117_455
; %bb.454:                              ;   in Loop: Header=BB117_3 Depth=1
	ds_load_b32 v24, v56 offset:6256
	s_wait_dscnt 0x0
	ds_store_b32 v59, v24 offset:7264
	ds_load_b32 v24, v56 offset:6260
	s_wait_dscnt 0x0
	ds_store_b32 v59, v24 offset:7520
	;; [unrolled: 3-line block ×4, first 2 shown]
.LBB117_455:                            ;   in Loop: Header=BB117_3 Depth=1
	s_or_b32 exec_lo, exec_lo, s40
	s_wait_dscnt 0x0
	s_barrier_signal -1
	s_barrier_wait -1
	s_and_saveexec_b32 s40, s11
	s_cbranch_execz .LBB117_457
; %bb.456:                              ;   in Loop: Header=BB117_3 Depth=1
	ds_load_b32 v24, v5 offset:7284
	ds_store_b32 v5, v25 offset:7280
	s_wait_dscnt 0x1
	ds_store_b64 v5, v[24:25] offset:7536
.LBB117_457:                            ;   in Loop: Header=BB117_3 Depth=1
	s_or_b32 exec_lo, exec_lo, s40
	v_mov_b32_e32 v24, 0
	s_wait_dscnt 0x0
	s_barrier_signal -1
	s_barrier_wait -1
	s_and_saveexec_b32 s40, s2
	s_cbranch_execz .LBB117_461
; %bb.458:                              ;   in Loop: Header=BB117_3 Depth=1
	ds_load_b32 v24, v39 offset:7288
	ds_load_b32 v30, v40 offset:7280
	s_wait_dscnt 0x0
	v_fma_f32 v24, v24, v30, 0
	s_and_saveexec_b32 s41, s12
	s_cbranch_execz .LBB117_460
; %bb.459:                              ;   in Loop: Header=BB117_3 Depth=1
	ds_load_b32 v30, v59 offset:7544
	ds_load_b32 v31, v5 offset:7284
	s_wait_dscnt 0x0
	v_fmac_f32_e32 v24, v30, v31
.LBB117_460:                            ;   in Loop: Header=BB117_3 Depth=1
	s_or_b32 exec_lo, exec_lo, s41
	s_delay_alu instid0(VALU_DEP_1)
	v_xor_b32_e32 v24, 0x80000000, v24
.LBB117_461:                            ;   in Loop: Header=BB117_3 Depth=1
	s_or_b32 exec_lo, exec_lo, s40
	s_and_saveexec_b32 s40, s88
; %bb.462:                              ;   in Loop: Header=BB117_3 Depth=1
	ds_store_b32 v37, v24
; %bb.463:                              ;   in Loop: Header=BB117_3 Depth=1
	s_or_b32 exec_lo, exec_lo, s40
	s_wait_dscnt 0x0
	s_barrier_signal -1
	s_barrier_wait -1
	s_and_saveexec_b32 s40, s89
	s_cbranch_execz .LBB117_465
; %bb.464:                              ;   in Loop: Header=BB117_3 Depth=1
	ds_load_b32 v30, v5 offset:7804
	ds_load_b32 v31, v37
	s_wait_dscnt 0x0
	v_fmac_f32_e32 v24, v30, v31
.LBB117_465:                            ;   in Loop: Header=BB117_3 Depth=1
	s_or_b32 exec_lo, exec_lo, s40
	s_barrier_signal -1
	s_barrier_wait -1
	s_and_saveexec_b32 s40, s89
; %bb.466:                              ;   in Loop: Header=BB117_3 Depth=1
	ds_store_b32 v37, v24
; %bb.467:                              ;   in Loop: Header=BB117_3 Depth=1
	s_or_b32 exec_lo, exec_lo, s40
	s_wait_dscnt 0x0
	s_barrier_signal -1
	s_barrier_wait -1
	s_barrier_signal -1
	s_barrier_wait -1
	s_and_saveexec_b32 s40, s2
; %bb.468:                              ;   in Loop: Header=BB117_3 Depth=1
	v_xor_b32_e32 v24, 0x80000000, v24
	ds_store_b32 v39, v24 offset:7288
; %bb.469:                              ;   in Loop: Header=BB117_3 Depth=1
	s_or_b32 exec_lo, exec_lo, s40
	s_wait_dscnt 0x0
	s_barrier_signal -1
	s_barrier_wait -1
	s_barrier_signal -1
	s_barrier_wait -1
	s_and_saveexec_b32 s40, s90
	s_cbranch_execz .LBB117_471
; %bb.470:                              ;   in Loop: Header=BB117_3 Depth=1
	v_add_nc_u32_e32 v24, v59, v44
	ds_load_b32 v30, v24 offset:7288
	s_wait_dscnt 0x0
	ds_store_b32 v59, v30 offset:7792
	ds_load_b32 v24, v24 offset:7292
	s_wait_dscnt 0x0
	ds_store_b32 v59, v24 offset:8048
.LBB117_471:                            ;   in Loop: Header=BB117_3 Depth=1
	s_or_b32 exec_lo, exec_lo, s40
	s_wait_dscnt 0x0
	s_barrier_signal -1
	s_barrier_wait -1
	s_and_saveexec_b32 s40, s11
	s_cbranch_execz .LBB117_473
; %bb.472:                              ;   in Loop: Header=BB117_3 Depth=1
	ds_load_b32 v24, v5 offset:7804
	ds_store_b32 v5, v25 offset:7800
	s_wait_dscnt 0x1
	ds_store_b64 v5, v[24:25] offset:8056
.LBB117_473:                            ;   in Loop: Header=BB117_3 Depth=1
	s_or_b32 exec_lo, exec_lo, s40
	v_mov_b32_e32 v24, 0
	s_wait_dscnt 0x0
	s_barrier_signal -1
	s_barrier_wait -1
	s_and_saveexec_b32 s80, s7
	s_cbranch_execz .LBB117_535
; %bb.474:                              ;   in Loop: Header=BB117_3 Depth=1
	v_add_nc_u32_e32 v30, v62, v61
	ds_load_b32 v24, v68 offset:128
	ds_load_b32 v31, v30
	s_wait_dscnt 0x0
	v_fma_f32 v24, v24, v31, 0
	s_mov_b32 s40, exec_lo
	v_readlane_b32 s41, v93, 28
	s_and_b32 s41, s40, s41
	s_delay_alu instid0(SALU_CYCLE_1)
	s_mov_b32 exec_lo, s41
	s_cbranch_execz .LBB117_476
; %bb.475:                              ;   in Loop: Header=BB117_3 Depth=1
	ds_load_b32 v31, v68 offset:384
	ds_load_b32 v32, v30 offset:4
	s_wait_dscnt 0x0
	v_fmac_f32_e32 v24, v31, v32
.LBB117_476:                            ;   in Loop: Header=BB117_3 Depth=1
	s_or_b32 exec_lo, exec_lo, s40
	s_delay_alu instid0(SALU_CYCLE_1) | instskip(SKIP_2) | instid1(SALU_CYCLE_1)
	s_mov_b32 s40, exec_lo
	v_readlane_b32 s41, v93, 29
	s_and_b32 s41, s40, s41
	s_mov_b32 exec_lo, s41
	s_cbranch_execz .LBB117_478
; %bb.477:                              ;   in Loop: Header=BB117_3 Depth=1
	ds_load_b32 v31, v68 offset:640
	ds_load_b32 v32, v30 offset:8
	s_wait_dscnt 0x0
	v_fmac_f32_e32 v24, v31, v32
.LBB117_478:                            ;   in Loop: Header=BB117_3 Depth=1
	s_or_b32 exec_lo, exec_lo, s40
	s_delay_alu instid0(SALU_CYCLE_1) | instskip(SKIP_2) | instid1(SALU_CYCLE_1)
	s_mov_b32 s40, exec_lo
	v_readlane_b32 s41, v93, 30
	s_and_b32 s41, s40, s41
	;; [unrolled: 13-line block ×22, first 2 shown]
	s_mov_b32 exec_lo, s41
	s_cbranch_execz .LBB117_520
; %bb.519:                              ;   in Loop: Header=BB117_3 Depth=1
	ds_load_b32 v31, v68 offset:6016
	ds_load_b32 v32, v30 offset:92
	s_wait_dscnt 0x0
	v_fmac_f32_e32 v24, v31, v32
.LBB117_520:                            ;   in Loop: Header=BB117_3 Depth=1
	s_or_b32 exec_lo, exec_lo, s40
	s_and_saveexec_b32 s40, s6
	s_cbranch_execz .LBB117_522
; %bb.521:                              ;   in Loop: Header=BB117_3 Depth=1
	ds_load_b32 v31, v68 offset:6272
	ds_load_b32 v32, v30 offset:96
	s_wait_dscnt 0x0
	v_fmac_f32_e32 v24, v31, v32
.LBB117_522:                            ;   in Loop: Header=BB117_3 Depth=1
	s_or_b32 exec_lo, exec_lo, s40
	s_delay_alu instid0(SALU_CYCLE_1) | instskip(SKIP_2) | instid1(SALU_CYCLE_1)
	s_mov_b32 s40, exec_lo
	v_readlane_b32 s41, v93, 18
	s_and_b32 s41, s40, s41
	s_mov_b32 exec_lo, s41
	s_cbranch_execz .LBB117_524
; %bb.523:                              ;   in Loop: Header=BB117_3 Depth=1
	ds_load_b32 v31, v68 offset:6528
	ds_load_b32 v32, v30 offset:100
	s_wait_dscnt 0x0
	v_fmac_f32_e32 v24, v31, v32
.LBB117_524:                            ;   in Loop: Header=BB117_3 Depth=1
	s_or_b32 exec_lo, exec_lo, s40
	s_delay_alu instid0(SALU_CYCLE_1) | instskip(SKIP_2) | instid1(SALU_CYCLE_1)
	s_mov_b32 s40, exec_lo
	v_readlane_b32 s41, v93, 20
	s_and_b32 s41, s40, s41
	s_mov_b32 exec_lo, s41
	;; [unrolled: 13-line block ×5, first 2 shown]
	s_cbranch_execnz .LBB117_1199
; %bb.531:                              ;   in Loop: Header=BB117_3 Depth=1
	s_or_b32 exec_lo, exec_lo, s40
	s_and_saveexec_b32 s40, s5
	s_cbranch_execnz .LBB117_1200
.LBB117_532:                            ;   in Loop: Header=BB117_3 Depth=1
	s_or_b32 exec_lo, exec_lo, s40
	s_and_saveexec_b32 s40, s18
	s_cbranch_execz .LBB117_534
.LBB117_533:                            ;   in Loop: Header=BB117_3 Depth=1
	ds_load_b32 v30, v3 offset:8064
	ds_load_b32 v31, v5 offset:124
	s_wait_dscnt 0x0
	v_fmac_f32_e32 v24, v30, v31
.LBB117_534:                            ;   in Loop: Header=BB117_3 Depth=1
	s_or_b32 exec_lo, exec_lo, s40
	s_delay_alu instid0(VALU_DEP_1)
	v_xor_b32_e32 v24, 0x80000000, v24
.LBB117_535:                            ;   in Loop: Header=BB117_3 Depth=1
	s_or_b32 exec_lo, exec_lo, s80
	s_delay_alu instid0(SALU_CYCLE_1) | instskip(SKIP_2) | instid1(SALU_CYCLE_1)
	s_mov_b32 s40, exec_lo
	v_readlane_b32 s41, v95, 9
	s_and_b32 s41, s40, s41
	s_mov_b32 exec_lo, s41
; %bb.536:                              ;   in Loop: Header=BB117_3 Depth=1
	ds_store_b32 v67, v24
; %bb.537:                              ;   in Loop: Header=BB117_3 Depth=1
	s_or_b32 exec_lo, exec_lo, s40
	s_wait_dscnt 0x0
	s_barrier_signal -1
	s_barrier_wait -1
	s_mov_b32 s40, exec_lo
	v_readlane_b32 s41, v95, 10
	s_and_b32 s41, s40, s41
	s_delay_alu instid0(SALU_CYCLE_1)
	s_mov_b32 exec_lo, s41
	s_cbranch_execz .LBB117_539
; %bb.538:                              ;   in Loop: Header=BB117_3 Depth=1
	ds_load_b32 v30, v63 offset:8320
	ds_load_b32 v31, v67
	s_wait_dscnt 0x0
	v_fmac_f32_e32 v24, v30, v31
.LBB117_539:                            ;   in Loop: Header=BB117_3 Depth=1
	s_or_b32 exec_lo, exec_lo, s40
	s_barrier_signal -1
	s_barrier_wait -1
	s_mov_b32 s40, exec_lo
	v_readlane_b32 s41, v95, 11
	s_and_b32 s41, s40, s41
	s_delay_alu instid0(SALU_CYCLE_1)
	s_mov_b32 exec_lo, s41
; %bb.540:                              ;   in Loop: Header=BB117_3 Depth=1
	ds_store_b32 v67, v24
; %bb.541:                              ;   in Loop: Header=BB117_3 Depth=1
	s_or_b32 exec_lo, exec_lo, s40
	s_wait_dscnt 0x0
	s_barrier_signal -1
	s_barrier_wait -1
	s_mov_b32 s40, exec_lo
	v_readlane_b32 s41, v95, 12
	s_and_b32 s41, s40, s41
	s_delay_alu instid0(SALU_CYCLE_1)
	s_mov_b32 exec_lo, s41
	s_cbranch_execz .LBB117_543
; %bb.542:                              ;   in Loop: Header=BB117_3 Depth=1
	ds_load_b32 v30, v63 offset:8576
	ds_load_b32 v31, v67
	s_wait_dscnt 0x0
	v_fmac_f32_e32 v24, v30, v31
.LBB117_543:                            ;   in Loop: Header=BB117_3 Depth=1
	s_or_b32 exec_lo, exec_lo, s40
	s_barrier_signal -1
	s_barrier_wait -1
	s_mov_b32 s40, exec_lo
	v_readlane_b32 s41, v95, 13
	s_and_b32 s41, s40, s41
	s_delay_alu instid0(SALU_CYCLE_1)
	;; [unrolled: 27-line block ×30, first 2 shown]
	s_mov_b32 exec_lo, s41
; %bb.656:                              ;   in Loop: Header=BB117_3 Depth=1
	ds_store_b32 v67, v24
; %bb.657:                              ;   in Loop: Header=BB117_3 Depth=1
	s_or_b32 exec_lo, exec_lo, s40
	s_wait_dscnt 0x0
	s_barrier_signal -1
	s_barrier_wait -1
	s_and_saveexec_b32 s40, s29
	s_cbranch_execz .LBB117_659
; %bb.658:                              ;   in Loop: Header=BB117_3 Depth=1
	ds_load_b32 v30, v5 offset:16124
	ds_load_b32 v31, v67
	s_wait_dscnt 0x0
	v_fmac_f32_e32 v24, v30, v31
.LBB117_659:                            ;   in Loop: Header=BB117_3 Depth=1
	s_or_b32 exec_lo, exec_lo, s40
	s_barrier_signal -1
	s_barrier_wait -1
	s_and_saveexec_b32 s40, s29
; %bb.660:                              ;   in Loop: Header=BB117_3 Depth=1
	ds_store_b32 v67, v24
; %bb.661:                              ;   in Loop: Header=BB117_3 Depth=1
	s_or_b32 exec_lo, exec_lo, s40
	s_wait_dscnt 0x0
	s_barrier_signal -1
	s_barrier_wait -1
	s_barrier_signal -1
	s_barrier_wait -1
	s_and_saveexec_b32 s40, s7
; %bb.662:                              ;   in Loop: Header=BB117_3 Depth=1
	v_xor_b32_e32 v24, 0x80000000, v24
	ds_store_b32 v68, v24 offset:128
; %bb.663:                              ;   in Loop: Header=BB117_3 Depth=1
	s_or_b32 exec_lo, exec_lo, s40
	s_wait_dscnt 0x0
	s_barrier_signal -1
	s_barrier_wait -1
	s_barrier_signal -1
	s_barrier_wait -1
	s_mov_b32 s40, exec_lo
	v_readlane_b32 s41, v93, 6
	s_and_b32 s41, s40, s41
	s_delay_alu instid0(SALU_CYCLE_1)
	s_mov_b32 exec_lo, s41
	s_cbranch_execz .LBB117_665
; %bb.664:                              ;   in Loop: Header=BB117_3 Depth=1
	ds_load_b32 v24, v43 offset:128
	s_wait_dscnt 0x0
	ds_store_b32 v69, v24 offset:8192
	ds_load_b32 v24, v43 offset:132
	s_wait_dscnt 0x0
	ds_store_b32 v69, v24 offset:8448
	;; [unrolled: 3-line block ×32, first 2 shown]
.LBB117_665:                            ;   in Loop: Header=BB117_3 Depth=1
	s_or_b32 exec_lo, exec_lo, s40
	s_wait_dscnt 0x0
	s_barrier_signal -1
	s_barrier_wait -1
	s_and_saveexec_b32 s40, s11
	s_cbranch_execz .LBB117_667
; %bb.666:                              ;   in Loop: Header=BB117_3 Depth=1
	ds_load_b32 v24, v5 offset:8324
	ds_store_b32 v5, v25 offset:8320
	s_wait_dscnt 0x1
	ds_store_b64 v5, v[24:25] offset:8576
.LBB117_667:                            ;   in Loop: Header=BB117_3 Depth=1
	s_or_b32 exec_lo, exec_lo, s40
	v_mov_b32_e32 v24, 0
	s_wait_dscnt 0x0
	s_barrier_signal -1
	s_barrier_wait -1
	s_and_saveexec_b32 s40, s2
	s_cbranch_execz .LBB117_671
; %bb.668:                              ;   in Loop: Header=BB117_3 Depth=1
	ds_load_b32 v24, v39 offset:8328
	ds_load_b32 v30, v40 offset:8320
	s_wait_dscnt 0x0
	v_fma_f32 v24, v24, v30, 0
	s_and_saveexec_b32 s41, s12
	s_cbranch_execz .LBB117_670
; %bb.669:                              ;   in Loop: Header=BB117_3 Depth=1
	ds_load_b32 v30, v3 offset:8584
	ds_load_b32 v31, v5 offset:8324
	s_wait_dscnt 0x0
	v_fmac_f32_e32 v24, v30, v31
.LBB117_670:                            ;   in Loop: Header=BB117_3 Depth=1
	s_or_b32 exec_lo, exec_lo, s41
	s_delay_alu instid0(VALU_DEP_1)
	v_xor_b32_e32 v24, 0x80000000, v24
.LBB117_671:                            ;   in Loop: Header=BB117_3 Depth=1
	s_or_b32 exec_lo, exec_lo, s40
	s_and_saveexec_b32 s40, s88
; %bb.672:                              ;   in Loop: Header=BB117_3 Depth=1
	ds_store_b32 v37, v24
; %bb.673:                              ;   in Loop: Header=BB117_3 Depth=1
	s_or_b32 exec_lo, exec_lo, s40
	s_wait_dscnt 0x0
	s_barrier_signal -1
	s_barrier_wait -1
	s_and_saveexec_b32 s40, s89
	s_cbranch_execz .LBB117_675
; %bb.674:                              ;   in Loop: Header=BB117_3 Depth=1
	ds_load_b32 v30, v5 offset:8844
	ds_load_b32 v31, v37
	s_wait_dscnt 0x0
	v_fmac_f32_e32 v24, v30, v31
.LBB117_675:                            ;   in Loop: Header=BB117_3 Depth=1
	s_or_b32 exec_lo, exec_lo, s40
	s_barrier_signal -1
	s_barrier_wait -1
	s_and_saveexec_b32 s40, s89
; %bb.676:                              ;   in Loop: Header=BB117_3 Depth=1
	ds_store_b32 v37, v24
; %bb.677:                              ;   in Loop: Header=BB117_3 Depth=1
	s_or_b32 exec_lo, exec_lo, s40
	s_wait_dscnt 0x0
	s_barrier_signal -1
	s_barrier_wait -1
	s_barrier_signal -1
	s_barrier_wait -1
	s_and_saveexec_b32 s40, s2
; %bb.678:                              ;   in Loop: Header=BB117_3 Depth=1
	v_xor_b32_e32 v24, 0x80000000, v24
	ds_store_b32 v39, v24 offset:8328
; %bb.679:                              ;   in Loop: Header=BB117_3 Depth=1
	s_or_b32 exec_lo, exec_lo, s40
	s_wait_dscnt 0x0
	s_barrier_signal -1
	s_barrier_wait -1
	s_barrier_signal -1
	s_barrier_wait -1
	s_and_saveexec_b32 s40, s90
	s_cbranch_execz .LBB117_681
; %bb.680:                              ;   in Loop: Header=BB117_3 Depth=1
	ds_load_b32 v24, v7 offset:8328
	s_wait_dscnt 0x0
	ds_store_b32 v3, v24 offset:8832
	ds_load_b32 v24, v7 offset:8332
	s_wait_dscnt 0x0
	ds_store_b32 v3, v24 offset:9088
.LBB117_681:                            ;   in Loop: Header=BB117_3 Depth=1
	s_or_b32 exec_lo, exec_lo, s40
	s_wait_dscnt 0x0
	s_barrier_signal -1
	s_barrier_wait -1
	s_and_saveexec_b32 s40, s11
	s_cbranch_execz .LBB117_683
; %bb.682:                              ;   in Loop: Header=BB117_3 Depth=1
	ds_load_b32 v24, v5 offset:8844
	ds_store_b32 v5, v25 offset:8840
	s_wait_dscnt 0x1
	ds_store_b64 v5, v[24:25] offset:9096
.LBB117_683:                            ;   in Loop: Header=BB117_3 Depth=1
	s_or_b32 exec_lo, exec_lo, s40
	v_mov_b32_e32 v24, 0
	s_wait_dscnt 0x0
	s_barrier_signal -1
	s_barrier_wait -1
	s_and_saveexec_b32 s40, s4
	s_cbranch_execz .LBB117_689
; %bb.684:                              ;   in Loop: Header=BB117_3 Depth=1
	ds_load_b32 v24, v48 offset:8336
	ds_load_b32 v30, v41 offset:8320
	s_wait_dscnt 0x0
	v_fma_f32 v24, v24, v30, 0
	s_and_saveexec_b32 s41, s13
	s_cbranch_execnz .LBB117_1201
; %bb.685:                              ;   in Loop: Header=BB117_3 Depth=1
	s_or_b32 exec_lo, exec_lo, s41
	s_and_saveexec_b32 s41, s14
	s_cbranch_execnz .LBB117_1202
.LBB117_686:                            ;   in Loop: Header=BB117_3 Depth=1
	s_or_b32 exec_lo, exec_lo, s41
	s_and_saveexec_b32 s41, s2
	s_cbranch_execz .LBB117_688
.LBB117_687:                            ;   in Loop: Header=BB117_3 Depth=1
	ds_load_b32 v30, v9 offset:9104
	ds_load_b32 v31, v5 offset:8332
	s_wait_dscnt 0x0
	v_fmac_f32_e32 v24, v30, v31
.LBB117_688:                            ;   in Loop: Header=BB117_3 Depth=1
	s_or_b32 exec_lo, exec_lo, s41
	s_delay_alu instid0(VALU_DEP_1)
	v_xor_b32_e32 v24, 0x80000000, v24
.LBB117_689:                            ;   in Loop: Header=BB117_3 Depth=1
	s_or_b32 exec_lo, exec_lo, s40
	s_and_saveexec_b32 s40, s91
; %bb.690:                              ;   in Loop: Header=BB117_3 Depth=1
	ds_store_b32 v47, v24
; %bb.691:                              ;   in Loop: Header=BB117_3 Depth=1
	s_or_b32 exec_lo, exec_lo, s40
	s_wait_dscnt 0x0
	s_barrier_signal -1
	s_barrier_wait -1
	s_and_saveexec_b32 s40, s92
	s_cbranch_execz .LBB117_693
; %bb.692:                              ;   in Loop: Header=BB117_3 Depth=1
	ds_load_b32 v30, v45 offset:9360
	ds_load_b32 v31, v47
	s_wait_dscnt 0x0
	v_fmac_f32_e32 v24, v30, v31
.LBB117_693:                            ;   in Loop: Header=BB117_3 Depth=1
	s_or_b32 exec_lo, exec_lo, s40
	s_barrier_signal -1
	s_barrier_wait -1
	s_and_saveexec_b32 s40, s93
; %bb.694:                              ;   in Loop: Header=BB117_3 Depth=1
	ds_store_b32 v47, v24
; %bb.695:                              ;   in Loop: Header=BB117_3 Depth=1
	s_or_b32 exec_lo, exec_lo, s40
	s_wait_dscnt 0x0
	s_barrier_signal -1
	s_barrier_wait -1
	s_and_saveexec_b32 s40, s94
	s_cbranch_execz .LBB117_697
; %bb.696:                              ;   in Loop: Header=BB117_3 Depth=1
	ds_load_b32 v30, v45 offset:9616
	ds_load_b32 v31, v47
	s_wait_dscnt 0x0
	v_fmac_f32_e32 v24, v30, v31
.LBB117_697:                            ;   in Loop: Header=BB117_3 Depth=1
	s_or_b32 exec_lo, exec_lo, s40
	s_barrier_signal -1
	s_barrier_wait -1
	;; [unrolled: 19-line block ×3, first 2 shown]
	s_and_saveexec_b32 s40, s96
; %bb.702:                              ;   in Loop: Header=BB117_3 Depth=1
	ds_store_b32 v47, v24
; %bb.703:                              ;   in Loop: Header=BB117_3 Depth=1
	s_or_b32 exec_lo, exec_lo, s40
	s_wait_dscnt 0x0
	s_barrier_signal -1
	s_barrier_wait -1
	s_barrier_signal -1
	s_barrier_wait -1
	s_and_saveexec_b32 s40, s4
; %bb.704:                              ;   in Loop: Header=BB117_3 Depth=1
	v_xor_b32_e32 v24, 0x80000000, v24
	ds_store_b32 v48, v24 offset:8336
; %bb.705:                              ;   in Loop: Header=BB117_3 Depth=1
	s_or_b32 exec_lo, exec_lo, s40
	s_wait_dscnt 0x0
	s_barrier_signal -1
	s_barrier_wait -1
	s_barrier_signal -1
	s_barrier_wait -1
	s_and_saveexec_b32 s40, s97
	s_cbranch_execz .LBB117_707
; %bb.706:                              ;   in Loop: Header=BB117_3 Depth=1
	ds_load_b32 v24, v34 offset:8336
	s_wait_dscnt 0x0
	ds_store_b32 v35, v24 offset:9344
	ds_load_b32 v24, v34 offset:8340
	s_wait_dscnt 0x0
	ds_store_b32 v35, v24 offset:9600
	;; [unrolled: 3-line block ×4, first 2 shown]
.LBB117_707:                            ;   in Loop: Header=BB117_3 Depth=1
	s_or_b32 exec_lo, exec_lo, s40
	s_wait_dscnt 0x0
	s_barrier_signal -1
	s_barrier_wait -1
	s_and_saveexec_b32 s40, s11
	s_cbranch_execz .LBB117_709
; %bb.708:                              ;   in Loop: Header=BB117_3 Depth=1
	ds_load_b32 v24, v5 offset:9364
	ds_store_b32 v5, v25 offset:9360
	s_wait_dscnt 0x1
	ds_store_b64 v5, v[24:25] offset:9616
.LBB117_709:                            ;   in Loop: Header=BB117_3 Depth=1
	s_or_b32 exec_lo, exec_lo, s40
	v_mov_b32_e32 v24, 0
	s_wait_dscnt 0x0
	s_barrier_signal -1
	s_barrier_wait -1
	s_and_saveexec_b32 s40, s2
	s_cbranch_execz .LBB117_713
; %bb.710:                              ;   in Loop: Header=BB117_3 Depth=1
	ds_load_b32 v24, v39 offset:9368
	ds_load_b32 v30, v40 offset:9360
	s_wait_dscnt 0x0
	v_fma_f32 v24, v24, v30, 0
	s_and_saveexec_b32 s41, s12
	s_cbranch_execz .LBB117_712
; %bb.711:                              ;   in Loop: Header=BB117_3 Depth=1
	ds_load_b32 v30, v35 offset:9624
	ds_load_b32 v31, v5 offset:9364
	s_wait_dscnt 0x0
	v_fmac_f32_e32 v24, v30, v31
.LBB117_712:                            ;   in Loop: Header=BB117_3 Depth=1
	s_or_b32 exec_lo, exec_lo, s41
	s_delay_alu instid0(VALU_DEP_1)
	v_xor_b32_e32 v24, 0x80000000, v24
.LBB117_713:                            ;   in Loop: Header=BB117_3 Depth=1
	s_or_b32 exec_lo, exec_lo, s40
	s_and_saveexec_b32 s40, s88
; %bb.714:                              ;   in Loop: Header=BB117_3 Depth=1
	ds_store_b32 v37, v24
; %bb.715:                              ;   in Loop: Header=BB117_3 Depth=1
	s_or_b32 exec_lo, exec_lo, s40
	s_wait_dscnt 0x0
	s_barrier_signal -1
	s_barrier_wait -1
	s_and_saveexec_b32 s40, s89
	s_cbranch_execz .LBB117_717
; %bb.716:                              ;   in Loop: Header=BB117_3 Depth=1
	ds_load_b32 v30, v5 offset:9884
	ds_load_b32 v31, v37
	s_wait_dscnt 0x0
	v_fmac_f32_e32 v24, v30, v31
.LBB117_717:                            ;   in Loop: Header=BB117_3 Depth=1
	s_or_b32 exec_lo, exec_lo, s40
	s_barrier_signal -1
	s_barrier_wait -1
	s_and_saveexec_b32 s40, s89
; %bb.718:                              ;   in Loop: Header=BB117_3 Depth=1
	ds_store_b32 v37, v24
; %bb.719:                              ;   in Loop: Header=BB117_3 Depth=1
	s_or_b32 exec_lo, exec_lo, s40
	s_wait_dscnt 0x0
	s_barrier_signal -1
	s_barrier_wait -1
	s_barrier_signal -1
	s_barrier_wait -1
	s_and_saveexec_b32 s40, s2
; %bb.720:                              ;   in Loop: Header=BB117_3 Depth=1
	v_xor_b32_e32 v24, 0x80000000, v24
	ds_store_b32 v39, v24 offset:9368
; %bb.721:                              ;   in Loop: Header=BB117_3 Depth=1
	s_or_b32 exec_lo, exec_lo, s40
	s_wait_dscnt 0x0
	s_barrier_signal -1
	s_barrier_wait -1
	s_barrier_signal -1
	s_barrier_wait -1
	s_and_saveexec_b32 s40, s90
	s_cbranch_execz .LBB117_723
; %bb.722:                              ;   in Loop: Header=BB117_3 Depth=1
	ds_load_b32 v24, v36 offset:9368
	s_wait_dscnt 0x0
	ds_store_b32 v35, v24 offset:9872
	ds_load_b32 v24, v36 offset:9372
	s_wait_dscnt 0x0
	ds_store_b32 v35, v24 offset:10128
.LBB117_723:                            ;   in Loop: Header=BB117_3 Depth=1
	s_or_b32 exec_lo, exec_lo, s40
	s_wait_dscnt 0x0
	s_barrier_signal -1
	s_barrier_wait -1
	s_and_saveexec_b32 s40, s11
	s_cbranch_execz .LBB117_725
; %bb.724:                              ;   in Loop: Header=BB117_3 Depth=1
	ds_load_b32 v24, v5 offset:9884
	ds_store_b32 v5, v25 offset:9880
	s_wait_dscnt 0x1
	ds_store_b64 v5, v[24:25] offset:10136
.LBB117_725:                            ;   in Loop: Header=BB117_3 Depth=1
	s_or_b32 exec_lo, exec_lo, s40
	v_mov_b32_e32 v24, 0
	s_wait_dscnt 0x0
	s_barrier_signal -1
	s_barrier_wait -1
	s_and_saveexec_b32 s40, s5
	s_cbranch_execz .LBB117_735
; %bb.726:                              ;   in Loop: Header=BB117_3 Depth=1
	ds_load_b32 v24, v55 offset:8352
	ds_load_b32 v30, v52 offset:8320
	s_wait_dscnt 0x0
	v_fma_f32 v24, v24, v30, 0
	s_and_saveexec_b32 s41, s15
	s_cbranch_execnz .LBB117_1203
; %bb.727:                              ;   in Loop: Header=BB117_3 Depth=1
	s_or_b32 exec_lo, exec_lo, s41
	s_and_saveexec_b32 s41, s16
	s_cbranch_execnz .LBB117_1204
.LBB117_728:                            ;   in Loop: Header=BB117_3 Depth=1
	s_or_b32 exec_lo, exec_lo, s41
	s_and_saveexec_b32 s41, s17
	s_cbranch_execnz .LBB117_1205
.LBB117_729:                            ;   in Loop: Header=BB117_3 Depth=1
	s_or_b32 exec_lo, exec_lo, s41
	s_and_saveexec_b32 s41, s18
	s_cbranch_execnz .LBB117_1206
.LBB117_730:                            ;   in Loop: Header=BB117_3 Depth=1
	s_or_b32 exec_lo, exec_lo, s41
	s_and_saveexec_b32 s41, s19
	s_cbranch_execnz .LBB117_1207
.LBB117_731:                            ;   in Loop: Header=BB117_3 Depth=1
	s_or_b32 exec_lo, exec_lo, s41
	s_and_saveexec_b32 s41, s4
	s_cbranch_execnz .LBB117_1208
.LBB117_732:                            ;   in Loop: Header=BB117_3 Depth=1
	s_or_b32 exec_lo, exec_lo, s41
	s_and_saveexec_b32 s41, s14
	s_cbranch_execz .LBB117_734
.LBB117_733:                            ;   in Loop: Header=BB117_3 Depth=1
	ds_load_b32 v30, v38 offset:10144
	ds_load_b32 v31, v5 offset:8348
	s_wait_dscnt 0x0
	v_fmac_f32_e32 v24, v30, v31
.LBB117_734:                            ;   in Loop: Header=BB117_3 Depth=1
	s_or_b32 exec_lo, exec_lo, s41
	s_delay_alu instid0(VALU_DEP_1)
	v_xor_b32_e32 v24, 0x80000000, v24
.LBB117_735:                            ;   in Loop: Header=BB117_3 Depth=1
	s_or_b32 exec_lo, exec_lo, s40
	s_and_saveexec_b32 s40, s98
; %bb.736:                              ;   in Loop: Header=BB117_3 Depth=1
	ds_store_b32 v54, v24
; %bb.737:                              ;   in Loop: Header=BB117_3 Depth=1
	s_or_b32 exec_lo, exec_lo, s40
	s_wait_dscnt 0x0
	s_barrier_signal -1
	s_barrier_wait -1
	s_and_saveexec_b32 s40, s99
	s_cbranch_execz .LBB117_739
; %bb.738:                              ;   in Loop: Header=BB117_3 Depth=1
	ds_load_b32 v30, v51 offset:10400
	ds_load_b32 v31, v54
	s_wait_dscnt 0x0
	v_fmac_f32_e32 v24, v30, v31
.LBB117_739:                            ;   in Loop: Header=BB117_3 Depth=1
	s_or_b32 exec_lo, exec_lo, s40
	s_barrier_signal -1
	s_barrier_wait -1
	s_and_saveexec_b32 s40, s100
; %bb.740:                              ;   in Loop: Header=BB117_3 Depth=1
	ds_store_b32 v54, v24
; %bb.741:                              ;   in Loop: Header=BB117_3 Depth=1
	s_or_b32 exec_lo, exec_lo, s40
	s_wait_dscnt 0x0
	s_barrier_signal -1
	s_barrier_wait -1
	s_and_saveexec_b32 s40, s101
	s_cbranch_execz .LBB117_743
; %bb.742:                              ;   in Loop: Header=BB117_3 Depth=1
	ds_load_b32 v30, v51 offset:10656
	ds_load_b32 v31, v54
	s_wait_dscnt 0x0
	v_fmac_f32_e32 v24, v30, v31
.LBB117_743:                            ;   in Loop: Header=BB117_3 Depth=1
	s_or_b32 exec_lo, exec_lo, s40
	s_barrier_signal -1
	s_barrier_wait -1
	;; [unrolled: 19-line block ×3, first 2 shown]
	s_and_saveexec_b32 s40, s104
; %bb.748:                              ;   in Loop: Header=BB117_3 Depth=1
	ds_store_b32 v54, v24
; %bb.749:                              ;   in Loop: Header=BB117_3 Depth=1
	s_or_b32 exec_lo, exec_lo, s40
	s_wait_dscnt 0x0
	s_barrier_signal -1
	s_barrier_wait -1
	s_and_saveexec_b32 s40, vcc_hi
	s_cbranch_execz .LBB117_751
; %bb.750:                              ;   in Loop: Header=BB117_3 Depth=1
	ds_load_b32 v30, v51 offset:11168
	ds_load_b32 v31, v54
	s_wait_dscnt 0x0
	v_fmac_f32_e32 v24, v30, v31
.LBB117_751:                            ;   in Loop: Header=BB117_3 Depth=1
	s_or_b32 exec_lo, exec_lo, s40
	s_barrier_signal -1
	s_barrier_wait -1
	s_and_saveexec_b32 s40, s31
; %bb.752:                              ;   in Loop: Header=BB117_3 Depth=1
	ds_store_b32 v54, v24
; %bb.753:                              ;   in Loop: Header=BB117_3 Depth=1
	s_or_b32 exec_lo, exec_lo, s40
	s_wait_dscnt 0x0
	s_barrier_signal -1
	s_barrier_wait -1
	s_and_saveexec_b32 s40, s33
	s_cbranch_execz .LBB117_755
; %bb.754:                              ;   in Loop: Header=BB117_3 Depth=1
	ds_load_b32 v30, v51 offset:11424
	ds_load_b32 v31, v54
	s_wait_dscnt 0x0
	v_fmac_f32_e32 v24, v30, v31
.LBB117_755:                            ;   in Loop: Header=BB117_3 Depth=1
	s_or_b32 exec_lo, exec_lo, s40
	s_barrier_signal -1
	s_barrier_wait -1
	s_and_saveexec_b32 s40, s34
; %bb.756:                              ;   in Loop: Header=BB117_3 Depth=1
	ds_store_b32 v54, v24
; %bb.757:                              ;   in Loop: Header=BB117_3 Depth=1
	s_or_b32 exec_lo, exec_lo, s40
	s_wait_dscnt 0x0
	s_barrier_signal -1
	s_barrier_wait -1
	s_and_saveexec_b32 s40, s35
	;; [unrolled: 19-line block ×3, first 2 shown]
	s_cbranch_execz .LBB117_763
; %bb.762:                              ;   in Loop: Header=BB117_3 Depth=1
	ds_load_b32 v30, v5 offset:11964
	ds_load_b32 v31, v54
	s_wait_dscnt 0x0
	v_fmac_f32_e32 v24, v30, v31
.LBB117_763:                            ;   in Loop: Header=BB117_3 Depth=1
	s_or_b32 exec_lo, exec_lo, s40
	s_barrier_signal -1
	s_barrier_wait -1
	s_and_saveexec_b32 s40, s37
; %bb.764:                              ;   in Loop: Header=BB117_3 Depth=1
	ds_store_b32 v54, v24
; %bb.765:                              ;   in Loop: Header=BB117_3 Depth=1
	s_or_b32 exec_lo, exec_lo, s40
	s_wait_dscnt 0x0
	s_barrier_signal -1
	s_barrier_wait -1
	s_barrier_signal -1
	s_barrier_wait -1
	s_and_saveexec_b32 s40, s5
; %bb.766:                              ;   in Loop: Header=BB117_3 Depth=1
	v_xor_b32_e32 v24, 0x80000000, v24
	ds_store_b32 v55, v24 offset:8352
; %bb.767:                              ;   in Loop: Header=BB117_3 Depth=1
	s_or_b32 exec_lo, exec_lo, s40
	s_wait_dscnt 0x0
	s_barrier_signal -1
	s_barrier_wait -1
	s_barrier_signal -1
	s_barrier_wait -1
	s_and_saveexec_b32 s40, s38
	s_cbranch_execz .LBB117_769
; %bb.768:                              ;   in Loop: Header=BB117_3 Depth=1
	ds_load_b32 v24, v42 offset:8352
	s_wait_dscnt 0x0
	ds_store_b32 v46, v24 offset:10368
	ds_load_b32 v24, v42 offset:8356
	s_wait_dscnt 0x0
	ds_store_b32 v46, v24 offset:10624
	;; [unrolled: 3-line block ×8, first 2 shown]
.LBB117_769:                            ;   in Loop: Header=BB117_3 Depth=1
	s_or_b32 exec_lo, exec_lo, s40
	s_wait_dscnt 0x0
	s_barrier_signal -1
	s_barrier_wait -1
	s_and_saveexec_b32 s40, s11
	s_cbranch_execz .LBB117_771
; %bb.770:                              ;   in Loop: Header=BB117_3 Depth=1
	ds_load_b32 v24, v5 offset:10404
	ds_store_b32 v5, v25 offset:10400
	s_wait_dscnt 0x1
	ds_store_b64 v5, v[24:25] offset:10656
.LBB117_771:                            ;   in Loop: Header=BB117_3 Depth=1
	s_or_b32 exec_lo, exec_lo, s40
	v_mov_b32_e32 v24, 0
	s_wait_dscnt 0x0
	s_barrier_signal -1
	s_barrier_wait -1
	s_and_saveexec_b32 s40, s2
	s_cbranch_execz .LBB117_775
; %bb.772:                              ;   in Loop: Header=BB117_3 Depth=1
	ds_load_b32 v24, v39 offset:10408
	ds_load_b32 v30, v40 offset:10400
	s_wait_dscnt 0x0
	v_fma_f32 v24, v24, v30, 0
	s_and_saveexec_b32 s41, s12
	s_cbranch_execz .LBB117_774
; %bb.773:                              ;   in Loop: Header=BB117_3 Depth=1
	ds_load_b32 v30, v46 offset:10664
	ds_load_b32 v31, v5 offset:10404
	s_wait_dscnt 0x0
	v_fmac_f32_e32 v24, v30, v31
.LBB117_774:                            ;   in Loop: Header=BB117_3 Depth=1
	s_or_b32 exec_lo, exec_lo, s41
	s_delay_alu instid0(VALU_DEP_1)
	v_xor_b32_e32 v24, 0x80000000, v24
.LBB117_775:                            ;   in Loop: Header=BB117_3 Depth=1
	s_or_b32 exec_lo, exec_lo, s40
	s_and_saveexec_b32 s40, s88
; %bb.776:                              ;   in Loop: Header=BB117_3 Depth=1
	ds_store_b32 v37, v24
; %bb.777:                              ;   in Loop: Header=BB117_3 Depth=1
	s_or_b32 exec_lo, exec_lo, s40
	s_wait_dscnt 0x0
	s_barrier_signal -1
	s_barrier_wait -1
	s_and_saveexec_b32 s40, s89
	s_cbranch_execz .LBB117_779
; %bb.778:                              ;   in Loop: Header=BB117_3 Depth=1
	ds_load_b32 v30, v5 offset:10924
	ds_load_b32 v31, v37
	s_wait_dscnt 0x0
	v_fmac_f32_e32 v24, v30, v31
.LBB117_779:                            ;   in Loop: Header=BB117_3 Depth=1
	s_or_b32 exec_lo, exec_lo, s40
	s_barrier_signal -1
	s_barrier_wait -1
	s_and_saveexec_b32 s40, s89
; %bb.780:                              ;   in Loop: Header=BB117_3 Depth=1
	ds_store_b32 v37, v24
; %bb.781:                              ;   in Loop: Header=BB117_3 Depth=1
	s_or_b32 exec_lo, exec_lo, s40
	s_wait_dscnt 0x0
	s_barrier_signal -1
	s_barrier_wait -1
	s_barrier_signal -1
	s_barrier_wait -1
	s_and_saveexec_b32 s40, s2
; %bb.782:                              ;   in Loop: Header=BB117_3 Depth=1
	v_xor_b32_e32 v24, 0x80000000, v24
	ds_store_b32 v39, v24 offset:10408
; %bb.783:                              ;   in Loop: Header=BB117_3 Depth=1
	s_or_b32 exec_lo, exec_lo, s40
	s_wait_dscnt 0x0
	s_barrier_signal -1
	s_barrier_wait -1
	s_barrier_signal -1
	s_barrier_wait -1
	s_and_saveexec_b32 s40, s90
	s_cbranch_execz .LBB117_785
; %bb.784:                              ;   in Loop: Header=BB117_3 Depth=1
	ds_load_b32 v24, v50 offset:10408
	s_wait_dscnt 0x0
	ds_store_b32 v46, v24 offset:10912
	ds_load_b32 v24, v50 offset:10412
	s_wait_dscnt 0x0
	ds_store_b32 v46, v24 offset:11168
.LBB117_785:                            ;   in Loop: Header=BB117_3 Depth=1
	s_or_b32 exec_lo, exec_lo, s40
	s_wait_dscnt 0x0
	s_barrier_signal -1
	s_barrier_wait -1
	s_and_saveexec_b32 s40, s11
	s_cbranch_execz .LBB117_787
; %bb.786:                              ;   in Loop: Header=BB117_3 Depth=1
	ds_load_b32 v24, v5 offset:10924
	ds_store_b32 v5, v25 offset:10920
	s_wait_dscnt 0x1
	ds_store_b64 v5, v[24:25] offset:11176
.LBB117_787:                            ;   in Loop: Header=BB117_3 Depth=1
	s_or_b32 exec_lo, exec_lo, s40
	v_mov_b32_e32 v24, 0
	s_wait_dscnt 0x0
	s_barrier_signal -1
	s_barrier_wait -1
	s_and_saveexec_b32 s40, s4
	s_cbranch_execz .LBB117_793
; %bb.788:                              ;   in Loop: Header=BB117_3 Depth=1
	ds_load_b32 v24, v48 offset:10416
	ds_load_b32 v30, v41 offset:10400
	s_wait_dscnt 0x0
	v_fma_f32 v24, v24, v30, 0
	s_and_saveexec_b32 s41, s13
	s_cbranch_execnz .LBB117_1209
; %bb.789:                              ;   in Loop: Header=BB117_3 Depth=1
	s_or_b32 exec_lo, exec_lo, s41
	s_and_saveexec_b32 s41, s14
	s_cbranch_execnz .LBB117_1210
.LBB117_790:                            ;   in Loop: Header=BB117_3 Depth=1
	s_or_b32 exec_lo, exec_lo, s41
	s_and_saveexec_b32 s41, s2
	s_cbranch_execz .LBB117_792
.LBB117_791:                            ;   in Loop: Header=BB117_3 Depth=1
	ds_load_b32 v30, v53 offset:11184
	ds_load_b32 v31, v5 offset:10412
	s_wait_dscnt 0x0
	v_fmac_f32_e32 v24, v30, v31
.LBB117_792:                            ;   in Loop: Header=BB117_3 Depth=1
	s_or_b32 exec_lo, exec_lo, s41
	s_delay_alu instid0(VALU_DEP_1)
	v_xor_b32_e32 v24, 0x80000000, v24
.LBB117_793:                            ;   in Loop: Header=BB117_3 Depth=1
	s_or_b32 exec_lo, exec_lo, s40
	s_and_saveexec_b32 s40, s91
; %bb.794:                              ;   in Loop: Header=BB117_3 Depth=1
	ds_store_b32 v47, v24
; %bb.795:                              ;   in Loop: Header=BB117_3 Depth=1
	s_or_b32 exec_lo, exec_lo, s40
	s_wait_dscnt 0x0
	s_barrier_signal -1
	s_barrier_wait -1
	s_and_saveexec_b32 s40, s92
	s_cbranch_execz .LBB117_797
; %bb.796:                              ;   in Loop: Header=BB117_3 Depth=1
	ds_load_b32 v30, v45 offset:11440
	ds_load_b32 v31, v47
	s_wait_dscnt 0x0
	v_fmac_f32_e32 v24, v30, v31
.LBB117_797:                            ;   in Loop: Header=BB117_3 Depth=1
	s_or_b32 exec_lo, exec_lo, s40
	s_barrier_signal -1
	s_barrier_wait -1
	s_and_saveexec_b32 s40, s93
; %bb.798:                              ;   in Loop: Header=BB117_3 Depth=1
	ds_store_b32 v47, v24
; %bb.799:                              ;   in Loop: Header=BB117_3 Depth=1
	s_or_b32 exec_lo, exec_lo, s40
	s_wait_dscnt 0x0
	s_barrier_signal -1
	s_barrier_wait -1
	s_and_saveexec_b32 s40, s94
	s_cbranch_execz .LBB117_801
; %bb.800:                              ;   in Loop: Header=BB117_3 Depth=1
	ds_load_b32 v30, v45 offset:11696
	ds_load_b32 v31, v47
	s_wait_dscnt 0x0
	v_fmac_f32_e32 v24, v30, v31
.LBB117_801:                            ;   in Loop: Header=BB117_3 Depth=1
	s_or_b32 exec_lo, exec_lo, s40
	s_barrier_signal -1
	s_barrier_wait -1
	;; [unrolled: 19-line block ×3, first 2 shown]
	s_and_saveexec_b32 s40, s96
; %bb.806:                              ;   in Loop: Header=BB117_3 Depth=1
	ds_store_b32 v47, v24
; %bb.807:                              ;   in Loop: Header=BB117_3 Depth=1
	s_or_b32 exec_lo, exec_lo, s40
	s_wait_dscnt 0x0
	s_barrier_signal -1
	s_barrier_wait -1
	s_barrier_signal -1
	s_barrier_wait -1
	s_and_saveexec_b32 s40, s4
; %bb.808:                              ;   in Loop: Header=BB117_3 Depth=1
	v_xor_b32_e32 v24, 0x80000000, v24
	ds_store_b32 v48, v24 offset:10416
; %bb.809:                              ;   in Loop: Header=BB117_3 Depth=1
	s_or_b32 exec_lo, exec_lo, s40
	s_wait_dscnt 0x0
	s_barrier_signal -1
	s_barrier_wait -1
	s_barrier_signal -1
	s_barrier_wait -1
	s_and_saveexec_b32 s40, s97
	s_cbranch_execz .LBB117_811
; %bb.810:                              ;   in Loop: Header=BB117_3 Depth=1
	ds_load_b32 v24, v56 offset:10416
	s_wait_dscnt 0x0
	ds_store_b32 v59, v24 offset:11424
	ds_load_b32 v24, v56 offset:10420
	s_wait_dscnt 0x0
	ds_store_b32 v59, v24 offset:11680
	;; [unrolled: 3-line block ×4, first 2 shown]
.LBB117_811:                            ;   in Loop: Header=BB117_3 Depth=1
	s_or_b32 exec_lo, exec_lo, s40
	s_wait_dscnt 0x0
	s_barrier_signal -1
	s_barrier_wait -1
	s_and_saveexec_b32 s40, s11
	s_cbranch_execz .LBB117_813
; %bb.812:                              ;   in Loop: Header=BB117_3 Depth=1
	ds_load_b32 v24, v5 offset:11444
	ds_store_b32 v5, v25 offset:11440
	s_wait_dscnt 0x1
	ds_store_b64 v5, v[24:25] offset:11696
.LBB117_813:                            ;   in Loop: Header=BB117_3 Depth=1
	s_or_b32 exec_lo, exec_lo, s40
	v_mov_b32_e32 v24, 0
	s_wait_dscnt 0x0
	s_barrier_signal -1
	s_barrier_wait -1
	s_and_saveexec_b32 s40, s2
	s_cbranch_execz .LBB117_817
; %bb.814:                              ;   in Loop: Header=BB117_3 Depth=1
	ds_load_b32 v24, v39 offset:11448
	ds_load_b32 v30, v40 offset:11440
	s_wait_dscnt 0x0
	v_fma_f32 v24, v24, v30, 0
	s_and_saveexec_b32 s41, s12
	s_cbranch_execz .LBB117_816
; %bb.815:                              ;   in Loop: Header=BB117_3 Depth=1
	ds_load_b32 v30, v59 offset:11704
	ds_load_b32 v31, v5 offset:11444
	s_wait_dscnt 0x0
	v_fmac_f32_e32 v24, v30, v31
.LBB117_816:                            ;   in Loop: Header=BB117_3 Depth=1
	s_or_b32 exec_lo, exec_lo, s41
	s_delay_alu instid0(VALU_DEP_1)
	v_xor_b32_e32 v24, 0x80000000, v24
.LBB117_817:                            ;   in Loop: Header=BB117_3 Depth=1
	s_or_b32 exec_lo, exec_lo, s40
	s_and_saveexec_b32 s40, s88
; %bb.818:                              ;   in Loop: Header=BB117_3 Depth=1
	ds_store_b32 v37, v24
; %bb.819:                              ;   in Loop: Header=BB117_3 Depth=1
	s_or_b32 exec_lo, exec_lo, s40
	s_wait_dscnt 0x0
	s_barrier_signal -1
	s_barrier_wait -1
	s_and_saveexec_b32 s40, s89
	s_cbranch_execz .LBB117_821
; %bb.820:                              ;   in Loop: Header=BB117_3 Depth=1
	ds_load_b32 v30, v5 offset:11964
	ds_load_b32 v31, v37
	s_wait_dscnt 0x0
	v_fmac_f32_e32 v24, v30, v31
.LBB117_821:                            ;   in Loop: Header=BB117_3 Depth=1
	s_or_b32 exec_lo, exec_lo, s40
	s_barrier_signal -1
	s_barrier_wait -1
	s_and_saveexec_b32 s40, s89
; %bb.822:                              ;   in Loop: Header=BB117_3 Depth=1
	ds_store_b32 v37, v24
; %bb.823:                              ;   in Loop: Header=BB117_3 Depth=1
	s_or_b32 exec_lo, exec_lo, s40
	s_wait_dscnt 0x0
	s_barrier_signal -1
	s_barrier_wait -1
	s_barrier_signal -1
	s_barrier_wait -1
	s_and_saveexec_b32 s40, s2
; %bb.824:                              ;   in Loop: Header=BB117_3 Depth=1
	v_xor_b32_e32 v24, 0x80000000, v24
	ds_store_b32 v39, v24 offset:11448
; %bb.825:                              ;   in Loop: Header=BB117_3 Depth=1
	s_or_b32 exec_lo, exec_lo, s40
	s_wait_dscnt 0x0
	s_barrier_signal -1
	s_barrier_wait -1
	s_barrier_signal -1
	s_barrier_wait -1
	s_and_saveexec_b32 s40, s90
	s_cbranch_execz .LBB117_827
; %bb.826:                              ;   in Loop: Header=BB117_3 Depth=1
	v_add_nc_u32_e32 v24, v59, v44
	ds_load_b32 v30, v24 offset:11448
	s_wait_dscnt 0x0
	ds_store_b32 v59, v30 offset:11952
	ds_load_b32 v24, v24 offset:11452
	s_wait_dscnt 0x0
	ds_store_b32 v59, v24 offset:12208
.LBB117_827:                            ;   in Loop: Header=BB117_3 Depth=1
	s_or_b32 exec_lo, exec_lo, s40
	s_wait_dscnt 0x0
	s_barrier_signal -1
	s_barrier_wait -1
	s_and_saveexec_b32 s40, s11
	s_cbranch_execz .LBB117_829
; %bb.828:                              ;   in Loop: Header=BB117_3 Depth=1
	ds_load_b32 v24, v5 offset:11964
	ds_store_b32 v5, v25 offset:11960
	s_wait_dscnt 0x1
	ds_store_b64 v5, v[24:25] offset:12216
.LBB117_829:                            ;   in Loop: Header=BB117_3 Depth=1
	s_or_b32 exec_lo, exec_lo, s40
	v_mov_b32_e32 v24, 0
	s_wait_dscnt 0x0
	s_barrier_signal -1
	s_barrier_wait -1
	s_and_saveexec_b32 s40, s6
	s_cbranch_execz .LBB117_857
; %bb.830:                              ;   in Loop: Header=BB117_3 Depth=1
	ds_load_b32 v24, v65 offset:8384
	ds_load_b32 v30, v57 offset:8320
	s_wait_dscnt 0x0
	v_fma_f32 v24, v24, v30, 0
	s_mov_b32 s41, exec_lo
	v_readlane_b32 s42, v93, 17
	s_and_b32 s42, s41, s42
	s_delay_alu instid0(SALU_CYCLE_1)
	s_mov_b32 exec_lo, s42
	s_cbranch_execz .LBB117_832
; %bb.831:                              ;   in Loop: Header=BB117_3 Depth=1
	ds_load_b32 v30, v66 offset:8640
	ds_load_b32 v31, v57 offset:8324
	s_wait_dscnt 0x0
	v_fmac_f32_e32 v24, v30, v31
.LBB117_832:                            ;   in Loop: Header=BB117_3 Depth=1
	s_or_b32 exec_lo, exec_lo, s41
	s_delay_alu instid0(SALU_CYCLE_1) | instskip(SKIP_2) | instid1(SALU_CYCLE_1)
	s_mov_b32 s41, exec_lo
	v_readlane_b32 s42, v93, 18
	s_and_b32 s42, s41, s42
	s_mov_b32 exec_lo, s42
	s_cbranch_execz .LBB117_834
; %bb.833:                              ;   in Loop: Header=BB117_3 Depth=1
	ds_load_b32 v30, v66 offset:8896
	ds_load_b32 v31, v57 offset:8328
	s_wait_dscnt 0x0
	v_fmac_f32_e32 v24, v30, v31
.LBB117_834:                            ;   in Loop: Header=BB117_3 Depth=1
	s_or_b32 exec_lo, exec_lo, s41
	s_delay_alu instid0(SALU_CYCLE_1) | instskip(SKIP_2) | instid1(SALU_CYCLE_1)
	s_mov_b32 s41, exec_lo
	v_readlane_b32 s42, v93, 19
	s_and_b32 s42, s41, s42
	;; [unrolled: 13-line block ×10, first 2 shown]
	s_mov_b32 exec_lo, s42
	s_cbranch_execnz .LBB117_1211
; %bb.851:                              ;   in Loop: Header=BB117_3 Depth=1
	s_or_b32 exec_lo, exec_lo, s41
	s_and_saveexec_b32 s41, s5
	s_cbranch_execnz .LBB117_1212
.LBB117_852:                            ;   in Loop: Header=BB117_3 Depth=1
	s_or_b32 exec_lo, exec_lo, s41
	s_and_saveexec_b32 s41, s16
	s_cbranch_execnz .LBB117_1213
.LBB117_853:                            ;   in Loop: Header=BB117_3 Depth=1
	s_or_b32 exec_lo, exec_lo, s41
	s_and_saveexec_b32 s41, s18
	s_cbranch_execnz .LBB117_1214
.LBB117_854:                            ;   in Loop: Header=BB117_3 Depth=1
	s_or_b32 exec_lo, exec_lo, s41
	s_and_saveexec_b32 s41, s4
	s_cbranch_execz .LBB117_856
.LBB117_855:                            ;   in Loop: Header=BB117_3 Depth=1
	ds_load_b32 v30, v3 offset:12224
	ds_load_b32 v31, v5 offset:8380
	s_wait_dscnt 0x0
	v_fmac_f32_e32 v24, v30, v31
.LBB117_856:                            ;   in Loop: Header=BB117_3 Depth=1
	s_or_b32 exec_lo, exec_lo, s41
	s_delay_alu instid0(VALU_DEP_1)
	v_xor_b32_e32 v24, 0x80000000, v24
.LBB117_857:                            ;   in Loop: Header=BB117_3 Depth=1
	s_or_b32 exec_lo, exec_lo, s40
	s_delay_alu instid0(SALU_CYCLE_1) | instskip(SKIP_2) | instid1(SALU_CYCLE_1)
	s_mov_b32 s40, exec_lo
	v_readlane_b32 s41, v95, 3
	s_and_b32 s41, s40, s41
	s_mov_b32 exec_lo, s41
; %bb.858:                              ;   in Loop: Header=BB117_3 Depth=1
	ds_store_b32 v64, v24
; %bb.859:                              ;   in Loop: Header=BB117_3 Depth=1
	s_or_b32 exec_lo, exec_lo, s40
	s_wait_dscnt 0x0
	s_barrier_signal -1
	s_barrier_wait -1
	s_mov_b32 s40, exec_lo
	v_readlane_b32 s41, v95, 4
	s_and_b32 s41, s40, s41
	s_delay_alu instid0(SALU_CYCLE_1)
	s_mov_b32 exec_lo, s41
	s_cbranch_execz .LBB117_861
; %bb.860:                              ;   in Loop: Header=BB117_3 Depth=1
	ds_load_b32 v30, v60 offset:12480
	ds_load_b32 v31, v64
	s_wait_dscnt 0x0
	v_fmac_f32_e32 v24, v30, v31
.LBB117_861:                            ;   in Loop: Header=BB117_3 Depth=1
	s_or_b32 exec_lo, exec_lo, s40
	s_barrier_signal -1
	s_barrier_wait -1
	s_mov_b32 s40, exec_lo
	v_readlane_b32 s41, v95, 5
	s_and_b32 s41, s40, s41
	s_delay_alu instid0(SALU_CYCLE_1)
	s_mov_b32 exec_lo, s41
; %bb.862:                              ;   in Loop: Header=BB117_3 Depth=1
	ds_store_b32 v64, v24
; %bb.863:                              ;   in Loop: Header=BB117_3 Depth=1
	s_or_b32 exec_lo, exec_lo, s40
	s_wait_dscnt 0x0
	s_barrier_signal -1
	s_barrier_wait -1
	s_mov_b32 s40, exec_lo
	v_readlane_b32 s41, v95, 6
	s_and_b32 s41, s40, s41
	s_delay_alu instid0(SALU_CYCLE_1)
	s_mov_b32 exec_lo, s41
	s_cbranch_execz .LBB117_865
; %bb.864:                              ;   in Loop: Header=BB117_3 Depth=1
	ds_load_b32 v30, v60 offset:12736
	ds_load_b32 v31, v64
	s_wait_dscnt 0x0
	v_fmac_f32_e32 v24, v30, v31
.LBB117_865:                            ;   in Loop: Header=BB117_3 Depth=1
	s_or_b32 exec_lo, exec_lo, s40
	s_barrier_signal -1
	s_barrier_wait -1
	s_mov_b32 s40, exec_lo
	v_readlane_b32 s41, v95, 7
	s_and_b32 s41, s40, s41
	s_delay_alu instid0(SALU_CYCLE_1)
	s_mov_b32 exec_lo, s41
; %bb.866:                              ;   in Loop: Header=BB117_3 Depth=1
	ds_store_b32 v64, v24
; %bb.867:                              ;   in Loop: Header=BB117_3 Depth=1
	s_or_b32 exec_lo, exec_lo, s40
	s_wait_dscnt 0x0
	s_barrier_signal -1
	s_barrier_wait -1
	s_mov_b32 s40, exec_lo
	v_readlane_b32 s41, v95, 8
	s_and_b32 s41, s40, s41
	s_delay_alu instid0(SALU_CYCLE_1)
	s_mov_b32 exec_lo, s41
	s_cbranch_execz .LBB117_869
; %bb.868:                              ;   in Loop: Header=BB117_3 Depth=1
	ds_load_b32 v30, v60 offset:12992
	ds_load_b32 v31, v64
	s_wait_dscnt 0x0
	v_fmac_f32_e32 v24, v30, v31
.LBB117_869:                            ;   in Loop: Header=BB117_3 Depth=1
	s_or_b32 exec_lo, exec_lo, s40
	s_barrier_signal -1
	s_barrier_wait -1
	s_and_saveexec_b32 s40, s45
; %bb.870:                              ;   in Loop: Header=BB117_3 Depth=1
	ds_store_b32 v64, v24
; %bb.871:                              ;   in Loop: Header=BB117_3 Depth=1
	s_or_b32 exec_lo, exec_lo, s40
	s_wait_dscnt 0x0
	s_barrier_signal -1
	s_barrier_wait -1
	s_and_saveexec_b32 s40, s46
	s_cbranch_execz .LBB117_873
; %bb.872:                              ;   in Loop: Header=BB117_3 Depth=1
	ds_load_b32 v30, v60 offset:13248
	ds_load_b32 v31, v64
	s_wait_dscnt 0x0
	v_fmac_f32_e32 v24, v30, v31
.LBB117_873:                            ;   in Loop: Header=BB117_3 Depth=1
	s_or_b32 exec_lo, exec_lo, s40
	s_barrier_signal -1
	s_barrier_wait -1
	s_and_saveexec_b32 s40, s47
; %bb.874:                              ;   in Loop: Header=BB117_3 Depth=1
	ds_store_b32 v64, v24
; %bb.875:                              ;   in Loop: Header=BB117_3 Depth=1
	s_or_b32 exec_lo, exec_lo, s40
	s_wait_dscnt 0x0
	s_barrier_signal -1
	s_barrier_wait -1
	s_and_saveexec_b32 s40, s48
	;; [unrolled: 19-line block ×12, first 2 shown]
	s_cbranch_execz .LBB117_917
; %bb.916:                              ;   in Loop: Header=BB117_3 Depth=1
	ds_load_b32 v30, v5 offset:16124
	ds_load_b32 v31, v64
	s_wait_dscnt 0x0
	v_fmac_f32_e32 v24, v30, v31
.LBB117_917:                            ;   in Loop: Header=BB117_3 Depth=1
	s_or_b32 exec_lo, exec_lo, s40
	s_barrier_signal -1
	s_barrier_wait -1
	s_and_saveexec_b32 s40, s25
; %bb.918:                              ;   in Loop: Header=BB117_3 Depth=1
	ds_store_b32 v64, v24
; %bb.919:                              ;   in Loop: Header=BB117_3 Depth=1
	s_or_b32 exec_lo, exec_lo, s40
	s_wait_dscnt 0x0
	s_barrier_signal -1
	s_barrier_wait -1
	s_barrier_signal -1
	s_barrier_wait -1
	s_and_saveexec_b32 s40, s6
; %bb.920:                              ;   in Loop: Header=BB117_3 Depth=1
	v_xor_b32_e32 v24, 0x80000000, v24
	ds_store_b32 v65, v24 offset:8384
; %bb.921:                              ;   in Loop: Header=BB117_3 Depth=1
	s_or_b32 exec_lo, exec_lo, s40
	s_wait_dscnt 0x0
	s_barrier_signal -1
	s_barrier_wait -1
	s_barrier_signal -1
	s_barrier_wait -1
	s_and_saveexec_b32 s40, s27
	s_cbranch_execz .LBB117_923
; %bb.922:                              ;   in Loop: Header=BB117_3 Depth=1
	ds_load_b32 v24, v7 offset:8384
	s_wait_dscnt 0x0
	ds_store_b32 v9, v24 offset:12416
	ds_load_b32 v24, v7 offset:8388
	s_wait_dscnt 0x0
	ds_store_b32 v9, v24 offset:12672
	;; [unrolled: 3-line block ×16, first 2 shown]
.LBB117_923:                            ;   in Loop: Header=BB117_3 Depth=1
	s_or_b32 exec_lo, exec_lo, s40
	s_wait_dscnt 0x0
	s_barrier_signal -1
	s_barrier_wait -1
	s_and_saveexec_b32 s40, s11
	s_cbranch_execz .LBB117_925
; %bb.924:                              ;   in Loop: Header=BB117_3 Depth=1
	ds_load_b32 v24, v5 offset:12484
	ds_store_b32 v5, v25 offset:12480
	s_wait_dscnt 0x1
	ds_store_b64 v5, v[24:25] offset:12736
.LBB117_925:                            ;   in Loop: Header=BB117_3 Depth=1
	s_or_b32 exec_lo, exec_lo, s40
	v_mov_b32_e32 v24, 0
	s_wait_dscnt 0x0
	s_barrier_signal -1
	s_barrier_wait -1
	s_and_saveexec_b32 s40, s2
	s_cbranch_execz .LBB117_929
; %bb.926:                              ;   in Loop: Header=BB117_3 Depth=1
	ds_load_b32 v24, v39 offset:12488
	ds_load_b32 v30, v40 offset:12480
	s_wait_dscnt 0x0
	v_fma_f32 v24, v24, v30, 0
	s_and_saveexec_b32 s41, s12
	s_cbranch_execz .LBB117_928
; %bb.927:                              ;   in Loop: Header=BB117_3 Depth=1
	ds_load_b32 v30, v3 offset:12744
	ds_load_b32 v31, v5 offset:12484
	s_wait_dscnt 0x0
	v_fmac_f32_e32 v24, v30, v31
.LBB117_928:                            ;   in Loop: Header=BB117_3 Depth=1
	s_or_b32 exec_lo, exec_lo, s41
	s_delay_alu instid0(VALU_DEP_1)
	v_xor_b32_e32 v24, 0x80000000, v24
.LBB117_929:                            ;   in Loop: Header=BB117_3 Depth=1
	s_or_b32 exec_lo, exec_lo, s40
	s_and_saveexec_b32 s40, s88
; %bb.930:                              ;   in Loop: Header=BB117_3 Depth=1
	ds_store_b32 v37, v24
; %bb.931:                              ;   in Loop: Header=BB117_3 Depth=1
	s_or_b32 exec_lo, exec_lo, s40
	s_wait_dscnt 0x0
	s_barrier_signal -1
	s_barrier_wait -1
	s_and_saveexec_b32 s40, s89
	s_cbranch_execz .LBB117_933
; %bb.932:                              ;   in Loop: Header=BB117_3 Depth=1
	ds_load_b32 v30, v5 offset:13004
	ds_load_b32 v31, v37
	s_wait_dscnt 0x0
	v_fmac_f32_e32 v24, v30, v31
.LBB117_933:                            ;   in Loop: Header=BB117_3 Depth=1
	s_or_b32 exec_lo, exec_lo, s40
	s_barrier_signal -1
	s_barrier_wait -1
	s_and_saveexec_b32 s40, s89
; %bb.934:                              ;   in Loop: Header=BB117_3 Depth=1
	ds_store_b32 v37, v24
; %bb.935:                              ;   in Loop: Header=BB117_3 Depth=1
	s_or_b32 exec_lo, exec_lo, s40
	s_wait_dscnt 0x0
	s_barrier_signal -1
	s_barrier_wait -1
	s_barrier_signal -1
	s_barrier_wait -1
	s_and_saveexec_b32 s40, s2
; %bb.936:                              ;   in Loop: Header=BB117_3 Depth=1
	v_xor_b32_e32 v24, 0x80000000, v24
	ds_store_b32 v39, v24 offset:12488
; %bb.937:                              ;   in Loop: Header=BB117_3 Depth=1
	s_or_b32 exec_lo, exec_lo, s40
	s_wait_dscnt 0x0
	s_barrier_signal -1
	s_barrier_wait -1
	s_barrier_signal -1
	s_barrier_wait -1
	s_and_saveexec_b32 s40, s90
	s_cbranch_execz .LBB117_939
; %bb.938:                              ;   in Loop: Header=BB117_3 Depth=1
	ds_load_b32 v24, v7 offset:12488
	s_wait_dscnt 0x0
	ds_store_b32 v3, v24 offset:12992
	ds_load_b32 v24, v7 offset:12492
	s_wait_dscnt 0x0
	ds_store_b32 v3, v24 offset:13248
.LBB117_939:                            ;   in Loop: Header=BB117_3 Depth=1
	s_or_b32 exec_lo, exec_lo, s40
	s_wait_dscnt 0x0
	s_barrier_signal -1
	s_barrier_wait -1
	s_and_saveexec_b32 s40, s11
	s_cbranch_execz .LBB117_941
; %bb.940:                              ;   in Loop: Header=BB117_3 Depth=1
	ds_load_b32 v24, v5 offset:13004
	ds_store_b32 v5, v25 offset:13000
	s_wait_dscnt 0x1
	ds_store_b64 v5, v[24:25] offset:13256
.LBB117_941:                            ;   in Loop: Header=BB117_3 Depth=1
	s_or_b32 exec_lo, exec_lo, s40
	v_mov_b32_e32 v24, 0
	s_wait_dscnt 0x0
	s_barrier_signal -1
	s_barrier_wait -1
	s_and_saveexec_b32 s40, s4
	s_cbranch_execz .LBB117_947
; %bb.942:                              ;   in Loop: Header=BB117_3 Depth=1
	ds_load_b32 v24, v48 offset:12496
	ds_load_b32 v30, v41 offset:12480
	s_wait_dscnt 0x0
	v_fma_f32 v24, v24, v30, 0
	s_and_saveexec_b32 s41, s13
	s_cbranch_execnz .LBB117_1215
; %bb.943:                              ;   in Loop: Header=BB117_3 Depth=1
	s_or_b32 exec_lo, exec_lo, s41
	s_and_saveexec_b32 s41, s14
	s_cbranch_execnz .LBB117_1216
.LBB117_944:                            ;   in Loop: Header=BB117_3 Depth=1
	s_or_b32 exec_lo, exec_lo, s41
	s_and_saveexec_b32 s41, s2
	s_cbranch_execz .LBB117_946
.LBB117_945:                            ;   in Loop: Header=BB117_3 Depth=1
	ds_load_b32 v30, v9 offset:13264
	ds_load_b32 v31, v5 offset:12492
	s_wait_dscnt 0x0
	v_fmac_f32_e32 v24, v30, v31
.LBB117_946:                            ;   in Loop: Header=BB117_3 Depth=1
	s_or_b32 exec_lo, exec_lo, s41
	s_delay_alu instid0(VALU_DEP_1)
	v_xor_b32_e32 v24, 0x80000000, v24
.LBB117_947:                            ;   in Loop: Header=BB117_3 Depth=1
	s_or_b32 exec_lo, exec_lo, s40
	s_and_saveexec_b32 s40, s91
; %bb.948:                              ;   in Loop: Header=BB117_3 Depth=1
	ds_store_b32 v47, v24
; %bb.949:                              ;   in Loop: Header=BB117_3 Depth=1
	s_or_b32 exec_lo, exec_lo, s40
	s_wait_dscnt 0x0
	s_barrier_signal -1
	s_barrier_wait -1
	s_and_saveexec_b32 s40, s92
	s_cbranch_execz .LBB117_951
; %bb.950:                              ;   in Loop: Header=BB117_3 Depth=1
	ds_load_b32 v30, v45 offset:13520
	ds_load_b32 v31, v47
	s_wait_dscnt 0x0
	v_fmac_f32_e32 v24, v30, v31
.LBB117_951:                            ;   in Loop: Header=BB117_3 Depth=1
	s_or_b32 exec_lo, exec_lo, s40
	s_barrier_signal -1
	s_barrier_wait -1
	s_and_saveexec_b32 s40, s93
; %bb.952:                              ;   in Loop: Header=BB117_3 Depth=1
	ds_store_b32 v47, v24
; %bb.953:                              ;   in Loop: Header=BB117_3 Depth=1
	s_or_b32 exec_lo, exec_lo, s40
	s_wait_dscnt 0x0
	s_barrier_signal -1
	s_barrier_wait -1
	s_and_saveexec_b32 s40, s94
	s_cbranch_execz .LBB117_955
; %bb.954:                              ;   in Loop: Header=BB117_3 Depth=1
	ds_load_b32 v30, v45 offset:13776
	ds_load_b32 v31, v47
	s_wait_dscnt 0x0
	v_fmac_f32_e32 v24, v30, v31
.LBB117_955:                            ;   in Loop: Header=BB117_3 Depth=1
	s_or_b32 exec_lo, exec_lo, s40
	s_barrier_signal -1
	s_barrier_wait -1
	;; [unrolled: 19-line block ×3, first 2 shown]
	s_and_saveexec_b32 s40, s96
; %bb.960:                              ;   in Loop: Header=BB117_3 Depth=1
	ds_store_b32 v47, v24
; %bb.961:                              ;   in Loop: Header=BB117_3 Depth=1
	s_or_b32 exec_lo, exec_lo, s40
	s_wait_dscnt 0x0
	s_barrier_signal -1
	s_barrier_wait -1
	s_barrier_signal -1
	s_barrier_wait -1
	s_and_saveexec_b32 s40, s4
; %bb.962:                              ;   in Loop: Header=BB117_3 Depth=1
	v_xor_b32_e32 v24, 0x80000000, v24
	ds_store_b32 v48, v24 offset:12496
; %bb.963:                              ;   in Loop: Header=BB117_3 Depth=1
	s_or_b32 exec_lo, exec_lo, s40
	s_wait_dscnt 0x0
	s_barrier_signal -1
	s_barrier_wait -1
	s_barrier_signal -1
	s_barrier_wait -1
	s_and_saveexec_b32 s40, s97
	s_cbranch_execz .LBB117_965
; %bb.964:                              ;   in Loop: Header=BB117_3 Depth=1
	ds_load_b32 v24, v34 offset:12496
	s_wait_dscnt 0x0
	ds_store_b32 v35, v24 offset:13504
	ds_load_b32 v24, v34 offset:12500
	s_wait_dscnt 0x0
	ds_store_b32 v35, v24 offset:13760
	;; [unrolled: 3-line block ×4, first 2 shown]
.LBB117_965:                            ;   in Loop: Header=BB117_3 Depth=1
	s_or_b32 exec_lo, exec_lo, s40
	s_wait_dscnt 0x0
	s_barrier_signal -1
	s_barrier_wait -1
	s_and_saveexec_b32 s40, s11
	s_cbranch_execz .LBB117_967
; %bb.966:                              ;   in Loop: Header=BB117_3 Depth=1
	ds_load_b32 v24, v5 offset:13524
	ds_store_b32 v5, v25 offset:13520
	s_wait_dscnt 0x1
	ds_store_b64 v5, v[24:25] offset:13776
.LBB117_967:                            ;   in Loop: Header=BB117_3 Depth=1
	s_or_b32 exec_lo, exec_lo, s40
	v_mov_b32_e32 v24, 0
	s_wait_dscnt 0x0
	s_barrier_signal -1
	s_barrier_wait -1
	s_and_saveexec_b32 s40, s2
	s_cbranch_execz .LBB117_971
; %bb.968:                              ;   in Loop: Header=BB117_3 Depth=1
	ds_load_b32 v24, v39 offset:13528
	ds_load_b32 v30, v40 offset:13520
	s_wait_dscnt 0x0
	v_fma_f32 v24, v24, v30, 0
	s_and_saveexec_b32 s41, s12
	s_cbranch_execz .LBB117_970
; %bb.969:                              ;   in Loop: Header=BB117_3 Depth=1
	ds_load_b32 v30, v35 offset:13784
	ds_load_b32 v31, v5 offset:13524
	s_wait_dscnt 0x0
	v_fmac_f32_e32 v24, v30, v31
.LBB117_970:                            ;   in Loop: Header=BB117_3 Depth=1
	s_or_b32 exec_lo, exec_lo, s41
	s_delay_alu instid0(VALU_DEP_1)
	v_xor_b32_e32 v24, 0x80000000, v24
.LBB117_971:                            ;   in Loop: Header=BB117_3 Depth=1
	s_or_b32 exec_lo, exec_lo, s40
	s_and_saveexec_b32 s40, s88
; %bb.972:                              ;   in Loop: Header=BB117_3 Depth=1
	ds_store_b32 v37, v24
; %bb.973:                              ;   in Loop: Header=BB117_3 Depth=1
	s_or_b32 exec_lo, exec_lo, s40
	s_wait_dscnt 0x0
	s_barrier_signal -1
	s_barrier_wait -1
	s_and_saveexec_b32 s40, s89
	s_cbranch_execz .LBB117_975
; %bb.974:                              ;   in Loop: Header=BB117_3 Depth=1
	ds_load_b32 v30, v5 offset:14044
	ds_load_b32 v31, v37
	s_wait_dscnt 0x0
	v_fmac_f32_e32 v24, v30, v31
.LBB117_975:                            ;   in Loop: Header=BB117_3 Depth=1
	s_or_b32 exec_lo, exec_lo, s40
	s_barrier_signal -1
	s_barrier_wait -1
	s_and_saveexec_b32 s40, s89
; %bb.976:                              ;   in Loop: Header=BB117_3 Depth=1
	ds_store_b32 v37, v24
; %bb.977:                              ;   in Loop: Header=BB117_3 Depth=1
	s_or_b32 exec_lo, exec_lo, s40
	s_wait_dscnt 0x0
	s_barrier_signal -1
	s_barrier_wait -1
	s_barrier_signal -1
	s_barrier_wait -1
	s_and_saveexec_b32 s40, s2
; %bb.978:                              ;   in Loop: Header=BB117_3 Depth=1
	v_xor_b32_e32 v24, 0x80000000, v24
	ds_store_b32 v39, v24 offset:13528
; %bb.979:                              ;   in Loop: Header=BB117_3 Depth=1
	s_or_b32 exec_lo, exec_lo, s40
	s_wait_dscnt 0x0
	s_barrier_signal -1
	s_barrier_wait -1
	s_barrier_signal -1
	s_barrier_wait -1
	s_and_saveexec_b32 s40, s90
	s_cbranch_execz .LBB117_981
; %bb.980:                              ;   in Loop: Header=BB117_3 Depth=1
	ds_load_b32 v24, v36 offset:13528
	s_wait_dscnt 0x0
	ds_store_b32 v35, v24 offset:14032
	ds_load_b32 v24, v36 offset:13532
	s_wait_dscnt 0x0
	ds_store_b32 v35, v24 offset:14288
.LBB117_981:                            ;   in Loop: Header=BB117_3 Depth=1
	s_or_b32 exec_lo, exec_lo, s40
	s_wait_dscnt 0x0
	s_barrier_signal -1
	s_barrier_wait -1
	s_and_saveexec_b32 s40, s11
	s_cbranch_execz .LBB117_983
; %bb.982:                              ;   in Loop: Header=BB117_3 Depth=1
	ds_load_b32 v24, v5 offset:14044
	ds_store_b32 v5, v25 offset:14040
	s_wait_dscnt 0x1
	ds_store_b64 v5, v[24:25] offset:14296
.LBB117_983:                            ;   in Loop: Header=BB117_3 Depth=1
	s_or_b32 exec_lo, exec_lo, s40
	v_mov_b32_e32 v24, 0
	s_wait_dscnt 0x0
	s_barrier_signal -1
	s_barrier_wait -1
	s_and_saveexec_b32 s40, s5
	s_cbranch_execz .LBB117_993
; %bb.984:                              ;   in Loop: Header=BB117_3 Depth=1
	ds_load_b32 v24, v55 offset:12512
	ds_load_b32 v30, v52 offset:12480
	s_wait_dscnt 0x0
	v_fma_f32 v24, v24, v30, 0
	s_and_saveexec_b32 s41, s15
	s_cbranch_execnz .LBB117_1217
; %bb.985:                              ;   in Loop: Header=BB117_3 Depth=1
	s_or_b32 exec_lo, exec_lo, s41
	s_and_saveexec_b32 s41, s16
	s_cbranch_execnz .LBB117_1218
.LBB117_986:                            ;   in Loop: Header=BB117_3 Depth=1
	s_or_b32 exec_lo, exec_lo, s41
	s_and_saveexec_b32 s41, s17
	s_cbranch_execnz .LBB117_1219
.LBB117_987:                            ;   in Loop: Header=BB117_3 Depth=1
	s_or_b32 exec_lo, exec_lo, s41
	s_and_saveexec_b32 s41, s18
	s_cbranch_execnz .LBB117_1220
.LBB117_988:                            ;   in Loop: Header=BB117_3 Depth=1
	s_or_b32 exec_lo, exec_lo, s41
	s_and_saveexec_b32 s41, s19
	s_cbranch_execnz .LBB117_1221
.LBB117_989:                            ;   in Loop: Header=BB117_3 Depth=1
	s_or_b32 exec_lo, exec_lo, s41
	s_and_saveexec_b32 s41, s4
	s_cbranch_execnz .LBB117_1222
.LBB117_990:                            ;   in Loop: Header=BB117_3 Depth=1
	s_or_b32 exec_lo, exec_lo, s41
	s_and_saveexec_b32 s41, s14
	s_cbranch_execz .LBB117_992
.LBB117_991:                            ;   in Loop: Header=BB117_3 Depth=1
	ds_load_b32 v30, v38 offset:14304
	ds_load_b32 v31, v5 offset:12508
	s_wait_dscnt 0x0
	v_fmac_f32_e32 v24, v30, v31
.LBB117_992:                            ;   in Loop: Header=BB117_3 Depth=1
	s_or_b32 exec_lo, exec_lo, s41
	s_delay_alu instid0(VALU_DEP_1)
	v_xor_b32_e32 v24, 0x80000000, v24
.LBB117_993:                            ;   in Loop: Header=BB117_3 Depth=1
	s_or_b32 exec_lo, exec_lo, s40
	s_and_saveexec_b32 s40, s98
; %bb.994:                              ;   in Loop: Header=BB117_3 Depth=1
	ds_store_b32 v54, v24
; %bb.995:                              ;   in Loop: Header=BB117_3 Depth=1
	s_or_b32 exec_lo, exec_lo, s40
	s_wait_dscnt 0x0
	s_barrier_signal -1
	s_barrier_wait -1
	s_and_saveexec_b32 s40, s99
	s_cbranch_execz .LBB117_997
; %bb.996:                              ;   in Loop: Header=BB117_3 Depth=1
	ds_load_b32 v30, v51 offset:14560
	ds_load_b32 v31, v54
	s_wait_dscnt 0x0
	v_fmac_f32_e32 v24, v30, v31
.LBB117_997:                            ;   in Loop: Header=BB117_3 Depth=1
	s_or_b32 exec_lo, exec_lo, s40
	s_barrier_signal -1
	s_barrier_wait -1
	s_and_saveexec_b32 s40, s100
; %bb.998:                              ;   in Loop: Header=BB117_3 Depth=1
	ds_store_b32 v54, v24
; %bb.999:                              ;   in Loop: Header=BB117_3 Depth=1
	s_or_b32 exec_lo, exec_lo, s40
	s_wait_dscnt 0x0
	s_barrier_signal -1
	s_barrier_wait -1
	s_and_saveexec_b32 s40, s101
	s_cbranch_execz .LBB117_1001
; %bb.1000:                             ;   in Loop: Header=BB117_3 Depth=1
	ds_load_b32 v30, v51 offset:14816
	ds_load_b32 v31, v54
	s_wait_dscnt 0x0
	v_fmac_f32_e32 v24, v30, v31
.LBB117_1001:                           ;   in Loop: Header=BB117_3 Depth=1
	s_or_b32 exec_lo, exec_lo, s40
	s_barrier_signal -1
	s_barrier_wait -1
	s_and_saveexec_b32 s40, s102
; %bb.1002:                             ;   in Loop: Header=BB117_3 Depth=1
	ds_store_b32 v54, v24
; %bb.1003:                             ;   in Loop: Header=BB117_3 Depth=1
	s_or_b32 exec_lo, exec_lo, s40
	s_wait_dscnt 0x0
	s_barrier_signal -1
	s_barrier_wait -1
	s_and_saveexec_b32 s40, s103
	s_cbranch_execz .LBB117_1005
; %bb.1004:                             ;   in Loop: Header=BB117_3 Depth=1
	ds_load_b32 v30, v51 offset:15072
	ds_load_b32 v31, v54
	s_wait_dscnt 0x0
	v_fmac_f32_e32 v24, v30, v31
.LBB117_1005:                           ;   in Loop: Header=BB117_3 Depth=1
	s_or_b32 exec_lo, exec_lo, s40
	s_barrier_signal -1
	s_barrier_wait -1
	s_and_saveexec_b32 s40, s104
; %bb.1006:                             ;   in Loop: Header=BB117_3 Depth=1
	ds_store_b32 v54, v24
; %bb.1007:                             ;   in Loop: Header=BB117_3 Depth=1
	s_or_b32 exec_lo, exec_lo, s40
	s_wait_dscnt 0x0
	s_barrier_signal -1
	s_barrier_wait -1
	s_and_saveexec_b32 s40, vcc_hi
	s_cbranch_execz .LBB117_1009
; %bb.1008:                             ;   in Loop: Header=BB117_3 Depth=1
	ds_load_b32 v30, v51 offset:15328
	ds_load_b32 v31, v54
	s_wait_dscnt 0x0
	v_fmac_f32_e32 v24, v30, v31
.LBB117_1009:                           ;   in Loop: Header=BB117_3 Depth=1
	s_or_b32 exec_lo, exec_lo, s40
	s_barrier_signal -1
	s_barrier_wait -1
	s_and_saveexec_b32 s40, s31
; %bb.1010:                             ;   in Loop: Header=BB117_3 Depth=1
	ds_store_b32 v54, v24
; %bb.1011:                             ;   in Loop: Header=BB117_3 Depth=1
	s_or_b32 exec_lo, exec_lo, s40
	s_wait_dscnt 0x0
	s_barrier_signal -1
	s_barrier_wait -1
	s_and_saveexec_b32 s40, s33
	s_cbranch_execz .LBB117_1013
; %bb.1012:                             ;   in Loop: Header=BB117_3 Depth=1
	ds_load_b32 v30, v51 offset:15584
	ds_load_b32 v31, v54
	s_wait_dscnt 0x0
	v_fmac_f32_e32 v24, v30, v31
.LBB117_1013:                           ;   in Loop: Header=BB117_3 Depth=1
	s_or_b32 exec_lo, exec_lo, s40
	s_barrier_signal -1
	s_barrier_wait -1
	s_and_saveexec_b32 s40, s34
; %bb.1014:                             ;   in Loop: Header=BB117_3 Depth=1
	ds_store_b32 v54, v24
; %bb.1015:                             ;   in Loop: Header=BB117_3 Depth=1
	s_or_b32 exec_lo, exec_lo, s40
	s_wait_dscnt 0x0
	s_barrier_signal -1
	s_barrier_wait -1
	s_and_saveexec_b32 s40, s35
	;; [unrolled: 19-line block ×3, first 2 shown]
	s_cbranch_execz .LBB117_1021
; %bb.1020:                             ;   in Loop: Header=BB117_3 Depth=1
	ds_load_b32 v30, v5 offset:16124
	ds_load_b32 v31, v54
	s_wait_dscnt 0x0
	v_fmac_f32_e32 v24, v30, v31
.LBB117_1021:                           ;   in Loop: Header=BB117_3 Depth=1
	s_or_b32 exec_lo, exec_lo, s40
	s_barrier_signal -1
	s_barrier_wait -1
	s_and_saveexec_b32 s40, s37
; %bb.1022:                             ;   in Loop: Header=BB117_3 Depth=1
	ds_store_b32 v54, v24
; %bb.1023:                             ;   in Loop: Header=BB117_3 Depth=1
	s_or_b32 exec_lo, exec_lo, s40
	s_wait_dscnt 0x0
	s_barrier_signal -1
	s_barrier_wait -1
	s_barrier_signal -1
	s_barrier_wait -1
	s_and_saveexec_b32 s40, s5
; %bb.1024:                             ;   in Loop: Header=BB117_3 Depth=1
	v_xor_b32_e32 v24, 0x80000000, v24
	ds_store_b32 v55, v24 offset:12512
; %bb.1025:                             ;   in Loop: Header=BB117_3 Depth=1
	s_or_b32 exec_lo, exec_lo, s40
	s_wait_dscnt 0x0
	s_barrier_signal -1
	s_barrier_wait -1
	s_barrier_signal -1
	s_barrier_wait -1
	s_and_saveexec_b32 s40, s38
	s_cbranch_execz .LBB117_1027
; %bb.1026:                             ;   in Loop: Header=BB117_3 Depth=1
	ds_load_b32 v24, v42 offset:12512
	s_wait_dscnt 0x0
	ds_store_b32 v46, v24 offset:14528
	ds_load_b32 v24, v42 offset:12516
	s_wait_dscnt 0x0
	ds_store_b32 v46, v24 offset:14784
	;; [unrolled: 3-line block ×8, first 2 shown]
.LBB117_1027:                           ;   in Loop: Header=BB117_3 Depth=1
	s_or_b32 exec_lo, exec_lo, s40
	s_wait_dscnt 0x0
	s_barrier_signal -1
	s_barrier_wait -1
	s_and_saveexec_b32 s40, s11
	s_cbranch_execz .LBB117_1029
; %bb.1028:                             ;   in Loop: Header=BB117_3 Depth=1
	ds_load_b32 v24, v5 offset:14564
	ds_store_b32 v5, v25 offset:14560
	s_wait_dscnt 0x1
	ds_store_b64 v5, v[24:25] offset:14816
.LBB117_1029:                           ;   in Loop: Header=BB117_3 Depth=1
	s_or_b32 exec_lo, exec_lo, s40
	v_mov_b32_e32 v24, 0
	s_wait_dscnt 0x0
	s_barrier_signal -1
	s_barrier_wait -1
	s_and_saveexec_b32 s40, s2
	s_cbranch_execz .LBB117_1033
; %bb.1030:                             ;   in Loop: Header=BB117_3 Depth=1
	ds_load_b32 v24, v39 offset:14568
	ds_load_b32 v30, v40 offset:14560
	s_wait_dscnt 0x0
	v_fma_f32 v24, v24, v30, 0
	s_and_saveexec_b32 s41, s12
	s_cbranch_execz .LBB117_1032
; %bb.1031:                             ;   in Loop: Header=BB117_3 Depth=1
	ds_load_b32 v30, v46 offset:14824
	ds_load_b32 v31, v5 offset:14564
	s_wait_dscnt 0x0
	v_fmac_f32_e32 v24, v30, v31
.LBB117_1032:                           ;   in Loop: Header=BB117_3 Depth=1
	s_or_b32 exec_lo, exec_lo, s41
	s_delay_alu instid0(VALU_DEP_1)
	v_xor_b32_e32 v24, 0x80000000, v24
.LBB117_1033:                           ;   in Loop: Header=BB117_3 Depth=1
	s_or_b32 exec_lo, exec_lo, s40
	s_and_saveexec_b32 s40, s88
; %bb.1034:                             ;   in Loop: Header=BB117_3 Depth=1
	ds_store_b32 v37, v24
; %bb.1035:                             ;   in Loop: Header=BB117_3 Depth=1
	s_or_b32 exec_lo, exec_lo, s40
	s_wait_dscnt 0x0
	s_barrier_signal -1
	s_barrier_wait -1
	s_and_saveexec_b32 s40, s89
	s_cbranch_execz .LBB117_1037
; %bb.1036:                             ;   in Loop: Header=BB117_3 Depth=1
	ds_load_b32 v30, v5 offset:15084
	ds_load_b32 v31, v37
	s_wait_dscnt 0x0
	v_fmac_f32_e32 v24, v30, v31
.LBB117_1037:                           ;   in Loop: Header=BB117_3 Depth=1
	s_or_b32 exec_lo, exec_lo, s40
	s_barrier_signal -1
	s_barrier_wait -1
	s_and_saveexec_b32 s40, s89
; %bb.1038:                             ;   in Loop: Header=BB117_3 Depth=1
	ds_store_b32 v37, v24
; %bb.1039:                             ;   in Loop: Header=BB117_3 Depth=1
	s_or_b32 exec_lo, exec_lo, s40
	s_wait_dscnt 0x0
	s_barrier_signal -1
	s_barrier_wait -1
	s_barrier_signal -1
	s_barrier_wait -1
	s_and_saveexec_b32 s40, s2
; %bb.1040:                             ;   in Loop: Header=BB117_3 Depth=1
	v_xor_b32_e32 v24, 0x80000000, v24
	ds_store_b32 v39, v24 offset:14568
; %bb.1041:                             ;   in Loop: Header=BB117_3 Depth=1
	s_or_b32 exec_lo, exec_lo, s40
	s_wait_dscnt 0x0
	s_barrier_signal -1
	s_barrier_wait -1
	s_barrier_signal -1
	s_barrier_wait -1
	s_and_saveexec_b32 s40, s90
	s_cbranch_execz .LBB117_1043
; %bb.1042:                             ;   in Loop: Header=BB117_3 Depth=1
	ds_load_b32 v24, v50 offset:14568
	s_wait_dscnt 0x0
	ds_store_b32 v46, v24 offset:15072
	ds_load_b32 v24, v50 offset:14572
	s_wait_dscnt 0x0
	ds_store_b32 v46, v24 offset:15328
.LBB117_1043:                           ;   in Loop: Header=BB117_3 Depth=1
	s_or_b32 exec_lo, exec_lo, s40
	s_wait_dscnt 0x0
	s_barrier_signal -1
	s_barrier_wait -1
	s_and_saveexec_b32 s40, s11
	s_cbranch_execz .LBB117_1045
; %bb.1044:                             ;   in Loop: Header=BB117_3 Depth=1
	ds_load_b32 v24, v5 offset:15084
	ds_store_b32 v5, v25 offset:15080
	s_wait_dscnt 0x1
	ds_store_b64 v5, v[24:25] offset:15336
.LBB117_1045:                           ;   in Loop: Header=BB117_3 Depth=1
	s_or_b32 exec_lo, exec_lo, s40
	v_mov_b32_e32 v24, 0
	s_wait_dscnt 0x0
	s_barrier_signal -1
	s_barrier_wait -1
	s_and_saveexec_b32 s40, s4
	s_cbranch_execz .LBB117_1051
; %bb.1046:                             ;   in Loop: Header=BB117_3 Depth=1
	ds_load_b32 v24, v48 offset:14576
	ds_load_b32 v30, v41 offset:14560
	s_wait_dscnt 0x0
	v_fma_f32 v24, v24, v30, 0
	s_and_saveexec_b32 s41, s13
	s_cbranch_execnz .LBB117_1223
; %bb.1047:                             ;   in Loop: Header=BB117_3 Depth=1
	s_or_b32 exec_lo, exec_lo, s41
	s_and_saveexec_b32 s41, s14
	s_cbranch_execnz .LBB117_1224
.LBB117_1048:                           ;   in Loop: Header=BB117_3 Depth=1
	s_or_b32 exec_lo, exec_lo, s41
	s_and_saveexec_b32 s41, s2
	s_cbranch_execz .LBB117_1050
.LBB117_1049:                           ;   in Loop: Header=BB117_3 Depth=1
	ds_load_b32 v30, v53 offset:15344
	ds_load_b32 v31, v5 offset:14572
	s_wait_dscnt 0x0
	v_fmac_f32_e32 v24, v30, v31
.LBB117_1050:                           ;   in Loop: Header=BB117_3 Depth=1
	s_or_b32 exec_lo, exec_lo, s41
	s_delay_alu instid0(VALU_DEP_1)
	v_xor_b32_e32 v24, 0x80000000, v24
.LBB117_1051:                           ;   in Loop: Header=BB117_3 Depth=1
	s_or_b32 exec_lo, exec_lo, s40
	s_and_saveexec_b32 s40, s91
; %bb.1052:                             ;   in Loop: Header=BB117_3 Depth=1
	ds_store_b32 v47, v24
; %bb.1053:                             ;   in Loop: Header=BB117_3 Depth=1
	s_or_b32 exec_lo, exec_lo, s40
	s_wait_dscnt 0x0
	s_barrier_signal -1
	s_barrier_wait -1
	s_and_saveexec_b32 s40, s92
	s_cbranch_execz .LBB117_1055
; %bb.1054:                             ;   in Loop: Header=BB117_3 Depth=1
	ds_load_b32 v30, v45 offset:15600
	ds_load_b32 v31, v47
	s_wait_dscnt 0x0
	v_fmac_f32_e32 v24, v30, v31
.LBB117_1055:                           ;   in Loop: Header=BB117_3 Depth=1
	s_or_b32 exec_lo, exec_lo, s40
	s_barrier_signal -1
	s_barrier_wait -1
	s_and_saveexec_b32 s40, s93
; %bb.1056:                             ;   in Loop: Header=BB117_3 Depth=1
	ds_store_b32 v47, v24
; %bb.1057:                             ;   in Loop: Header=BB117_3 Depth=1
	s_or_b32 exec_lo, exec_lo, s40
	s_wait_dscnt 0x0
	s_barrier_signal -1
	s_barrier_wait -1
	s_and_saveexec_b32 s40, s94
	s_cbranch_execz .LBB117_1059
; %bb.1058:                             ;   in Loop: Header=BB117_3 Depth=1
	ds_load_b32 v30, v45 offset:15856
	ds_load_b32 v31, v47
	s_wait_dscnt 0x0
	v_fmac_f32_e32 v24, v30, v31
.LBB117_1059:                           ;   in Loop: Header=BB117_3 Depth=1
	s_or_b32 exec_lo, exec_lo, s40
	s_barrier_signal -1
	s_barrier_wait -1
	;; [unrolled: 19-line block ×3, first 2 shown]
	s_and_saveexec_b32 s40, s96
; %bb.1064:                             ;   in Loop: Header=BB117_3 Depth=1
	ds_store_b32 v47, v24
; %bb.1065:                             ;   in Loop: Header=BB117_3 Depth=1
	s_or_b32 exec_lo, exec_lo, s40
	s_wait_dscnt 0x0
	s_barrier_signal -1
	s_barrier_wait -1
	s_barrier_signal -1
	s_barrier_wait -1
	s_and_saveexec_b32 s40, s4
; %bb.1066:                             ;   in Loop: Header=BB117_3 Depth=1
	v_xor_b32_e32 v24, 0x80000000, v24
	ds_store_b32 v48, v24 offset:14576
; %bb.1067:                             ;   in Loop: Header=BB117_3 Depth=1
	s_or_b32 exec_lo, exec_lo, s40
	s_wait_dscnt 0x0
	s_barrier_signal -1
	s_barrier_wait -1
	s_barrier_signal -1
	s_barrier_wait -1
	s_and_saveexec_b32 s40, s97
	s_cbranch_execz .LBB117_1069
; %bb.1068:                             ;   in Loop: Header=BB117_3 Depth=1
	ds_load_b32 v24, v56 offset:14576
	s_wait_dscnt 0x0
	ds_store_b32 v59, v24 offset:15584
	ds_load_b32 v24, v56 offset:14580
	s_wait_dscnt 0x0
	ds_store_b32 v59, v24 offset:15840
	;; [unrolled: 3-line block ×4, first 2 shown]
.LBB117_1069:                           ;   in Loop: Header=BB117_3 Depth=1
	s_or_b32 exec_lo, exec_lo, s40
	s_wait_dscnt 0x0
	s_barrier_signal -1
	s_barrier_wait -1
	s_and_saveexec_b32 s40, s11
	s_cbranch_execz .LBB117_1071
; %bb.1070:                             ;   in Loop: Header=BB117_3 Depth=1
	ds_load_b32 v24, v5 offset:15604
	ds_store_b32 v5, v25 offset:15600
	s_wait_dscnt 0x1
	ds_store_b64 v5, v[24:25] offset:15856
.LBB117_1071:                           ;   in Loop: Header=BB117_3 Depth=1
	s_or_b32 exec_lo, exec_lo, s40
	v_mov_b32_e32 v24, 0
	s_wait_dscnt 0x0
	s_barrier_signal -1
	s_barrier_wait -1
	s_and_saveexec_b32 s40, s2
	s_cbranch_execz .LBB117_1075
; %bb.1072:                             ;   in Loop: Header=BB117_3 Depth=1
	ds_load_b32 v24, v39 offset:15608
	ds_load_b32 v30, v40 offset:15600
	s_wait_dscnt 0x0
	v_fma_f32 v24, v24, v30, 0
	s_and_saveexec_b32 s41, s12
	s_cbranch_execz .LBB117_1074
; %bb.1073:                             ;   in Loop: Header=BB117_3 Depth=1
	ds_load_b32 v30, v59 offset:15864
	ds_load_b32 v31, v5 offset:15604
	s_wait_dscnt 0x0
	v_fmac_f32_e32 v24, v30, v31
.LBB117_1074:                           ;   in Loop: Header=BB117_3 Depth=1
	s_or_b32 exec_lo, exec_lo, s41
	s_delay_alu instid0(VALU_DEP_1)
	v_xor_b32_e32 v24, 0x80000000, v24
.LBB117_1075:                           ;   in Loop: Header=BB117_3 Depth=1
	s_or_b32 exec_lo, exec_lo, s40
	s_and_saveexec_b32 s40, s88
; %bb.1076:                             ;   in Loop: Header=BB117_3 Depth=1
	ds_store_b32 v37, v24
; %bb.1077:                             ;   in Loop: Header=BB117_3 Depth=1
	s_or_b32 exec_lo, exec_lo, s40
	s_wait_dscnt 0x0
	s_barrier_signal -1
	s_barrier_wait -1
	s_and_saveexec_b32 s40, s89
	s_cbranch_execz .LBB117_1079
; %bb.1078:                             ;   in Loop: Header=BB117_3 Depth=1
	ds_load_b32 v30, v5 offset:16124
	ds_load_b32 v31, v37
	s_wait_dscnt 0x0
	v_fmac_f32_e32 v24, v30, v31
.LBB117_1079:                           ;   in Loop: Header=BB117_3 Depth=1
	s_or_b32 exec_lo, exec_lo, s40
	s_barrier_signal -1
	s_barrier_wait -1
	s_and_saveexec_b32 s40, s89
; %bb.1080:                             ;   in Loop: Header=BB117_3 Depth=1
	ds_store_b32 v37, v24
; %bb.1081:                             ;   in Loop: Header=BB117_3 Depth=1
	s_or_b32 exec_lo, exec_lo, s40
	s_wait_dscnt 0x0
	s_barrier_signal -1
	s_barrier_wait -1
	s_barrier_signal -1
	s_barrier_wait -1
	s_and_saveexec_b32 s40, s2
; %bb.1082:                             ;   in Loop: Header=BB117_3 Depth=1
	v_xor_b32_e32 v24, 0x80000000, v24
	ds_store_b32 v39, v24 offset:15608
; %bb.1083:                             ;   in Loop: Header=BB117_3 Depth=1
	s_or_b32 exec_lo, exec_lo, s40
	s_wait_dscnt 0x0
	s_barrier_signal -1
	s_barrier_wait -1
	s_barrier_signal -1
	s_barrier_wait -1
	s_and_saveexec_b32 s40, s90
	s_cbranch_execz .LBB117_1085
; %bb.1084:                             ;   in Loop: Header=BB117_3 Depth=1
	v_add_nc_u32_e32 v24, v59, v44
	ds_load_b32 v30, v24 offset:15608
	s_wait_dscnt 0x0
	ds_store_b32 v59, v30 offset:16112
	ds_load_b32 v24, v24 offset:15612
	s_wait_dscnt 0x0
	ds_store_b32 v59, v24 offset:16368
.LBB117_1085:                           ;   in Loop: Header=BB117_3 Depth=1
	s_or_b32 exec_lo, exec_lo, s40
	s_wait_dscnt 0x0
	s_barrier_signal -1
	s_barrier_wait -1
	s_and_saveexec_b32 s40, s11
	s_cbranch_execz .LBB117_1087
; %bb.1086:                             ;   in Loop: Header=BB117_3 Depth=1
	ds_load_b32 v24, v5 offset:16124
	ds_store_b32 v5, v25 offset:16120
	s_wait_dscnt 0x1
	ds_store_b64 v5, v[24:25] offset:16376
.LBB117_1087:                           ;   in Loop: Header=BB117_3 Depth=1
	s_or_b32 exec_lo, exec_lo, s40
.LBB117_1088:                           ;   in Loop: Header=BB117_3 Depth=1
	v_add_nc_u64_e32 v[28:29], s[70:71], v[28:29]
	s_wait_xcnt 0x0
	v_mov_b32_e32 v24, 0
	s_wait_dscnt 0x0
	s_barrier_signal -1
	s_barrier_wait -1
	s_and_saveexec_b32 s40, s61
	s_cbranch_execz .LBB117_1090
; %bb.1089:                             ;   in Loop: Header=BB117_3 Depth=1
	v_lshl_add_u64 v[30:31], v[0:1], 2, v[28:29]
	v_readlane_b32 s41, v95, 2
	flat_load_b32 v24, v[30:31]
	s_wait_loadcnt_dscnt 0x0
	v_mul_f32_e64 v24, v24, -s41
.LBB117_1090:                           ;   in Loop: Header=BB117_3 Depth=1
	s_or_b32 exec_lo, exec_lo, s40
	s_delay_alu instid0(SALU_CYCLE_1)
	s_and_not1_b32 vcc_lo, exec_lo, s85
	s_cbranch_vccnz .LBB117_1116
; %bb.1091:                             ;   in Loop: Header=BB117_3 Depth=1
	v_mov_b32_e32 v87, -1
	s_lshl_b64 s[40:41], s[62:63], 2
	s_delay_alu instid0(SALU_CYCLE_1)
	s_add_nc_u64 s[80:81], s[74:75], s[40:41]
	s_mov_b32 s40, 0
	s_branch .LBB117_1094
.LBB117_1092:                           ;   in Loop: Header=BB117_1094 Depth=2
	s_wait_xcnt 0x0
	ds_load_b32 v30, v71 offset:192
	s_wait_loadcnt_dscnt 0x0
	v_fmac_f32_e32 v24, v32, v30
.LBB117_1093:                           ;   in Loop: Header=BB117_1094 Depth=2
	s_or_b32 exec_lo, exec_lo, s41
	s_add_co_i32 s40, s40, 1
	s_delay_alu instid0(SALU_CYCLE_1)
	s_cmp_eq_u32 s40, s82
	s_cbranch_scc1 .LBB117_1116
.LBB117_1094:                           ;   Parent Loop BB117_3 Depth=1
                                        ; =>  This Loop Header: Depth=2
                                        ;       Child Loop BB117_1096 Depth 3
	v_cmp_gt_i32_e32 vcc_lo, s40, v87
	s_and_b32 s42, s55, vcc_lo
	s_delay_alu instid0(SALU_CYCLE_1)
	s_and_saveexec_b32 s41, s42
	s_cbranch_execz .LBB117_1097
; %bb.1095:                             ;   in Loop: Header=BB117_1094 Depth=2
	global_load_b32 v87, v5, s[80:81]
	s_wait_loadcnt 0x0
	v_cmp_le_i32_e32 vcc_lo, s40, v87
	s_cbranch_vccnz .LBB117_1097
.LBB117_1096:                           ;   Parent Loop BB117_3 Depth=1
                                        ;     Parent Loop BB117_1094 Depth=2
                                        ; =>    This Inner Loop Header: Depth=3
	global_wb scope:SCOPE_DEV
	s_wait_storecnt 0x0
	global_inv scope:SCOPE_DEV
	global_load_b32 v87, v5, s[80:81]
	s_wait_loadcnt 0x0
	v_cmp_gt_i32_e32 vcc_lo, s40, v87
	s_cbranch_vccnz .LBB117_1096
.LBB117_1097:                           ;   in Loop: Header=BB117_1094 Depth=2
	s_or_b32 exec_lo, exec_lo, s41
	s_sub_co_i32 s41, s83, s40
	global_wb scope:SCOPE_DEV
	s_wait_storecnt 0x0
	global_inv scope:SCOPE_DEV
	s_lshl_b32 s42, s41, 6
	s_wait_loadcnt 0x0
	s_barrier_signal -1
	s_barrier_wait -1
	s_and_saveexec_b32 s43, s56
	s_cbranch_execz .LBB117_1101
; %bb.1098:                             ;   in Loop: Header=BB117_1094 Depth=2
	s_ashr_i32 s44, s42, 31
	s_delay_alu instid0(SALU_CYCLE_1) | instskip(SKIP_2) | instid1(VALU_DEP_1)
	v_dual_mov_b32 v32, 0 :: v_dual_mov_b32 v31, s44
	v_or_b32_e32 v30, s42, v8
	s_mov_b32 s44, exec_lo
	v_cmpx_gt_i64_e64 s[72:73], v[30:31]
	s_cbranch_execz .LBB117_1100
; %bb.1099:                             ;   in Loop: Header=BB117_1094 Depth=2
	v_mul_u64_e32 v[30:31], s[76:77], v[30:31]
	s_delay_alu instid0(VALU_DEP_1)
	v_lshl_add_u64 v[30:31], v[30:31], 2, v[28:29]
	flat_load_b32 v32, v[30:31]
.LBB117_1100:                           ;   in Loop: Header=BB117_1094 Depth=2
	s_wait_xcnt 0x0
	s_or_b32 exec_lo, exec_lo, s44
	s_wait_loadcnt_dscnt 0x0
	ds_store_b32 v70, v32
.LBB117_1101:                           ;   in Loop: Header=BB117_1094 Depth=2
	s_or_b32 exec_lo, exec_lo, s43
	v_add_nc_u32_e32 v32, s42, v2
	s_cmp_lg_u32 s41, s39
	s_wait_dscnt 0x0
	s_cselect_b32 s42, -1, 0
	s_barrier_signal -1
	v_ashrrev_i32_e32 v33, 31, v32
	v_cmp_gt_i32_e32 vcc_lo, s72, v32
	s_barrier_wait -1
	s_delay_alu instid0(VALU_DEP_2) | instskip(SKIP_2) | instid1(SALU_CYCLE_1)
	v_lshl_add_u64 v[30:31], v[32:33], 2, v[26:27]
	v_cndmask_b32_e64 v33, 0, 1, s42
	s_and_b32 s43, vcc_lo, s0
	s_and_saveexec_b32 s41, s43
	s_cbranch_execz .LBB117_1105
; %bb.1102:                             ;   in Loop: Header=BB117_1094 Depth=2
	v_mov_b32_e32 v88, v83
	s_and_not1_b32 vcc_lo, exec_lo, s42
	s_cbranch_vccnz .LBB117_1104
; %bb.1103:                             ;   in Loop: Header=BB117_1094 Depth=2
	flat_load_b32 v88, v[30:31]
.LBB117_1104:                           ;   in Loop: Header=BB117_1094 Depth=2
	ds_load_b32 v89, v71
	s_wait_loadcnt_dscnt 0x0
	v_fmac_f32_e32 v24, v88, v89
.LBB117_1105:                           ;   in Loop: Header=BB117_1094 Depth=2
	s_or_b32 exec_lo, exec_lo, s41
	v_add_nc_u32_e32 v88, 16, v32
	s_delay_alu instid0(VALU_DEP_1) | instskip(SKIP_1) | instid1(SALU_CYCLE_1)
	v_cmp_gt_i32_e32 vcc_lo, s72, v88
	s_and_b32 s42, vcc_lo, s0
	s_and_saveexec_b32 s41, s42
	s_cbranch_execz .LBB117_1109
; %bb.1106:                             ;   in Loop: Header=BB117_1094 Depth=2
	v_cmp_ne_u32_e32 vcc_lo, 1, v33
	v_mov_b32_e32 v88, v84
	s_cbranch_vccnz .LBB117_1108
; %bb.1107:                             ;   in Loop: Header=BB117_1094 Depth=2
	flat_load_b32 v88, v[30:31] offset:64
.LBB117_1108:                           ;   in Loop: Header=BB117_1094 Depth=2
	ds_load_b32 v89, v71 offset:64
	s_wait_loadcnt_dscnt 0x0
	v_fmac_f32_e32 v24, v88, v89
.LBB117_1109:                           ;   in Loop: Header=BB117_1094 Depth=2
	s_or_b32 exec_lo, exec_lo, s41
	v_add_nc_u32_e32 v88, 32, v32
	s_delay_alu instid0(VALU_DEP_1) | instskip(SKIP_1) | instid1(SALU_CYCLE_1)
	v_cmp_gt_i32_e32 vcc_lo, s72, v88
	s_and_b32 s42, vcc_lo, s0
	s_and_saveexec_b32 s41, s42
	s_cbranch_execz .LBB117_1113
; %bb.1110:                             ;   in Loop: Header=BB117_1094 Depth=2
	v_cmp_ne_u32_e32 vcc_lo, 1, v33
	v_mov_b32_e32 v88, v85
	s_cbranch_vccnz .LBB117_1112
; %bb.1111:                             ;   in Loop: Header=BB117_1094 Depth=2
	flat_load_b32 v88, v[30:31] offset:128
.LBB117_1112:                           ;   in Loop: Header=BB117_1094 Depth=2
	ds_load_b32 v89, v71 offset:128
	s_wait_loadcnt_dscnt 0x0
	v_fmac_f32_e32 v24, v88, v89
.LBB117_1113:                           ;   in Loop: Header=BB117_1094 Depth=2
	s_or_b32 exec_lo, exec_lo, s41
	v_add_nc_u32_e32 v32, 48, v32
	s_delay_alu instid0(VALU_DEP_1) | instskip(SKIP_1) | instid1(SALU_CYCLE_1)
	v_cmp_gt_i32_e32 vcc_lo, s72, v32
	s_and_b32 s42, vcc_lo, s0
	s_and_saveexec_b32 s41, s42
	s_cbranch_execz .LBB117_1093
; %bb.1114:                             ;   in Loop: Header=BB117_1094 Depth=2
	v_cmp_ne_u32_e32 vcc_lo, 1, v33
	v_mov_b32_e32 v32, v86
	s_cbranch_vccnz .LBB117_1092
; %bb.1115:                             ;   in Loop: Header=BB117_1094 Depth=2
	flat_load_b32 v32, v[30:31] offset:192
	s_branch .LBB117_1092
.LBB117_1116:                           ;   in Loop: Header=BB117_3 Depth=1
	ds_store_b32 v72, v24
	s_wait_dscnt 0x0
	s_barrier_signal -1
	s_barrier_wait -1
	s_and_saveexec_b32 s40, s3
	s_cbranch_execz .LBB117_1118
; %bb.1117:                             ;   in Loop: Header=BB117_3 Depth=1
	ds_load_2addr_stride64_b32 v[26:27], v73 offset0:1 offset1:2
	ds_load_2addr_stride64_b32 v[30:31], v73 offset0:3 offset1:4
	;; [unrolled: 1-line block ×4, first 2 shown]
	v_readlane_b32 s41, v93, 7
	s_wait_dscnt 0x3
	v_add_f32_e32 v24, v24, v26
	s_delay_alu instid0(VALU_DEP_1) | instskip(SKIP_3) | instid1(VALU_DEP_1)
	v_add_f32_e32 v24, v24, v27
	ds_load_2addr_stride64_b32 v[26:27], v73 offset0:9 offset1:10
	s_wait_dscnt 0x3
	v_add_f32_e32 v24, v24, v30
	v_add_f32_e32 v24, v24, v31
	ds_load_2addr_stride64_b32 v[30:31], v73 offset0:11 offset1:12
	s_wait_dscnt 0x3
	v_add_f32_e32 v24, v24, v32
	s_delay_alu instid0(VALU_DEP_1) | instskip(SKIP_4) | instid1(VALU_DEP_1)
	v_add_f32_e32 v24, v24, v33
	ds_load_2addr_stride64_b32 v[32:33], v73 offset0:13 offset1:14
	ds_load_b32 v87, v73 offset:3840
	s_wait_dscnt 0x4
	v_add_f32_e32 v24, v24, v88
	v_add_f32_e32 v24, v24, v89
	s_wait_dscnt 0x3
	s_delay_alu instid0(VALU_DEP_1) | instskip(NEXT) | instid1(VALU_DEP_1)
	v_add_f32_e32 v24, v24, v26
	v_add_f32_e32 v24, v24, v27
	s_wait_dscnt 0x2
	s_delay_alu instid0(VALU_DEP_1) | instskip(NEXT) | instid1(VALU_DEP_1)
	;; [unrolled: 4-line block ×4, first 2 shown]
	v_add_f32_e32 v24, v24, v87
	v_cndmask_b32_e64 v24, -v24, 0, s41
.LBB117_1118:                           ;   in Loop: Header=BB117_3 Depth=1
	s_or_b32 exec_lo, exec_lo, s40
	s_delay_alu instid0(SALU_CYCLE_1)
	s_and_not1_b32 vcc_lo, exec_lo, s87
	s_cbranch_vccnz .LBB117_1128
; %bb.1119:                             ;   in Loop: Header=BB117_3 Depth=1
	s_and_saveexec_b32 s40, s3
; %bb.1120:                             ;   in Loop: Header=BB117_3 Depth=1
	ds_store_b32 v75, v24
; %bb.1121:                             ;   in Loop: Header=BB117_3 Depth=1
	s_or_b32 exec_lo, exec_lo, s40
	v_mov_b32_e32 v26, 0
	s_wait_dscnt 0x0
	s_barrier_signal -1
	s_barrier_wait -1
	s_and_saveexec_b32 s40, s1
	s_cbranch_execnz .LBB117_1168
; %bb.1122:                             ;   in Loop: Header=BB117_3 Depth=1
	s_or_b32 exec_lo, exec_lo, s40
	s_and_saveexec_b32 s40, s8
	s_cbranch_execnz .LBB117_1169
.LBB117_1123:                           ;   in Loop: Header=BB117_3 Depth=1
	s_or_b32 exec_lo, exec_lo, s40
	s_and_saveexec_b32 s40, s9
	s_cbranch_execnz .LBB117_1170
.LBB117_1124:                           ;   in Loop: Header=BB117_3 Depth=1
	s_or_b32 exec_lo, exec_lo, s40
	s_and_saveexec_b32 s40, s10
	s_cbranch_execz .LBB117_1126
.LBB117_1125:                           ;   in Loop: Header=BB117_3 Depth=1
	ds_load_b32 v27, v74 offset:12288
	ds_load_b32 v30, v71 offset:192
	s_wait_dscnt 0x0
	v_fmac_f32_e32 v26, v27, v30
.LBB117_1126:                           ;   in Loop: Header=BB117_3 Depth=1
	s_or_b32 exec_lo, exec_lo, s40
	s_mov_b32 s40, 0
	s_mov_b32 s80, 0
	ds_store_b32 v72, v26
	s_wait_dscnt 0x0
	s_barrier_signal -1
	s_barrier_wait -1
                                        ; implicit-def: $vgpr27
	s_and_saveexec_b32 s81, s3
	s_cbranch_execz .LBB117_1171
; %bb.1127:                             ;   in Loop: Header=BB117_3 Depth=1
	ds_load_2addr_stride64_b32 v[30:31], v73 offset0:1 offset1:2
	ds_load_2addr_stride64_b32 v[32:33], v73 offset0:3 offset1:4
	;; [unrolled: 1-line block ×4, first 2 shown]
	s_mov_b32 s80, exec_lo
	s_wait_dscnt 0x3
	v_add_f32_e32 v26, v26, v30
	s_delay_alu instid0(VALU_DEP_1) | instskip(SKIP_1) | instid1(VALU_DEP_1)
	v_add_f32_e32 v26, v31, v26
	s_wait_dscnt 0x2
	v_add_f32_e32 v26, v32, v26
	s_delay_alu instid0(VALU_DEP_1) | instskip(SKIP_1) | instid1(VALU_DEP_1)
	v_add_f32_e32 v26, v33, v26
	s_wait_dscnt 0x1
	v_add_f32_e32 v30, v88, v26
	ds_load_2addr_stride64_b32 v[26:27], v73 offset0:9 offset1:10
	v_add_f32_e32 v30, v89, v30
	s_wait_dscnt 0x1
	s_delay_alu instid0(VALU_DEP_1)
	v_add_f32_e32 v32, v90, v30
	ds_load_2addr_stride64_b32 v[30:31], v73 offset0:11 offset1:12
	v_add_f32_e32 v87, v91, v32
	ds_load_2addr_stride64_b32 v[32:33], v73 offset0:13 offset1:14
	ds_load_b32 v88, v73 offset:3840
	s_wait_dscnt 0x3
	v_add_f32_e32 v26, v26, v87
	s_delay_alu instid0(VALU_DEP_1) | instskip(SKIP_1) | instid1(VALU_DEP_1)
	v_add_f32_e32 v26, v27, v26
	s_wait_dscnt 0x2
	v_add_f32_e32 v26, v30, v26
	s_delay_alu instid0(VALU_DEP_1) | instskip(SKIP_1) | instid1(VALU_DEP_1)
	v_add_f32_e32 v26, v31, v26
	;; [unrolled: 4-line block ×3, first 2 shown]
	s_wait_dscnt 0x0
	v_add_f32_e32 v27, v88, v26
	s_or_b32 exec_lo, exec_lo, s81
	s_delay_alu instid0(SALU_CYCLE_1)
	s_and_b32 vcc_lo, exec_lo, s40
	s_cbranch_vccnz .LBB117_1129
	s_branch .LBB117_1172
.LBB117_1128:                           ;   in Loop: Header=BB117_3 Depth=1
	s_mov_b32 s80, 0
                                        ; implicit-def: $vgpr27
	s_cbranch_execz .LBB117_1172
.LBB117_1129:                           ;   in Loop: Header=BB117_3 Depth=1
	v_dual_mov_b32 v26, v82 :: v_dual_mov_b32 v27, v81
	s_mov_b32 s40, 63
	s_branch .LBB117_1131
.LBB117_1130:                           ;   in Loop: Header=BB117_1131 Depth=2
	s_or_b32 exec_lo, exec_lo, s42
	v_add_nc_u32_e32 v27, 0xfffffc00, v27
	v_add_nc_u32_e32 v26, 4, v26
	s_add_co_i32 s40, s40, -4
	s_cmp_lg_u32 s41, 0
	s_barrier_signal -1
	s_barrier_wait -1
	s_cbranch_scc0 .LBB117_1147
.LBB117_1131:                           ;   Parent Loop BB117_3 Depth=1
                                        ; =>  This Inner Loop Header: Depth=2
	s_delay_alu instid0(VALU_DEP_1) | instskip(SKIP_1) | instid1(SALU_CYCLE_1)
	v_cmp_eq_u32_e32 vcc_lo, 0, v26
	s_and_b32 s42, s3, vcc_lo
	s_and_saveexec_b32 s41, s42
; %bb.1132:                             ;   in Loop: Header=BB117_1131 Depth=2
	ds_store_b32 v5, v24 offset:20736
; %bb.1133:                             ;   in Loop: Header=BB117_1131 Depth=2
	s_or_b32 exec_lo, exec_lo, s41
	v_cmp_gt_u32_e32 vcc_lo, s40, v6
	s_wait_dscnt 0x0
	s_barrier_signal -1
	s_barrier_wait -1
	s_and_b32 s42, s3, vcc_lo
	s_delay_alu instid0(SALU_CYCLE_1)
	s_and_saveexec_b32 s41, s42
	s_cbranch_execz .LBB117_1135
; %bb.1134:                             ;   in Loop: Header=BB117_1131 Depth=2
	ds_load_b32 v30, v27 offset:768
	ds_load_b32 v31, v5 offset:20736
	s_wait_dscnt 0x0
	v_fmac_f32_e32 v24, v30, v31
.LBB117_1135:                           ;   in Loop: Header=BB117_1131 Depth=2
	s_or_b32 exec_lo, exec_lo, s41
	s_add_co_i32 s41, s40, -1
	s_delay_alu instid0(SALU_CYCLE_1) | instskip(SKIP_3) | instid1(SALU_CYCLE_1)
	v_cmp_eq_u32_e32 vcc_lo, s41, v6
	s_barrier_signal -1
	s_barrier_wait -1
	s_and_b32 s43, s3, vcc_lo
	s_and_saveexec_b32 s42, s43
; %bb.1136:                             ;   in Loop: Header=BB117_1131 Depth=2
	ds_store_b32 v5, v24 offset:20736
; %bb.1137:                             ;   in Loop: Header=BB117_1131 Depth=2
	s_or_b32 exec_lo, exec_lo, s42
	v_cmp_gt_u32_e32 vcc_lo, s41, v6
	s_wait_dscnt 0x0
	s_barrier_signal -1
	s_barrier_wait -1
	s_and_b32 s42, s3, vcc_lo
	s_delay_alu instid0(SALU_CYCLE_1)
	s_and_saveexec_b32 s41, s42
	s_cbranch_execz .LBB117_1139
; %bb.1138:                             ;   in Loop: Header=BB117_1131 Depth=2
	ds_load_b32 v30, v27 offset:512
	ds_load_b32 v31, v5 offset:20736
	s_wait_dscnt 0x0
	v_fmac_f32_e32 v24, v30, v31
.LBB117_1139:                           ;   in Loop: Header=BB117_1131 Depth=2
	s_or_b32 exec_lo, exec_lo, s41
	s_add_co_i32 s41, s40, -2
	s_delay_alu instid0(SALU_CYCLE_1) | instskip(SKIP_3) | instid1(SALU_CYCLE_1)
	v_cmp_eq_u32_e32 vcc_lo, s41, v6
	s_barrier_signal -1
	s_barrier_wait -1
	;; [unrolled: 26-line block ×3, first 2 shown]
	s_and_b32 s43, s3, vcc_lo
	s_and_saveexec_b32 s42, s43
; %bb.1144:                             ;   in Loop: Header=BB117_1131 Depth=2
	ds_store_b32 v5, v24 offset:20736
; %bb.1145:                             ;   in Loop: Header=BB117_1131 Depth=2
	s_or_b32 exec_lo, exec_lo, s42
	v_cmp_gt_u32_e32 vcc_lo, s41, v6
	s_wait_dscnt 0x0
	s_barrier_signal -1
	s_barrier_wait -1
	s_and_b32 s43, s3, vcc_lo
	s_delay_alu instid0(SALU_CYCLE_1)
	s_and_saveexec_b32 s42, s43
	s_cbranch_execz .LBB117_1130
; %bb.1146:                             ;   in Loop: Header=BB117_1131 Depth=2
	ds_load_b32 v30, v27
	ds_load_b32 v31, v5 offset:20736
	s_wait_dscnt 0x0
	v_fmac_f32_e32 v24, v30, v31
	s_branch .LBB117_1130
.LBB117_1147:                           ;   in Loop: Header=BB117_3 Depth=1
	s_and_b32 vcc_lo, exec_lo, s84
	s_mov_b32 s40, -1
	s_cbranch_vccnz .LBB117_1173
; %bb.1148:                             ;   in Loop: Header=BB117_3 Depth=1
	s_and_not1_b32 vcc_lo, exec_lo, s40
	s_cbranch_vccz .LBB117_1174
.LBB117_1149:                           ;   in Loop: Header=BB117_3 Depth=1
	s_and_saveexec_b32 s40, s80
	s_cbranch_execz .LBB117_1151
.LBB117_1150:                           ;   in Loop: Header=BB117_3 Depth=1
	v_lshl_add_u64 v[26:27], v[22:23], 2, v[28:29]
	flat_store_b32 v[26:27], v24
.LBB117_1151:                           ;   in Loop: Header=BB117_3 Depth=1
	s_wait_xcnt 0x0
	s_or_b32 exec_lo, exec_lo, s40
	global_wb scope:SCOPE_DEV
	s_wait_storecnt_dscnt 0x0
	global_inv scope:SCOPE_DEV
	s_wait_loadcnt 0x0
	s_barrier_signal -1
	s_barrier_wait -1
	s_and_saveexec_b32 s40, s55
	s_cbranch_execz .LBB117_2
; %bb.1152:                             ;   in Loop: Header=BB117_3 Depth=1
	s_lshl_b64 s[42:43], s[62:63], 2
	s_delay_alu instid0(SALU_CYCLE_1)
	s_add_nc_u64 s[42:43], s[74:75], s[42:43]
	global_load_b32 v24, v5, s[42:43]
	s_wait_loadcnt 0x0
	v_add_nc_u32_e32 v24, 1, v24
	global_store_b32 v5, v24, s[42:43]
	s_branch .LBB117_2
.LBB117_1153:                           ;   in Loop: Header=BB117_3 Depth=1
	s_mov_b32 s41, exec_lo
	v_readlane_b32 s42, v92, 19
	s_and_b32 s42, s41, s42
	s_delay_alu instid0(SALU_CYCLE_1)
	s_mov_b32 exec_lo, s42
; %bb.1154:                             ;   in Loop: Header=BB117_3 Depth=1
	ds_store_b32 v76, v5
; %bb.1155:                             ;   in Loop: Header=BB117_3 Depth=1
	s_or_b32 exec_lo, exec_lo, s41
	s_and_not1_saveexec_b32 s40, s40
	s_cbranch_execz .LBB117_16
.LBB117_1156:                           ;   in Loop: Header=BB117_3 Depth=1
	v_lshl_add_u64 v[32:33], v[12:13], 2, v[30:31]
	flat_load_b32 v24, v[32:33]
	s_wait_loadcnt_dscnt 0x0
	v_xor_b32_e32 v24, 0x80000000, v24
	ds_store_b32 v76, v24
	s_or_b32 exec_lo, exec_lo, s40
	s_and_saveexec_b32 s40, s8
	s_delay_alu instid0(SALU_CYCLE_1)
	s_xor_b32 s40, exec_lo, s40
	s_cbranch_execz .LBB117_17
.LBB117_1157:                           ;   in Loop: Header=BB117_3 Depth=1
	s_mov_b32 s41, exec_lo
	v_readlane_b32 s42, v92, 20
	s_and_b32 s42, s41, s42
	s_delay_alu instid0(SALU_CYCLE_1)
	s_mov_b32 exec_lo, s42
; %bb.1158:                             ;   in Loop: Header=BB117_3 Depth=1
	ds_store_b32 v77, v5
; %bb.1159:                             ;   in Loop: Header=BB117_3 Depth=1
	s_or_b32 exec_lo, exec_lo, s41
	s_and_not1_saveexec_b32 s40, s40
	s_cbranch_execz .LBB117_18
.LBB117_1160:                           ;   in Loop: Header=BB117_3 Depth=1
	v_lshl_add_u64 v[32:33], v[14:15], 2, v[30:31]
	flat_load_b32 v24, v[32:33]
	s_wait_loadcnt_dscnt 0x0
	v_xor_b32_e32 v24, 0x80000000, v24
	ds_store_b32 v77, v24
	s_or_b32 exec_lo, exec_lo, s40
	s_and_saveexec_b32 s40, s9
	s_delay_alu instid0(SALU_CYCLE_1)
	s_xor_b32 s40, exec_lo, s40
	s_cbranch_execz .LBB117_19
.LBB117_1161:                           ;   in Loop: Header=BB117_3 Depth=1
	s_mov_b32 s41, exec_lo
	v_readlane_b32 s42, v92, 21
	s_and_b32 s42, s41, s42
	s_delay_alu instid0(SALU_CYCLE_1)
	s_mov_b32 exec_lo, s42
; %bb.1162:                             ;   in Loop: Header=BB117_3 Depth=1
	ds_store_b32 v78, v5
; %bb.1163:                             ;   in Loop: Header=BB117_3 Depth=1
	s_or_b32 exec_lo, exec_lo, s41
	s_and_not1_saveexec_b32 s40, s40
	s_cbranch_execz .LBB117_20
.LBB117_1164:                           ;   in Loop: Header=BB117_3 Depth=1
	v_lshl_add_u64 v[32:33], v[16:17], 2, v[30:31]
	flat_load_b32 v24, v[32:33]
	s_wait_loadcnt_dscnt 0x0
	v_xor_b32_e32 v24, 0x80000000, v24
	ds_store_b32 v78, v24
	s_or_b32 exec_lo, exec_lo, s40
	s_and_saveexec_b32 s40, s10
	s_delay_alu instid0(SALU_CYCLE_1)
	s_xor_b32 s40, exec_lo, s40
	s_cbranch_execz .LBB117_21
.LBB117_1165:                           ;   in Loop: Header=BB117_3 Depth=1
	s_mov_b32 s41, exec_lo
	v_readlane_b32 s42, v92, 22
	s_and_b32 s42, s41, s42
	s_delay_alu instid0(SALU_CYCLE_1)
	s_mov_b32 exec_lo, s42
; %bb.1166:                             ;   in Loop: Header=BB117_3 Depth=1
	ds_store_b32 v79, v5
; %bb.1167:                             ;   in Loop: Header=BB117_3 Depth=1
	s_or_b32 exec_lo, exec_lo, s41
	s_and_not1_saveexec_b32 s40, s40
	s_cbranch_execnz .LBB117_22
	s_branch .LBB117_23
.LBB117_1168:                           ;   in Loop: Header=BB117_3 Depth=1
	ds_load_b32 v26, v74
	ds_load_b32 v27, v71
	s_wait_dscnt 0x0
	v_fma_f32 v26, v26, v27, 0
	s_or_b32 exec_lo, exec_lo, s40
	s_and_saveexec_b32 s40, s8
	s_cbranch_execz .LBB117_1123
.LBB117_1169:                           ;   in Loop: Header=BB117_3 Depth=1
	ds_load_b32 v27, v74 offset:4096
	ds_load_b32 v30, v71 offset:64
	s_wait_dscnt 0x0
	v_fmac_f32_e32 v26, v27, v30
	s_or_b32 exec_lo, exec_lo, s40
	s_and_saveexec_b32 s40, s9
	s_cbranch_execz .LBB117_1124
.LBB117_1170:                           ;   in Loop: Header=BB117_3 Depth=1
	ds_load_b32 v27, v74 offset:8192
	ds_load_b32 v30, v71 offset:128
	s_wait_dscnt 0x0
	v_fmac_f32_e32 v26, v27, v30
	s_or_b32 exec_lo, exec_lo, s40
	s_and_saveexec_b32 s40, s10
	s_cbranch_execnz .LBB117_1125
	s_branch .LBB117_1126
.LBB117_1171:                           ;   in Loop: Header=BB117_3 Depth=1
	s_or_b32 exec_lo, exec_lo, s81
	s_delay_alu instid0(SALU_CYCLE_1)
	s_and_b32 vcc_lo, exec_lo, s40
	s_cbranch_vccnz .LBB117_1129
.LBB117_1172:                           ;   in Loop: Header=BB117_3 Depth=1
	v_mov_b32_e32 v24, v27
	s_and_saveexec_b32 s40, s80
	s_cbranch_execnz .LBB117_1150
	s_branch .LBB117_1151
.LBB117_1173:                           ;   in Loop: Header=BB117_3 Depth=1
	s_and_not1_b32 s41, s80, exec_lo
	s_and_b32 s42, s3, exec_lo
	s_delay_alu instid0(SALU_CYCLE_1)
	s_or_b32 s80, s41, s42
	s_cbranch_execnz .LBB117_1149
.LBB117_1174:                           ;   in Loop: Header=BB117_3 Depth=1
	v_readlane_b32 s41, v93, 8
	s_and_not1_b32 s40, s80, exec_lo
	s_and_b32 s41, s41, exec_lo
	s_delay_alu instid0(SALU_CYCLE_1) | instskip(NEXT) | instid1(SALU_CYCLE_1)
	s_or_b32 s80, s40, s41
	s_and_saveexec_b32 s40, s80
	s_cbranch_execnz .LBB117_1150
	s_branch .LBB117_1151
.LBB117_1175:                           ;   in Loop: Header=BB117_3 Depth=1
	ds_load_b32 v30, v49 offset:272
	ds_load_b32 v31, v41 offset:4
	s_wait_dscnt 0x0
	v_fmac_f32_e32 v24, v30, v31
	s_or_b32 exec_lo, exec_lo, s41
	s_and_saveexec_b32 s41, s14
	s_cbranch_execz .LBB117_72
.LBB117_1176:                           ;   in Loop: Header=BB117_3 Depth=1
	ds_load_b32 v30, v48 offset:528
	ds_load_b32 v31, v41 offset:8
	s_wait_dscnt 0x0
	v_fmac_f32_e32 v24, v30, v31
	s_or_b32 exec_lo, exec_lo, s41
	s_and_saveexec_b32 s41, s2
	s_cbranch_execnz .LBB117_73
	s_branch .LBB117_74
.LBB117_1177:                           ;   in Loop: Header=BB117_3 Depth=1
	ds_load_b32 v30, v58 offset:288
	ds_load_b32 v31, v52 offset:4
	s_wait_dscnt 0x0
	v_fmac_f32_e32 v24, v30, v31
	s_or_b32 exec_lo, exec_lo, s41
	s_and_saveexec_b32 s41, s16
	s_cbranch_execz .LBB117_114
.LBB117_1178:                           ;   in Loop: Header=BB117_3 Depth=1
	ds_load_b32 v30, v58 offset:544
	ds_load_b32 v31, v52 offset:8
	s_wait_dscnt 0x0
	v_fmac_f32_e32 v24, v30, v31
	s_or_b32 exec_lo, exec_lo, s41
	s_and_saveexec_b32 s41, s17
	s_cbranch_execz .LBB117_115
.LBB117_1179:                           ;   in Loop: Header=BB117_3 Depth=1
	ds_load_b32 v30, v58 offset:800
	ds_load_b32 v31, v52 offset:12
	s_wait_dscnt 0x0
	v_fmac_f32_e32 v24, v30, v31
	s_or_b32 exec_lo, exec_lo, s41
	s_and_saveexec_b32 s41, s18
	s_cbranch_execz .LBB117_116
.LBB117_1180:                           ;   in Loop: Header=BB117_3 Depth=1
	ds_load_b32 v30, v55 offset:1056
	ds_load_b32 v31, v52 offset:16
	s_wait_dscnt 0x0
	v_fmac_f32_e32 v24, v30, v31
	s_or_b32 exec_lo, exec_lo, s41
	s_and_saveexec_b32 s41, s19
	s_cbranch_execz .LBB117_117
.LBB117_1181:                           ;   in Loop: Header=BB117_3 Depth=1
	ds_load_b32 v30, v58 offset:1312
	ds_load_b32 v31, v52 offset:20
	s_wait_dscnt 0x0
	v_fmac_f32_e32 v24, v30, v31
	s_or_b32 exec_lo, exec_lo, s41
	s_and_saveexec_b32 s41, s4
	s_cbranch_execz .LBB117_118
.LBB117_1182:                           ;   in Loop: Header=BB117_3 Depth=1
	ds_load_b32 v30, v55 offset:1568
	ds_load_b32 v31, v52 offset:24
	s_wait_dscnt 0x0
	v_fmac_f32_e32 v24, v30, v31
	s_or_b32 exec_lo, exec_lo, s41
	s_and_saveexec_b32 s41, s14
	s_cbranch_execnz .LBB117_119
	s_branch .LBB117_120
.LBB117_1183:                           ;   in Loop: Header=BB117_3 Depth=1
	ds_load_b32 v30, v49 offset:2352
	ds_load_b32 v31, v41 offset:2084
	s_wait_dscnt 0x0
	v_fmac_f32_e32 v24, v30, v31
	s_or_b32 exec_lo, exec_lo, s41
	s_and_saveexec_b32 s41, s14
	s_cbranch_execz .LBB117_176
.LBB117_1184:                           ;   in Loop: Header=BB117_3 Depth=1
	ds_load_b32 v30, v48 offset:2608
	ds_load_b32 v31, v41 offset:2088
	s_wait_dscnt 0x0
	v_fmac_f32_e32 v24, v30, v31
	s_or_b32 exec_lo, exec_lo, s41
	s_and_saveexec_b32 s41, s2
	s_cbranch_execnz .LBB117_177
	s_branch .LBB117_178
.LBB117_1185:                           ;   in Loop: Header=BB117_3 Depth=1
	ds_load_b32 v30, v66 offset:2880
	ds_load_b32 v31, v57 offset:44
	s_wait_dscnt 0x0
	v_fmac_f32_e32 v24, v30, v31
	s_or_b32 exec_lo, exec_lo, s41
	s_and_saveexec_b32 s41, s5
	s_cbranch_execz .LBB117_238
.LBB117_1186:                           ;   in Loop: Header=BB117_3 Depth=1
	ds_load_b32 v30, v65 offset:3136
	ds_load_b32 v31, v57 offset:48
	s_wait_dscnt 0x0
	v_fmac_f32_e32 v24, v30, v31
	s_or_b32 exec_lo, exec_lo, s41
	s_and_saveexec_b32 s41, s16
	s_cbranch_execz .LBB117_239
.LBB117_1187:                           ;   in Loop: Header=BB117_3 Depth=1
	ds_load_b32 v30, v66 offset:3392
	ds_load_b32 v31, v57 offset:52
	s_wait_dscnt 0x0
	v_fmac_f32_e32 v24, v30, v31
	s_or_b32 exec_lo, exec_lo, s41
	s_and_saveexec_b32 s41, s18
	s_cbranch_execz .LBB117_240
.LBB117_1188:                           ;   in Loop: Header=BB117_3 Depth=1
	ds_load_b32 v30, v65 offset:3648
	ds_load_b32 v31, v57 offset:56
	s_wait_dscnt 0x0
	v_fmac_f32_e32 v24, v30, v31
	s_or_b32 exec_lo, exec_lo, s41
	s_and_saveexec_b32 s41, s4
	s_cbranch_execnz .LBB117_241
	s_branch .LBB117_242
.LBB117_1189:                           ;   in Loop: Header=BB117_3 Depth=1
	ds_load_b32 v30, v49 offset:4432
	ds_load_b32 v31, v41 offset:4164
	s_wait_dscnt 0x0
	v_fmac_f32_e32 v24, v30, v31
	s_or_b32 exec_lo, exec_lo, s41
	s_and_saveexec_b32 s41, s14
	s_cbranch_execz .LBB117_330
.LBB117_1190:                           ;   in Loop: Header=BB117_3 Depth=1
	ds_load_b32 v30, v48 offset:4688
	ds_load_b32 v31, v41 offset:4168
	s_wait_dscnt 0x0
	v_fmac_f32_e32 v24, v30, v31
	s_or_b32 exec_lo, exec_lo, s41
	s_and_saveexec_b32 s41, s2
	s_cbranch_execnz .LBB117_331
	s_branch .LBB117_332
.LBB117_1191:                           ;   in Loop: Header=BB117_3 Depth=1
	ds_load_b32 v30, v58 offset:4448
	ds_load_b32 v31, v52 offset:4164
	s_wait_dscnt 0x0
	v_fmac_f32_e32 v24, v30, v31
	s_or_b32 exec_lo, exec_lo, s41
	s_and_saveexec_b32 s41, s16
	s_cbranch_execz .LBB117_372
.LBB117_1192:                           ;   in Loop: Header=BB117_3 Depth=1
	ds_load_b32 v30, v58 offset:4704
	ds_load_b32 v31, v52 offset:4168
	s_wait_dscnt 0x0
	v_fmac_f32_e32 v24, v30, v31
	s_or_b32 exec_lo, exec_lo, s41
	s_and_saveexec_b32 s41, s17
	s_cbranch_execz .LBB117_373
.LBB117_1193:                           ;   in Loop: Header=BB117_3 Depth=1
	ds_load_b32 v30, v58 offset:4960
	ds_load_b32 v31, v52 offset:4172
	s_wait_dscnt 0x0
	v_fmac_f32_e32 v24, v30, v31
	s_or_b32 exec_lo, exec_lo, s41
	s_and_saveexec_b32 s41, s18
	s_cbranch_execz .LBB117_374
.LBB117_1194:                           ;   in Loop: Header=BB117_3 Depth=1
	ds_load_b32 v30, v55 offset:5216
	ds_load_b32 v31, v52 offset:4176
	s_wait_dscnt 0x0
	v_fmac_f32_e32 v24, v30, v31
	s_or_b32 exec_lo, exec_lo, s41
	s_and_saveexec_b32 s41, s19
	s_cbranch_execz .LBB117_375
.LBB117_1195:                           ;   in Loop: Header=BB117_3 Depth=1
	ds_load_b32 v30, v58 offset:5472
	ds_load_b32 v31, v52 offset:4180
	s_wait_dscnt 0x0
	v_fmac_f32_e32 v24, v30, v31
	s_or_b32 exec_lo, exec_lo, s41
	s_and_saveexec_b32 s41, s4
	s_cbranch_execz .LBB117_376
.LBB117_1196:                           ;   in Loop: Header=BB117_3 Depth=1
	ds_load_b32 v30, v55 offset:5728
	ds_load_b32 v31, v52 offset:4184
	s_wait_dscnt 0x0
	v_fmac_f32_e32 v24, v30, v31
	s_or_b32 exec_lo, exec_lo, s41
	s_and_saveexec_b32 s41, s14
	s_cbranch_execnz .LBB117_377
	s_branch .LBB117_378
.LBB117_1197:                           ;   in Loop: Header=BB117_3 Depth=1
	ds_load_b32 v30, v49 offset:6512
	ds_load_b32 v31, v41 offset:6244
	s_wait_dscnt 0x0
	v_fmac_f32_e32 v24, v30, v31
	s_or_b32 exec_lo, exec_lo, s41
	s_and_saveexec_b32 s41, s14
	s_cbranch_execz .LBB117_434
.LBB117_1198:                           ;   in Loop: Header=BB117_3 Depth=1
	ds_load_b32 v30, v48 offset:6768
	ds_load_b32 v31, v41 offset:6248
	s_wait_dscnt 0x0
	v_fmac_f32_e32 v24, v30, v31
	s_or_b32 exec_lo, exec_lo, s41
	s_and_saveexec_b32 s41, s2
	s_cbranch_execnz .LBB117_435
	s_branch .LBB117_436
.LBB117_1199:                           ;   in Loop: Header=BB117_3 Depth=1
	ds_load_b32 v31, v68 offset:7552
	ds_load_b32 v32, v30 offset:116
	s_wait_dscnt 0x0
	v_fmac_f32_e32 v24, v31, v32
	s_or_b32 exec_lo, exec_lo, s40
	s_and_saveexec_b32 s40, s5
	s_cbranch_execz .LBB117_532
.LBB117_1200:                           ;   in Loop: Header=BB117_3 Depth=1
	ds_load_b32 v31, v68 offset:7808
	ds_load_b32 v30, v30 offset:120
	s_wait_dscnt 0x0
	v_fmac_f32_e32 v24, v31, v30
	s_or_b32 exec_lo, exec_lo, s40
	s_and_saveexec_b32 s40, s18
	s_cbranch_execnz .LBB117_533
	s_branch .LBB117_534
.LBB117_1201:                           ;   in Loop: Header=BB117_3 Depth=1
	ds_load_b32 v30, v49 offset:8592
	ds_load_b32 v31, v41 offset:8324
	s_wait_dscnt 0x0
	v_fmac_f32_e32 v24, v30, v31
	s_or_b32 exec_lo, exec_lo, s41
	s_and_saveexec_b32 s41, s14
	s_cbranch_execz .LBB117_686
.LBB117_1202:                           ;   in Loop: Header=BB117_3 Depth=1
	ds_load_b32 v30, v48 offset:8848
	ds_load_b32 v31, v41 offset:8328
	s_wait_dscnt 0x0
	v_fmac_f32_e32 v24, v30, v31
	s_or_b32 exec_lo, exec_lo, s41
	s_and_saveexec_b32 s41, s2
	s_cbranch_execnz .LBB117_687
	s_branch .LBB117_688
.LBB117_1203:                           ;   in Loop: Header=BB117_3 Depth=1
	ds_load_b32 v30, v58 offset:8608
	ds_load_b32 v31, v52 offset:8324
	s_wait_dscnt 0x0
	v_fmac_f32_e32 v24, v30, v31
	s_or_b32 exec_lo, exec_lo, s41
	s_and_saveexec_b32 s41, s16
	s_cbranch_execz .LBB117_728
.LBB117_1204:                           ;   in Loop: Header=BB117_3 Depth=1
	ds_load_b32 v30, v58 offset:8864
	ds_load_b32 v31, v52 offset:8328
	s_wait_dscnt 0x0
	v_fmac_f32_e32 v24, v30, v31
	s_or_b32 exec_lo, exec_lo, s41
	s_and_saveexec_b32 s41, s17
	s_cbranch_execz .LBB117_729
.LBB117_1205:                           ;   in Loop: Header=BB117_3 Depth=1
	ds_load_b32 v30, v58 offset:9120
	ds_load_b32 v31, v52 offset:8332
	s_wait_dscnt 0x0
	v_fmac_f32_e32 v24, v30, v31
	s_or_b32 exec_lo, exec_lo, s41
	s_and_saveexec_b32 s41, s18
	s_cbranch_execz .LBB117_730
.LBB117_1206:                           ;   in Loop: Header=BB117_3 Depth=1
	ds_load_b32 v30, v55 offset:9376
	ds_load_b32 v31, v52 offset:8336
	s_wait_dscnt 0x0
	v_fmac_f32_e32 v24, v30, v31
	s_or_b32 exec_lo, exec_lo, s41
	s_and_saveexec_b32 s41, s19
	s_cbranch_execz .LBB117_731
.LBB117_1207:                           ;   in Loop: Header=BB117_3 Depth=1
	ds_load_b32 v30, v58 offset:9632
	ds_load_b32 v31, v52 offset:8340
	s_wait_dscnt 0x0
	v_fmac_f32_e32 v24, v30, v31
	s_or_b32 exec_lo, exec_lo, s41
	s_and_saveexec_b32 s41, s4
	s_cbranch_execz .LBB117_732
.LBB117_1208:                           ;   in Loop: Header=BB117_3 Depth=1
	ds_load_b32 v30, v55 offset:9888
	ds_load_b32 v31, v52 offset:8344
	s_wait_dscnt 0x0
	v_fmac_f32_e32 v24, v30, v31
	s_or_b32 exec_lo, exec_lo, s41
	s_and_saveexec_b32 s41, s14
	s_cbranch_execnz .LBB117_733
	s_branch .LBB117_734
.LBB117_1209:                           ;   in Loop: Header=BB117_3 Depth=1
	ds_load_b32 v30, v49 offset:10672
	ds_load_b32 v31, v41 offset:10404
	s_wait_dscnt 0x0
	v_fmac_f32_e32 v24, v30, v31
	s_or_b32 exec_lo, exec_lo, s41
	s_and_saveexec_b32 s41, s14
	s_cbranch_execz .LBB117_790
.LBB117_1210:                           ;   in Loop: Header=BB117_3 Depth=1
	ds_load_b32 v30, v48 offset:10928
	ds_load_b32 v31, v41 offset:10408
	s_wait_dscnt 0x0
	v_fmac_f32_e32 v24, v30, v31
	s_or_b32 exec_lo, exec_lo, s41
	s_and_saveexec_b32 s41, s2
	s_cbranch_execnz .LBB117_791
	s_branch .LBB117_792
.LBB117_1211:                           ;   in Loop: Header=BB117_3 Depth=1
	ds_load_b32 v30, v66 offset:11200
	ds_load_b32 v31, v57 offset:8364
	s_wait_dscnt 0x0
	v_fmac_f32_e32 v24, v30, v31
	s_or_b32 exec_lo, exec_lo, s41
	s_and_saveexec_b32 s41, s5
	s_cbranch_execz .LBB117_852
.LBB117_1212:                           ;   in Loop: Header=BB117_3 Depth=1
	ds_load_b32 v30, v65 offset:11456
	ds_load_b32 v31, v57 offset:8368
	s_wait_dscnt 0x0
	v_fmac_f32_e32 v24, v30, v31
	s_or_b32 exec_lo, exec_lo, s41
	s_and_saveexec_b32 s41, s16
	s_cbranch_execz .LBB117_853
.LBB117_1213:                           ;   in Loop: Header=BB117_3 Depth=1
	ds_load_b32 v30, v66 offset:11712
	ds_load_b32 v31, v57 offset:8372
	s_wait_dscnt 0x0
	v_fmac_f32_e32 v24, v30, v31
	s_or_b32 exec_lo, exec_lo, s41
	s_and_saveexec_b32 s41, s18
	s_cbranch_execz .LBB117_854
.LBB117_1214:                           ;   in Loop: Header=BB117_3 Depth=1
	ds_load_b32 v30, v65 offset:11968
	ds_load_b32 v31, v57 offset:8376
	s_wait_dscnt 0x0
	v_fmac_f32_e32 v24, v30, v31
	s_or_b32 exec_lo, exec_lo, s41
	s_and_saveexec_b32 s41, s4
	s_cbranch_execnz .LBB117_855
	s_branch .LBB117_856
.LBB117_1215:                           ;   in Loop: Header=BB117_3 Depth=1
	ds_load_b32 v30, v49 offset:12752
	ds_load_b32 v31, v41 offset:12484
	s_wait_dscnt 0x0
	v_fmac_f32_e32 v24, v30, v31
	s_or_b32 exec_lo, exec_lo, s41
	s_and_saveexec_b32 s41, s14
	s_cbranch_execz .LBB117_944
.LBB117_1216:                           ;   in Loop: Header=BB117_3 Depth=1
	ds_load_b32 v30, v48 offset:13008
	ds_load_b32 v31, v41 offset:12488
	s_wait_dscnt 0x0
	v_fmac_f32_e32 v24, v30, v31
	s_or_b32 exec_lo, exec_lo, s41
	s_and_saveexec_b32 s41, s2
	s_cbranch_execnz .LBB117_945
	s_branch .LBB117_946
.LBB117_1217:                           ;   in Loop: Header=BB117_3 Depth=1
	ds_load_b32 v30, v58 offset:12768
	ds_load_b32 v31, v52 offset:12484
	s_wait_dscnt 0x0
	v_fmac_f32_e32 v24, v30, v31
	s_or_b32 exec_lo, exec_lo, s41
	s_and_saveexec_b32 s41, s16
	s_cbranch_execz .LBB117_986
.LBB117_1218:                           ;   in Loop: Header=BB117_3 Depth=1
	ds_load_b32 v30, v58 offset:13024
	ds_load_b32 v31, v52 offset:12488
	s_wait_dscnt 0x0
	v_fmac_f32_e32 v24, v30, v31
	s_or_b32 exec_lo, exec_lo, s41
	s_and_saveexec_b32 s41, s17
	s_cbranch_execz .LBB117_987
.LBB117_1219:                           ;   in Loop: Header=BB117_3 Depth=1
	ds_load_b32 v30, v58 offset:13280
	ds_load_b32 v31, v52 offset:12492
	s_wait_dscnt 0x0
	v_fmac_f32_e32 v24, v30, v31
	s_or_b32 exec_lo, exec_lo, s41
	s_and_saveexec_b32 s41, s18
	s_cbranch_execz .LBB117_988
.LBB117_1220:                           ;   in Loop: Header=BB117_3 Depth=1
	ds_load_b32 v30, v55 offset:13536
	ds_load_b32 v31, v52 offset:12496
	s_wait_dscnt 0x0
	v_fmac_f32_e32 v24, v30, v31
	s_or_b32 exec_lo, exec_lo, s41
	s_and_saveexec_b32 s41, s19
	s_cbranch_execz .LBB117_989
.LBB117_1221:                           ;   in Loop: Header=BB117_3 Depth=1
	ds_load_b32 v30, v58 offset:13792
	ds_load_b32 v31, v52 offset:12500
	s_wait_dscnt 0x0
	v_fmac_f32_e32 v24, v30, v31
	s_or_b32 exec_lo, exec_lo, s41
	s_and_saveexec_b32 s41, s4
	s_cbranch_execz .LBB117_990
.LBB117_1222:                           ;   in Loop: Header=BB117_3 Depth=1
	ds_load_b32 v30, v55 offset:14048
	ds_load_b32 v31, v52 offset:12504
	s_wait_dscnt 0x0
	v_fmac_f32_e32 v24, v30, v31
	s_or_b32 exec_lo, exec_lo, s41
	s_and_saveexec_b32 s41, s14
	s_cbranch_execnz .LBB117_991
	s_branch .LBB117_992
.LBB117_1223:                           ;   in Loop: Header=BB117_3 Depth=1
	ds_load_b32 v30, v49 offset:14832
	ds_load_b32 v31, v41 offset:14564
	s_wait_dscnt 0x0
	v_fmac_f32_e32 v24, v30, v31
	s_or_b32 exec_lo, exec_lo, s41
	s_and_saveexec_b32 s41, s14
	s_cbranch_execz .LBB117_1048
.LBB117_1224:                           ;   in Loop: Header=BB117_3 Depth=1
	ds_load_b32 v30, v48 offset:15088
	ds_load_b32 v31, v41 offset:14568
	s_wait_dscnt 0x0
	v_fmac_f32_e32 v24, v30, v31
	s_or_b32 exec_lo, exec_lo, s41
	s_and_saveexec_b32 s41, s2
	s_cbranch_execnz .LBB117_1049
	s_branch .LBB117_1050
.LBB117_1225:
	s_endpgm
	.section	.rodata,"a",@progbits
	.p2align	6, 0x0
	.amdhsa_kernel _ZL19rocblas_trsv_deviceILi64ELi16ELb1ELb1ELb1ELb1EffPKPKfPKPfEviT7_lllT6_T8_lllPii
		.amdhsa_group_segment_fixed_size 20740
		.amdhsa_private_segment_fixed_size 0
		.amdhsa_kernarg_size 352
		.amdhsa_user_sgpr_count 2
		.amdhsa_user_sgpr_dispatch_ptr 0
		.amdhsa_user_sgpr_queue_ptr 0
		.amdhsa_user_sgpr_kernarg_segment_ptr 1
		.amdhsa_user_sgpr_dispatch_id 0
		.amdhsa_user_sgpr_kernarg_preload_length 0
		.amdhsa_user_sgpr_kernarg_preload_offset 0
		.amdhsa_user_sgpr_private_segment_size 0
		.amdhsa_wavefront_size32 1
		.amdhsa_uses_dynamic_stack 0
		.amdhsa_enable_private_segment 0
		.amdhsa_system_sgpr_workgroup_id_x 1
		.amdhsa_system_sgpr_workgroup_id_y 0
		.amdhsa_system_sgpr_workgroup_id_z 1
		.amdhsa_system_sgpr_workgroup_info 0
		.amdhsa_system_vgpr_workitem_id 1
		.amdhsa_next_free_vgpr 96
		.amdhsa_next_free_sgpr 105
		.amdhsa_named_barrier_count 0
		.amdhsa_reserve_vcc 1
		.amdhsa_float_round_mode_32 0
		.amdhsa_float_round_mode_16_64 0
		.amdhsa_float_denorm_mode_32 3
		.amdhsa_float_denorm_mode_16_64 3
		.amdhsa_fp16_overflow 0
		.amdhsa_memory_ordered 1
		.amdhsa_forward_progress 1
		.amdhsa_inst_pref_size 255
		.amdhsa_round_robin_scheduling 0
		.amdhsa_exception_fp_ieee_invalid_op 0
		.amdhsa_exception_fp_denorm_src 0
		.amdhsa_exception_fp_ieee_div_zero 0
		.amdhsa_exception_fp_ieee_overflow 0
		.amdhsa_exception_fp_ieee_underflow 0
		.amdhsa_exception_fp_ieee_inexact 0
		.amdhsa_exception_int_div_zero 0
	.end_amdhsa_kernel
	.section	.text._ZL19rocblas_trsv_deviceILi64ELi16ELb1ELb1ELb1ELb1EffPKPKfPKPfEviT7_lllT6_T8_lllPii,"axG",@progbits,_ZL19rocblas_trsv_deviceILi64ELi16ELb1ELb1ELb1ELb1EffPKPKfPKPfEviT7_lllT6_T8_lllPii,comdat
.Lfunc_end117:
	.size	_ZL19rocblas_trsv_deviceILi64ELi16ELb1ELb1ELb1ELb1EffPKPKfPKPfEviT7_lllT6_T8_lllPii, .Lfunc_end117-_ZL19rocblas_trsv_deviceILi64ELi16ELb1ELb1ELb1ELb1EffPKPKfPKPfEviT7_lllT6_T8_lllPii
                                        ; -- End function
	.set _ZL19rocblas_trsv_deviceILi64ELi16ELb1ELb1ELb1ELb1EffPKPKfPKPfEviT7_lllT6_T8_lllPii.num_vgpr, 96
	.set _ZL19rocblas_trsv_deviceILi64ELi16ELb1ELb1ELb1ELb1EffPKPKfPKPfEviT7_lllT6_T8_lllPii.num_agpr, 0
	.set _ZL19rocblas_trsv_deviceILi64ELi16ELb1ELb1ELb1ELb1EffPKPKfPKPfEviT7_lllT6_T8_lllPii.numbered_sgpr, 105
	.set _ZL19rocblas_trsv_deviceILi64ELi16ELb1ELb1ELb1ELb1EffPKPKfPKPfEviT7_lllT6_T8_lllPii.num_named_barrier, 0
	.set _ZL19rocblas_trsv_deviceILi64ELi16ELb1ELb1ELb1ELb1EffPKPKfPKPfEviT7_lllT6_T8_lllPii.private_seg_size, 0
	.set _ZL19rocblas_trsv_deviceILi64ELi16ELb1ELb1ELb1ELb1EffPKPKfPKPfEviT7_lllT6_T8_lllPii.uses_vcc, 1
	.set _ZL19rocblas_trsv_deviceILi64ELi16ELb1ELb1ELb1ELb1EffPKPKfPKPfEviT7_lllT6_T8_lllPii.uses_flat_scratch, 0
	.set _ZL19rocblas_trsv_deviceILi64ELi16ELb1ELb1ELb1ELb1EffPKPKfPKPfEviT7_lllT6_T8_lllPii.has_dyn_sized_stack, 0
	.set _ZL19rocblas_trsv_deviceILi64ELi16ELb1ELb1ELb1ELb1EffPKPKfPKPfEviT7_lllT6_T8_lllPii.has_recursion, 0
	.set _ZL19rocblas_trsv_deviceILi64ELi16ELb1ELb1ELb1ELb1EffPKPKfPKPfEviT7_lllT6_T8_lllPii.has_indirect_call, 0
	.section	.AMDGPU.csdata,"",@progbits
; Kernel info:
; codeLenInByte = 34580
; TotalNumSgprs: 107
; NumVgprs: 96
; ScratchSize: 0
; MemoryBound: 0
; FloatMode: 240
; IeeeMode: 1
; LDSByteSize: 20740 bytes/workgroup (compile time only)
; SGPRBlocks: 0
; VGPRBlocks: 5
; NumSGPRsForWavesPerEU: 107
; NumVGPRsForWavesPerEU: 96
; NamedBarCnt: 0
; Occupancy: 10
; WaveLimiterHint : 1
; COMPUTE_PGM_RSRC2:SCRATCH_EN: 0
; COMPUTE_PGM_RSRC2:USER_SGPR: 2
; COMPUTE_PGM_RSRC2:TRAP_HANDLER: 0
; COMPUTE_PGM_RSRC2:TGID_X_EN: 1
; COMPUTE_PGM_RSRC2:TGID_Y_EN: 0
; COMPUTE_PGM_RSRC2:TGID_Z_EN: 1
; COMPUTE_PGM_RSRC2:TIDIG_COMP_CNT: 1
	.section	.text._ZL19rocblas_trsv_deviceILi64ELi16ELb1ELb0ELb0ELb0EffPKPKfPKPfEviT7_lllT6_T8_lllPii,"axG",@progbits,_ZL19rocblas_trsv_deviceILi64ELi16ELb1ELb0ELb0ELb0EffPKPKfPKPfEviT7_lllT6_T8_lllPii,comdat
	.globl	_ZL19rocblas_trsv_deviceILi64ELi16ELb1ELb0ELb0ELb0EffPKPKfPKPfEviT7_lllT6_T8_lllPii ; -- Begin function _ZL19rocblas_trsv_deviceILi64ELi16ELb1ELb0ELb0ELb0EffPKPKfPKPfEviT7_lllT6_T8_lllPii
	.p2align	8
	.type	_ZL19rocblas_trsv_deviceILi64ELi16ELb1ELb0ELb0ELb0EffPKPKfPKPfEviT7_lllT6_T8_lllPii,@function
_ZL19rocblas_trsv_deviceILi64ELi16ELb1ELb0ELb0ELb0EffPKPKfPKPfEviT7_lllT6_T8_lllPii: ; @_ZL19rocblas_trsv_deviceILi64ELi16ELb1ELb0ELb0ELb0EffPKPKfPKPfEviT7_lllT6_T8_lllPii
; %bb.0:
	s_load_b32 s6, s[0:1], 0x58
	s_bfe_u32 s2, ttmp6, 0x40014
	s_lshr_b32 s3, ttmp7, 16
	s_add_co_i32 s2, s2, 1
	s_bfe_u32 s5, ttmp6, 0x40008
	s_mul_i32 s4, s3, s2
	s_getreg_b32 s2, hwreg(HW_REG_IB_STS2, 6, 4)
	s_add_co_i32 s5, s5, s4
	s_cmp_eq_u32 s2, 0
	s_mov_b32 s71, 0
	s_cselect_b32 s70, s3, s5
                                        ; implicit-def: $vgpr77 : SGPR spill to VGPR lane
	s_wait_kmcnt 0x0
	s_cmp_ge_u32 s70, s6
	v_writelane_b32 v77, s6, 0
	s_cbranch_scc1 .LBB118_1195
; %bb.1:
	s_clause 0x2
	s_load_b32 s3, s[0:1], 0x6c
	s_load_b32 s95, s[0:1], 0x0
	s_load_b64 s[80:81], s[0:1], 0x18
	s_bfe_u32 s5, ttmp6, 0x4000c
	s_and_b32 s4, ttmp6, 15
	s_add_co_i32 s5, s5, 1
	s_load_b128 s[72:75], s[0:1], 0x8
	s_mul_i32 s5, ttmp9, s5
	v_bfe_u32 v30, v0, 10, 10
	s_add_co_i32 s4, s4, s5
	s_cmp_eq_u32 s2, 0
	v_mov_b32_e32 v1, 0
	s_cselect_b32 s96, ttmp9, s4
	v_and_b32_e32 v2, 0x3ff, v0
	v_lshlrev_b32_e32 v10, 6, v30
	v_sub_co_u32 v31, s7, s96, 1
	v_dual_mov_b32 v5, v1 :: v_dual_mov_b32 v3, v1
                                        ; implicit-def: $vgpr76 : SGPR spill to VGPR lane
	s_clause 0x1
	s_load_b64 s[84:85], s[0:1], 0x40
	s_load_b128 s[76:79], s[0:1], 0x30
	s_wait_kmcnt 0x0
	s_and_b32 s4, s3, 0xffff
	s_add_co_i32 s2, s95, -1
	s_ashr_i32 s3, s95, 31
	s_ashr_i32 s5, s2, 31
	s_lshr_b32 s3, s3, 26
	s_lshr_b32 s5, s5, 26
	s_add_co_i32 s3, s95, s3
	s_add_co_i32 s2, s2, s5
	s_and_not1_b32 s3, s3, 63
	s_ashr_i32 s2, s2, 6
	s_sub_co_i32 s15, s95, s3
	s_cmp_eq_u32 s2, s96
	s_load_b32 s2, s[0:1], 0x28
	s_cselect_b32 s5, -1, 0
	s_cmp_lg_u32 s15, 0
                                        ; implicit-def: $vgpr75 : SGPR spill to VGPR lane
	s_load_b64 s[82:83], s[0:1], 0x50
	s_cselect_b32 s6, -1, 0
	s_lshl_b32 s12, s96, 6
	s_delay_alu instid0(SALU_CYCLE_1) | instskip(SKIP_3) | instid1(VALU_DEP_2)
	v_dual_add_nc_u32 v6, s12, v2 :: v_dual_bitop2_b32 v4, v10, v2 bitop3:0x14
	v_add_nc_u32_e32 v18, s12, v30
	s_and_b32 s16, s6, s5
	s_ashr_i32 s13, s12, 31
	v_lshrrev_b16 v12, 1, v4
	v_ashrrev_i32_e32 v7, 31, v6
	v_mad_u32_u24 v4, v30, s4, v2
	s_xor_b32 s4, s7, -1
	s_xor_b32 s99, s16, -1
	s_cmp_gt_i32 s96, 4
	s_wait_xcnt 0x0
	v_cmp_gt_i32_e64 s0, s15, v2
	v_add_nc_u64_e32 v[14:15], s[12:13], v[4:5]
	v_dual_add_nc_u32 v26, 16, v30 :: v_dual_add_nc_u32 v27, 32, v30
	s_wait_kmcnt 0x0
	v_writelane_b32 v77, s2, 1
	s_add_nc_u64 s[2:3], s[80:81], 1
	v_add_nc_u32_e32 v28, 48, v30
	v_mad_nc_u64_u32 v[22:23], s2, s12, v[2:3]
	v_lshrrev_b32_e32 v3, 10, v0
	v_subrev_nc_u32_e32 v16, 64, v18
	v_and_b32_e32 v11, v10, v2
	s_mul_i32 s3, s3, s12
	s_mul_i32 s2, s2, s13
	v_bitop3_b32 v24, v0, v3, 0x3ff bitop3:0xa8
	v_ashrrev_i32_e32 v17, 31, v16
	v_add_nc_u16 v11, v11, v12
	v_dual_add_nc_u32 v25, v10, v2 :: v_dual_bitop2_b32 v12, 1, v0 bitop3:0x40
	v_add3_u32 v23, s2, s3, v23
	s_cselect_b32 s2, -1, 0
	s_delay_alu instid0(VALU_DEP_3) | instskip(NEXT) | instid1(VALU_DEP_3)
	v_and_b32_e32 v10, 0xffff, v11
	v_lshlrev_b32_e32 v11, 2, v12
	v_cmp_eq_u32_e32 vcc_lo, 1, v12
	v_and_b32_e32 v12, 0x1fffc, v25
	s_and_b32 s100, s2, s99
	v_lshl_add_u32 v3, v10, 2, 0x4000
	v_lshl_or_b32 v32, v10, 8, v11
	v_mul_u32_u24_e32 v33, 0x104, v10
	v_dual_lshrrev_b32 v10, 2, v25 :: v_dual_bitop2_b32 v11, 3, v0 bitop3:0x40
	v_lshlrev_b32_e32 v34, 2, v2
	v_cmp_gt_u32_e64 s2, 4, v25
	v_add_nc_u32_e32 v37, 0x4000, v12
	s_delay_alu instid0(VALU_DEP_4)
	v_mul_u32_u24_e32 v35, 0x104, v10
	v_lshlrev_b32_e32 v36, 2, v11
	s_xor_b32 s3, vcc_lo, -1
	v_writelane_b32 v77, s4, 2
	s_and_b32 s101, s3, s2
	v_sub_nc_u32_e32 v12, v35, v12
	v_lshl_or_b32 v38, v10, 8, v36
	v_lshrrev_b32_e32 v10, 3, v25
	s_and_b32 s102, vcc_lo, s2
	v_cmp_gt_u32_e64 s3, 16, v25
	v_cmp_eq_u32_e32 vcc_lo, 0, v11
	v_cmp_ne_u32_e64 s4, 0, v11
	v_dual_add_nc_u32 v39, v12, v36 :: v_dual_lshlrev_b32 v12, 2, v10
	v_mul_u32_u24_e32 v40, 0x104, v10
	v_cmp_eq_u32_e64 s5, 1, v11
	v_cmp_lt_u32_e64 s6, 1, v11
	s_and_b32 s103, vcc_lo, s3
	s_and_b32 s104, s4, s3
	v_cmp_eq_u32_e32 vcc_lo, 2, v11
	v_cmp_eq_u32_e64 s4, 3, v11
	v_sub_nc_u32_e32 v13, v40, v12
	v_and_b32_e32 v11, 7, v0
	s_and_b32 vcc_hi, s5, s3
	s_and_b32 s37, vcc_lo, s3
	s_and_b32 s38, s4, s3
	v_cmp_gt_u32_e64 s4, 64, v25
	v_lshlrev_b32_e32 v41, 2, v11
	v_add_nc_u32_e32 v42, 0x4000, v12
	s_and_b32 s36, s6, s3
	v_cmp_gt_i32_e64 s1, s95, v16
	v_subrev_nc_u32_e32 v20, 32, v18
	v_lshl_or_b32 v43, v10, 8, v41
	v_lshrrev_b32_e32 v10, 4, v25
                                        ; implicit-def: $vgpr74 : SGPR spill to VGPR lane
	v_mul_u64_e32 v[8:9], s[80:81], v[16:17]
	v_mul_u64_e32 v[14:15], s[84:85], v[14:15]
	v_mad_nc_u64_u32 v[16:17], s80, v30, v[22:23]
	v_or_b32_e32 v29, v27, v2
	v_dual_lshlrev_b32 v12, 2, v10 :: v_dual_add_nc_u32 v44, v13, v41
	v_cmp_eq_u32_e32 vcc_lo, 0, v11
	v_cmp_ne_u32_e64 s5, 0, v11
	v_cmp_eq_u32_e64 s6, 2, v11
	v_cmp_lt_u32_e64 s7, 2, v11
	v_mul_u32_u24_e32 v45, 0x104, v10
	s_and_b32 s39, vcc_lo, s4
	v_cmp_eq_u32_e32 vcc_lo, 1, v11
	s_and_b32 s40, s5, s4
	v_cmp_lt_u32_e64 s5, 1, v11
	s_and_b32 s43, s6, s4
	s_and_b32 s44, s7, s4
	s_and_b32 s41, vcc_lo, s4
	v_cmp_eq_u32_e32 vcc_lo, 3, v11
	s_and_b32 s42, s5, s4
	v_cmp_lt_u32_e64 s5, 3, v11
	v_cmp_lt_u32_e64 s6, 4, v11
	v_cmp_eq_u32_e64 s7, 5, v11
	s_and_b32 s45, vcc_lo, s4
	v_cmp_eq_u32_e32 vcc_lo, 4, v11
	s_and_b32 s46, s5, s4
	v_cmp_lt_u32_e64 s5, 5, v11
	v_sub_nc_u32_e32 v13, v45, v12
	s_and_b32 s48, s6, s4
	s_and_b32 s47, vcc_lo, s4
	v_cmp_eq_u32_e32 vcc_lo, 6, v11
	s_and_b32 s50, s5, s4
	v_cmp_eq_u32_e64 s5, 7, v11
	v_and_b32_e32 v11, 15, v0
	s_and_b32 s49, s7, s4
	s_and_b32 s51, vcc_lo, s4
	v_add_nc_u32_e32 v47, 0x4000, v12
	s_and_b32 s52, s5, s4
	v_lshlrev_b32_e32 v46, 2, v11
	v_cmp_gt_u32_e64 s5, 0x100, v25
	v_mad_u32 v17, s81, v30, v17
	v_lshl_add_u32 v5, v30, 2, 0x5000
	v_or_b32_e32 v68, v28, v2
	v_lshl_or_b32 v48, v10, 8, v46
	v_lshrrev_b32_e32 v10, 5, v25
	v_lshl_add_u32 v55, v4, 2, 0x5000
	v_lshl_add_u32 v56, v25, 2, 0x4000
	v_add_nc_u32_e32 v57, 0x4000, v34
	v_lshl_add_u32 v58, v30, 8, v34
	v_lshlrev_b32_e32 v50, 2, v10
	v_add_nc_u32_e32 v49, v13, v46
	v_cmp_eq_u32_e32 vcc_lo, 0, v11
	v_cmp_ne_u32_e64 s6, 0, v11
	v_cmp_eq_u32_e64 s7, 1, v11
	v_add_nc_u32_e32 v53, 0x4000, v50
	v_lshl_add_u32 v60, v2, 8, v34
	s_and_b32 s8, vcc_lo, s5
	v_cmp_lt_u32_e32 vcc_lo, 1, v11
	s_and_b32 s54, s6, s5
	v_cmp_eq_u32_e64 s6, 2, v11
	s_and_b32 s55, s7, s5
	v_cmp_lt_u32_e64 s7, 2, v11
	s_and_b32 s56, vcc_lo, s5
	v_cmp_eq_u32_e32 vcc_lo, 3, v11
	s_and_b32 s57, s6, s5
	v_cmp_lt_u32_e64 s6, 3, v11
	s_and_b32 s58, s7, s5
	v_cmp_eq_u32_e64 s7, 4, v11
	s_and_b32 s65, vcc_lo, s5
	v_cmp_lt_u32_e32 vcc_lo, 4, v11
	s_and_b32 s66, s6, s5
	v_cmp_eq_u32_e64 s6, 5, v11
	s_and_b32 s67, s7, s5
	v_cmp_lt_u32_e64 s7, 5, v11
	s_and_b32 s68, vcc_lo, s5
	v_cmp_eq_u32_e32 vcc_lo, 6, v11
	s_and_b32 s11, s6, s5
	v_cmp_lt_u32_e64 s6, 6, v11
	s_and_b32 s14, s7, s5
	v_cmp_eq_u32_e64 s7, 7, v11
	;; [unrolled: 12-line block ×4, first 2 shown]
	s_and_b32 s27, vcc_lo, s5
	v_cmp_lt_u32_e32 vcc_lo, 13, v11
	s_and_b32 s29, s6, s5
	v_cmp_eq_u32_e64 s6, 14, v11
	s_and_b32 s31, s7, s5
	v_cmp_eq_u32_e64 s7, 15, v11
	v_dual_lshlrev_b32 v51, 8, v10 :: v_dual_bitop2_b32 v11, 31, v0 bitop3:0x40
	s_and_b32 s34, vcc_lo, s5
	s_and_b32 s94, s6, s5
	v_cmp_gt_u32_e64 s6, 0x400, v25
	s_delay_alu instid0(VALU_DEP_2)
	v_cmp_eq_u32_e32 vcc_lo, 0, v11
	v_writelane_b32 v77, s8, 3
	s_and_b32 s98, s7, s5
	v_cmp_ne_u32_e64 s7, 0, v11
	v_cmp_eq_u32_e64 s8, 1, v11
	s_and_b32 s9, vcc_lo, s6
	v_cmp_lt_u32_e32 vcc_lo, 1, v11
	v_writelane_b32 v77, s9, 4
	s_and_b32 s7, s7, s6
	v_cmp_eq_u32_e64 s9, 3, v11
	v_cmp_lt_u32_e64 s10, 3, v11
	s_and_b32 s17, vcc_lo, s6
	v_writelane_b32 v77, s7, 5
	s_and_b32 s7, s8, s6
	v_cmp_lt_u32_e64 s8, 2, v11
	v_cmp_eq_u32_e32 vcc_lo, 4, v11
	v_dual_lshlrev_b32 v52, 2, v11 :: v_dual_add_nc_u32 v0, s12, v4
	v_writelane_b32 v77, s7, 6
	v_cmp_eq_u32_e64 s7, 2, v11
	s_delay_alu instid0(VALU_DEP_3) | instskip(NEXT) | instid1(VALU_DEP_4)
	v_dual_add_nc_u32 v59, v5, v34 :: v_dual_bitop2_b32 v54, v51, v52 bitop3:0x54
	v_mul_u64_e32 v[12:13], s[84:85], v[0:1]
	v_writelane_b32 v77, s17, 7
	s_and_b32 s7, s7, s6
	s_and_b32 s17, vcc_lo, s6
	v_cmp_lt_u32_e32 vcc_lo, 6, v11
	v_subrev_nc_u32_e32 v0, 48, v18
	v_writelane_b32 v77, s7, 8
	s_and_b32 s7, s8, s6
	v_cmp_eq_u32_e64 s8, 5, v11
	v_lshl_add_u32 v61, v26, 8, v34
	v_lshl_add_u32 v62, v27, 8, v34
	v_writelane_b32 v77, s7, 9
	s_and_b32 s7, s9, s6
	v_cmp_lt_u32_e64 s9, 5, v11
	v_lshl_add_u32 v63, v28, 8, v34
	v_cmp_gt_u32_e64 s18, 8, v25
	v_writelane_b32 v77, s7, 10
	s_and_b32 s7, s10, s6
	v_cmp_eq_u32_e64 s10, 6, v11
	v_cmp_gt_u32_e64 s19, 56, v25
	v_cmp_gt_u32_e64 s20, 48, v25
	v_writelane_b32 v77, s7, 11
	v_cmp_lt_u32_e64 s7, 4, v11
	v_cmp_gt_u32_e64 s21, 40, v25
	v_cmp_gt_u32_e64 s22, 32, v25
	v_cmp_gt_u32_e64 s23, 24, v25
	v_writelane_b32 v77, s17, 12
	s_and_b32 s7, s7, s6
	s_and_b32 s17, vcc_lo, s6
	v_cmp_eq_u32_e32 vcc_lo, 9, v11
	v_cmp_eq_u32_e64 s59, 0, v4
	v_writelane_b32 v77, s7, 13
	s_and_b32 s7, s8, s6
	v_cmp_lt_u32_e64 s8, 7, v11
	v_cmp_gt_u32_e64 s60, 64, v4
	s_mul_u64 s[90:91], s[80:81], 0xc0
	v_writelane_b32 v77, s7, 14
	s_and_b32 s7, s9, s6
	v_cmp_eq_u32_e64 s9, 8, v11
                                        ; implicit-def: $vgpr64
                                        ; implicit-def: $vgpr65
                                        ; implicit-def: $vgpr66
                                        ; implicit-def: $vgpr67
	v_writelane_b32 v77, s7, 15
	s_and_b32 s7, s10, s6
	v_cmp_lt_u32_e64 s10, 8, v11
	v_writelane_b32 v77, s7, 16
	v_cmp_eq_u32_e64 s7, 7, v11
	v_writelane_b32 v77, s17, 17
	s_and_b32 s7, s7, s6
	s_and_b32 s17, vcc_lo, s6
	v_cmp_lt_u32_e32 vcc_lo, 11, v11
	v_writelane_b32 v77, s7, 18
	s_and_b32 s7, s8, s6
	v_cmp_eq_u32_e64 s8, 10, v11
	v_writelane_b32 v77, s7, 19
	s_and_b32 s7, s9, s6
	v_cmp_lt_u32_e64 s9, 10, v11
	v_writelane_b32 v77, s7, 20
	s_and_b32 s7, s10, s6
	v_cmp_eq_u32_e64 s10, 11, v11
	s_and_b32 s9, s9, s6
	v_writelane_b32 v77, s7, 21
	v_cmp_lt_u32_e64 s7, 9, v11
	v_writelane_b32 v77, s17, 22
	s_and_b32 s7, s7, s6
	v_cmp_gt_u32_e64 s17, 12, v25
	v_writelane_b32 v77, s7, 23
	s_and_b32 s7, s8, s6
	v_cmp_lt_u32_e64 s8, 12, v11
	v_writelane_b32 v77, s7, 24
	v_cmp_eq_u32_e64 s7, 12, v11
	v_writelane_b32 v77, s9, 25
	s_and_b32 s9, s10, s6
	s_and_b32 s7, s7, s6
	v_cmp_le_i32_e64 s10, s15, v28
	v_writelane_b32 v77, s9, 26
	s_and_b32 s9, vcc_lo, s6
	v_cmp_eq_u32_e32 vcc_lo, 13, v11
	v_writelane_b32 v77, s9, 27
	v_cmp_le_i32_e64 s9, s15, v27
	v_writelane_b32 v77, s7, 28
	s_and_b32 s7, s8, s6
	s_delay_alu instid0(SALU_CYCLE_1)
	v_writelane_b32 v77, s7, 29
	s_and_b32 s7, vcc_lo, s6
	v_cmp_lt_u32_e32 vcc_lo, 13, v11
	v_writelane_b32 v77, s7, 30
	s_and_b32 s7, vcc_lo, s6
	v_cmp_eq_u32_e32 vcc_lo, 14, v11
	v_writelane_b32 v77, s7, 31
	s_and_b32 s7, vcc_lo, s6
	v_cmp_lt_u32_e32 vcc_lo, 14, v11
	v_writelane_b32 v76, s7, 0
	s_and_b32 s7, vcc_lo, s6
	v_cmp_eq_u32_e32 vcc_lo, 15, v11
	;; [unrolled: 6-line block ×17, first 2 shown]
	v_writelane_b32 v76, s7, 31
	s_and_b32 s7, vcc_lo, s6
	v_cmp_eq_u32_e32 vcc_lo, 31, v11
	v_writelane_b32 v75, s7, 0
	v_cmp_eq_u32_e64 s7, 0, v30
	v_mul_u64_e32 v[10:11], s[84:85], v[6:7]
	s_and_b32 s13, vcc_lo, s6
	v_cmp_le_i32_e32 vcc_lo, s15, v2
	s_and_b32 s8, vcc_lo, s16
	v_cmp_gt_u32_e64 s16, 2, v25
	v_writelane_b32 v75, s8, 1
	s_xor_b32 s8, s8, -1
	s_delay_alu instid0(SALU_CYCLE_1)
	s_and_b32 s12, s7, s8
	s_cmp_gt_i32 s96, 0
	v_cmp_le_u32_e64 s8, v2, v30
	s_cselect_b32 s53, -1, 0
	s_and_b32 s0, s7, s0
	s_lshl_b64 s[86:87], s[80:81], 6
	v_writelane_b32 v75, s0, 2
	v_cmp_gt_i32_e64 s0, s95, v6
	s_lshl_b64 s[88:89], s[80:81], 7
	s_lshl_b64 s[74:75], s[74:75], 2
	;; [unrolled: 1-line block ×3, first 2 shown]
	s_and_b32 s1, s0, s1
	s_delay_alu instid0(SALU_CYCLE_1) | instskip(SKIP_4) | instid1(SALU_CYCLE_1)
	v_writelane_b32 v75, s1, 3
	v_cmp_gt_i32_e64 s1, s95, v0
	v_add_nc_u32_e32 v0, -16, v18
	v_mad_nc_u64_u32 v[18:19], s80, v26, v[22:23]
	s_and_b32 s1, s0, s1
	v_writelane_b32 v75, s1, 4
	v_cmp_gt_i32_e64 s1, s95, v20
	v_mad_nc_u64_u32 v[20:21], s80, v27, v[22:23]
	v_mad_nc_u64_u32 v[22:23], s80, v28, v[22:23]
	s_and_b32 s1, s0, s1
	v_mad_u32 v19, s81, v26, v19
	v_writelane_b32 v75, s1, 5
	v_cmp_gt_i32_e64 s1, s95, v0
	v_or_b32_e32 v0, v26, v2
	v_mad_u32 v21, s81, v27, v21
	s_and_b32 s1, s0, s1
	v_mad_u32 v23, s81, v28, v23
	v_writelane_b32 v75, s1, 6
	v_cmp_le_i32_e64 s1, s15, v30
	v_writelane_b32 v75, s8, 7
	s_or_b32 s1, s1, vcc_lo
	s_delay_alu instid0(SALU_CYCLE_1)
	s_or_b32 s1, s1, s8
	v_cmp_le_i32_e64 s8, s15, v26
	v_writelane_b32 v75, s1, 8
	v_cmp_eq_u32_e64 s15, 0, v24
	s_or_b32 s1, s8, vcc_lo
	v_cmp_le_u32_e64 s8, v2, v26
	s_delay_alu instid0(VALU_DEP_1)
	v_writelane_b32 v75, s8, 9
	s_or_b32 s1, s1, s8
	v_cmp_le_u32_e64 s8, v2, v27
	v_writelane_b32 v75, s1, 10
	s_or_b32 s1, s9, vcc_lo
	v_cmp_ne_u32_e64 s9, v2, v27
	s_or_b32 s1, s1, s8
	v_writelane_b32 v75, s8, 11
	v_cmp_le_u32_e64 s8, v2, v28
	v_writelane_b32 v75, s1, 12
	s_or_b32 s1, s10, vcc_lo
	v_cmp_ne_u32_e64 s10, v2, v28
	s_or_b32 s1, s1, s8
	v_writelane_b32 v75, s8, 13
	v_cmp_ne_u32_e64 s8, v2, v26
	v_writelane_b32 v75, s1, 14
	v_cmp_ne_u32_e64 s1, v2, v30
	s_delay_alu instid0(VALU_DEP_1) | instskip(SKIP_1) | instid1(SALU_CYCLE_1)
	v_writelane_b32 v75, s1, 15
	s_or_b32 s1, vcc_lo, s1
	v_writelane_b32 v75, s1, 16
	s_or_b32 s1, vcc_lo, s8
	v_writelane_b32 v75, s8, 17
	v_writelane_b32 v75, s1, 18
	s_or_b32 s1, vcc_lo, s9
	v_writelane_b32 v75, s9, 19
	v_cmp_gt_u32_e64 s9, 0x60, v25
	v_writelane_b32 v75, s1, 20
	s_or_b32 s1, vcc_lo, s10
	v_writelane_b32 v75, s10, 21
	v_writelane_b32 v75, s1, 22
	v_cmp_gt_u32_e64 s1, 0xf0, v25
	s_delay_alu instid0(VALU_DEP_1) | instskip(SKIP_1) | instid1(VALU_DEP_1)
	v_writelane_b32 v75, s1, 23
	v_cmp_gt_u32_e64 s1, 0xe0, v25
	v_writelane_b32 v75, s1, 24
	v_cmp_gt_u32_e64 s1, 0xd0, v25
	s_delay_alu instid0(VALU_DEP_1) | instskip(SKIP_1) | instid1(VALU_DEP_1)
	v_writelane_b32 v75, s1, 25
	v_cmp_gt_u32_e64 s1, 0xc0, v25
	;; [unrolled: 5-line block ×16, first 2 shown]
	v_writelane_b32 v74, s1, 22
	v_cmp_gt_u32_e64 s1, 0x120, v25
	s_delay_alu instid0(VALU_DEP_1) | instskip(SKIP_1) | instid1(VALU_DEP_1)
	v_writelane_b32 v74, s1, 23
	v_cmp_ge_u32_e64 s1, v2, v30
	v_writelane_b32 v74, s1, 24
	v_cmp_ge_u32_e64 s1, v2, v26
	s_delay_alu instid0(VALU_DEP_1) | instskip(SKIP_1) | instid1(VALU_DEP_1)
	v_writelane_b32 v74, s1, 25
	v_cmp_ge_u32_e64 s1, v2, v27
	v_writelane_b32 v74, s1, 26
	v_cmp_ge_u32_e64 s1, v2, v28
	s_delay_alu instid0(VALU_DEP_1) | instskip(SKIP_1) | instid1(VALU_DEP_1)
	v_writelane_b32 v74, s1, 27
	v_cmp_gt_u32_e64 s1, 64, v24
	v_writelane_b32 v74, s1, 28
	v_cmp_gt_u32_e64 s1, 64, v0
	s_delay_alu instid0(VALU_DEP_1) | instskip(SKIP_1) | instid1(VALU_DEP_1)
	v_writelane_b32 v74, s1, 29
	v_cmp_gt_u32_e64 s1, 64, v29
	v_writelane_b32 v74, s1, 30
	v_cmp_gt_u32_e64 s1, 64, v68
	s_delay_alu instid0(VALU_DEP_1)
	v_writelane_b32 v74, s1, 31
	s_branch .LBB118_3
.LBB118_2:                              ;   in Loop: Header=BB118_3 Depth=1
	s_wait_xcnt 0x0
	s_or_b32 exec_lo, exec_lo, s1
	v_readlane_b32 s1, v77, 0
	s_add_co_i32 s70, s70, 0x10000
	global_wb scope:SCOPE_DEV
	s_wait_storecnt 0x0
	global_inv scope:SCOPE_DEV
	s_cmp_lt_u32 s70, s1
	s_cbranch_scc0 .LBB118_1195
.LBB118_3:                              ; =>This Loop Header: Depth=1
                                        ;     Child Loop BB118_1066 Depth 2
                                        ;       Child Loop BB118_1068 Depth 3
                                        ;     Child Loop BB118_1106 Depth 2
	v_mov_b32_e32 v0, s70
	v_readlane_b32 s1, v77, 2
	s_clause 0x1
	global_load_b64 v[24:25], v0, s[72:73] scale_offset
	global_load_b64 v[26:27], v0, s[76:77] scale_offset
	s_and_not1_b32 vcc_lo, exec_lo, s1
	s_wait_loadcnt 0x1
	v_add_nc_u64_e32 v[24:25], s[74:75], v[24:25]
	s_cbranch_vccz .LBB118_6
; %bb.4:                                ;   in Loop: Header=BB118_3 Depth=1
	s_and_not1_b32 vcc_lo, exec_lo, s99
	s_mov_b32 s1, -1
	s_cbranch_vccz .LBB118_15
.LBB118_5:                              ;   in Loop: Header=BB118_3 Depth=1
	s_and_b32 vcc_lo, exec_lo, s1
	s_cbranch_vccnz .LBB118_50
	s_branch .LBB118_85
.LBB118_6:                              ;   in Loop: Header=BB118_3 Depth=1
	s_delay_alu instid0(VALU_DEP_1) | instskip(SKIP_3) | instid1(VALU_DEP_2)
	v_lshl_add_u64 v[28:29], v[8:9], 2, v[24:25]
	v_dual_mov_b32 v65, 0 :: v_dual_mov_b32 v64, 0
	s_wait_loadcnt 0x0
	s_barrier_signal -1
	v_lshl_add_u64 v[28:29], v[6:7], 2, v[28:29]
	s_barrier_wait -1
	s_wait_xcnt 0x0
	s_mov_b32 s1, exec_lo
	v_readlane_b32 s8, v75, 3
	s_and_b32 s8, s1, s8
	s_delay_alu instid0(SALU_CYCLE_1)
	s_mov_b32 exec_lo, s8
	s_cbranch_execz .LBB118_8
; %bb.7:                                ;   in Loop: Header=BB118_3 Depth=1
	flat_load_b32 v64, v[28:29]
.LBB118_8:                              ;   in Loop: Header=BB118_3 Depth=1
	s_wait_xcnt 0x0
	s_or_b32 exec_lo, exec_lo, s1
	s_wait_loadcnt_dscnt 0x0
	s_barrier_signal -1
	s_barrier_wait -1
	s_mov_b32 s1, exec_lo
	v_readlane_b32 s8, v75, 4
	s_and_b32 s8, s1, s8
	s_delay_alu instid0(SALU_CYCLE_1)
	s_mov_b32 exec_lo, s8
	s_cbranch_execz .LBB118_10
; %bb.9:                                ;   in Loop: Header=BB118_3 Depth=1
	v_add_nc_u64_e32 v[66:67], s[86:87], v[28:29]
	flat_load_b32 v65, v[66:67]
.LBB118_10:                             ;   in Loop: Header=BB118_3 Depth=1
	s_wait_xcnt 0x0
	s_or_b32 exec_lo, exec_lo, s1
	v_dual_mov_b32 v67, 0 :: v_dual_mov_b32 v66, 0
	s_wait_loadcnt_dscnt 0x0
	s_barrier_signal -1
	s_barrier_wait -1
	s_mov_b32 s1, exec_lo
	v_readlane_b32 s8, v75, 5
	s_and_b32 s8, s1, s8
	s_delay_alu instid0(SALU_CYCLE_1)
	s_mov_b32 exec_lo, s8
	s_cbranch_execz .LBB118_12
; %bb.11:                               ;   in Loop: Header=BB118_3 Depth=1
	v_add_nc_u64_e32 v[68:69], s[88:89], v[28:29]
	flat_load_b32 v66, v[68:69]
.LBB118_12:                             ;   in Loop: Header=BB118_3 Depth=1
	s_wait_xcnt 0x0
	s_or_b32 exec_lo, exec_lo, s1
	s_wait_loadcnt_dscnt 0x0
	s_barrier_signal -1
	s_barrier_wait -1
	s_mov_b32 s1, exec_lo
	v_readlane_b32 s8, v75, 6
	s_and_b32 s8, s1, s8
	s_delay_alu instid0(SALU_CYCLE_1)
	s_mov_b32 exec_lo, s8
	s_cbranch_execz .LBB118_14
; %bb.13:                               ;   in Loop: Header=BB118_3 Depth=1
	v_add_nc_u64_e32 v[28:29], s[90:91], v[28:29]
	flat_load_b32 v67, v[28:29]
.LBB118_14:                             ;   in Loop: Header=BB118_3 Depth=1
	s_wait_xcnt 0x0
	s_or_b32 exec_lo, exec_lo, s1
	s_delay_alu instid0(SALU_CYCLE_1)
	s_and_not1_b32 vcc_lo, exec_lo, s99
	s_mov_b32 s1, -1
	s_cbranch_vccnz .LBB118_5
.LBB118_15:                             ;   in Loop: Header=BB118_3 Depth=1
	s_mov_b32 s69, 0
                                        ; implicit-def: $vgpr0
	s_wait_xcnt 0x0
	s_mov_b32 s1, exec_lo
	v_readlane_b32 s8, v75, 7
	s_and_b32 s8, s1, s8
	s_delay_alu instid0(SALU_CYCLE_1)
	s_xor_b32 s10, s8, s1
	s_mov_b32 exec_lo, s8
	s_cbranch_execnz .LBB118_1127
; %bb.16:                               ;   in Loop: Header=BB118_3 Depth=1
	s_and_not1_saveexec_b32 s1, s10
	s_cbranch_execnz .LBB118_1132
.LBB118_17:                             ;   in Loop: Header=BB118_3 Depth=1
	s_or_b32 exec_lo, exec_lo, s1
	s_and_saveexec_b32 s1, s69
.LBB118_18:                             ;   in Loop: Header=BB118_3 Depth=1
	ds_store_b32 v58, v0
.LBB118_19:                             ;   in Loop: Header=BB118_3 Depth=1
	s_or_b32 exec_lo, exec_lo, s1
	s_delay_alu instid0(SALU_CYCLE_1) | instskip(SKIP_2) | instid1(SALU_CYCLE_1)
	s_mov_b32 s1, exec_lo
	v_readlane_b32 s8, v75, 9
	s_and_b32 s8, s1, s8
	s_xor_b32 s10, s8, s1
	s_mov_b32 exec_lo, s8
	s_cbranch_execz .LBB118_27
; %bb.20:                               ;   in Loop: Header=BB118_3 Depth=1
	s_mov_b32 s1, exec_lo
	v_readlane_b32 s8, v75, 17
	s_and_b32 s8, s1, s8
	s_delay_alu instid0(SALU_CYCLE_1)
	s_xor_b32 s1, s8, s1
	s_mov_b32 exec_lo, s8
	s_cbranch_execz .LBB118_24
; %bb.21:                               ;   in Loop: Header=BB118_3 Depth=1
	s_mov_b32 s8, exec_lo
	v_readlane_b32 s69, v74, 29
	s_and_b32 s69, s8, s69
	s_delay_alu instid0(SALU_CYCLE_1)
	s_mov_b32 exec_lo, s69
; %bb.22:                               ;   in Loop: Header=BB118_3 Depth=1
	ds_store_b32 v61, v1
; %bb.23:                               ;   in Loop: Header=BB118_3 Depth=1
	s_or_b32 exec_lo, exec_lo, s8
.LBB118_24:                             ;   in Loop: Header=BB118_3 Depth=1
	s_and_not1_saveexec_b32 s1, s1
	s_cbranch_execz .LBB118_26
; %bb.25:                               ;   in Loop: Header=BB118_3 Depth=1
	v_lshl_add_u64 v[28:29], v[18:19], 2, v[24:25]
	flat_load_b32 v0, v[28:29]
	s_wait_loadcnt_dscnt 0x0
	v_div_scale_f32 v28, null, v0, v0, 1.0
	s_delay_alu instid0(VALU_DEP_1) | instskip(SKIP_1) | instid1(TRANS32_DEP_1)
	v_rcp_f32_e32 v29, v28
	v_nop
	v_fma_f32 v68, -v28, v29, 1.0
	s_delay_alu instid0(VALU_DEP_1) | instskip(SKIP_1) | instid1(VALU_DEP_1)
	v_fmac_f32_e32 v29, v68, v29
	v_div_scale_f32 v68, vcc_lo, 1.0, v0, 1.0
	v_mul_f32_e32 v69, v68, v29
	s_delay_alu instid0(VALU_DEP_1) | instskip(NEXT) | instid1(VALU_DEP_1)
	v_fma_f32 v70, -v28, v69, v68
	v_fmac_f32_e32 v69, v70, v29
	s_delay_alu instid0(VALU_DEP_1) | instskip(NEXT) | instid1(VALU_DEP_1)
	v_fma_f32 v28, -v28, v69, v68
	v_div_fmas_f32 v28, v28, v29, v69
	s_delay_alu instid0(VALU_DEP_1)
	v_div_fixup_f32 v0, v28, v0, 1.0
	ds_store_b32 v61, v0
.LBB118_26:                             ;   in Loop: Header=BB118_3 Depth=1
	s_or_b32 exec_lo, exec_lo, s1
.LBB118_27:                             ;   in Loop: Header=BB118_3 Depth=1
	s_and_not1_saveexec_b32 s1, s10
	s_cbranch_execz .LBB118_29
; %bb.28:                               ;   in Loop: Header=BB118_3 Depth=1
	v_lshl_add_u64 v[28:29], v[18:19], 2, v[24:25]
	flat_load_b32 v0, v[28:29]
	s_wait_loadcnt_dscnt 0x0
	v_xor_b32_e32 v0, 0x80000000, v0
	ds_store_b32 v61, v0
.LBB118_29:                             ;   in Loop: Header=BB118_3 Depth=1
	s_or_b32 exec_lo, exec_lo, s1
	s_delay_alu instid0(SALU_CYCLE_1) | instskip(SKIP_2) | instid1(SALU_CYCLE_1)
	s_mov_b32 s1, exec_lo
	v_readlane_b32 s8, v75, 11
	s_and_b32 s8, s1, s8
	s_xor_b32 s10, s8, s1
	s_mov_b32 exec_lo, s8
	s_cbranch_execz .LBB118_37
; %bb.30:                               ;   in Loop: Header=BB118_3 Depth=1
	s_mov_b32 s1, exec_lo
	v_readlane_b32 s8, v75, 19
	s_and_b32 s8, s1, s8
	s_delay_alu instid0(SALU_CYCLE_1)
	s_xor_b32 s1, s8, s1
	s_mov_b32 exec_lo, s8
	s_cbranch_execz .LBB118_34
; %bb.31:                               ;   in Loop: Header=BB118_3 Depth=1
	s_mov_b32 s8, exec_lo
	v_readlane_b32 s69, v74, 30
	s_and_b32 s69, s8, s69
	s_delay_alu instid0(SALU_CYCLE_1)
	s_mov_b32 exec_lo, s69
; %bb.32:                               ;   in Loop: Header=BB118_3 Depth=1
	ds_store_b32 v62, v1
; %bb.33:                               ;   in Loop: Header=BB118_3 Depth=1
	s_or_b32 exec_lo, exec_lo, s8
.LBB118_34:                             ;   in Loop: Header=BB118_3 Depth=1
	s_and_not1_saveexec_b32 s1, s1
	s_cbranch_execz .LBB118_36
; %bb.35:                               ;   in Loop: Header=BB118_3 Depth=1
	v_lshl_add_u64 v[28:29], v[20:21], 2, v[24:25]
	flat_load_b32 v0, v[28:29]
	s_wait_loadcnt_dscnt 0x0
	v_div_scale_f32 v28, null, v0, v0, 1.0
	s_delay_alu instid0(VALU_DEP_1) | instskip(SKIP_1) | instid1(TRANS32_DEP_1)
	v_rcp_f32_e32 v29, v28
	v_nop
	v_fma_f32 v68, -v28, v29, 1.0
	s_delay_alu instid0(VALU_DEP_1) | instskip(SKIP_1) | instid1(VALU_DEP_1)
	v_fmac_f32_e32 v29, v68, v29
	v_div_scale_f32 v68, vcc_lo, 1.0, v0, 1.0
	v_mul_f32_e32 v69, v68, v29
	s_delay_alu instid0(VALU_DEP_1) | instskip(NEXT) | instid1(VALU_DEP_1)
	v_fma_f32 v70, -v28, v69, v68
	v_fmac_f32_e32 v69, v70, v29
	s_delay_alu instid0(VALU_DEP_1) | instskip(NEXT) | instid1(VALU_DEP_1)
	v_fma_f32 v28, -v28, v69, v68
	v_div_fmas_f32 v28, v28, v29, v69
	s_delay_alu instid0(VALU_DEP_1)
	v_div_fixup_f32 v0, v28, v0, 1.0
	ds_store_b32 v62, v0
.LBB118_36:                             ;   in Loop: Header=BB118_3 Depth=1
	s_or_b32 exec_lo, exec_lo, s1
.LBB118_37:                             ;   in Loop: Header=BB118_3 Depth=1
	s_and_not1_saveexec_b32 s1, s10
	s_cbranch_execz .LBB118_39
; %bb.38:                               ;   in Loop: Header=BB118_3 Depth=1
	v_lshl_add_u64 v[28:29], v[20:21], 2, v[24:25]
	flat_load_b32 v0, v[28:29]
	s_wait_loadcnt_dscnt 0x0
	v_xor_b32_e32 v0, 0x80000000, v0
	ds_store_b32 v62, v0
.LBB118_39:                             ;   in Loop: Header=BB118_3 Depth=1
	;; [unrolled: 63-line block ×3, first 2 shown]
	s_or_b32 exec_lo, exec_lo, s1
	s_branch .LBB118_85
.LBB118_50:                             ;   in Loop: Header=BB118_3 Depth=1
	s_mov_b32 s69, 0
                                        ; implicit-def: $vgpr0
	s_wait_xcnt 0x0
	s_mov_b32 s1, exec_lo
	v_readlane_b32 s8, v75, 8
	s_and_b32 s8, s1, s8
	s_delay_alu instid0(SALU_CYCLE_1)
	s_xor_b32 s10, s8, s1
	s_mov_b32 exec_lo, s8
	s_cbranch_execnz .LBB118_1133
; %bb.51:                               ;   in Loop: Header=BB118_3 Depth=1
	s_and_not1_saveexec_b32 s1, s10
	s_cbranch_execnz .LBB118_1138
.LBB118_52:                             ;   in Loop: Header=BB118_3 Depth=1
	s_or_b32 exec_lo, exec_lo, s1
	s_and_saveexec_b32 s1, s69
.LBB118_53:                             ;   in Loop: Header=BB118_3 Depth=1
	ds_store_b32 v58, v0
.LBB118_54:                             ;   in Loop: Header=BB118_3 Depth=1
	s_or_b32 exec_lo, exec_lo, s1
	s_delay_alu instid0(SALU_CYCLE_1) | instskip(SKIP_2) | instid1(SALU_CYCLE_1)
	s_mov_b32 s1, exec_lo
	v_readlane_b32 s8, v75, 10
	s_and_b32 s8, s1, s8
	s_xor_b32 s10, s8, s1
	s_mov_b32 exec_lo, s8
	s_cbranch_execz .LBB118_62
; %bb.55:                               ;   in Loop: Header=BB118_3 Depth=1
	s_mov_b32 s1, exec_lo
	v_readlane_b32 s8, v75, 18
	s_and_b32 s8, s1, s8
	s_delay_alu instid0(SALU_CYCLE_1)
	s_xor_b32 s1, s8, s1
	s_mov_b32 exec_lo, s8
	s_cbranch_execz .LBB118_59
; %bb.56:                               ;   in Loop: Header=BB118_3 Depth=1
	s_mov_b32 s8, exec_lo
	v_readlane_b32 s69, v74, 29
	s_and_b32 s69, s8, s69
	s_delay_alu instid0(SALU_CYCLE_1)
	s_mov_b32 exec_lo, s69
; %bb.57:                               ;   in Loop: Header=BB118_3 Depth=1
	ds_store_b32 v61, v1
; %bb.58:                               ;   in Loop: Header=BB118_3 Depth=1
	s_or_b32 exec_lo, exec_lo, s8
.LBB118_59:                             ;   in Loop: Header=BB118_3 Depth=1
	s_and_not1_saveexec_b32 s1, s1
	s_cbranch_execz .LBB118_61
; %bb.60:                               ;   in Loop: Header=BB118_3 Depth=1
	v_lshl_add_u64 v[28:29], v[18:19], 2, v[24:25]
	flat_load_b32 v0, v[28:29]
	s_wait_loadcnt_dscnt 0x0
	v_div_scale_f32 v28, null, v0, v0, 1.0
	s_delay_alu instid0(VALU_DEP_1) | instskip(SKIP_1) | instid1(TRANS32_DEP_1)
	v_rcp_f32_e32 v29, v28
	v_nop
	v_fma_f32 v68, -v28, v29, 1.0
	s_delay_alu instid0(VALU_DEP_1) | instskip(SKIP_1) | instid1(VALU_DEP_1)
	v_fmac_f32_e32 v29, v68, v29
	v_div_scale_f32 v68, vcc_lo, 1.0, v0, 1.0
	v_mul_f32_e32 v69, v68, v29
	s_delay_alu instid0(VALU_DEP_1) | instskip(NEXT) | instid1(VALU_DEP_1)
	v_fma_f32 v70, -v28, v69, v68
	v_fmac_f32_e32 v69, v70, v29
	s_delay_alu instid0(VALU_DEP_1) | instskip(NEXT) | instid1(VALU_DEP_1)
	v_fma_f32 v28, -v28, v69, v68
	v_div_fmas_f32 v28, v28, v29, v69
	s_delay_alu instid0(VALU_DEP_1)
	v_div_fixup_f32 v0, v28, v0, 1.0
	ds_store_b32 v61, v0
.LBB118_61:                             ;   in Loop: Header=BB118_3 Depth=1
	s_or_b32 exec_lo, exec_lo, s1
.LBB118_62:                             ;   in Loop: Header=BB118_3 Depth=1
	s_and_not1_saveexec_b32 s1, s10
	s_cbranch_execz .LBB118_64
; %bb.63:                               ;   in Loop: Header=BB118_3 Depth=1
	v_lshl_add_u64 v[28:29], v[18:19], 2, v[24:25]
	flat_load_b32 v0, v[28:29]
	s_wait_loadcnt_dscnt 0x0
	v_xor_b32_e32 v0, 0x80000000, v0
	ds_store_b32 v61, v0
.LBB118_64:                             ;   in Loop: Header=BB118_3 Depth=1
	s_or_b32 exec_lo, exec_lo, s1
	s_delay_alu instid0(SALU_CYCLE_1) | instskip(SKIP_2) | instid1(SALU_CYCLE_1)
	s_mov_b32 s1, exec_lo
	v_readlane_b32 s8, v75, 12
	s_and_b32 s8, s1, s8
	s_xor_b32 s10, s8, s1
	s_mov_b32 exec_lo, s8
	s_cbranch_execz .LBB118_72
; %bb.65:                               ;   in Loop: Header=BB118_3 Depth=1
	s_mov_b32 s1, exec_lo
	v_readlane_b32 s8, v75, 20
	s_and_b32 s8, s1, s8
	s_delay_alu instid0(SALU_CYCLE_1)
	s_xor_b32 s1, s8, s1
	s_mov_b32 exec_lo, s8
	s_cbranch_execz .LBB118_69
; %bb.66:                               ;   in Loop: Header=BB118_3 Depth=1
	s_mov_b32 s8, exec_lo
	v_readlane_b32 s69, v74, 30
	s_and_b32 s69, s8, s69
	s_delay_alu instid0(SALU_CYCLE_1)
	s_mov_b32 exec_lo, s69
; %bb.67:                               ;   in Loop: Header=BB118_3 Depth=1
	ds_store_b32 v62, v1
; %bb.68:                               ;   in Loop: Header=BB118_3 Depth=1
	s_or_b32 exec_lo, exec_lo, s8
.LBB118_69:                             ;   in Loop: Header=BB118_3 Depth=1
	s_and_not1_saveexec_b32 s1, s1
	s_cbranch_execz .LBB118_71
; %bb.70:                               ;   in Loop: Header=BB118_3 Depth=1
	v_lshl_add_u64 v[28:29], v[20:21], 2, v[24:25]
	flat_load_b32 v0, v[28:29]
	s_wait_loadcnt_dscnt 0x0
	v_div_scale_f32 v28, null, v0, v0, 1.0
	s_delay_alu instid0(VALU_DEP_1) | instskip(SKIP_1) | instid1(TRANS32_DEP_1)
	v_rcp_f32_e32 v29, v28
	v_nop
	v_fma_f32 v68, -v28, v29, 1.0
	s_delay_alu instid0(VALU_DEP_1) | instskip(SKIP_1) | instid1(VALU_DEP_1)
	v_fmac_f32_e32 v29, v68, v29
	v_div_scale_f32 v68, vcc_lo, 1.0, v0, 1.0
	v_mul_f32_e32 v69, v68, v29
	s_delay_alu instid0(VALU_DEP_1) | instskip(NEXT) | instid1(VALU_DEP_1)
	v_fma_f32 v70, -v28, v69, v68
	v_fmac_f32_e32 v69, v70, v29
	s_delay_alu instid0(VALU_DEP_1) | instskip(NEXT) | instid1(VALU_DEP_1)
	v_fma_f32 v28, -v28, v69, v68
	v_div_fmas_f32 v28, v28, v29, v69
	s_delay_alu instid0(VALU_DEP_1)
	v_div_fixup_f32 v0, v28, v0, 1.0
	ds_store_b32 v62, v0
.LBB118_71:                             ;   in Loop: Header=BB118_3 Depth=1
	s_or_b32 exec_lo, exec_lo, s1
.LBB118_72:                             ;   in Loop: Header=BB118_3 Depth=1
	s_and_not1_saveexec_b32 s1, s10
	s_cbranch_execz .LBB118_74
; %bb.73:                               ;   in Loop: Header=BB118_3 Depth=1
	v_lshl_add_u64 v[28:29], v[20:21], 2, v[24:25]
	flat_load_b32 v0, v[28:29]
	s_wait_loadcnt_dscnt 0x0
	v_xor_b32_e32 v0, 0x80000000, v0
	ds_store_b32 v62, v0
.LBB118_74:                             ;   in Loop: Header=BB118_3 Depth=1
	;; [unrolled: 63-line block ×3, first 2 shown]
	s_or_b32 exec_lo, exec_lo, s1
.LBB118_85:                             ;   in Loop: Header=BB118_3 Depth=1
	s_delay_alu instid0(SALU_CYCLE_1)
	s_and_not1_b32 vcc_lo, exec_lo, s100
	s_wait_loadcnt_dscnt 0x0
	s_barrier_signal -1
	s_barrier_wait -1
	s_cbranch_vccnz .LBB118_1060
; %bb.86:                               ;   in Loop: Header=BB118_3 Depth=1
	s_wait_xcnt 0x0
	s_and_saveexec_b32 s1, s15
	s_cbranch_execz .LBB118_88
; %bb.87:                               ;   in Loop: Header=BB118_3 Depth=1
	ds_load_b64 v[28:29], v1
	ds_load_b32 v0, v1 offset:260
	s_wait_dscnt 0x0
	v_mul_f32_e32 v0, v28, v0
	s_delay_alu instid0(VALU_DEP_1)
	v_mul_f32_e32 v0, v29, v0
	ds_store_b32 v1, v0 offset:4
.LBB118_88:                             ;   in Loop: Header=BB118_3 Depth=1
	s_or_b32 exec_lo, exec_lo, s1
	v_mov_b32_e32 v0, 0
	s_wait_dscnt 0x0
	s_barrier_signal -1
	s_barrier_wait -1
	s_and_saveexec_b32 s10, s2
	s_cbranch_execz .LBB118_92
; %bb.89:                               ;   in Loop: Header=BB118_3 Depth=1
	ds_load_b32 v0, v32 offset:8
	ds_load_b32 v28, v33
	s_wait_dscnt 0x0
	v_fma_f32 v0, v0, v28, 0
	s_and_saveexec_b32 s1, s16
	s_cbranch_execz .LBB118_91
; %bb.90:                               ;   in Loop: Header=BB118_3 Depth=1
	ds_load_b32 v28, v34 offset:264
	ds_load_b32 v29, v1 offset:4
	s_wait_dscnt 0x0
	v_fmac_f32_e32 v0, v28, v29
.LBB118_91:                             ;   in Loop: Header=BB118_3 Depth=1
	s_or_b32 exec_lo, exec_lo, s1
	s_delay_alu instid0(VALU_DEP_1)
	v_xor_b32_e32 v0, 0x80000000, v0
.LBB118_92:                             ;   in Loop: Header=BB118_3 Depth=1
	s_or_b32 exec_lo, exec_lo, s10
	s_and_saveexec_b32 s1, s101
	s_cbranch_execz .LBB118_94
; %bb.93:                               ;   in Loop: Header=BB118_3 Depth=1
	ds_load_b32 v28, v1 offset:520
	s_wait_dscnt 0x0
	v_mul_f32_e32 v0, v0, v28
	ds_store_b32 v3, v0
.LBB118_94:                             ;   in Loop: Header=BB118_3 Depth=1
	s_or_b32 exec_lo, exec_lo, s1
	s_wait_dscnt 0x0
	s_barrier_signal -1
	s_barrier_wait -1
	s_and_saveexec_b32 s1, s102
	s_cbranch_execz .LBB118_96
; %bb.95:                               ;   in Loop: Header=BB118_3 Depth=1
	ds_load_b32 v28, v1 offset:524
	ds_load_b32 v29, v3
	s_wait_dscnt 0x0
	v_fmac_f32_e32 v0, v28, v29
.LBB118_96:                             ;   in Loop: Header=BB118_3 Depth=1
	s_or_b32 exec_lo, exec_lo, s1
	s_barrier_signal -1
	s_barrier_wait -1
	s_and_saveexec_b32 s1, s102
	s_cbranch_execz .LBB118_98
; %bb.97:                               ;   in Loop: Header=BB118_3 Depth=1
	ds_load_b32 v28, v1 offset:780
	s_wait_dscnt 0x0
	v_mul_f32_e32 v0, v0, v28
	ds_store_b32 v3, v0
.LBB118_98:                             ;   in Loop: Header=BB118_3 Depth=1
	s_or_b32 exec_lo, exec_lo, s1
	s_wait_dscnt 0x0
	s_barrier_signal -1
	s_barrier_wait -1
	s_barrier_signal -1
	s_barrier_wait -1
	s_and_saveexec_b32 s1, s2
; %bb.99:                               ;   in Loop: Header=BB118_3 Depth=1
	v_xor_b32_e32 v0, 0x80000000, v0
	ds_store_b32 v32, v0 offset:8
; %bb.100:                              ;   in Loop: Header=BB118_3 Depth=1
	s_or_b32 exec_lo, exec_lo, s1
	s_wait_dscnt 0x0
	s_barrier_signal -1
	s_barrier_wait -1
	s_barrier_signal -1
	s_barrier_wait -1
	s_and_saveexec_b32 s1, s15
	s_cbranch_execz .LBB118_102
; %bb.101:                              ;   in Loop: Header=BB118_3 Depth=1
	ds_load_b64 v[28:29], v1 offset:520
	ds_load_b32 v0, v1 offset:780
	s_wait_dscnt 0x0
	v_mul_f32_e32 v0, v28, v0
	s_delay_alu instid0(VALU_DEP_1)
	v_mul_f32_e32 v0, v29, v0
	ds_store_b32 v1, v0 offset:524
.LBB118_102:                            ;   in Loop: Header=BB118_3 Depth=1
	s_or_b32 exec_lo, exec_lo, s1
	v_mov_b32_e32 v0, 0
	s_wait_dscnt 0x0
	s_barrier_signal -1
	s_barrier_wait -1
	s_and_saveexec_b32 s10, s3
	s_cbranch_execz .LBB118_108
; %bb.103:                              ;   in Loop: Header=BB118_3 Depth=1
	ds_load_b32 v0, v38 offset:16
	ds_load_b32 v28, v35
	s_wait_dscnt 0x0
	v_fma_f32 v0, v0, v28, 0
	s_and_saveexec_b32 s1, s17
	s_cbranch_execnz .LBB118_1144
; %bb.104:                              ;   in Loop: Header=BB118_3 Depth=1
	s_or_b32 exec_lo, exec_lo, s1
	s_and_saveexec_b32 s1, s18
	s_cbranch_execnz .LBB118_1145
.LBB118_105:                            ;   in Loop: Header=BB118_3 Depth=1
	s_or_b32 exec_lo, exec_lo, s1
	s_and_saveexec_b32 s1, s2
	s_cbranch_execz .LBB118_107
.LBB118_106:                            ;   in Loop: Header=BB118_3 Depth=1
	ds_load_b32 v28, v34 offset:784
	ds_load_b32 v29, v1 offset:12
	s_wait_dscnt 0x0
	v_fmac_f32_e32 v0, v28, v29
.LBB118_107:                            ;   in Loop: Header=BB118_3 Depth=1
	s_or_b32 exec_lo, exec_lo, s1
	s_delay_alu instid0(VALU_DEP_1)
	v_xor_b32_e32 v0, 0x80000000, v0
.LBB118_108:                            ;   in Loop: Header=BB118_3 Depth=1
	s_or_b32 exec_lo, exec_lo, s10
	s_and_saveexec_b32 s1, s103
	s_cbranch_execz .LBB118_110
; %bb.109:                              ;   in Loop: Header=BB118_3 Depth=1
	ds_load_b32 v28, v1 offset:1040
	s_wait_dscnt 0x0
	v_mul_f32_e32 v0, v0, v28
	ds_store_b32 v37, v0
.LBB118_110:                            ;   in Loop: Header=BB118_3 Depth=1
	s_or_b32 exec_lo, exec_lo, s1
	s_wait_dscnt 0x0
	s_barrier_signal -1
	s_barrier_wait -1
	s_and_saveexec_b32 s1, s104
	s_cbranch_execz .LBB118_112
; %bb.111:                              ;   in Loop: Header=BB118_3 Depth=1
	ds_load_b32 v28, v36 offset:1040
	ds_load_b32 v29, v37
	s_wait_dscnt 0x0
	v_fmac_f32_e32 v0, v28, v29
.LBB118_112:                            ;   in Loop: Header=BB118_3 Depth=1
	s_or_b32 exec_lo, exec_lo, s1
	s_barrier_signal -1
	s_barrier_wait -1
	s_and_saveexec_b32 s1, vcc_hi
	s_cbranch_execz .LBB118_114
; %bb.113:                              ;   in Loop: Header=BB118_3 Depth=1
	ds_load_b32 v28, v1 offset:1300
	s_wait_dscnt 0x0
	v_mul_f32_e32 v0, v0, v28
	ds_store_b32 v37, v0
.LBB118_114:                            ;   in Loop: Header=BB118_3 Depth=1
	s_or_b32 exec_lo, exec_lo, s1
	s_wait_dscnt 0x0
	s_barrier_signal -1
	s_barrier_wait -1
	s_and_saveexec_b32 s1, s36
	s_cbranch_execz .LBB118_116
; %bb.115:                              ;   in Loop: Header=BB118_3 Depth=1
	ds_load_b32 v28, v36 offset:1296
	ds_load_b32 v29, v37
	s_wait_dscnt 0x0
	v_fmac_f32_e32 v0, v28, v29
.LBB118_116:                            ;   in Loop: Header=BB118_3 Depth=1
	s_or_b32 exec_lo, exec_lo, s1
	s_barrier_signal -1
	s_barrier_wait -1
	s_and_saveexec_b32 s1, s37
	s_cbranch_execz .LBB118_118
; %bb.117:                              ;   in Loop: Header=BB118_3 Depth=1
	ds_load_b32 v28, v1 offset:1560
	s_wait_dscnt 0x0
	v_mul_f32_e32 v0, v0, v28
	ds_store_b32 v37, v0
.LBB118_118:                            ;   in Loop: Header=BB118_3 Depth=1
	s_or_b32 exec_lo, exec_lo, s1
	s_wait_dscnt 0x0
	s_barrier_signal -1
	s_barrier_wait -1
	s_and_saveexec_b32 s1, s38
	s_cbranch_execz .LBB118_120
; %bb.119:                              ;   in Loop: Header=BB118_3 Depth=1
	ds_load_b32 v28, v1 offset:1564
	ds_load_b32 v29, v37
	s_wait_dscnt 0x0
	v_fmac_f32_e32 v0, v28, v29
.LBB118_120:                            ;   in Loop: Header=BB118_3 Depth=1
	s_or_b32 exec_lo, exec_lo, s1
	s_barrier_signal -1
	s_barrier_wait -1
	s_and_saveexec_b32 s1, s38
	s_cbranch_execz .LBB118_122
; %bb.121:                              ;   in Loop: Header=BB118_3 Depth=1
	ds_load_b32 v28, v1 offset:1820
	s_wait_dscnt 0x0
	v_mul_f32_e32 v0, v0, v28
	ds_store_b32 v37, v0
.LBB118_122:                            ;   in Loop: Header=BB118_3 Depth=1
	s_or_b32 exec_lo, exec_lo, s1
	s_wait_dscnt 0x0
	s_barrier_signal -1
	s_barrier_wait -1
	s_barrier_signal -1
	s_barrier_wait -1
	s_and_saveexec_b32 s1, s3
; %bb.123:                              ;   in Loop: Header=BB118_3 Depth=1
	v_xor_b32_e32 v0, 0x80000000, v0
	ds_store_b32 v38, v0 offset:16
; %bb.124:                              ;   in Loop: Header=BB118_3 Depth=1
	s_or_b32 exec_lo, exec_lo, s1
	s_wait_dscnt 0x0
	s_barrier_signal -1
	s_barrier_wait -1
	s_barrier_signal -1
	s_barrier_wait -1
	s_and_saveexec_b32 s1, s15
	s_cbranch_execz .LBB118_126
; %bb.125:                              ;   in Loop: Header=BB118_3 Depth=1
	ds_load_b64 v[28:29], v1 offset:1040
	ds_load_b32 v0, v1 offset:1300
	s_wait_dscnt 0x0
	v_mul_f32_e32 v0, v28, v0
	s_delay_alu instid0(VALU_DEP_1)
	v_mul_f32_e32 v0, v29, v0
	ds_store_b32 v1, v0 offset:1044
.LBB118_126:                            ;   in Loop: Header=BB118_3 Depth=1
	s_or_b32 exec_lo, exec_lo, s1
	v_mov_b32_e32 v0, 0
	s_wait_dscnt 0x0
	s_barrier_signal -1
	s_barrier_wait -1
	s_and_saveexec_b32 s10, s2
	s_cbranch_execz .LBB118_130
; %bb.127:                              ;   in Loop: Header=BB118_3 Depth=1
	ds_load_b32 v0, v32 offset:1048
	ds_load_b32 v28, v33 offset:1040
	s_wait_dscnt 0x0
	v_fma_f32 v0, v0, v28, 0
	s_and_saveexec_b32 s1, s16
	s_cbranch_execz .LBB118_129
; %bb.128:                              ;   in Loop: Header=BB118_3 Depth=1
	ds_load_b32 v28, v34 offset:1304
	ds_load_b32 v29, v1 offset:1044
	s_wait_dscnt 0x0
	v_fmac_f32_e32 v0, v28, v29
.LBB118_129:                            ;   in Loop: Header=BB118_3 Depth=1
	s_or_b32 exec_lo, exec_lo, s1
	s_delay_alu instid0(VALU_DEP_1)
	v_xor_b32_e32 v0, 0x80000000, v0
.LBB118_130:                            ;   in Loop: Header=BB118_3 Depth=1
	s_or_b32 exec_lo, exec_lo, s10
	s_and_saveexec_b32 s1, s101
	s_cbranch_execz .LBB118_132
; %bb.131:                              ;   in Loop: Header=BB118_3 Depth=1
	ds_load_b32 v28, v1 offset:1560
	s_wait_dscnt 0x0
	v_mul_f32_e32 v0, v0, v28
	ds_store_b32 v3, v0
.LBB118_132:                            ;   in Loop: Header=BB118_3 Depth=1
	s_or_b32 exec_lo, exec_lo, s1
	s_wait_dscnt 0x0
	s_barrier_signal -1
	s_barrier_wait -1
	s_and_saveexec_b32 s1, s102
	s_cbranch_execz .LBB118_134
; %bb.133:                              ;   in Loop: Header=BB118_3 Depth=1
	ds_load_b32 v28, v1 offset:1564
	ds_load_b32 v29, v3
	s_wait_dscnt 0x0
	v_fmac_f32_e32 v0, v28, v29
.LBB118_134:                            ;   in Loop: Header=BB118_3 Depth=1
	s_or_b32 exec_lo, exec_lo, s1
	s_barrier_signal -1
	s_barrier_wait -1
	s_and_saveexec_b32 s1, s102
	s_cbranch_execz .LBB118_136
; %bb.135:                              ;   in Loop: Header=BB118_3 Depth=1
	ds_load_b32 v28, v1 offset:1820
	s_wait_dscnt 0x0
	v_mul_f32_e32 v0, v0, v28
	ds_store_b32 v3, v0
.LBB118_136:                            ;   in Loop: Header=BB118_3 Depth=1
	s_or_b32 exec_lo, exec_lo, s1
	s_wait_dscnt 0x0
	s_barrier_signal -1
	s_barrier_wait -1
	s_barrier_signal -1
	s_barrier_wait -1
	s_and_saveexec_b32 s1, s2
; %bb.137:                              ;   in Loop: Header=BB118_3 Depth=1
	v_xor_b32_e32 v0, 0x80000000, v0
	ds_store_b32 v32, v0 offset:1048
; %bb.138:                              ;   in Loop: Header=BB118_3 Depth=1
	s_or_b32 exec_lo, exec_lo, s1
	s_wait_dscnt 0x0
	s_barrier_signal -1
	s_barrier_wait -1
	s_barrier_signal -1
	s_barrier_wait -1
	s_and_saveexec_b32 s1, s15
	s_cbranch_execz .LBB118_140
; %bb.139:                              ;   in Loop: Header=BB118_3 Depth=1
	ds_load_b64 v[28:29], v1 offset:1560
	ds_load_b32 v0, v1 offset:1820
	s_wait_dscnt 0x0
	v_mul_f32_e32 v0, v28, v0
	s_delay_alu instid0(VALU_DEP_1)
	v_mul_f32_e32 v0, v29, v0
	ds_store_b32 v1, v0 offset:1564
.LBB118_140:                            ;   in Loop: Header=BB118_3 Depth=1
	s_or_b32 exec_lo, exec_lo, s1
	v_mov_b32_e32 v0, 0
	s_wait_dscnt 0x0
	s_barrier_signal -1
	s_barrier_wait -1
	s_and_saveexec_b32 s10, s4
	s_cbranch_execz .LBB118_150
; %bb.141:                              ;   in Loop: Header=BB118_3 Depth=1
	ds_load_b32 v0, v43 offset:32
	ds_load_b32 v28, v40
	s_wait_dscnt 0x0
	v_fma_f32 v0, v0, v28, 0
	s_and_saveexec_b32 s1, s19
	s_cbranch_execnz .LBB118_1146
; %bb.142:                              ;   in Loop: Header=BB118_3 Depth=1
	s_or_b32 exec_lo, exec_lo, s1
	s_and_saveexec_b32 s1, s20
	s_cbranch_execnz .LBB118_1147
.LBB118_143:                            ;   in Loop: Header=BB118_3 Depth=1
	s_or_b32 exec_lo, exec_lo, s1
	s_and_saveexec_b32 s1, s21
	s_cbranch_execnz .LBB118_1148
.LBB118_144:                            ;   in Loop: Header=BB118_3 Depth=1
	s_or_b32 exec_lo, exec_lo, s1
	s_and_saveexec_b32 s1, s22
	s_cbranch_execnz .LBB118_1149
.LBB118_145:                            ;   in Loop: Header=BB118_3 Depth=1
	s_or_b32 exec_lo, exec_lo, s1
	s_and_saveexec_b32 s1, s23
	s_cbranch_execnz .LBB118_1150
.LBB118_146:                            ;   in Loop: Header=BB118_3 Depth=1
	s_or_b32 exec_lo, exec_lo, s1
	s_and_saveexec_b32 s1, s3
	s_cbranch_execnz .LBB118_1151
.LBB118_147:                            ;   in Loop: Header=BB118_3 Depth=1
	s_or_b32 exec_lo, exec_lo, s1
	s_and_saveexec_b32 s1, s18
	s_cbranch_execz .LBB118_149
.LBB118_148:                            ;   in Loop: Header=BB118_3 Depth=1
	ds_load_b32 v28, v34 offset:1824
	ds_load_b32 v29, v1 offset:28
	s_wait_dscnt 0x0
	v_fmac_f32_e32 v0, v28, v29
.LBB118_149:                            ;   in Loop: Header=BB118_3 Depth=1
	s_or_b32 exec_lo, exec_lo, s1
	s_delay_alu instid0(VALU_DEP_1)
	v_xor_b32_e32 v0, 0x80000000, v0
.LBB118_150:                            ;   in Loop: Header=BB118_3 Depth=1
	s_or_b32 exec_lo, exec_lo, s10
	s_and_saveexec_b32 s1, s39
	s_cbranch_execz .LBB118_152
; %bb.151:                              ;   in Loop: Header=BB118_3 Depth=1
	ds_load_b32 v28, v1 offset:2080
	s_wait_dscnt 0x0
	v_mul_f32_e32 v0, v0, v28
	ds_store_b32 v42, v0
.LBB118_152:                            ;   in Loop: Header=BB118_3 Depth=1
	s_or_b32 exec_lo, exec_lo, s1
	s_wait_dscnt 0x0
	s_barrier_signal -1
	s_barrier_wait -1
	s_and_saveexec_b32 s1, s40
	s_cbranch_execz .LBB118_154
; %bb.153:                              ;   in Loop: Header=BB118_3 Depth=1
	ds_load_b32 v28, v41 offset:2080
	ds_load_b32 v29, v42
	s_wait_dscnt 0x0
	v_fmac_f32_e32 v0, v28, v29
.LBB118_154:                            ;   in Loop: Header=BB118_3 Depth=1
	s_or_b32 exec_lo, exec_lo, s1
	s_barrier_signal -1
	s_barrier_wait -1
	s_and_saveexec_b32 s1, s41
	s_cbranch_execz .LBB118_156
; %bb.155:                              ;   in Loop: Header=BB118_3 Depth=1
	ds_load_b32 v28, v1 offset:2340
	s_wait_dscnt 0x0
	v_mul_f32_e32 v0, v0, v28
	ds_store_b32 v42, v0
.LBB118_156:                            ;   in Loop: Header=BB118_3 Depth=1
	s_or_b32 exec_lo, exec_lo, s1
	s_wait_dscnt 0x0
	s_barrier_signal -1
	s_barrier_wait -1
	s_and_saveexec_b32 s1, s42
	s_cbranch_execz .LBB118_158
; %bb.157:                              ;   in Loop: Header=BB118_3 Depth=1
	ds_load_b32 v28, v41 offset:2336
	ds_load_b32 v29, v42
	s_wait_dscnt 0x0
	v_fmac_f32_e32 v0, v28, v29
.LBB118_158:                            ;   in Loop: Header=BB118_3 Depth=1
	s_or_b32 exec_lo, exec_lo, s1
	s_barrier_signal -1
	s_barrier_wait -1
	s_and_saveexec_b32 s1, s43
	s_cbranch_execz .LBB118_160
; %bb.159:                              ;   in Loop: Header=BB118_3 Depth=1
	ds_load_b32 v28, v1 offset:2600
	s_wait_dscnt 0x0
	v_mul_f32_e32 v0, v0, v28
	ds_store_b32 v42, v0
.LBB118_160:                            ;   in Loop: Header=BB118_3 Depth=1
	s_or_b32 exec_lo, exec_lo, s1
	s_wait_dscnt 0x0
	s_barrier_signal -1
	s_barrier_wait -1
	s_and_saveexec_b32 s1, s44
	s_cbranch_execz .LBB118_162
; %bb.161:                              ;   in Loop: Header=BB118_3 Depth=1
	ds_load_b32 v28, v41 offset:2592
	ds_load_b32 v29, v42
	s_wait_dscnt 0x0
	v_fmac_f32_e32 v0, v28, v29
.LBB118_162:                            ;   in Loop: Header=BB118_3 Depth=1
	s_or_b32 exec_lo, exec_lo, s1
	s_barrier_signal -1
	s_barrier_wait -1
	s_and_saveexec_b32 s1, s45
	s_cbranch_execz .LBB118_164
; %bb.163:                              ;   in Loop: Header=BB118_3 Depth=1
	ds_load_b32 v28, v1 offset:2860
	s_wait_dscnt 0x0
	v_mul_f32_e32 v0, v0, v28
	ds_store_b32 v42, v0
.LBB118_164:                            ;   in Loop: Header=BB118_3 Depth=1
	s_or_b32 exec_lo, exec_lo, s1
	s_wait_dscnt 0x0
	s_barrier_signal -1
	s_barrier_wait -1
	s_and_saveexec_b32 s1, s46
	s_cbranch_execz .LBB118_166
; %bb.165:                              ;   in Loop: Header=BB118_3 Depth=1
	ds_load_b32 v28, v41 offset:2848
	ds_load_b32 v29, v42
	s_wait_dscnt 0x0
	v_fmac_f32_e32 v0, v28, v29
.LBB118_166:                            ;   in Loop: Header=BB118_3 Depth=1
	s_or_b32 exec_lo, exec_lo, s1
	s_barrier_signal -1
	s_barrier_wait -1
	s_and_saveexec_b32 s1, s47
	s_cbranch_execz .LBB118_168
; %bb.167:                              ;   in Loop: Header=BB118_3 Depth=1
	ds_load_b32 v28, v1 offset:3120
	s_wait_dscnt 0x0
	v_mul_f32_e32 v0, v0, v28
	ds_store_b32 v42, v0
.LBB118_168:                            ;   in Loop: Header=BB118_3 Depth=1
	s_or_b32 exec_lo, exec_lo, s1
	s_wait_dscnt 0x0
	s_barrier_signal -1
	s_barrier_wait -1
	s_and_saveexec_b32 s1, s48
	s_cbranch_execz .LBB118_170
; %bb.169:                              ;   in Loop: Header=BB118_3 Depth=1
	ds_load_b32 v28, v41 offset:3104
	ds_load_b32 v29, v42
	s_wait_dscnt 0x0
	v_fmac_f32_e32 v0, v28, v29
.LBB118_170:                            ;   in Loop: Header=BB118_3 Depth=1
	s_or_b32 exec_lo, exec_lo, s1
	s_barrier_signal -1
	s_barrier_wait -1
	s_and_saveexec_b32 s1, s49
	s_cbranch_execz .LBB118_172
; %bb.171:                              ;   in Loop: Header=BB118_3 Depth=1
	ds_load_b32 v28, v1 offset:3380
	s_wait_dscnt 0x0
	v_mul_f32_e32 v0, v0, v28
	ds_store_b32 v42, v0
.LBB118_172:                            ;   in Loop: Header=BB118_3 Depth=1
	s_or_b32 exec_lo, exec_lo, s1
	s_wait_dscnt 0x0
	s_barrier_signal -1
	s_barrier_wait -1
	s_and_saveexec_b32 s1, s50
	s_cbranch_execz .LBB118_174
; %bb.173:                              ;   in Loop: Header=BB118_3 Depth=1
	ds_load_b32 v28, v41 offset:3360
	ds_load_b32 v29, v42
	s_wait_dscnt 0x0
	v_fmac_f32_e32 v0, v28, v29
.LBB118_174:                            ;   in Loop: Header=BB118_3 Depth=1
	s_or_b32 exec_lo, exec_lo, s1
	s_barrier_signal -1
	s_barrier_wait -1
	s_and_saveexec_b32 s1, s51
	s_cbranch_execz .LBB118_176
; %bb.175:                              ;   in Loop: Header=BB118_3 Depth=1
	ds_load_b32 v28, v1 offset:3640
	s_wait_dscnt 0x0
	v_mul_f32_e32 v0, v0, v28
	ds_store_b32 v42, v0
.LBB118_176:                            ;   in Loop: Header=BB118_3 Depth=1
	s_or_b32 exec_lo, exec_lo, s1
	s_wait_dscnt 0x0
	s_barrier_signal -1
	s_barrier_wait -1
	s_and_saveexec_b32 s1, s52
	s_cbranch_execz .LBB118_178
; %bb.177:                              ;   in Loop: Header=BB118_3 Depth=1
	ds_load_b32 v28, v1 offset:3644
	ds_load_b32 v29, v42
	s_wait_dscnt 0x0
	v_fmac_f32_e32 v0, v28, v29
.LBB118_178:                            ;   in Loop: Header=BB118_3 Depth=1
	s_or_b32 exec_lo, exec_lo, s1
	s_barrier_signal -1
	s_barrier_wait -1
	s_and_saveexec_b32 s1, s52
	s_cbranch_execz .LBB118_180
; %bb.179:                              ;   in Loop: Header=BB118_3 Depth=1
	ds_load_b32 v28, v1 offset:3900
	s_wait_dscnt 0x0
	v_mul_f32_e32 v0, v0, v28
	ds_store_b32 v42, v0
.LBB118_180:                            ;   in Loop: Header=BB118_3 Depth=1
	s_or_b32 exec_lo, exec_lo, s1
	s_wait_dscnt 0x0
	s_barrier_signal -1
	s_barrier_wait -1
	s_barrier_signal -1
	s_barrier_wait -1
	s_and_saveexec_b32 s1, s4
; %bb.181:                              ;   in Loop: Header=BB118_3 Depth=1
	v_xor_b32_e32 v0, 0x80000000, v0
	ds_store_b32 v43, v0 offset:32
; %bb.182:                              ;   in Loop: Header=BB118_3 Depth=1
	s_or_b32 exec_lo, exec_lo, s1
	s_wait_dscnt 0x0
	s_barrier_signal -1
	s_barrier_wait -1
	s_barrier_signal -1
	s_barrier_wait -1
	s_and_saveexec_b32 s1, s15
	s_cbranch_execz .LBB118_184
; %bb.183:                              ;   in Loop: Header=BB118_3 Depth=1
	ds_load_b64 v[28:29], v1 offset:2080
	ds_load_b32 v0, v1 offset:2340
	s_wait_dscnt 0x0
	v_mul_f32_e32 v0, v28, v0
	s_delay_alu instid0(VALU_DEP_1)
	v_mul_f32_e32 v0, v29, v0
	ds_store_b32 v1, v0 offset:2084
.LBB118_184:                            ;   in Loop: Header=BB118_3 Depth=1
	s_or_b32 exec_lo, exec_lo, s1
	v_mov_b32_e32 v0, 0
	s_wait_dscnt 0x0
	s_barrier_signal -1
	s_barrier_wait -1
	s_and_saveexec_b32 s10, s2
	s_cbranch_execz .LBB118_188
; %bb.185:                              ;   in Loop: Header=BB118_3 Depth=1
	ds_load_b32 v0, v32 offset:2088
	ds_load_b32 v28, v33 offset:2080
	s_wait_dscnt 0x0
	v_fma_f32 v0, v0, v28, 0
	s_and_saveexec_b32 s1, s16
	s_cbranch_execz .LBB118_187
; %bb.186:                              ;   in Loop: Header=BB118_3 Depth=1
	ds_load_b32 v28, v34 offset:2344
	ds_load_b32 v29, v1 offset:2084
	s_wait_dscnt 0x0
	v_fmac_f32_e32 v0, v28, v29
.LBB118_187:                            ;   in Loop: Header=BB118_3 Depth=1
	s_or_b32 exec_lo, exec_lo, s1
	s_delay_alu instid0(VALU_DEP_1)
	v_xor_b32_e32 v0, 0x80000000, v0
.LBB118_188:                            ;   in Loop: Header=BB118_3 Depth=1
	s_or_b32 exec_lo, exec_lo, s10
	s_and_saveexec_b32 s1, s101
	s_cbranch_execz .LBB118_190
; %bb.189:                              ;   in Loop: Header=BB118_3 Depth=1
	ds_load_b32 v28, v1 offset:2600
	s_wait_dscnt 0x0
	v_mul_f32_e32 v0, v0, v28
	ds_store_b32 v3, v0
.LBB118_190:                            ;   in Loop: Header=BB118_3 Depth=1
	s_or_b32 exec_lo, exec_lo, s1
	s_wait_dscnt 0x0
	s_barrier_signal -1
	s_barrier_wait -1
	s_and_saveexec_b32 s1, s102
	s_cbranch_execz .LBB118_192
; %bb.191:                              ;   in Loop: Header=BB118_3 Depth=1
	ds_load_b32 v28, v1 offset:2604
	ds_load_b32 v29, v3
	s_wait_dscnt 0x0
	v_fmac_f32_e32 v0, v28, v29
.LBB118_192:                            ;   in Loop: Header=BB118_3 Depth=1
	s_or_b32 exec_lo, exec_lo, s1
	s_barrier_signal -1
	s_barrier_wait -1
	s_and_saveexec_b32 s1, s102
	s_cbranch_execz .LBB118_194
; %bb.193:                              ;   in Loop: Header=BB118_3 Depth=1
	ds_load_b32 v28, v1 offset:2860
	s_wait_dscnt 0x0
	v_mul_f32_e32 v0, v0, v28
	ds_store_b32 v3, v0
.LBB118_194:                            ;   in Loop: Header=BB118_3 Depth=1
	s_or_b32 exec_lo, exec_lo, s1
	s_wait_dscnt 0x0
	s_barrier_signal -1
	s_barrier_wait -1
	s_barrier_signal -1
	s_barrier_wait -1
	s_and_saveexec_b32 s1, s2
; %bb.195:                              ;   in Loop: Header=BB118_3 Depth=1
	v_xor_b32_e32 v0, 0x80000000, v0
	ds_store_b32 v32, v0 offset:2088
; %bb.196:                              ;   in Loop: Header=BB118_3 Depth=1
	s_or_b32 exec_lo, exec_lo, s1
	s_wait_dscnt 0x0
	s_barrier_signal -1
	s_barrier_wait -1
	s_barrier_signal -1
	s_barrier_wait -1
	s_and_saveexec_b32 s1, s15
	s_cbranch_execz .LBB118_198
; %bb.197:                              ;   in Loop: Header=BB118_3 Depth=1
	ds_load_b64 v[28:29], v1 offset:2600
	ds_load_b32 v0, v1 offset:2860
	s_wait_dscnt 0x0
	v_mul_f32_e32 v0, v28, v0
	s_delay_alu instid0(VALU_DEP_1)
	v_mul_f32_e32 v0, v29, v0
	ds_store_b32 v1, v0 offset:2604
.LBB118_198:                            ;   in Loop: Header=BB118_3 Depth=1
	s_or_b32 exec_lo, exec_lo, s1
	v_mov_b32_e32 v0, 0
	s_wait_dscnt 0x0
	s_barrier_signal -1
	s_barrier_wait -1
	s_and_saveexec_b32 s10, s3
	s_cbranch_execz .LBB118_204
; %bb.199:                              ;   in Loop: Header=BB118_3 Depth=1
	ds_load_b32 v0, v38 offset:2096
	ds_load_b32 v28, v35 offset:2080
	s_wait_dscnt 0x0
	v_fma_f32 v0, v0, v28, 0
	s_and_saveexec_b32 s1, s17
	s_cbranch_execnz .LBB118_1152
; %bb.200:                              ;   in Loop: Header=BB118_3 Depth=1
	s_or_b32 exec_lo, exec_lo, s1
	s_and_saveexec_b32 s1, s18
	s_cbranch_execnz .LBB118_1153
.LBB118_201:                            ;   in Loop: Header=BB118_3 Depth=1
	s_or_b32 exec_lo, exec_lo, s1
	s_and_saveexec_b32 s1, s2
	s_cbranch_execz .LBB118_203
.LBB118_202:                            ;   in Loop: Header=BB118_3 Depth=1
	ds_load_b32 v28, v34 offset:2864
	ds_load_b32 v29, v1 offset:2092
	s_wait_dscnt 0x0
	v_fmac_f32_e32 v0, v28, v29
.LBB118_203:                            ;   in Loop: Header=BB118_3 Depth=1
	s_or_b32 exec_lo, exec_lo, s1
	s_delay_alu instid0(VALU_DEP_1)
	v_xor_b32_e32 v0, 0x80000000, v0
.LBB118_204:                            ;   in Loop: Header=BB118_3 Depth=1
	s_or_b32 exec_lo, exec_lo, s10
	s_and_saveexec_b32 s1, s103
	s_cbranch_execz .LBB118_206
; %bb.205:                              ;   in Loop: Header=BB118_3 Depth=1
	ds_load_b32 v28, v1 offset:3120
	s_wait_dscnt 0x0
	v_mul_f32_e32 v0, v0, v28
	ds_store_b32 v37, v0
.LBB118_206:                            ;   in Loop: Header=BB118_3 Depth=1
	s_or_b32 exec_lo, exec_lo, s1
	s_wait_dscnt 0x0
	s_barrier_signal -1
	s_barrier_wait -1
	s_and_saveexec_b32 s1, s104
	s_cbranch_execz .LBB118_208
; %bb.207:                              ;   in Loop: Header=BB118_3 Depth=1
	ds_load_b32 v28, v36 offset:3120
	ds_load_b32 v29, v37
	s_wait_dscnt 0x0
	v_fmac_f32_e32 v0, v28, v29
.LBB118_208:                            ;   in Loop: Header=BB118_3 Depth=1
	s_or_b32 exec_lo, exec_lo, s1
	s_barrier_signal -1
	s_barrier_wait -1
	s_and_saveexec_b32 s1, vcc_hi
	s_cbranch_execz .LBB118_210
; %bb.209:                              ;   in Loop: Header=BB118_3 Depth=1
	ds_load_b32 v28, v1 offset:3380
	s_wait_dscnt 0x0
	v_mul_f32_e32 v0, v0, v28
	ds_store_b32 v37, v0
.LBB118_210:                            ;   in Loop: Header=BB118_3 Depth=1
	s_or_b32 exec_lo, exec_lo, s1
	s_wait_dscnt 0x0
	s_barrier_signal -1
	s_barrier_wait -1
	s_and_saveexec_b32 s1, s36
	s_cbranch_execz .LBB118_212
; %bb.211:                              ;   in Loop: Header=BB118_3 Depth=1
	ds_load_b32 v28, v36 offset:3376
	ds_load_b32 v29, v37
	s_wait_dscnt 0x0
	v_fmac_f32_e32 v0, v28, v29
.LBB118_212:                            ;   in Loop: Header=BB118_3 Depth=1
	s_or_b32 exec_lo, exec_lo, s1
	s_barrier_signal -1
	s_barrier_wait -1
	s_and_saveexec_b32 s1, s37
	s_cbranch_execz .LBB118_214
; %bb.213:                              ;   in Loop: Header=BB118_3 Depth=1
	ds_load_b32 v28, v1 offset:3640
	s_wait_dscnt 0x0
	v_mul_f32_e32 v0, v0, v28
	ds_store_b32 v37, v0
.LBB118_214:                            ;   in Loop: Header=BB118_3 Depth=1
	s_or_b32 exec_lo, exec_lo, s1
	s_wait_dscnt 0x0
	s_barrier_signal -1
	s_barrier_wait -1
	s_and_saveexec_b32 s1, s38
	s_cbranch_execz .LBB118_216
; %bb.215:                              ;   in Loop: Header=BB118_3 Depth=1
	ds_load_b32 v28, v1 offset:3644
	ds_load_b32 v29, v37
	s_wait_dscnt 0x0
	v_fmac_f32_e32 v0, v28, v29
.LBB118_216:                            ;   in Loop: Header=BB118_3 Depth=1
	s_or_b32 exec_lo, exec_lo, s1
	s_barrier_signal -1
	s_barrier_wait -1
	s_and_saveexec_b32 s1, s38
	s_cbranch_execz .LBB118_218
; %bb.217:                              ;   in Loop: Header=BB118_3 Depth=1
	ds_load_b32 v28, v1 offset:3900
	s_wait_dscnt 0x0
	v_mul_f32_e32 v0, v0, v28
	ds_store_b32 v37, v0
.LBB118_218:                            ;   in Loop: Header=BB118_3 Depth=1
	s_or_b32 exec_lo, exec_lo, s1
	s_wait_dscnt 0x0
	s_barrier_signal -1
	s_barrier_wait -1
	s_barrier_signal -1
	s_barrier_wait -1
	s_and_saveexec_b32 s1, s3
; %bb.219:                              ;   in Loop: Header=BB118_3 Depth=1
	v_xor_b32_e32 v0, 0x80000000, v0
	ds_store_b32 v38, v0 offset:2096
; %bb.220:                              ;   in Loop: Header=BB118_3 Depth=1
	s_or_b32 exec_lo, exec_lo, s1
	s_wait_dscnt 0x0
	s_barrier_signal -1
	s_barrier_wait -1
	s_barrier_signal -1
	s_barrier_wait -1
	s_and_saveexec_b32 s1, s15
	s_cbranch_execz .LBB118_222
; %bb.221:                              ;   in Loop: Header=BB118_3 Depth=1
	ds_load_b64 v[28:29], v1 offset:3120
	ds_load_b32 v0, v1 offset:3380
	s_wait_dscnt 0x0
	v_mul_f32_e32 v0, v28, v0
	s_delay_alu instid0(VALU_DEP_1)
	v_mul_f32_e32 v0, v29, v0
	ds_store_b32 v1, v0 offset:3124
.LBB118_222:                            ;   in Loop: Header=BB118_3 Depth=1
	s_or_b32 exec_lo, exec_lo, s1
	v_mov_b32_e32 v0, 0
	s_wait_dscnt 0x0
	s_barrier_signal -1
	s_barrier_wait -1
	s_and_saveexec_b32 s10, s2
	s_cbranch_execz .LBB118_226
; %bb.223:                              ;   in Loop: Header=BB118_3 Depth=1
	ds_load_b32 v0, v32 offset:3128
	ds_load_b32 v28, v33 offset:3120
	s_wait_dscnt 0x0
	v_fma_f32 v0, v0, v28, 0
	s_and_saveexec_b32 s1, s16
	s_cbranch_execz .LBB118_225
; %bb.224:                              ;   in Loop: Header=BB118_3 Depth=1
	ds_load_b32 v28, v34 offset:3384
	ds_load_b32 v29, v1 offset:3124
	s_wait_dscnt 0x0
	v_fmac_f32_e32 v0, v28, v29
.LBB118_225:                            ;   in Loop: Header=BB118_3 Depth=1
	s_or_b32 exec_lo, exec_lo, s1
	s_delay_alu instid0(VALU_DEP_1)
	v_xor_b32_e32 v0, 0x80000000, v0
.LBB118_226:                            ;   in Loop: Header=BB118_3 Depth=1
	s_or_b32 exec_lo, exec_lo, s10
	s_and_saveexec_b32 s1, s101
	s_cbranch_execz .LBB118_228
; %bb.227:                              ;   in Loop: Header=BB118_3 Depth=1
	ds_load_b32 v28, v1 offset:3640
	s_wait_dscnt 0x0
	v_mul_f32_e32 v0, v0, v28
	ds_store_b32 v3, v0
.LBB118_228:                            ;   in Loop: Header=BB118_3 Depth=1
	s_or_b32 exec_lo, exec_lo, s1
	s_wait_dscnt 0x0
	s_barrier_signal -1
	s_barrier_wait -1
	s_and_saveexec_b32 s1, s102
	s_cbranch_execz .LBB118_230
; %bb.229:                              ;   in Loop: Header=BB118_3 Depth=1
	ds_load_b32 v28, v1 offset:3644
	ds_load_b32 v29, v3
	s_wait_dscnt 0x0
	v_fmac_f32_e32 v0, v28, v29
.LBB118_230:                            ;   in Loop: Header=BB118_3 Depth=1
	s_or_b32 exec_lo, exec_lo, s1
	s_barrier_signal -1
	s_barrier_wait -1
	s_and_saveexec_b32 s1, s102
	s_cbranch_execz .LBB118_232
; %bb.231:                              ;   in Loop: Header=BB118_3 Depth=1
	ds_load_b32 v28, v1 offset:3900
	s_wait_dscnt 0x0
	v_mul_f32_e32 v0, v0, v28
	ds_store_b32 v3, v0
.LBB118_232:                            ;   in Loop: Header=BB118_3 Depth=1
	s_or_b32 exec_lo, exec_lo, s1
	s_wait_dscnt 0x0
	s_barrier_signal -1
	s_barrier_wait -1
	s_barrier_signal -1
	s_barrier_wait -1
	s_and_saveexec_b32 s1, s2
; %bb.233:                              ;   in Loop: Header=BB118_3 Depth=1
	v_xor_b32_e32 v0, 0x80000000, v0
	ds_store_b32 v32, v0 offset:3128
; %bb.234:                              ;   in Loop: Header=BB118_3 Depth=1
	s_or_b32 exec_lo, exec_lo, s1
	s_wait_dscnt 0x0
	s_barrier_signal -1
	s_barrier_wait -1
	s_barrier_signal -1
	s_barrier_wait -1
	s_and_saveexec_b32 s1, s15
	s_cbranch_execz .LBB118_236
; %bb.235:                              ;   in Loop: Header=BB118_3 Depth=1
	ds_load_b64 v[28:29], v1 offset:3640
	ds_load_b32 v0, v1 offset:3900
	s_wait_dscnt 0x0
	v_mul_f32_e32 v0, v28, v0
	s_delay_alu instid0(VALU_DEP_1)
	v_mul_f32_e32 v0, v29, v0
	ds_store_b32 v1, v0 offset:3644
.LBB118_236:                            ;   in Loop: Header=BB118_3 Depth=1
	s_or_b32 exec_lo, exec_lo, s1
	v_mov_b32_e32 v0, 0
	s_wait_dscnt 0x0
	s_barrier_signal -1
	s_barrier_wait -1
	s_and_saveexec_b32 s69, s5
	s_cbranch_execz .LBB118_264
; %bb.237:                              ;   in Loop: Header=BB118_3 Depth=1
	ds_load_b32 v0, v48 offset:64
	ds_load_b32 v28, v45
	s_wait_dscnt 0x0
	v_fma_f32 v0, v0, v28, 0
	s_mov_b32 s1, exec_lo
	v_readlane_b32 s8, v75, 23
	s_and_b32 s8, s1, s8
	s_delay_alu instid0(SALU_CYCLE_1)
	s_mov_b32 exec_lo, s8
	s_cbranch_execz .LBB118_239
; %bb.238:                              ;   in Loop: Header=BB118_3 Depth=1
	ds_load_b32 v28, v49 offset:320
	ds_load_b32 v29, v45 offset:4
	s_wait_dscnt 0x0
	v_fmac_f32_e32 v0, v28, v29
.LBB118_239:                            ;   in Loop: Header=BB118_3 Depth=1
	s_or_b32 exec_lo, exec_lo, s1
	s_delay_alu instid0(SALU_CYCLE_1) | instskip(SKIP_2) | instid1(SALU_CYCLE_1)
	s_mov_b32 s1, exec_lo
	v_readlane_b32 s8, v75, 24
	s_and_b32 s8, s1, s8
	s_mov_b32 exec_lo, s8
	s_cbranch_execz .LBB118_241
; %bb.240:                              ;   in Loop: Header=BB118_3 Depth=1
	ds_load_b32 v28, v49 offset:576
	ds_load_b32 v29, v45 offset:8
	s_wait_dscnt 0x0
	v_fmac_f32_e32 v0, v28, v29
.LBB118_241:                            ;   in Loop: Header=BB118_3 Depth=1
	s_or_b32 exec_lo, exec_lo, s1
	s_delay_alu instid0(SALU_CYCLE_1) | instskip(SKIP_2) | instid1(SALU_CYCLE_1)
	s_mov_b32 s1, exec_lo
	v_readlane_b32 s8, v75, 25
	s_and_b32 s8, s1, s8
	;; [unrolled: 13-line block ×8, first 2 shown]
	s_mov_b32 exec_lo, s8
	s_cbranch_execz .LBB118_255
; %bb.254:                              ;   in Loop: Header=BB118_3 Depth=1
	ds_load_b32 v28, v49 offset:2368
	ds_load_b32 v29, v45 offset:36
	s_wait_dscnt 0x0
	v_fmac_f32_e32 v0, v28, v29
.LBB118_255:                            ;   in Loop: Header=BB118_3 Depth=1
	s_or_b32 exec_lo, exec_lo, s1
	s_and_saveexec_b32 s1, s9
	s_cbranch_execz .LBB118_257
; %bb.256:                              ;   in Loop: Header=BB118_3 Depth=1
	ds_load_b32 v28, v49 offset:2624
	ds_load_b32 v29, v45 offset:40
	s_wait_dscnt 0x0
	v_fmac_f32_e32 v0, v28, v29
.LBB118_257:                            ;   in Loop: Header=BB118_3 Depth=1
	s_or_b32 exec_lo, exec_lo, s1
	s_delay_alu instid0(SALU_CYCLE_1) | instskip(SKIP_2) | instid1(SALU_CYCLE_1)
	s_mov_b32 s1, exec_lo
	v_readlane_b32 s8, v74, 0
	s_and_b32 s8, s1, s8
	s_mov_b32 exec_lo, s8
	s_cbranch_execnz .LBB118_1154
; %bb.258:                              ;   in Loop: Header=BB118_3 Depth=1
	s_or_b32 exec_lo, exec_lo, s1
	s_and_saveexec_b32 s1, s4
	s_cbranch_execnz .LBB118_1155
.LBB118_259:                            ;   in Loop: Header=BB118_3 Depth=1
	s_or_b32 exec_lo, exec_lo, s1
	s_and_saveexec_b32 s1, s20
	s_cbranch_execnz .LBB118_1156
.LBB118_260:                            ;   in Loop: Header=BB118_3 Depth=1
	s_or_b32 exec_lo, exec_lo, s1
	s_and_saveexec_b32 s1, s22
	s_cbranch_execnz .LBB118_1157
.LBB118_261:                            ;   in Loop: Header=BB118_3 Depth=1
	s_or_b32 exec_lo, exec_lo, s1
	s_and_saveexec_b32 s1, s3
	s_cbranch_execz .LBB118_263
.LBB118_262:                            ;   in Loop: Header=BB118_3 Depth=1
	ds_load_b32 v28, v34 offset:3904
	ds_load_b32 v29, v1 offset:60
	s_wait_dscnt 0x0
	v_fmac_f32_e32 v0, v28, v29
.LBB118_263:                            ;   in Loop: Header=BB118_3 Depth=1
	s_or_b32 exec_lo, exec_lo, s1
	s_delay_alu instid0(VALU_DEP_1)
	v_xor_b32_e32 v0, 0x80000000, v0
.LBB118_264:                            ;   in Loop: Header=BB118_3 Depth=1
	s_or_b32 exec_lo, exec_lo, s69
	s_delay_alu instid0(SALU_CYCLE_1) | instskip(SKIP_2) | instid1(SALU_CYCLE_1)
	s_mov_b32 s1, exec_lo
	v_readlane_b32 s8, v77, 3
	s_and_b32 s8, s1, s8
	s_mov_b32 exec_lo, s8
	s_cbranch_execz .LBB118_266
; %bb.265:                              ;   in Loop: Header=BB118_3 Depth=1
	ds_load_b32 v28, v1 offset:4160
	s_wait_dscnt 0x0
	v_mul_f32_e32 v0, v0, v28
	ds_store_b32 v47, v0
.LBB118_266:                            ;   in Loop: Header=BB118_3 Depth=1
	s_or_b32 exec_lo, exec_lo, s1
	s_wait_dscnt 0x0
	s_barrier_signal -1
	s_barrier_wait -1
	s_and_saveexec_b32 s1, s54
	s_cbranch_execz .LBB118_268
; %bb.267:                              ;   in Loop: Header=BB118_3 Depth=1
	ds_load_b32 v28, v46 offset:4160
	ds_load_b32 v29, v47
	s_wait_dscnt 0x0
	v_fmac_f32_e32 v0, v28, v29
.LBB118_268:                            ;   in Loop: Header=BB118_3 Depth=1
	s_or_b32 exec_lo, exec_lo, s1
	s_barrier_signal -1
	s_barrier_wait -1
	s_and_saveexec_b32 s1, s55
	s_cbranch_execz .LBB118_270
; %bb.269:                              ;   in Loop: Header=BB118_3 Depth=1
	ds_load_b32 v28, v1 offset:4420
	s_wait_dscnt 0x0
	v_mul_f32_e32 v0, v0, v28
	ds_store_b32 v47, v0
.LBB118_270:                            ;   in Loop: Header=BB118_3 Depth=1
	s_or_b32 exec_lo, exec_lo, s1
	s_wait_dscnt 0x0
	s_barrier_signal -1
	s_barrier_wait -1
	s_and_saveexec_b32 s1, s56
	s_cbranch_execz .LBB118_272
; %bb.271:                              ;   in Loop: Header=BB118_3 Depth=1
	ds_load_b32 v28, v46 offset:4416
	ds_load_b32 v29, v47
	s_wait_dscnt 0x0
	v_fmac_f32_e32 v0, v28, v29
.LBB118_272:                            ;   in Loop: Header=BB118_3 Depth=1
	s_or_b32 exec_lo, exec_lo, s1
	s_barrier_signal -1
	s_barrier_wait -1
	s_and_saveexec_b32 s1, s57
	;; [unrolled: 23-line block ×15, first 2 shown]
	s_cbranch_execz .LBB118_326
; %bb.325:                              ;   in Loop: Header=BB118_3 Depth=1
	ds_load_b32 v28, v1 offset:8060
	s_wait_dscnt 0x0
	v_mul_f32_e32 v0, v0, v28
	ds_store_b32 v47, v0
.LBB118_326:                            ;   in Loop: Header=BB118_3 Depth=1
	s_or_b32 exec_lo, exec_lo, s1
	s_wait_dscnt 0x0
	s_barrier_signal -1
	s_barrier_wait -1
	s_barrier_signal -1
	s_barrier_wait -1
	s_and_saveexec_b32 s1, s5
; %bb.327:                              ;   in Loop: Header=BB118_3 Depth=1
	v_xor_b32_e32 v0, 0x80000000, v0
	ds_store_b32 v48, v0 offset:64
; %bb.328:                              ;   in Loop: Header=BB118_3 Depth=1
	s_or_b32 exec_lo, exec_lo, s1
	s_wait_dscnt 0x0
	s_barrier_signal -1
	s_barrier_wait -1
	s_barrier_signal -1
	s_barrier_wait -1
	s_and_saveexec_b32 s1, s15
	s_cbranch_execz .LBB118_330
; %bb.329:                              ;   in Loop: Header=BB118_3 Depth=1
	ds_load_b64 v[28:29], v1 offset:4160
	ds_load_b32 v0, v1 offset:4420
	s_wait_dscnt 0x0
	v_mul_f32_e32 v0, v28, v0
	s_delay_alu instid0(VALU_DEP_1)
	v_mul_f32_e32 v0, v29, v0
	ds_store_b32 v1, v0 offset:4164
.LBB118_330:                            ;   in Loop: Header=BB118_3 Depth=1
	s_or_b32 exec_lo, exec_lo, s1
	v_mov_b32_e32 v0, 0
	s_wait_dscnt 0x0
	s_barrier_signal -1
	s_barrier_wait -1
	s_and_saveexec_b32 s10, s2
	s_cbranch_execz .LBB118_334
; %bb.331:                              ;   in Loop: Header=BB118_3 Depth=1
	ds_load_b32 v0, v32 offset:4168
	ds_load_b32 v28, v33 offset:4160
	s_wait_dscnt 0x0
	v_fma_f32 v0, v0, v28, 0
	s_and_saveexec_b32 s1, s16
	s_cbranch_execz .LBB118_333
; %bb.332:                              ;   in Loop: Header=BB118_3 Depth=1
	ds_load_b32 v28, v34 offset:4424
	ds_load_b32 v29, v1 offset:4164
	s_wait_dscnt 0x0
	v_fmac_f32_e32 v0, v28, v29
.LBB118_333:                            ;   in Loop: Header=BB118_3 Depth=1
	s_or_b32 exec_lo, exec_lo, s1
	s_delay_alu instid0(VALU_DEP_1)
	v_xor_b32_e32 v0, 0x80000000, v0
.LBB118_334:                            ;   in Loop: Header=BB118_3 Depth=1
	s_or_b32 exec_lo, exec_lo, s10
	s_and_saveexec_b32 s1, s101
	s_cbranch_execz .LBB118_336
; %bb.335:                              ;   in Loop: Header=BB118_3 Depth=1
	ds_load_b32 v28, v1 offset:4680
	s_wait_dscnt 0x0
	v_mul_f32_e32 v0, v0, v28
	ds_store_b32 v3, v0
.LBB118_336:                            ;   in Loop: Header=BB118_3 Depth=1
	s_or_b32 exec_lo, exec_lo, s1
	s_wait_dscnt 0x0
	s_barrier_signal -1
	s_barrier_wait -1
	s_and_saveexec_b32 s1, s102
	s_cbranch_execz .LBB118_338
; %bb.337:                              ;   in Loop: Header=BB118_3 Depth=1
	ds_load_b32 v28, v1 offset:4684
	ds_load_b32 v29, v3
	s_wait_dscnt 0x0
	v_fmac_f32_e32 v0, v28, v29
.LBB118_338:                            ;   in Loop: Header=BB118_3 Depth=1
	s_or_b32 exec_lo, exec_lo, s1
	s_barrier_signal -1
	s_barrier_wait -1
	s_and_saveexec_b32 s1, s102
	s_cbranch_execz .LBB118_340
; %bb.339:                              ;   in Loop: Header=BB118_3 Depth=1
	ds_load_b32 v28, v1 offset:4940
	s_wait_dscnt 0x0
	v_mul_f32_e32 v0, v0, v28
	ds_store_b32 v3, v0
.LBB118_340:                            ;   in Loop: Header=BB118_3 Depth=1
	s_or_b32 exec_lo, exec_lo, s1
	s_wait_dscnt 0x0
	s_barrier_signal -1
	s_barrier_wait -1
	s_barrier_signal -1
	s_barrier_wait -1
	s_and_saveexec_b32 s1, s2
; %bb.341:                              ;   in Loop: Header=BB118_3 Depth=1
	v_xor_b32_e32 v0, 0x80000000, v0
	ds_store_b32 v32, v0 offset:4168
; %bb.342:                              ;   in Loop: Header=BB118_3 Depth=1
	s_or_b32 exec_lo, exec_lo, s1
	s_wait_dscnt 0x0
	s_barrier_signal -1
	s_barrier_wait -1
	s_barrier_signal -1
	s_barrier_wait -1
	s_and_saveexec_b32 s1, s15
	s_cbranch_execz .LBB118_344
; %bb.343:                              ;   in Loop: Header=BB118_3 Depth=1
	ds_load_b64 v[28:29], v1 offset:4680
	ds_load_b32 v0, v1 offset:4940
	s_wait_dscnt 0x0
	v_mul_f32_e32 v0, v28, v0
	s_delay_alu instid0(VALU_DEP_1)
	v_mul_f32_e32 v0, v29, v0
	ds_store_b32 v1, v0 offset:4684
.LBB118_344:                            ;   in Loop: Header=BB118_3 Depth=1
	s_or_b32 exec_lo, exec_lo, s1
	v_mov_b32_e32 v0, 0
	s_wait_dscnt 0x0
	s_barrier_signal -1
	s_barrier_wait -1
	s_and_saveexec_b32 s10, s3
	s_cbranch_execz .LBB118_350
; %bb.345:                              ;   in Loop: Header=BB118_3 Depth=1
	ds_load_b32 v0, v38 offset:4176
	ds_load_b32 v28, v35 offset:4160
	s_wait_dscnt 0x0
	v_fma_f32 v0, v0, v28, 0
	s_and_saveexec_b32 s1, s17
	s_cbranch_execnz .LBB118_1158
; %bb.346:                              ;   in Loop: Header=BB118_3 Depth=1
	s_or_b32 exec_lo, exec_lo, s1
	s_and_saveexec_b32 s1, s18
	s_cbranch_execnz .LBB118_1159
.LBB118_347:                            ;   in Loop: Header=BB118_3 Depth=1
	s_or_b32 exec_lo, exec_lo, s1
	s_and_saveexec_b32 s1, s2
	s_cbranch_execz .LBB118_349
.LBB118_348:                            ;   in Loop: Header=BB118_3 Depth=1
	ds_load_b32 v28, v34 offset:4944
	ds_load_b32 v29, v1 offset:4172
	s_wait_dscnt 0x0
	v_fmac_f32_e32 v0, v28, v29
.LBB118_349:                            ;   in Loop: Header=BB118_3 Depth=1
	s_or_b32 exec_lo, exec_lo, s1
	s_delay_alu instid0(VALU_DEP_1)
	v_xor_b32_e32 v0, 0x80000000, v0
.LBB118_350:                            ;   in Loop: Header=BB118_3 Depth=1
	s_or_b32 exec_lo, exec_lo, s10
	s_and_saveexec_b32 s1, s103
	s_cbranch_execz .LBB118_352
; %bb.351:                              ;   in Loop: Header=BB118_3 Depth=1
	ds_load_b32 v28, v1 offset:5200
	s_wait_dscnt 0x0
	v_mul_f32_e32 v0, v0, v28
	ds_store_b32 v37, v0
.LBB118_352:                            ;   in Loop: Header=BB118_3 Depth=1
	s_or_b32 exec_lo, exec_lo, s1
	s_wait_dscnt 0x0
	s_barrier_signal -1
	s_barrier_wait -1
	s_and_saveexec_b32 s1, s104
	s_cbranch_execz .LBB118_354
; %bb.353:                              ;   in Loop: Header=BB118_3 Depth=1
	ds_load_b32 v28, v36 offset:5200
	ds_load_b32 v29, v37
	s_wait_dscnt 0x0
	v_fmac_f32_e32 v0, v28, v29
.LBB118_354:                            ;   in Loop: Header=BB118_3 Depth=1
	s_or_b32 exec_lo, exec_lo, s1
	s_barrier_signal -1
	s_barrier_wait -1
	s_and_saveexec_b32 s1, vcc_hi
	s_cbranch_execz .LBB118_356
; %bb.355:                              ;   in Loop: Header=BB118_3 Depth=1
	ds_load_b32 v28, v1 offset:5460
	s_wait_dscnt 0x0
	v_mul_f32_e32 v0, v0, v28
	ds_store_b32 v37, v0
.LBB118_356:                            ;   in Loop: Header=BB118_3 Depth=1
	s_or_b32 exec_lo, exec_lo, s1
	s_wait_dscnt 0x0
	s_barrier_signal -1
	s_barrier_wait -1
	s_and_saveexec_b32 s1, s36
	s_cbranch_execz .LBB118_358
; %bb.357:                              ;   in Loop: Header=BB118_3 Depth=1
	ds_load_b32 v28, v36 offset:5456
	ds_load_b32 v29, v37
	s_wait_dscnt 0x0
	v_fmac_f32_e32 v0, v28, v29
.LBB118_358:                            ;   in Loop: Header=BB118_3 Depth=1
	s_or_b32 exec_lo, exec_lo, s1
	s_barrier_signal -1
	s_barrier_wait -1
	s_and_saveexec_b32 s1, s37
	s_cbranch_execz .LBB118_360
; %bb.359:                              ;   in Loop: Header=BB118_3 Depth=1
	ds_load_b32 v28, v1 offset:5720
	s_wait_dscnt 0x0
	v_mul_f32_e32 v0, v0, v28
	ds_store_b32 v37, v0
.LBB118_360:                            ;   in Loop: Header=BB118_3 Depth=1
	s_or_b32 exec_lo, exec_lo, s1
	s_wait_dscnt 0x0
	s_barrier_signal -1
	s_barrier_wait -1
	s_and_saveexec_b32 s1, s38
	s_cbranch_execz .LBB118_362
; %bb.361:                              ;   in Loop: Header=BB118_3 Depth=1
	ds_load_b32 v28, v1 offset:5724
	ds_load_b32 v29, v37
	s_wait_dscnt 0x0
	v_fmac_f32_e32 v0, v28, v29
.LBB118_362:                            ;   in Loop: Header=BB118_3 Depth=1
	s_or_b32 exec_lo, exec_lo, s1
	s_barrier_signal -1
	s_barrier_wait -1
	s_and_saveexec_b32 s1, s38
	s_cbranch_execz .LBB118_364
; %bb.363:                              ;   in Loop: Header=BB118_3 Depth=1
	ds_load_b32 v28, v1 offset:5980
	s_wait_dscnt 0x0
	v_mul_f32_e32 v0, v0, v28
	ds_store_b32 v37, v0
.LBB118_364:                            ;   in Loop: Header=BB118_3 Depth=1
	s_or_b32 exec_lo, exec_lo, s1
	s_wait_dscnt 0x0
	s_barrier_signal -1
	s_barrier_wait -1
	s_barrier_signal -1
	s_barrier_wait -1
	s_and_saveexec_b32 s1, s3
; %bb.365:                              ;   in Loop: Header=BB118_3 Depth=1
	v_xor_b32_e32 v0, 0x80000000, v0
	ds_store_b32 v38, v0 offset:4176
; %bb.366:                              ;   in Loop: Header=BB118_3 Depth=1
	s_or_b32 exec_lo, exec_lo, s1
	s_wait_dscnt 0x0
	s_barrier_signal -1
	s_barrier_wait -1
	s_barrier_signal -1
	s_barrier_wait -1
	s_and_saveexec_b32 s1, s15
	s_cbranch_execz .LBB118_368
; %bb.367:                              ;   in Loop: Header=BB118_3 Depth=1
	ds_load_b64 v[28:29], v1 offset:5200
	ds_load_b32 v0, v1 offset:5460
	s_wait_dscnt 0x0
	v_mul_f32_e32 v0, v28, v0
	s_delay_alu instid0(VALU_DEP_1)
	v_mul_f32_e32 v0, v29, v0
	ds_store_b32 v1, v0 offset:5204
.LBB118_368:                            ;   in Loop: Header=BB118_3 Depth=1
	s_or_b32 exec_lo, exec_lo, s1
	v_mov_b32_e32 v0, 0
	s_wait_dscnt 0x0
	s_barrier_signal -1
	s_barrier_wait -1
	s_and_saveexec_b32 s10, s2
	s_cbranch_execz .LBB118_372
; %bb.369:                              ;   in Loop: Header=BB118_3 Depth=1
	ds_load_b32 v0, v32 offset:5208
	ds_load_b32 v28, v33 offset:5200
	s_wait_dscnt 0x0
	v_fma_f32 v0, v0, v28, 0
	s_and_saveexec_b32 s1, s16
	s_cbranch_execz .LBB118_371
; %bb.370:                              ;   in Loop: Header=BB118_3 Depth=1
	ds_load_b32 v28, v34 offset:5464
	ds_load_b32 v29, v1 offset:5204
	s_wait_dscnt 0x0
	v_fmac_f32_e32 v0, v28, v29
.LBB118_371:                            ;   in Loop: Header=BB118_3 Depth=1
	s_or_b32 exec_lo, exec_lo, s1
	s_delay_alu instid0(VALU_DEP_1)
	v_xor_b32_e32 v0, 0x80000000, v0
.LBB118_372:                            ;   in Loop: Header=BB118_3 Depth=1
	s_or_b32 exec_lo, exec_lo, s10
	s_and_saveexec_b32 s1, s101
	s_cbranch_execz .LBB118_374
; %bb.373:                              ;   in Loop: Header=BB118_3 Depth=1
	ds_load_b32 v28, v1 offset:5720
	s_wait_dscnt 0x0
	v_mul_f32_e32 v0, v0, v28
	ds_store_b32 v3, v0
.LBB118_374:                            ;   in Loop: Header=BB118_3 Depth=1
	s_or_b32 exec_lo, exec_lo, s1
	s_wait_dscnt 0x0
	s_barrier_signal -1
	s_barrier_wait -1
	s_and_saveexec_b32 s1, s102
	s_cbranch_execz .LBB118_376
; %bb.375:                              ;   in Loop: Header=BB118_3 Depth=1
	ds_load_b32 v28, v1 offset:5724
	ds_load_b32 v29, v3
	s_wait_dscnt 0x0
	v_fmac_f32_e32 v0, v28, v29
.LBB118_376:                            ;   in Loop: Header=BB118_3 Depth=1
	s_or_b32 exec_lo, exec_lo, s1
	s_barrier_signal -1
	s_barrier_wait -1
	s_and_saveexec_b32 s1, s102
	s_cbranch_execz .LBB118_378
; %bb.377:                              ;   in Loop: Header=BB118_3 Depth=1
	ds_load_b32 v28, v1 offset:5980
	s_wait_dscnt 0x0
	v_mul_f32_e32 v0, v0, v28
	ds_store_b32 v3, v0
.LBB118_378:                            ;   in Loop: Header=BB118_3 Depth=1
	s_or_b32 exec_lo, exec_lo, s1
	s_wait_dscnt 0x0
	s_barrier_signal -1
	s_barrier_wait -1
	s_barrier_signal -1
	s_barrier_wait -1
	s_and_saveexec_b32 s1, s2
; %bb.379:                              ;   in Loop: Header=BB118_3 Depth=1
	v_xor_b32_e32 v0, 0x80000000, v0
	ds_store_b32 v32, v0 offset:5208
; %bb.380:                              ;   in Loop: Header=BB118_3 Depth=1
	s_or_b32 exec_lo, exec_lo, s1
	s_wait_dscnt 0x0
	s_barrier_signal -1
	s_barrier_wait -1
	s_barrier_signal -1
	s_barrier_wait -1
	s_and_saveexec_b32 s1, s15
	s_cbranch_execz .LBB118_382
; %bb.381:                              ;   in Loop: Header=BB118_3 Depth=1
	ds_load_b64 v[28:29], v1 offset:5720
	ds_load_b32 v0, v1 offset:5980
	s_wait_dscnt 0x0
	v_mul_f32_e32 v0, v28, v0
	s_delay_alu instid0(VALU_DEP_1)
	v_mul_f32_e32 v0, v29, v0
	ds_store_b32 v1, v0 offset:5724
.LBB118_382:                            ;   in Loop: Header=BB118_3 Depth=1
	s_or_b32 exec_lo, exec_lo, s1
	v_mov_b32_e32 v0, 0
	s_wait_dscnt 0x0
	s_barrier_signal -1
	s_barrier_wait -1
	s_and_saveexec_b32 s10, s4
	s_cbranch_execz .LBB118_392
; %bb.383:                              ;   in Loop: Header=BB118_3 Depth=1
	ds_load_b32 v0, v43 offset:4192
	ds_load_b32 v28, v40 offset:4160
	s_wait_dscnt 0x0
	v_fma_f32 v0, v0, v28, 0
	s_and_saveexec_b32 s1, s19
	s_cbranch_execnz .LBB118_1160
; %bb.384:                              ;   in Loop: Header=BB118_3 Depth=1
	s_or_b32 exec_lo, exec_lo, s1
	s_and_saveexec_b32 s1, s20
	s_cbranch_execnz .LBB118_1161
.LBB118_385:                            ;   in Loop: Header=BB118_3 Depth=1
	s_or_b32 exec_lo, exec_lo, s1
	s_and_saveexec_b32 s1, s21
	s_cbranch_execnz .LBB118_1162
.LBB118_386:                            ;   in Loop: Header=BB118_3 Depth=1
	s_or_b32 exec_lo, exec_lo, s1
	s_and_saveexec_b32 s1, s22
	s_cbranch_execnz .LBB118_1163
.LBB118_387:                            ;   in Loop: Header=BB118_3 Depth=1
	s_or_b32 exec_lo, exec_lo, s1
	s_and_saveexec_b32 s1, s23
	s_cbranch_execnz .LBB118_1164
.LBB118_388:                            ;   in Loop: Header=BB118_3 Depth=1
	s_or_b32 exec_lo, exec_lo, s1
	s_and_saveexec_b32 s1, s3
	s_cbranch_execnz .LBB118_1165
.LBB118_389:                            ;   in Loop: Header=BB118_3 Depth=1
	s_or_b32 exec_lo, exec_lo, s1
	s_and_saveexec_b32 s1, s18
	s_cbranch_execz .LBB118_391
.LBB118_390:                            ;   in Loop: Header=BB118_3 Depth=1
	ds_load_b32 v28, v34 offset:5984
	ds_load_b32 v29, v1 offset:4188
	s_wait_dscnt 0x0
	v_fmac_f32_e32 v0, v28, v29
.LBB118_391:                            ;   in Loop: Header=BB118_3 Depth=1
	s_or_b32 exec_lo, exec_lo, s1
	s_delay_alu instid0(VALU_DEP_1)
	v_xor_b32_e32 v0, 0x80000000, v0
.LBB118_392:                            ;   in Loop: Header=BB118_3 Depth=1
	s_or_b32 exec_lo, exec_lo, s10
	s_and_saveexec_b32 s1, s39
	s_cbranch_execz .LBB118_394
; %bb.393:                              ;   in Loop: Header=BB118_3 Depth=1
	ds_load_b32 v28, v1 offset:6240
	s_wait_dscnt 0x0
	v_mul_f32_e32 v0, v0, v28
	ds_store_b32 v42, v0
.LBB118_394:                            ;   in Loop: Header=BB118_3 Depth=1
	s_or_b32 exec_lo, exec_lo, s1
	s_wait_dscnt 0x0
	s_barrier_signal -1
	s_barrier_wait -1
	s_and_saveexec_b32 s1, s40
	s_cbranch_execz .LBB118_396
; %bb.395:                              ;   in Loop: Header=BB118_3 Depth=1
	ds_load_b32 v28, v41 offset:6240
	ds_load_b32 v29, v42
	s_wait_dscnt 0x0
	v_fmac_f32_e32 v0, v28, v29
.LBB118_396:                            ;   in Loop: Header=BB118_3 Depth=1
	s_or_b32 exec_lo, exec_lo, s1
	s_barrier_signal -1
	s_barrier_wait -1
	s_and_saveexec_b32 s1, s41
	s_cbranch_execz .LBB118_398
; %bb.397:                              ;   in Loop: Header=BB118_3 Depth=1
	ds_load_b32 v28, v1 offset:6500
	s_wait_dscnt 0x0
	v_mul_f32_e32 v0, v0, v28
	ds_store_b32 v42, v0
.LBB118_398:                            ;   in Loop: Header=BB118_3 Depth=1
	s_or_b32 exec_lo, exec_lo, s1
	s_wait_dscnt 0x0
	s_barrier_signal -1
	s_barrier_wait -1
	s_and_saveexec_b32 s1, s42
	s_cbranch_execz .LBB118_400
; %bb.399:                              ;   in Loop: Header=BB118_3 Depth=1
	ds_load_b32 v28, v41 offset:6496
	ds_load_b32 v29, v42
	s_wait_dscnt 0x0
	v_fmac_f32_e32 v0, v28, v29
.LBB118_400:                            ;   in Loop: Header=BB118_3 Depth=1
	s_or_b32 exec_lo, exec_lo, s1
	s_barrier_signal -1
	s_barrier_wait -1
	;; [unrolled: 23-line block ×7, first 2 shown]
	s_and_saveexec_b32 s1, s52
	s_cbranch_execz .LBB118_422
; %bb.421:                              ;   in Loop: Header=BB118_3 Depth=1
	ds_load_b32 v28, v1 offset:8060
	s_wait_dscnt 0x0
	v_mul_f32_e32 v0, v0, v28
	ds_store_b32 v42, v0
.LBB118_422:                            ;   in Loop: Header=BB118_3 Depth=1
	s_or_b32 exec_lo, exec_lo, s1
	s_wait_dscnt 0x0
	s_barrier_signal -1
	s_barrier_wait -1
	s_barrier_signal -1
	s_barrier_wait -1
	s_and_saveexec_b32 s1, s4
; %bb.423:                              ;   in Loop: Header=BB118_3 Depth=1
	v_xor_b32_e32 v0, 0x80000000, v0
	ds_store_b32 v43, v0 offset:4192
; %bb.424:                              ;   in Loop: Header=BB118_3 Depth=1
	s_or_b32 exec_lo, exec_lo, s1
	s_wait_dscnt 0x0
	s_barrier_signal -1
	s_barrier_wait -1
	s_barrier_signal -1
	s_barrier_wait -1
	s_and_saveexec_b32 s1, s15
	s_cbranch_execz .LBB118_426
; %bb.425:                              ;   in Loop: Header=BB118_3 Depth=1
	ds_load_b64 v[28:29], v1 offset:6240
	ds_load_b32 v0, v1 offset:6500
	s_wait_dscnt 0x0
	v_mul_f32_e32 v0, v28, v0
	s_delay_alu instid0(VALU_DEP_1)
	v_mul_f32_e32 v0, v29, v0
	ds_store_b32 v1, v0 offset:6244
.LBB118_426:                            ;   in Loop: Header=BB118_3 Depth=1
	s_or_b32 exec_lo, exec_lo, s1
	v_mov_b32_e32 v0, 0
	s_wait_dscnt 0x0
	s_barrier_signal -1
	s_barrier_wait -1
	s_and_saveexec_b32 s10, s2
	s_cbranch_execz .LBB118_430
; %bb.427:                              ;   in Loop: Header=BB118_3 Depth=1
	ds_load_b32 v0, v32 offset:6248
	ds_load_b32 v28, v33 offset:6240
	s_wait_dscnt 0x0
	v_fma_f32 v0, v0, v28, 0
	s_and_saveexec_b32 s1, s16
	s_cbranch_execz .LBB118_429
; %bb.428:                              ;   in Loop: Header=BB118_3 Depth=1
	ds_load_b32 v28, v34 offset:6504
	ds_load_b32 v29, v1 offset:6244
	s_wait_dscnt 0x0
	v_fmac_f32_e32 v0, v28, v29
.LBB118_429:                            ;   in Loop: Header=BB118_3 Depth=1
	s_or_b32 exec_lo, exec_lo, s1
	s_delay_alu instid0(VALU_DEP_1)
	v_xor_b32_e32 v0, 0x80000000, v0
.LBB118_430:                            ;   in Loop: Header=BB118_3 Depth=1
	s_or_b32 exec_lo, exec_lo, s10
	s_and_saveexec_b32 s1, s101
	s_cbranch_execz .LBB118_432
; %bb.431:                              ;   in Loop: Header=BB118_3 Depth=1
	ds_load_b32 v28, v1 offset:6760
	s_wait_dscnt 0x0
	v_mul_f32_e32 v0, v0, v28
	ds_store_b32 v3, v0
.LBB118_432:                            ;   in Loop: Header=BB118_3 Depth=1
	s_or_b32 exec_lo, exec_lo, s1
	s_wait_dscnt 0x0
	s_barrier_signal -1
	s_barrier_wait -1
	s_and_saveexec_b32 s1, s102
	s_cbranch_execz .LBB118_434
; %bb.433:                              ;   in Loop: Header=BB118_3 Depth=1
	ds_load_b32 v28, v1 offset:6764
	ds_load_b32 v29, v3
	s_wait_dscnt 0x0
	v_fmac_f32_e32 v0, v28, v29
.LBB118_434:                            ;   in Loop: Header=BB118_3 Depth=1
	s_or_b32 exec_lo, exec_lo, s1
	s_barrier_signal -1
	s_barrier_wait -1
	s_and_saveexec_b32 s1, s102
	s_cbranch_execz .LBB118_436
; %bb.435:                              ;   in Loop: Header=BB118_3 Depth=1
	ds_load_b32 v28, v1 offset:7020
	s_wait_dscnt 0x0
	v_mul_f32_e32 v0, v0, v28
	ds_store_b32 v3, v0
.LBB118_436:                            ;   in Loop: Header=BB118_3 Depth=1
	s_or_b32 exec_lo, exec_lo, s1
	s_wait_dscnt 0x0
	s_barrier_signal -1
	s_barrier_wait -1
	s_barrier_signal -1
	s_barrier_wait -1
	s_and_saveexec_b32 s1, s2
; %bb.437:                              ;   in Loop: Header=BB118_3 Depth=1
	v_xor_b32_e32 v0, 0x80000000, v0
	ds_store_b32 v32, v0 offset:6248
; %bb.438:                              ;   in Loop: Header=BB118_3 Depth=1
	s_or_b32 exec_lo, exec_lo, s1
	s_wait_dscnt 0x0
	s_barrier_signal -1
	s_barrier_wait -1
	s_barrier_signal -1
	s_barrier_wait -1
	s_and_saveexec_b32 s1, s15
	s_cbranch_execz .LBB118_440
; %bb.439:                              ;   in Loop: Header=BB118_3 Depth=1
	ds_load_b64 v[28:29], v1 offset:6760
	ds_load_b32 v0, v1 offset:7020
	s_wait_dscnt 0x0
	v_mul_f32_e32 v0, v28, v0
	s_delay_alu instid0(VALU_DEP_1)
	v_mul_f32_e32 v0, v29, v0
	ds_store_b32 v1, v0 offset:6764
.LBB118_440:                            ;   in Loop: Header=BB118_3 Depth=1
	s_or_b32 exec_lo, exec_lo, s1
	v_mov_b32_e32 v0, 0
	s_wait_dscnt 0x0
	s_barrier_signal -1
	s_barrier_wait -1
	s_and_saveexec_b32 s10, s3
	s_cbranch_execz .LBB118_446
; %bb.441:                              ;   in Loop: Header=BB118_3 Depth=1
	ds_load_b32 v0, v38 offset:6256
	ds_load_b32 v28, v35 offset:6240
	s_wait_dscnt 0x0
	v_fma_f32 v0, v0, v28, 0
	s_and_saveexec_b32 s1, s17
	s_cbranch_execnz .LBB118_1166
; %bb.442:                              ;   in Loop: Header=BB118_3 Depth=1
	s_or_b32 exec_lo, exec_lo, s1
	s_and_saveexec_b32 s1, s18
	s_cbranch_execnz .LBB118_1167
.LBB118_443:                            ;   in Loop: Header=BB118_3 Depth=1
	s_or_b32 exec_lo, exec_lo, s1
	s_and_saveexec_b32 s1, s2
	s_cbranch_execz .LBB118_445
.LBB118_444:                            ;   in Loop: Header=BB118_3 Depth=1
	ds_load_b32 v28, v34 offset:7024
	ds_load_b32 v29, v1 offset:6252
	s_wait_dscnt 0x0
	v_fmac_f32_e32 v0, v28, v29
.LBB118_445:                            ;   in Loop: Header=BB118_3 Depth=1
	s_or_b32 exec_lo, exec_lo, s1
	s_delay_alu instid0(VALU_DEP_1)
	v_xor_b32_e32 v0, 0x80000000, v0
.LBB118_446:                            ;   in Loop: Header=BB118_3 Depth=1
	s_or_b32 exec_lo, exec_lo, s10
	s_and_saveexec_b32 s1, s103
	s_cbranch_execz .LBB118_448
; %bb.447:                              ;   in Loop: Header=BB118_3 Depth=1
	ds_load_b32 v28, v1 offset:7280
	s_wait_dscnt 0x0
	v_mul_f32_e32 v0, v0, v28
	ds_store_b32 v37, v0
.LBB118_448:                            ;   in Loop: Header=BB118_3 Depth=1
	s_or_b32 exec_lo, exec_lo, s1
	s_wait_dscnt 0x0
	s_barrier_signal -1
	s_barrier_wait -1
	s_and_saveexec_b32 s1, s104
	s_cbranch_execz .LBB118_450
; %bb.449:                              ;   in Loop: Header=BB118_3 Depth=1
	ds_load_b32 v28, v36 offset:7280
	ds_load_b32 v29, v37
	s_wait_dscnt 0x0
	v_fmac_f32_e32 v0, v28, v29
.LBB118_450:                            ;   in Loop: Header=BB118_3 Depth=1
	s_or_b32 exec_lo, exec_lo, s1
	s_barrier_signal -1
	s_barrier_wait -1
	s_and_saveexec_b32 s1, vcc_hi
	s_cbranch_execz .LBB118_452
; %bb.451:                              ;   in Loop: Header=BB118_3 Depth=1
	ds_load_b32 v28, v1 offset:7540
	s_wait_dscnt 0x0
	v_mul_f32_e32 v0, v0, v28
	ds_store_b32 v37, v0
.LBB118_452:                            ;   in Loop: Header=BB118_3 Depth=1
	s_or_b32 exec_lo, exec_lo, s1
	s_wait_dscnt 0x0
	s_barrier_signal -1
	s_barrier_wait -1
	s_and_saveexec_b32 s1, s36
	s_cbranch_execz .LBB118_454
; %bb.453:                              ;   in Loop: Header=BB118_3 Depth=1
	ds_load_b32 v28, v36 offset:7536
	ds_load_b32 v29, v37
	s_wait_dscnt 0x0
	v_fmac_f32_e32 v0, v28, v29
.LBB118_454:                            ;   in Loop: Header=BB118_3 Depth=1
	s_or_b32 exec_lo, exec_lo, s1
	s_barrier_signal -1
	s_barrier_wait -1
	s_and_saveexec_b32 s1, s37
	s_cbranch_execz .LBB118_456
; %bb.455:                              ;   in Loop: Header=BB118_3 Depth=1
	ds_load_b32 v28, v1 offset:7800
	s_wait_dscnt 0x0
	v_mul_f32_e32 v0, v0, v28
	ds_store_b32 v37, v0
.LBB118_456:                            ;   in Loop: Header=BB118_3 Depth=1
	s_or_b32 exec_lo, exec_lo, s1
	s_wait_dscnt 0x0
	s_barrier_signal -1
	s_barrier_wait -1
	s_and_saveexec_b32 s1, s38
	s_cbranch_execz .LBB118_458
; %bb.457:                              ;   in Loop: Header=BB118_3 Depth=1
	ds_load_b32 v28, v1 offset:7804
	ds_load_b32 v29, v37
	s_wait_dscnt 0x0
	v_fmac_f32_e32 v0, v28, v29
.LBB118_458:                            ;   in Loop: Header=BB118_3 Depth=1
	s_or_b32 exec_lo, exec_lo, s1
	s_barrier_signal -1
	s_barrier_wait -1
	s_and_saveexec_b32 s1, s38
	s_cbranch_execz .LBB118_460
; %bb.459:                              ;   in Loop: Header=BB118_3 Depth=1
	ds_load_b32 v28, v1 offset:8060
	s_wait_dscnt 0x0
	v_mul_f32_e32 v0, v0, v28
	ds_store_b32 v37, v0
.LBB118_460:                            ;   in Loop: Header=BB118_3 Depth=1
	s_or_b32 exec_lo, exec_lo, s1
	s_wait_dscnt 0x0
	s_barrier_signal -1
	s_barrier_wait -1
	s_barrier_signal -1
	s_barrier_wait -1
	s_and_saveexec_b32 s1, s3
; %bb.461:                              ;   in Loop: Header=BB118_3 Depth=1
	v_xor_b32_e32 v0, 0x80000000, v0
	ds_store_b32 v38, v0 offset:6256
; %bb.462:                              ;   in Loop: Header=BB118_3 Depth=1
	s_or_b32 exec_lo, exec_lo, s1
	s_wait_dscnt 0x0
	s_barrier_signal -1
	s_barrier_wait -1
	s_barrier_signal -1
	s_barrier_wait -1
	s_and_saveexec_b32 s1, s15
	s_cbranch_execz .LBB118_464
; %bb.463:                              ;   in Loop: Header=BB118_3 Depth=1
	ds_load_b64 v[28:29], v1 offset:7280
	ds_load_b32 v0, v1 offset:7540
	s_wait_dscnt 0x0
	v_mul_f32_e32 v0, v28, v0
	s_delay_alu instid0(VALU_DEP_1)
	v_mul_f32_e32 v0, v29, v0
	ds_store_b32 v1, v0 offset:7284
.LBB118_464:                            ;   in Loop: Header=BB118_3 Depth=1
	s_or_b32 exec_lo, exec_lo, s1
	v_mov_b32_e32 v0, 0
	s_wait_dscnt 0x0
	s_barrier_signal -1
	s_barrier_wait -1
	s_and_saveexec_b32 s10, s2
	s_cbranch_execz .LBB118_468
; %bb.465:                              ;   in Loop: Header=BB118_3 Depth=1
	ds_load_b32 v0, v32 offset:7288
	ds_load_b32 v28, v33 offset:7280
	s_wait_dscnt 0x0
	v_fma_f32 v0, v0, v28, 0
	s_and_saveexec_b32 s1, s16
	s_cbranch_execz .LBB118_467
; %bb.466:                              ;   in Loop: Header=BB118_3 Depth=1
	ds_load_b32 v28, v34 offset:7544
	ds_load_b32 v29, v1 offset:7284
	s_wait_dscnt 0x0
	v_fmac_f32_e32 v0, v28, v29
.LBB118_467:                            ;   in Loop: Header=BB118_3 Depth=1
	s_or_b32 exec_lo, exec_lo, s1
	s_delay_alu instid0(VALU_DEP_1)
	v_xor_b32_e32 v0, 0x80000000, v0
.LBB118_468:                            ;   in Loop: Header=BB118_3 Depth=1
	s_or_b32 exec_lo, exec_lo, s10
	s_and_saveexec_b32 s1, s101
	s_cbranch_execz .LBB118_470
; %bb.469:                              ;   in Loop: Header=BB118_3 Depth=1
	ds_load_b32 v28, v1 offset:7800
	s_wait_dscnt 0x0
	v_mul_f32_e32 v0, v0, v28
	ds_store_b32 v3, v0
.LBB118_470:                            ;   in Loop: Header=BB118_3 Depth=1
	s_or_b32 exec_lo, exec_lo, s1
	s_wait_dscnt 0x0
	s_barrier_signal -1
	s_barrier_wait -1
	s_and_saveexec_b32 s1, s102
	s_cbranch_execz .LBB118_472
; %bb.471:                              ;   in Loop: Header=BB118_3 Depth=1
	ds_load_b32 v28, v1 offset:7804
	ds_load_b32 v29, v3
	s_wait_dscnt 0x0
	v_fmac_f32_e32 v0, v28, v29
.LBB118_472:                            ;   in Loop: Header=BB118_3 Depth=1
	s_or_b32 exec_lo, exec_lo, s1
	s_barrier_signal -1
	s_barrier_wait -1
	s_and_saveexec_b32 s1, s102
	s_cbranch_execz .LBB118_474
; %bb.473:                              ;   in Loop: Header=BB118_3 Depth=1
	ds_load_b32 v28, v1 offset:8060
	s_wait_dscnt 0x0
	v_mul_f32_e32 v0, v0, v28
	ds_store_b32 v3, v0
.LBB118_474:                            ;   in Loop: Header=BB118_3 Depth=1
	s_or_b32 exec_lo, exec_lo, s1
	s_wait_dscnt 0x0
	s_barrier_signal -1
	s_barrier_wait -1
	s_barrier_signal -1
	s_barrier_wait -1
	s_and_saveexec_b32 s1, s2
; %bb.475:                              ;   in Loop: Header=BB118_3 Depth=1
	v_xor_b32_e32 v0, 0x80000000, v0
	ds_store_b32 v32, v0 offset:7288
; %bb.476:                              ;   in Loop: Header=BB118_3 Depth=1
	s_or_b32 exec_lo, exec_lo, s1
	s_wait_dscnt 0x0
	s_barrier_signal -1
	s_barrier_wait -1
	s_barrier_signal -1
	s_barrier_wait -1
	s_and_saveexec_b32 s1, s15
	s_cbranch_execz .LBB118_478
; %bb.477:                              ;   in Loop: Header=BB118_3 Depth=1
	ds_load_b64 v[28:29], v1 offset:7800
	ds_load_b32 v0, v1 offset:8060
	s_wait_dscnt 0x0
	v_mul_f32_e32 v0, v28, v0
	s_delay_alu instid0(VALU_DEP_1)
	v_mul_f32_e32 v0, v29, v0
	ds_store_b32 v1, v0 offset:7804
.LBB118_478:                            ;   in Loop: Header=BB118_3 Depth=1
	s_or_b32 exec_lo, exec_lo, s1
	v_mov_b32_e32 v0, 0
	s_wait_dscnt 0x0
	s_barrier_signal -1
	s_barrier_wait -1
	s_and_saveexec_b32 s69, s6
	s_cbranch_execz .LBB118_539
; %bb.479:                              ;   in Loop: Header=BB118_3 Depth=1
	v_add_nc_u32_e32 v28, v51, v50
	ds_load_b32 v0, v54 offset:128
	ds_load_b32 v29, v28
	s_wait_dscnt 0x0
	v_fma_f32 v0, v0, v29, 0
	s_mov_b32 s1, exec_lo
	v_readlane_b32 s8, v74, 1
	s_and_b32 s8, s1, s8
	s_delay_alu instid0(SALU_CYCLE_1)
	s_mov_b32 exec_lo, s8
	s_cbranch_execz .LBB118_481
; %bb.480:                              ;   in Loop: Header=BB118_3 Depth=1
	ds_load_b32 v29, v54 offset:384
	ds_load_b32 v68, v28 offset:4
	s_wait_dscnt 0x0
	v_fmac_f32_e32 v0, v29, v68
.LBB118_481:                            ;   in Loop: Header=BB118_3 Depth=1
	s_or_b32 exec_lo, exec_lo, s1
	s_delay_alu instid0(SALU_CYCLE_1) | instskip(SKIP_2) | instid1(SALU_CYCLE_1)
	s_mov_b32 s1, exec_lo
	v_readlane_b32 s8, v74, 2
	s_and_b32 s8, s1, s8
	s_mov_b32 exec_lo, s8
	s_cbranch_execz .LBB118_483
; %bb.482:                              ;   in Loop: Header=BB118_3 Depth=1
	ds_load_b32 v29, v54 offset:640
	ds_load_b32 v68, v28 offset:8
	s_wait_dscnt 0x0
	v_fmac_f32_e32 v0, v29, v68
.LBB118_483:                            ;   in Loop: Header=BB118_3 Depth=1
	s_or_b32 exec_lo, exec_lo, s1
	s_delay_alu instid0(SALU_CYCLE_1) | instskip(SKIP_2) | instid1(SALU_CYCLE_1)
	s_mov_b32 s1, exec_lo
	v_readlane_b32 s8, v74, 3
	s_and_b32 s8, s1, s8
	;; [unrolled: 13-line block ×22, first 2 shown]
	s_mov_b32 exec_lo, s8
	s_cbranch_execz .LBB118_525
; %bb.524:                              ;   in Loop: Header=BB118_3 Depth=1
	ds_load_b32 v29, v54 offset:6016
	ds_load_b32 v68, v28 offset:92
	s_wait_dscnt 0x0
	v_fmac_f32_e32 v0, v29, v68
.LBB118_525:                            ;   in Loop: Header=BB118_3 Depth=1
	s_or_b32 exec_lo, exec_lo, s1
	s_and_saveexec_b32 s1, s5
	s_cbranch_execz .LBB118_527
; %bb.526:                              ;   in Loop: Header=BB118_3 Depth=1
	ds_load_b32 v29, v54 offset:6272
	ds_load_b32 v68, v28 offset:96
	s_wait_dscnt 0x0
	v_fmac_f32_e32 v0, v29, v68
.LBB118_527:                            ;   in Loop: Header=BB118_3 Depth=1
	s_or_b32 exec_lo, exec_lo, s1
	s_delay_alu instid0(SALU_CYCLE_1) | instskip(SKIP_2) | instid1(SALU_CYCLE_1)
	s_mov_b32 s1, exec_lo
	v_readlane_b32 s8, v75, 24
	s_and_b32 s8, s1, s8
	s_mov_b32 exec_lo, s8
	s_cbranch_execz .LBB118_529
; %bb.528:                              ;   in Loop: Header=BB118_3 Depth=1
	ds_load_b32 v29, v54 offset:6528
	ds_load_b32 v68, v28 offset:100
	s_wait_dscnt 0x0
	v_fmac_f32_e32 v0, v29, v68
.LBB118_529:                            ;   in Loop: Header=BB118_3 Depth=1
	s_or_b32 exec_lo, exec_lo, s1
	s_delay_alu instid0(SALU_CYCLE_1) | instskip(SKIP_2) | instid1(SALU_CYCLE_1)
	s_mov_b32 s1, exec_lo
	v_readlane_b32 s8, v75, 26
	s_and_b32 s8, s1, s8
	s_mov_b32 exec_lo, s8
	;; [unrolled: 13-line block ×4, first 2 shown]
	s_cbranch_execnz .LBB118_1168
; %bb.534:                              ;   in Loop: Header=BB118_3 Depth=1
	s_or_b32 exec_lo, exec_lo, s1
	s_and_saveexec_b32 s1, s9
	s_cbranch_execnz .LBB118_1169
.LBB118_535:                            ;   in Loop: Header=BB118_3 Depth=1
	s_or_b32 exec_lo, exec_lo, s1
	s_and_saveexec_b32 s1, s4
	s_cbranch_execnz .LBB118_1170
.LBB118_536:                            ;   in Loop: Header=BB118_3 Depth=1
	s_or_b32 exec_lo, exec_lo, s1
	s_and_saveexec_b32 s1, s22
	s_cbranch_execz .LBB118_538
.LBB118_537:                            ;   in Loop: Header=BB118_3 Depth=1
	ds_load_b32 v28, v34 offset:8064
	ds_load_b32 v29, v1 offset:124
	s_wait_dscnt 0x0
	v_fmac_f32_e32 v0, v28, v29
.LBB118_538:                            ;   in Loop: Header=BB118_3 Depth=1
	s_or_b32 exec_lo, exec_lo, s1
	s_delay_alu instid0(VALU_DEP_1)
	v_xor_b32_e32 v0, 0x80000000, v0
.LBB118_539:                            ;   in Loop: Header=BB118_3 Depth=1
	s_or_b32 exec_lo, exec_lo, s69
	s_delay_alu instid0(SALU_CYCLE_1) | instskip(SKIP_2) | instid1(SALU_CYCLE_1)
	s_mov_b32 s1, exec_lo
	v_readlane_b32 s8, v77, 4
	s_and_b32 s8, s1, s8
	s_mov_b32 exec_lo, s8
	s_cbranch_execz .LBB118_541
; %bb.540:                              ;   in Loop: Header=BB118_3 Depth=1
	ds_load_b32 v28, v1 offset:8320
	s_wait_dscnt 0x0
	v_mul_f32_e32 v0, v0, v28
	ds_store_b32 v53, v0
.LBB118_541:                            ;   in Loop: Header=BB118_3 Depth=1
	s_or_b32 exec_lo, exec_lo, s1
	s_wait_dscnt 0x0
	s_barrier_signal -1
	s_barrier_wait -1
	s_mov_b32 s1, exec_lo
	v_readlane_b32 s8, v77, 5
	s_and_b32 s8, s1, s8
	s_delay_alu instid0(SALU_CYCLE_1)
	s_mov_b32 exec_lo, s8
	s_cbranch_execz .LBB118_543
; %bb.542:                              ;   in Loop: Header=BB118_3 Depth=1
	ds_load_b32 v28, v52 offset:8320
	ds_load_b32 v29, v53
	s_wait_dscnt 0x0
	v_fmac_f32_e32 v0, v28, v29
.LBB118_543:                            ;   in Loop: Header=BB118_3 Depth=1
	s_or_b32 exec_lo, exec_lo, s1
	s_barrier_signal -1
	s_barrier_wait -1
	s_mov_b32 s1, exec_lo
	v_readlane_b32 s8, v77, 6
	s_and_b32 s8, s1, s8
	s_delay_alu instid0(SALU_CYCLE_1)
	s_mov_b32 exec_lo, s8
	s_cbranch_execz .LBB118_545
; %bb.544:                              ;   in Loop: Header=BB118_3 Depth=1
	ds_load_b32 v28, v1 offset:8580
	s_wait_dscnt 0x0
	v_mul_f32_e32 v0, v0, v28
	ds_store_b32 v53, v0
.LBB118_545:                            ;   in Loop: Header=BB118_3 Depth=1
	s_or_b32 exec_lo, exec_lo, s1
	s_wait_dscnt 0x0
	s_barrier_signal -1
	s_barrier_wait -1
	s_mov_b32 s1, exec_lo
	v_readlane_b32 s8, v77, 7
	s_and_b32 s8, s1, s8
	s_delay_alu instid0(SALU_CYCLE_1)
	s_mov_b32 exec_lo, s8
	s_cbranch_execz .LBB118_547
; %bb.546:                              ;   in Loop: Header=BB118_3 Depth=1
	ds_load_b32 v28, v52 offset:8576
	ds_load_b32 v29, v53
	s_wait_dscnt 0x0
	v_fmac_f32_e32 v0, v28, v29
.LBB118_547:                            ;   in Loop: Header=BB118_3 Depth=1
	s_or_b32 exec_lo, exec_lo, s1
	s_barrier_signal -1
	s_barrier_wait -1
	s_mov_b32 s1, exec_lo
	v_readlane_b32 s8, v77, 8
	s_and_b32 s8, s1, s8
	s_delay_alu instid0(SALU_CYCLE_1)
	;; [unrolled: 31-line block ×30, first 2 shown]
	s_mov_b32 exec_lo, s8
	s_cbranch_execz .LBB118_661
; %bb.660:                              ;   in Loop: Header=BB118_3 Depth=1
	ds_load_b32 v28, v1 offset:16120
	s_wait_dscnt 0x0
	v_mul_f32_e32 v0, v0, v28
	ds_store_b32 v53, v0
.LBB118_661:                            ;   in Loop: Header=BB118_3 Depth=1
	s_or_b32 exec_lo, exec_lo, s1
	s_wait_dscnt 0x0
	s_barrier_signal -1
	s_barrier_wait -1
	s_and_saveexec_b32 s1, s13
	s_cbranch_execz .LBB118_663
; %bb.662:                              ;   in Loop: Header=BB118_3 Depth=1
	ds_load_b32 v28, v1 offset:16124
	ds_load_b32 v29, v53
	s_wait_dscnt 0x0
	v_fmac_f32_e32 v0, v28, v29
.LBB118_663:                            ;   in Loop: Header=BB118_3 Depth=1
	s_or_b32 exec_lo, exec_lo, s1
	s_barrier_signal -1
	s_barrier_wait -1
	s_and_saveexec_b32 s1, s13
	s_cbranch_execz .LBB118_665
; %bb.664:                              ;   in Loop: Header=BB118_3 Depth=1
	ds_load_b32 v28, v1 offset:16380
	s_wait_dscnt 0x0
	v_mul_f32_e32 v0, v0, v28
	ds_store_b32 v53, v0
.LBB118_665:                            ;   in Loop: Header=BB118_3 Depth=1
	s_or_b32 exec_lo, exec_lo, s1
	s_wait_dscnt 0x0
	s_barrier_signal -1
	s_barrier_wait -1
	s_barrier_signal -1
	s_barrier_wait -1
	s_and_saveexec_b32 s1, s6
; %bb.666:                              ;   in Loop: Header=BB118_3 Depth=1
	v_xor_b32_e32 v0, 0x80000000, v0
	ds_store_b32 v54, v0 offset:128
; %bb.667:                              ;   in Loop: Header=BB118_3 Depth=1
	s_or_b32 exec_lo, exec_lo, s1
	s_wait_dscnt 0x0
	s_barrier_signal -1
	s_barrier_wait -1
	s_barrier_signal -1
	s_barrier_wait -1
	s_and_saveexec_b32 s1, s15
	s_cbranch_execz .LBB118_669
; %bb.668:                              ;   in Loop: Header=BB118_3 Depth=1
	ds_load_b64 v[28:29], v1 offset:8320
	ds_load_b32 v0, v1 offset:8580
	s_wait_dscnt 0x0
	v_mul_f32_e32 v0, v28, v0
	s_delay_alu instid0(VALU_DEP_1)
	v_mul_f32_e32 v0, v29, v0
	ds_store_b32 v1, v0 offset:8324
.LBB118_669:                            ;   in Loop: Header=BB118_3 Depth=1
	s_or_b32 exec_lo, exec_lo, s1
	v_mov_b32_e32 v0, 0
	s_wait_dscnt 0x0
	s_barrier_signal -1
	s_barrier_wait -1
	s_and_saveexec_b32 s10, s2
	s_cbranch_execz .LBB118_673
; %bb.670:                              ;   in Loop: Header=BB118_3 Depth=1
	ds_load_b32 v0, v32 offset:8328
	ds_load_b32 v28, v33 offset:8320
	s_wait_dscnt 0x0
	v_fma_f32 v0, v0, v28, 0
	s_and_saveexec_b32 s1, s16
	s_cbranch_execz .LBB118_672
; %bb.671:                              ;   in Loop: Header=BB118_3 Depth=1
	ds_load_b32 v28, v34 offset:8584
	ds_load_b32 v29, v1 offset:8324
	s_wait_dscnt 0x0
	v_fmac_f32_e32 v0, v28, v29
.LBB118_672:                            ;   in Loop: Header=BB118_3 Depth=1
	s_or_b32 exec_lo, exec_lo, s1
	s_delay_alu instid0(VALU_DEP_1)
	v_xor_b32_e32 v0, 0x80000000, v0
.LBB118_673:                            ;   in Loop: Header=BB118_3 Depth=1
	s_or_b32 exec_lo, exec_lo, s10
	s_and_saveexec_b32 s1, s101
	s_cbranch_execz .LBB118_675
; %bb.674:                              ;   in Loop: Header=BB118_3 Depth=1
	ds_load_b32 v28, v1 offset:8840
	s_wait_dscnt 0x0
	v_mul_f32_e32 v0, v0, v28
	ds_store_b32 v3, v0
.LBB118_675:                            ;   in Loop: Header=BB118_3 Depth=1
	s_or_b32 exec_lo, exec_lo, s1
	s_wait_dscnt 0x0
	s_barrier_signal -1
	s_barrier_wait -1
	s_and_saveexec_b32 s1, s102
	s_cbranch_execz .LBB118_677
; %bb.676:                              ;   in Loop: Header=BB118_3 Depth=1
	ds_load_b32 v28, v1 offset:8844
	ds_load_b32 v29, v3
	s_wait_dscnt 0x0
	v_fmac_f32_e32 v0, v28, v29
.LBB118_677:                            ;   in Loop: Header=BB118_3 Depth=1
	s_or_b32 exec_lo, exec_lo, s1
	s_barrier_signal -1
	s_barrier_wait -1
	s_and_saveexec_b32 s1, s102
	s_cbranch_execz .LBB118_679
; %bb.678:                              ;   in Loop: Header=BB118_3 Depth=1
	ds_load_b32 v28, v1 offset:9100
	s_wait_dscnt 0x0
	v_mul_f32_e32 v0, v0, v28
	ds_store_b32 v3, v0
.LBB118_679:                            ;   in Loop: Header=BB118_3 Depth=1
	s_or_b32 exec_lo, exec_lo, s1
	s_wait_dscnt 0x0
	s_barrier_signal -1
	s_barrier_wait -1
	s_barrier_signal -1
	s_barrier_wait -1
	s_and_saveexec_b32 s1, s2
; %bb.680:                              ;   in Loop: Header=BB118_3 Depth=1
	v_xor_b32_e32 v0, 0x80000000, v0
	ds_store_b32 v32, v0 offset:8328
; %bb.681:                              ;   in Loop: Header=BB118_3 Depth=1
	s_or_b32 exec_lo, exec_lo, s1
	s_wait_dscnt 0x0
	s_barrier_signal -1
	s_barrier_wait -1
	s_barrier_signal -1
	s_barrier_wait -1
	s_and_saveexec_b32 s1, s15
	s_cbranch_execz .LBB118_683
; %bb.682:                              ;   in Loop: Header=BB118_3 Depth=1
	ds_load_b64 v[28:29], v1 offset:8840
	ds_load_b32 v0, v1 offset:9100
	s_wait_dscnt 0x0
	v_mul_f32_e32 v0, v28, v0
	s_delay_alu instid0(VALU_DEP_1)
	v_mul_f32_e32 v0, v29, v0
	ds_store_b32 v1, v0 offset:8844
.LBB118_683:                            ;   in Loop: Header=BB118_3 Depth=1
	s_or_b32 exec_lo, exec_lo, s1
	v_mov_b32_e32 v0, 0
	s_wait_dscnt 0x0
	s_barrier_signal -1
	s_barrier_wait -1
	s_and_saveexec_b32 s10, s3
	s_cbranch_execz .LBB118_689
; %bb.684:                              ;   in Loop: Header=BB118_3 Depth=1
	ds_load_b32 v0, v38 offset:8336
	ds_load_b32 v28, v35 offset:8320
	s_wait_dscnt 0x0
	v_fma_f32 v0, v0, v28, 0
	s_and_saveexec_b32 s1, s17
	s_cbranch_execnz .LBB118_1171
; %bb.685:                              ;   in Loop: Header=BB118_3 Depth=1
	s_or_b32 exec_lo, exec_lo, s1
	s_and_saveexec_b32 s1, s18
	s_cbranch_execnz .LBB118_1172
.LBB118_686:                            ;   in Loop: Header=BB118_3 Depth=1
	s_or_b32 exec_lo, exec_lo, s1
	s_and_saveexec_b32 s1, s2
	s_cbranch_execz .LBB118_688
.LBB118_687:                            ;   in Loop: Header=BB118_3 Depth=1
	ds_load_b32 v28, v34 offset:9104
	ds_load_b32 v29, v1 offset:8332
	s_wait_dscnt 0x0
	v_fmac_f32_e32 v0, v28, v29
.LBB118_688:                            ;   in Loop: Header=BB118_3 Depth=1
	s_or_b32 exec_lo, exec_lo, s1
	s_delay_alu instid0(VALU_DEP_1)
	v_xor_b32_e32 v0, 0x80000000, v0
.LBB118_689:                            ;   in Loop: Header=BB118_3 Depth=1
	s_or_b32 exec_lo, exec_lo, s10
	s_and_saveexec_b32 s1, s103
	s_cbranch_execz .LBB118_691
; %bb.690:                              ;   in Loop: Header=BB118_3 Depth=1
	ds_load_b32 v28, v1 offset:9360
	s_wait_dscnt 0x0
	v_mul_f32_e32 v0, v0, v28
	ds_store_b32 v37, v0
.LBB118_691:                            ;   in Loop: Header=BB118_3 Depth=1
	s_or_b32 exec_lo, exec_lo, s1
	s_wait_dscnt 0x0
	s_barrier_signal -1
	s_barrier_wait -1
	s_and_saveexec_b32 s1, s104
	s_cbranch_execz .LBB118_693
; %bb.692:                              ;   in Loop: Header=BB118_3 Depth=1
	ds_load_b32 v28, v36 offset:9360
	ds_load_b32 v29, v37
	s_wait_dscnt 0x0
	v_fmac_f32_e32 v0, v28, v29
.LBB118_693:                            ;   in Loop: Header=BB118_3 Depth=1
	s_or_b32 exec_lo, exec_lo, s1
	s_barrier_signal -1
	s_barrier_wait -1
	s_and_saveexec_b32 s1, vcc_hi
	s_cbranch_execz .LBB118_695
; %bb.694:                              ;   in Loop: Header=BB118_3 Depth=1
	ds_load_b32 v28, v1 offset:9620
	s_wait_dscnt 0x0
	v_mul_f32_e32 v0, v0, v28
	ds_store_b32 v37, v0
.LBB118_695:                            ;   in Loop: Header=BB118_3 Depth=1
	s_or_b32 exec_lo, exec_lo, s1
	s_wait_dscnt 0x0
	s_barrier_signal -1
	s_barrier_wait -1
	s_and_saveexec_b32 s1, s36
	s_cbranch_execz .LBB118_697
; %bb.696:                              ;   in Loop: Header=BB118_3 Depth=1
	ds_load_b32 v28, v36 offset:9616
	ds_load_b32 v29, v37
	s_wait_dscnt 0x0
	v_fmac_f32_e32 v0, v28, v29
.LBB118_697:                            ;   in Loop: Header=BB118_3 Depth=1
	s_or_b32 exec_lo, exec_lo, s1
	s_barrier_signal -1
	s_barrier_wait -1
	s_and_saveexec_b32 s1, s37
	s_cbranch_execz .LBB118_699
; %bb.698:                              ;   in Loop: Header=BB118_3 Depth=1
	ds_load_b32 v28, v1 offset:9880
	s_wait_dscnt 0x0
	v_mul_f32_e32 v0, v0, v28
	ds_store_b32 v37, v0
.LBB118_699:                            ;   in Loop: Header=BB118_3 Depth=1
	s_or_b32 exec_lo, exec_lo, s1
	s_wait_dscnt 0x0
	s_barrier_signal -1
	s_barrier_wait -1
	s_and_saveexec_b32 s1, s38
	s_cbranch_execz .LBB118_701
; %bb.700:                              ;   in Loop: Header=BB118_3 Depth=1
	ds_load_b32 v28, v1 offset:9884
	ds_load_b32 v29, v37
	s_wait_dscnt 0x0
	v_fmac_f32_e32 v0, v28, v29
.LBB118_701:                            ;   in Loop: Header=BB118_3 Depth=1
	s_or_b32 exec_lo, exec_lo, s1
	s_barrier_signal -1
	s_barrier_wait -1
	s_and_saveexec_b32 s1, s38
	s_cbranch_execz .LBB118_703
; %bb.702:                              ;   in Loop: Header=BB118_3 Depth=1
	ds_load_b32 v28, v1 offset:10140
	s_wait_dscnt 0x0
	v_mul_f32_e32 v0, v0, v28
	ds_store_b32 v37, v0
.LBB118_703:                            ;   in Loop: Header=BB118_3 Depth=1
	s_or_b32 exec_lo, exec_lo, s1
	s_wait_dscnt 0x0
	s_barrier_signal -1
	s_barrier_wait -1
	s_barrier_signal -1
	s_barrier_wait -1
	s_and_saveexec_b32 s1, s3
; %bb.704:                              ;   in Loop: Header=BB118_3 Depth=1
	v_xor_b32_e32 v0, 0x80000000, v0
	ds_store_b32 v38, v0 offset:8336
; %bb.705:                              ;   in Loop: Header=BB118_3 Depth=1
	s_or_b32 exec_lo, exec_lo, s1
	s_wait_dscnt 0x0
	s_barrier_signal -1
	s_barrier_wait -1
	s_barrier_signal -1
	s_barrier_wait -1
	s_and_saveexec_b32 s1, s15
	s_cbranch_execz .LBB118_707
; %bb.706:                              ;   in Loop: Header=BB118_3 Depth=1
	ds_load_b64 v[28:29], v1 offset:9360
	ds_load_b32 v0, v1 offset:9620
	s_wait_dscnt 0x0
	v_mul_f32_e32 v0, v28, v0
	s_delay_alu instid0(VALU_DEP_1)
	v_mul_f32_e32 v0, v29, v0
	ds_store_b32 v1, v0 offset:9364
.LBB118_707:                            ;   in Loop: Header=BB118_3 Depth=1
	s_or_b32 exec_lo, exec_lo, s1
	v_mov_b32_e32 v0, 0
	s_wait_dscnt 0x0
	s_barrier_signal -1
	s_barrier_wait -1
	s_and_saveexec_b32 s10, s2
	s_cbranch_execz .LBB118_711
; %bb.708:                              ;   in Loop: Header=BB118_3 Depth=1
	ds_load_b32 v0, v32 offset:9368
	ds_load_b32 v28, v33 offset:9360
	s_wait_dscnt 0x0
	v_fma_f32 v0, v0, v28, 0
	s_and_saveexec_b32 s1, s16
	s_cbranch_execz .LBB118_710
; %bb.709:                              ;   in Loop: Header=BB118_3 Depth=1
	ds_load_b32 v28, v34 offset:9624
	ds_load_b32 v29, v1 offset:9364
	s_wait_dscnt 0x0
	v_fmac_f32_e32 v0, v28, v29
.LBB118_710:                            ;   in Loop: Header=BB118_3 Depth=1
	s_or_b32 exec_lo, exec_lo, s1
	s_delay_alu instid0(VALU_DEP_1)
	v_xor_b32_e32 v0, 0x80000000, v0
.LBB118_711:                            ;   in Loop: Header=BB118_3 Depth=1
	s_or_b32 exec_lo, exec_lo, s10
	s_and_saveexec_b32 s1, s101
	s_cbranch_execz .LBB118_713
; %bb.712:                              ;   in Loop: Header=BB118_3 Depth=1
	ds_load_b32 v28, v1 offset:9880
	s_wait_dscnt 0x0
	v_mul_f32_e32 v0, v0, v28
	ds_store_b32 v3, v0
.LBB118_713:                            ;   in Loop: Header=BB118_3 Depth=1
	s_or_b32 exec_lo, exec_lo, s1
	s_wait_dscnt 0x0
	s_barrier_signal -1
	s_barrier_wait -1
	s_and_saveexec_b32 s1, s102
	s_cbranch_execz .LBB118_715
; %bb.714:                              ;   in Loop: Header=BB118_3 Depth=1
	ds_load_b32 v28, v1 offset:9884
	ds_load_b32 v29, v3
	s_wait_dscnt 0x0
	v_fmac_f32_e32 v0, v28, v29
.LBB118_715:                            ;   in Loop: Header=BB118_3 Depth=1
	s_or_b32 exec_lo, exec_lo, s1
	s_barrier_signal -1
	s_barrier_wait -1
	s_and_saveexec_b32 s1, s102
	s_cbranch_execz .LBB118_717
; %bb.716:                              ;   in Loop: Header=BB118_3 Depth=1
	ds_load_b32 v28, v1 offset:10140
	s_wait_dscnt 0x0
	v_mul_f32_e32 v0, v0, v28
	ds_store_b32 v3, v0
.LBB118_717:                            ;   in Loop: Header=BB118_3 Depth=1
	s_or_b32 exec_lo, exec_lo, s1
	s_wait_dscnt 0x0
	s_barrier_signal -1
	s_barrier_wait -1
	s_barrier_signal -1
	s_barrier_wait -1
	s_and_saveexec_b32 s1, s2
; %bb.718:                              ;   in Loop: Header=BB118_3 Depth=1
	v_xor_b32_e32 v0, 0x80000000, v0
	ds_store_b32 v32, v0 offset:9368
; %bb.719:                              ;   in Loop: Header=BB118_3 Depth=1
	s_or_b32 exec_lo, exec_lo, s1
	s_wait_dscnt 0x0
	s_barrier_signal -1
	s_barrier_wait -1
	s_barrier_signal -1
	s_barrier_wait -1
	s_and_saveexec_b32 s1, s15
	s_cbranch_execz .LBB118_721
; %bb.720:                              ;   in Loop: Header=BB118_3 Depth=1
	ds_load_b64 v[28:29], v1 offset:9880
	ds_load_b32 v0, v1 offset:10140
	s_wait_dscnt 0x0
	v_mul_f32_e32 v0, v28, v0
	s_delay_alu instid0(VALU_DEP_1)
	v_mul_f32_e32 v0, v29, v0
	ds_store_b32 v1, v0 offset:9884
.LBB118_721:                            ;   in Loop: Header=BB118_3 Depth=1
	s_or_b32 exec_lo, exec_lo, s1
	v_mov_b32_e32 v0, 0
	s_wait_dscnt 0x0
	s_barrier_signal -1
	s_barrier_wait -1
	s_and_saveexec_b32 s10, s4
	s_cbranch_execz .LBB118_731
; %bb.722:                              ;   in Loop: Header=BB118_3 Depth=1
	ds_load_b32 v0, v43 offset:8352
	ds_load_b32 v28, v40 offset:8320
	s_wait_dscnt 0x0
	v_fma_f32 v0, v0, v28, 0
	s_and_saveexec_b32 s1, s19
	s_cbranch_execnz .LBB118_1173
; %bb.723:                              ;   in Loop: Header=BB118_3 Depth=1
	s_or_b32 exec_lo, exec_lo, s1
	s_and_saveexec_b32 s1, s20
	s_cbranch_execnz .LBB118_1174
.LBB118_724:                            ;   in Loop: Header=BB118_3 Depth=1
	s_or_b32 exec_lo, exec_lo, s1
	s_and_saveexec_b32 s1, s21
	s_cbranch_execnz .LBB118_1175
.LBB118_725:                            ;   in Loop: Header=BB118_3 Depth=1
	s_or_b32 exec_lo, exec_lo, s1
	s_and_saveexec_b32 s1, s22
	s_cbranch_execnz .LBB118_1176
.LBB118_726:                            ;   in Loop: Header=BB118_3 Depth=1
	s_or_b32 exec_lo, exec_lo, s1
	s_and_saveexec_b32 s1, s23
	s_cbranch_execnz .LBB118_1177
.LBB118_727:                            ;   in Loop: Header=BB118_3 Depth=1
	s_or_b32 exec_lo, exec_lo, s1
	s_and_saveexec_b32 s1, s3
	s_cbranch_execnz .LBB118_1178
.LBB118_728:                            ;   in Loop: Header=BB118_3 Depth=1
	s_or_b32 exec_lo, exec_lo, s1
	s_and_saveexec_b32 s1, s18
	s_cbranch_execz .LBB118_730
.LBB118_729:                            ;   in Loop: Header=BB118_3 Depth=1
	ds_load_b32 v28, v34 offset:10144
	ds_load_b32 v29, v1 offset:8348
	s_wait_dscnt 0x0
	v_fmac_f32_e32 v0, v28, v29
.LBB118_730:                            ;   in Loop: Header=BB118_3 Depth=1
	s_or_b32 exec_lo, exec_lo, s1
	s_delay_alu instid0(VALU_DEP_1)
	v_xor_b32_e32 v0, 0x80000000, v0
.LBB118_731:                            ;   in Loop: Header=BB118_3 Depth=1
	s_or_b32 exec_lo, exec_lo, s10
	s_and_saveexec_b32 s1, s39
	s_cbranch_execz .LBB118_733
; %bb.732:                              ;   in Loop: Header=BB118_3 Depth=1
	ds_load_b32 v28, v1 offset:10400
	s_wait_dscnt 0x0
	v_mul_f32_e32 v0, v0, v28
	ds_store_b32 v42, v0
.LBB118_733:                            ;   in Loop: Header=BB118_3 Depth=1
	s_or_b32 exec_lo, exec_lo, s1
	s_wait_dscnt 0x0
	s_barrier_signal -1
	s_barrier_wait -1
	s_and_saveexec_b32 s1, s40
	s_cbranch_execz .LBB118_735
; %bb.734:                              ;   in Loop: Header=BB118_3 Depth=1
	ds_load_b32 v28, v41 offset:10400
	ds_load_b32 v29, v42
	s_wait_dscnt 0x0
	v_fmac_f32_e32 v0, v28, v29
.LBB118_735:                            ;   in Loop: Header=BB118_3 Depth=1
	s_or_b32 exec_lo, exec_lo, s1
	s_barrier_signal -1
	s_barrier_wait -1
	s_and_saveexec_b32 s1, s41
	s_cbranch_execz .LBB118_737
; %bb.736:                              ;   in Loop: Header=BB118_3 Depth=1
	ds_load_b32 v28, v1 offset:10660
	s_wait_dscnt 0x0
	v_mul_f32_e32 v0, v0, v28
	ds_store_b32 v42, v0
.LBB118_737:                            ;   in Loop: Header=BB118_3 Depth=1
	s_or_b32 exec_lo, exec_lo, s1
	s_wait_dscnt 0x0
	s_barrier_signal -1
	s_barrier_wait -1
	s_and_saveexec_b32 s1, s42
	s_cbranch_execz .LBB118_739
; %bb.738:                              ;   in Loop: Header=BB118_3 Depth=1
	ds_load_b32 v28, v41 offset:10656
	ds_load_b32 v29, v42
	s_wait_dscnt 0x0
	v_fmac_f32_e32 v0, v28, v29
.LBB118_739:                            ;   in Loop: Header=BB118_3 Depth=1
	s_or_b32 exec_lo, exec_lo, s1
	s_barrier_signal -1
	s_barrier_wait -1
	;; [unrolled: 23-line block ×7, first 2 shown]
	s_and_saveexec_b32 s1, s52
	s_cbranch_execz .LBB118_761
; %bb.760:                              ;   in Loop: Header=BB118_3 Depth=1
	ds_load_b32 v28, v1 offset:12220
	s_wait_dscnt 0x0
	v_mul_f32_e32 v0, v0, v28
	ds_store_b32 v42, v0
.LBB118_761:                            ;   in Loop: Header=BB118_3 Depth=1
	s_or_b32 exec_lo, exec_lo, s1
	s_wait_dscnt 0x0
	s_barrier_signal -1
	s_barrier_wait -1
	s_barrier_signal -1
	s_barrier_wait -1
	s_and_saveexec_b32 s1, s4
; %bb.762:                              ;   in Loop: Header=BB118_3 Depth=1
	v_xor_b32_e32 v0, 0x80000000, v0
	ds_store_b32 v43, v0 offset:8352
; %bb.763:                              ;   in Loop: Header=BB118_3 Depth=1
	s_or_b32 exec_lo, exec_lo, s1
	s_wait_dscnt 0x0
	s_barrier_signal -1
	s_barrier_wait -1
	s_barrier_signal -1
	s_barrier_wait -1
	s_and_saveexec_b32 s1, s15
	s_cbranch_execz .LBB118_765
; %bb.764:                              ;   in Loop: Header=BB118_3 Depth=1
	ds_load_b64 v[28:29], v1 offset:10400
	ds_load_b32 v0, v1 offset:10660
	s_wait_dscnt 0x0
	v_mul_f32_e32 v0, v28, v0
	s_delay_alu instid0(VALU_DEP_1)
	v_mul_f32_e32 v0, v29, v0
	ds_store_b32 v1, v0 offset:10404
.LBB118_765:                            ;   in Loop: Header=BB118_3 Depth=1
	s_or_b32 exec_lo, exec_lo, s1
	v_mov_b32_e32 v0, 0
	s_wait_dscnt 0x0
	s_barrier_signal -1
	s_barrier_wait -1
	s_and_saveexec_b32 s10, s2
	s_cbranch_execz .LBB118_769
; %bb.766:                              ;   in Loop: Header=BB118_3 Depth=1
	ds_load_b32 v0, v32 offset:10408
	ds_load_b32 v28, v33 offset:10400
	s_wait_dscnt 0x0
	v_fma_f32 v0, v0, v28, 0
	s_and_saveexec_b32 s1, s16
	s_cbranch_execz .LBB118_768
; %bb.767:                              ;   in Loop: Header=BB118_3 Depth=1
	ds_load_b32 v28, v34 offset:10664
	ds_load_b32 v29, v1 offset:10404
	s_wait_dscnt 0x0
	v_fmac_f32_e32 v0, v28, v29
.LBB118_768:                            ;   in Loop: Header=BB118_3 Depth=1
	s_or_b32 exec_lo, exec_lo, s1
	s_delay_alu instid0(VALU_DEP_1)
	v_xor_b32_e32 v0, 0x80000000, v0
.LBB118_769:                            ;   in Loop: Header=BB118_3 Depth=1
	s_or_b32 exec_lo, exec_lo, s10
	s_and_saveexec_b32 s1, s101
	s_cbranch_execz .LBB118_771
; %bb.770:                              ;   in Loop: Header=BB118_3 Depth=1
	ds_load_b32 v28, v1 offset:10920
	s_wait_dscnt 0x0
	v_mul_f32_e32 v0, v0, v28
	ds_store_b32 v3, v0
.LBB118_771:                            ;   in Loop: Header=BB118_3 Depth=1
	s_or_b32 exec_lo, exec_lo, s1
	s_wait_dscnt 0x0
	s_barrier_signal -1
	s_barrier_wait -1
	s_and_saveexec_b32 s1, s102
	s_cbranch_execz .LBB118_773
; %bb.772:                              ;   in Loop: Header=BB118_3 Depth=1
	ds_load_b32 v28, v1 offset:10924
	ds_load_b32 v29, v3
	s_wait_dscnt 0x0
	v_fmac_f32_e32 v0, v28, v29
.LBB118_773:                            ;   in Loop: Header=BB118_3 Depth=1
	s_or_b32 exec_lo, exec_lo, s1
	s_barrier_signal -1
	s_barrier_wait -1
	s_and_saveexec_b32 s1, s102
	s_cbranch_execz .LBB118_775
; %bb.774:                              ;   in Loop: Header=BB118_3 Depth=1
	ds_load_b32 v28, v1 offset:11180
	s_wait_dscnt 0x0
	v_mul_f32_e32 v0, v0, v28
	ds_store_b32 v3, v0
.LBB118_775:                            ;   in Loop: Header=BB118_3 Depth=1
	s_or_b32 exec_lo, exec_lo, s1
	s_wait_dscnt 0x0
	s_barrier_signal -1
	s_barrier_wait -1
	s_barrier_signal -1
	s_barrier_wait -1
	s_and_saveexec_b32 s1, s2
; %bb.776:                              ;   in Loop: Header=BB118_3 Depth=1
	v_xor_b32_e32 v0, 0x80000000, v0
	ds_store_b32 v32, v0 offset:10408
; %bb.777:                              ;   in Loop: Header=BB118_3 Depth=1
	s_or_b32 exec_lo, exec_lo, s1
	s_wait_dscnt 0x0
	s_barrier_signal -1
	s_barrier_wait -1
	s_barrier_signal -1
	s_barrier_wait -1
	s_and_saveexec_b32 s1, s15
	s_cbranch_execz .LBB118_779
; %bb.778:                              ;   in Loop: Header=BB118_3 Depth=1
	ds_load_b64 v[28:29], v1 offset:10920
	ds_load_b32 v0, v1 offset:11180
	s_wait_dscnt 0x0
	v_mul_f32_e32 v0, v28, v0
	s_delay_alu instid0(VALU_DEP_1)
	v_mul_f32_e32 v0, v29, v0
	ds_store_b32 v1, v0 offset:10924
.LBB118_779:                            ;   in Loop: Header=BB118_3 Depth=1
	s_or_b32 exec_lo, exec_lo, s1
	v_mov_b32_e32 v0, 0
	s_wait_dscnt 0x0
	s_barrier_signal -1
	s_barrier_wait -1
	s_and_saveexec_b32 s10, s3
	s_cbranch_execz .LBB118_785
; %bb.780:                              ;   in Loop: Header=BB118_3 Depth=1
	ds_load_b32 v0, v38 offset:10416
	ds_load_b32 v28, v35 offset:10400
	s_wait_dscnt 0x0
	v_fma_f32 v0, v0, v28, 0
	s_and_saveexec_b32 s1, s17
	s_cbranch_execnz .LBB118_1179
; %bb.781:                              ;   in Loop: Header=BB118_3 Depth=1
	s_or_b32 exec_lo, exec_lo, s1
	s_and_saveexec_b32 s1, s18
	s_cbranch_execnz .LBB118_1180
.LBB118_782:                            ;   in Loop: Header=BB118_3 Depth=1
	s_or_b32 exec_lo, exec_lo, s1
	s_and_saveexec_b32 s1, s2
	s_cbranch_execz .LBB118_784
.LBB118_783:                            ;   in Loop: Header=BB118_3 Depth=1
	ds_load_b32 v28, v34 offset:11184
	ds_load_b32 v29, v1 offset:10412
	s_wait_dscnt 0x0
	v_fmac_f32_e32 v0, v28, v29
.LBB118_784:                            ;   in Loop: Header=BB118_3 Depth=1
	s_or_b32 exec_lo, exec_lo, s1
	s_delay_alu instid0(VALU_DEP_1)
	v_xor_b32_e32 v0, 0x80000000, v0
.LBB118_785:                            ;   in Loop: Header=BB118_3 Depth=1
	s_or_b32 exec_lo, exec_lo, s10
	s_and_saveexec_b32 s1, s103
	s_cbranch_execz .LBB118_787
; %bb.786:                              ;   in Loop: Header=BB118_3 Depth=1
	ds_load_b32 v28, v1 offset:11440
	s_wait_dscnt 0x0
	v_mul_f32_e32 v0, v0, v28
	ds_store_b32 v37, v0
.LBB118_787:                            ;   in Loop: Header=BB118_3 Depth=1
	s_or_b32 exec_lo, exec_lo, s1
	s_wait_dscnt 0x0
	s_barrier_signal -1
	s_barrier_wait -1
	s_and_saveexec_b32 s1, s104
	s_cbranch_execz .LBB118_789
; %bb.788:                              ;   in Loop: Header=BB118_3 Depth=1
	ds_load_b32 v28, v36 offset:11440
	ds_load_b32 v29, v37
	s_wait_dscnt 0x0
	v_fmac_f32_e32 v0, v28, v29
.LBB118_789:                            ;   in Loop: Header=BB118_3 Depth=1
	s_or_b32 exec_lo, exec_lo, s1
	s_barrier_signal -1
	s_barrier_wait -1
	s_and_saveexec_b32 s1, vcc_hi
	s_cbranch_execz .LBB118_791
; %bb.790:                              ;   in Loop: Header=BB118_3 Depth=1
	ds_load_b32 v28, v1 offset:11700
	s_wait_dscnt 0x0
	v_mul_f32_e32 v0, v0, v28
	ds_store_b32 v37, v0
.LBB118_791:                            ;   in Loop: Header=BB118_3 Depth=1
	s_or_b32 exec_lo, exec_lo, s1
	s_wait_dscnt 0x0
	s_barrier_signal -1
	s_barrier_wait -1
	s_and_saveexec_b32 s1, s36
	s_cbranch_execz .LBB118_793
; %bb.792:                              ;   in Loop: Header=BB118_3 Depth=1
	ds_load_b32 v28, v36 offset:11696
	ds_load_b32 v29, v37
	s_wait_dscnt 0x0
	v_fmac_f32_e32 v0, v28, v29
.LBB118_793:                            ;   in Loop: Header=BB118_3 Depth=1
	s_or_b32 exec_lo, exec_lo, s1
	s_barrier_signal -1
	s_barrier_wait -1
	s_and_saveexec_b32 s1, s37
	s_cbranch_execz .LBB118_795
; %bb.794:                              ;   in Loop: Header=BB118_3 Depth=1
	ds_load_b32 v28, v1 offset:11960
	s_wait_dscnt 0x0
	v_mul_f32_e32 v0, v0, v28
	ds_store_b32 v37, v0
.LBB118_795:                            ;   in Loop: Header=BB118_3 Depth=1
	s_or_b32 exec_lo, exec_lo, s1
	s_wait_dscnt 0x0
	s_barrier_signal -1
	s_barrier_wait -1
	s_and_saveexec_b32 s1, s38
	s_cbranch_execz .LBB118_797
; %bb.796:                              ;   in Loop: Header=BB118_3 Depth=1
	ds_load_b32 v28, v1 offset:11964
	ds_load_b32 v29, v37
	s_wait_dscnt 0x0
	v_fmac_f32_e32 v0, v28, v29
.LBB118_797:                            ;   in Loop: Header=BB118_3 Depth=1
	s_or_b32 exec_lo, exec_lo, s1
	s_barrier_signal -1
	s_barrier_wait -1
	s_and_saveexec_b32 s1, s38
	s_cbranch_execz .LBB118_799
; %bb.798:                              ;   in Loop: Header=BB118_3 Depth=1
	ds_load_b32 v28, v1 offset:12220
	s_wait_dscnt 0x0
	v_mul_f32_e32 v0, v0, v28
	ds_store_b32 v37, v0
.LBB118_799:                            ;   in Loop: Header=BB118_3 Depth=1
	s_or_b32 exec_lo, exec_lo, s1
	s_wait_dscnt 0x0
	s_barrier_signal -1
	s_barrier_wait -1
	s_barrier_signal -1
	s_barrier_wait -1
	s_and_saveexec_b32 s1, s3
; %bb.800:                              ;   in Loop: Header=BB118_3 Depth=1
	v_xor_b32_e32 v0, 0x80000000, v0
	ds_store_b32 v38, v0 offset:10416
; %bb.801:                              ;   in Loop: Header=BB118_3 Depth=1
	s_or_b32 exec_lo, exec_lo, s1
	s_wait_dscnt 0x0
	s_barrier_signal -1
	s_barrier_wait -1
	s_barrier_signal -1
	s_barrier_wait -1
	s_and_saveexec_b32 s1, s15
	s_cbranch_execz .LBB118_803
; %bb.802:                              ;   in Loop: Header=BB118_3 Depth=1
	ds_load_b64 v[28:29], v1 offset:11440
	ds_load_b32 v0, v1 offset:11700
	s_wait_dscnt 0x0
	v_mul_f32_e32 v0, v28, v0
	s_delay_alu instid0(VALU_DEP_1)
	v_mul_f32_e32 v0, v29, v0
	ds_store_b32 v1, v0 offset:11444
.LBB118_803:                            ;   in Loop: Header=BB118_3 Depth=1
	s_or_b32 exec_lo, exec_lo, s1
	v_mov_b32_e32 v0, 0
	s_wait_dscnt 0x0
	s_barrier_signal -1
	s_barrier_wait -1
	s_and_saveexec_b32 s10, s2
	s_cbranch_execz .LBB118_807
; %bb.804:                              ;   in Loop: Header=BB118_3 Depth=1
	ds_load_b32 v0, v32 offset:11448
	ds_load_b32 v28, v33 offset:11440
	s_wait_dscnt 0x0
	v_fma_f32 v0, v0, v28, 0
	s_and_saveexec_b32 s1, s16
	s_cbranch_execz .LBB118_806
; %bb.805:                              ;   in Loop: Header=BB118_3 Depth=1
	ds_load_b32 v28, v34 offset:11704
	ds_load_b32 v29, v1 offset:11444
	s_wait_dscnt 0x0
	v_fmac_f32_e32 v0, v28, v29
.LBB118_806:                            ;   in Loop: Header=BB118_3 Depth=1
	s_or_b32 exec_lo, exec_lo, s1
	s_delay_alu instid0(VALU_DEP_1)
	v_xor_b32_e32 v0, 0x80000000, v0
.LBB118_807:                            ;   in Loop: Header=BB118_3 Depth=1
	s_or_b32 exec_lo, exec_lo, s10
	s_and_saveexec_b32 s1, s101
	s_cbranch_execz .LBB118_809
; %bb.808:                              ;   in Loop: Header=BB118_3 Depth=1
	ds_load_b32 v28, v1 offset:11960
	s_wait_dscnt 0x0
	v_mul_f32_e32 v0, v0, v28
	ds_store_b32 v3, v0
.LBB118_809:                            ;   in Loop: Header=BB118_3 Depth=1
	s_or_b32 exec_lo, exec_lo, s1
	s_wait_dscnt 0x0
	s_barrier_signal -1
	s_barrier_wait -1
	s_and_saveexec_b32 s1, s102
	s_cbranch_execz .LBB118_811
; %bb.810:                              ;   in Loop: Header=BB118_3 Depth=1
	ds_load_b32 v28, v1 offset:11964
	ds_load_b32 v29, v3
	s_wait_dscnt 0x0
	v_fmac_f32_e32 v0, v28, v29
.LBB118_811:                            ;   in Loop: Header=BB118_3 Depth=1
	s_or_b32 exec_lo, exec_lo, s1
	s_barrier_signal -1
	s_barrier_wait -1
	s_and_saveexec_b32 s1, s102
	s_cbranch_execz .LBB118_813
; %bb.812:                              ;   in Loop: Header=BB118_3 Depth=1
	ds_load_b32 v28, v1 offset:12220
	s_wait_dscnt 0x0
	v_mul_f32_e32 v0, v0, v28
	ds_store_b32 v3, v0
.LBB118_813:                            ;   in Loop: Header=BB118_3 Depth=1
	s_or_b32 exec_lo, exec_lo, s1
	s_wait_dscnt 0x0
	s_barrier_signal -1
	s_barrier_wait -1
	s_barrier_signal -1
	s_barrier_wait -1
	s_and_saveexec_b32 s1, s2
; %bb.814:                              ;   in Loop: Header=BB118_3 Depth=1
	v_xor_b32_e32 v0, 0x80000000, v0
	ds_store_b32 v32, v0 offset:11448
; %bb.815:                              ;   in Loop: Header=BB118_3 Depth=1
	s_or_b32 exec_lo, exec_lo, s1
	s_wait_dscnt 0x0
	s_barrier_signal -1
	s_barrier_wait -1
	s_barrier_signal -1
	s_barrier_wait -1
	s_and_saveexec_b32 s1, s15
	s_cbranch_execz .LBB118_817
; %bb.816:                              ;   in Loop: Header=BB118_3 Depth=1
	ds_load_b64 v[28:29], v1 offset:11960
	ds_load_b32 v0, v1 offset:12220
	s_wait_dscnt 0x0
	v_mul_f32_e32 v0, v28, v0
	s_delay_alu instid0(VALU_DEP_1)
	v_mul_f32_e32 v0, v29, v0
	ds_store_b32 v1, v0 offset:11964
.LBB118_817:                            ;   in Loop: Header=BB118_3 Depth=1
	s_or_b32 exec_lo, exec_lo, s1
	v_mov_b32_e32 v0, 0
	s_wait_dscnt 0x0
	s_barrier_signal -1
	s_barrier_wait -1
	s_and_saveexec_b32 s69, s5
	s_cbranch_execz .LBB118_845
; %bb.818:                              ;   in Loop: Header=BB118_3 Depth=1
	ds_load_b32 v0, v48 offset:8384
	ds_load_b32 v28, v45 offset:8320
	s_wait_dscnt 0x0
	v_fma_f32 v0, v0, v28, 0
	s_mov_b32 s1, exec_lo
	v_readlane_b32 s8, v75, 23
	s_and_b32 s8, s1, s8
	s_delay_alu instid0(SALU_CYCLE_1)
	s_mov_b32 exec_lo, s8
	s_cbranch_execz .LBB118_820
; %bb.819:                              ;   in Loop: Header=BB118_3 Depth=1
	ds_load_b32 v28, v49 offset:8640
	ds_load_b32 v29, v45 offset:8324
	s_wait_dscnt 0x0
	v_fmac_f32_e32 v0, v28, v29
.LBB118_820:                            ;   in Loop: Header=BB118_3 Depth=1
	s_or_b32 exec_lo, exec_lo, s1
	s_delay_alu instid0(SALU_CYCLE_1) | instskip(SKIP_2) | instid1(SALU_CYCLE_1)
	s_mov_b32 s1, exec_lo
	v_readlane_b32 s8, v75, 24
	s_and_b32 s8, s1, s8
	s_mov_b32 exec_lo, s8
	s_cbranch_execz .LBB118_822
; %bb.821:                              ;   in Loop: Header=BB118_3 Depth=1
	ds_load_b32 v28, v49 offset:8896
	ds_load_b32 v29, v45 offset:8328
	s_wait_dscnt 0x0
	v_fmac_f32_e32 v0, v28, v29
.LBB118_822:                            ;   in Loop: Header=BB118_3 Depth=1
	s_or_b32 exec_lo, exec_lo, s1
	s_delay_alu instid0(SALU_CYCLE_1) | instskip(SKIP_2) | instid1(SALU_CYCLE_1)
	s_mov_b32 s1, exec_lo
	v_readlane_b32 s8, v75, 25
	s_and_b32 s8, s1, s8
	;; [unrolled: 13-line block ×8, first 2 shown]
	s_mov_b32 exec_lo, s8
	s_cbranch_execz .LBB118_836
; %bb.835:                              ;   in Loop: Header=BB118_3 Depth=1
	ds_load_b32 v28, v49 offset:10688
	ds_load_b32 v29, v45 offset:8356
	s_wait_dscnt 0x0
	v_fmac_f32_e32 v0, v28, v29
.LBB118_836:                            ;   in Loop: Header=BB118_3 Depth=1
	s_or_b32 exec_lo, exec_lo, s1
	s_and_saveexec_b32 s1, s9
	s_cbranch_execz .LBB118_838
; %bb.837:                              ;   in Loop: Header=BB118_3 Depth=1
	ds_load_b32 v28, v49 offset:10944
	ds_load_b32 v29, v45 offset:8360
	s_wait_dscnt 0x0
	v_fmac_f32_e32 v0, v28, v29
.LBB118_838:                            ;   in Loop: Header=BB118_3 Depth=1
	s_or_b32 exec_lo, exec_lo, s1
	s_delay_alu instid0(SALU_CYCLE_1) | instskip(SKIP_2) | instid1(SALU_CYCLE_1)
	s_mov_b32 s1, exec_lo
	v_readlane_b32 s8, v74, 0
	s_and_b32 s8, s1, s8
	s_mov_b32 exec_lo, s8
	s_cbranch_execnz .LBB118_1181
; %bb.839:                              ;   in Loop: Header=BB118_3 Depth=1
	s_or_b32 exec_lo, exec_lo, s1
	s_and_saveexec_b32 s1, s4
	s_cbranch_execnz .LBB118_1182
.LBB118_840:                            ;   in Loop: Header=BB118_3 Depth=1
	s_or_b32 exec_lo, exec_lo, s1
	s_and_saveexec_b32 s1, s20
	s_cbranch_execnz .LBB118_1183
.LBB118_841:                            ;   in Loop: Header=BB118_3 Depth=1
	s_or_b32 exec_lo, exec_lo, s1
	s_and_saveexec_b32 s1, s22
	s_cbranch_execnz .LBB118_1184
.LBB118_842:                            ;   in Loop: Header=BB118_3 Depth=1
	s_or_b32 exec_lo, exec_lo, s1
	s_and_saveexec_b32 s1, s3
	s_cbranch_execz .LBB118_844
.LBB118_843:                            ;   in Loop: Header=BB118_3 Depth=1
	ds_load_b32 v28, v34 offset:12224
	ds_load_b32 v29, v1 offset:8380
	s_wait_dscnt 0x0
	v_fmac_f32_e32 v0, v28, v29
.LBB118_844:                            ;   in Loop: Header=BB118_3 Depth=1
	s_or_b32 exec_lo, exec_lo, s1
	s_delay_alu instid0(VALU_DEP_1)
	v_xor_b32_e32 v0, 0x80000000, v0
.LBB118_845:                            ;   in Loop: Header=BB118_3 Depth=1
	s_or_b32 exec_lo, exec_lo, s69
	s_delay_alu instid0(SALU_CYCLE_1) | instskip(SKIP_2) | instid1(SALU_CYCLE_1)
	s_mov_b32 s1, exec_lo
	v_readlane_b32 s8, v77, 3
	s_and_b32 s8, s1, s8
	s_mov_b32 exec_lo, s8
	s_cbranch_execz .LBB118_847
; %bb.846:                              ;   in Loop: Header=BB118_3 Depth=1
	ds_load_b32 v28, v1 offset:12480
	s_wait_dscnt 0x0
	v_mul_f32_e32 v0, v0, v28
	ds_store_b32 v47, v0
.LBB118_847:                            ;   in Loop: Header=BB118_3 Depth=1
	s_or_b32 exec_lo, exec_lo, s1
	s_wait_dscnt 0x0
	s_barrier_signal -1
	s_barrier_wait -1
	s_and_saveexec_b32 s1, s54
	s_cbranch_execz .LBB118_849
; %bb.848:                              ;   in Loop: Header=BB118_3 Depth=1
	ds_load_b32 v28, v46 offset:12480
	ds_load_b32 v29, v47
	s_wait_dscnt 0x0
	v_fmac_f32_e32 v0, v28, v29
.LBB118_849:                            ;   in Loop: Header=BB118_3 Depth=1
	s_or_b32 exec_lo, exec_lo, s1
	s_barrier_signal -1
	s_barrier_wait -1
	s_and_saveexec_b32 s1, s55
	s_cbranch_execz .LBB118_851
; %bb.850:                              ;   in Loop: Header=BB118_3 Depth=1
	ds_load_b32 v28, v1 offset:12740
	s_wait_dscnt 0x0
	v_mul_f32_e32 v0, v0, v28
	ds_store_b32 v47, v0
.LBB118_851:                            ;   in Loop: Header=BB118_3 Depth=1
	s_or_b32 exec_lo, exec_lo, s1
	s_wait_dscnt 0x0
	s_barrier_signal -1
	s_barrier_wait -1
	s_and_saveexec_b32 s1, s56
	s_cbranch_execz .LBB118_853
; %bb.852:                              ;   in Loop: Header=BB118_3 Depth=1
	ds_load_b32 v28, v46 offset:12736
	ds_load_b32 v29, v47
	s_wait_dscnt 0x0
	v_fmac_f32_e32 v0, v28, v29
.LBB118_853:                            ;   in Loop: Header=BB118_3 Depth=1
	s_or_b32 exec_lo, exec_lo, s1
	s_barrier_signal -1
	s_barrier_wait -1
	s_and_saveexec_b32 s1, s57
	;; [unrolled: 23-line block ×15, first 2 shown]
	s_cbranch_execz .LBB118_907
; %bb.906:                              ;   in Loop: Header=BB118_3 Depth=1
	ds_load_b32 v28, v1 offset:16380
	s_wait_dscnt 0x0
	v_mul_f32_e32 v0, v0, v28
	ds_store_b32 v47, v0
.LBB118_907:                            ;   in Loop: Header=BB118_3 Depth=1
	s_or_b32 exec_lo, exec_lo, s1
	s_wait_dscnt 0x0
	s_barrier_signal -1
	s_barrier_wait -1
	s_barrier_signal -1
	s_barrier_wait -1
	s_and_saveexec_b32 s1, s5
; %bb.908:                              ;   in Loop: Header=BB118_3 Depth=1
	v_xor_b32_e32 v0, 0x80000000, v0
	ds_store_b32 v48, v0 offset:8384
; %bb.909:                              ;   in Loop: Header=BB118_3 Depth=1
	s_or_b32 exec_lo, exec_lo, s1
	s_wait_dscnt 0x0
	s_barrier_signal -1
	s_barrier_wait -1
	s_barrier_signal -1
	s_barrier_wait -1
	s_and_saveexec_b32 s1, s15
	s_cbranch_execz .LBB118_911
; %bb.910:                              ;   in Loop: Header=BB118_3 Depth=1
	ds_load_b64 v[28:29], v1 offset:12480
	ds_load_b32 v0, v1 offset:12740
	s_wait_dscnt 0x0
	v_mul_f32_e32 v0, v28, v0
	s_delay_alu instid0(VALU_DEP_1)
	v_mul_f32_e32 v0, v29, v0
	ds_store_b32 v1, v0 offset:12484
.LBB118_911:                            ;   in Loop: Header=BB118_3 Depth=1
	s_or_b32 exec_lo, exec_lo, s1
	v_mov_b32_e32 v0, 0
	s_wait_dscnt 0x0
	s_barrier_signal -1
	s_barrier_wait -1
	s_and_saveexec_b32 s10, s2
	s_cbranch_execz .LBB118_915
; %bb.912:                              ;   in Loop: Header=BB118_3 Depth=1
	ds_load_b32 v0, v32 offset:12488
	ds_load_b32 v28, v33 offset:12480
	s_wait_dscnt 0x0
	v_fma_f32 v0, v0, v28, 0
	s_and_saveexec_b32 s1, s16
	s_cbranch_execz .LBB118_914
; %bb.913:                              ;   in Loop: Header=BB118_3 Depth=1
	ds_load_b32 v28, v34 offset:12744
	ds_load_b32 v29, v1 offset:12484
	s_wait_dscnt 0x0
	v_fmac_f32_e32 v0, v28, v29
.LBB118_914:                            ;   in Loop: Header=BB118_3 Depth=1
	s_or_b32 exec_lo, exec_lo, s1
	s_delay_alu instid0(VALU_DEP_1)
	v_xor_b32_e32 v0, 0x80000000, v0
.LBB118_915:                            ;   in Loop: Header=BB118_3 Depth=1
	s_or_b32 exec_lo, exec_lo, s10
	s_and_saveexec_b32 s1, s101
	s_cbranch_execz .LBB118_917
; %bb.916:                              ;   in Loop: Header=BB118_3 Depth=1
	ds_load_b32 v28, v1 offset:13000
	s_wait_dscnt 0x0
	v_mul_f32_e32 v0, v0, v28
	ds_store_b32 v3, v0
.LBB118_917:                            ;   in Loop: Header=BB118_3 Depth=1
	s_or_b32 exec_lo, exec_lo, s1
	s_wait_dscnt 0x0
	s_barrier_signal -1
	s_barrier_wait -1
	s_and_saveexec_b32 s1, s102
	s_cbranch_execz .LBB118_919
; %bb.918:                              ;   in Loop: Header=BB118_3 Depth=1
	ds_load_b32 v28, v1 offset:13004
	ds_load_b32 v29, v3
	s_wait_dscnt 0x0
	v_fmac_f32_e32 v0, v28, v29
.LBB118_919:                            ;   in Loop: Header=BB118_3 Depth=1
	s_or_b32 exec_lo, exec_lo, s1
	s_barrier_signal -1
	s_barrier_wait -1
	s_and_saveexec_b32 s1, s102
	s_cbranch_execz .LBB118_921
; %bb.920:                              ;   in Loop: Header=BB118_3 Depth=1
	ds_load_b32 v28, v1 offset:13260
	s_wait_dscnt 0x0
	v_mul_f32_e32 v0, v0, v28
	ds_store_b32 v3, v0
.LBB118_921:                            ;   in Loop: Header=BB118_3 Depth=1
	s_or_b32 exec_lo, exec_lo, s1
	s_wait_dscnt 0x0
	s_barrier_signal -1
	s_barrier_wait -1
	s_barrier_signal -1
	s_barrier_wait -1
	s_and_saveexec_b32 s1, s2
; %bb.922:                              ;   in Loop: Header=BB118_3 Depth=1
	v_xor_b32_e32 v0, 0x80000000, v0
	ds_store_b32 v32, v0 offset:12488
; %bb.923:                              ;   in Loop: Header=BB118_3 Depth=1
	s_or_b32 exec_lo, exec_lo, s1
	s_wait_dscnt 0x0
	s_barrier_signal -1
	s_barrier_wait -1
	s_barrier_signal -1
	s_barrier_wait -1
	s_and_saveexec_b32 s1, s15
	s_cbranch_execz .LBB118_925
; %bb.924:                              ;   in Loop: Header=BB118_3 Depth=1
	ds_load_b64 v[28:29], v1 offset:13000
	ds_load_b32 v0, v1 offset:13260
	s_wait_dscnt 0x0
	v_mul_f32_e32 v0, v28, v0
	s_delay_alu instid0(VALU_DEP_1)
	v_mul_f32_e32 v0, v29, v0
	ds_store_b32 v1, v0 offset:13004
.LBB118_925:                            ;   in Loop: Header=BB118_3 Depth=1
	s_or_b32 exec_lo, exec_lo, s1
	v_mov_b32_e32 v0, 0
	s_wait_dscnt 0x0
	s_barrier_signal -1
	s_barrier_wait -1
	s_and_saveexec_b32 s10, s3
	s_cbranch_execz .LBB118_931
; %bb.926:                              ;   in Loop: Header=BB118_3 Depth=1
	ds_load_b32 v0, v38 offset:12496
	ds_load_b32 v28, v35 offset:12480
	s_wait_dscnt 0x0
	v_fma_f32 v0, v0, v28, 0
	s_and_saveexec_b32 s1, s17
	s_cbranch_execnz .LBB118_1185
; %bb.927:                              ;   in Loop: Header=BB118_3 Depth=1
	s_or_b32 exec_lo, exec_lo, s1
	s_and_saveexec_b32 s1, s18
	s_cbranch_execnz .LBB118_1186
.LBB118_928:                            ;   in Loop: Header=BB118_3 Depth=1
	s_or_b32 exec_lo, exec_lo, s1
	s_and_saveexec_b32 s1, s2
	s_cbranch_execz .LBB118_930
.LBB118_929:                            ;   in Loop: Header=BB118_3 Depth=1
	ds_load_b32 v28, v34 offset:13264
	ds_load_b32 v29, v1 offset:12492
	s_wait_dscnt 0x0
	v_fmac_f32_e32 v0, v28, v29
.LBB118_930:                            ;   in Loop: Header=BB118_3 Depth=1
	s_or_b32 exec_lo, exec_lo, s1
	s_delay_alu instid0(VALU_DEP_1)
	v_xor_b32_e32 v0, 0x80000000, v0
.LBB118_931:                            ;   in Loop: Header=BB118_3 Depth=1
	s_or_b32 exec_lo, exec_lo, s10
	s_and_saveexec_b32 s1, s103
	s_cbranch_execz .LBB118_933
; %bb.932:                              ;   in Loop: Header=BB118_3 Depth=1
	ds_load_b32 v28, v1 offset:13520
	s_wait_dscnt 0x0
	v_mul_f32_e32 v0, v0, v28
	ds_store_b32 v37, v0
.LBB118_933:                            ;   in Loop: Header=BB118_3 Depth=1
	s_or_b32 exec_lo, exec_lo, s1
	s_wait_dscnt 0x0
	s_barrier_signal -1
	s_barrier_wait -1
	s_and_saveexec_b32 s1, s104
	s_cbranch_execz .LBB118_935
; %bb.934:                              ;   in Loop: Header=BB118_3 Depth=1
	ds_load_b32 v28, v36 offset:13520
	ds_load_b32 v29, v37
	s_wait_dscnt 0x0
	v_fmac_f32_e32 v0, v28, v29
.LBB118_935:                            ;   in Loop: Header=BB118_3 Depth=1
	s_or_b32 exec_lo, exec_lo, s1
	s_barrier_signal -1
	s_barrier_wait -1
	s_and_saveexec_b32 s1, vcc_hi
	s_cbranch_execz .LBB118_937
; %bb.936:                              ;   in Loop: Header=BB118_3 Depth=1
	ds_load_b32 v28, v1 offset:13780
	s_wait_dscnt 0x0
	v_mul_f32_e32 v0, v0, v28
	ds_store_b32 v37, v0
.LBB118_937:                            ;   in Loop: Header=BB118_3 Depth=1
	s_or_b32 exec_lo, exec_lo, s1
	s_wait_dscnt 0x0
	s_barrier_signal -1
	s_barrier_wait -1
	s_and_saveexec_b32 s1, s36
	s_cbranch_execz .LBB118_939
; %bb.938:                              ;   in Loop: Header=BB118_3 Depth=1
	ds_load_b32 v28, v36 offset:13776
	ds_load_b32 v29, v37
	s_wait_dscnt 0x0
	v_fmac_f32_e32 v0, v28, v29
.LBB118_939:                            ;   in Loop: Header=BB118_3 Depth=1
	s_or_b32 exec_lo, exec_lo, s1
	s_barrier_signal -1
	s_barrier_wait -1
	s_and_saveexec_b32 s1, s37
	s_cbranch_execz .LBB118_941
; %bb.940:                              ;   in Loop: Header=BB118_3 Depth=1
	ds_load_b32 v28, v1 offset:14040
	s_wait_dscnt 0x0
	v_mul_f32_e32 v0, v0, v28
	ds_store_b32 v37, v0
.LBB118_941:                            ;   in Loop: Header=BB118_3 Depth=1
	s_or_b32 exec_lo, exec_lo, s1
	s_wait_dscnt 0x0
	s_barrier_signal -1
	s_barrier_wait -1
	s_and_saveexec_b32 s1, s38
	s_cbranch_execz .LBB118_943
; %bb.942:                              ;   in Loop: Header=BB118_3 Depth=1
	ds_load_b32 v28, v1 offset:14044
	ds_load_b32 v29, v37
	s_wait_dscnt 0x0
	v_fmac_f32_e32 v0, v28, v29
.LBB118_943:                            ;   in Loop: Header=BB118_3 Depth=1
	s_or_b32 exec_lo, exec_lo, s1
	s_barrier_signal -1
	s_barrier_wait -1
	s_and_saveexec_b32 s1, s38
	s_cbranch_execz .LBB118_945
; %bb.944:                              ;   in Loop: Header=BB118_3 Depth=1
	ds_load_b32 v28, v1 offset:14300
	s_wait_dscnt 0x0
	v_mul_f32_e32 v0, v0, v28
	ds_store_b32 v37, v0
.LBB118_945:                            ;   in Loop: Header=BB118_3 Depth=1
	s_or_b32 exec_lo, exec_lo, s1
	s_wait_dscnt 0x0
	s_barrier_signal -1
	s_barrier_wait -1
	s_barrier_signal -1
	s_barrier_wait -1
	s_and_saveexec_b32 s1, s3
; %bb.946:                              ;   in Loop: Header=BB118_3 Depth=1
	v_xor_b32_e32 v0, 0x80000000, v0
	ds_store_b32 v38, v0 offset:12496
; %bb.947:                              ;   in Loop: Header=BB118_3 Depth=1
	s_or_b32 exec_lo, exec_lo, s1
	s_wait_dscnt 0x0
	s_barrier_signal -1
	s_barrier_wait -1
	s_barrier_signal -1
	s_barrier_wait -1
	s_and_saveexec_b32 s1, s15
	s_cbranch_execz .LBB118_949
; %bb.948:                              ;   in Loop: Header=BB118_3 Depth=1
	ds_load_b64 v[28:29], v1 offset:13520
	ds_load_b32 v0, v1 offset:13780
	s_wait_dscnt 0x0
	v_mul_f32_e32 v0, v28, v0
	s_delay_alu instid0(VALU_DEP_1)
	v_mul_f32_e32 v0, v29, v0
	ds_store_b32 v1, v0 offset:13524
.LBB118_949:                            ;   in Loop: Header=BB118_3 Depth=1
	s_or_b32 exec_lo, exec_lo, s1
	v_mov_b32_e32 v0, 0
	s_wait_dscnt 0x0
	s_barrier_signal -1
	s_barrier_wait -1
	s_and_saveexec_b32 s10, s2
	s_cbranch_execz .LBB118_953
; %bb.950:                              ;   in Loop: Header=BB118_3 Depth=1
	ds_load_b32 v0, v32 offset:13528
	ds_load_b32 v28, v33 offset:13520
	s_wait_dscnt 0x0
	v_fma_f32 v0, v0, v28, 0
	s_and_saveexec_b32 s1, s16
	s_cbranch_execz .LBB118_952
; %bb.951:                              ;   in Loop: Header=BB118_3 Depth=1
	ds_load_b32 v28, v34 offset:13784
	ds_load_b32 v29, v1 offset:13524
	s_wait_dscnt 0x0
	v_fmac_f32_e32 v0, v28, v29
.LBB118_952:                            ;   in Loop: Header=BB118_3 Depth=1
	s_or_b32 exec_lo, exec_lo, s1
	s_delay_alu instid0(VALU_DEP_1)
	v_xor_b32_e32 v0, 0x80000000, v0
.LBB118_953:                            ;   in Loop: Header=BB118_3 Depth=1
	s_or_b32 exec_lo, exec_lo, s10
	s_and_saveexec_b32 s1, s101
	s_cbranch_execz .LBB118_955
; %bb.954:                              ;   in Loop: Header=BB118_3 Depth=1
	ds_load_b32 v28, v1 offset:14040
	s_wait_dscnt 0x0
	v_mul_f32_e32 v0, v0, v28
	ds_store_b32 v3, v0
.LBB118_955:                            ;   in Loop: Header=BB118_3 Depth=1
	s_or_b32 exec_lo, exec_lo, s1
	s_wait_dscnt 0x0
	s_barrier_signal -1
	s_barrier_wait -1
	s_and_saveexec_b32 s1, s102
	s_cbranch_execz .LBB118_957
; %bb.956:                              ;   in Loop: Header=BB118_3 Depth=1
	ds_load_b32 v28, v1 offset:14044
	ds_load_b32 v29, v3
	s_wait_dscnt 0x0
	v_fmac_f32_e32 v0, v28, v29
.LBB118_957:                            ;   in Loop: Header=BB118_3 Depth=1
	s_or_b32 exec_lo, exec_lo, s1
	s_barrier_signal -1
	s_barrier_wait -1
	s_and_saveexec_b32 s1, s102
	s_cbranch_execz .LBB118_959
; %bb.958:                              ;   in Loop: Header=BB118_3 Depth=1
	ds_load_b32 v28, v1 offset:14300
	s_wait_dscnt 0x0
	v_mul_f32_e32 v0, v0, v28
	ds_store_b32 v3, v0
.LBB118_959:                            ;   in Loop: Header=BB118_3 Depth=1
	s_or_b32 exec_lo, exec_lo, s1
	s_wait_dscnt 0x0
	s_barrier_signal -1
	s_barrier_wait -1
	s_barrier_signal -1
	s_barrier_wait -1
	s_and_saveexec_b32 s1, s2
; %bb.960:                              ;   in Loop: Header=BB118_3 Depth=1
	v_xor_b32_e32 v0, 0x80000000, v0
	ds_store_b32 v32, v0 offset:13528
; %bb.961:                              ;   in Loop: Header=BB118_3 Depth=1
	s_or_b32 exec_lo, exec_lo, s1
	s_wait_dscnt 0x0
	s_barrier_signal -1
	s_barrier_wait -1
	s_barrier_signal -1
	s_barrier_wait -1
	s_and_saveexec_b32 s1, s15
	s_cbranch_execz .LBB118_963
; %bb.962:                              ;   in Loop: Header=BB118_3 Depth=1
	ds_load_b64 v[28:29], v1 offset:14040
	ds_load_b32 v0, v1 offset:14300
	s_wait_dscnt 0x0
	v_mul_f32_e32 v0, v28, v0
	s_delay_alu instid0(VALU_DEP_1)
	v_mul_f32_e32 v0, v29, v0
	ds_store_b32 v1, v0 offset:14044
.LBB118_963:                            ;   in Loop: Header=BB118_3 Depth=1
	s_or_b32 exec_lo, exec_lo, s1
	v_mov_b32_e32 v0, 0
	s_wait_dscnt 0x0
	s_barrier_signal -1
	s_barrier_wait -1
	s_and_saveexec_b32 s10, s4
	s_cbranch_execz .LBB118_973
; %bb.964:                              ;   in Loop: Header=BB118_3 Depth=1
	ds_load_b32 v0, v43 offset:12512
	ds_load_b32 v28, v40 offset:12480
	s_wait_dscnt 0x0
	v_fma_f32 v0, v0, v28, 0
	s_and_saveexec_b32 s1, s19
	s_cbranch_execnz .LBB118_1187
; %bb.965:                              ;   in Loop: Header=BB118_3 Depth=1
	s_or_b32 exec_lo, exec_lo, s1
	s_and_saveexec_b32 s1, s20
	s_cbranch_execnz .LBB118_1188
.LBB118_966:                            ;   in Loop: Header=BB118_3 Depth=1
	s_or_b32 exec_lo, exec_lo, s1
	s_and_saveexec_b32 s1, s21
	s_cbranch_execnz .LBB118_1189
.LBB118_967:                            ;   in Loop: Header=BB118_3 Depth=1
	s_or_b32 exec_lo, exec_lo, s1
	s_and_saveexec_b32 s1, s22
	s_cbranch_execnz .LBB118_1190
.LBB118_968:                            ;   in Loop: Header=BB118_3 Depth=1
	s_or_b32 exec_lo, exec_lo, s1
	s_and_saveexec_b32 s1, s23
	s_cbranch_execnz .LBB118_1191
.LBB118_969:                            ;   in Loop: Header=BB118_3 Depth=1
	s_or_b32 exec_lo, exec_lo, s1
	s_and_saveexec_b32 s1, s3
	s_cbranch_execnz .LBB118_1192
.LBB118_970:                            ;   in Loop: Header=BB118_3 Depth=1
	s_or_b32 exec_lo, exec_lo, s1
	s_and_saveexec_b32 s1, s18
	s_cbranch_execz .LBB118_972
.LBB118_971:                            ;   in Loop: Header=BB118_3 Depth=1
	ds_load_b32 v28, v34 offset:14304
	ds_load_b32 v29, v1 offset:12508
	s_wait_dscnt 0x0
	v_fmac_f32_e32 v0, v28, v29
.LBB118_972:                            ;   in Loop: Header=BB118_3 Depth=1
	s_or_b32 exec_lo, exec_lo, s1
	s_delay_alu instid0(VALU_DEP_1)
	v_xor_b32_e32 v0, 0x80000000, v0
.LBB118_973:                            ;   in Loop: Header=BB118_3 Depth=1
	s_or_b32 exec_lo, exec_lo, s10
	s_and_saveexec_b32 s1, s39
	s_cbranch_execz .LBB118_975
; %bb.974:                              ;   in Loop: Header=BB118_3 Depth=1
	ds_load_b32 v28, v1 offset:14560
	s_wait_dscnt 0x0
	v_mul_f32_e32 v0, v0, v28
	ds_store_b32 v42, v0
.LBB118_975:                            ;   in Loop: Header=BB118_3 Depth=1
	s_or_b32 exec_lo, exec_lo, s1
	s_wait_dscnt 0x0
	s_barrier_signal -1
	s_barrier_wait -1
	s_and_saveexec_b32 s1, s40
	s_cbranch_execz .LBB118_977
; %bb.976:                              ;   in Loop: Header=BB118_3 Depth=1
	ds_load_b32 v28, v41 offset:14560
	ds_load_b32 v29, v42
	s_wait_dscnt 0x0
	v_fmac_f32_e32 v0, v28, v29
.LBB118_977:                            ;   in Loop: Header=BB118_3 Depth=1
	s_or_b32 exec_lo, exec_lo, s1
	s_barrier_signal -1
	s_barrier_wait -1
	s_and_saveexec_b32 s1, s41
	s_cbranch_execz .LBB118_979
; %bb.978:                              ;   in Loop: Header=BB118_3 Depth=1
	ds_load_b32 v28, v1 offset:14820
	s_wait_dscnt 0x0
	v_mul_f32_e32 v0, v0, v28
	ds_store_b32 v42, v0
.LBB118_979:                            ;   in Loop: Header=BB118_3 Depth=1
	s_or_b32 exec_lo, exec_lo, s1
	s_wait_dscnt 0x0
	s_barrier_signal -1
	s_barrier_wait -1
	s_and_saveexec_b32 s1, s42
	s_cbranch_execz .LBB118_981
; %bb.980:                              ;   in Loop: Header=BB118_3 Depth=1
	ds_load_b32 v28, v41 offset:14816
	ds_load_b32 v29, v42
	s_wait_dscnt 0x0
	v_fmac_f32_e32 v0, v28, v29
.LBB118_981:                            ;   in Loop: Header=BB118_3 Depth=1
	s_or_b32 exec_lo, exec_lo, s1
	s_barrier_signal -1
	s_barrier_wait -1
	;; [unrolled: 23-line block ×6, first 2 shown]
	s_and_saveexec_b32 s1, s51
	s_cbranch_execz .LBB118_999
; %bb.998:                              ;   in Loop: Header=BB118_3 Depth=1
	ds_load_b32 v28, v1 offset:16120
	s_wait_dscnt 0x0
	v_mul_f32_e32 v0, v0, v28
	ds_store_b32 v42, v0
.LBB118_999:                            ;   in Loop: Header=BB118_3 Depth=1
	s_or_b32 exec_lo, exec_lo, s1
	s_wait_dscnt 0x0
	s_barrier_signal -1
	s_barrier_wait -1
	s_and_saveexec_b32 s1, s52
	s_cbranch_execz .LBB118_1001
; %bb.1000:                             ;   in Loop: Header=BB118_3 Depth=1
	ds_load_b32 v28, v1 offset:16124
	ds_load_b32 v29, v42
	s_wait_dscnt 0x0
	v_fmac_f32_e32 v0, v28, v29
.LBB118_1001:                           ;   in Loop: Header=BB118_3 Depth=1
	s_or_b32 exec_lo, exec_lo, s1
	s_barrier_signal -1
	s_barrier_wait -1
	s_and_saveexec_b32 s1, s52
	s_cbranch_execz .LBB118_1003
; %bb.1002:                             ;   in Loop: Header=BB118_3 Depth=1
	ds_load_b32 v28, v1 offset:16380
	s_wait_dscnt 0x0
	v_mul_f32_e32 v0, v0, v28
	ds_store_b32 v42, v0
.LBB118_1003:                           ;   in Loop: Header=BB118_3 Depth=1
	s_or_b32 exec_lo, exec_lo, s1
	s_wait_dscnt 0x0
	s_barrier_signal -1
	s_barrier_wait -1
	s_barrier_signal -1
	s_barrier_wait -1
	s_and_saveexec_b32 s1, s4
; %bb.1004:                             ;   in Loop: Header=BB118_3 Depth=1
	v_xor_b32_e32 v0, 0x80000000, v0
	ds_store_b32 v43, v0 offset:12512
; %bb.1005:                             ;   in Loop: Header=BB118_3 Depth=1
	s_or_b32 exec_lo, exec_lo, s1
	s_wait_dscnt 0x0
	s_barrier_signal -1
	s_barrier_wait -1
	s_barrier_signal -1
	s_barrier_wait -1
	s_and_saveexec_b32 s1, s15
	s_cbranch_execz .LBB118_1007
; %bb.1006:                             ;   in Loop: Header=BB118_3 Depth=1
	ds_load_b64 v[28:29], v1 offset:14560
	ds_load_b32 v0, v1 offset:14820
	s_wait_dscnt 0x0
	v_mul_f32_e32 v0, v28, v0
	s_delay_alu instid0(VALU_DEP_1)
	v_mul_f32_e32 v0, v29, v0
	ds_store_b32 v1, v0 offset:14564
.LBB118_1007:                           ;   in Loop: Header=BB118_3 Depth=1
	s_or_b32 exec_lo, exec_lo, s1
	v_mov_b32_e32 v0, 0
	s_wait_dscnt 0x0
	s_barrier_signal -1
	s_barrier_wait -1
	s_and_saveexec_b32 s10, s2
	s_cbranch_execz .LBB118_1011
; %bb.1008:                             ;   in Loop: Header=BB118_3 Depth=1
	ds_load_b32 v0, v32 offset:14568
	ds_load_b32 v28, v33 offset:14560
	s_wait_dscnt 0x0
	v_fma_f32 v0, v0, v28, 0
	s_and_saveexec_b32 s1, s16
	s_cbranch_execz .LBB118_1010
; %bb.1009:                             ;   in Loop: Header=BB118_3 Depth=1
	ds_load_b32 v28, v34 offset:14824
	ds_load_b32 v29, v1 offset:14564
	s_wait_dscnt 0x0
	v_fmac_f32_e32 v0, v28, v29
.LBB118_1010:                           ;   in Loop: Header=BB118_3 Depth=1
	s_or_b32 exec_lo, exec_lo, s1
	s_delay_alu instid0(VALU_DEP_1)
	v_xor_b32_e32 v0, 0x80000000, v0
.LBB118_1011:                           ;   in Loop: Header=BB118_3 Depth=1
	s_or_b32 exec_lo, exec_lo, s10
	s_and_saveexec_b32 s1, s101
	s_cbranch_execz .LBB118_1013
; %bb.1012:                             ;   in Loop: Header=BB118_3 Depth=1
	ds_load_b32 v28, v1 offset:15080
	s_wait_dscnt 0x0
	v_mul_f32_e32 v0, v0, v28
	ds_store_b32 v3, v0
.LBB118_1013:                           ;   in Loop: Header=BB118_3 Depth=1
	s_or_b32 exec_lo, exec_lo, s1
	s_wait_dscnt 0x0
	s_barrier_signal -1
	s_barrier_wait -1
	s_and_saveexec_b32 s1, s102
	s_cbranch_execz .LBB118_1015
; %bb.1014:                             ;   in Loop: Header=BB118_3 Depth=1
	ds_load_b32 v28, v1 offset:15084
	ds_load_b32 v29, v3
	s_wait_dscnt 0x0
	v_fmac_f32_e32 v0, v28, v29
.LBB118_1015:                           ;   in Loop: Header=BB118_3 Depth=1
	s_or_b32 exec_lo, exec_lo, s1
	s_barrier_signal -1
	s_barrier_wait -1
	s_and_saveexec_b32 s1, s102
	s_cbranch_execz .LBB118_1017
; %bb.1016:                             ;   in Loop: Header=BB118_3 Depth=1
	ds_load_b32 v28, v1 offset:15340
	s_wait_dscnt 0x0
	v_mul_f32_e32 v0, v0, v28
	ds_store_b32 v3, v0
.LBB118_1017:                           ;   in Loop: Header=BB118_3 Depth=1
	s_or_b32 exec_lo, exec_lo, s1
	s_wait_dscnt 0x0
	s_barrier_signal -1
	s_barrier_wait -1
	s_barrier_signal -1
	s_barrier_wait -1
	s_and_saveexec_b32 s1, s2
; %bb.1018:                             ;   in Loop: Header=BB118_3 Depth=1
	v_xor_b32_e32 v0, 0x80000000, v0
	ds_store_b32 v32, v0 offset:14568
; %bb.1019:                             ;   in Loop: Header=BB118_3 Depth=1
	s_or_b32 exec_lo, exec_lo, s1
	s_wait_dscnt 0x0
	s_barrier_signal -1
	s_barrier_wait -1
	s_barrier_signal -1
	s_barrier_wait -1
	s_and_saveexec_b32 s1, s15
	s_cbranch_execz .LBB118_1021
; %bb.1020:                             ;   in Loop: Header=BB118_3 Depth=1
	ds_load_b64 v[28:29], v1 offset:15080
	ds_load_b32 v0, v1 offset:15340
	s_wait_dscnt 0x0
	v_mul_f32_e32 v0, v28, v0
	s_delay_alu instid0(VALU_DEP_1)
	v_mul_f32_e32 v0, v29, v0
	ds_store_b32 v1, v0 offset:15084
.LBB118_1021:                           ;   in Loop: Header=BB118_3 Depth=1
	s_or_b32 exec_lo, exec_lo, s1
	v_mov_b32_e32 v0, 0
	s_wait_dscnt 0x0
	s_barrier_signal -1
	s_barrier_wait -1
	s_and_saveexec_b32 s10, s3
	s_cbranch_execz .LBB118_1027
; %bb.1022:                             ;   in Loop: Header=BB118_3 Depth=1
	ds_load_b32 v0, v38 offset:14576
	ds_load_b32 v28, v35 offset:14560
	s_wait_dscnt 0x0
	v_fma_f32 v0, v0, v28, 0
	s_and_saveexec_b32 s1, s17
	s_cbranch_execnz .LBB118_1193
; %bb.1023:                             ;   in Loop: Header=BB118_3 Depth=1
	s_or_b32 exec_lo, exec_lo, s1
	s_and_saveexec_b32 s1, s18
	s_cbranch_execnz .LBB118_1194
.LBB118_1024:                           ;   in Loop: Header=BB118_3 Depth=1
	s_or_b32 exec_lo, exec_lo, s1
	s_and_saveexec_b32 s1, s2
	s_cbranch_execz .LBB118_1026
.LBB118_1025:                           ;   in Loop: Header=BB118_3 Depth=1
	ds_load_b32 v28, v34 offset:15344
	ds_load_b32 v29, v1 offset:14572
	s_wait_dscnt 0x0
	v_fmac_f32_e32 v0, v28, v29
.LBB118_1026:                           ;   in Loop: Header=BB118_3 Depth=1
	s_or_b32 exec_lo, exec_lo, s1
	s_delay_alu instid0(VALU_DEP_1)
	v_xor_b32_e32 v0, 0x80000000, v0
.LBB118_1027:                           ;   in Loop: Header=BB118_3 Depth=1
	s_or_b32 exec_lo, exec_lo, s10
	s_and_saveexec_b32 s1, s103
	s_cbranch_execz .LBB118_1029
; %bb.1028:                             ;   in Loop: Header=BB118_3 Depth=1
	ds_load_b32 v28, v1 offset:15600
	s_wait_dscnt 0x0
	v_mul_f32_e32 v0, v0, v28
	ds_store_b32 v37, v0
.LBB118_1029:                           ;   in Loop: Header=BB118_3 Depth=1
	s_or_b32 exec_lo, exec_lo, s1
	s_wait_dscnt 0x0
	s_barrier_signal -1
	s_barrier_wait -1
	s_and_saveexec_b32 s1, s104
	s_cbranch_execz .LBB118_1031
; %bb.1030:                             ;   in Loop: Header=BB118_3 Depth=1
	ds_load_b32 v28, v36 offset:15600
	ds_load_b32 v29, v37
	s_wait_dscnt 0x0
	v_fmac_f32_e32 v0, v28, v29
.LBB118_1031:                           ;   in Loop: Header=BB118_3 Depth=1
	s_or_b32 exec_lo, exec_lo, s1
	s_barrier_signal -1
	s_barrier_wait -1
	s_and_saveexec_b32 s1, vcc_hi
	s_cbranch_execz .LBB118_1033
; %bb.1032:                             ;   in Loop: Header=BB118_3 Depth=1
	ds_load_b32 v28, v1 offset:15860
	s_wait_dscnt 0x0
	v_mul_f32_e32 v0, v0, v28
	ds_store_b32 v37, v0
.LBB118_1033:                           ;   in Loop: Header=BB118_3 Depth=1
	s_or_b32 exec_lo, exec_lo, s1
	s_wait_dscnt 0x0
	s_barrier_signal -1
	s_barrier_wait -1
	s_and_saveexec_b32 s1, s36
	s_cbranch_execz .LBB118_1035
; %bb.1034:                             ;   in Loop: Header=BB118_3 Depth=1
	ds_load_b32 v28, v36 offset:15856
	ds_load_b32 v29, v37
	s_wait_dscnt 0x0
	v_fmac_f32_e32 v0, v28, v29
.LBB118_1035:                           ;   in Loop: Header=BB118_3 Depth=1
	s_or_b32 exec_lo, exec_lo, s1
	s_barrier_signal -1
	s_barrier_wait -1
	s_and_saveexec_b32 s1, s37
	s_cbranch_execz .LBB118_1037
; %bb.1036:                             ;   in Loop: Header=BB118_3 Depth=1
	ds_load_b32 v28, v1 offset:16120
	s_wait_dscnt 0x0
	v_mul_f32_e32 v0, v0, v28
	ds_store_b32 v37, v0
.LBB118_1037:                           ;   in Loop: Header=BB118_3 Depth=1
	s_or_b32 exec_lo, exec_lo, s1
	s_wait_dscnt 0x0
	s_barrier_signal -1
	s_barrier_wait -1
	s_and_saveexec_b32 s1, s38
	s_cbranch_execz .LBB118_1039
; %bb.1038:                             ;   in Loop: Header=BB118_3 Depth=1
	ds_load_b32 v28, v1 offset:16124
	ds_load_b32 v29, v37
	s_wait_dscnt 0x0
	v_fmac_f32_e32 v0, v28, v29
.LBB118_1039:                           ;   in Loop: Header=BB118_3 Depth=1
	s_or_b32 exec_lo, exec_lo, s1
	s_barrier_signal -1
	s_barrier_wait -1
	s_and_saveexec_b32 s1, s38
	s_cbranch_execz .LBB118_1041
; %bb.1040:                             ;   in Loop: Header=BB118_3 Depth=1
	ds_load_b32 v28, v1 offset:16380
	s_wait_dscnt 0x0
	v_mul_f32_e32 v0, v0, v28
	ds_store_b32 v37, v0
.LBB118_1041:                           ;   in Loop: Header=BB118_3 Depth=1
	s_or_b32 exec_lo, exec_lo, s1
	s_wait_dscnt 0x0
	s_barrier_signal -1
	s_barrier_wait -1
	s_barrier_signal -1
	s_barrier_wait -1
	s_and_saveexec_b32 s1, s3
; %bb.1042:                             ;   in Loop: Header=BB118_3 Depth=1
	v_xor_b32_e32 v0, 0x80000000, v0
	ds_store_b32 v38, v0 offset:14576
; %bb.1043:                             ;   in Loop: Header=BB118_3 Depth=1
	s_or_b32 exec_lo, exec_lo, s1
	s_wait_dscnt 0x0
	s_barrier_signal -1
	s_barrier_wait -1
	s_barrier_signal -1
	s_barrier_wait -1
	s_and_saveexec_b32 s1, s15
	s_cbranch_execz .LBB118_1045
; %bb.1044:                             ;   in Loop: Header=BB118_3 Depth=1
	ds_load_b64 v[28:29], v1 offset:15600
	ds_load_b32 v0, v1 offset:15860
	s_wait_dscnt 0x0
	v_mul_f32_e32 v0, v28, v0
	s_delay_alu instid0(VALU_DEP_1)
	v_mul_f32_e32 v0, v29, v0
	ds_store_b32 v1, v0 offset:15604
.LBB118_1045:                           ;   in Loop: Header=BB118_3 Depth=1
	s_or_b32 exec_lo, exec_lo, s1
	v_mov_b32_e32 v0, 0
	s_wait_dscnt 0x0
	s_barrier_signal -1
	s_barrier_wait -1
	s_and_saveexec_b32 s10, s2
	s_cbranch_execz .LBB118_1049
; %bb.1046:                             ;   in Loop: Header=BB118_3 Depth=1
	ds_load_b32 v0, v32 offset:15608
	ds_load_b32 v28, v33 offset:15600
	s_wait_dscnt 0x0
	v_fma_f32 v0, v0, v28, 0
	s_and_saveexec_b32 s1, s16
	s_cbranch_execz .LBB118_1048
; %bb.1047:                             ;   in Loop: Header=BB118_3 Depth=1
	ds_load_b32 v28, v34 offset:15864
	ds_load_b32 v29, v1 offset:15604
	s_wait_dscnt 0x0
	v_fmac_f32_e32 v0, v28, v29
.LBB118_1048:                           ;   in Loop: Header=BB118_3 Depth=1
	s_or_b32 exec_lo, exec_lo, s1
	s_delay_alu instid0(VALU_DEP_1)
	v_xor_b32_e32 v0, 0x80000000, v0
.LBB118_1049:                           ;   in Loop: Header=BB118_3 Depth=1
	s_or_b32 exec_lo, exec_lo, s10
	s_and_saveexec_b32 s1, s101
	s_cbranch_execz .LBB118_1051
; %bb.1050:                             ;   in Loop: Header=BB118_3 Depth=1
	ds_load_b32 v28, v1 offset:16120
	s_wait_dscnt 0x0
	v_mul_f32_e32 v0, v0, v28
	ds_store_b32 v3, v0
.LBB118_1051:                           ;   in Loop: Header=BB118_3 Depth=1
	s_or_b32 exec_lo, exec_lo, s1
	s_wait_dscnt 0x0
	s_barrier_signal -1
	s_barrier_wait -1
	s_and_saveexec_b32 s1, s102
	s_cbranch_execz .LBB118_1053
; %bb.1052:                             ;   in Loop: Header=BB118_3 Depth=1
	ds_load_b32 v28, v1 offset:16124
	ds_load_b32 v29, v3
	s_wait_dscnt 0x0
	v_fmac_f32_e32 v0, v28, v29
.LBB118_1053:                           ;   in Loop: Header=BB118_3 Depth=1
	s_or_b32 exec_lo, exec_lo, s1
	s_barrier_signal -1
	s_barrier_wait -1
	s_and_saveexec_b32 s1, s102
	s_cbranch_execz .LBB118_1055
; %bb.1054:                             ;   in Loop: Header=BB118_3 Depth=1
	ds_load_b32 v28, v1 offset:16380
	s_wait_dscnt 0x0
	v_mul_f32_e32 v0, v0, v28
	ds_store_b32 v3, v0
.LBB118_1055:                           ;   in Loop: Header=BB118_3 Depth=1
	s_or_b32 exec_lo, exec_lo, s1
	s_wait_dscnt 0x0
	s_barrier_signal -1
	s_barrier_wait -1
	s_barrier_signal -1
	s_barrier_wait -1
	s_and_saveexec_b32 s1, s2
; %bb.1056:                             ;   in Loop: Header=BB118_3 Depth=1
	v_xor_b32_e32 v0, 0x80000000, v0
	ds_store_b32 v32, v0 offset:15608
; %bb.1057:                             ;   in Loop: Header=BB118_3 Depth=1
	s_or_b32 exec_lo, exec_lo, s1
	s_wait_dscnt 0x0
	s_barrier_signal -1
	s_barrier_wait -1
	s_barrier_signal -1
	s_barrier_wait -1
	s_and_saveexec_b32 s1, s15
	s_cbranch_execz .LBB118_1059
; %bb.1058:                             ;   in Loop: Header=BB118_3 Depth=1
	ds_load_b64 v[28:29], v1 offset:16120
	ds_load_b32 v0, v1 offset:16380
	s_wait_dscnt 0x0
	v_mul_f32_e32 v0, v28, v0
	s_delay_alu instid0(VALU_DEP_1)
	v_mul_f32_e32 v0, v29, v0
	ds_store_b32 v1, v0 offset:16124
.LBB118_1059:                           ;   in Loop: Header=BB118_3 Depth=1
	s_or_b32 exec_lo, exec_lo, s1
.LBB118_1060:                           ;   in Loop: Header=BB118_3 Depth=1
	v_add_nc_u64_e32 v[26:27], s[78:79], v[26:27]
	v_mov_b32_e32 v68, 0
	s_wait_dscnt 0x0
	s_barrier_signal -1
	s_barrier_wait -1
	s_wait_xcnt 0x0
	s_and_saveexec_b32 s1, s12
	s_cbranch_execz .LBB118_1062
; %bb.1061:                             ;   in Loop: Header=BB118_3 Depth=1
	v_lshl_add_u64 v[28:29], v[10:11], 2, v[26:27]
	v_readlane_b32 s8, v77, 1
	flat_load_b32 v0, v[28:29]
	s_wait_loadcnt_dscnt 0x0
	v_mul_f32_e64 v68, v0, -s8
.LBB118_1062:                           ;   in Loop: Header=BB118_3 Depth=1
	s_or_b32 exec_lo, exec_lo, s1
	s_delay_alu instid0(SALU_CYCLE_1)
	s_and_not1_b32 vcc_lo, exec_lo, s53
	s_cbranch_vccnz .LBB118_1088
; %bb.1063:                             ;   in Loop: Header=BB118_3 Depth=1
	v_lshl_add_u64 v[24:25], v[6:7], 2, v[24:25]
	v_mov_b32_e32 v69, -1
	s_lshl_b64 s[92:93], s[70:71], 2
	s_mov_b32 s10, 0
	s_add_nc_u64 s[92:93], s[82:83], s[92:93]
	s_branch .LBB118_1066
.LBB118_1064:                           ;   in Loop: Header=BB118_1066 Depth=2
	s_wait_xcnt 0x0
	ds_load_b32 v28, v5 offset:192
	s_wait_loadcnt_dscnt 0x0
	v_fmac_f32_e32 v68, v0, v28
.LBB118_1065:                           ;   in Loop: Header=BB118_1066 Depth=2
	s_or_b32 exec_lo, exec_lo, s1
	s_add_co_i32 s10, s10, 1
	s_delay_alu instid0(SALU_CYCLE_1)
	s_cmp_eq_u32 s10, s96
	s_cbranch_scc1 .LBB118_1088
.LBB118_1066:                           ;   Parent Loop BB118_3 Depth=1
                                        ; =>  This Loop Header: Depth=2
                                        ;       Child Loop BB118_1068 Depth 3
	v_cmp_gt_i32_e32 vcc_lo, s10, v69
	s_and_b32 s8, s59, vcc_lo
	s_delay_alu instid0(SALU_CYCLE_1)
	s_and_saveexec_b32 s1, s8
	s_cbranch_execz .LBB118_1069
; %bb.1067:                             ;   in Loop: Header=BB118_1066 Depth=2
	global_load_b32 v69, v1, s[92:93]
	s_wait_loadcnt 0x0
	v_cmp_le_i32_e32 vcc_lo, s10, v69
	s_cbranch_vccnz .LBB118_1069
.LBB118_1068:                           ;   Parent Loop BB118_3 Depth=1
                                        ;     Parent Loop BB118_1066 Depth=2
                                        ; =>    This Inner Loop Header: Depth=3
	global_wb scope:SCOPE_DEV
	s_wait_storecnt 0x0
	global_inv scope:SCOPE_DEV
	global_load_b32 v69, v1, s[92:93]
	s_wait_loadcnt 0x0
	v_cmp_gt_i32_e32 vcc_lo, s10, v69
	s_cbranch_vccnz .LBB118_1068
.LBB118_1069:                           ;   in Loop: Header=BB118_1066 Depth=2
	s_or_b32 exec_lo, exec_lo, s1
	s_lshl_b32 s69, s10, 6
	global_wb scope:SCOPE_DEV
	s_wait_storecnt 0x0
	global_inv scope:SCOPE_DEV
	s_wait_loadcnt 0x0
	s_barrier_signal -1
	s_barrier_wait -1
	s_and_saveexec_b32 s1, s60
	s_cbranch_execz .LBB118_1073
; %bb.1070:                             ;   in Loop: Header=BB118_1066 Depth=2
	v_dual_mov_b32 v28, 0 :: v_dual_bitop2_b32 v0, s69, v4 bitop3:0x54
	s_mov_b32 s8, exec_lo
	s_delay_alu instid0(VALU_DEP_1)
	v_cmpx_gt_i32_e64 s95, v0
	s_cbranch_execz .LBB118_1072
; %bb.1071:                             ;   in Loop: Header=BB118_1066 Depth=2
	v_mul_u64_e32 v[28:29], s[84:85], v[0:1]
	s_delay_alu instid0(VALU_DEP_1)
	v_lshl_add_u64 v[28:29], v[28:29], 2, v[26:27]
	flat_load_b32 v28, v[28:29]
.LBB118_1072:                           ;   in Loop: Header=BB118_1066 Depth=2
	s_wait_xcnt 0x0
	s_or_b32 exec_lo, exec_lo, s8
	s_wait_loadcnt_dscnt 0x0
	ds_store_b32 v55, v28
.LBB118_1073:                           ;   in Loop: Header=BB118_1066 Depth=2
	s_or_b32 exec_lo, exec_lo, s1
	v_add_nc_u32_e32 v0, s69, v30
	v_cmp_ne_u32_e32 vcc_lo, s10, v31
	s_wait_dscnt 0x0
	s_barrier_signal -1
	s_barrier_wait -1
	v_mul_u64_e32 v[28:29], s[80:81], v[0:1]
	v_cmp_gt_i32_e64 s69, s95, v0
	v_cndmask_b32_e64 v70, 0, 1, vcc_lo
	s_and_b32 s8, s0, s69
	v_lshl_add_u64 v[28:29], v[28:29], 2, v[24:25]
	s_and_saveexec_b32 s1, s8
	s_cbranch_execz .LBB118_1077
; %bb.1074:                             ;   in Loop: Header=BB118_1066 Depth=2
	v_mov_b32_e32 v71, v64
	s_and_not1_b32 vcc_lo, exec_lo, vcc_lo
	s_cbranch_vccnz .LBB118_1076
; %bb.1075:                             ;   in Loop: Header=BB118_1066 Depth=2
	flat_load_b32 v71, v[28:29]
.LBB118_1076:                           ;   in Loop: Header=BB118_1066 Depth=2
	ds_load_b32 v72, v5
	s_wait_loadcnt_dscnt 0x0
	v_fmac_f32_e32 v68, v71, v72
.LBB118_1077:                           ;   in Loop: Header=BB118_1066 Depth=2
	s_or_b32 exec_lo, exec_lo, s1
	v_add_nc_u32_e32 v71, 16, v0
	s_delay_alu instid0(VALU_DEP_1) | instskip(SKIP_1) | instid1(SALU_CYCLE_1)
	v_cmp_gt_i32_e32 vcc_lo, s95, v71
	s_and_b32 s8, s0, vcc_lo
	s_and_saveexec_b32 s1, s8
	s_cbranch_execz .LBB118_1081
; %bb.1078:                             ;   in Loop: Header=BB118_1066 Depth=2
	v_cmp_ne_u32_e32 vcc_lo, 1, v70
	v_mov_b32_e32 v71, v65
	s_cbranch_vccnz .LBB118_1080
; %bb.1079:                             ;   in Loop: Header=BB118_1066 Depth=2
	v_add_nc_u64_e32 v[72:73], s[86:87], v[28:29]
	flat_load_b32 v71, v[72:73]
.LBB118_1080:                           ;   in Loop: Header=BB118_1066 Depth=2
	s_wait_xcnt 0x0
	ds_load_b32 v72, v5 offset:64
	s_wait_loadcnt_dscnt 0x0
	v_fmac_f32_e32 v68, v71, v72
.LBB118_1081:                           ;   in Loop: Header=BB118_1066 Depth=2
	s_or_b32 exec_lo, exec_lo, s1
	v_add_nc_u32_e32 v71, 32, v0
	s_delay_alu instid0(VALU_DEP_1) | instskip(SKIP_1) | instid1(SALU_CYCLE_1)
	v_cmp_gt_i32_e32 vcc_lo, s95, v71
	s_and_b32 s8, s0, vcc_lo
	s_and_saveexec_b32 s1, s8
	s_cbranch_execz .LBB118_1085
; %bb.1082:                             ;   in Loop: Header=BB118_1066 Depth=2
	v_cmp_ne_u32_e32 vcc_lo, 1, v70
	v_mov_b32_e32 v71, v66
	s_cbranch_vccnz .LBB118_1084
; %bb.1083:                             ;   in Loop: Header=BB118_1066 Depth=2
	v_add_nc_u64_e32 v[72:73], s[88:89], v[28:29]
	flat_load_b32 v71, v[72:73]
.LBB118_1084:                           ;   in Loop: Header=BB118_1066 Depth=2
	s_wait_xcnt 0x0
	ds_load_b32 v72, v5 offset:128
	s_wait_loadcnt_dscnt 0x0
	v_fmac_f32_e32 v68, v71, v72
.LBB118_1085:                           ;   in Loop: Header=BB118_1066 Depth=2
	s_or_b32 exec_lo, exec_lo, s1
	v_add_nc_u32_e32 v0, 48, v0
	s_delay_alu instid0(VALU_DEP_1) | instskip(SKIP_1) | instid1(SALU_CYCLE_1)
	v_cmp_gt_i32_e32 vcc_lo, s95, v0
	s_and_b32 s8, s0, vcc_lo
	s_and_saveexec_b32 s1, s8
	s_cbranch_execz .LBB118_1065
; %bb.1086:                             ;   in Loop: Header=BB118_1066 Depth=2
	v_cmp_ne_u32_e32 vcc_lo, 1, v70
	v_mov_b32_e32 v0, v67
	s_cbranch_vccnz .LBB118_1064
; %bb.1087:                             ;   in Loop: Header=BB118_1066 Depth=2
	v_add_nc_u64_e32 v[28:29], s[90:91], v[28:29]
	flat_load_b32 v0, v[28:29]
	s_branch .LBB118_1064
.LBB118_1088:                           ;   in Loop: Header=BB118_3 Depth=1
	ds_store_b32 v56, v68
	s_wait_dscnt 0x0
	s_barrier_signal -1
	s_barrier_wait -1
	s_and_saveexec_b32 s10, s7
	s_cbranch_execz .LBB118_1090
; %bb.1089:                             ;   in Loop: Header=BB118_3 Depth=1
	ds_load_2addr_stride64_b32 v[24:25], v57 offset0:1 offset1:2
	ds_load_2addr_stride64_b32 v[28:29], v57 offset0:3 offset1:4
	;; [unrolled: 1-line block ×4, first 2 shown]
	v_readlane_b32 s1, v75, 1
	s_wait_dscnt 0x3
	v_add_f32_e32 v0, v68, v24
	s_delay_alu instid0(VALU_DEP_1) | instskip(SKIP_3) | instid1(VALU_DEP_1)
	v_add_f32_e32 v0, v0, v25
	ds_load_2addr_stride64_b32 v[24:25], v57 offset0:9 offset1:10
	s_wait_dscnt 0x3
	v_add_f32_e32 v0, v0, v28
	v_add_f32_e32 v0, v0, v29
	ds_load_2addr_stride64_b32 v[28:29], v57 offset0:11 offset1:12
	s_wait_dscnt 0x3
	v_add_f32_e32 v0, v0, v70
	ds_load_2addr_stride64_b32 v[68:69], v57 offset0:13 offset1:14
	ds_load_b32 v70, v57 offset:3840
	v_add_f32_e32 v0, v0, v71
	s_wait_dscnt 0x4
	s_delay_alu instid0(VALU_DEP_1) | instskip(NEXT) | instid1(VALU_DEP_1)
	v_add_f32_e32 v0, v0, v72
	v_add_f32_e32 v0, v0, v73
	s_wait_dscnt 0x3
	s_delay_alu instid0(VALU_DEP_1) | instskip(NEXT) | instid1(VALU_DEP_1)
	v_add_f32_e32 v0, v0, v24
	;; [unrolled: 4-line block ×5, first 2 shown]
	v_cndmask_b32_e64 v68, -v0, 0, s1
.LBB118_1090:                           ;   in Loop: Header=BB118_3 Depth=1
	s_or_b32 exec_lo, exec_lo, s10
	s_delay_alu instid0(SALU_CYCLE_1)
	s_and_not1_b32 vcc_lo, exec_lo, s100
	s_cbranch_vccnz .LBB118_1103
; %bb.1091:                             ;   in Loop: Header=BB118_3 Depth=1
	s_and_saveexec_b32 s1, s7
; %bb.1092:                             ;   in Loop: Header=BB118_3 Depth=1
	ds_store_b32 v59, v68
; %bb.1093:                             ;   in Loop: Header=BB118_3 Depth=1
	s_or_b32 exec_lo, exec_lo, s1
	v_mov_b32_e32 v0, 0
	s_wait_dscnt 0x0
	s_barrier_signal -1
	s_barrier_wait -1
	s_mov_b32 s1, exec_lo
	v_readlane_b32 s8, v74, 24
	s_and_b32 s8, s1, s8
	s_delay_alu instid0(SALU_CYCLE_1)
	s_mov_b32 exec_lo, s8
	s_cbranch_execz .LBB118_1095
; %bb.1094:                             ;   in Loop: Header=BB118_3 Depth=1
	ds_load_b32 v0, v58
	ds_load_b32 v24, v5
	s_wait_dscnt 0x0
	v_fma_f32 v0, v0, v24, 0
.LBB118_1095:                           ;   in Loop: Header=BB118_3 Depth=1
	s_or_b32 exec_lo, exec_lo, s1
	s_delay_alu instid0(SALU_CYCLE_1) | instskip(SKIP_2) | instid1(SALU_CYCLE_1)
	s_mov_b32 s1, exec_lo
	v_readlane_b32 s8, v74, 25
	s_and_b32 s8, s1, s8
	s_mov_b32 exec_lo, s8
	s_cbranch_execz .LBB118_1097
; %bb.1096:                             ;   in Loop: Header=BB118_3 Depth=1
	ds_load_b32 v24, v58 offset:4096
	ds_load_b32 v25, v5 offset:64
	s_wait_dscnt 0x0
	v_fmac_f32_e32 v0, v24, v25
.LBB118_1097:                           ;   in Loop: Header=BB118_3 Depth=1
	s_or_b32 exec_lo, exec_lo, s1
	s_delay_alu instid0(SALU_CYCLE_1) | instskip(SKIP_2) | instid1(SALU_CYCLE_1)
	s_mov_b32 s1, exec_lo
	v_readlane_b32 s8, v74, 26
	s_and_b32 s8, s1, s8
	s_mov_b32 exec_lo, s8
	s_cbranch_execz .LBB118_1099
; %bb.1098:                             ;   in Loop: Header=BB118_3 Depth=1
	ds_load_b32 v24, v58 offset:8192
	ds_load_b32 v25, v5 offset:128
	s_wait_dscnt 0x0
	v_fmac_f32_e32 v0, v24, v25
.LBB118_1099:                           ;   in Loop: Header=BB118_3 Depth=1
	;; [unrolled: 13-line block ×3, first 2 shown]
	s_or_b32 exec_lo, exec_lo, s1
	s_mov_b32 s10, 0
	s_mov_b32 s69, 0
	ds_store_b32 v56, v0
	s_wait_dscnt 0x0
	s_barrier_signal -1
	s_barrier_wait -1
                                        ; implicit-def: $vgpr24
	s_and_saveexec_b32 s92, s7
	s_cbranch_execz .LBB118_1139
; %bb.1102:                             ;   in Loop: Header=BB118_3 Depth=1
	ds_load_2addr_stride64_b32 v[24:25], v57 offset0:1 offset1:2
	ds_load_2addr_stride64_b32 v[28:29], v57 offset0:3 offset1:4
	;; [unrolled: 1-line block ×4, first 2 shown]
	s_mov_b32 s69, exec_lo
	s_wait_dscnt 0x3
	v_add_f32_e32 v0, v0, v24
	s_delay_alu instid0(VALU_DEP_1) | instskip(SKIP_3) | instid1(VALU_DEP_1)
	v_add_f32_e32 v0, v25, v0
	ds_load_2addr_stride64_b32 v[24:25], v57 offset0:9 offset1:10
	s_wait_dscnt 0x3
	v_add_f32_e32 v0, v28, v0
	v_add_f32_e32 v0, v29, v0
	ds_load_2addr_stride64_b32 v[28:29], v57 offset0:11 offset1:12
	s_wait_dscnt 0x3
	v_add_f32_e32 v0, v70, v0
	s_delay_alu instid0(VALU_DEP_1) | instskip(SKIP_4) | instid1(VALU_DEP_1)
	v_add_f32_e32 v0, v71, v0
	ds_load_2addr_stride64_b32 v[70:71], v57 offset0:13 offset1:14
	ds_load_b32 v69, v57 offset:3840
	s_wait_dscnt 0x4
	v_add_f32_e32 v0, v72, v0
	v_add_f32_e32 v0, v73, v0
	s_wait_dscnt 0x3
	s_delay_alu instid0(VALU_DEP_1) | instskip(NEXT) | instid1(VALU_DEP_1)
	v_add_f32_e32 v0, v24, v0
	v_add_f32_e32 v0, v25, v0
	s_wait_dscnt 0x2
	s_delay_alu instid0(VALU_DEP_1) | instskip(NEXT) | instid1(VALU_DEP_1)
	;; [unrolled: 4-line block ×3, first 2 shown]
	v_add_f32_e32 v0, v70, v0
	v_add_f32_e32 v0, v71, v0
	s_wait_dscnt 0x0
	s_delay_alu instid0(VALU_DEP_1) | instskip(SKIP_1) | instid1(SALU_CYCLE_1)
	v_add_f32_e32 v24, v69, v0
	s_or_b32 exec_lo, exec_lo, s92
	s_and_b32 vcc_lo, exec_lo, s10
	s_cbranch_vccnz .LBB118_1104
	s_branch .LBB118_1140
.LBB118_1103:                           ;   in Loop: Header=BB118_3 Depth=1
	s_mov_b32 s69, 0
                                        ; implicit-def: $vgpr24
	s_cbranch_execz .LBB118_1140
.LBB118_1104:                           ;   in Loop: Header=BB118_3 Depth=1
	v_dual_mov_b32 v0, v2 :: v_dual_mov_b32 v24, v34
	s_mov_b32 s10, 0
	s_branch .LBB118_1106
.LBB118_1105:                           ;   in Loop: Header=BB118_1106 Depth=2
	s_or_b32 exec_lo, exec_lo, s1
	v_add_nc_u32_e32 v24, 0x400, v24
	v_add_nc_u32_e32 v0, -4, v0
	s_add_co_i32 s10, s10, 4
	s_delay_alu instid0(SALU_CYCLE_1)
	s_cmp_lg_u32 s10, 64
	s_barrier_signal -1
	s_barrier_wait -1
	s_cbranch_scc0 .LBB118_1122
.LBB118_1106:                           ;   Parent Loop BB118_3 Depth=1
                                        ; =>  This Inner Loop Header: Depth=2
	s_delay_alu instid0(VALU_DEP_1) | instskip(SKIP_1) | instid1(SALU_CYCLE_1)
	v_cmp_eq_u32_e32 vcc_lo, 0, v0
	s_and_b32 s8, s7, vcc_lo
	s_and_saveexec_b32 s1, s8
	s_cbranch_execz .LBB118_1108
; %bb.1107:                             ;   in Loop: Header=BB118_1106 Depth=2
	ds_load_b32 v25, v60
	s_wait_dscnt 0x0
	v_mul_f32_e32 v68, v68, v25
	ds_store_b32 v1, v68 offset:20736
.LBB118_1108:                           ;   in Loop: Header=BB118_1106 Depth=2
	s_or_b32 exec_lo, exec_lo, s1
	v_cmp_lt_u32_e32 vcc_lo, s10, v2
	s_wait_dscnt 0x0
	s_barrier_signal -1
	s_barrier_wait -1
	s_and_b32 s8, s7, vcc_lo
	s_delay_alu instid0(SALU_CYCLE_1)
	s_and_saveexec_b32 s1, s8
	s_cbranch_execz .LBB118_1110
; %bb.1109:                             ;   in Loop: Header=BB118_1106 Depth=2
	ds_load_b32 v25, v24
	ds_load_b32 v28, v1 offset:20736
	s_wait_dscnt 0x0
	v_fmac_f32_e32 v68, v25, v28
.LBB118_1110:                           ;   in Loop: Header=BB118_1106 Depth=2
	s_or_b32 exec_lo, exec_lo, s1
	s_or_b32 s1, s10, 1
	s_delay_alu instid0(SALU_CYCLE_1) | instskip(SKIP_3) | instid1(SALU_CYCLE_1)
	v_cmp_eq_u32_e32 vcc_lo, s1, v2
	s_barrier_signal -1
	s_barrier_wait -1
	s_and_b32 s92, s7, vcc_lo
	s_and_saveexec_b32 s8, s92
	s_cbranch_execz .LBB118_1112
; %bb.1111:                             ;   in Loop: Header=BB118_1106 Depth=2
	ds_load_b32 v25, v60
	s_wait_dscnt 0x0
	v_mul_f32_e32 v68, v68, v25
	ds_store_b32 v1, v68 offset:20736
.LBB118_1112:                           ;   in Loop: Header=BB118_1106 Depth=2
	s_or_b32 exec_lo, exec_lo, s8
	v_cmp_lt_u32_e32 vcc_lo, s1, v2
	s_wait_dscnt 0x0
	s_barrier_signal -1
	s_barrier_wait -1
	s_and_b32 s8, s7, vcc_lo
	s_delay_alu instid0(SALU_CYCLE_1)
	s_and_saveexec_b32 s1, s8
	s_cbranch_execz .LBB118_1114
; %bb.1113:                             ;   in Loop: Header=BB118_1106 Depth=2
	ds_load_b32 v25, v24 offset:256
	ds_load_b32 v28, v1 offset:20736
	s_wait_dscnt 0x0
	v_fmac_f32_e32 v68, v25, v28
.LBB118_1114:                           ;   in Loop: Header=BB118_1106 Depth=2
	s_or_b32 exec_lo, exec_lo, s1
	s_or_b32 s1, s10, 2
	s_delay_alu instid0(SALU_CYCLE_1) | instskip(SKIP_3) | instid1(SALU_CYCLE_1)
	v_cmp_eq_u32_e32 vcc_lo, s1, v2
	s_barrier_signal -1
	s_barrier_wait -1
	s_and_b32 s92, s7, vcc_lo
	s_and_saveexec_b32 s8, s92
	s_cbranch_execz .LBB118_1116
; %bb.1115:                             ;   in Loop: Header=BB118_1106 Depth=2
	ds_load_b32 v25, v60
	s_wait_dscnt 0x0
	v_mul_f32_e32 v68, v68, v25
	ds_store_b32 v1, v68 offset:20736
.LBB118_1116:                           ;   in Loop: Header=BB118_1106 Depth=2
	s_or_b32 exec_lo, exec_lo, s8
	v_cmp_lt_u32_e32 vcc_lo, s1, v2
	s_wait_dscnt 0x0
	s_barrier_signal -1
	s_barrier_wait -1
	s_and_b32 s8, s7, vcc_lo
	s_delay_alu instid0(SALU_CYCLE_1)
	s_and_saveexec_b32 s1, s8
	s_cbranch_execz .LBB118_1118
; %bb.1117:                             ;   in Loop: Header=BB118_1106 Depth=2
	ds_load_b32 v25, v24 offset:512
	ds_load_b32 v28, v1 offset:20736
	s_wait_dscnt 0x0
	v_fmac_f32_e32 v68, v25, v28
.LBB118_1118:                           ;   in Loop: Header=BB118_1106 Depth=2
	s_or_b32 exec_lo, exec_lo, s1
	s_or_b32 s1, s10, 3
	s_delay_alu instid0(SALU_CYCLE_1) | instskip(SKIP_3) | instid1(SALU_CYCLE_1)
	v_cmp_eq_u32_e32 vcc_lo, s1, v2
	s_barrier_signal -1
	s_barrier_wait -1
	s_and_b32 s92, s7, vcc_lo
	s_and_saveexec_b32 s8, s92
	s_cbranch_execz .LBB118_1120
; %bb.1119:                             ;   in Loop: Header=BB118_1106 Depth=2
	ds_load_b32 v25, v60
	s_wait_dscnt 0x0
	v_mul_f32_e32 v68, v68, v25
	ds_store_b32 v1, v68 offset:20736
.LBB118_1120:                           ;   in Loop: Header=BB118_1106 Depth=2
	s_or_b32 exec_lo, exec_lo, s8
	v_cmp_lt_u32_e32 vcc_lo, s1, v2
	s_wait_dscnt 0x0
	s_barrier_signal -1
	s_barrier_wait -1
	s_and_b32 s8, s7, vcc_lo
	s_delay_alu instid0(SALU_CYCLE_1)
	s_and_saveexec_b32 s1, s8
	s_cbranch_execz .LBB118_1105
; %bb.1121:                             ;   in Loop: Header=BB118_1106 Depth=2
	ds_load_b32 v25, v24 offset:768
	ds_load_b32 v28, v1 offset:20736
	s_wait_dscnt 0x0
	v_fmac_f32_e32 v68, v25, v28
	s_branch .LBB118_1105
.LBB118_1122:                           ;   in Loop: Header=BB118_3 Depth=1
	s_and_b32 vcc_lo, exec_lo, s99
	s_mov_b32 s1, -1
	s_cbranch_vccz .LBB118_1124
; %bb.1123:                             ;   in Loop: Header=BB118_3 Depth=1
	s_and_not1_b32 s8, s69, exec_lo
	s_and_b32 s10, s7, exec_lo
	s_mov_b32 s1, 0
	s_or_b32 s69, s8, s10
.LBB118_1124:                           ;   in Loop: Header=BB118_3 Depth=1
	s_and_not1_b32 vcc_lo, exec_lo, s1
	s_cbranch_vccnz .LBB118_1126
; %bb.1125:                             ;   in Loop: Header=BB118_3 Depth=1
	v_readlane_b32 s8, v75, 2
	s_and_not1_b32 s1, s69, exec_lo
	s_and_b32 s8, s8, exec_lo
	s_delay_alu instid0(SALU_CYCLE_1)
	s_or_b32 s69, s1, s8
.LBB118_1126:                           ;   in Loop: Header=BB118_3 Depth=1
	v_mov_b64_e32 v[24:25], v[14:15]
	s_and_saveexec_b32 s1, s69
	s_cbranch_execnz .LBB118_1141
	s_branch .LBB118_1142
.LBB118_1127:                           ;   in Loop: Header=BB118_3 Depth=1
	s_mov_b32 s1, exec_lo
	v_readlane_b32 s8, v75, 15
	s_and_b32 s8, s1, s8
	s_delay_alu instid0(SALU_CYCLE_1)
	s_xor_b32 s1, s8, s1
	s_mov_b32 exec_lo, s8
	s_cbranch_execz .LBB118_1129
; %bb.1128:                             ;   in Loop: Header=BB118_3 Depth=1
	v_readlane_b32 s8, v74, 28
	s_and_b32 s69, s8, exec_lo
.LBB118_1129:                           ;   in Loop: Header=BB118_3 Depth=1
	s_or_saveexec_b32 s92, s1
	v_mov_b32_e32 v0, 0
	s_xor_b32 exec_lo, exec_lo, s92
	s_cbranch_execz .LBB118_1131
; %bb.1130:                             ;   in Loop: Header=BB118_3 Depth=1
	v_lshl_add_u64 v[28:29], v[16:17], 2, v[24:25]
	s_or_b32 s69, s69, exec_lo
	flat_load_b32 v0, v[28:29]
	s_wait_loadcnt_dscnt 0x0
	v_div_scale_f32 v28, null, v0, v0, 1.0
	s_delay_alu instid0(VALU_DEP_1) | instskip(SKIP_1) | instid1(TRANS32_DEP_1)
	v_rcp_f32_e32 v29, v28
	v_nop
	v_fma_f32 v68, -v28, v29, 1.0
	s_delay_alu instid0(VALU_DEP_1) | instskip(SKIP_1) | instid1(VALU_DEP_1)
	v_fmac_f32_e32 v29, v68, v29
	v_div_scale_f32 v68, vcc_lo, 1.0, v0, 1.0
	v_mul_f32_e32 v69, v68, v29
	s_delay_alu instid0(VALU_DEP_1) | instskip(NEXT) | instid1(VALU_DEP_1)
	v_fma_f32 v70, -v28, v69, v68
	v_fmac_f32_e32 v69, v70, v29
	s_delay_alu instid0(VALU_DEP_1) | instskip(NEXT) | instid1(VALU_DEP_1)
	v_fma_f32 v28, -v28, v69, v68
	v_div_fmas_f32 v28, v28, v29, v69
	s_delay_alu instid0(VALU_DEP_1)
	v_div_fixup_f32 v0, v28, v0, 1.0
.LBB118_1131:                           ;   in Loop: Header=BB118_3 Depth=1
	s_or_b32 exec_lo, exec_lo, s92
	s_delay_alu instid0(SALU_CYCLE_1)
	s_and_b32 s69, s69, exec_lo
	s_and_not1_saveexec_b32 s1, s10
	s_cbranch_execz .LBB118_17
.LBB118_1132:                           ;   in Loop: Header=BB118_3 Depth=1
	v_lshl_add_u64 v[28:29], v[16:17], 2, v[24:25]
	s_or_b32 s69, s69, exec_lo
	flat_load_b32 v0, v[28:29]
	s_wait_loadcnt_dscnt 0x0
	v_xor_b32_e32 v0, 0x80000000, v0
	s_or_b32 exec_lo, exec_lo, s1
	s_and_saveexec_b32 s1, s69
	s_cbranch_execnz .LBB118_18
	s_branch .LBB118_19
.LBB118_1133:                           ;   in Loop: Header=BB118_3 Depth=1
	s_mov_b32 s1, exec_lo
	v_readlane_b32 s8, v75, 16
	s_and_b32 s8, s1, s8
	s_delay_alu instid0(SALU_CYCLE_1)
	s_xor_b32 s1, s8, s1
	s_mov_b32 exec_lo, s8
	s_cbranch_execz .LBB118_1135
; %bb.1134:                             ;   in Loop: Header=BB118_3 Depth=1
	v_readlane_b32 s8, v74, 28
	s_and_b32 s69, s8, exec_lo
.LBB118_1135:                           ;   in Loop: Header=BB118_3 Depth=1
	s_or_saveexec_b32 s92, s1
	v_mov_b32_e32 v0, 0
	s_xor_b32 exec_lo, exec_lo, s92
	s_cbranch_execz .LBB118_1137
; %bb.1136:                             ;   in Loop: Header=BB118_3 Depth=1
	v_lshl_add_u64 v[28:29], v[16:17], 2, v[24:25]
	s_or_b32 s69, s69, exec_lo
	flat_load_b32 v0, v[28:29]
	s_wait_loadcnt_dscnt 0x0
	v_div_scale_f32 v28, null, v0, v0, 1.0
	s_delay_alu instid0(VALU_DEP_1) | instskip(SKIP_1) | instid1(TRANS32_DEP_1)
	v_rcp_f32_e32 v29, v28
	v_nop
	v_fma_f32 v68, -v28, v29, 1.0
	s_delay_alu instid0(VALU_DEP_1) | instskip(SKIP_1) | instid1(VALU_DEP_1)
	v_fmac_f32_e32 v29, v68, v29
	v_div_scale_f32 v68, vcc_lo, 1.0, v0, 1.0
	v_mul_f32_e32 v69, v68, v29
	s_delay_alu instid0(VALU_DEP_1) | instskip(NEXT) | instid1(VALU_DEP_1)
	v_fma_f32 v70, -v28, v69, v68
	v_fmac_f32_e32 v69, v70, v29
	s_delay_alu instid0(VALU_DEP_1) | instskip(NEXT) | instid1(VALU_DEP_1)
	v_fma_f32 v28, -v28, v69, v68
	v_div_fmas_f32 v28, v28, v29, v69
	s_delay_alu instid0(VALU_DEP_1)
	v_div_fixup_f32 v0, v28, v0, 1.0
.LBB118_1137:                           ;   in Loop: Header=BB118_3 Depth=1
	s_or_b32 exec_lo, exec_lo, s92
	s_delay_alu instid0(SALU_CYCLE_1)
	s_and_b32 s69, s69, exec_lo
	s_and_not1_saveexec_b32 s1, s10
	s_cbranch_execz .LBB118_52
.LBB118_1138:                           ;   in Loop: Header=BB118_3 Depth=1
	v_lshl_add_u64 v[28:29], v[16:17], 2, v[24:25]
	s_or_b32 s69, s69, exec_lo
	flat_load_b32 v0, v[28:29]
	s_wait_loadcnt_dscnt 0x0
	v_xor_b32_e32 v0, 0x80000000, v0
	s_or_b32 exec_lo, exec_lo, s1
	s_and_saveexec_b32 s1, s69
	s_cbranch_execnz .LBB118_53
	s_branch .LBB118_54
.LBB118_1139:                           ;   in Loop: Header=BB118_3 Depth=1
	s_or_b32 exec_lo, exec_lo, s92
	s_delay_alu instid0(SALU_CYCLE_1)
	s_and_b32 vcc_lo, exec_lo, s10
	s_cbranch_vccnz .LBB118_1104
.LBB118_1140:                           ;   in Loop: Header=BB118_3 Depth=1
	v_mov_b32_e32 v68, v24
	v_mov_b64_e32 v[24:25], v[12:13]
	s_and_saveexec_b32 s1, s69
	s_cbranch_execz .LBB118_1142
.LBB118_1141:                           ;   in Loop: Header=BB118_3 Depth=1
	s_delay_alu instid0(VALU_DEP_1)
	v_lshl_add_u64 v[24:25], v[24:25], 2, v[26:27]
	flat_store_b32 v[24:25], v68
.LBB118_1142:                           ;   in Loop: Header=BB118_3 Depth=1
	s_wait_xcnt 0x0
	s_or_b32 exec_lo, exec_lo, s1
	global_wb scope:SCOPE_DEV
	s_wait_storecnt_dscnt 0x0
	global_inv scope:SCOPE_DEV
	s_wait_loadcnt 0x0
	s_barrier_signal -1
	s_barrier_wait -1
	s_and_saveexec_b32 s1, s59
	s_cbranch_execz .LBB118_2
; %bb.1143:                             ;   in Loop: Header=BB118_3 Depth=1
	s_lshl_b64 s[92:93], s[70:71], 2
	s_delay_alu instid0(SALU_CYCLE_1)
	s_add_nc_u64 s[92:93], s[82:83], s[92:93]
	global_load_b32 v0, v1, s[92:93]
	s_wait_loadcnt 0x0
	v_add_nc_u32_e32 v0, 1, v0
	global_store_b32 v1, v0, s[92:93]
	s_branch .LBB118_2
.LBB118_1144:                           ;   in Loop: Header=BB118_3 Depth=1
	ds_load_b32 v28, v39 offset:272
	ds_load_b32 v29, v35 offset:4
	s_wait_dscnt 0x0
	v_fmac_f32_e32 v0, v28, v29
	s_or_b32 exec_lo, exec_lo, s1
	s_and_saveexec_b32 s1, s18
	s_cbranch_execz .LBB118_105
.LBB118_1145:                           ;   in Loop: Header=BB118_3 Depth=1
	ds_load_b32 v28, v38 offset:528
	ds_load_b32 v29, v35 offset:8
	s_wait_dscnt 0x0
	v_fmac_f32_e32 v0, v28, v29
	s_or_b32 exec_lo, exec_lo, s1
	s_and_saveexec_b32 s1, s2
	s_cbranch_execnz .LBB118_106
	s_branch .LBB118_107
.LBB118_1146:                           ;   in Loop: Header=BB118_3 Depth=1
	ds_load_b32 v28, v44 offset:288
	ds_load_b32 v29, v40 offset:4
	s_wait_dscnt 0x0
	v_fmac_f32_e32 v0, v28, v29
	s_or_b32 exec_lo, exec_lo, s1
	s_and_saveexec_b32 s1, s20
	s_cbranch_execz .LBB118_143
.LBB118_1147:                           ;   in Loop: Header=BB118_3 Depth=1
	ds_load_b32 v28, v44 offset:544
	ds_load_b32 v29, v40 offset:8
	s_wait_dscnt 0x0
	v_fmac_f32_e32 v0, v28, v29
	s_or_b32 exec_lo, exec_lo, s1
	s_and_saveexec_b32 s1, s21
	s_cbranch_execz .LBB118_144
.LBB118_1148:                           ;   in Loop: Header=BB118_3 Depth=1
	ds_load_b32 v28, v44 offset:800
	ds_load_b32 v29, v40 offset:12
	s_wait_dscnt 0x0
	v_fmac_f32_e32 v0, v28, v29
	s_or_b32 exec_lo, exec_lo, s1
	s_and_saveexec_b32 s1, s22
	s_cbranch_execz .LBB118_145
.LBB118_1149:                           ;   in Loop: Header=BB118_3 Depth=1
	ds_load_b32 v28, v43 offset:1056
	ds_load_b32 v29, v40 offset:16
	s_wait_dscnt 0x0
	v_fmac_f32_e32 v0, v28, v29
	s_or_b32 exec_lo, exec_lo, s1
	s_and_saveexec_b32 s1, s23
	s_cbranch_execz .LBB118_146
.LBB118_1150:                           ;   in Loop: Header=BB118_3 Depth=1
	ds_load_b32 v28, v44 offset:1312
	ds_load_b32 v29, v40 offset:20
	s_wait_dscnt 0x0
	v_fmac_f32_e32 v0, v28, v29
	s_or_b32 exec_lo, exec_lo, s1
	s_and_saveexec_b32 s1, s3
	s_cbranch_execz .LBB118_147
.LBB118_1151:                           ;   in Loop: Header=BB118_3 Depth=1
	ds_load_b32 v28, v43 offset:1568
	ds_load_b32 v29, v40 offset:24
	s_wait_dscnt 0x0
	v_fmac_f32_e32 v0, v28, v29
	s_or_b32 exec_lo, exec_lo, s1
	s_and_saveexec_b32 s1, s18
	s_cbranch_execnz .LBB118_148
	s_branch .LBB118_149
.LBB118_1152:                           ;   in Loop: Header=BB118_3 Depth=1
	ds_load_b32 v28, v39 offset:2352
	ds_load_b32 v29, v35 offset:2084
	s_wait_dscnt 0x0
	v_fmac_f32_e32 v0, v28, v29
	s_or_b32 exec_lo, exec_lo, s1
	s_and_saveexec_b32 s1, s18
	s_cbranch_execz .LBB118_201
.LBB118_1153:                           ;   in Loop: Header=BB118_3 Depth=1
	ds_load_b32 v28, v38 offset:2608
	ds_load_b32 v29, v35 offset:2088
	s_wait_dscnt 0x0
	v_fmac_f32_e32 v0, v28, v29
	s_or_b32 exec_lo, exec_lo, s1
	s_and_saveexec_b32 s1, s2
	s_cbranch_execnz .LBB118_202
	s_branch .LBB118_203
.LBB118_1154:                           ;   in Loop: Header=BB118_3 Depth=1
	ds_load_b32 v28, v49 offset:2880
	ds_load_b32 v29, v45 offset:44
	s_wait_dscnt 0x0
	v_fmac_f32_e32 v0, v28, v29
	s_or_b32 exec_lo, exec_lo, s1
	s_and_saveexec_b32 s1, s4
	s_cbranch_execz .LBB118_259
.LBB118_1155:                           ;   in Loop: Header=BB118_3 Depth=1
	ds_load_b32 v28, v48 offset:3136
	ds_load_b32 v29, v45 offset:48
	s_wait_dscnt 0x0
	v_fmac_f32_e32 v0, v28, v29
	s_or_b32 exec_lo, exec_lo, s1
	s_and_saveexec_b32 s1, s20
	s_cbranch_execz .LBB118_260
.LBB118_1156:                           ;   in Loop: Header=BB118_3 Depth=1
	ds_load_b32 v28, v49 offset:3392
	ds_load_b32 v29, v45 offset:52
	s_wait_dscnt 0x0
	v_fmac_f32_e32 v0, v28, v29
	s_or_b32 exec_lo, exec_lo, s1
	s_and_saveexec_b32 s1, s22
	s_cbranch_execz .LBB118_261
.LBB118_1157:                           ;   in Loop: Header=BB118_3 Depth=1
	ds_load_b32 v28, v48 offset:3648
	ds_load_b32 v29, v45 offset:56
	s_wait_dscnt 0x0
	v_fmac_f32_e32 v0, v28, v29
	s_or_b32 exec_lo, exec_lo, s1
	s_and_saveexec_b32 s1, s3
	s_cbranch_execnz .LBB118_262
	s_branch .LBB118_263
.LBB118_1158:                           ;   in Loop: Header=BB118_3 Depth=1
	ds_load_b32 v28, v39 offset:4432
	ds_load_b32 v29, v35 offset:4164
	s_wait_dscnt 0x0
	v_fmac_f32_e32 v0, v28, v29
	s_or_b32 exec_lo, exec_lo, s1
	s_and_saveexec_b32 s1, s18
	s_cbranch_execz .LBB118_347
.LBB118_1159:                           ;   in Loop: Header=BB118_3 Depth=1
	ds_load_b32 v28, v38 offset:4688
	ds_load_b32 v29, v35 offset:4168
	s_wait_dscnt 0x0
	v_fmac_f32_e32 v0, v28, v29
	s_or_b32 exec_lo, exec_lo, s1
	s_and_saveexec_b32 s1, s2
	s_cbranch_execnz .LBB118_348
	s_branch .LBB118_349
.LBB118_1160:                           ;   in Loop: Header=BB118_3 Depth=1
	ds_load_b32 v28, v44 offset:4448
	ds_load_b32 v29, v40 offset:4164
	s_wait_dscnt 0x0
	v_fmac_f32_e32 v0, v28, v29
	s_or_b32 exec_lo, exec_lo, s1
	s_and_saveexec_b32 s1, s20
	s_cbranch_execz .LBB118_385
.LBB118_1161:                           ;   in Loop: Header=BB118_3 Depth=1
	ds_load_b32 v28, v44 offset:4704
	ds_load_b32 v29, v40 offset:4168
	s_wait_dscnt 0x0
	v_fmac_f32_e32 v0, v28, v29
	s_or_b32 exec_lo, exec_lo, s1
	s_and_saveexec_b32 s1, s21
	s_cbranch_execz .LBB118_386
.LBB118_1162:                           ;   in Loop: Header=BB118_3 Depth=1
	ds_load_b32 v28, v44 offset:4960
	ds_load_b32 v29, v40 offset:4172
	s_wait_dscnt 0x0
	v_fmac_f32_e32 v0, v28, v29
	s_or_b32 exec_lo, exec_lo, s1
	s_and_saveexec_b32 s1, s22
	s_cbranch_execz .LBB118_387
.LBB118_1163:                           ;   in Loop: Header=BB118_3 Depth=1
	ds_load_b32 v28, v43 offset:5216
	ds_load_b32 v29, v40 offset:4176
	s_wait_dscnt 0x0
	v_fmac_f32_e32 v0, v28, v29
	s_or_b32 exec_lo, exec_lo, s1
	s_and_saveexec_b32 s1, s23
	s_cbranch_execz .LBB118_388
.LBB118_1164:                           ;   in Loop: Header=BB118_3 Depth=1
	ds_load_b32 v28, v44 offset:5472
	ds_load_b32 v29, v40 offset:4180
	s_wait_dscnt 0x0
	v_fmac_f32_e32 v0, v28, v29
	s_or_b32 exec_lo, exec_lo, s1
	s_and_saveexec_b32 s1, s3
	s_cbranch_execz .LBB118_389
.LBB118_1165:                           ;   in Loop: Header=BB118_3 Depth=1
	ds_load_b32 v28, v43 offset:5728
	ds_load_b32 v29, v40 offset:4184
	s_wait_dscnt 0x0
	v_fmac_f32_e32 v0, v28, v29
	s_or_b32 exec_lo, exec_lo, s1
	s_and_saveexec_b32 s1, s18
	s_cbranch_execnz .LBB118_390
	s_branch .LBB118_391
.LBB118_1166:                           ;   in Loop: Header=BB118_3 Depth=1
	ds_load_b32 v28, v39 offset:6512
	ds_load_b32 v29, v35 offset:6244
	s_wait_dscnt 0x0
	v_fmac_f32_e32 v0, v28, v29
	s_or_b32 exec_lo, exec_lo, s1
	s_and_saveexec_b32 s1, s18
	s_cbranch_execz .LBB118_443
.LBB118_1167:                           ;   in Loop: Header=BB118_3 Depth=1
	ds_load_b32 v28, v38 offset:6768
	ds_load_b32 v29, v35 offset:6248
	s_wait_dscnt 0x0
	v_fmac_f32_e32 v0, v28, v29
	s_or_b32 exec_lo, exec_lo, s1
	s_and_saveexec_b32 s1, s2
	s_cbranch_execnz .LBB118_444
	s_branch .LBB118_445
.LBB118_1168:                           ;   in Loop: Header=BB118_3 Depth=1
	ds_load_b32 v29, v54 offset:7296
	ds_load_b32 v68, v28 offset:112
	s_wait_dscnt 0x0
	v_fmac_f32_e32 v0, v29, v68
	s_or_b32 exec_lo, exec_lo, s1
	s_and_saveexec_b32 s1, s9
	s_cbranch_execz .LBB118_535
.LBB118_1169:                           ;   in Loop: Header=BB118_3 Depth=1
	ds_load_b32 v29, v54 offset:7552
	ds_load_b32 v68, v28 offset:116
	s_wait_dscnt 0x0
	v_fmac_f32_e32 v0, v29, v68
	s_or_b32 exec_lo, exec_lo, s1
	s_and_saveexec_b32 s1, s4
	s_cbranch_execz .LBB118_536
.LBB118_1170:                           ;   in Loop: Header=BB118_3 Depth=1
	ds_load_b32 v29, v54 offset:7808
	ds_load_b32 v28, v28 offset:120
	s_wait_dscnt 0x0
	v_fmac_f32_e32 v0, v29, v28
	s_or_b32 exec_lo, exec_lo, s1
	s_and_saveexec_b32 s1, s22
	s_cbranch_execnz .LBB118_537
	s_branch .LBB118_538
.LBB118_1171:                           ;   in Loop: Header=BB118_3 Depth=1
	ds_load_b32 v28, v39 offset:8592
	ds_load_b32 v29, v35 offset:8324
	s_wait_dscnt 0x0
	v_fmac_f32_e32 v0, v28, v29
	s_or_b32 exec_lo, exec_lo, s1
	s_and_saveexec_b32 s1, s18
	s_cbranch_execz .LBB118_686
.LBB118_1172:                           ;   in Loop: Header=BB118_3 Depth=1
	ds_load_b32 v28, v38 offset:8848
	ds_load_b32 v29, v35 offset:8328
	s_wait_dscnt 0x0
	v_fmac_f32_e32 v0, v28, v29
	s_or_b32 exec_lo, exec_lo, s1
	s_and_saveexec_b32 s1, s2
	s_cbranch_execnz .LBB118_687
	s_branch .LBB118_688
.LBB118_1173:                           ;   in Loop: Header=BB118_3 Depth=1
	ds_load_b32 v28, v44 offset:8608
	ds_load_b32 v29, v40 offset:8324
	s_wait_dscnt 0x0
	v_fmac_f32_e32 v0, v28, v29
	s_or_b32 exec_lo, exec_lo, s1
	s_and_saveexec_b32 s1, s20
	s_cbranch_execz .LBB118_724
.LBB118_1174:                           ;   in Loop: Header=BB118_3 Depth=1
	ds_load_b32 v28, v44 offset:8864
	ds_load_b32 v29, v40 offset:8328
	s_wait_dscnt 0x0
	v_fmac_f32_e32 v0, v28, v29
	s_or_b32 exec_lo, exec_lo, s1
	s_and_saveexec_b32 s1, s21
	s_cbranch_execz .LBB118_725
.LBB118_1175:                           ;   in Loop: Header=BB118_3 Depth=1
	ds_load_b32 v28, v44 offset:9120
	ds_load_b32 v29, v40 offset:8332
	s_wait_dscnt 0x0
	v_fmac_f32_e32 v0, v28, v29
	s_or_b32 exec_lo, exec_lo, s1
	s_and_saveexec_b32 s1, s22
	s_cbranch_execz .LBB118_726
.LBB118_1176:                           ;   in Loop: Header=BB118_3 Depth=1
	ds_load_b32 v28, v43 offset:9376
	ds_load_b32 v29, v40 offset:8336
	s_wait_dscnt 0x0
	v_fmac_f32_e32 v0, v28, v29
	s_or_b32 exec_lo, exec_lo, s1
	s_and_saveexec_b32 s1, s23
	s_cbranch_execz .LBB118_727
.LBB118_1177:                           ;   in Loop: Header=BB118_3 Depth=1
	ds_load_b32 v28, v44 offset:9632
	ds_load_b32 v29, v40 offset:8340
	s_wait_dscnt 0x0
	v_fmac_f32_e32 v0, v28, v29
	s_or_b32 exec_lo, exec_lo, s1
	s_and_saveexec_b32 s1, s3
	s_cbranch_execz .LBB118_728
.LBB118_1178:                           ;   in Loop: Header=BB118_3 Depth=1
	ds_load_b32 v28, v43 offset:9888
	ds_load_b32 v29, v40 offset:8344
	s_wait_dscnt 0x0
	v_fmac_f32_e32 v0, v28, v29
	s_or_b32 exec_lo, exec_lo, s1
	s_and_saveexec_b32 s1, s18
	s_cbranch_execnz .LBB118_729
	s_branch .LBB118_730
.LBB118_1179:                           ;   in Loop: Header=BB118_3 Depth=1
	ds_load_b32 v28, v39 offset:10672
	ds_load_b32 v29, v35 offset:10404
	s_wait_dscnt 0x0
	v_fmac_f32_e32 v0, v28, v29
	s_or_b32 exec_lo, exec_lo, s1
	s_and_saveexec_b32 s1, s18
	s_cbranch_execz .LBB118_782
.LBB118_1180:                           ;   in Loop: Header=BB118_3 Depth=1
	ds_load_b32 v28, v38 offset:10928
	ds_load_b32 v29, v35 offset:10408
	s_wait_dscnt 0x0
	v_fmac_f32_e32 v0, v28, v29
	s_or_b32 exec_lo, exec_lo, s1
	s_and_saveexec_b32 s1, s2
	s_cbranch_execnz .LBB118_783
	s_branch .LBB118_784
.LBB118_1181:                           ;   in Loop: Header=BB118_3 Depth=1
	ds_load_b32 v28, v49 offset:11200
	ds_load_b32 v29, v45 offset:8364
	s_wait_dscnt 0x0
	v_fmac_f32_e32 v0, v28, v29
	s_or_b32 exec_lo, exec_lo, s1
	s_and_saveexec_b32 s1, s4
	s_cbranch_execz .LBB118_840
.LBB118_1182:                           ;   in Loop: Header=BB118_3 Depth=1
	ds_load_b32 v28, v48 offset:11456
	ds_load_b32 v29, v45 offset:8368
	s_wait_dscnt 0x0
	v_fmac_f32_e32 v0, v28, v29
	s_or_b32 exec_lo, exec_lo, s1
	s_and_saveexec_b32 s1, s20
	s_cbranch_execz .LBB118_841
.LBB118_1183:                           ;   in Loop: Header=BB118_3 Depth=1
	ds_load_b32 v28, v49 offset:11712
	ds_load_b32 v29, v45 offset:8372
	s_wait_dscnt 0x0
	v_fmac_f32_e32 v0, v28, v29
	s_or_b32 exec_lo, exec_lo, s1
	s_and_saveexec_b32 s1, s22
	s_cbranch_execz .LBB118_842
.LBB118_1184:                           ;   in Loop: Header=BB118_3 Depth=1
	ds_load_b32 v28, v48 offset:11968
	ds_load_b32 v29, v45 offset:8376
	s_wait_dscnt 0x0
	v_fmac_f32_e32 v0, v28, v29
	s_or_b32 exec_lo, exec_lo, s1
	s_and_saveexec_b32 s1, s3
	s_cbranch_execnz .LBB118_843
	s_branch .LBB118_844
.LBB118_1185:                           ;   in Loop: Header=BB118_3 Depth=1
	ds_load_b32 v28, v39 offset:12752
	ds_load_b32 v29, v35 offset:12484
	s_wait_dscnt 0x0
	v_fmac_f32_e32 v0, v28, v29
	s_or_b32 exec_lo, exec_lo, s1
	s_and_saveexec_b32 s1, s18
	s_cbranch_execz .LBB118_928
.LBB118_1186:                           ;   in Loop: Header=BB118_3 Depth=1
	ds_load_b32 v28, v38 offset:13008
	ds_load_b32 v29, v35 offset:12488
	s_wait_dscnt 0x0
	v_fmac_f32_e32 v0, v28, v29
	s_or_b32 exec_lo, exec_lo, s1
	s_and_saveexec_b32 s1, s2
	s_cbranch_execnz .LBB118_929
	s_branch .LBB118_930
.LBB118_1187:                           ;   in Loop: Header=BB118_3 Depth=1
	ds_load_b32 v28, v44 offset:12768
	ds_load_b32 v29, v40 offset:12484
	s_wait_dscnt 0x0
	v_fmac_f32_e32 v0, v28, v29
	s_or_b32 exec_lo, exec_lo, s1
	s_and_saveexec_b32 s1, s20
	s_cbranch_execz .LBB118_966
.LBB118_1188:                           ;   in Loop: Header=BB118_3 Depth=1
	ds_load_b32 v28, v44 offset:13024
	ds_load_b32 v29, v40 offset:12488
	s_wait_dscnt 0x0
	v_fmac_f32_e32 v0, v28, v29
	s_or_b32 exec_lo, exec_lo, s1
	s_and_saveexec_b32 s1, s21
	s_cbranch_execz .LBB118_967
.LBB118_1189:                           ;   in Loop: Header=BB118_3 Depth=1
	ds_load_b32 v28, v44 offset:13280
	ds_load_b32 v29, v40 offset:12492
	s_wait_dscnt 0x0
	v_fmac_f32_e32 v0, v28, v29
	s_or_b32 exec_lo, exec_lo, s1
	s_and_saveexec_b32 s1, s22
	s_cbranch_execz .LBB118_968
.LBB118_1190:                           ;   in Loop: Header=BB118_3 Depth=1
	ds_load_b32 v28, v43 offset:13536
	ds_load_b32 v29, v40 offset:12496
	s_wait_dscnt 0x0
	v_fmac_f32_e32 v0, v28, v29
	s_or_b32 exec_lo, exec_lo, s1
	s_and_saveexec_b32 s1, s23
	s_cbranch_execz .LBB118_969
.LBB118_1191:                           ;   in Loop: Header=BB118_3 Depth=1
	ds_load_b32 v28, v44 offset:13792
	ds_load_b32 v29, v40 offset:12500
	s_wait_dscnt 0x0
	v_fmac_f32_e32 v0, v28, v29
	s_or_b32 exec_lo, exec_lo, s1
	s_and_saveexec_b32 s1, s3
	s_cbranch_execz .LBB118_970
.LBB118_1192:                           ;   in Loop: Header=BB118_3 Depth=1
	ds_load_b32 v28, v43 offset:14048
	ds_load_b32 v29, v40 offset:12504
	s_wait_dscnt 0x0
	v_fmac_f32_e32 v0, v28, v29
	s_or_b32 exec_lo, exec_lo, s1
	s_and_saveexec_b32 s1, s18
	s_cbranch_execnz .LBB118_971
	s_branch .LBB118_972
.LBB118_1193:                           ;   in Loop: Header=BB118_3 Depth=1
	ds_load_b32 v28, v39 offset:14832
	ds_load_b32 v29, v35 offset:14564
	s_wait_dscnt 0x0
	v_fmac_f32_e32 v0, v28, v29
	s_or_b32 exec_lo, exec_lo, s1
	s_and_saveexec_b32 s1, s18
	s_cbranch_execz .LBB118_1024
.LBB118_1194:                           ;   in Loop: Header=BB118_3 Depth=1
	ds_load_b32 v28, v38 offset:15088
	ds_load_b32 v29, v35 offset:14568
	s_wait_dscnt 0x0
	v_fmac_f32_e32 v0, v28, v29
	s_or_b32 exec_lo, exec_lo, s1
	s_and_saveexec_b32 s1, s2
	s_cbranch_execnz .LBB118_1025
	s_branch .LBB118_1026
.LBB118_1195:
	s_endpgm
	.section	.rodata,"a",@progbits
	.p2align	6, 0x0
	.amdhsa_kernel _ZL19rocblas_trsv_deviceILi64ELi16ELb1ELb0ELb0ELb0EffPKPKfPKPfEviT7_lllT6_T8_lllPii
		.amdhsa_group_segment_fixed_size 20740
		.amdhsa_private_segment_fixed_size 0
		.amdhsa_kernarg_size 352
		.amdhsa_user_sgpr_count 2
		.amdhsa_user_sgpr_dispatch_ptr 0
		.amdhsa_user_sgpr_queue_ptr 0
		.amdhsa_user_sgpr_kernarg_segment_ptr 1
		.amdhsa_user_sgpr_dispatch_id 0
		.amdhsa_user_sgpr_kernarg_preload_length 0
		.amdhsa_user_sgpr_kernarg_preload_offset 0
		.amdhsa_user_sgpr_private_segment_size 0
		.amdhsa_wavefront_size32 1
		.amdhsa_uses_dynamic_stack 0
		.amdhsa_enable_private_segment 0
		.amdhsa_system_sgpr_workgroup_id_x 1
		.amdhsa_system_sgpr_workgroup_id_y 0
		.amdhsa_system_sgpr_workgroup_id_z 1
		.amdhsa_system_sgpr_workgroup_info 0
		.amdhsa_system_vgpr_workitem_id 1
		.amdhsa_next_free_vgpr 78
		.amdhsa_next_free_sgpr 105
		.amdhsa_named_barrier_count 0
		.amdhsa_reserve_vcc 1
		.amdhsa_float_round_mode_32 0
		.amdhsa_float_round_mode_16_64 0
		.amdhsa_float_denorm_mode_32 3
		.amdhsa_float_denorm_mode_16_64 3
		.amdhsa_fp16_overflow 0
		.amdhsa_memory_ordered 1
		.amdhsa_forward_progress 1
		.amdhsa_inst_pref_size 255
		.amdhsa_round_robin_scheduling 0
		.amdhsa_exception_fp_ieee_invalid_op 0
		.amdhsa_exception_fp_denorm_src 0
		.amdhsa_exception_fp_ieee_div_zero 0
		.amdhsa_exception_fp_ieee_overflow 0
		.amdhsa_exception_fp_ieee_underflow 0
		.amdhsa_exception_fp_ieee_inexact 0
		.amdhsa_exception_int_div_zero 0
	.end_amdhsa_kernel
	.section	.text._ZL19rocblas_trsv_deviceILi64ELi16ELb1ELb0ELb0ELb0EffPKPKfPKPfEviT7_lllT6_T8_lllPii,"axG",@progbits,_ZL19rocblas_trsv_deviceILi64ELi16ELb1ELb0ELb0ELb0EffPKPKfPKPfEviT7_lllT6_T8_lllPii,comdat
.Lfunc_end118:
	.size	_ZL19rocblas_trsv_deviceILi64ELi16ELb1ELb0ELb0ELb0EffPKPKfPKPfEviT7_lllT6_T8_lllPii, .Lfunc_end118-_ZL19rocblas_trsv_deviceILi64ELi16ELb1ELb0ELb0ELb0EffPKPKfPKPfEviT7_lllT6_T8_lllPii
                                        ; -- End function
	.set _ZL19rocblas_trsv_deviceILi64ELi16ELb1ELb0ELb0ELb0EffPKPKfPKPfEviT7_lllT6_T8_lllPii.num_vgpr, 78
	.set _ZL19rocblas_trsv_deviceILi64ELi16ELb1ELb0ELb0ELb0EffPKPKfPKPfEviT7_lllT6_T8_lllPii.num_agpr, 0
	.set _ZL19rocblas_trsv_deviceILi64ELi16ELb1ELb0ELb0ELb0EffPKPKfPKPfEviT7_lllT6_T8_lllPii.numbered_sgpr, 105
	.set _ZL19rocblas_trsv_deviceILi64ELi16ELb1ELb0ELb0ELb0EffPKPKfPKPfEviT7_lllT6_T8_lllPii.num_named_barrier, 0
	.set _ZL19rocblas_trsv_deviceILi64ELi16ELb1ELb0ELb0ELb0EffPKPKfPKPfEviT7_lllT6_T8_lllPii.private_seg_size, 0
	.set _ZL19rocblas_trsv_deviceILi64ELi16ELb1ELb0ELb0ELb0EffPKPKfPKPfEviT7_lllT6_T8_lllPii.uses_vcc, 1
	.set _ZL19rocblas_trsv_deviceILi64ELi16ELb1ELb0ELb0ELb0EffPKPKfPKPfEviT7_lllT6_T8_lllPii.uses_flat_scratch, 0
	.set _ZL19rocblas_trsv_deviceILi64ELi16ELb1ELb0ELb0ELb0EffPKPKfPKPfEviT7_lllT6_T8_lllPii.has_dyn_sized_stack, 0
	.set _ZL19rocblas_trsv_deviceILi64ELi16ELb1ELb0ELb0ELb0EffPKPKfPKPfEviT7_lllT6_T8_lllPii.has_recursion, 0
	.set _ZL19rocblas_trsv_deviceILi64ELi16ELb1ELb0ELb0ELb0EffPKPKfPKPfEviT7_lllT6_T8_lllPii.has_indirect_call, 0
	.section	.AMDGPU.csdata,"",@progbits
; Kernel info:
; codeLenInByte = 35412
; TotalNumSgprs: 107
; NumVgprs: 78
; ScratchSize: 0
; MemoryBound: 0
; FloatMode: 240
; IeeeMode: 1
; LDSByteSize: 20740 bytes/workgroup (compile time only)
; SGPRBlocks: 0
; VGPRBlocks: 4
; NumSGPRsForWavesPerEU: 107
; NumVGPRsForWavesPerEU: 78
; NamedBarCnt: 0
; Occupancy: 12
; WaveLimiterHint : 1
; COMPUTE_PGM_RSRC2:SCRATCH_EN: 0
; COMPUTE_PGM_RSRC2:USER_SGPR: 2
; COMPUTE_PGM_RSRC2:TRAP_HANDLER: 0
; COMPUTE_PGM_RSRC2:TGID_X_EN: 1
; COMPUTE_PGM_RSRC2:TGID_Y_EN: 0
; COMPUTE_PGM_RSRC2:TGID_Z_EN: 1
; COMPUTE_PGM_RSRC2:TIDIG_COMP_CNT: 1
	.section	.text._ZL19rocblas_trsv_deviceILi64ELi16ELb1ELb1ELb0ELb0EffPKPKfPKPfEviT7_lllT6_T8_lllPii,"axG",@progbits,_ZL19rocblas_trsv_deviceILi64ELi16ELb1ELb1ELb0ELb0EffPKPKfPKPfEviT7_lllT6_T8_lllPii,comdat
	.globl	_ZL19rocblas_trsv_deviceILi64ELi16ELb1ELb1ELb0ELb0EffPKPKfPKPfEviT7_lllT6_T8_lllPii ; -- Begin function _ZL19rocblas_trsv_deviceILi64ELi16ELb1ELb1ELb0ELb0EffPKPKfPKPfEviT7_lllT6_T8_lllPii
	.p2align	8
	.type	_ZL19rocblas_trsv_deviceILi64ELi16ELb1ELb1ELb0ELb0EffPKPKfPKPfEviT7_lllT6_T8_lllPii,@function
_ZL19rocblas_trsv_deviceILi64ELi16ELb1ELb1ELb0ELb0EffPKPKfPKPfEviT7_lllT6_T8_lllPii: ; @_ZL19rocblas_trsv_deviceILi64ELi16ELb1ELb1ELb0ELb0EffPKPKfPKPfEviT7_lllT6_T8_lllPii
; %bb.0:
	s_load_b32 s6, s[0:1], 0x58
	s_bfe_u32 s2, ttmp6, 0x40014
	s_lshr_b32 s3, ttmp7, 16
	s_add_co_i32 s2, s2, 1
	s_bfe_u32 s5, ttmp6, 0x40008
	s_mul_i32 s4, s3, s2
	s_getreg_b32 s2, hwreg(HW_REG_IB_STS2, 6, 4)
	s_add_co_i32 s5, s5, s4
	s_cmp_eq_u32 s2, 0
	s_mov_b32 s67, 0
	s_cselect_b32 s66, s3, s5
                                        ; implicit-def: $vgpr93 : SGPR spill to VGPR lane
	s_wait_kmcnt 0x0
	s_cmp_ge_u32 s66, s6
	v_writelane_b32 v93, s6, 0
	s_cbranch_scc1 .LBB119_1257
; %bb.1:
	s_clause 0x2
	s_load_b32 s3, s[0:1], 0x6c
	s_load_b32 s85, s[0:1], 0x60
	;; [unrolled: 1-line block ×3, first 2 shown]
	s_bfe_u32 s5, ttmp6, 0x4000c
	s_and_b32 s4, ttmp6, 15
	s_add_co_i32 s5, s5, 1
	s_clause 0x1
	s_load_b64 s[14:15], s[0:1], 0x18
	s_load_b128 s[68:71], s[0:1], 0x8
	s_mul_i32 s5, ttmp9, s5
	s_load_b64 s[78:79], s[0:1], 0x50
	s_add_co_i32 s4, s4, s5
	s_cmp_eq_u32 s2, 0
	v_and_b32_e32 v2, 0x3ff, v0
	s_cselect_b32 s84, ttmp9, s4
	v_mov_b32_e32 v5, 0
	v_bfe_u32 v28, v0, 10, 10
                                        ; implicit-def: $vgpr92 : SGPR spill to VGPR lane
                                        ; implicit-def: $vgpr91 : SGPR spill to VGPR lane
	s_clause 0x1
	s_load_b64 s[80:81], s[0:1], 0x40
	s_load_b128 s[72:75], s[0:1], 0x30
	v_lshlrev_b32_e32 v51, 6, v2
                                        ; implicit-def: $vgpr90 : SGPR spill to VGPR lane
	v_dual_lshlrev_b32 v30, 2, v2 :: v_dual_lshlrev_b32 v32, 8, v2
	s_wait_kmcnt 0x0
	s_and_b32 s4, s3, 0xffff
	s_add_co_i32 s85, s85, -1
	s_add_co_i32 s2, s76, -1
	s_ashr_i32 s77, s76, 31
	s_ashr_i32 s3, s2, 31
	s_lshr_b32 s5, s77, 26
	s_lshr_b32 s3, s3, 26
	s_add_co_i32 s5, s76, s5
	s_add_co_i32 s2, s2, s3
	s_and_not1_b32 s5, s5, 63
	s_sub_co_i32 s65, s85, s84
	s_ashr_i32 s2, s2, 6
	s_sub_co_i32 s18, s76, s5
	s_cmp_eq_u32 s2, s65
	v_dual_mov_b32 v3, v5 :: v_dual_add_nc_u32 v24, 16, v28
	s_cselect_b32 s2, -1, 0
	s_cmp_lg_u32 s18, 0
	v_lshl_add_u32 v22, v28, 6, v2
	s_cselect_b32 s3, -1, 0
	v_lshl_add_u32 v11, v24, 6, v2
	s_and_b32 s19, s3, s2
	v_mad_u32_u24 v4, v28, s4, v2
	s_xor_b32 s86, s19, -1
	s_cmp_lg_u32 s84, 0
	v_cmp_gt_u32_e64 s5, 2, v2
	s_cselect_b32 s2, -1, 0
	s_lshl_b32 s16, s65, 6
	v_writelane_b32 v93, s2, 1
	s_load_b32 s2, s[0:1], 0x28
	v_dual_add_nc_u32 v1, v28, v51 :: v_dual_add_nc_u32 v25, s16, v28
	v_dual_add_nc_u32 v10, v24, v51 :: v_dual_add_nc_u32 v20, s16, v2
	s_cmp_lt_i32 s84, 5
	s_wait_xcnt 0x0
	v_cmp_gt_i32_e64 s0, s18, v2
	v_add_nc_u32_e32 v6, 64, v25
	s_cselect_b32 vcc_lo, -1, 0
	v_dual_cndmask_b32 v26, v22, v1 :: v_dual_ashrrev_i32 v21, 31, v20
	s_or_b32 vcc_lo, vcc_lo, s19
	s_delay_alu instid0(VALU_DEP_2) | instskip(SKIP_4) | instid1(VALU_DEP_3)
	v_ashrrev_i32_e32 v7, 31, v6
	v_dual_cndmask_b32 v27, v11, v10, vcc_lo :: v_dual_lshrrev_b32 v1, 10, v0
	v_dual_lshrrev_b32 v16, 1, v22 :: v_dual_bitop2_b32 v10, 1, v0 bitop3:0x40
	s_ashr_i32 s17, s16, 31
	v_and_b32_e32 v11, -4, v22
	v_bitop3_b32 v23, v0, v1, 0x3ff bitop3:0xa8
	s_wait_kmcnt 0x0
	v_writelane_b32 v93, s2, 2
	s_add_nc_u64 s[2:3], s[14:15], 1
	v_cmp_eq_u32_e64 s4, 1, v10
	v_mad_nc_u64_u32 v[14:15], s2, s16, v[2:3]
	s_mul_i32 s2, s2, s17
	s_mul_i32 s3, s3, s16
	v_dual_lshlrev_b32 v17, 2, v10 :: v_dual_bitop2_b32 v10, 3, v0 bitop3:0x40
	v_lshrrev_b32_e32 v1, 2, v22
	v_add_nc_u32_e32 v35, 0x4000, v11
	s_xor_b32 s89, vcc_lo, -1
	v_mul_u64_e32 v[8:9], s[14:15], v[20:21]
	v_cmp_ne_u32_e64 s6, 0, v10
	v_mul_u32_u24_e32 v31, 0x104, v1
	v_add3_u32 v15, s2, s3, v15
	v_cmp_gt_u32_e64 s2, 4, v22
	s_xor_b32 s3, s4, -1
	v_dual_lshlrev_b32 v33, 2, v10 :: v_dual_sub_nc_u32 v12, v31, v11
	v_cmp_eq_u32_e64 s7, 1, v10
	s_and_b32 s90, s3, s2
	v_cmp_eq_u32_e64 s3, 0, v28
	s_and_b32 s91, s4, s2
	v_cmp_gt_u32_e64 s4, 16, v22
	v_lshl_or_b32 v36, v1, 8, v33
	v_dual_add_nc_u32 v37, v12, v33 :: v_dual_lshrrev_b32 v1, 3, v22
	s_and_b32 s92, s3, s5
	v_cmp_eq_u32_e64 s5, 0, v10
	s_and_b32 s94, s6, s4
	v_cmp_eq_u32_e64 s6, 2, v10
	;; [unrolled: 2-line block ×3, first 2 shown]
	s_and_b32 s93, s5, s4
	v_cmp_lt_u32_e64 s5, 1, v10
	v_dual_lshlrev_b32 v11, 2, v1 :: v_dual_bitop2_b32 v10, 7, v0 bitop3:0x40
	s_and_b32 s97, s6, s4
	s_and_b32 s98, s7, s4
	;; [unrolled: 1-line block ×3, first 2 shown]
	v_cmp_gt_u32_e64 s5, 4, v2
	v_cmp_eq_u32_e64 s6, 0, v10
	v_cmp_ne_u32_e64 s7, 0, v10
	v_mul_u32_u24_e32 v39, 0x104, v1
	v_cmp_eq_u32_e64 s8, 1, v10
	s_and_b32 s99, s3, s5
	v_cmp_gt_u32_e64 s5, 64, v22
	v_lshlrev_b32_e32 v40, 2, v10
	v_add_nc_u32_e32 v41, 0x4000, v11
	v_sub_nc_u32_e32 v11, v39, v11
	v_cmp_eq_u32_e64 s9, 3, v10
	s_and_b32 s100, s6, s5
	s_and_b32 s101, s7, s5
	v_cmp_lt_u32_e64 s6, 1, v10
	v_cmp_eq_u32_e64 s7, 2, v10
	s_and_b32 s102, s8, s5
	v_cmp_lt_u32_e64 s8, 2, v10
	v_lshl_or_b32 v42, v1, 8, v40
	s_and_b32 s103, s6, s5
	v_cmp_lt_u32_e64 s6, 3, v10
	s_and_b32 s104, s7, s5
	v_cmp_eq_u32_e64 s7, 4, v10
	v_dual_add_nc_u32 v43, v11, v40 :: v_dual_lshrrev_b32 v1, 4, v22
	s_and_b32 s37, s6, s5
	v_cmp_lt_u32_e64 s6, 4, v10
	s_and_b32 s38, s7, s5
	v_cmp_eq_u32_e64 s7, 6, v10
	s_and_b32 vcc_hi, s8, s5
	s_and_b32 s36, s9, s5
	v_cmp_eq_u32_e64 s8, 5, v10
	v_cmp_lt_u32_e64 s9, 5, v10
	s_and_b32 s39, s6, s5
	s_and_b32 s42, s7, s5
	v_cmp_eq_u32_e64 s6, 7, v10
	v_cmp_gt_u32_e64 s7, 8, v2
	v_dual_lshlrev_b32 v11, 2, v1 :: v_dual_bitop2_b32 v10, 15, v0 bitop3:0x40
	s_and_b32 s40, s8, s5
	s_and_b32 s43, s6, s5
	s_and_b32 s44, s3, s7
	v_cmp_gt_u32_e64 s6, 0x100, v22
	v_cmp_eq_u32_e64 s7, 0, v10
	v_cmp_ne_u32_e64 s8, 0, v10
	s_and_b32 s41, s9, s5
	v_cmp_eq_u32_e64 s9, 1, v10
	v_mul_u32_u24_e32 v44, 0x104, v1
	s_and_b32 s7, s7, s6
	s_and_b32 s8, s8, s6
	v_writelane_b32 v93, s7, 3
	v_cmp_lt_u32_e64 s7, 1, v10
	s_and_b32 s9, s9, s6
	v_dual_lshlrev_b32 v45, 2, v10 :: v_dual_sub_nc_u32 v12, v44, v11
	v_writelane_b32 v93, s8, 4
	s_and_b32 s7, s7, s6
	v_cmp_eq_u32_e64 s8, 2, v10
	s_delay_alu instid0(VALU_DEP_3)
	v_lshl_or_b32 v47, v1, 8, v45
	v_dual_add_nc_u32 v48, v12, v45 :: v_dual_lshrrev_b32 v1, 5, v22
	v_writelane_b32 v93, s9, 5
	v_cmp_lt_u32_e64 s9, 2, v10
	s_and_b32 s49, s8, s6
	v_cmp_lt_u32_e64 s8, 3, v10
	v_dual_lshlrev_b32 v49, 2, v1 :: v_dual_bitop2_b32 v66, 31, v0 bitop3:0x40
	v_writelane_b32 v93, s7, 6
	v_cmp_eq_u32_e64 s7, 3, v10
	s_and_b32 s50, s9, s6
	v_cmp_eq_u32_e64 s9, 4, v10
	s_and_b32 s52, s8, s6
	v_cmp_eq_u32_e64 s8, 5, v10
	s_and_b32 s51, s7, s6
	v_cmp_lt_u32_e64 s7, 4, v10
	s_and_b32 s53, s9, s6
	v_cmp_lt_u32_e64 s9, 5, v10
	s_and_b32 s55, s8, s6
	v_cmp_lt_u32_e64 s8, 6, v10
	s_and_b32 s54, s7, s6
	v_cmp_eq_u32_e64 s7, 6, v10
	s_and_b32 s56, s9, s6
	v_cmp_eq_u32_e64 s9, 7, v10
	s_and_b32 s58, s8, s6
	v_cmp_eq_u32_e64 s8, 8, v10
	s_and_b32 s57, s7, s6
	v_cmp_lt_u32_e64 s7, 7, v10
	s_and_b32 s61, s9, s6
	v_cmp_lt_u32_e64 s9, 8, v10
	s_and_b32 s63, s8, s6
	v_cmp_lt_u32_e64 s8, 9, v10
	s_and_b32 s62, s7, s6
	;; [unrolled: 12-line block ×3, first 2 shown]
	v_cmp_eq_u32_e64 s7, 12, v10
	s_and_b32 s30, s9, s6
	v_cmp_eq_u32_e64 s9, 13, v10
	s_and_b32 s35, s8, s6
	v_cmp_eq_u32_e64 s8, 14, v10
	s_and_b32 s33, s7, s6
	v_cmp_lt_u32_e64 s7, 13, v10
	s_and_b32 s25, s9, s6
	v_cmp_eq_u32_e64 s9, 15, v10
	s_and_b32 s29, s8, s6
	v_cmp_eq_u32_e64 s8, 0, v66
	s_and_b32 s27, s7, s6
	v_cmp_gt_u32_e64 s7, 16, v2
	s_and_b32 s31, s9, s6
	v_cmp_ne_u32_e64 s9, 0, v66
	v_cmp_eq_u32_e64 s10, 1, v66
	v_cmp_lt_u32_e64 s11, 1, v66
	s_and_b32 s34, s3, s7
	v_cmp_gt_u32_e64 s7, 0x400, v22
	v_cmp_eq_u32_e64 s12, 2, v66
	v_dual_lshlrev_b32 v50, 8, v1 :: v_dual_add_nc_u32 v80, 32, v28
	v_add_nc_u32_e32 v81, 48, v28
	s_and_b32 s8, s8, s7
	v_lshlrev_b32_e32 v63, 2, v66
	v_writelane_b32 v93, s8, 7
	s_and_b32 s8, s9, s7
	v_cmp_eq_u32_e64 s9, 3, v66
	v_add_nc_u32_e32 v52, v80, v51
	v_lshl_add_u32 v53, v80, 6, v2
	v_writelane_b32 v93, s8, 8
	s_and_b32 s8, s10, s7
	v_cmp_lt_u32_e64 s10, 3, v66
	v_add_nc_u32_e32 v51, v81, v51
	v_lshl_add_u32 v54, v81, 6, v2
	v_writelane_b32 v93, s8, 9
	s_and_b32 s8, s11, s7
	v_cmp_eq_u32_e64 s11, 4, v66
	v_dual_cndmask_b32 v75, v53, v52 :: v_dual_add_nc_u32 v46, 0x4000, v11
	v_writelane_b32 v93, s8, 10
	s_and_b32 s8, s12, s7
	v_cmp_lt_u32_e64 s12, 4, v66
	v_dual_cndmask_b32 v76, v54, v51 :: v_dual_lshlrev_b32 v77, 2, v28
	v_writelane_b32 v93, s8, 11
	v_cmp_lt_u32_e64 s8, 2, v66
	v_cmp_eq_u32_e32 vcc_lo, 9, v66
	v_mad_nc_u64_u32 v[0:1], s14, v28, v[14:15]
	v_mad_nc_u64_u32 v[10:11], s14, v24, v[14:15]
	;; [unrolled: 1-line block ×3, first 2 shown]
	s_and_b32 s8, s8, s7
	v_mad_nc_u64_u32 v[14:15], s14, v81, v[14:15]
	v_writelane_b32 v93, s8, 12
	s_and_b32 s8, s9, s7
	v_cmp_lt_u32_e64 s9, 5, v66
	v_cmp_gt_i32_e64 s1, s76, v6
	v_lshl_add_u32 v3, v16, 2, 0x4000
	v_writelane_b32 v93, s8, 13
	s_and_b32 s8, s10, s7
	v_cmp_eq_u32_e64 s10, 6, v66
	v_mul_u32_u24_e32 v29, 0x104, v16
	v_lshl_or_b32 v65, v16, 8, v17
	v_writelane_b32 v93, s8, 14
	s_and_b32 s8, s11, s7
	v_cmp_lt_u32_e64 s11, 6, v66
	v_mul_u64_e32 v[16:17], s[80:81], v[20:21]
	v_add_nc_u32_e32 v21, 0x50, v25
	v_writelane_b32 v93, s8, 15
	s_and_b32 s8, s12, s7
	v_cmp_eq_u32_e64 s12, 7, v66
	v_mad_u32 v1, s15, v28, v1
	v_mad_u32 v11, s15, v24, v11
	v_writelane_b32 v93, s8, 16
	v_cmp_eq_u32_e64 s8, 5, v66
	v_mad_u32 v13, s15, v80, v13
	v_mad_u32 v15, s15, v81, v15
	v_add_nc_u64_e32 v[18:19], s[16:17], v[4:5]
	v_cmp_ne_u32_e64 s16, v2, v24
	s_and_b32 s8, s8, s7
	v_cmp_ne_u32_e64 s17, v2, v80
	v_writelane_b32 v93, s8, 17
	s_and_b32 s8, s9, s7
	v_cmp_eq_u32_e64 s9, 8, v66
	v_cmp_gt_u32_e64 s45, 0xf0, v22
	v_mad_u32_u24 v34, 0xfc, v2, v30
	v_writelane_b32 v93, s8, 18
	s_and_b32 s8, s10, s7
	v_cmp_lt_u32_e64 s10, 8, v66
	v_mul_i32_i24_e32 v79, 0xffffff04, v2
	v_mad_i32_i24 v38, 0xffffff04, v2, v34
	v_writelane_b32 v93, s8, 19
	s_and_b32 s8, s11, s7
	v_cmp_lt_u32_e64 s11, 9, v66
	v_mul_u64_e32 v[18:19], s[80:81], v[18:19]
	v_mad_u32_u24 v51, 0xfc, v2, v38
	v_writelane_b32 v93, s8, 20
	s_and_b32 s8, s12, s7
	v_dual_lshlrev_b32 v73, 2, v26 :: v_dual_lshlrev_b32 v74, 2, v27
	s_delay_alu instid0(VALU_DEP_3)
	v_mad_i32_i24 v52, 0xffffff04, v2, v51
	v_writelane_b32 v93, s8, 21
	v_cmp_lt_u32_e64 s8, 7, v66
	v_mul_lo_u32 v26, v79, 6
	v_mul_u32_u24_e32 v78, 0xfc, v2
	v_mad_u32_u24 v53, 0xfc, v2, v52
	v_mul_u32_u24_e32 v27, 0xf8, v2
	s_and_b32 s8, s8, s7
	v_or_b32_e32 v68, 0x5000, v77
	v_writelane_b32 v93, s8, 22
	s_and_b32 s8, s9, s7
	v_mad_i32_i24 v54, 0xffffff04, v2, v53
	v_add_nc_u32_e32 v62, 0x4000, v49
	v_dual_add_nc_u32 v72, v68, v30 :: v_dual_bitop2_b32 v64, v50, v63 bitop3:0x54
	v_writelane_b32 v93, s8, 23
	s_and_b32 s8, s10, s7
	v_cmp_le_i32_e64 s10, s18, v81
	v_mad_u32_u24 v55, 0xfc, v2, v54
	v_mad_u32 v26, v78, 7, v26
	v_writelane_b32 v93, s8, 24
	s_and_b32 s8, vcc_lo, s7
	v_cmp_eq_u32_e32 vcc_lo, 10, v66
	v_mad_i32_i24 v56, 0xffffff04, v2, v55
	v_lshl_add_u32 v67, v4, 2, 0x5000
	v_writelane_b32 v93, s8, 25
	s_and_b32 s8, s11, s7
	v_lshl_add_u32 v69, v22, 2, 0x4000
	v_mad_u32_u24 v57, 0xfc, v2, v56
	v_add_nc_u32_e32 v70, 0x4000, v30
	v_writelane_b32 v93, s8, 26
	s_and_b32 s8, vcc_lo, s7
	v_cmp_lt_u32_e32 vcc_lo, 10, v66
	v_mad_i32_i24 v58, 0xffffff04, v2, v57
	v_sub_nc_u32_e32 v26, v26, v27
	v_writelane_b32 v93, s8, 27
	v_subrev_nc_u32_e32 v79, 63, v2
	s_and_b32 s8, vcc_lo, s7
	v_cmp_eq_u32_e32 vcc_lo, 11, v66
	v_mad_u32_u24 v59, 0xfc, v2, v58
	v_writelane_b32 v93, s8, 28
	v_add_nc_u32_e32 v78, 0x3c00, v26
	v_cmp_gt_u32_e64 s20, 48, v22
	s_and_b32 s8, vcc_lo, s7
	v_cmp_lt_u32_e32 vcc_lo, 11, v66
	v_writelane_b32 v93, s8, 29
	v_mad_i32_i24 v60, 0xffffff04, v2, v59
	v_cmp_gt_u32_e64 s21, 40, v22
	v_cmp_gt_u32_e64 s22, 32, v22
	s_and_b32 s8, vcc_lo, s7
	v_cmp_eq_u32_e32 vcc_lo, 12, v66
	v_writelane_b32 v93, s8, 30
	v_mad_u32_u24 v61, 0xfc, v2, v60
	v_cmp_gt_u32_e64 s23, 24, v22
	v_cmp_eq_u32_e64 s59, 0, v4
	s_and_b32 s8, vcc_lo, s7
	v_cmp_lt_u32_e32 vcc_lo, 12, v66
	v_writelane_b32 v93, s8, 31
	v_cmp_gt_u32_e64 s60, 64, v4
                                        ; implicit-def: $vgpr82
                                        ; implicit-def: $vgpr83
	v_dual_add_nc_u32 v77, v32, v77 :: v_dual_lshlrev_b32 v75, 2, v75
	s_and_b32 s8, vcc_lo, s7
	v_cmp_eq_u32_e32 vcc_lo, 13, v66
	v_writelane_b32 v92, s8, 0
	v_lshlrev_b32_e32 v76, 2, v76
	s_and_b32 s8, vcc_lo, s7
	v_cmp_lt_u32_e32 vcc_lo, 13, v66
	v_writelane_b32 v92, s8, 1
	s_and_b32 s8, vcc_lo, s7
	v_cmp_eq_u32_e32 vcc_lo, 14, v66
	v_writelane_b32 v92, s8, 2
	s_and_b32 s8, vcc_lo, s7
	v_cmp_lt_u32_e32 vcc_lo, 14, v66
	v_writelane_b32 v92, s8, 3
	s_and_b32 s8, vcc_lo, s7
	v_cmp_eq_u32_e32 vcc_lo, 15, v66
	v_writelane_b32 v92, s8, 4
	;; [unrolled: 6-line block ×17, first 2 shown]
	s_and_b32 s8, vcc_lo, s7
	v_cmp_eq_u32_e32 vcc_lo, 31, v66
	v_writelane_b32 v91, s8, 3
	v_mad_i32_i24 v66, 0xffffff04, v2, v32
	s_and_b32 s14, vcc_lo, s7
	v_cmp_gt_u32_e32 vcc_lo, 32, v2
	s_delay_alu instid0(VALU_DEP_2)
	v_lshl_add_u32 v71, v28, 8, v66
	s_and_b32 s8, s3, vcc_lo
	v_cmp_le_i32_e32 vcc_lo, s18, v2
	v_writelane_b32 v91, s8, 4
	s_and_b32 s8, vcc_lo, s19
	v_cmp_gt_u32_e64 s19, 56, v22
	v_writelane_b32 v91, s8, 5
	s_xor_b32 s8, s8, -1
	s_delay_alu instid0(SALU_CYCLE_1)
	s_and_b32 s12, s3, s8
	s_cmp_gt_i32 s84, 0
	s_cselect_b32 s11, -1, 0
	s_and_b32 s0, s3, s0
	s_add_co_i32 s65, s65, 1
	v_writelane_b32 v91, s0, 6
	v_cmp_gt_i32_e64 s0, s76, v20
	v_add_nc_u32_e32 v20, 0x60, v25
	s_lshl_b64 s[70:71], s[70:71], 2
	s_lshl_b64 s[74:75], s[74:75], 2
	s_and_b32 s1, s1, s0
	s_delay_alu instid0(SALU_CYCLE_1) | instskip(SKIP_4) | instid1(SALU_CYCLE_1)
	v_writelane_b32 v91, s1, 7
	v_cmp_gt_i32_e64 s1, s76, v21
	v_add_nc_u32_e32 v21, 0x70, v25
	v_or_b32_e32 v25, v81, v2
	s_and_b32 s1, s1, s0
	v_writelane_b32 v91, s1, 8
	v_cmp_gt_i32_e64 s1, s76, v20
	v_or_b32_e32 v20, v24, v2
	s_and_b32 s1, s1, s0
	s_delay_alu instid0(SALU_CYCLE_1) | instskip(SKIP_3) | instid1(SALU_CYCLE_1)
	v_writelane_b32 v91, s1, 9
	v_cmp_gt_i32_e64 s1, s76, v21
	v_or_b32_e32 v21, v80, v2
	s_and_b32 s1, s1, s0
	v_writelane_b32 v91, s1, 10
	v_cmp_le_i32_e64 s1, s18, v28
	s_or_b32 s8, s1, vcc_lo
	v_cmp_le_u32_e64 s1, v2, v28
	s_or_b32 s8, s8, s1
	s_delay_alu instid0(SALU_CYCLE_1) | instskip(SKIP_4) | instid1(SALU_CYCLE_1)
	v_writelane_b32 v91, s8, 11
	v_cmp_le_i32_e64 s8, s18, v24
	s_or_b32 s9, s8, vcc_lo
	v_cmp_le_u32_e64 s8, v2, v24
	s_or_b32 s9, s9, s8
	v_writelane_b32 v91, s9, 12
	v_cmp_le_i32_e64 s9, s18, v80
	v_cmp_ne_u32_e64 s18, v2, v81
	s_or_b32 s15, s9, vcc_lo
	v_cmp_le_u32_e64 s9, v2, v80
                                        ; implicit-def: $vgpr80
	s_or_b32 s15, s15, s9
	s_delay_alu instid0(SALU_CYCLE_1) | instskip(SKIP_3) | instid1(SALU_CYCLE_1)
	v_writelane_b32 v91, s15, 13
	s_or_b32 s15, s10, vcc_lo
	v_cmp_le_u32_e64 s10, v2, v81
                                        ; implicit-def: $vgpr81
	s_or_b32 s15, s15, s10
	v_writelane_b32 v91, s15, 14
	v_cmp_ne_u32_e64 s15, v2, v28
	s_delay_alu instid0(VALU_DEP_1) | instskip(SKIP_1) | instid1(SALU_CYCLE_1)
	v_writelane_b32 v91, s15, 15
	s_or_b32 s15, vcc_lo, s15
	v_writelane_b32 v91, s15, 16
	s_or_b32 s15, vcc_lo, s16
	v_writelane_b32 v91, s16, 17
	v_cmp_gt_u32_e64 s16, 2, v22
	v_writelane_b32 v91, s15, 18
	s_or_b32 s15, vcc_lo, s17
	v_writelane_b32 v91, s17, 19
	v_cmp_gt_u32_e64 s17, 12, v22
	;; [unrolled: 4-line block ×3, first 2 shown]
	v_writelane_b32 v91, s15, 22
	v_cmp_eq_u32_e64 s15, 0, v23
	v_writelane_b32 v91, s45, 23
	v_cmp_gt_u32_e64 s45, 0xe0, v22
	s_delay_alu instid0(VALU_DEP_1) | instskip(SKIP_1) | instid1(VALU_DEP_1)
	v_writelane_b32 v91, s45, 24
	v_cmp_gt_u32_e64 s45, 0xd0, v22
	v_writelane_b32 v91, s45, 25
	v_cmp_gt_u32_e64 s45, 0xc0, v22
	s_delay_alu instid0(VALU_DEP_1) | instskip(SKIP_1) | instid1(VALU_DEP_1)
	v_writelane_b32 v91, s45, 26
	v_cmp_gt_u32_e64 s45, 0xb0, v22
	;; [unrolled: 5-line block ×18, first 2 shown]
	v_writelane_b32 v90, s45, 27
	v_cmp_gt_u32_e64 s45, 64, v25
	s_delay_alu instid0(VALU_DEP_1)
	v_writelane_b32 v90, s45, 28
	s_branch .LBB119_3
.LBB119_2:                              ;   in Loop: Header=BB119_3 Depth=1
	s_wait_xcnt 0x0
	s_or_b32 exec_lo, exec_lo, s45
	v_readlane_b32 s45, v93, 0
	s_add_co_i32 s66, s66, 0x10000
	global_wb scope:SCOPE_DEV
	s_wait_storecnt 0x0
	global_inv scope:SCOPE_DEV
	s_cmp_lt_u32 s66, s45
	s_cbranch_scc0 .LBB119_1257
.LBB119_3:                              ; =>This Loop Header: Depth=1
                                        ;     Child Loop BB119_1110 Depth 2
                                        ;       Child Loop BB119_1112 Depth 3
                                        ;     Child Loop BB119_1147 Depth 2
	v_mov_b32_e32 v22, s66
	v_readlane_b32 s45, v93, 1
	s_clause 0x1
	global_load_b64 v[20:21], v22, s[68:69] scale_offset
	global_load_b64 v[22:23], v22, s[72:73] scale_offset
	s_and_not1_b32 vcc_lo, exec_lo, s45
	s_wait_loadcnt 0x1
	v_add_nc_u64_e32 v[24:25], s[70:71], v[20:21]
	s_delay_alu instid0(VALU_DEP_1)
	v_lshl_add_u64 v[20:21], v[8:9], 2, v[24:25]
	s_cbranch_vccnz .LBB119_13
; %bb.4:                                ;   in Loop: Header=BB119_3 Depth=1
	s_delay_alu instid0(VALU_DEP_1)
	v_lshl_add_u64 v[26:27], v[6:7], 2, v[20:21]
	v_dual_mov_b32 v81, 0 :: v_dual_mov_b32 v80, 0
	s_wait_loadcnt 0x0
	s_barrier_signal -1
	s_barrier_wait -1
	s_wait_xcnt 0x0
	s_mov_b32 s45, exec_lo
	v_readlane_b32 s46, v91, 7
	s_and_b32 s46, s45, s46
	s_delay_alu instid0(SALU_CYCLE_1)
	s_mov_b32 exec_lo, s46
	s_cbranch_execz .LBB119_6
; %bb.5:                                ;   in Loop: Header=BB119_3 Depth=1
	flat_load_b32 v80, v[26:27]
.LBB119_6:                              ;   in Loop: Header=BB119_3 Depth=1
	s_wait_xcnt 0x0
	s_or_b32 exec_lo, exec_lo, s45
	s_wait_loadcnt_dscnt 0x0
	s_barrier_signal -1
	s_barrier_wait -1
	s_mov_b32 s45, exec_lo
	v_readlane_b32 s46, v91, 8
	s_and_b32 s46, s45, s46
	s_delay_alu instid0(SALU_CYCLE_1)
	s_mov_b32 exec_lo, s46
	s_cbranch_execz .LBB119_8
; %bb.7:                                ;   in Loop: Header=BB119_3 Depth=1
	flat_load_b32 v81, v[26:27] offset:64
.LBB119_8:                              ;   in Loop: Header=BB119_3 Depth=1
	s_wait_xcnt 0x0
	s_or_b32 exec_lo, exec_lo, s45
	v_dual_mov_b32 v83, 0 :: v_dual_mov_b32 v82, 0
	s_wait_loadcnt_dscnt 0x0
	s_barrier_signal -1
	s_barrier_wait -1
	s_mov_b32 s45, exec_lo
	v_readlane_b32 s46, v91, 9
	s_and_b32 s46, s45, s46
	s_delay_alu instid0(SALU_CYCLE_1)
	s_mov_b32 exec_lo, s46
	s_cbranch_execz .LBB119_10
; %bb.9:                                ;   in Loop: Header=BB119_3 Depth=1
	flat_load_b32 v82, v[26:27] offset:128
.LBB119_10:                             ;   in Loop: Header=BB119_3 Depth=1
	s_wait_xcnt 0x0
	s_or_b32 exec_lo, exec_lo, s45
	s_wait_loadcnt_dscnt 0x0
	s_barrier_signal -1
	s_barrier_wait -1
	s_mov_b32 s45, exec_lo
	v_readlane_b32 s46, v91, 10
	s_and_b32 s46, s45, s46
	s_delay_alu instid0(SALU_CYCLE_1)
	s_mov_b32 exec_lo, s46
	s_cbranch_execz .LBB119_12
; %bb.11:                               ;   in Loop: Header=BB119_3 Depth=1
	flat_load_b32 v83, v[26:27] offset:192
.LBB119_12:                             ;   in Loop: Header=BB119_3 Depth=1
	s_wait_xcnt 0x0
	s_or_b32 exec_lo, exec_lo, s45
.LBB119_13:                             ;   in Loop: Header=BB119_3 Depth=1
	s_delay_alu instid0(SALU_CYCLE_1)
	s_and_not1_b32 vcc_lo, exec_lo, s86
	s_mov_b32 s45, -1
	s_cbranch_vccnz .LBB119_24
; %bb.14:                               ;   in Loop: Header=BB119_3 Depth=1
	s_wait_xcnt 0x0
	s_and_saveexec_b32 s45, s1
	s_delay_alu instid0(SALU_CYCLE_1)
	s_xor_b32 s82, exec_lo, s45
	s_cbranch_execnz .LBB119_1169
; %bb.15:                               ;   in Loop: Header=BB119_3 Depth=1
	s_and_not1_saveexec_b32 s45, s82
	s_cbranch_execnz .LBB119_1176
.LBB119_16:                             ;   in Loop: Header=BB119_3 Depth=1
	s_or_b32 exec_lo, exec_lo, s45
	s_and_saveexec_b32 s45, s8
	s_delay_alu instid0(SALU_CYCLE_1)
	s_xor_b32 s82, exec_lo, s45
	s_cbranch_execnz .LBB119_1177
.LBB119_17:                             ;   in Loop: Header=BB119_3 Depth=1
	s_and_not1_saveexec_b32 s45, s82
	s_cbranch_execnz .LBB119_1184
.LBB119_18:                             ;   in Loop: Header=BB119_3 Depth=1
	s_or_b32 exec_lo, exec_lo, s45
	s_and_saveexec_b32 s45, s9
	s_delay_alu instid0(SALU_CYCLE_1)
	s_xor_b32 s82, exec_lo, s45
	s_cbranch_execnz .LBB119_1185
.LBB119_19:                             ;   in Loop: Header=BB119_3 Depth=1
	s_and_not1_saveexec_b32 s45, s82
	s_cbranch_execnz .LBB119_1192
.LBB119_20:                             ;   in Loop: Header=BB119_3 Depth=1
	s_or_b32 exec_lo, exec_lo, s45
	s_and_saveexec_b32 s45, s10
	s_delay_alu instid0(SALU_CYCLE_1)
	s_xor_b32 s82, exec_lo, s45
	s_cbranch_execnz .LBB119_1193
.LBB119_21:                             ;   in Loop: Header=BB119_3 Depth=1
	s_and_not1_saveexec_b32 s45, s82
	s_cbranch_execz .LBB119_23
.LBB119_22:                             ;   in Loop: Header=BB119_3 Depth=1
	v_lshl_add_u64 v[26:27], v[14:15], 2, v[24:25]
	flat_load_b32 v26, v[26:27]
	s_wait_loadcnt_dscnt 0x0
	v_xor_b32_e32 v26, 0x80000000, v26
	ds_store_b32 v76, v26
.LBB119_23:                             ;   in Loop: Header=BB119_3 Depth=1
	s_or_b32 exec_lo, exec_lo, s45
	s_mov_b32 s45, 0
.LBB119_24:                             ;   in Loop: Header=BB119_3 Depth=1
	s_delay_alu instid0(SALU_CYCLE_1)
	s_and_b32 vcc_lo, exec_lo, s45
	s_cbranch_vccz .LBB119_66
; %bb.25:                               ;   in Loop: Header=BB119_3 Depth=1
	s_wait_xcnt 0x0
	s_mov_b32 s45, exec_lo
	v_readlane_b32 s46, v91, 11
	s_and_b32 s46, s45, s46
	s_delay_alu instid0(SALU_CYCLE_1)
	s_xor_b32 s82, s46, s45
	s_mov_b32 exec_lo, s46
	s_cbranch_execz .LBB119_33
; %bb.26:                               ;   in Loop: Header=BB119_3 Depth=1
	s_mov_b32 s45, exec_lo
	v_readlane_b32 s46, v91, 16
	s_and_b32 s46, s45, s46
	s_delay_alu instid0(SALU_CYCLE_1)
	s_xor_b32 s45, s46, s45
	s_mov_b32 exec_lo, s46
	s_cbranch_execz .LBB119_30
; %bb.27:                               ;   in Loop: Header=BB119_3 Depth=1
	s_mov_b32 s46, exec_lo
	v_readlane_b32 s47, v90, 25
	s_and_b32 s47, s46, s47
	s_delay_alu instid0(SALU_CYCLE_1)
	s_mov_b32 exec_lo, s47
; %bb.28:                               ;   in Loop: Header=BB119_3 Depth=1
	ds_store_b32 v77, v5
; %bb.29:                               ;   in Loop: Header=BB119_3 Depth=1
	s_or_b32 exec_lo, exec_lo, s46
.LBB119_30:                             ;   in Loop: Header=BB119_3 Depth=1
	s_and_not1_saveexec_b32 s45, s45
	s_cbranch_execz .LBB119_32
; %bb.31:                               ;   in Loop: Header=BB119_3 Depth=1
	v_lshl_add_u64 v[26:27], v[0:1], 2, v[24:25]
	flat_load_b32 v26, v[26:27]
	s_wait_loadcnt_dscnt 0x0
	v_div_scale_f32 v27, null, v26, v26, 1.0
	s_delay_alu instid0(VALU_DEP_1) | instskip(SKIP_1) | instid1(TRANS32_DEP_1)
	v_rcp_f32_e32 v84, v27
	v_nop
	v_fma_f32 v85, -v27, v84, 1.0
	s_delay_alu instid0(VALU_DEP_1) | instskip(SKIP_1) | instid1(VALU_DEP_1)
	v_fmac_f32_e32 v84, v85, v84
	v_div_scale_f32 v85, vcc_lo, 1.0, v26, 1.0
	v_mul_f32_e32 v86, v85, v84
	s_delay_alu instid0(VALU_DEP_1) | instskip(NEXT) | instid1(VALU_DEP_1)
	v_fma_f32 v87, -v27, v86, v85
	v_fmac_f32_e32 v86, v87, v84
	s_delay_alu instid0(VALU_DEP_1) | instskip(NEXT) | instid1(VALU_DEP_1)
	v_fma_f32 v27, -v27, v86, v85
	v_div_fmas_f32 v27, v27, v84, v86
	s_delay_alu instid0(VALU_DEP_1)
	v_div_fixup_f32 v26, v27, v26, 1.0
	ds_store_b32 v77, v26
.LBB119_32:                             ;   in Loop: Header=BB119_3 Depth=1
	s_or_b32 exec_lo, exec_lo, s45
.LBB119_33:                             ;   in Loop: Header=BB119_3 Depth=1
	s_and_not1_saveexec_b32 s45, s82
	s_cbranch_execz .LBB119_35
; %bb.34:                               ;   in Loop: Header=BB119_3 Depth=1
	v_lshl_add_u64 v[26:27], v[0:1], 2, v[24:25]
	flat_load_b32 v26, v[26:27]
	s_wait_loadcnt_dscnt 0x0
	v_xor_b32_e32 v26, 0x80000000, v26
	ds_store_b32 v77, v26
.LBB119_35:                             ;   in Loop: Header=BB119_3 Depth=1
	s_or_b32 exec_lo, exec_lo, s45
	s_delay_alu instid0(SALU_CYCLE_1) | instskip(SKIP_2) | instid1(SALU_CYCLE_1)
	s_mov_b32 s45, exec_lo
	v_readlane_b32 s46, v91, 12
	s_and_b32 s46, s45, s46
	s_xor_b32 s82, s46, s45
	s_mov_b32 exec_lo, s46
	s_cbranch_execz .LBB119_43
; %bb.36:                               ;   in Loop: Header=BB119_3 Depth=1
	s_mov_b32 s45, exec_lo
	v_readlane_b32 s46, v91, 18
	s_and_b32 s46, s45, s46
	s_delay_alu instid0(SALU_CYCLE_1)
	s_xor_b32 s45, s46, s45
	s_mov_b32 exec_lo, s46
	s_cbranch_execz .LBB119_40
; %bb.37:                               ;   in Loop: Header=BB119_3 Depth=1
	s_mov_b32 s46, exec_lo
	v_readlane_b32 s47, v90, 26
	s_and_b32 s47, s46, s47
	s_delay_alu instid0(SALU_CYCLE_1)
	s_mov_b32 exec_lo, s47
; %bb.38:                               ;   in Loop: Header=BB119_3 Depth=1
	ds_store_b32 v74, v5
; %bb.39:                               ;   in Loop: Header=BB119_3 Depth=1
	s_or_b32 exec_lo, exec_lo, s46
.LBB119_40:                             ;   in Loop: Header=BB119_3 Depth=1
	s_and_not1_saveexec_b32 s45, s45
	s_cbranch_execz .LBB119_42
; %bb.41:                               ;   in Loop: Header=BB119_3 Depth=1
	v_lshl_add_u64 v[26:27], v[10:11], 2, v[24:25]
	flat_load_b32 v26, v[26:27]
	s_wait_loadcnt_dscnt 0x0
	v_div_scale_f32 v27, null, v26, v26, 1.0
	s_delay_alu instid0(VALU_DEP_1) | instskip(SKIP_1) | instid1(TRANS32_DEP_1)
	v_rcp_f32_e32 v84, v27
	v_nop
	v_fma_f32 v85, -v27, v84, 1.0
	s_delay_alu instid0(VALU_DEP_1) | instskip(SKIP_1) | instid1(VALU_DEP_1)
	v_fmac_f32_e32 v84, v85, v84
	v_div_scale_f32 v85, vcc_lo, 1.0, v26, 1.0
	v_mul_f32_e32 v86, v85, v84
	s_delay_alu instid0(VALU_DEP_1) | instskip(NEXT) | instid1(VALU_DEP_1)
	v_fma_f32 v87, -v27, v86, v85
	v_fmac_f32_e32 v86, v87, v84
	s_delay_alu instid0(VALU_DEP_1) | instskip(NEXT) | instid1(VALU_DEP_1)
	v_fma_f32 v27, -v27, v86, v85
	v_div_fmas_f32 v27, v27, v84, v86
	s_delay_alu instid0(VALU_DEP_1)
	v_div_fixup_f32 v26, v27, v26, 1.0
	ds_store_b32 v74, v26
.LBB119_42:                             ;   in Loop: Header=BB119_3 Depth=1
	s_or_b32 exec_lo, exec_lo, s45
.LBB119_43:                             ;   in Loop: Header=BB119_3 Depth=1
	s_and_not1_saveexec_b32 s45, s82
	s_cbranch_execz .LBB119_45
; %bb.44:                               ;   in Loop: Header=BB119_3 Depth=1
	v_lshl_add_u64 v[26:27], v[10:11], 2, v[24:25]
	flat_load_b32 v26, v[26:27]
	s_wait_loadcnt_dscnt 0x0
	v_xor_b32_e32 v26, 0x80000000, v26
	ds_store_b32 v74, v26
.LBB119_45:                             ;   in Loop: Header=BB119_3 Depth=1
	s_or_b32 exec_lo, exec_lo, s45
	s_delay_alu instid0(SALU_CYCLE_1) | instskip(SKIP_2) | instid1(SALU_CYCLE_1)
	s_mov_b32 s45, exec_lo
	v_readlane_b32 s46, v91, 13
	s_and_b32 s46, s45, s46
	s_xor_b32 s82, s46, s45
	s_mov_b32 exec_lo, s46
	s_cbranch_execz .LBB119_53
; %bb.46:                               ;   in Loop: Header=BB119_3 Depth=1
	s_mov_b32 s45, exec_lo
	v_readlane_b32 s46, v91, 20
	s_and_b32 s46, s45, s46
	s_delay_alu instid0(SALU_CYCLE_1)
	s_xor_b32 s45, s46, s45
	s_mov_b32 exec_lo, s46
	s_cbranch_execz .LBB119_50
; %bb.47:                               ;   in Loop: Header=BB119_3 Depth=1
	s_mov_b32 s46, exec_lo
	v_readlane_b32 s47, v90, 27
	s_and_b32 s47, s46, s47
	s_delay_alu instid0(SALU_CYCLE_1)
	s_mov_b32 exec_lo, s47
; %bb.48:                               ;   in Loop: Header=BB119_3 Depth=1
	ds_store_b32 v75, v5
; %bb.49:                               ;   in Loop: Header=BB119_3 Depth=1
	s_or_b32 exec_lo, exec_lo, s46
.LBB119_50:                             ;   in Loop: Header=BB119_3 Depth=1
	s_and_not1_saveexec_b32 s45, s45
	s_cbranch_execz .LBB119_52
; %bb.51:                               ;   in Loop: Header=BB119_3 Depth=1
	v_lshl_add_u64 v[26:27], v[12:13], 2, v[24:25]
	flat_load_b32 v26, v[26:27]
	s_wait_loadcnt_dscnt 0x0
	v_div_scale_f32 v27, null, v26, v26, 1.0
	s_delay_alu instid0(VALU_DEP_1) | instskip(SKIP_1) | instid1(TRANS32_DEP_1)
	v_rcp_f32_e32 v84, v27
	v_nop
	v_fma_f32 v85, -v27, v84, 1.0
	s_delay_alu instid0(VALU_DEP_1) | instskip(SKIP_1) | instid1(VALU_DEP_1)
	v_fmac_f32_e32 v84, v85, v84
	v_div_scale_f32 v85, vcc_lo, 1.0, v26, 1.0
	v_mul_f32_e32 v86, v85, v84
	s_delay_alu instid0(VALU_DEP_1) | instskip(NEXT) | instid1(VALU_DEP_1)
	v_fma_f32 v87, -v27, v86, v85
	v_fmac_f32_e32 v86, v87, v84
	s_delay_alu instid0(VALU_DEP_1) | instskip(NEXT) | instid1(VALU_DEP_1)
	v_fma_f32 v27, -v27, v86, v85
	v_div_fmas_f32 v27, v27, v84, v86
	s_delay_alu instid0(VALU_DEP_1)
	v_div_fixup_f32 v26, v27, v26, 1.0
	ds_store_b32 v75, v26
.LBB119_52:                             ;   in Loop: Header=BB119_3 Depth=1
	s_or_b32 exec_lo, exec_lo, s45
.LBB119_53:                             ;   in Loop: Header=BB119_3 Depth=1
	s_and_not1_saveexec_b32 s45, s82
	s_cbranch_execz .LBB119_55
; %bb.54:                               ;   in Loop: Header=BB119_3 Depth=1
	v_lshl_add_u64 v[26:27], v[12:13], 2, v[24:25]
	flat_load_b32 v26, v[26:27]
	s_wait_loadcnt_dscnt 0x0
	v_xor_b32_e32 v26, 0x80000000, v26
	ds_store_b32 v75, v26
.LBB119_55:                             ;   in Loop: Header=BB119_3 Depth=1
	s_or_b32 exec_lo, exec_lo, s45
	s_delay_alu instid0(SALU_CYCLE_1) | instskip(SKIP_2) | instid1(SALU_CYCLE_1)
	s_mov_b32 s45, exec_lo
	v_readlane_b32 s46, v91, 14
	s_and_b32 s46, s45, s46
	s_xor_b32 s82, s46, s45
	s_mov_b32 exec_lo, s46
	s_cbranch_execz .LBB119_63
; %bb.56:                               ;   in Loop: Header=BB119_3 Depth=1
	s_mov_b32 s45, exec_lo
	v_readlane_b32 s46, v91, 22
	s_and_b32 s46, s45, s46
	s_delay_alu instid0(SALU_CYCLE_1)
	s_xor_b32 s45, s46, s45
	s_mov_b32 exec_lo, s46
	s_cbranch_execz .LBB119_60
; %bb.57:                               ;   in Loop: Header=BB119_3 Depth=1
	s_mov_b32 s46, exec_lo
	v_readlane_b32 s47, v90, 28
	s_and_b32 s47, s46, s47
	s_delay_alu instid0(SALU_CYCLE_1)
	s_mov_b32 exec_lo, s47
; %bb.58:                               ;   in Loop: Header=BB119_3 Depth=1
	ds_store_b32 v76, v5
; %bb.59:                               ;   in Loop: Header=BB119_3 Depth=1
	s_or_b32 exec_lo, exec_lo, s46
                                        ; implicit-def: $vgpr24_vgpr25
.LBB119_60:                             ;   in Loop: Header=BB119_3 Depth=1
	s_and_not1_saveexec_b32 s45, s45
	s_cbranch_execz .LBB119_62
; %bb.61:                               ;   in Loop: Header=BB119_3 Depth=1
	v_lshl_add_u64 v[24:25], v[14:15], 2, v[24:25]
	flat_load_b32 v24, v[24:25]
	s_wait_loadcnt_dscnt 0x0
	v_div_scale_f32 v25, null, v24, v24, 1.0
	s_delay_alu instid0(VALU_DEP_1) | instskip(SKIP_1) | instid1(TRANS32_DEP_1)
	v_rcp_f32_e32 v26, v25
	v_nop
	v_fma_f32 v27, -v25, v26, 1.0
	s_delay_alu instid0(VALU_DEP_1) | instskip(SKIP_1) | instid1(VALU_DEP_1)
	v_fmac_f32_e32 v26, v27, v26
	v_div_scale_f32 v27, vcc_lo, 1.0, v24, 1.0
	v_mul_f32_e32 v84, v27, v26
	s_delay_alu instid0(VALU_DEP_1) | instskip(NEXT) | instid1(VALU_DEP_1)
	v_fma_f32 v85, -v25, v84, v27
	v_fmac_f32_e32 v84, v85, v26
	s_delay_alu instid0(VALU_DEP_1) | instskip(NEXT) | instid1(VALU_DEP_1)
	v_fma_f32 v25, -v25, v84, v27
	v_div_fmas_f32 v25, v25, v26, v84
	s_delay_alu instid0(VALU_DEP_1)
	v_div_fixup_f32 v24, v25, v24, 1.0
	ds_store_b32 v76, v24
.LBB119_62:                             ;   in Loop: Header=BB119_3 Depth=1
	s_or_b32 exec_lo, exec_lo, s45
                                        ; implicit-def: $vgpr24_vgpr25
.LBB119_63:                             ;   in Loop: Header=BB119_3 Depth=1
	s_and_not1_saveexec_b32 s45, s82
	s_cbranch_execz .LBB119_65
; %bb.64:                               ;   in Loop: Header=BB119_3 Depth=1
	v_lshl_add_u64 v[24:25], v[14:15], 2, v[24:25]
	flat_load_b32 v24, v[24:25]
	s_wait_loadcnt_dscnt 0x0
	v_xor_b32_e32 v24, 0x80000000, v24
	ds_store_b32 v76, v24
.LBB119_65:                             ;   in Loop: Header=BB119_3 Depth=1
	s_or_b32 exec_lo, exec_lo, s45
.LBB119_66:                             ;   in Loop: Header=BB119_3 Depth=1
	s_delay_alu instid0(SALU_CYCLE_1)
	s_and_not1_b32 vcc_lo, exec_lo, s89
	s_wait_loadcnt_dscnt 0x0
	s_barrier_signal -1
	s_barrier_wait -1
	s_cbranch_vccnz .LBB119_1104
; %bb.67:                               ;   in Loop: Header=BB119_3 Depth=1
	s_and_saveexec_b32 s45, s15
	s_cbranch_execz .LBB119_69
; %bb.68:                               ;   in Loop: Header=BB119_3 Depth=1
	ds_load_b64 v[24:25], v5
	ds_load_b32 v26, v5 offset:260
	s_wait_dscnt 0x0
	v_mul_f32_e32 v24, v24, v26
	s_delay_alu instid0(VALU_DEP_1)
	v_mul_f32_e32 v24, v25, v24
	ds_store_2addr_b32 v5, v24, v24 offset0:1 offset1:64
.LBB119_69:                             ;   in Loop: Header=BB119_3 Depth=1
	s_or_b32 exec_lo, exec_lo, s45
	v_mov_b32_e32 v24, 0
	s_wait_dscnt 0x0
	s_barrier_signal -1
	s_barrier_wait -1
	s_and_saveexec_b32 s45, s2
	s_cbranch_execz .LBB119_73
; %bb.70:                               ;   in Loop: Header=BB119_3 Depth=1
	ds_load_b32 v24, v65 offset:8
	ds_load_b32 v25, v29
	s_wait_dscnt 0x0
	v_fma_f32 v24, v24, v25, 0
	s_and_saveexec_b32 s46, s16
	s_cbranch_execz .LBB119_72
; %bb.71:                               ;   in Loop: Header=BB119_3 Depth=1
	ds_load_b32 v25, v30 offset:264
	ds_load_b32 v26, v5 offset:4
	s_wait_dscnt 0x0
	v_fmac_f32_e32 v24, v25, v26
.LBB119_72:                             ;   in Loop: Header=BB119_3 Depth=1
	s_or_b32 exec_lo, exec_lo, s46
	s_delay_alu instid0(VALU_DEP_1)
	v_xor_b32_e32 v24, 0x80000000, v24
.LBB119_73:                             ;   in Loop: Header=BB119_3 Depth=1
	s_or_b32 exec_lo, exec_lo, s45
	s_and_saveexec_b32 s45, s90
	s_cbranch_execz .LBB119_75
; %bb.74:                               ;   in Loop: Header=BB119_3 Depth=1
	ds_load_b32 v25, v5 offset:520
	s_wait_dscnt 0x0
	v_mul_f32_e32 v24, v24, v25
	ds_store_b32 v3, v24
.LBB119_75:                             ;   in Loop: Header=BB119_3 Depth=1
	s_or_b32 exec_lo, exec_lo, s45
	s_wait_dscnt 0x0
	s_barrier_signal -1
	s_barrier_wait -1
	s_and_saveexec_b32 s45, s91
	s_cbranch_execz .LBB119_77
; %bb.76:                               ;   in Loop: Header=BB119_3 Depth=1
	ds_load_b32 v25, v5 offset:524
	ds_load_b32 v26, v3
	s_wait_dscnt 0x0
	v_fmac_f32_e32 v24, v25, v26
.LBB119_77:                             ;   in Loop: Header=BB119_3 Depth=1
	s_or_b32 exec_lo, exec_lo, s45
	s_barrier_signal -1
	s_barrier_wait -1
	s_and_saveexec_b32 s45, s91
	s_cbranch_execz .LBB119_79
; %bb.78:                               ;   in Loop: Header=BB119_3 Depth=1
	ds_load_b32 v25, v5 offset:780
	s_wait_dscnt 0x0
	v_mul_f32_e32 v24, v24, v25
	ds_store_b32 v3, v24
.LBB119_79:                             ;   in Loop: Header=BB119_3 Depth=1
	s_or_b32 exec_lo, exec_lo, s45
	s_wait_dscnt 0x0
	s_barrier_signal -1
	s_barrier_wait -1
	s_barrier_signal -1
	s_barrier_wait -1
	s_and_saveexec_b32 s45, s2
; %bb.80:                               ;   in Loop: Header=BB119_3 Depth=1
	v_xor_b32_e32 v24, 0x80000000, v24
	ds_store_b32 v65, v24 offset:8
; %bb.81:                               ;   in Loop: Header=BB119_3 Depth=1
	s_or_b32 exec_lo, exec_lo, s45
	s_wait_dscnt 0x0
	s_barrier_signal -1
	s_barrier_wait -1
	s_barrier_signal -1
	s_barrier_wait -1
	s_and_saveexec_b32 s45, s92
	s_cbranch_execz .LBB119_83
; %bb.82:                               ;   in Loop: Header=BB119_3 Depth=1
	ds_load_b32 v24, v34 offset:8
	s_wait_dscnt 0x0
	ds_store_b32 v30, v24 offset:512
	ds_load_b32 v24, v34 offset:12
	s_wait_dscnt 0x0
	ds_store_b32 v30, v24 offset:768
.LBB119_83:                             ;   in Loop: Header=BB119_3 Depth=1
	s_or_b32 exec_lo, exec_lo, s45
	s_wait_dscnt 0x0
	s_barrier_signal -1
	s_barrier_wait -1
	s_and_saveexec_b32 s45, s15
	s_cbranch_execz .LBB119_85
; %bb.84:                               ;   in Loop: Header=BB119_3 Depth=1
	ds_load_b64 v[24:25], v5 offset:520
	ds_load_b32 v26, v5 offset:780
	s_wait_dscnt 0x0
	v_mul_f32_e32 v24, v24, v26
	s_delay_alu instid0(VALU_DEP_1)
	v_mul_f32_e32 v24, v25, v24
	ds_store_2addr_b32 v5, v24, v24 offset0:131 offset1:194
.LBB119_85:                             ;   in Loop: Header=BB119_3 Depth=1
	s_or_b32 exec_lo, exec_lo, s45
	v_mov_b32_e32 v24, 0
	s_wait_dscnt 0x0
	s_barrier_signal -1
	s_barrier_wait -1
	s_and_saveexec_b32 s82, s4
	s_cbranch_execz .LBB119_91
; %bb.86:                               ;   in Loop: Header=BB119_3 Depth=1
	ds_load_b32 v24, v36 offset:16
	ds_load_b32 v25, v31
	s_wait_dscnt 0x0
	v_fma_f32 v24, v24, v25, 0
	s_and_saveexec_b32 s45, s17
	s_cbranch_execnz .LBB119_1207
; %bb.87:                               ;   in Loop: Header=BB119_3 Depth=1
	s_or_b32 exec_lo, exec_lo, s45
	s_and_saveexec_b32 s45, s18
	s_cbranch_execnz .LBB119_1208
.LBB119_88:                             ;   in Loop: Header=BB119_3 Depth=1
	s_or_b32 exec_lo, exec_lo, s45
	s_and_saveexec_b32 s45, s2
	s_cbranch_execz .LBB119_90
.LBB119_89:                             ;   in Loop: Header=BB119_3 Depth=1
	ds_load_b32 v25, v38 offset:784
	ds_load_b32 v26, v5 offset:12
	s_wait_dscnt 0x0
	v_fmac_f32_e32 v24, v25, v26
.LBB119_90:                             ;   in Loop: Header=BB119_3 Depth=1
	s_or_b32 exec_lo, exec_lo, s45
	s_delay_alu instid0(VALU_DEP_1)
	v_xor_b32_e32 v24, 0x80000000, v24
.LBB119_91:                             ;   in Loop: Header=BB119_3 Depth=1
	s_or_b32 exec_lo, exec_lo, s82
	s_and_saveexec_b32 s45, s93
	s_cbranch_execz .LBB119_93
; %bb.92:                               ;   in Loop: Header=BB119_3 Depth=1
	ds_load_b32 v25, v5 offset:1040
	s_wait_dscnt 0x0
	v_mul_f32_e32 v24, v24, v25
	ds_store_b32 v35, v24
.LBB119_93:                             ;   in Loop: Header=BB119_3 Depth=1
	s_or_b32 exec_lo, exec_lo, s45
	s_wait_dscnt 0x0
	s_barrier_signal -1
	s_barrier_wait -1
	s_and_saveexec_b32 s45, s94
	s_cbranch_execz .LBB119_95
; %bb.94:                               ;   in Loop: Header=BB119_3 Depth=1
	ds_load_b32 v25, v33 offset:1040
	ds_load_b32 v26, v35
	s_wait_dscnt 0x0
	v_fmac_f32_e32 v24, v25, v26
.LBB119_95:                             ;   in Loop: Header=BB119_3 Depth=1
	s_or_b32 exec_lo, exec_lo, s45
	s_barrier_signal -1
	s_barrier_wait -1
	s_and_saveexec_b32 s45, s95
	s_cbranch_execz .LBB119_97
; %bb.96:                               ;   in Loop: Header=BB119_3 Depth=1
	ds_load_b32 v25, v5 offset:1300
	s_wait_dscnt 0x0
	v_mul_f32_e32 v24, v24, v25
	ds_store_b32 v35, v24
.LBB119_97:                             ;   in Loop: Header=BB119_3 Depth=1
	s_or_b32 exec_lo, exec_lo, s45
	s_wait_dscnt 0x0
	s_barrier_signal -1
	s_barrier_wait -1
	s_and_saveexec_b32 s45, s96
	s_cbranch_execz .LBB119_99
; %bb.98:                               ;   in Loop: Header=BB119_3 Depth=1
	ds_load_b32 v25, v33 offset:1296
	ds_load_b32 v26, v35
	s_wait_dscnt 0x0
	v_fmac_f32_e32 v24, v25, v26
.LBB119_99:                             ;   in Loop: Header=BB119_3 Depth=1
	s_or_b32 exec_lo, exec_lo, s45
	s_barrier_signal -1
	s_barrier_wait -1
	s_and_saveexec_b32 s45, s97
	s_cbranch_execz .LBB119_101
; %bb.100:                              ;   in Loop: Header=BB119_3 Depth=1
	ds_load_b32 v25, v5 offset:1560
	s_wait_dscnt 0x0
	v_mul_f32_e32 v24, v24, v25
	ds_store_b32 v35, v24
.LBB119_101:                            ;   in Loop: Header=BB119_3 Depth=1
	s_or_b32 exec_lo, exec_lo, s45
	s_wait_dscnt 0x0
	s_barrier_signal -1
	s_barrier_wait -1
	s_and_saveexec_b32 s45, s98
	s_cbranch_execz .LBB119_103
; %bb.102:                              ;   in Loop: Header=BB119_3 Depth=1
	ds_load_b32 v25, v5 offset:1564
	ds_load_b32 v26, v35
	s_wait_dscnt 0x0
	v_fmac_f32_e32 v24, v25, v26
.LBB119_103:                            ;   in Loop: Header=BB119_3 Depth=1
	s_or_b32 exec_lo, exec_lo, s45
	s_barrier_signal -1
	s_barrier_wait -1
	s_and_saveexec_b32 s45, s98
	s_cbranch_execz .LBB119_105
; %bb.104:                              ;   in Loop: Header=BB119_3 Depth=1
	ds_load_b32 v25, v5 offset:1820
	s_wait_dscnt 0x0
	v_mul_f32_e32 v24, v24, v25
	ds_store_b32 v35, v24
.LBB119_105:                            ;   in Loop: Header=BB119_3 Depth=1
	s_or_b32 exec_lo, exec_lo, s45
	s_wait_dscnt 0x0
	s_barrier_signal -1
	s_barrier_wait -1
	s_barrier_signal -1
	s_barrier_wait -1
	s_and_saveexec_b32 s45, s4
; %bb.106:                              ;   in Loop: Header=BB119_3 Depth=1
	v_xor_b32_e32 v24, 0x80000000, v24
	ds_store_b32 v36, v24 offset:16
; %bb.107:                              ;   in Loop: Header=BB119_3 Depth=1
	s_or_b32 exec_lo, exec_lo, s45
	s_wait_dscnt 0x0
	s_barrier_signal -1
	s_barrier_wait -1
	s_barrier_signal -1
	s_barrier_wait -1
	s_and_saveexec_b32 s45, s99
	s_cbranch_execz .LBB119_109
; %bb.108:                              ;   in Loop: Header=BB119_3 Depth=1
	ds_load_b32 v24, v51 offset:16
	s_wait_dscnt 0x0
	ds_store_b32 v52, v24 offset:1024
	ds_load_b32 v24, v51 offset:20
	s_wait_dscnt 0x0
	ds_store_b32 v52, v24 offset:1280
	;; [unrolled: 3-line block ×4, first 2 shown]
.LBB119_109:                            ;   in Loop: Header=BB119_3 Depth=1
	s_or_b32 exec_lo, exec_lo, s45
	s_wait_dscnt 0x0
	s_barrier_signal -1
	s_barrier_wait -1
	s_and_saveexec_b32 s45, s15
	s_cbranch_execz .LBB119_111
; %bb.110:                              ;   in Loop: Header=BB119_3 Depth=1
	ds_load_b64 v[24:25], v5 offset:1040
	ds_load_b32 v26, v5 offset:1300
	s_wait_dscnt 0x0
	v_mul_f32_e32 v24, v24, v26
	s_delay_alu instid0(VALU_DEP_1)
	v_mul_f32_e32 v24, v25, v24
	v_add_nc_u32_e64 v25, 0x400, 0
	ds_store_2addr_b32 v25, v24, v24 offset0:5 offset1:68
.LBB119_111:                            ;   in Loop: Header=BB119_3 Depth=1
	s_or_b32 exec_lo, exec_lo, s45
	v_mov_b32_e32 v24, 0
	s_wait_dscnt 0x0
	s_barrier_signal -1
	s_barrier_wait -1
	s_and_saveexec_b32 s45, s2
	s_cbranch_execz .LBB119_115
; %bb.112:                              ;   in Loop: Header=BB119_3 Depth=1
	ds_load_b32 v24, v65 offset:1048
	ds_load_b32 v25, v29 offset:1040
	s_wait_dscnt 0x0
	v_fma_f32 v24, v24, v25, 0
	s_and_saveexec_b32 s46, s16
	s_cbranch_execz .LBB119_114
; %bb.113:                              ;   in Loop: Header=BB119_3 Depth=1
	ds_load_b32 v25, v52 offset:1304
	ds_load_b32 v26, v5 offset:1044
	s_wait_dscnt 0x0
	v_fmac_f32_e32 v24, v25, v26
.LBB119_114:                            ;   in Loop: Header=BB119_3 Depth=1
	s_or_b32 exec_lo, exec_lo, s46
	s_delay_alu instid0(VALU_DEP_1)
	v_xor_b32_e32 v24, 0x80000000, v24
.LBB119_115:                            ;   in Loop: Header=BB119_3 Depth=1
	s_or_b32 exec_lo, exec_lo, s45
	s_and_saveexec_b32 s45, s90
	s_cbranch_execz .LBB119_117
; %bb.116:                              ;   in Loop: Header=BB119_3 Depth=1
	ds_load_b32 v25, v5 offset:1560
	s_wait_dscnt 0x0
	v_mul_f32_e32 v24, v24, v25
	ds_store_b32 v3, v24
.LBB119_117:                            ;   in Loop: Header=BB119_3 Depth=1
	s_or_b32 exec_lo, exec_lo, s45
	s_wait_dscnt 0x0
	s_barrier_signal -1
	s_barrier_wait -1
	s_and_saveexec_b32 s45, s91
	s_cbranch_execz .LBB119_119
; %bb.118:                              ;   in Loop: Header=BB119_3 Depth=1
	ds_load_b32 v25, v5 offset:1564
	ds_load_b32 v26, v3
	s_wait_dscnt 0x0
	v_fmac_f32_e32 v24, v25, v26
.LBB119_119:                            ;   in Loop: Header=BB119_3 Depth=1
	s_or_b32 exec_lo, exec_lo, s45
	s_barrier_signal -1
	s_barrier_wait -1
	s_and_saveexec_b32 s45, s91
	s_cbranch_execz .LBB119_121
; %bb.120:                              ;   in Loop: Header=BB119_3 Depth=1
	ds_load_b32 v25, v5 offset:1820
	s_wait_dscnt 0x0
	v_mul_f32_e32 v24, v24, v25
	ds_store_b32 v3, v24
.LBB119_121:                            ;   in Loop: Header=BB119_3 Depth=1
	s_or_b32 exec_lo, exec_lo, s45
	s_wait_dscnt 0x0
	s_barrier_signal -1
	s_barrier_wait -1
	s_barrier_signal -1
	s_barrier_wait -1
	s_and_saveexec_b32 s45, s2
; %bb.122:                              ;   in Loop: Header=BB119_3 Depth=1
	v_xor_b32_e32 v24, 0x80000000, v24
	ds_store_b32 v65, v24 offset:1048
; %bb.123:                              ;   in Loop: Header=BB119_3 Depth=1
	s_or_b32 exec_lo, exec_lo, s45
	s_wait_dscnt 0x0
	s_barrier_signal -1
	s_barrier_wait -1
	s_barrier_signal -1
	s_barrier_wait -1
	s_and_saveexec_b32 s45, s92
	s_cbranch_execz .LBB119_125
; %bb.124:                              ;   in Loop: Header=BB119_3 Depth=1
	ds_load_b32 v24, v53 offset:1048
	s_wait_dscnt 0x0
	ds_store_b32 v52, v24 offset:1552
	ds_load_b32 v24, v53 offset:1052
	s_wait_dscnt 0x0
	ds_store_b32 v52, v24 offset:1808
.LBB119_125:                            ;   in Loop: Header=BB119_3 Depth=1
	s_or_b32 exec_lo, exec_lo, s45
	s_wait_dscnt 0x0
	s_barrier_signal -1
	s_barrier_wait -1
	s_and_saveexec_b32 s45, s15
	s_cbranch_execz .LBB119_127
; %bb.126:                              ;   in Loop: Header=BB119_3 Depth=1
	ds_load_b64 v[24:25], v5 offset:1560
	ds_load_b32 v26, v5 offset:1820
	s_wait_dscnt 0x0
	v_mul_f32_e32 v24, v24, v26
	s_delay_alu instid0(VALU_DEP_1)
	v_mul_f32_e32 v24, v25, v24
	v_add_nc_u32_e64 v25, 0x400, 0
	ds_store_2addr_b32 v25, v24, v24 offset0:135 offset1:198
.LBB119_127:                            ;   in Loop: Header=BB119_3 Depth=1
	s_or_b32 exec_lo, exec_lo, s45
	v_mov_b32_e32 v24, 0
	s_wait_dscnt 0x0
	s_barrier_signal -1
	s_barrier_wait -1
	s_and_saveexec_b32 s82, s5
	s_cbranch_execz .LBB119_137
; %bb.128:                              ;   in Loop: Header=BB119_3 Depth=1
	ds_load_b32 v24, v42 offset:32
	ds_load_b32 v25, v39
	s_wait_dscnt 0x0
	v_fma_f32 v24, v24, v25, 0
	s_and_saveexec_b32 s45, s19
	s_cbranch_execnz .LBB119_1209
; %bb.129:                              ;   in Loop: Header=BB119_3 Depth=1
	s_or_b32 exec_lo, exec_lo, s45
	s_and_saveexec_b32 s45, s20
	s_cbranch_execnz .LBB119_1210
.LBB119_130:                            ;   in Loop: Header=BB119_3 Depth=1
	s_or_b32 exec_lo, exec_lo, s45
	s_and_saveexec_b32 s45, s21
	s_cbranch_execnz .LBB119_1211
.LBB119_131:                            ;   in Loop: Header=BB119_3 Depth=1
	s_or_b32 exec_lo, exec_lo, s45
	s_and_saveexec_b32 s45, s22
	s_cbranch_execnz .LBB119_1212
.LBB119_132:                            ;   in Loop: Header=BB119_3 Depth=1
	s_or_b32 exec_lo, exec_lo, s45
	s_and_saveexec_b32 s45, s23
	s_cbranch_execnz .LBB119_1213
.LBB119_133:                            ;   in Loop: Header=BB119_3 Depth=1
	s_or_b32 exec_lo, exec_lo, s45
	s_and_saveexec_b32 s45, s4
	s_cbranch_execnz .LBB119_1214
.LBB119_134:                            ;   in Loop: Header=BB119_3 Depth=1
	s_or_b32 exec_lo, exec_lo, s45
	s_and_saveexec_b32 s45, s18
	s_cbranch_execz .LBB119_136
.LBB119_135:                            ;   in Loop: Header=BB119_3 Depth=1
	ds_load_b32 v25, v54 offset:1824
	ds_load_b32 v26, v5 offset:28
	s_wait_dscnt 0x0
	v_fmac_f32_e32 v24, v25, v26
.LBB119_136:                            ;   in Loop: Header=BB119_3 Depth=1
	s_or_b32 exec_lo, exec_lo, s45
	s_delay_alu instid0(VALU_DEP_1)
	v_xor_b32_e32 v24, 0x80000000, v24
.LBB119_137:                            ;   in Loop: Header=BB119_3 Depth=1
	s_or_b32 exec_lo, exec_lo, s82
	s_and_saveexec_b32 s45, s100
	s_cbranch_execz .LBB119_139
; %bb.138:                              ;   in Loop: Header=BB119_3 Depth=1
	ds_load_b32 v25, v5 offset:2080
	s_wait_dscnt 0x0
	v_mul_f32_e32 v24, v24, v25
	ds_store_b32 v41, v24
.LBB119_139:                            ;   in Loop: Header=BB119_3 Depth=1
	s_or_b32 exec_lo, exec_lo, s45
	s_wait_dscnt 0x0
	s_barrier_signal -1
	s_barrier_wait -1
	s_and_saveexec_b32 s45, s101
	s_cbranch_execz .LBB119_141
; %bb.140:                              ;   in Loop: Header=BB119_3 Depth=1
	ds_load_b32 v25, v40 offset:2080
	ds_load_b32 v26, v41
	s_wait_dscnt 0x0
	v_fmac_f32_e32 v24, v25, v26
.LBB119_141:                            ;   in Loop: Header=BB119_3 Depth=1
	s_or_b32 exec_lo, exec_lo, s45
	s_barrier_signal -1
	s_barrier_wait -1
	s_and_saveexec_b32 s45, s102
	s_cbranch_execz .LBB119_143
; %bb.142:                              ;   in Loop: Header=BB119_3 Depth=1
	ds_load_b32 v25, v5 offset:2340
	s_wait_dscnt 0x0
	v_mul_f32_e32 v24, v24, v25
	ds_store_b32 v41, v24
.LBB119_143:                            ;   in Loop: Header=BB119_3 Depth=1
	s_or_b32 exec_lo, exec_lo, s45
	s_wait_dscnt 0x0
	s_barrier_signal -1
	s_barrier_wait -1
	s_and_saveexec_b32 s45, s103
	s_cbranch_execz .LBB119_145
; %bb.144:                              ;   in Loop: Header=BB119_3 Depth=1
	ds_load_b32 v25, v40 offset:2336
	ds_load_b32 v26, v41
	s_wait_dscnt 0x0
	v_fmac_f32_e32 v24, v25, v26
.LBB119_145:                            ;   in Loop: Header=BB119_3 Depth=1
	s_or_b32 exec_lo, exec_lo, s45
	s_barrier_signal -1
	s_barrier_wait -1
	s_and_saveexec_b32 s45, s104
	s_cbranch_execz .LBB119_147
; %bb.146:                              ;   in Loop: Header=BB119_3 Depth=1
	ds_load_b32 v25, v5 offset:2600
	s_wait_dscnt 0x0
	v_mul_f32_e32 v24, v24, v25
	ds_store_b32 v41, v24
.LBB119_147:                            ;   in Loop: Header=BB119_3 Depth=1
	s_or_b32 exec_lo, exec_lo, s45
	s_wait_dscnt 0x0
	s_barrier_signal -1
	s_barrier_wait -1
	s_and_saveexec_b32 s45, vcc_hi
	s_cbranch_execz .LBB119_149
; %bb.148:                              ;   in Loop: Header=BB119_3 Depth=1
	ds_load_b32 v25, v40 offset:2592
	ds_load_b32 v26, v41
	s_wait_dscnt 0x0
	v_fmac_f32_e32 v24, v25, v26
.LBB119_149:                            ;   in Loop: Header=BB119_3 Depth=1
	s_or_b32 exec_lo, exec_lo, s45
	s_barrier_signal -1
	s_barrier_wait -1
	s_and_saveexec_b32 s45, s36
	s_cbranch_execz .LBB119_151
; %bb.150:                              ;   in Loop: Header=BB119_3 Depth=1
	ds_load_b32 v25, v5 offset:2860
	s_wait_dscnt 0x0
	v_mul_f32_e32 v24, v24, v25
	ds_store_b32 v41, v24
.LBB119_151:                            ;   in Loop: Header=BB119_3 Depth=1
	s_or_b32 exec_lo, exec_lo, s45
	s_wait_dscnt 0x0
	s_barrier_signal -1
	s_barrier_wait -1
	s_and_saveexec_b32 s45, s37
	s_cbranch_execz .LBB119_153
; %bb.152:                              ;   in Loop: Header=BB119_3 Depth=1
	ds_load_b32 v25, v40 offset:2848
	ds_load_b32 v26, v41
	s_wait_dscnt 0x0
	v_fmac_f32_e32 v24, v25, v26
.LBB119_153:                            ;   in Loop: Header=BB119_3 Depth=1
	s_or_b32 exec_lo, exec_lo, s45
	s_barrier_signal -1
	s_barrier_wait -1
	s_and_saveexec_b32 s45, s38
	s_cbranch_execz .LBB119_155
; %bb.154:                              ;   in Loop: Header=BB119_3 Depth=1
	ds_load_b32 v25, v5 offset:3120
	s_wait_dscnt 0x0
	v_mul_f32_e32 v24, v24, v25
	ds_store_b32 v41, v24
.LBB119_155:                            ;   in Loop: Header=BB119_3 Depth=1
	s_or_b32 exec_lo, exec_lo, s45
	s_wait_dscnt 0x0
	s_barrier_signal -1
	s_barrier_wait -1
	s_and_saveexec_b32 s45, s39
	;; [unrolled: 23-line block ×4, first 2 shown]
	s_cbranch_execz .LBB119_165
; %bb.164:                              ;   in Loop: Header=BB119_3 Depth=1
	ds_load_b32 v25, v5 offset:3644
	ds_load_b32 v26, v41
	s_wait_dscnt 0x0
	v_fmac_f32_e32 v24, v25, v26
.LBB119_165:                            ;   in Loop: Header=BB119_3 Depth=1
	s_or_b32 exec_lo, exec_lo, s45
	s_barrier_signal -1
	s_barrier_wait -1
	s_and_saveexec_b32 s45, s43
	s_cbranch_execz .LBB119_167
; %bb.166:                              ;   in Loop: Header=BB119_3 Depth=1
	ds_load_b32 v25, v5 offset:3900
	s_wait_dscnt 0x0
	v_mul_f32_e32 v24, v24, v25
	ds_store_b32 v41, v24
.LBB119_167:                            ;   in Loop: Header=BB119_3 Depth=1
	s_or_b32 exec_lo, exec_lo, s45
	s_wait_dscnt 0x0
	s_barrier_signal -1
	s_barrier_wait -1
	s_barrier_signal -1
	s_barrier_wait -1
	s_and_saveexec_b32 s45, s5
; %bb.168:                              ;   in Loop: Header=BB119_3 Depth=1
	v_xor_b32_e32 v24, 0x80000000, v24
	ds_store_b32 v42, v24 offset:32
; %bb.169:                              ;   in Loop: Header=BB119_3 Depth=1
	s_or_b32 exec_lo, exec_lo, s45
	s_wait_dscnt 0x0
	s_barrier_signal -1
	s_barrier_wait -1
	s_barrier_signal -1
	s_barrier_wait -1
	s_and_saveexec_b32 s45, s44
	s_cbranch_execz .LBB119_171
; %bb.170:                              ;   in Loop: Header=BB119_3 Depth=1
	ds_load_b32 v24, v55 offset:32
	s_wait_dscnt 0x0
	ds_store_b32 v56, v24 offset:2048
	ds_load_b32 v24, v55 offset:36
	s_wait_dscnt 0x0
	ds_store_b32 v56, v24 offset:2304
	;; [unrolled: 3-line block ×8, first 2 shown]
.LBB119_171:                            ;   in Loop: Header=BB119_3 Depth=1
	s_or_b32 exec_lo, exec_lo, s45
	s_wait_dscnt 0x0
	s_barrier_signal -1
	s_barrier_wait -1
	s_and_saveexec_b32 s45, s15
	s_cbranch_execz .LBB119_173
; %bb.172:                              ;   in Loop: Header=BB119_3 Depth=1
	ds_load_b64 v[24:25], v5 offset:2080
	ds_load_b32 v26, v5 offset:2340
	s_wait_dscnt 0x0
	v_mul_f32_e32 v24, v24, v26
	s_delay_alu instid0(VALU_DEP_1)
	v_mul_f32_e32 v24, v25, v24
	v_add_nc_u32_e64 v25, 0x800, 0
	ds_store_2addr_b32 v25, v24, v24 offset0:9 offset1:72
.LBB119_173:                            ;   in Loop: Header=BB119_3 Depth=1
	s_or_b32 exec_lo, exec_lo, s45
	v_mov_b32_e32 v24, 0
	s_wait_dscnt 0x0
	s_barrier_signal -1
	s_barrier_wait -1
	s_and_saveexec_b32 s45, s2
	s_cbranch_execz .LBB119_177
; %bb.174:                              ;   in Loop: Header=BB119_3 Depth=1
	ds_load_b32 v24, v65 offset:2088
	ds_load_b32 v25, v29 offset:2080
	s_wait_dscnt 0x0
	v_fma_f32 v24, v24, v25, 0
	s_and_saveexec_b32 s46, s16
	s_cbranch_execz .LBB119_176
; %bb.175:                              ;   in Loop: Header=BB119_3 Depth=1
	ds_load_b32 v25, v56 offset:2344
	ds_load_b32 v26, v5 offset:2084
	s_wait_dscnt 0x0
	v_fmac_f32_e32 v24, v25, v26
.LBB119_176:                            ;   in Loop: Header=BB119_3 Depth=1
	s_or_b32 exec_lo, exec_lo, s46
	s_delay_alu instid0(VALU_DEP_1)
	v_xor_b32_e32 v24, 0x80000000, v24
.LBB119_177:                            ;   in Loop: Header=BB119_3 Depth=1
	s_or_b32 exec_lo, exec_lo, s45
	s_and_saveexec_b32 s45, s90
	s_cbranch_execz .LBB119_179
; %bb.178:                              ;   in Loop: Header=BB119_3 Depth=1
	ds_load_b32 v25, v5 offset:2600
	s_wait_dscnt 0x0
	v_mul_f32_e32 v24, v24, v25
	ds_store_b32 v3, v24
.LBB119_179:                            ;   in Loop: Header=BB119_3 Depth=1
	s_or_b32 exec_lo, exec_lo, s45
	s_wait_dscnt 0x0
	s_barrier_signal -1
	s_barrier_wait -1
	s_and_saveexec_b32 s45, s91
	s_cbranch_execz .LBB119_181
; %bb.180:                              ;   in Loop: Header=BB119_3 Depth=1
	ds_load_b32 v25, v5 offset:2604
	ds_load_b32 v26, v3
	s_wait_dscnt 0x0
	v_fmac_f32_e32 v24, v25, v26
.LBB119_181:                            ;   in Loop: Header=BB119_3 Depth=1
	s_or_b32 exec_lo, exec_lo, s45
	s_barrier_signal -1
	s_barrier_wait -1
	s_and_saveexec_b32 s45, s91
	s_cbranch_execz .LBB119_183
; %bb.182:                              ;   in Loop: Header=BB119_3 Depth=1
	ds_load_b32 v25, v5 offset:2860
	s_wait_dscnt 0x0
	v_mul_f32_e32 v24, v24, v25
	ds_store_b32 v3, v24
.LBB119_183:                            ;   in Loop: Header=BB119_3 Depth=1
	s_or_b32 exec_lo, exec_lo, s45
	s_wait_dscnt 0x0
	s_barrier_signal -1
	s_barrier_wait -1
	s_barrier_signal -1
	s_barrier_wait -1
	s_and_saveexec_b32 s45, s2
; %bb.184:                              ;   in Loop: Header=BB119_3 Depth=1
	v_xor_b32_e32 v24, 0x80000000, v24
	ds_store_b32 v65, v24 offset:2088
; %bb.185:                              ;   in Loop: Header=BB119_3 Depth=1
	s_or_b32 exec_lo, exec_lo, s45
	s_wait_dscnt 0x0
	s_barrier_signal -1
	s_barrier_wait -1
	s_barrier_signal -1
	s_barrier_wait -1
	s_and_saveexec_b32 s45, s92
	s_cbranch_execz .LBB119_187
; %bb.186:                              ;   in Loop: Header=BB119_3 Depth=1
	ds_load_b32 v24, v57 offset:2088
	s_wait_dscnt 0x0
	ds_store_b32 v56, v24 offset:2592
	ds_load_b32 v24, v57 offset:2092
	s_wait_dscnt 0x0
	ds_store_b32 v56, v24 offset:2848
.LBB119_187:                            ;   in Loop: Header=BB119_3 Depth=1
	s_or_b32 exec_lo, exec_lo, s45
	s_wait_dscnt 0x0
	s_barrier_signal -1
	s_barrier_wait -1
	s_and_saveexec_b32 s45, s15
	s_cbranch_execz .LBB119_189
; %bb.188:                              ;   in Loop: Header=BB119_3 Depth=1
	ds_load_b64 v[24:25], v5 offset:2600
	ds_load_b32 v26, v5 offset:2860
	s_wait_dscnt 0x0
	v_mul_f32_e32 v24, v24, v26
	s_delay_alu instid0(VALU_DEP_1)
	v_mul_f32_e32 v24, v25, v24
	v_add_nc_u32_e64 v25, 0x800, 0
	ds_store_2addr_b32 v25, v24, v24 offset0:139 offset1:202
.LBB119_189:                            ;   in Loop: Header=BB119_3 Depth=1
	s_or_b32 exec_lo, exec_lo, s45
	v_mov_b32_e32 v24, 0
	s_wait_dscnt 0x0
	s_barrier_signal -1
	s_barrier_wait -1
	s_and_saveexec_b32 s82, s4
	s_cbranch_execz .LBB119_195
; %bb.190:                              ;   in Loop: Header=BB119_3 Depth=1
	ds_load_b32 v24, v36 offset:2096
	ds_load_b32 v25, v31 offset:2080
	s_wait_dscnt 0x0
	v_fma_f32 v24, v24, v25, 0
	s_and_saveexec_b32 s45, s17
	s_cbranch_execnz .LBB119_1215
; %bb.191:                              ;   in Loop: Header=BB119_3 Depth=1
	s_or_b32 exec_lo, exec_lo, s45
	s_and_saveexec_b32 s45, s18
	s_cbranch_execnz .LBB119_1216
.LBB119_192:                            ;   in Loop: Header=BB119_3 Depth=1
	s_or_b32 exec_lo, exec_lo, s45
	s_and_saveexec_b32 s45, s2
	s_cbranch_execz .LBB119_194
.LBB119_193:                            ;   in Loop: Header=BB119_3 Depth=1
	ds_load_b32 v25, v58 offset:2864
	ds_load_b32 v26, v5 offset:2092
	s_wait_dscnt 0x0
	v_fmac_f32_e32 v24, v25, v26
.LBB119_194:                            ;   in Loop: Header=BB119_3 Depth=1
	s_or_b32 exec_lo, exec_lo, s45
	s_delay_alu instid0(VALU_DEP_1)
	v_xor_b32_e32 v24, 0x80000000, v24
.LBB119_195:                            ;   in Loop: Header=BB119_3 Depth=1
	s_or_b32 exec_lo, exec_lo, s82
	s_and_saveexec_b32 s45, s93
	s_cbranch_execz .LBB119_197
; %bb.196:                              ;   in Loop: Header=BB119_3 Depth=1
	ds_load_b32 v25, v5 offset:3120
	s_wait_dscnt 0x0
	v_mul_f32_e32 v24, v24, v25
	ds_store_b32 v35, v24
.LBB119_197:                            ;   in Loop: Header=BB119_3 Depth=1
	s_or_b32 exec_lo, exec_lo, s45
	s_wait_dscnt 0x0
	s_barrier_signal -1
	s_barrier_wait -1
	s_and_saveexec_b32 s45, s94
	s_cbranch_execz .LBB119_199
; %bb.198:                              ;   in Loop: Header=BB119_3 Depth=1
	ds_load_b32 v25, v33 offset:3120
	ds_load_b32 v26, v35
	s_wait_dscnt 0x0
	v_fmac_f32_e32 v24, v25, v26
.LBB119_199:                            ;   in Loop: Header=BB119_3 Depth=1
	s_or_b32 exec_lo, exec_lo, s45
	s_barrier_signal -1
	s_barrier_wait -1
	s_and_saveexec_b32 s45, s95
	s_cbranch_execz .LBB119_201
; %bb.200:                              ;   in Loop: Header=BB119_3 Depth=1
	ds_load_b32 v25, v5 offset:3380
	s_wait_dscnt 0x0
	v_mul_f32_e32 v24, v24, v25
	ds_store_b32 v35, v24
.LBB119_201:                            ;   in Loop: Header=BB119_3 Depth=1
	s_or_b32 exec_lo, exec_lo, s45
	s_wait_dscnt 0x0
	s_barrier_signal -1
	s_barrier_wait -1
	s_and_saveexec_b32 s45, s96
	s_cbranch_execz .LBB119_203
; %bb.202:                              ;   in Loop: Header=BB119_3 Depth=1
	ds_load_b32 v25, v33 offset:3376
	ds_load_b32 v26, v35
	s_wait_dscnt 0x0
	v_fmac_f32_e32 v24, v25, v26
.LBB119_203:                            ;   in Loop: Header=BB119_3 Depth=1
	s_or_b32 exec_lo, exec_lo, s45
	s_barrier_signal -1
	s_barrier_wait -1
	;; [unrolled: 23-line block ×3, first 2 shown]
	s_and_saveexec_b32 s45, s98
	s_cbranch_execz .LBB119_209
; %bb.208:                              ;   in Loop: Header=BB119_3 Depth=1
	ds_load_b32 v25, v5 offset:3900
	s_wait_dscnt 0x0
	v_mul_f32_e32 v24, v24, v25
	ds_store_b32 v35, v24
.LBB119_209:                            ;   in Loop: Header=BB119_3 Depth=1
	s_or_b32 exec_lo, exec_lo, s45
	s_wait_dscnt 0x0
	s_barrier_signal -1
	s_barrier_wait -1
	s_barrier_signal -1
	s_barrier_wait -1
	s_and_saveexec_b32 s45, s4
; %bb.210:                              ;   in Loop: Header=BB119_3 Depth=1
	v_xor_b32_e32 v24, 0x80000000, v24
	ds_store_b32 v36, v24 offset:2096
; %bb.211:                              ;   in Loop: Header=BB119_3 Depth=1
	s_or_b32 exec_lo, exec_lo, s45
	s_wait_dscnt 0x0
	s_barrier_signal -1
	s_barrier_wait -1
	s_barrier_signal -1
	s_barrier_wait -1
	s_and_saveexec_b32 s45, s99
	s_cbranch_execz .LBB119_213
; %bb.212:                              ;   in Loop: Header=BB119_3 Depth=1
	ds_load_b32 v24, v59 offset:2096
	s_wait_dscnt 0x0
	ds_store_b32 v60, v24 offset:3104
	ds_load_b32 v24, v59 offset:2100
	s_wait_dscnt 0x0
	ds_store_b32 v60, v24 offset:3360
	ds_load_b32 v24, v59 offset:2104
	s_wait_dscnt 0x0
	ds_store_b32 v60, v24 offset:3616
	ds_load_b32 v24, v59 offset:2108
	s_wait_dscnt 0x0
	ds_store_b32 v60, v24 offset:3872
.LBB119_213:                            ;   in Loop: Header=BB119_3 Depth=1
	s_or_b32 exec_lo, exec_lo, s45
	s_wait_dscnt 0x0
	s_barrier_signal -1
	s_barrier_wait -1
	s_and_saveexec_b32 s45, s15
	s_cbranch_execz .LBB119_215
; %bb.214:                              ;   in Loop: Header=BB119_3 Depth=1
	ds_load_b64 v[24:25], v5 offset:3120
	ds_load_b32 v26, v5 offset:3380
	s_wait_dscnt 0x0
	v_mul_f32_e32 v24, v24, v26
	s_delay_alu instid0(VALU_DEP_1)
	v_mul_f32_e32 v24, v25, v24
	v_add_nc_u32_e64 v25, 0xc00, 0
	ds_store_2addr_b32 v25, v24, v24 offset0:13 offset1:76
.LBB119_215:                            ;   in Loop: Header=BB119_3 Depth=1
	s_or_b32 exec_lo, exec_lo, s45
	v_mov_b32_e32 v24, 0
	s_wait_dscnt 0x0
	s_barrier_signal -1
	s_barrier_wait -1
	s_and_saveexec_b32 s45, s2
	s_cbranch_execz .LBB119_219
; %bb.216:                              ;   in Loop: Header=BB119_3 Depth=1
	ds_load_b32 v24, v65 offset:3128
	ds_load_b32 v25, v29 offset:3120
	s_wait_dscnt 0x0
	v_fma_f32 v24, v24, v25, 0
	s_and_saveexec_b32 s46, s16
	s_cbranch_execz .LBB119_218
; %bb.217:                              ;   in Loop: Header=BB119_3 Depth=1
	ds_load_b32 v25, v60 offset:3384
	ds_load_b32 v26, v5 offset:3124
	s_wait_dscnt 0x0
	v_fmac_f32_e32 v24, v25, v26
.LBB119_218:                            ;   in Loop: Header=BB119_3 Depth=1
	s_or_b32 exec_lo, exec_lo, s46
	s_delay_alu instid0(VALU_DEP_1)
	v_xor_b32_e32 v24, 0x80000000, v24
.LBB119_219:                            ;   in Loop: Header=BB119_3 Depth=1
	s_or_b32 exec_lo, exec_lo, s45
	s_and_saveexec_b32 s45, s90
	s_cbranch_execz .LBB119_221
; %bb.220:                              ;   in Loop: Header=BB119_3 Depth=1
	ds_load_b32 v25, v5 offset:3640
	s_wait_dscnt 0x0
	v_mul_f32_e32 v24, v24, v25
	ds_store_b32 v3, v24
.LBB119_221:                            ;   in Loop: Header=BB119_3 Depth=1
	s_or_b32 exec_lo, exec_lo, s45
	s_wait_dscnt 0x0
	s_barrier_signal -1
	s_barrier_wait -1
	s_and_saveexec_b32 s45, s91
	s_cbranch_execz .LBB119_223
; %bb.222:                              ;   in Loop: Header=BB119_3 Depth=1
	ds_load_b32 v25, v5 offset:3644
	ds_load_b32 v26, v3
	s_wait_dscnt 0x0
	v_fmac_f32_e32 v24, v25, v26
.LBB119_223:                            ;   in Loop: Header=BB119_3 Depth=1
	s_or_b32 exec_lo, exec_lo, s45
	s_barrier_signal -1
	s_barrier_wait -1
	s_and_saveexec_b32 s45, s91
	s_cbranch_execz .LBB119_225
; %bb.224:                              ;   in Loop: Header=BB119_3 Depth=1
	ds_load_b32 v25, v5 offset:3900
	s_wait_dscnt 0x0
	v_mul_f32_e32 v24, v24, v25
	ds_store_b32 v3, v24
.LBB119_225:                            ;   in Loop: Header=BB119_3 Depth=1
	s_or_b32 exec_lo, exec_lo, s45
	s_wait_dscnt 0x0
	s_barrier_signal -1
	s_barrier_wait -1
	s_barrier_signal -1
	s_barrier_wait -1
	s_and_saveexec_b32 s45, s2
; %bb.226:                              ;   in Loop: Header=BB119_3 Depth=1
	v_xor_b32_e32 v24, 0x80000000, v24
	ds_store_b32 v65, v24 offset:3128
; %bb.227:                              ;   in Loop: Header=BB119_3 Depth=1
	s_or_b32 exec_lo, exec_lo, s45
	s_wait_dscnt 0x0
	s_barrier_signal -1
	s_barrier_wait -1
	s_barrier_signal -1
	s_barrier_wait -1
	s_and_saveexec_b32 s45, s92
	s_cbranch_execz .LBB119_229
; %bb.228:                              ;   in Loop: Header=BB119_3 Depth=1
	ds_load_b32 v24, v61 offset:3128
	s_wait_dscnt 0x0
	ds_store_b32 v60, v24 offset:3632
	ds_load_b32 v24, v61 offset:3132
	s_wait_dscnt 0x0
	ds_store_b32 v60, v24 offset:3888
.LBB119_229:                            ;   in Loop: Header=BB119_3 Depth=1
	s_or_b32 exec_lo, exec_lo, s45
	s_wait_dscnt 0x0
	s_barrier_signal -1
	s_barrier_wait -1
	s_and_saveexec_b32 s45, s15
	s_cbranch_execz .LBB119_231
; %bb.230:                              ;   in Loop: Header=BB119_3 Depth=1
	ds_load_b64 v[24:25], v5 offset:3640
	ds_load_b32 v26, v5 offset:3900
	s_wait_dscnt 0x0
	v_mul_f32_e32 v24, v24, v26
	s_delay_alu instid0(VALU_DEP_1)
	v_mul_f32_e32 v24, v25, v24
	v_add_nc_u32_e64 v25, 0xc00, 0
	ds_store_2addr_b32 v25, v24, v24 offset0:143 offset1:206
.LBB119_231:                            ;   in Loop: Header=BB119_3 Depth=1
	s_or_b32 exec_lo, exec_lo, s45
	v_mov_b32_e32 v24, 0
	s_wait_dscnt 0x0
	s_barrier_signal -1
	s_barrier_wait -1
	s_and_saveexec_b32 s82, s6
	s_cbranch_execz .LBB119_259
; %bb.232:                              ;   in Loop: Header=BB119_3 Depth=1
	ds_load_b32 v24, v47 offset:64
	ds_load_b32 v25, v44
	s_wait_dscnt 0x0
	v_fma_f32 v24, v24, v25, 0
	s_mov_b32 s45, exec_lo
	v_readlane_b32 s46, v91, 23
	s_and_b32 s46, s45, s46
	s_delay_alu instid0(SALU_CYCLE_1)
	s_mov_b32 exec_lo, s46
	s_cbranch_execz .LBB119_234
; %bb.233:                              ;   in Loop: Header=BB119_3 Depth=1
	ds_load_b32 v25, v48 offset:320
	ds_load_b32 v26, v44 offset:4
	s_wait_dscnt 0x0
	v_fmac_f32_e32 v24, v25, v26
.LBB119_234:                            ;   in Loop: Header=BB119_3 Depth=1
	s_or_b32 exec_lo, exec_lo, s45
	s_delay_alu instid0(SALU_CYCLE_1) | instskip(SKIP_2) | instid1(SALU_CYCLE_1)
	s_mov_b32 s45, exec_lo
	v_readlane_b32 s46, v91, 24
	s_and_b32 s46, s45, s46
	s_mov_b32 exec_lo, s46
	s_cbranch_execz .LBB119_236
; %bb.235:                              ;   in Loop: Header=BB119_3 Depth=1
	ds_load_b32 v25, v48 offset:576
	ds_load_b32 v26, v44 offset:8
	s_wait_dscnt 0x0
	v_fmac_f32_e32 v24, v25, v26
.LBB119_236:                            ;   in Loop: Header=BB119_3 Depth=1
	s_or_b32 exec_lo, exec_lo, s45
	s_delay_alu instid0(SALU_CYCLE_1) | instskip(SKIP_2) | instid1(SALU_CYCLE_1)
	s_mov_b32 s45, exec_lo
	v_readlane_b32 s46, v91, 25
	s_and_b32 s46, s45, s46
	;; [unrolled: 13-line block ×10, first 2 shown]
	s_mov_b32 exec_lo, s46
	s_cbranch_execnz .LBB119_1217
; %bb.253:                              ;   in Loop: Header=BB119_3 Depth=1
	s_or_b32 exec_lo, exec_lo, s45
	s_and_saveexec_b32 s45, s5
	s_cbranch_execnz .LBB119_1218
.LBB119_254:                            ;   in Loop: Header=BB119_3 Depth=1
	s_or_b32 exec_lo, exec_lo, s45
	s_and_saveexec_b32 s45, s20
	s_cbranch_execnz .LBB119_1219
.LBB119_255:                            ;   in Loop: Header=BB119_3 Depth=1
	s_or_b32 exec_lo, exec_lo, s45
	s_and_saveexec_b32 s45, s22
	s_cbranch_execnz .LBB119_1220
.LBB119_256:                            ;   in Loop: Header=BB119_3 Depth=1
	s_or_b32 exec_lo, exec_lo, s45
	s_and_saveexec_b32 s45, s4
	s_cbranch_execz .LBB119_258
.LBB119_257:                            ;   in Loop: Header=BB119_3 Depth=1
	ds_load_b32 v25, v30 offset:3904
	ds_load_b32 v26, v5 offset:60
	s_wait_dscnt 0x0
	v_fmac_f32_e32 v24, v25, v26
.LBB119_258:                            ;   in Loop: Header=BB119_3 Depth=1
	s_or_b32 exec_lo, exec_lo, s45
	s_delay_alu instid0(VALU_DEP_1)
	v_xor_b32_e32 v24, 0x80000000, v24
.LBB119_259:                            ;   in Loop: Header=BB119_3 Depth=1
	s_or_b32 exec_lo, exec_lo, s82
	s_delay_alu instid0(SALU_CYCLE_1) | instskip(SKIP_2) | instid1(SALU_CYCLE_1)
	s_mov_b32 s45, exec_lo
	v_readlane_b32 s46, v93, 3
	s_and_b32 s46, s45, s46
	s_mov_b32 exec_lo, s46
	s_cbranch_execz .LBB119_261
; %bb.260:                              ;   in Loop: Header=BB119_3 Depth=1
	ds_load_b32 v25, v5 offset:4160
	s_wait_dscnt 0x0
	v_mul_f32_e32 v24, v24, v25
	ds_store_b32 v46, v24
.LBB119_261:                            ;   in Loop: Header=BB119_3 Depth=1
	s_or_b32 exec_lo, exec_lo, s45
	s_wait_dscnt 0x0
	s_barrier_signal -1
	s_barrier_wait -1
	s_mov_b32 s45, exec_lo
	v_readlane_b32 s46, v93, 4
	s_and_b32 s46, s45, s46
	s_delay_alu instid0(SALU_CYCLE_1)
	s_mov_b32 exec_lo, s46
	s_cbranch_execz .LBB119_263
; %bb.262:                              ;   in Loop: Header=BB119_3 Depth=1
	ds_load_b32 v25, v45 offset:4160
	ds_load_b32 v26, v46
	s_wait_dscnt 0x0
	v_fmac_f32_e32 v24, v25, v26
.LBB119_263:                            ;   in Loop: Header=BB119_3 Depth=1
	s_or_b32 exec_lo, exec_lo, s45
	s_barrier_signal -1
	s_barrier_wait -1
	s_mov_b32 s45, exec_lo
	v_readlane_b32 s46, v93, 5
	s_and_b32 s46, s45, s46
	s_delay_alu instid0(SALU_CYCLE_1)
	s_mov_b32 exec_lo, s46
	s_cbranch_execz .LBB119_265
; %bb.264:                              ;   in Loop: Header=BB119_3 Depth=1
	ds_load_b32 v25, v5 offset:4420
	s_wait_dscnt 0x0
	v_mul_f32_e32 v24, v24, v25
	ds_store_b32 v46, v24
.LBB119_265:                            ;   in Loop: Header=BB119_3 Depth=1
	s_or_b32 exec_lo, exec_lo, s45
	s_wait_dscnt 0x0
	s_barrier_signal -1
	s_barrier_wait -1
	s_mov_b32 s45, exec_lo
	v_readlane_b32 s46, v93, 6
	s_and_b32 s46, s45, s46
	s_delay_alu instid0(SALU_CYCLE_1)
	s_mov_b32 exec_lo, s46
	s_cbranch_execz .LBB119_267
; %bb.266:                              ;   in Loop: Header=BB119_3 Depth=1
	ds_load_b32 v25, v45 offset:4416
	ds_load_b32 v26, v46
	s_wait_dscnt 0x0
	v_fmac_f32_e32 v24, v25, v26
.LBB119_267:                            ;   in Loop: Header=BB119_3 Depth=1
	s_or_b32 exec_lo, exec_lo, s45
	s_barrier_signal -1
	s_barrier_wait -1
	s_and_saveexec_b32 s45, s49
	s_cbranch_execz .LBB119_269
; %bb.268:                              ;   in Loop: Header=BB119_3 Depth=1
	ds_load_b32 v25, v5 offset:4680
	s_wait_dscnt 0x0
	v_mul_f32_e32 v24, v24, v25
	ds_store_b32 v46, v24
.LBB119_269:                            ;   in Loop: Header=BB119_3 Depth=1
	s_or_b32 exec_lo, exec_lo, s45
	s_wait_dscnt 0x0
	s_barrier_signal -1
	s_barrier_wait -1
	s_and_saveexec_b32 s45, s50
	s_cbranch_execz .LBB119_271
; %bb.270:                              ;   in Loop: Header=BB119_3 Depth=1
	ds_load_b32 v25, v45 offset:4672
	ds_load_b32 v26, v46
	s_wait_dscnt 0x0
	v_fmac_f32_e32 v24, v25, v26
.LBB119_271:                            ;   in Loop: Header=BB119_3 Depth=1
	s_or_b32 exec_lo, exec_lo, s45
	s_barrier_signal -1
	s_barrier_wait -1
	s_and_saveexec_b32 s45, s51
	s_cbranch_execz .LBB119_273
; %bb.272:                              ;   in Loop: Header=BB119_3 Depth=1
	ds_load_b32 v25, v5 offset:4940
	s_wait_dscnt 0x0
	v_mul_f32_e32 v24, v24, v25
	ds_store_b32 v46, v24
.LBB119_273:                            ;   in Loop: Header=BB119_3 Depth=1
	s_or_b32 exec_lo, exec_lo, s45
	s_wait_dscnt 0x0
	s_barrier_signal -1
	s_barrier_wait -1
	s_and_saveexec_b32 s45, s52
	;; [unrolled: 23-line block ×13, first 2 shown]
	s_cbranch_execz .LBB119_319
; %bb.318:                              ;   in Loop: Header=BB119_3 Depth=1
	ds_load_b32 v25, v5 offset:7804
	ds_load_b32 v26, v46
	s_wait_dscnt 0x0
	v_fmac_f32_e32 v24, v25, v26
.LBB119_319:                            ;   in Loop: Header=BB119_3 Depth=1
	s_or_b32 exec_lo, exec_lo, s45
	s_barrier_signal -1
	s_barrier_wait -1
	s_and_saveexec_b32 s45, s31
	s_cbranch_execz .LBB119_321
; %bb.320:                              ;   in Loop: Header=BB119_3 Depth=1
	ds_load_b32 v25, v5 offset:8060
	s_wait_dscnt 0x0
	v_mul_f32_e32 v24, v24, v25
	ds_store_b32 v46, v24
.LBB119_321:                            ;   in Loop: Header=BB119_3 Depth=1
	s_or_b32 exec_lo, exec_lo, s45
	s_wait_dscnt 0x0
	s_barrier_signal -1
	s_barrier_wait -1
	s_barrier_signal -1
	s_barrier_wait -1
	s_and_saveexec_b32 s45, s6
; %bb.322:                              ;   in Loop: Header=BB119_3 Depth=1
	v_xor_b32_e32 v24, 0x80000000, v24
	ds_store_b32 v47, v24 offset:64
; %bb.323:                              ;   in Loop: Header=BB119_3 Depth=1
	s_or_b32 exec_lo, exec_lo, s45
	s_wait_dscnt 0x0
	s_barrier_signal -1
	s_barrier_wait -1
	s_barrier_signal -1
	s_barrier_wait -1
	s_and_saveexec_b32 s45, s34
	s_cbranch_execz .LBB119_325
; %bb.324:                              ;   in Loop: Header=BB119_3 Depth=1
	ds_load_b32 v24, v34 offset:64
	s_wait_dscnt 0x0
	ds_store_b32 v38, v24 offset:4096
	ds_load_b32 v24, v34 offset:68
	s_wait_dscnt 0x0
	ds_store_b32 v38, v24 offset:4352
	;; [unrolled: 3-line block ×16, first 2 shown]
.LBB119_325:                            ;   in Loop: Header=BB119_3 Depth=1
	s_or_b32 exec_lo, exec_lo, s45
	s_wait_dscnt 0x0
	s_barrier_signal -1
	s_barrier_wait -1
	s_and_saveexec_b32 s45, s15
	s_cbranch_execz .LBB119_327
; %bb.326:                              ;   in Loop: Header=BB119_3 Depth=1
	ds_load_b64 v[24:25], v5 offset:4160
	ds_load_b32 v26, v5 offset:4420
	s_wait_dscnt 0x0
	v_mul_f32_e32 v24, v24, v26
	s_delay_alu instid0(VALU_DEP_1)
	v_mul_f32_e32 v24, v25, v24
	v_add_nc_u32_e64 v25, 0x1000, 0
	ds_store_2addr_b32 v25, v24, v24 offset0:17 offset1:80
.LBB119_327:                            ;   in Loop: Header=BB119_3 Depth=1
	s_or_b32 exec_lo, exec_lo, s45
	v_mov_b32_e32 v24, 0
	s_wait_dscnt 0x0
	s_barrier_signal -1
	s_barrier_wait -1
	s_and_saveexec_b32 s45, s2
	s_cbranch_execz .LBB119_331
; %bb.328:                              ;   in Loop: Header=BB119_3 Depth=1
	ds_load_b32 v24, v65 offset:4168
	ds_load_b32 v25, v29 offset:4160
	s_wait_dscnt 0x0
	v_fma_f32 v24, v24, v25, 0
	s_and_saveexec_b32 s46, s16
	s_cbranch_execz .LBB119_330
; %bb.329:                              ;   in Loop: Header=BB119_3 Depth=1
	ds_load_b32 v25, v30 offset:4424
	ds_load_b32 v26, v5 offset:4164
	s_wait_dscnt 0x0
	v_fmac_f32_e32 v24, v25, v26
.LBB119_330:                            ;   in Loop: Header=BB119_3 Depth=1
	s_or_b32 exec_lo, exec_lo, s46
	s_delay_alu instid0(VALU_DEP_1)
	v_xor_b32_e32 v24, 0x80000000, v24
.LBB119_331:                            ;   in Loop: Header=BB119_3 Depth=1
	s_or_b32 exec_lo, exec_lo, s45
	s_and_saveexec_b32 s45, s90
	s_cbranch_execz .LBB119_333
; %bb.332:                              ;   in Loop: Header=BB119_3 Depth=1
	ds_load_b32 v25, v5 offset:4680
	s_wait_dscnt 0x0
	v_mul_f32_e32 v24, v24, v25
	ds_store_b32 v3, v24
.LBB119_333:                            ;   in Loop: Header=BB119_3 Depth=1
	s_or_b32 exec_lo, exec_lo, s45
	s_wait_dscnt 0x0
	s_barrier_signal -1
	s_barrier_wait -1
	s_and_saveexec_b32 s45, s91
	s_cbranch_execz .LBB119_335
; %bb.334:                              ;   in Loop: Header=BB119_3 Depth=1
	ds_load_b32 v25, v5 offset:4684
	ds_load_b32 v26, v3
	s_wait_dscnt 0x0
	v_fmac_f32_e32 v24, v25, v26
.LBB119_335:                            ;   in Loop: Header=BB119_3 Depth=1
	s_or_b32 exec_lo, exec_lo, s45
	s_barrier_signal -1
	s_barrier_wait -1
	s_and_saveexec_b32 s45, s91
	s_cbranch_execz .LBB119_337
; %bb.336:                              ;   in Loop: Header=BB119_3 Depth=1
	ds_load_b32 v25, v5 offset:4940
	s_wait_dscnt 0x0
	v_mul_f32_e32 v24, v24, v25
	ds_store_b32 v3, v24
.LBB119_337:                            ;   in Loop: Header=BB119_3 Depth=1
	s_or_b32 exec_lo, exec_lo, s45
	s_wait_dscnt 0x0
	s_barrier_signal -1
	s_barrier_wait -1
	s_barrier_signal -1
	s_barrier_wait -1
	s_and_saveexec_b32 s45, s2
; %bb.338:                              ;   in Loop: Header=BB119_3 Depth=1
	v_xor_b32_e32 v24, 0x80000000, v24
	ds_store_b32 v65, v24 offset:4168
; %bb.339:                              ;   in Loop: Header=BB119_3 Depth=1
	s_or_b32 exec_lo, exec_lo, s45
	s_wait_dscnt 0x0
	s_barrier_signal -1
	s_barrier_wait -1
	s_barrier_signal -1
	s_barrier_wait -1
	s_and_saveexec_b32 s45, s92
	s_cbranch_execz .LBB119_341
; %bb.340:                              ;   in Loop: Header=BB119_3 Depth=1
	ds_load_b32 v24, v34 offset:4168
	s_wait_dscnt 0x0
	ds_store_b32 v30, v24 offset:4672
	ds_load_b32 v24, v34 offset:4172
	s_wait_dscnt 0x0
	ds_store_b32 v30, v24 offset:4928
.LBB119_341:                            ;   in Loop: Header=BB119_3 Depth=1
	s_or_b32 exec_lo, exec_lo, s45
	s_wait_dscnt 0x0
	s_barrier_signal -1
	s_barrier_wait -1
	s_and_saveexec_b32 s45, s15
	s_cbranch_execz .LBB119_343
; %bb.342:                              ;   in Loop: Header=BB119_3 Depth=1
	ds_load_b64 v[24:25], v5 offset:4680
	ds_load_b32 v26, v5 offset:4940
	s_wait_dscnt 0x0
	v_mul_f32_e32 v24, v24, v26
	s_delay_alu instid0(VALU_DEP_1)
	v_mul_f32_e32 v24, v25, v24
	v_add_nc_u32_e64 v25, 0x1000, 0
	ds_store_2addr_b32 v25, v24, v24 offset0:147 offset1:210
.LBB119_343:                            ;   in Loop: Header=BB119_3 Depth=1
	s_or_b32 exec_lo, exec_lo, s45
	v_mov_b32_e32 v24, 0
	s_wait_dscnt 0x0
	s_barrier_signal -1
	s_barrier_wait -1
	s_and_saveexec_b32 s82, s4
	s_cbranch_execz .LBB119_349
; %bb.344:                              ;   in Loop: Header=BB119_3 Depth=1
	ds_load_b32 v24, v36 offset:4176
	ds_load_b32 v25, v31 offset:4160
	s_wait_dscnt 0x0
	v_fma_f32 v24, v24, v25, 0
	s_and_saveexec_b32 s45, s17
	s_cbranch_execnz .LBB119_1221
; %bb.345:                              ;   in Loop: Header=BB119_3 Depth=1
	s_or_b32 exec_lo, exec_lo, s45
	s_and_saveexec_b32 s45, s18
	s_cbranch_execnz .LBB119_1222
.LBB119_346:                            ;   in Loop: Header=BB119_3 Depth=1
	s_or_b32 exec_lo, exec_lo, s45
	s_and_saveexec_b32 s45, s2
	s_cbranch_execz .LBB119_348
.LBB119_347:                            ;   in Loop: Header=BB119_3 Depth=1
	ds_load_b32 v25, v38 offset:4944
	ds_load_b32 v26, v5 offset:4172
	s_wait_dscnt 0x0
	v_fmac_f32_e32 v24, v25, v26
.LBB119_348:                            ;   in Loop: Header=BB119_3 Depth=1
	s_or_b32 exec_lo, exec_lo, s45
	s_delay_alu instid0(VALU_DEP_1)
	v_xor_b32_e32 v24, 0x80000000, v24
.LBB119_349:                            ;   in Loop: Header=BB119_3 Depth=1
	s_or_b32 exec_lo, exec_lo, s82
	s_and_saveexec_b32 s45, s93
	s_cbranch_execz .LBB119_351
; %bb.350:                              ;   in Loop: Header=BB119_3 Depth=1
	ds_load_b32 v25, v5 offset:5200
	s_wait_dscnt 0x0
	v_mul_f32_e32 v24, v24, v25
	ds_store_b32 v35, v24
.LBB119_351:                            ;   in Loop: Header=BB119_3 Depth=1
	s_or_b32 exec_lo, exec_lo, s45
	s_wait_dscnt 0x0
	s_barrier_signal -1
	s_barrier_wait -1
	s_and_saveexec_b32 s45, s94
	s_cbranch_execz .LBB119_353
; %bb.352:                              ;   in Loop: Header=BB119_3 Depth=1
	ds_load_b32 v25, v33 offset:5200
	ds_load_b32 v26, v35
	s_wait_dscnt 0x0
	v_fmac_f32_e32 v24, v25, v26
.LBB119_353:                            ;   in Loop: Header=BB119_3 Depth=1
	s_or_b32 exec_lo, exec_lo, s45
	s_barrier_signal -1
	s_barrier_wait -1
	s_and_saveexec_b32 s45, s95
	s_cbranch_execz .LBB119_355
; %bb.354:                              ;   in Loop: Header=BB119_3 Depth=1
	ds_load_b32 v25, v5 offset:5460
	s_wait_dscnt 0x0
	v_mul_f32_e32 v24, v24, v25
	ds_store_b32 v35, v24
.LBB119_355:                            ;   in Loop: Header=BB119_3 Depth=1
	s_or_b32 exec_lo, exec_lo, s45
	s_wait_dscnt 0x0
	s_barrier_signal -1
	s_barrier_wait -1
	s_and_saveexec_b32 s45, s96
	s_cbranch_execz .LBB119_357
; %bb.356:                              ;   in Loop: Header=BB119_3 Depth=1
	ds_load_b32 v25, v33 offset:5456
	ds_load_b32 v26, v35
	s_wait_dscnt 0x0
	v_fmac_f32_e32 v24, v25, v26
.LBB119_357:                            ;   in Loop: Header=BB119_3 Depth=1
	s_or_b32 exec_lo, exec_lo, s45
	s_barrier_signal -1
	s_barrier_wait -1
	;; [unrolled: 23-line block ×3, first 2 shown]
	s_and_saveexec_b32 s45, s98
	s_cbranch_execz .LBB119_363
; %bb.362:                              ;   in Loop: Header=BB119_3 Depth=1
	ds_load_b32 v25, v5 offset:5980
	s_wait_dscnt 0x0
	v_mul_f32_e32 v24, v24, v25
	ds_store_b32 v35, v24
.LBB119_363:                            ;   in Loop: Header=BB119_3 Depth=1
	s_or_b32 exec_lo, exec_lo, s45
	s_wait_dscnt 0x0
	s_barrier_signal -1
	s_barrier_wait -1
	s_barrier_signal -1
	s_barrier_wait -1
	s_and_saveexec_b32 s45, s4
; %bb.364:                              ;   in Loop: Header=BB119_3 Depth=1
	v_xor_b32_e32 v24, 0x80000000, v24
	ds_store_b32 v36, v24 offset:4176
; %bb.365:                              ;   in Loop: Header=BB119_3 Depth=1
	s_or_b32 exec_lo, exec_lo, s45
	s_wait_dscnt 0x0
	s_barrier_signal -1
	s_barrier_wait -1
	s_barrier_signal -1
	s_barrier_wait -1
	s_and_saveexec_b32 s45, s99
	s_cbranch_execz .LBB119_367
; %bb.366:                              ;   in Loop: Header=BB119_3 Depth=1
	ds_load_b32 v24, v51 offset:4176
	s_wait_dscnt 0x0
	ds_store_b32 v52, v24 offset:5184
	ds_load_b32 v24, v51 offset:4180
	s_wait_dscnt 0x0
	ds_store_b32 v52, v24 offset:5440
	ds_load_b32 v24, v51 offset:4184
	s_wait_dscnt 0x0
	ds_store_b32 v52, v24 offset:5696
	ds_load_b32 v24, v51 offset:4188
	s_wait_dscnt 0x0
	ds_store_b32 v52, v24 offset:5952
.LBB119_367:                            ;   in Loop: Header=BB119_3 Depth=1
	s_or_b32 exec_lo, exec_lo, s45
	s_wait_dscnt 0x0
	s_barrier_signal -1
	s_barrier_wait -1
	s_and_saveexec_b32 s45, s15
	s_cbranch_execz .LBB119_369
; %bb.368:                              ;   in Loop: Header=BB119_3 Depth=1
	ds_load_b64 v[24:25], v5 offset:5200
	ds_load_b32 v26, v5 offset:5460
	s_wait_dscnt 0x0
	v_mul_f32_e32 v24, v24, v26
	s_delay_alu instid0(VALU_DEP_1)
	v_mul_f32_e32 v24, v25, v24
	v_add_nc_u32_e64 v25, 0x1400, 0
	ds_store_2addr_b32 v25, v24, v24 offset0:21 offset1:84
.LBB119_369:                            ;   in Loop: Header=BB119_3 Depth=1
	s_or_b32 exec_lo, exec_lo, s45
	v_mov_b32_e32 v24, 0
	s_wait_dscnt 0x0
	s_barrier_signal -1
	s_barrier_wait -1
	s_and_saveexec_b32 s45, s2
	s_cbranch_execz .LBB119_373
; %bb.370:                              ;   in Loop: Header=BB119_3 Depth=1
	ds_load_b32 v24, v65 offset:5208
	ds_load_b32 v25, v29 offset:5200
	s_wait_dscnt 0x0
	v_fma_f32 v24, v24, v25, 0
	s_and_saveexec_b32 s46, s16
	s_cbranch_execz .LBB119_372
; %bb.371:                              ;   in Loop: Header=BB119_3 Depth=1
	ds_load_b32 v25, v52 offset:5464
	ds_load_b32 v26, v5 offset:5204
	s_wait_dscnt 0x0
	v_fmac_f32_e32 v24, v25, v26
.LBB119_372:                            ;   in Loop: Header=BB119_3 Depth=1
	s_or_b32 exec_lo, exec_lo, s46
	s_delay_alu instid0(VALU_DEP_1)
	v_xor_b32_e32 v24, 0x80000000, v24
.LBB119_373:                            ;   in Loop: Header=BB119_3 Depth=1
	s_or_b32 exec_lo, exec_lo, s45
	s_and_saveexec_b32 s45, s90
	s_cbranch_execz .LBB119_375
; %bb.374:                              ;   in Loop: Header=BB119_3 Depth=1
	ds_load_b32 v25, v5 offset:5720
	s_wait_dscnt 0x0
	v_mul_f32_e32 v24, v24, v25
	ds_store_b32 v3, v24
.LBB119_375:                            ;   in Loop: Header=BB119_3 Depth=1
	s_or_b32 exec_lo, exec_lo, s45
	s_wait_dscnt 0x0
	s_barrier_signal -1
	s_barrier_wait -1
	s_and_saveexec_b32 s45, s91
	s_cbranch_execz .LBB119_377
; %bb.376:                              ;   in Loop: Header=BB119_3 Depth=1
	ds_load_b32 v25, v5 offset:5724
	ds_load_b32 v26, v3
	s_wait_dscnt 0x0
	v_fmac_f32_e32 v24, v25, v26
.LBB119_377:                            ;   in Loop: Header=BB119_3 Depth=1
	s_or_b32 exec_lo, exec_lo, s45
	s_barrier_signal -1
	s_barrier_wait -1
	s_and_saveexec_b32 s45, s91
	s_cbranch_execz .LBB119_379
; %bb.378:                              ;   in Loop: Header=BB119_3 Depth=1
	ds_load_b32 v25, v5 offset:5980
	s_wait_dscnt 0x0
	v_mul_f32_e32 v24, v24, v25
	ds_store_b32 v3, v24
.LBB119_379:                            ;   in Loop: Header=BB119_3 Depth=1
	s_or_b32 exec_lo, exec_lo, s45
	s_wait_dscnt 0x0
	s_barrier_signal -1
	s_barrier_wait -1
	s_barrier_signal -1
	s_barrier_wait -1
	s_and_saveexec_b32 s45, s2
; %bb.380:                              ;   in Loop: Header=BB119_3 Depth=1
	v_xor_b32_e32 v24, 0x80000000, v24
	ds_store_b32 v65, v24 offset:5208
; %bb.381:                              ;   in Loop: Header=BB119_3 Depth=1
	s_or_b32 exec_lo, exec_lo, s45
	s_wait_dscnt 0x0
	s_barrier_signal -1
	s_barrier_wait -1
	s_barrier_signal -1
	s_barrier_wait -1
	s_and_saveexec_b32 s45, s92
	s_cbranch_execz .LBB119_383
; %bb.382:                              ;   in Loop: Header=BB119_3 Depth=1
	ds_load_b32 v24, v53 offset:5208
	s_wait_dscnt 0x0
	ds_store_b32 v52, v24 offset:5712
	ds_load_b32 v24, v53 offset:5212
	s_wait_dscnt 0x0
	ds_store_b32 v52, v24 offset:5968
.LBB119_383:                            ;   in Loop: Header=BB119_3 Depth=1
	s_or_b32 exec_lo, exec_lo, s45
	s_wait_dscnt 0x0
	s_barrier_signal -1
	s_barrier_wait -1
	s_and_saveexec_b32 s45, s15
	s_cbranch_execz .LBB119_385
; %bb.384:                              ;   in Loop: Header=BB119_3 Depth=1
	ds_load_b64 v[24:25], v5 offset:5720
	ds_load_b32 v26, v5 offset:5980
	s_wait_dscnt 0x0
	v_mul_f32_e32 v24, v24, v26
	s_delay_alu instid0(VALU_DEP_1)
	v_mul_f32_e32 v24, v25, v24
	v_add_nc_u32_e64 v25, 0x1400, 0
	ds_store_2addr_b32 v25, v24, v24 offset0:151 offset1:214
.LBB119_385:                            ;   in Loop: Header=BB119_3 Depth=1
	s_or_b32 exec_lo, exec_lo, s45
	v_mov_b32_e32 v24, 0
	s_wait_dscnt 0x0
	s_barrier_signal -1
	s_barrier_wait -1
	s_and_saveexec_b32 s82, s5
	s_cbranch_execz .LBB119_395
; %bb.386:                              ;   in Loop: Header=BB119_3 Depth=1
	ds_load_b32 v24, v42 offset:4192
	ds_load_b32 v25, v39 offset:4160
	s_wait_dscnt 0x0
	v_fma_f32 v24, v24, v25, 0
	s_and_saveexec_b32 s45, s19
	s_cbranch_execnz .LBB119_1223
; %bb.387:                              ;   in Loop: Header=BB119_3 Depth=1
	s_or_b32 exec_lo, exec_lo, s45
	s_and_saveexec_b32 s45, s20
	s_cbranch_execnz .LBB119_1224
.LBB119_388:                            ;   in Loop: Header=BB119_3 Depth=1
	s_or_b32 exec_lo, exec_lo, s45
	s_and_saveexec_b32 s45, s21
	s_cbranch_execnz .LBB119_1225
.LBB119_389:                            ;   in Loop: Header=BB119_3 Depth=1
	s_or_b32 exec_lo, exec_lo, s45
	s_and_saveexec_b32 s45, s22
	s_cbranch_execnz .LBB119_1226
.LBB119_390:                            ;   in Loop: Header=BB119_3 Depth=1
	s_or_b32 exec_lo, exec_lo, s45
	s_and_saveexec_b32 s45, s23
	s_cbranch_execnz .LBB119_1227
.LBB119_391:                            ;   in Loop: Header=BB119_3 Depth=1
	s_or_b32 exec_lo, exec_lo, s45
	s_and_saveexec_b32 s45, s4
	s_cbranch_execnz .LBB119_1228
.LBB119_392:                            ;   in Loop: Header=BB119_3 Depth=1
	s_or_b32 exec_lo, exec_lo, s45
	s_and_saveexec_b32 s45, s18
	s_cbranch_execz .LBB119_394
.LBB119_393:                            ;   in Loop: Header=BB119_3 Depth=1
	ds_load_b32 v25, v54 offset:5984
	ds_load_b32 v26, v5 offset:4188
	s_wait_dscnt 0x0
	v_fmac_f32_e32 v24, v25, v26
.LBB119_394:                            ;   in Loop: Header=BB119_3 Depth=1
	s_or_b32 exec_lo, exec_lo, s45
	s_delay_alu instid0(VALU_DEP_1)
	v_xor_b32_e32 v24, 0x80000000, v24
.LBB119_395:                            ;   in Loop: Header=BB119_3 Depth=1
	s_or_b32 exec_lo, exec_lo, s82
	s_and_saveexec_b32 s45, s100
	s_cbranch_execz .LBB119_397
; %bb.396:                              ;   in Loop: Header=BB119_3 Depth=1
	ds_load_b32 v25, v5 offset:6240
	s_wait_dscnt 0x0
	v_mul_f32_e32 v24, v24, v25
	ds_store_b32 v41, v24
.LBB119_397:                            ;   in Loop: Header=BB119_3 Depth=1
	s_or_b32 exec_lo, exec_lo, s45
	s_wait_dscnt 0x0
	s_barrier_signal -1
	s_barrier_wait -1
	s_and_saveexec_b32 s45, s101
	s_cbranch_execz .LBB119_399
; %bb.398:                              ;   in Loop: Header=BB119_3 Depth=1
	ds_load_b32 v25, v40 offset:6240
	ds_load_b32 v26, v41
	s_wait_dscnt 0x0
	v_fmac_f32_e32 v24, v25, v26
.LBB119_399:                            ;   in Loop: Header=BB119_3 Depth=1
	s_or_b32 exec_lo, exec_lo, s45
	s_barrier_signal -1
	s_barrier_wait -1
	s_and_saveexec_b32 s45, s102
	s_cbranch_execz .LBB119_401
; %bb.400:                              ;   in Loop: Header=BB119_3 Depth=1
	ds_load_b32 v25, v5 offset:6500
	s_wait_dscnt 0x0
	v_mul_f32_e32 v24, v24, v25
	ds_store_b32 v41, v24
.LBB119_401:                            ;   in Loop: Header=BB119_3 Depth=1
	s_or_b32 exec_lo, exec_lo, s45
	s_wait_dscnt 0x0
	s_barrier_signal -1
	s_barrier_wait -1
	s_and_saveexec_b32 s45, s103
	s_cbranch_execz .LBB119_403
; %bb.402:                              ;   in Loop: Header=BB119_3 Depth=1
	ds_load_b32 v25, v40 offset:6496
	ds_load_b32 v26, v41
	s_wait_dscnt 0x0
	v_fmac_f32_e32 v24, v25, v26
.LBB119_403:                            ;   in Loop: Header=BB119_3 Depth=1
	s_or_b32 exec_lo, exec_lo, s45
	s_barrier_signal -1
	s_barrier_wait -1
	s_and_saveexec_b32 s45, s104
	s_cbranch_execz .LBB119_405
; %bb.404:                              ;   in Loop: Header=BB119_3 Depth=1
	ds_load_b32 v25, v5 offset:6760
	s_wait_dscnt 0x0
	v_mul_f32_e32 v24, v24, v25
	ds_store_b32 v41, v24
.LBB119_405:                            ;   in Loop: Header=BB119_3 Depth=1
	s_or_b32 exec_lo, exec_lo, s45
	s_wait_dscnt 0x0
	s_barrier_signal -1
	s_barrier_wait -1
	s_and_saveexec_b32 s45, vcc_hi
	s_cbranch_execz .LBB119_407
; %bb.406:                              ;   in Loop: Header=BB119_3 Depth=1
	ds_load_b32 v25, v40 offset:6752
	ds_load_b32 v26, v41
	s_wait_dscnt 0x0
	v_fmac_f32_e32 v24, v25, v26
.LBB119_407:                            ;   in Loop: Header=BB119_3 Depth=1
	s_or_b32 exec_lo, exec_lo, s45
	s_barrier_signal -1
	s_barrier_wait -1
	s_and_saveexec_b32 s45, s36
	s_cbranch_execz .LBB119_409
; %bb.408:                              ;   in Loop: Header=BB119_3 Depth=1
	ds_load_b32 v25, v5 offset:7020
	s_wait_dscnt 0x0
	v_mul_f32_e32 v24, v24, v25
	ds_store_b32 v41, v24
.LBB119_409:                            ;   in Loop: Header=BB119_3 Depth=1
	s_or_b32 exec_lo, exec_lo, s45
	s_wait_dscnt 0x0
	s_barrier_signal -1
	s_barrier_wait -1
	s_and_saveexec_b32 s45, s37
	s_cbranch_execz .LBB119_411
; %bb.410:                              ;   in Loop: Header=BB119_3 Depth=1
	ds_load_b32 v25, v40 offset:7008
	ds_load_b32 v26, v41
	s_wait_dscnt 0x0
	v_fmac_f32_e32 v24, v25, v26
.LBB119_411:                            ;   in Loop: Header=BB119_3 Depth=1
	s_or_b32 exec_lo, exec_lo, s45
	s_barrier_signal -1
	s_barrier_wait -1
	s_and_saveexec_b32 s45, s38
	s_cbranch_execz .LBB119_413
; %bb.412:                              ;   in Loop: Header=BB119_3 Depth=1
	ds_load_b32 v25, v5 offset:7280
	s_wait_dscnt 0x0
	v_mul_f32_e32 v24, v24, v25
	ds_store_b32 v41, v24
.LBB119_413:                            ;   in Loop: Header=BB119_3 Depth=1
	s_or_b32 exec_lo, exec_lo, s45
	s_wait_dscnt 0x0
	s_barrier_signal -1
	s_barrier_wait -1
	s_and_saveexec_b32 s45, s39
	;; [unrolled: 23-line block ×4, first 2 shown]
	s_cbranch_execz .LBB119_423
; %bb.422:                              ;   in Loop: Header=BB119_3 Depth=1
	ds_load_b32 v25, v5 offset:7804
	ds_load_b32 v26, v41
	s_wait_dscnt 0x0
	v_fmac_f32_e32 v24, v25, v26
.LBB119_423:                            ;   in Loop: Header=BB119_3 Depth=1
	s_or_b32 exec_lo, exec_lo, s45
	s_barrier_signal -1
	s_barrier_wait -1
	s_and_saveexec_b32 s45, s43
	s_cbranch_execz .LBB119_425
; %bb.424:                              ;   in Loop: Header=BB119_3 Depth=1
	ds_load_b32 v25, v5 offset:8060
	s_wait_dscnt 0x0
	v_mul_f32_e32 v24, v24, v25
	ds_store_b32 v41, v24
.LBB119_425:                            ;   in Loop: Header=BB119_3 Depth=1
	s_or_b32 exec_lo, exec_lo, s45
	s_wait_dscnt 0x0
	s_barrier_signal -1
	s_barrier_wait -1
	s_barrier_signal -1
	s_barrier_wait -1
	s_and_saveexec_b32 s45, s5
; %bb.426:                              ;   in Loop: Header=BB119_3 Depth=1
	v_xor_b32_e32 v24, 0x80000000, v24
	ds_store_b32 v42, v24 offset:4192
; %bb.427:                              ;   in Loop: Header=BB119_3 Depth=1
	s_or_b32 exec_lo, exec_lo, s45
	s_wait_dscnt 0x0
	s_barrier_signal -1
	s_barrier_wait -1
	s_barrier_signal -1
	s_barrier_wait -1
	s_and_saveexec_b32 s45, s44
	s_cbranch_execz .LBB119_429
; %bb.428:                              ;   in Loop: Header=BB119_3 Depth=1
	ds_load_b32 v24, v55 offset:4192
	s_wait_dscnt 0x0
	ds_store_b32 v56, v24 offset:6208
	ds_load_b32 v24, v55 offset:4196
	s_wait_dscnt 0x0
	ds_store_b32 v56, v24 offset:6464
	;; [unrolled: 3-line block ×8, first 2 shown]
.LBB119_429:                            ;   in Loop: Header=BB119_3 Depth=1
	s_or_b32 exec_lo, exec_lo, s45
	s_wait_dscnt 0x0
	s_barrier_signal -1
	s_barrier_wait -1
	s_and_saveexec_b32 s45, s15
	s_cbranch_execz .LBB119_431
; %bb.430:                              ;   in Loop: Header=BB119_3 Depth=1
	ds_load_b64 v[24:25], v5 offset:6240
	ds_load_b32 v26, v5 offset:6500
	s_wait_dscnt 0x0
	v_mul_f32_e32 v24, v24, v26
	s_delay_alu instid0(VALU_DEP_1)
	v_mul_f32_e32 v24, v25, v24
	v_add_nc_u32_e64 v25, 0x1800, 0
	ds_store_2addr_b32 v25, v24, v24 offset0:25 offset1:88
.LBB119_431:                            ;   in Loop: Header=BB119_3 Depth=1
	s_or_b32 exec_lo, exec_lo, s45
	v_mov_b32_e32 v24, 0
	s_wait_dscnt 0x0
	s_barrier_signal -1
	s_barrier_wait -1
	s_and_saveexec_b32 s45, s2
	s_cbranch_execz .LBB119_435
; %bb.432:                              ;   in Loop: Header=BB119_3 Depth=1
	ds_load_b32 v24, v65 offset:6248
	ds_load_b32 v25, v29 offset:6240
	s_wait_dscnt 0x0
	v_fma_f32 v24, v24, v25, 0
	s_and_saveexec_b32 s46, s16
	s_cbranch_execz .LBB119_434
; %bb.433:                              ;   in Loop: Header=BB119_3 Depth=1
	ds_load_b32 v25, v56 offset:6504
	ds_load_b32 v26, v5 offset:6244
	s_wait_dscnt 0x0
	v_fmac_f32_e32 v24, v25, v26
.LBB119_434:                            ;   in Loop: Header=BB119_3 Depth=1
	s_or_b32 exec_lo, exec_lo, s46
	s_delay_alu instid0(VALU_DEP_1)
	v_xor_b32_e32 v24, 0x80000000, v24
.LBB119_435:                            ;   in Loop: Header=BB119_3 Depth=1
	s_or_b32 exec_lo, exec_lo, s45
	s_and_saveexec_b32 s45, s90
	s_cbranch_execz .LBB119_437
; %bb.436:                              ;   in Loop: Header=BB119_3 Depth=1
	ds_load_b32 v25, v5 offset:6760
	s_wait_dscnt 0x0
	v_mul_f32_e32 v24, v24, v25
	ds_store_b32 v3, v24
.LBB119_437:                            ;   in Loop: Header=BB119_3 Depth=1
	s_or_b32 exec_lo, exec_lo, s45
	s_wait_dscnt 0x0
	s_barrier_signal -1
	s_barrier_wait -1
	s_and_saveexec_b32 s45, s91
	s_cbranch_execz .LBB119_439
; %bb.438:                              ;   in Loop: Header=BB119_3 Depth=1
	ds_load_b32 v25, v5 offset:6764
	ds_load_b32 v26, v3
	s_wait_dscnt 0x0
	v_fmac_f32_e32 v24, v25, v26
.LBB119_439:                            ;   in Loop: Header=BB119_3 Depth=1
	s_or_b32 exec_lo, exec_lo, s45
	s_barrier_signal -1
	s_barrier_wait -1
	s_and_saveexec_b32 s45, s91
	s_cbranch_execz .LBB119_441
; %bb.440:                              ;   in Loop: Header=BB119_3 Depth=1
	ds_load_b32 v25, v5 offset:7020
	s_wait_dscnt 0x0
	v_mul_f32_e32 v24, v24, v25
	ds_store_b32 v3, v24
.LBB119_441:                            ;   in Loop: Header=BB119_3 Depth=1
	s_or_b32 exec_lo, exec_lo, s45
	s_wait_dscnt 0x0
	s_barrier_signal -1
	s_barrier_wait -1
	s_barrier_signal -1
	s_barrier_wait -1
	s_and_saveexec_b32 s45, s2
; %bb.442:                              ;   in Loop: Header=BB119_3 Depth=1
	v_xor_b32_e32 v24, 0x80000000, v24
	ds_store_b32 v65, v24 offset:6248
; %bb.443:                              ;   in Loop: Header=BB119_3 Depth=1
	s_or_b32 exec_lo, exec_lo, s45
	s_wait_dscnt 0x0
	s_barrier_signal -1
	s_barrier_wait -1
	s_barrier_signal -1
	s_barrier_wait -1
	s_and_saveexec_b32 s45, s92
	s_cbranch_execz .LBB119_445
; %bb.444:                              ;   in Loop: Header=BB119_3 Depth=1
	ds_load_b32 v24, v57 offset:6248
	s_wait_dscnt 0x0
	ds_store_b32 v56, v24 offset:6752
	ds_load_b32 v24, v57 offset:6252
	s_wait_dscnt 0x0
	ds_store_b32 v56, v24 offset:7008
.LBB119_445:                            ;   in Loop: Header=BB119_3 Depth=1
	s_or_b32 exec_lo, exec_lo, s45
	s_wait_dscnt 0x0
	s_barrier_signal -1
	s_barrier_wait -1
	s_and_saveexec_b32 s45, s15
	s_cbranch_execz .LBB119_447
; %bb.446:                              ;   in Loop: Header=BB119_3 Depth=1
	ds_load_b64 v[24:25], v5 offset:6760
	ds_load_b32 v26, v5 offset:7020
	s_wait_dscnt 0x0
	v_mul_f32_e32 v24, v24, v26
	s_delay_alu instid0(VALU_DEP_1)
	v_mul_f32_e32 v24, v25, v24
	v_add_nc_u32_e64 v25, 0x1800, 0
	ds_store_2addr_b32 v25, v24, v24 offset0:155 offset1:218
.LBB119_447:                            ;   in Loop: Header=BB119_3 Depth=1
	s_or_b32 exec_lo, exec_lo, s45
	v_mov_b32_e32 v24, 0
	s_wait_dscnt 0x0
	s_barrier_signal -1
	s_barrier_wait -1
	s_and_saveexec_b32 s82, s4
	s_cbranch_execz .LBB119_453
; %bb.448:                              ;   in Loop: Header=BB119_3 Depth=1
	ds_load_b32 v24, v36 offset:6256
	ds_load_b32 v25, v31 offset:6240
	s_wait_dscnt 0x0
	v_fma_f32 v24, v24, v25, 0
	s_and_saveexec_b32 s45, s17
	s_cbranch_execnz .LBB119_1229
; %bb.449:                              ;   in Loop: Header=BB119_3 Depth=1
	s_or_b32 exec_lo, exec_lo, s45
	s_and_saveexec_b32 s45, s18
	s_cbranch_execnz .LBB119_1230
.LBB119_450:                            ;   in Loop: Header=BB119_3 Depth=1
	s_or_b32 exec_lo, exec_lo, s45
	s_and_saveexec_b32 s45, s2
	s_cbranch_execz .LBB119_452
.LBB119_451:                            ;   in Loop: Header=BB119_3 Depth=1
	ds_load_b32 v25, v58 offset:7024
	ds_load_b32 v26, v5 offset:6252
	s_wait_dscnt 0x0
	v_fmac_f32_e32 v24, v25, v26
.LBB119_452:                            ;   in Loop: Header=BB119_3 Depth=1
	s_or_b32 exec_lo, exec_lo, s45
	s_delay_alu instid0(VALU_DEP_1)
	v_xor_b32_e32 v24, 0x80000000, v24
.LBB119_453:                            ;   in Loop: Header=BB119_3 Depth=1
	s_or_b32 exec_lo, exec_lo, s82
	s_and_saveexec_b32 s45, s93
	s_cbranch_execz .LBB119_455
; %bb.454:                              ;   in Loop: Header=BB119_3 Depth=1
	ds_load_b32 v25, v5 offset:7280
	s_wait_dscnt 0x0
	v_mul_f32_e32 v24, v24, v25
	ds_store_b32 v35, v24
.LBB119_455:                            ;   in Loop: Header=BB119_3 Depth=1
	s_or_b32 exec_lo, exec_lo, s45
	s_wait_dscnt 0x0
	s_barrier_signal -1
	s_barrier_wait -1
	s_and_saveexec_b32 s45, s94
	s_cbranch_execz .LBB119_457
; %bb.456:                              ;   in Loop: Header=BB119_3 Depth=1
	ds_load_b32 v25, v33 offset:7280
	ds_load_b32 v26, v35
	s_wait_dscnt 0x0
	v_fmac_f32_e32 v24, v25, v26
.LBB119_457:                            ;   in Loop: Header=BB119_3 Depth=1
	s_or_b32 exec_lo, exec_lo, s45
	s_barrier_signal -1
	s_barrier_wait -1
	s_and_saveexec_b32 s45, s95
	s_cbranch_execz .LBB119_459
; %bb.458:                              ;   in Loop: Header=BB119_3 Depth=1
	ds_load_b32 v25, v5 offset:7540
	s_wait_dscnt 0x0
	v_mul_f32_e32 v24, v24, v25
	ds_store_b32 v35, v24
.LBB119_459:                            ;   in Loop: Header=BB119_3 Depth=1
	s_or_b32 exec_lo, exec_lo, s45
	s_wait_dscnt 0x0
	s_barrier_signal -1
	s_barrier_wait -1
	s_and_saveexec_b32 s45, s96
	s_cbranch_execz .LBB119_461
; %bb.460:                              ;   in Loop: Header=BB119_3 Depth=1
	ds_load_b32 v25, v33 offset:7536
	ds_load_b32 v26, v35
	s_wait_dscnt 0x0
	v_fmac_f32_e32 v24, v25, v26
.LBB119_461:                            ;   in Loop: Header=BB119_3 Depth=1
	s_or_b32 exec_lo, exec_lo, s45
	s_barrier_signal -1
	s_barrier_wait -1
	;; [unrolled: 23-line block ×3, first 2 shown]
	s_and_saveexec_b32 s45, s98
	s_cbranch_execz .LBB119_467
; %bb.466:                              ;   in Loop: Header=BB119_3 Depth=1
	ds_load_b32 v25, v5 offset:8060
	s_wait_dscnt 0x0
	v_mul_f32_e32 v24, v24, v25
	ds_store_b32 v35, v24
.LBB119_467:                            ;   in Loop: Header=BB119_3 Depth=1
	s_or_b32 exec_lo, exec_lo, s45
	s_wait_dscnt 0x0
	s_barrier_signal -1
	s_barrier_wait -1
	s_barrier_signal -1
	s_barrier_wait -1
	s_and_saveexec_b32 s45, s4
; %bb.468:                              ;   in Loop: Header=BB119_3 Depth=1
	v_xor_b32_e32 v24, 0x80000000, v24
	ds_store_b32 v36, v24 offset:6256
; %bb.469:                              ;   in Loop: Header=BB119_3 Depth=1
	s_or_b32 exec_lo, exec_lo, s45
	s_wait_dscnt 0x0
	s_barrier_signal -1
	s_barrier_wait -1
	s_barrier_signal -1
	s_barrier_wait -1
	s_and_saveexec_b32 s45, s99
	s_cbranch_execz .LBB119_471
; %bb.470:                              ;   in Loop: Header=BB119_3 Depth=1
	ds_load_b32 v24, v59 offset:6256
	s_wait_dscnt 0x0
	ds_store_b32 v60, v24 offset:7264
	ds_load_b32 v24, v59 offset:6260
	s_wait_dscnt 0x0
	ds_store_b32 v60, v24 offset:7520
	ds_load_b32 v24, v59 offset:6264
	s_wait_dscnt 0x0
	ds_store_b32 v60, v24 offset:7776
	ds_load_b32 v24, v59 offset:6268
	s_wait_dscnt 0x0
	ds_store_b32 v60, v24 offset:8032
.LBB119_471:                            ;   in Loop: Header=BB119_3 Depth=1
	s_or_b32 exec_lo, exec_lo, s45
	s_wait_dscnt 0x0
	s_barrier_signal -1
	s_barrier_wait -1
	s_and_saveexec_b32 s45, s15
	s_cbranch_execz .LBB119_473
; %bb.472:                              ;   in Loop: Header=BB119_3 Depth=1
	ds_load_b64 v[24:25], v5 offset:7280
	ds_load_b32 v26, v5 offset:7540
	s_wait_dscnt 0x0
	v_mul_f32_e32 v24, v24, v26
	s_delay_alu instid0(VALU_DEP_1)
	v_mul_f32_e32 v24, v25, v24
	v_add_nc_u32_e64 v25, 0x1c00, 0
	ds_store_2addr_b32 v25, v24, v24 offset0:29 offset1:92
.LBB119_473:                            ;   in Loop: Header=BB119_3 Depth=1
	s_or_b32 exec_lo, exec_lo, s45
	v_mov_b32_e32 v24, 0
	s_wait_dscnt 0x0
	s_barrier_signal -1
	s_barrier_wait -1
	s_and_saveexec_b32 s45, s2
	s_cbranch_execz .LBB119_477
; %bb.474:                              ;   in Loop: Header=BB119_3 Depth=1
	ds_load_b32 v24, v65 offset:7288
	ds_load_b32 v25, v29 offset:7280
	s_wait_dscnt 0x0
	v_fma_f32 v24, v24, v25, 0
	s_and_saveexec_b32 s46, s16
	s_cbranch_execz .LBB119_476
; %bb.475:                              ;   in Loop: Header=BB119_3 Depth=1
	ds_load_b32 v25, v60 offset:7544
	ds_load_b32 v26, v5 offset:7284
	s_wait_dscnt 0x0
	v_fmac_f32_e32 v24, v25, v26
.LBB119_476:                            ;   in Loop: Header=BB119_3 Depth=1
	s_or_b32 exec_lo, exec_lo, s46
	s_delay_alu instid0(VALU_DEP_1)
	v_xor_b32_e32 v24, 0x80000000, v24
.LBB119_477:                            ;   in Loop: Header=BB119_3 Depth=1
	s_or_b32 exec_lo, exec_lo, s45
	s_and_saveexec_b32 s45, s90
	s_cbranch_execz .LBB119_479
; %bb.478:                              ;   in Loop: Header=BB119_3 Depth=1
	ds_load_b32 v25, v5 offset:7800
	s_wait_dscnt 0x0
	v_mul_f32_e32 v24, v24, v25
	ds_store_b32 v3, v24
.LBB119_479:                            ;   in Loop: Header=BB119_3 Depth=1
	s_or_b32 exec_lo, exec_lo, s45
	s_wait_dscnt 0x0
	s_barrier_signal -1
	s_barrier_wait -1
	s_and_saveexec_b32 s45, s91
	s_cbranch_execz .LBB119_481
; %bb.480:                              ;   in Loop: Header=BB119_3 Depth=1
	ds_load_b32 v25, v5 offset:7804
	ds_load_b32 v26, v3
	s_wait_dscnt 0x0
	v_fmac_f32_e32 v24, v25, v26
.LBB119_481:                            ;   in Loop: Header=BB119_3 Depth=1
	s_or_b32 exec_lo, exec_lo, s45
	s_barrier_signal -1
	s_barrier_wait -1
	s_and_saveexec_b32 s45, s91
	s_cbranch_execz .LBB119_483
; %bb.482:                              ;   in Loop: Header=BB119_3 Depth=1
	ds_load_b32 v25, v5 offset:8060
	s_wait_dscnt 0x0
	v_mul_f32_e32 v24, v24, v25
	ds_store_b32 v3, v24
.LBB119_483:                            ;   in Loop: Header=BB119_3 Depth=1
	s_or_b32 exec_lo, exec_lo, s45
	s_wait_dscnt 0x0
	s_barrier_signal -1
	s_barrier_wait -1
	s_barrier_signal -1
	s_barrier_wait -1
	s_and_saveexec_b32 s45, s2
; %bb.484:                              ;   in Loop: Header=BB119_3 Depth=1
	v_xor_b32_e32 v24, 0x80000000, v24
	ds_store_b32 v65, v24 offset:7288
; %bb.485:                              ;   in Loop: Header=BB119_3 Depth=1
	s_or_b32 exec_lo, exec_lo, s45
	s_wait_dscnt 0x0
	s_barrier_signal -1
	s_barrier_wait -1
	s_barrier_signal -1
	s_barrier_wait -1
	s_and_saveexec_b32 s45, s92
	s_cbranch_execz .LBB119_487
; %bb.486:                              ;   in Loop: Header=BB119_3 Depth=1
	ds_load_b32 v24, v61 offset:7288
	s_wait_dscnt 0x0
	ds_store_b32 v60, v24 offset:7792
	ds_load_b32 v24, v61 offset:7292
	s_wait_dscnt 0x0
	ds_store_b32 v60, v24 offset:8048
.LBB119_487:                            ;   in Loop: Header=BB119_3 Depth=1
	s_or_b32 exec_lo, exec_lo, s45
	s_wait_dscnt 0x0
	s_barrier_signal -1
	s_barrier_wait -1
	s_and_saveexec_b32 s45, s15
	s_cbranch_execz .LBB119_489
; %bb.488:                              ;   in Loop: Header=BB119_3 Depth=1
	ds_load_b64 v[24:25], v5 offset:7800
	ds_load_b32 v26, v5 offset:8060
	s_wait_dscnt 0x0
	v_mul_f32_e32 v24, v24, v26
	s_delay_alu instid0(VALU_DEP_1)
	v_mul_f32_e32 v24, v25, v24
	v_add_nc_u32_e64 v25, 0x1c00, 0
	ds_store_2addr_b32 v25, v24, v24 offset0:159 offset1:222
.LBB119_489:                            ;   in Loop: Header=BB119_3 Depth=1
	s_or_b32 exec_lo, exec_lo, s45
	v_mov_b32_e32 v24, 0
	s_wait_dscnt 0x0
	s_barrier_signal -1
	s_barrier_wait -1
	s_and_saveexec_b32 s82, s7
	s_cbranch_execz .LBB119_551
; %bb.490:                              ;   in Loop: Header=BB119_3 Depth=1
	v_add_nc_u32_e32 v25, v50, v49
	ds_load_b32 v24, v64 offset:128
	ds_load_b32 v26, v25
	s_wait_dscnt 0x0
	v_fma_f32 v24, v24, v26, 0
	s_mov_b32 s45, exec_lo
	v_readlane_b32 s46, v90, 2
	s_and_b32 s46, s45, s46
	s_delay_alu instid0(SALU_CYCLE_1)
	s_mov_b32 exec_lo, s46
	s_cbranch_execz .LBB119_492
; %bb.491:                              ;   in Loop: Header=BB119_3 Depth=1
	ds_load_b32 v26, v64 offset:384
	ds_load_b32 v27, v25 offset:4
	s_wait_dscnt 0x0
	v_fmac_f32_e32 v24, v26, v27
.LBB119_492:                            ;   in Loop: Header=BB119_3 Depth=1
	s_or_b32 exec_lo, exec_lo, s45
	s_delay_alu instid0(SALU_CYCLE_1) | instskip(SKIP_2) | instid1(SALU_CYCLE_1)
	s_mov_b32 s45, exec_lo
	v_readlane_b32 s46, v90, 3
	s_and_b32 s46, s45, s46
	s_mov_b32 exec_lo, s46
	s_cbranch_execz .LBB119_494
; %bb.493:                              ;   in Loop: Header=BB119_3 Depth=1
	ds_load_b32 v26, v64 offset:640
	ds_load_b32 v27, v25 offset:8
	s_wait_dscnt 0x0
	v_fmac_f32_e32 v24, v26, v27
.LBB119_494:                            ;   in Loop: Header=BB119_3 Depth=1
	s_or_b32 exec_lo, exec_lo, s45
	s_delay_alu instid0(SALU_CYCLE_1) | instskip(SKIP_2) | instid1(SALU_CYCLE_1)
	s_mov_b32 s45, exec_lo
	v_readlane_b32 s46, v90, 4
	s_and_b32 s46, s45, s46
	;; [unrolled: 13-line block ×22, first 2 shown]
	s_mov_b32 exec_lo, s46
	s_cbranch_execz .LBB119_536
; %bb.535:                              ;   in Loop: Header=BB119_3 Depth=1
	ds_load_b32 v26, v64 offset:6016
	ds_load_b32 v27, v25 offset:92
	s_wait_dscnt 0x0
	v_fmac_f32_e32 v24, v26, v27
.LBB119_536:                            ;   in Loop: Header=BB119_3 Depth=1
	s_or_b32 exec_lo, exec_lo, s45
	s_and_saveexec_b32 s45, s6
	s_cbranch_execz .LBB119_538
; %bb.537:                              ;   in Loop: Header=BB119_3 Depth=1
	ds_load_b32 v26, v64 offset:6272
	ds_load_b32 v27, v25 offset:96
	s_wait_dscnt 0x0
	v_fmac_f32_e32 v24, v26, v27
.LBB119_538:                            ;   in Loop: Header=BB119_3 Depth=1
	s_or_b32 exec_lo, exec_lo, s45
	s_delay_alu instid0(SALU_CYCLE_1) | instskip(SKIP_2) | instid1(SALU_CYCLE_1)
	s_mov_b32 s45, exec_lo
	v_readlane_b32 s46, v91, 24
	s_and_b32 s46, s45, s46
	s_mov_b32 exec_lo, s46
	s_cbranch_execz .LBB119_540
; %bb.539:                              ;   in Loop: Header=BB119_3 Depth=1
	ds_load_b32 v26, v64 offset:6528
	ds_load_b32 v27, v25 offset:100
	s_wait_dscnt 0x0
	v_fmac_f32_e32 v24, v26, v27
.LBB119_540:                            ;   in Loop: Header=BB119_3 Depth=1
	s_or_b32 exec_lo, exec_lo, s45
	s_delay_alu instid0(SALU_CYCLE_1) | instskip(SKIP_2) | instid1(SALU_CYCLE_1)
	s_mov_b32 s45, exec_lo
	v_readlane_b32 s46, v91, 26
	s_and_b32 s46, s45, s46
	s_mov_b32 exec_lo, s46
	;; [unrolled: 13-line block ×5, first 2 shown]
	s_cbranch_execnz .LBB119_1231
; %bb.547:                              ;   in Loop: Header=BB119_3 Depth=1
	s_or_b32 exec_lo, exec_lo, s45
	s_and_saveexec_b32 s45, s5
	s_cbranch_execnz .LBB119_1232
.LBB119_548:                            ;   in Loop: Header=BB119_3 Depth=1
	s_or_b32 exec_lo, exec_lo, s45
	s_and_saveexec_b32 s45, s22
	s_cbranch_execz .LBB119_550
.LBB119_549:                            ;   in Loop: Header=BB119_3 Depth=1
	ds_load_b32 v25, v30 offset:8064
	ds_load_b32 v26, v5 offset:124
	s_wait_dscnt 0x0
	v_fmac_f32_e32 v24, v25, v26
.LBB119_550:                            ;   in Loop: Header=BB119_3 Depth=1
	s_or_b32 exec_lo, exec_lo, s45
	s_delay_alu instid0(VALU_DEP_1)
	v_xor_b32_e32 v24, 0x80000000, v24
.LBB119_551:                            ;   in Loop: Header=BB119_3 Depth=1
	s_or_b32 exec_lo, exec_lo, s82
	s_delay_alu instid0(SALU_CYCLE_1) | instskip(SKIP_2) | instid1(SALU_CYCLE_1)
	s_mov_b32 s45, exec_lo
	v_readlane_b32 s46, v93, 7
	s_and_b32 s46, s45, s46
	s_mov_b32 exec_lo, s46
	s_cbranch_execz .LBB119_553
; %bb.552:                              ;   in Loop: Header=BB119_3 Depth=1
	ds_load_b32 v25, v5 offset:8320
	s_wait_dscnt 0x0
	v_mul_f32_e32 v24, v24, v25
	ds_store_b32 v62, v24
.LBB119_553:                            ;   in Loop: Header=BB119_3 Depth=1
	s_or_b32 exec_lo, exec_lo, s45
	s_wait_dscnt 0x0
	s_barrier_signal -1
	s_barrier_wait -1
	s_mov_b32 s45, exec_lo
	v_readlane_b32 s46, v93, 8
	s_and_b32 s46, s45, s46
	s_delay_alu instid0(SALU_CYCLE_1)
	s_mov_b32 exec_lo, s46
	s_cbranch_execz .LBB119_555
; %bb.554:                              ;   in Loop: Header=BB119_3 Depth=1
	ds_load_b32 v25, v63 offset:8320
	ds_load_b32 v26, v62
	s_wait_dscnt 0x0
	v_fmac_f32_e32 v24, v25, v26
.LBB119_555:                            ;   in Loop: Header=BB119_3 Depth=1
	s_or_b32 exec_lo, exec_lo, s45
	s_barrier_signal -1
	s_barrier_wait -1
	s_mov_b32 s45, exec_lo
	v_readlane_b32 s46, v93, 9
	s_and_b32 s46, s45, s46
	s_delay_alu instid0(SALU_CYCLE_1)
	s_mov_b32 exec_lo, s46
	s_cbranch_execz .LBB119_557
; %bb.556:                              ;   in Loop: Header=BB119_3 Depth=1
	ds_load_b32 v25, v5 offset:8580
	s_wait_dscnt 0x0
	v_mul_f32_e32 v24, v24, v25
	ds_store_b32 v62, v24
.LBB119_557:                            ;   in Loop: Header=BB119_3 Depth=1
	s_or_b32 exec_lo, exec_lo, s45
	s_wait_dscnt 0x0
	s_barrier_signal -1
	s_barrier_wait -1
	s_mov_b32 s45, exec_lo
	v_readlane_b32 s46, v93, 10
	s_and_b32 s46, s45, s46
	s_delay_alu instid0(SALU_CYCLE_1)
	s_mov_b32 exec_lo, s46
	s_cbranch_execz .LBB119_559
; %bb.558:                              ;   in Loop: Header=BB119_3 Depth=1
	ds_load_b32 v25, v63 offset:8576
	ds_load_b32 v26, v62
	s_wait_dscnt 0x0
	v_fmac_f32_e32 v24, v25, v26
.LBB119_559:                            ;   in Loop: Header=BB119_3 Depth=1
	s_or_b32 exec_lo, exec_lo, s45
	s_barrier_signal -1
	s_barrier_wait -1
	s_mov_b32 s45, exec_lo
	v_readlane_b32 s46, v93, 11
	s_and_b32 s46, s45, s46
	s_delay_alu instid0(SALU_CYCLE_1)
	;; [unrolled: 31-line block ×30, first 2 shown]
	s_mov_b32 exec_lo, s46
	s_cbranch_execz .LBB119_673
; %bb.672:                              ;   in Loop: Header=BB119_3 Depth=1
	ds_load_b32 v25, v5 offset:16120
	s_wait_dscnt 0x0
	v_mul_f32_e32 v24, v24, v25
	ds_store_b32 v62, v24
.LBB119_673:                            ;   in Loop: Header=BB119_3 Depth=1
	s_or_b32 exec_lo, exec_lo, s45
	s_wait_dscnt 0x0
	s_barrier_signal -1
	s_barrier_wait -1
	s_and_saveexec_b32 s45, s14
	s_cbranch_execz .LBB119_675
; %bb.674:                              ;   in Loop: Header=BB119_3 Depth=1
	ds_load_b32 v25, v5 offset:16124
	ds_load_b32 v26, v62
	s_wait_dscnt 0x0
	v_fmac_f32_e32 v24, v25, v26
.LBB119_675:                            ;   in Loop: Header=BB119_3 Depth=1
	s_or_b32 exec_lo, exec_lo, s45
	s_barrier_signal -1
	s_barrier_wait -1
	s_and_saveexec_b32 s45, s14
	s_cbranch_execz .LBB119_677
; %bb.676:                              ;   in Loop: Header=BB119_3 Depth=1
	ds_load_b32 v25, v5 offset:16380
	s_wait_dscnt 0x0
	v_mul_f32_e32 v24, v24, v25
	ds_store_b32 v62, v24
.LBB119_677:                            ;   in Loop: Header=BB119_3 Depth=1
	s_or_b32 exec_lo, exec_lo, s45
	s_wait_dscnt 0x0
	s_barrier_signal -1
	s_barrier_wait -1
	s_barrier_signal -1
	s_barrier_wait -1
	s_and_saveexec_b32 s45, s7
; %bb.678:                              ;   in Loop: Header=BB119_3 Depth=1
	v_xor_b32_e32 v24, 0x80000000, v24
	ds_store_b32 v64, v24 offset:128
; %bb.679:                              ;   in Loop: Header=BB119_3 Depth=1
	s_or_b32 exec_lo, exec_lo, s45
	s_wait_dscnt 0x0
	s_barrier_signal -1
	s_barrier_wait -1
	s_barrier_signal -1
	s_barrier_wait -1
	s_mov_b32 s82, exec_lo
	v_readlane_b32 s45, v91, 4
	s_and_b32 s45, s82, s45
	s_delay_alu instid0(SALU_CYCLE_1)
	s_mov_b32 exec_lo, s45
	s_cbranch_execz .LBB119_681
; %bb.680:                              ;   in Loop: Header=BB119_3 Depth=1
	ds_load_b32 v24, v32 offset:128
	s_wait_dscnt 0x0
	ds_store_b32 v66, v24 offset:8192
	ds_load_b32 v24, v32 offset:132
	s_wait_dscnt 0x0
	ds_store_b32 v66, v24 offset:8448
	ds_load_b32 v24, v32 offset:136
	s_wait_dscnt 0x0
	ds_store_b32 v66, v24 offset:8704
	ds_load_b32 v24, v32 offset:140
	s_wait_dscnt 0x0
	ds_store_b32 v66, v24 offset:8960
	ds_load_b32 v24, v32 offset:144
	s_wait_dscnt 0x0
	ds_store_b32 v66, v24 offset:9216
	ds_load_b32 v24, v32 offset:148
	s_wait_dscnt 0x0
	ds_store_b32 v66, v24 offset:9472
	ds_load_b32 v24, v32 offset:152
	s_wait_dscnt 0x0
	ds_store_b32 v66, v24 offset:9728
	ds_load_b32 v24, v32 offset:156
	s_wait_dscnt 0x0
	ds_store_b32 v66, v24 offset:9984
	ds_load_b32 v24, v32 offset:160
	s_wait_dscnt 0x0
	ds_store_b32 v66, v24 offset:10240
	ds_load_b32 v24, v32 offset:164
	s_wait_dscnt 0x0
	ds_store_b32 v66, v24 offset:10496
	ds_load_b32 v24, v32 offset:168
	s_wait_dscnt 0x0
	ds_store_b32 v66, v24 offset:10752
	ds_load_b32 v24, v32 offset:172
	s_wait_dscnt 0x0
	ds_store_b32 v66, v24 offset:11008
	ds_load_b32 v24, v32 offset:176
	s_wait_dscnt 0x0
	ds_store_b32 v66, v24 offset:11264
	ds_load_b32 v24, v32 offset:180
	s_wait_dscnt 0x0
	ds_store_b32 v66, v24 offset:11520
	ds_load_b32 v24, v32 offset:184
	s_wait_dscnt 0x0
	ds_store_b32 v66, v24 offset:11776
	ds_load_b32 v24, v32 offset:188
	s_wait_dscnt 0x0
	ds_store_b32 v66, v24 offset:12032
	ds_load_b32 v24, v32 offset:192
	s_wait_dscnt 0x0
	ds_store_b32 v66, v24 offset:12288
	ds_load_b32 v24, v32 offset:196
	s_wait_dscnt 0x0
	ds_store_b32 v66, v24 offset:12544
	ds_load_b32 v24, v32 offset:200
	s_wait_dscnt 0x0
	ds_store_b32 v66, v24 offset:12800
	ds_load_b32 v24, v32 offset:204
	s_wait_dscnt 0x0
	ds_store_b32 v66, v24 offset:13056
	ds_load_b32 v24, v32 offset:208
	s_wait_dscnt 0x0
	ds_store_b32 v66, v24 offset:13312
	ds_load_b32 v24, v32 offset:212
	s_wait_dscnt 0x0
	ds_store_b32 v66, v24 offset:13568
	ds_load_b32 v24, v32 offset:216
	s_wait_dscnt 0x0
	ds_store_b32 v66, v24 offset:13824
	ds_load_b32 v24, v32 offset:220
	s_wait_dscnt 0x0
	ds_store_b32 v66, v24 offset:14080
	ds_load_b32 v24, v32 offset:224
	s_wait_dscnt 0x0
	ds_store_b32 v66, v24 offset:14336
	ds_load_b32 v24, v32 offset:228
	s_wait_dscnt 0x0
	ds_store_b32 v66, v24 offset:14592
	ds_load_b32 v24, v32 offset:232
	s_wait_dscnt 0x0
	ds_store_b32 v66, v24 offset:14848
	ds_load_b32 v24, v32 offset:236
	s_wait_dscnt 0x0
	ds_store_b32 v66, v24 offset:15104
	ds_load_b32 v24, v32 offset:240
	s_wait_dscnt 0x0
	ds_store_b32 v66, v24 offset:15360
	ds_load_b32 v24, v32 offset:244
	s_wait_dscnt 0x0
	ds_store_b32 v66, v24 offset:15616
	ds_load_b32 v24, v32 offset:248
	s_wait_dscnt 0x0
	ds_store_b32 v66, v24 offset:15872
	ds_load_b32 v24, v32 offset:252
	s_wait_dscnt 0x0
	ds_store_b32 v66, v24 offset:16128
.LBB119_681:                            ;   in Loop: Header=BB119_3 Depth=1
	s_or_b32 exec_lo, exec_lo, s82
	s_wait_dscnt 0x0
	s_barrier_signal -1
	s_barrier_wait -1
	s_and_saveexec_b32 s45, s15
	s_cbranch_execz .LBB119_683
; %bb.682:                              ;   in Loop: Header=BB119_3 Depth=1
	ds_load_b64 v[24:25], v5 offset:8320
	ds_load_b32 v26, v5 offset:8580
	s_wait_dscnt 0x0
	v_mul_f32_e32 v24, v24, v26
	s_delay_alu instid0(VALU_DEP_1)
	v_mul_f32_e32 v24, v25, v24
	v_add_nc_u32_e64 v25, 0x2000, 0
	ds_store_2addr_b32 v25, v24, v24 offset0:33 offset1:96
.LBB119_683:                            ;   in Loop: Header=BB119_3 Depth=1
	s_or_b32 exec_lo, exec_lo, s45
	v_mov_b32_e32 v24, 0
	s_wait_dscnt 0x0
	s_barrier_signal -1
	s_barrier_wait -1
	s_and_saveexec_b32 s45, s2
	s_cbranch_execz .LBB119_687
; %bb.684:                              ;   in Loop: Header=BB119_3 Depth=1
	ds_load_b32 v24, v65 offset:8328
	ds_load_b32 v25, v29 offset:8320
	s_wait_dscnt 0x0
	v_fma_f32 v24, v24, v25, 0
	s_and_saveexec_b32 s46, s16
	s_cbranch_execz .LBB119_686
; %bb.685:                              ;   in Loop: Header=BB119_3 Depth=1
	ds_load_b32 v25, v30 offset:8584
	ds_load_b32 v26, v5 offset:8324
	s_wait_dscnt 0x0
	v_fmac_f32_e32 v24, v25, v26
.LBB119_686:                            ;   in Loop: Header=BB119_3 Depth=1
	s_or_b32 exec_lo, exec_lo, s46
	s_delay_alu instid0(VALU_DEP_1)
	v_xor_b32_e32 v24, 0x80000000, v24
.LBB119_687:                            ;   in Loop: Header=BB119_3 Depth=1
	s_or_b32 exec_lo, exec_lo, s45
	s_and_saveexec_b32 s45, s90
	s_cbranch_execz .LBB119_689
; %bb.688:                              ;   in Loop: Header=BB119_3 Depth=1
	ds_load_b32 v25, v5 offset:8840
	s_wait_dscnt 0x0
	v_mul_f32_e32 v24, v24, v25
	ds_store_b32 v3, v24
.LBB119_689:                            ;   in Loop: Header=BB119_3 Depth=1
	s_or_b32 exec_lo, exec_lo, s45
	s_wait_dscnt 0x0
	s_barrier_signal -1
	s_barrier_wait -1
	s_and_saveexec_b32 s45, s91
	s_cbranch_execz .LBB119_691
; %bb.690:                              ;   in Loop: Header=BB119_3 Depth=1
	ds_load_b32 v25, v5 offset:8844
	ds_load_b32 v26, v3
	s_wait_dscnt 0x0
	v_fmac_f32_e32 v24, v25, v26
.LBB119_691:                            ;   in Loop: Header=BB119_3 Depth=1
	s_or_b32 exec_lo, exec_lo, s45
	s_barrier_signal -1
	s_barrier_wait -1
	s_and_saveexec_b32 s45, s91
	s_cbranch_execz .LBB119_693
; %bb.692:                              ;   in Loop: Header=BB119_3 Depth=1
	ds_load_b32 v25, v5 offset:9100
	s_wait_dscnt 0x0
	v_mul_f32_e32 v24, v24, v25
	ds_store_b32 v3, v24
.LBB119_693:                            ;   in Loop: Header=BB119_3 Depth=1
	s_or_b32 exec_lo, exec_lo, s45
	s_wait_dscnt 0x0
	s_barrier_signal -1
	s_barrier_wait -1
	s_barrier_signal -1
	s_barrier_wait -1
	s_and_saveexec_b32 s45, s2
; %bb.694:                              ;   in Loop: Header=BB119_3 Depth=1
	v_xor_b32_e32 v24, 0x80000000, v24
	ds_store_b32 v65, v24 offset:8328
; %bb.695:                              ;   in Loop: Header=BB119_3 Depth=1
	s_or_b32 exec_lo, exec_lo, s45
	s_wait_dscnt 0x0
	s_barrier_signal -1
	s_barrier_wait -1
	s_barrier_signal -1
	s_barrier_wait -1
	s_and_saveexec_b32 s45, s92
	s_cbranch_execz .LBB119_697
; %bb.696:                              ;   in Loop: Header=BB119_3 Depth=1
	ds_load_b32 v24, v34 offset:8328
	s_wait_dscnt 0x0
	ds_store_b32 v30, v24 offset:8832
	ds_load_b32 v24, v34 offset:8332
	s_wait_dscnt 0x0
	ds_store_b32 v30, v24 offset:9088
.LBB119_697:                            ;   in Loop: Header=BB119_3 Depth=1
	s_or_b32 exec_lo, exec_lo, s45
	s_wait_dscnt 0x0
	s_barrier_signal -1
	s_barrier_wait -1
	s_and_saveexec_b32 s45, s15
	s_cbranch_execz .LBB119_699
; %bb.698:                              ;   in Loop: Header=BB119_3 Depth=1
	ds_load_b64 v[24:25], v5 offset:8840
	ds_load_b32 v26, v5 offset:9100
	s_wait_dscnt 0x0
	v_mul_f32_e32 v24, v24, v26
	s_delay_alu instid0(VALU_DEP_1)
	v_mul_f32_e32 v24, v25, v24
	v_add_nc_u32_e64 v25, 0x2000, 0
	ds_store_2addr_b32 v25, v24, v24 offset0:163 offset1:226
.LBB119_699:                            ;   in Loop: Header=BB119_3 Depth=1
	s_or_b32 exec_lo, exec_lo, s45
	v_mov_b32_e32 v24, 0
	s_wait_dscnt 0x0
	s_barrier_signal -1
	s_barrier_wait -1
	s_and_saveexec_b32 s82, s4
	s_cbranch_execz .LBB119_705
; %bb.700:                              ;   in Loop: Header=BB119_3 Depth=1
	ds_load_b32 v24, v36 offset:8336
	ds_load_b32 v25, v31 offset:8320
	s_wait_dscnt 0x0
	v_fma_f32 v24, v24, v25, 0
	s_and_saveexec_b32 s45, s17
	s_cbranch_execnz .LBB119_1233
; %bb.701:                              ;   in Loop: Header=BB119_3 Depth=1
	s_or_b32 exec_lo, exec_lo, s45
	s_and_saveexec_b32 s45, s18
	s_cbranch_execnz .LBB119_1234
.LBB119_702:                            ;   in Loop: Header=BB119_3 Depth=1
	s_or_b32 exec_lo, exec_lo, s45
	s_and_saveexec_b32 s45, s2
	s_cbranch_execz .LBB119_704
.LBB119_703:                            ;   in Loop: Header=BB119_3 Depth=1
	ds_load_b32 v25, v38 offset:9104
	ds_load_b32 v26, v5 offset:8332
	s_wait_dscnt 0x0
	v_fmac_f32_e32 v24, v25, v26
.LBB119_704:                            ;   in Loop: Header=BB119_3 Depth=1
	s_or_b32 exec_lo, exec_lo, s45
	s_delay_alu instid0(VALU_DEP_1)
	v_xor_b32_e32 v24, 0x80000000, v24
.LBB119_705:                            ;   in Loop: Header=BB119_3 Depth=1
	s_or_b32 exec_lo, exec_lo, s82
	s_and_saveexec_b32 s45, s93
	s_cbranch_execz .LBB119_707
; %bb.706:                              ;   in Loop: Header=BB119_3 Depth=1
	ds_load_b32 v25, v5 offset:9360
	s_wait_dscnt 0x0
	v_mul_f32_e32 v24, v24, v25
	ds_store_b32 v35, v24
.LBB119_707:                            ;   in Loop: Header=BB119_3 Depth=1
	s_or_b32 exec_lo, exec_lo, s45
	s_wait_dscnt 0x0
	s_barrier_signal -1
	s_barrier_wait -1
	s_and_saveexec_b32 s45, s94
	s_cbranch_execz .LBB119_709
; %bb.708:                              ;   in Loop: Header=BB119_3 Depth=1
	ds_load_b32 v25, v33 offset:9360
	ds_load_b32 v26, v35
	s_wait_dscnt 0x0
	v_fmac_f32_e32 v24, v25, v26
.LBB119_709:                            ;   in Loop: Header=BB119_3 Depth=1
	s_or_b32 exec_lo, exec_lo, s45
	s_barrier_signal -1
	s_barrier_wait -1
	s_and_saveexec_b32 s45, s95
	s_cbranch_execz .LBB119_711
; %bb.710:                              ;   in Loop: Header=BB119_3 Depth=1
	ds_load_b32 v25, v5 offset:9620
	s_wait_dscnt 0x0
	v_mul_f32_e32 v24, v24, v25
	ds_store_b32 v35, v24
.LBB119_711:                            ;   in Loop: Header=BB119_3 Depth=1
	s_or_b32 exec_lo, exec_lo, s45
	s_wait_dscnt 0x0
	s_barrier_signal -1
	s_barrier_wait -1
	s_and_saveexec_b32 s45, s96
	s_cbranch_execz .LBB119_713
; %bb.712:                              ;   in Loop: Header=BB119_3 Depth=1
	ds_load_b32 v25, v33 offset:9616
	ds_load_b32 v26, v35
	s_wait_dscnt 0x0
	v_fmac_f32_e32 v24, v25, v26
.LBB119_713:                            ;   in Loop: Header=BB119_3 Depth=1
	s_or_b32 exec_lo, exec_lo, s45
	s_barrier_signal -1
	s_barrier_wait -1
	;; [unrolled: 23-line block ×3, first 2 shown]
	s_and_saveexec_b32 s45, s98
	s_cbranch_execz .LBB119_719
; %bb.718:                              ;   in Loop: Header=BB119_3 Depth=1
	ds_load_b32 v25, v5 offset:10140
	s_wait_dscnt 0x0
	v_mul_f32_e32 v24, v24, v25
	ds_store_b32 v35, v24
.LBB119_719:                            ;   in Loop: Header=BB119_3 Depth=1
	s_or_b32 exec_lo, exec_lo, s45
	s_wait_dscnt 0x0
	s_barrier_signal -1
	s_barrier_wait -1
	s_barrier_signal -1
	s_barrier_wait -1
	s_and_saveexec_b32 s45, s4
; %bb.720:                              ;   in Loop: Header=BB119_3 Depth=1
	v_xor_b32_e32 v24, 0x80000000, v24
	ds_store_b32 v36, v24 offset:8336
; %bb.721:                              ;   in Loop: Header=BB119_3 Depth=1
	s_or_b32 exec_lo, exec_lo, s45
	s_wait_dscnt 0x0
	s_barrier_signal -1
	s_barrier_wait -1
	s_barrier_signal -1
	s_barrier_wait -1
	s_and_saveexec_b32 s45, s99
	s_cbranch_execz .LBB119_723
; %bb.722:                              ;   in Loop: Header=BB119_3 Depth=1
	ds_load_b32 v24, v51 offset:8336
	s_wait_dscnt 0x0
	ds_store_b32 v52, v24 offset:9344
	ds_load_b32 v24, v51 offset:8340
	s_wait_dscnt 0x0
	ds_store_b32 v52, v24 offset:9600
	ds_load_b32 v24, v51 offset:8344
	s_wait_dscnt 0x0
	ds_store_b32 v52, v24 offset:9856
	ds_load_b32 v24, v51 offset:8348
	s_wait_dscnt 0x0
	ds_store_b32 v52, v24 offset:10112
.LBB119_723:                            ;   in Loop: Header=BB119_3 Depth=1
	s_or_b32 exec_lo, exec_lo, s45
	s_wait_dscnt 0x0
	s_barrier_signal -1
	s_barrier_wait -1
	s_and_saveexec_b32 s45, s15
	s_cbranch_execz .LBB119_725
; %bb.724:                              ;   in Loop: Header=BB119_3 Depth=1
	ds_load_b64 v[24:25], v5 offset:9360
	ds_load_b32 v26, v5 offset:9620
	s_wait_dscnt 0x0
	v_mul_f32_e32 v24, v24, v26
	s_delay_alu instid0(VALU_DEP_1)
	v_mul_f32_e32 v24, v25, v24
	v_add_nc_u32_e64 v25, 0x2400, 0
	ds_store_2addr_b32 v25, v24, v24 offset0:37 offset1:100
.LBB119_725:                            ;   in Loop: Header=BB119_3 Depth=1
	s_or_b32 exec_lo, exec_lo, s45
	v_mov_b32_e32 v24, 0
	s_wait_dscnt 0x0
	s_barrier_signal -1
	s_barrier_wait -1
	s_and_saveexec_b32 s45, s2
	s_cbranch_execz .LBB119_729
; %bb.726:                              ;   in Loop: Header=BB119_3 Depth=1
	ds_load_b32 v24, v65 offset:9368
	ds_load_b32 v25, v29 offset:9360
	s_wait_dscnt 0x0
	v_fma_f32 v24, v24, v25, 0
	s_and_saveexec_b32 s46, s16
	s_cbranch_execz .LBB119_728
; %bb.727:                              ;   in Loop: Header=BB119_3 Depth=1
	ds_load_b32 v25, v52 offset:9624
	ds_load_b32 v26, v5 offset:9364
	s_wait_dscnt 0x0
	v_fmac_f32_e32 v24, v25, v26
.LBB119_728:                            ;   in Loop: Header=BB119_3 Depth=1
	s_or_b32 exec_lo, exec_lo, s46
	s_delay_alu instid0(VALU_DEP_1)
	v_xor_b32_e32 v24, 0x80000000, v24
.LBB119_729:                            ;   in Loop: Header=BB119_3 Depth=1
	s_or_b32 exec_lo, exec_lo, s45
	s_and_saveexec_b32 s45, s90
	s_cbranch_execz .LBB119_731
; %bb.730:                              ;   in Loop: Header=BB119_3 Depth=1
	ds_load_b32 v25, v5 offset:9880
	s_wait_dscnt 0x0
	v_mul_f32_e32 v24, v24, v25
	ds_store_b32 v3, v24
.LBB119_731:                            ;   in Loop: Header=BB119_3 Depth=1
	s_or_b32 exec_lo, exec_lo, s45
	s_wait_dscnt 0x0
	s_barrier_signal -1
	s_barrier_wait -1
	s_and_saveexec_b32 s45, s91
	s_cbranch_execz .LBB119_733
; %bb.732:                              ;   in Loop: Header=BB119_3 Depth=1
	ds_load_b32 v25, v5 offset:9884
	ds_load_b32 v26, v3
	s_wait_dscnt 0x0
	v_fmac_f32_e32 v24, v25, v26
.LBB119_733:                            ;   in Loop: Header=BB119_3 Depth=1
	s_or_b32 exec_lo, exec_lo, s45
	s_barrier_signal -1
	s_barrier_wait -1
	s_and_saveexec_b32 s45, s91
	s_cbranch_execz .LBB119_735
; %bb.734:                              ;   in Loop: Header=BB119_3 Depth=1
	ds_load_b32 v25, v5 offset:10140
	s_wait_dscnt 0x0
	v_mul_f32_e32 v24, v24, v25
	ds_store_b32 v3, v24
.LBB119_735:                            ;   in Loop: Header=BB119_3 Depth=1
	s_or_b32 exec_lo, exec_lo, s45
	s_wait_dscnt 0x0
	s_barrier_signal -1
	s_barrier_wait -1
	s_barrier_signal -1
	s_barrier_wait -1
	s_and_saveexec_b32 s45, s2
; %bb.736:                              ;   in Loop: Header=BB119_3 Depth=1
	v_xor_b32_e32 v24, 0x80000000, v24
	ds_store_b32 v65, v24 offset:9368
; %bb.737:                              ;   in Loop: Header=BB119_3 Depth=1
	s_or_b32 exec_lo, exec_lo, s45
	s_wait_dscnt 0x0
	s_barrier_signal -1
	s_barrier_wait -1
	s_barrier_signal -1
	s_barrier_wait -1
	s_and_saveexec_b32 s45, s92
	s_cbranch_execz .LBB119_739
; %bb.738:                              ;   in Loop: Header=BB119_3 Depth=1
	ds_load_b32 v24, v53 offset:9368
	s_wait_dscnt 0x0
	ds_store_b32 v52, v24 offset:9872
	ds_load_b32 v24, v53 offset:9372
	s_wait_dscnt 0x0
	ds_store_b32 v52, v24 offset:10128
.LBB119_739:                            ;   in Loop: Header=BB119_3 Depth=1
	s_or_b32 exec_lo, exec_lo, s45
	s_wait_dscnt 0x0
	s_barrier_signal -1
	s_barrier_wait -1
	s_and_saveexec_b32 s45, s15
	s_cbranch_execz .LBB119_741
; %bb.740:                              ;   in Loop: Header=BB119_3 Depth=1
	ds_load_b64 v[24:25], v5 offset:9880
	ds_load_b32 v26, v5 offset:10140
	s_wait_dscnt 0x0
	v_mul_f32_e32 v24, v24, v26
	s_delay_alu instid0(VALU_DEP_1)
	v_mul_f32_e32 v24, v25, v24
	v_add_nc_u32_e64 v25, 0x2400, 0
	ds_store_2addr_b32 v25, v24, v24 offset0:167 offset1:230
.LBB119_741:                            ;   in Loop: Header=BB119_3 Depth=1
	s_or_b32 exec_lo, exec_lo, s45
	v_mov_b32_e32 v24, 0
	s_wait_dscnt 0x0
	s_barrier_signal -1
	s_barrier_wait -1
	s_and_saveexec_b32 s82, s5
	s_cbranch_execz .LBB119_751
; %bb.742:                              ;   in Loop: Header=BB119_3 Depth=1
	ds_load_b32 v24, v42 offset:8352
	ds_load_b32 v25, v39 offset:8320
	s_wait_dscnt 0x0
	v_fma_f32 v24, v24, v25, 0
	s_and_saveexec_b32 s45, s19
	s_cbranch_execnz .LBB119_1235
; %bb.743:                              ;   in Loop: Header=BB119_3 Depth=1
	s_or_b32 exec_lo, exec_lo, s45
	s_and_saveexec_b32 s45, s20
	s_cbranch_execnz .LBB119_1236
.LBB119_744:                            ;   in Loop: Header=BB119_3 Depth=1
	s_or_b32 exec_lo, exec_lo, s45
	s_and_saveexec_b32 s45, s21
	s_cbranch_execnz .LBB119_1237
.LBB119_745:                            ;   in Loop: Header=BB119_3 Depth=1
	s_or_b32 exec_lo, exec_lo, s45
	s_and_saveexec_b32 s45, s22
	s_cbranch_execnz .LBB119_1238
.LBB119_746:                            ;   in Loop: Header=BB119_3 Depth=1
	s_or_b32 exec_lo, exec_lo, s45
	s_and_saveexec_b32 s45, s23
	s_cbranch_execnz .LBB119_1239
.LBB119_747:                            ;   in Loop: Header=BB119_3 Depth=1
	s_or_b32 exec_lo, exec_lo, s45
	s_and_saveexec_b32 s45, s4
	s_cbranch_execnz .LBB119_1240
.LBB119_748:                            ;   in Loop: Header=BB119_3 Depth=1
	s_or_b32 exec_lo, exec_lo, s45
	s_and_saveexec_b32 s45, s18
	s_cbranch_execz .LBB119_750
.LBB119_749:                            ;   in Loop: Header=BB119_3 Depth=1
	ds_load_b32 v25, v54 offset:10144
	ds_load_b32 v26, v5 offset:8348
	s_wait_dscnt 0x0
	v_fmac_f32_e32 v24, v25, v26
.LBB119_750:                            ;   in Loop: Header=BB119_3 Depth=1
	s_or_b32 exec_lo, exec_lo, s45
	s_delay_alu instid0(VALU_DEP_1)
	v_xor_b32_e32 v24, 0x80000000, v24
.LBB119_751:                            ;   in Loop: Header=BB119_3 Depth=1
	s_or_b32 exec_lo, exec_lo, s82
	s_and_saveexec_b32 s45, s100
	s_cbranch_execz .LBB119_753
; %bb.752:                              ;   in Loop: Header=BB119_3 Depth=1
	ds_load_b32 v25, v5 offset:10400
	s_wait_dscnt 0x0
	v_mul_f32_e32 v24, v24, v25
	ds_store_b32 v41, v24
.LBB119_753:                            ;   in Loop: Header=BB119_3 Depth=1
	s_or_b32 exec_lo, exec_lo, s45
	s_wait_dscnt 0x0
	s_barrier_signal -1
	s_barrier_wait -1
	s_and_saveexec_b32 s45, s101
	s_cbranch_execz .LBB119_755
; %bb.754:                              ;   in Loop: Header=BB119_3 Depth=1
	ds_load_b32 v25, v40 offset:10400
	ds_load_b32 v26, v41
	s_wait_dscnt 0x0
	v_fmac_f32_e32 v24, v25, v26
.LBB119_755:                            ;   in Loop: Header=BB119_3 Depth=1
	s_or_b32 exec_lo, exec_lo, s45
	s_barrier_signal -1
	s_barrier_wait -1
	s_and_saveexec_b32 s45, s102
	s_cbranch_execz .LBB119_757
; %bb.756:                              ;   in Loop: Header=BB119_3 Depth=1
	ds_load_b32 v25, v5 offset:10660
	s_wait_dscnt 0x0
	v_mul_f32_e32 v24, v24, v25
	ds_store_b32 v41, v24
.LBB119_757:                            ;   in Loop: Header=BB119_3 Depth=1
	s_or_b32 exec_lo, exec_lo, s45
	s_wait_dscnt 0x0
	s_barrier_signal -1
	s_barrier_wait -1
	s_and_saveexec_b32 s45, s103
	s_cbranch_execz .LBB119_759
; %bb.758:                              ;   in Loop: Header=BB119_3 Depth=1
	ds_load_b32 v25, v40 offset:10656
	ds_load_b32 v26, v41
	s_wait_dscnt 0x0
	v_fmac_f32_e32 v24, v25, v26
.LBB119_759:                            ;   in Loop: Header=BB119_3 Depth=1
	s_or_b32 exec_lo, exec_lo, s45
	s_barrier_signal -1
	s_barrier_wait -1
	s_and_saveexec_b32 s45, s104
	s_cbranch_execz .LBB119_761
; %bb.760:                              ;   in Loop: Header=BB119_3 Depth=1
	ds_load_b32 v25, v5 offset:10920
	s_wait_dscnt 0x0
	v_mul_f32_e32 v24, v24, v25
	ds_store_b32 v41, v24
.LBB119_761:                            ;   in Loop: Header=BB119_3 Depth=1
	s_or_b32 exec_lo, exec_lo, s45
	s_wait_dscnt 0x0
	s_barrier_signal -1
	s_barrier_wait -1
	s_and_saveexec_b32 s45, vcc_hi
	s_cbranch_execz .LBB119_763
; %bb.762:                              ;   in Loop: Header=BB119_3 Depth=1
	ds_load_b32 v25, v40 offset:10912
	ds_load_b32 v26, v41
	s_wait_dscnt 0x0
	v_fmac_f32_e32 v24, v25, v26
.LBB119_763:                            ;   in Loop: Header=BB119_3 Depth=1
	s_or_b32 exec_lo, exec_lo, s45
	s_barrier_signal -1
	s_barrier_wait -1
	s_and_saveexec_b32 s45, s36
	s_cbranch_execz .LBB119_765
; %bb.764:                              ;   in Loop: Header=BB119_3 Depth=1
	ds_load_b32 v25, v5 offset:11180
	s_wait_dscnt 0x0
	v_mul_f32_e32 v24, v24, v25
	ds_store_b32 v41, v24
.LBB119_765:                            ;   in Loop: Header=BB119_3 Depth=1
	s_or_b32 exec_lo, exec_lo, s45
	s_wait_dscnt 0x0
	s_barrier_signal -1
	s_barrier_wait -1
	s_and_saveexec_b32 s45, s37
	s_cbranch_execz .LBB119_767
; %bb.766:                              ;   in Loop: Header=BB119_3 Depth=1
	ds_load_b32 v25, v40 offset:11168
	ds_load_b32 v26, v41
	s_wait_dscnt 0x0
	v_fmac_f32_e32 v24, v25, v26
.LBB119_767:                            ;   in Loop: Header=BB119_3 Depth=1
	s_or_b32 exec_lo, exec_lo, s45
	s_barrier_signal -1
	s_barrier_wait -1
	s_and_saveexec_b32 s45, s38
	s_cbranch_execz .LBB119_769
; %bb.768:                              ;   in Loop: Header=BB119_3 Depth=1
	ds_load_b32 v25, v5 offset:11440
	s_wait_dscnt 0x0
	v_mul_f32_e32 v24, v24, v25
	ds_store_b32 v41, v24
.LBB119_769:                            ;   in Loop: Header=BB119_3 Depth=1
	s_or_b32 exec_lo, exec_lo, s45
	s_wait_dscnt 0x0
	s_barrier_signal -1
	s_barrier_wait -1
	s_and_saveexec_b32 s45, s39
	;; [unrolled: 23-line block ×4, first 2 shown]
	s_cbranch_execz .LBB119_779
; %bb.778:                              ;   in Loop: Header=BB119_3 Depth=1
	ds_load_b32 v25, v5 offset:11964
	ds_load_b32 v26, v41
	s_wait_dscnt 0x0
	v_fmac_f32_e32 v24, v25, v26
.LBB119_779:                            ;   in Loop: Header=BB119_3 Depth=1
	s_or_b32 exec_lo, exec_lo, s45
	s_barrier_signal -1
	s_barrier_wait -1
	s_and_saveexec_b32 s45, s43
	s_cbranch_execz .LBB119_781
; %bb.780:                              ;   in Loop: Header=BB119_3 Depth=1
	ds_load_b32 v25, v5 offset:12220
	s_wait_dscnt 0x0
	v_mul_f32_e32 v24, v24, v25
	ds_store_b32 v41, v24
.LBB119_781:                            ;   in Loop: Header=BB119_3 Depth=1
	s_or_b32 exec_lo, exec_lo, s45
	s_wait_dscnt 0x0
	s_barrier_signal -1
	s_barrier_wait -1
	s_barrier_signal -1
	s_barrier_wait -1
	s_and_saveexec_b32 s45, s5
; %bb.782:                              ;   in Loop: Header=BB119_3 Depth=1
	v_xor_b32_e32 v24, 0x80000000, v24
	ds_store_b32 v42, v24 offset:8352
; %bb.783:                              ;   in Loop: Header=BB119_3 Depth=1
	s_or_b32 exec_lo, exec_lo, s45
	s_wait_dscnt 0x0
	s_barrier_signal -1
	s_barrier_wait -1
	s_barrier_signal -1
	s_barrier_wait -1
	s_and_saveexec_b32 s45, s44
	s_cbranch_execz .LBB119_785
; %bb.784:                              ;   in Loop: Header=BB119_3 Depth=1
	ds_load_b32 v24, v55 offset:8352
	s_wait_dscnt 0x0
	ds_store_b32 v56, v24 offset:10368
	ds_load_b32 v24, v55 offset:8356
	s_wait_dscnt 0x0
	ds_store_b32 v56, v24 offset:10624
	;; [unrolled: 3-line block ×8, first 2 shown]
.LBB119_785:                            ;   in Loop: Header=BB119_3 Depth=1
	s_or_b32 exec_lo, exec_lo, s45
	s_wait_dscnt 0x0
	s_barrier_signal -1
	s_barrier_wait -1
	s_and_saveexec_b32 s45, s15
	s_cbranch_execz .LBB119_787
; %bb.786:                              ;   in Loop: Header=BB119_3 Depth=1
	ds_load_b64 v[24:25], v5 offset:10400
	ds_load_b32 v26, v5 offset:10660
	s_wait_dscnt 0x0
	v_mul_f32_e32 v24, v24, v26
	s_delay_alu instid0(VALU_DEP_1)
	v_mul_f32_e32 v24, v25, v24
	v_add_nc_u32_e64 v25, 0x2800, 0
	ds_store_2addr_b32 v25, v24, v24 offset0:41 offset1:104
.LBB119_787:                            ;   in Loop: Header=BB119_3 Depth=1
	s_or_b32 exec_lo, exec_lo, s45
	v_mov_b32_e32 v24, 0
	s_wait_dscnt 0x0
	s_barrier_signal -1
	s_barrier_wait -1
	s_and_saveexec_b32 s45, s2
	s_cbranch_execz .LBB119_791
; %bb.788:                              ;   in Loop: Header=BB119_3 Depth=1
	ds_load_b32 v24, v65 offset:10408
	ds_load_b32 v25, v29 offset:10400
	s_wait_dscnt 0x0
	v_fma_f32 v24, v24, v25, 0
	s_and_saveexec_b32 s46, s16
	s_cbranch_execz .LBB119_790
; %bb.789:                              ;   in Loop: Header=BB119_3 Depth=1
	ds_load_b32 v25, v56 offset:10664
	ds_load_b32 v26, v5 offset:10404
	s_wait_dscnt 0x0
	v_fmac_f32_e32 v24, v25, v26
.LBB119_790:                            ;   in Loop: Header=BB119_3 Depth=1
	s_or_b32 exec_lo, exec_lo, s46
	s_delay_alu instid0(VALU_DEP_1)
	v_xor_b32_e32 v24, 0x80000000, v24
.LBB119_791:                            ;   in Loop: Header=BB119_3 Depth=1
	s_or_b32 exec_lo, exec_lo, s45
	s_and_saveexec_b32 s45, s90
	s_cbranch_execz .LBB119_793
; %bb.792:                              ;   in Loop: Header=BB119_3 Depth=1
	ds_load_b32 v25, v5 offset:10920
	s_wait_dscnt 0x0
	v_mul_f32_e32 v24, v24, v25
	ds_store_b32 v3, v24
.LBB119_793:                            ;   in Loop: Header=BB119_3 Depth=1
	s_or_b32 exec_lo, exec_lo, s45
	s_wait_dscnt 0x0
	s_barrier_signal -1
	s_barrier_wait -1
	s_and_saveexec_b32 s45, s91
	s_cbranch_execz .LBB119_795
; %bb.794:                              ;   in Loop: Header=BB119_3 Depth=1
	ds_load_b32 v25, v5 offset:10924
	ds_load_b32 v26, v3
	s_wait_dscnt 0x0
	v_fmac_f32_e32 v24, v25, v26
.LBB119_795:                            ;   in Loop: Header=BB119_3 Depth=1
	s_or_b32 exec_lo, exec_lo, s45
	s_barrier_signal -1
	s_barrier_wait -1
	s_and_saveexec_b32 s45, s91
	s_cbranch_execz .LBB119_797
; %bb.796:                              ;   in Loop: Header=BB119_3 Depth=1
	ds_load_b32 v25, v5 offset:11180
	s_wait_dscnt 0x0
	v_mul_f32_e32 v24, v24, v25
	ds_store_b32 v3, v24
.LBB119_797:                            ;   in Loop: Header=BB119_3 Depth=1
	s_or_b32 exec_lo, exec_lo, s45
	s_wait_dscnt 0x0
	s_barrier_signal -1
	s_barrier_wait -1
	s_barrier_signal -1
	s_barrier_wait -1
	s_and_saveexec_b32 s45, s2
; %bb.798:                              ;   in Loop: Header=BB119_3 Depth=1
	v_xor_b32_e32 v24, 0x80000000, v24
	ds_store_b32 v65, v24 offset:10408
; %bb.799:                              ;   in Loop: Header=BB119_3 Depth=1
	s_or_b32 exec_lo, exec_lo, s45
	s_wait_dscnt 0x0
	s_barrier_signal -1
	s_barrier_wait -1
	s_barrier_signal -1
	s_barrier_wait -1
	s_and_saveexec_b32 s45, s92
	s_cbranch_execz .LBB119_801
; %bb.800:                              ;   in Loop: Header=BB119_3 Depth=1
	ds_load_b32 v24, v57 offset:10408
	s_wait_dscnt 0x0
	ds_store_b32 v56, v24 offset:10912
	ds_load_b32 v24, v57 offset:10412
	s_wait_dscnt 0x0
	ds_store_b32 v56, v24 offset:11168
.LBB119_801:                            ;   in Loop: Header=BB119_3 Depth=1
	s_or_b32 exec_lo, exec_lo, s45
	s_wait_dscnt 0x0
	s_barrier_signal -1
	s_barrier_wait -1
	s_and_saveexec_b32 s45, s15
	s_cbranch_execz .LBB119_803
; %bb.802:                              ;   in Loop: Header=BB119_3 Depth=1
	ds_load_b64 v[24:25], v5 offset:10920
	ds_load_b32 v26, v5 offset:11180
	s_wait_dscnt 0x0
	v_mul_f32_e32 v24, v24, v26
	s_delay_alu instid0(VALU_DEP_1)
	v_mul_f32_e32 v24, v25, v24
	v_add_nc_u32_e64 v25, 0x2800, 0
	ds_store_2addr_b32 v25, v24, v24 offset0:171 offset1:234
.LBB119_803:                            ;   in Loop: Header=BB119_3 Depth=1
	s_or_b32 exec_lo, exec_lo, s45
	v_mov_b32_e32 v24, 0
	s_wait_dscnt 0x0
	s_barrier_signal -1
	s_barrier_wait -1
	s_and_saveexec_b32 s82, s4
	s_cbranch_execz .LBB119_809
; %bb.804:                              ;   in Loop: Header=BB119_3 Depth=1
	ds_load_b32 v24, v36 offset:10416
	ds_load_b32 v25, v31 offset:10400
	s_wait_dscnt 0x0
	v_fma_f32 v24, v24, v25, 0
	s_and_saveexec_b32 s45, s17
	s_cbranch_execnz .LBB119_1241
; %bb.805:                              ;   in Loop: Header=BB119_3 Depth=1
	s_or_b32 exec_lo, exec_lo, s45
	s_and_saveexec_b32 s45, s18
	s_cbranch_execnz .LBB119_1242
.LBB119_806:                            ;   in Loop: Header=BB119_3 Depth=1
	s_or_b32 exec_lo, exec_lo, s45
	s_and_saveexec_b32 s45, s2
	s_cbranch_execz .LBB119_808
.LBB119_807:                            ;   in Loop: Header=BB119_3 Depth=1
	ds_load_b32 v25, v58 offset:11184
	ds_load_b32 v26, v5 offset:10412
	s_wait_dscnt 0x0
	v_fmac_f32_e32 v24, v25, v26
.LBB119_808:                            ;   in Loop: Header=BB119_3 Depth=1
	s_or_b32 exec_lo, exec_lo, s45
	s_delay_alu instid0(VALU_DEP_1)
	v_xor_b32_e32 v24, 0x80000000, v24
.LBB119_809:                            ;   in Loop: Header=BB119_3 Depth=1
	s_or_b32 exec_lo, exec_lo, s82
	s_and_saveexec_b32 s45, s93
	s_cbranch_execz .LBB119_811
; %bb.810:                              ;   in Loop: Header=BB119_3 Depth=1
	ds_load_b32 v25, v5 offset:11440
	s_wait_dscnt 0x0
	v_mul_f32_e32 v24, v24, v25
	ds_store_b32 v35, v24
.LBB119_811:                            ;   in Loop: Header=BB119_3 Depth=1
	s_or_b32 exec_lo, exec_lo, s45
	s_wait_dscnt 0x0
	s_barrier_signal -1
	s_barrier_wait -1
	s_and_saveexec_b32 s45, s94
	s_cbranch_execz .LBB119_813
; %bb.812:                              ;   in Loop: Header=BB119_3 Depth=1
	ds_load_b32 v25, v33 offset:11440
	ds_load_b32 v26, v35
	s_wait_dscnt 0x0
	v_fmac_f32_e32 v24, v25, v26
.LBB119_813:                            ;   in Loop: Header=BB119_3 Depth=1
	s_or_b32 exec_lo, exec_lo, s45
	s_barrier_signal -1
	s_barrier_wait -1
	s_and_saveexec_b32 s45, s95
	s_cbranch_execz .LBB119_815
; %bb.814:                              ;   in Loop: Header=BB119_3 Depth=1
	ds_load_b32 v25, v5 offset:11700
	s_wait_dscnt 0x0
	v_mul_f32_e32 v24, v24, v25
	ds_store_b32 v35, v24
.LBB119_815:                            ;   in Loop: Header=BB119_3 Depth=1
	s_or_b32 exec_lo, exec_lo, s45
	s_wait_dscnt 0x0
	s_barrier_signal -1
	s_barrier_wait -1
	s_and_saveexec_b32 s45, s96
	s_cbranch_execz .LBB119_817
; %bb.816:                              ;   in Loop: Header=BB119_3 Depth=1
	ds_load_b32 v25, v33 offset:11696
	ds_load_b32 v26, v35
	s_wait_dscnt 0x0
	v_fmac_f32_e32 v24, v25, v26
.LBB119_817:                            ;   in Loop: Header=BB119_3 Depth=1
	s_or_b32 exec_lo, exec_lo, s45
	s_barrier_signal -1
	s_barrier_wait -1
	;; [unrolled: 23-line block ×3, first 2 shown]
	s_and_saveexec_b32 s45, s98
	s_cbranch_execz .LBB119_823
; %bb.822:                              ;   in Loop: Header=BB119_3 Depth=1
	ds_load_b32 v25, v5 offset:12220
	s_wait_dscnt 0x0
	v_mul_f32_e32 v24, v24, v25
	ds_store_b32 v35, v24
.LBB119_823:                            ;   in Loop: Header=BB119_3 Depth=1
	s_or_b32 exec_lo, exec_lo, s45
	s_wait_dscnt 0x0
	s_barrier_signal -1
	s_barrier_wait -1
	s_barrier_signal -1
	s_barrier_wait -1
	s_and_saveexec_b32 s45, s4
; %bb.824:                              ;   in Loop: Header=BB119_3 Depth=1
	v_xor_b32_e32 v24, 0x80000000, v24
	ds_store_b32 v36, v24 offset:10416
; %bb.825:                              ;   in Loop: Header=BB119_3 Depth=1
	s_or_b32 exec_lo, exec_lo, s45
	s_wait_dscnt 0x0
	s_barrier_signal -1
	s_barrier_wait -1
	s_barrier_signal -1
	s_barrier_wait -1
	s_and_saveexec_b32 s45, s99
	s_cbranch_execz .LBB119_827
; %bb.826:                              ;   in Loop: Header=BB119_3 Depth=1
	ds_load_b32 v24, v59 offset:10416
	s_wait_dscnt 0x0
	ds_store_b32 v60, v24 offset:11424
	ds_load_b32 v24, v59 offset:10420
	s_wait_dscnt 0x0
	ds_store_b32 v60, v24 offset:11680
	;; [unrolled: 3-line block ×4, first 2 shown]
.LBB119_827:                            ;   in Loop: Header=BB119_3 Depth=1
	s_or_b32 exec_lo, exec_lo, s45
	s_wait_dscnt 0x0
	s_barrier_signal -1
	s_barrier_wait -1
	s_and_saveexec_b32 s45, s15
	s_cbranch_execz .LBB119_829
; %bb.828:                              ;   in Loop: Header=BB119_3 Depth=1
	ds_load_b64 v[24:25], v5 offset:11440
	ds_load_b32 v26, v5 offset:11700
	s_wait_dscnt 0x0
	v_mul_f32_e32 v24, v24, v26
	s_delay_alu instid0(VALU_DEP_1)
	v_mul_f32_e32 v24, v25, v24
	v_add_nc_u32_e64 v25, 0x2c00, 0
	ds_store_2addr_b32 v25, v24, v24 offset0:45 offset1:108
.LBB119_829:                            ;   in Loop: Header=BB119_3 Depth=1
	s_or_b32 exec_lo, exec_lo, s45
	v_mov_b32_e32 v24, 0
	s_wait_dscnt 0x0
	s_barrier_signal -1
	s_barrier_wait -1
	s_and_saveexec_b32 s45, s2
	s_cbranch_execz .LBB119_833
; %bb.830:                              ;   in Loop: Header=BB119_3 Depth=1
	ds_load_b32 v24, v65 offset:11448
	ds_load_b32 v25, v29 offset:11440
	s_wait_dscnt 0x0
	v_fma_f32 v24, v24, v25, 0
	s_and_saveexec_b32 s46, s16
	s_cbranch_execz .LBB119_832
; %bb.831:                              ;   in Loop: Header=BB119_3 Depth=1
	ds_load_b32 v25, v60 offset:11704
	ds_load_b32 v26, v5 offset:11444
	s_wait_dscnt 0x0
	v_fmac_f32_e32 v24, v25, v26
.LBB119_832:                            ;   in Loop: Header=BB119_3 Depth=1
	s_or_b32 exec_lo, exec_lo, s46
	s_delay_alu instid0(VALU_DEP_1)
	v_xor_b32_e32 v24, 0x80000000, v24
.LBB119_833:                            ;   in Loop: Header=BB119_3 Depth=1
	s_or_b32 exec_lo, exec_lo, s45
	s_and_saveexec_b32 s45, s90
	s_cbranch_execz .LBB119_835
; %bb.834:                              ;   in Loop: Header=BB119_3 Depth=1
	ds_load_b32 v25, v5 offset:11960
	s_wait_dscnt 0x0
	v_mul_f32_e32 v24, v24, v25
	ds_store_b32 v3, v24
.LBB119_835:                            ;   in Loop: Header=BB119_3 Depth=1
	s_or_b32 exec_lo, exec_lo, s45
	s_wait_dscnt 0x0
	s_barrier_signal -1
	s_barrier_wait -1
	s_and_saveexec_b32 s45, s91
	s_cbranch_execz .LBB119_837
; %bb.836:                              ;   in Loop: Header=BB119_3 Depth=1
	ds_load_b32 v25, v5 offset:11964
	ds_load_b32 v26, v3
	s_wait_dscnt 0x0
	v_fmac_f32_e32 v24, v25, v26
.LBB119_837:                            ;   in Loop: Header=BB119_3 Depth=1
	s_or_b32 exec_lo, exec_lo, s45
	s_barrier_signal -1
	s_barrier_wait -1
	s_and_saveexec_b32 s45, s91
	s_cbranch_execz .LBB119_839
; %bb.838:                              ;   in Loop: Header=BB119_3 Depth=1
	ds_load_b32 v25, v5 offset:12220
	s_wait_dscnt 0x0
	v_mul_f32_e32 v24, v24, v25
	ds_store_b32 v3, v24
.LBB119_839:                            ;   in Loop: Header=BB119_3 Depth=1
	s_or_b32 exec_lo, exec_lo, s45
	s_wait_dscnt 0x0
	s_barrier_signal -1
	s_barrier_wait -1
	s_barrier_signal -1
	s_barrier_wait -1
	s_and_saveexec_b32 s45, s2
; %bb.840:                              ;   in Loop: Header=BB119_3 Depth=1
	v_xor_b32_e32 v24, 0x80000000, v24
	ds_store_b32 v65, v24 offset:11448
; %bb.841:                              ;   in Loop: Header=BB119_3 Depth=1
	s_or_b32 exec_lo, exec_lo, s45
	s_wait_dscnt 0x0
	s_barrier_signal -1
	s_barrier_wait -1
	s_barrier_signal -1
	s_barrier_wait -1
	s_and_saveexec_b32 s45, s92
	s_cbranch_execz .LBB119_843
; %bb.842:                              ;   in Loop: Header=BB119_3 Depth=1
	ds_load_b32 v24, v61 offset:11448
	s_wait_dscnt 0x0
	ds_store_b32 v60, v24 offset:11952
	ds_load_b32 v24, v61 offset:11452
	s_wait_dscnt 0x0
	ds_store_b32 v60, v24 offset:12208
.LBB119_843:                            ;   in Loop: Header=BB119_3 Depth=1
	s_or_b32 exec_lo, exec_lo, s45
	s_wait_dscnt 0x0
	s_barrier_signal -1
	s_barrier_wait -1
	s_and_saveexec_b32 s45, s15
	s_cbranch_execz .LBB119_845
; %bb.844:                              ;   in Loop: Header=BB119_3 Depth=1
	ds_load_b64 v[24:25], v5 offset:11960
	ds_load_b32 v26, v5 offset:12220
	s_wait_dscnt 0x0
	v_mul_f32_e32 v24, v24, v26
	s_delay_alu instid0(VALU_DEP_1)
	v_mul_f32_e32 v24, v25, v24
	v_add_nc_u32_e64 v25, 0x2c00, 0
	ds_store_2addr_b32 v25, v24, v24 offset0:175 offset1:238
.LBB119_845:                            ;   in Loop: Header=BB119_3 Depth=1
	s_or_b32 exec_lo, exec_lo, s45
	v_mov_b32_e32 v24, 0
	s_wait_dscnt 0x0
	s_barrier_signal -1
	s_barrier_wait -1
	s_and_saveexec_b32 s82, s6
	s_cbranch_execz .LBB119_873
; %bb.846:                              ;   in Loop: Header=BB119_3 Depth=1
	ds_load_b32 v24, v47 offset:8384
	ds_load_b32 v25, v44 offset:8320
	s_wait_dscnt 0x0
	v_fma_f32 v24, v24, v25, 0
	s_mov_b32 s45, exec_lo
	v_readlane_b32 s46, v91, 23
	s_and_b32 s46, s45, s46
	s_delay_alu instid0(SALU_CYCLE_1)
	s_mov_b32 exec_lo, s46
	s_cbranch_execz .LBB119_848
; %bb.847:                              ;   in Loop: Header=BB119_3 Depth=1
	ds_load_b32 v25, v48 offset:8640
	ds_load_b32 v26, v44 offset:8324
	s_wait_dscnt 0x0
	v_fmac_f32_e32 v24, v25, v26
.LBB119_848:                            ;   in Loop: Header=BB119_3 Depth=1
	s_or_b32 exec_lo, exec_lo, s45
	s_delay_alu instid0(SALU_CYCLE_1) | instskip(SKIP_2) | instid1(SALU_CYCLE_1)
	s_mov_b32 s45, exec_lo
	v_readlane_b32 s46, v91, 24
	s_and_b32 s46, s45, s46
	s_mov_b32 exec_lo, s46
	s_cbranch_execz .LBB119_850
; %bb.849:                              ;   in Loop: Header=BB119_3 Depth=1
	ds_load_b32 v25, v48 offset:8896
	ds_load_b32 v26, v44 offset:8328
	s_wait_dscnt 0x0
	v_fmac_f32_e32 v24, v25, v26
.LBB119_850:                            ;   in Loop: Header=BB119_3 Depth=1
	s_or_b32 exec_lo, exec_lo, s45
	s_delay_alu instid0(SALU_CYCLE_1) | instskip(SKIP_2) | instid1(SALU_CYCLE_1)
	s_mov_b32 s45, exec_lo
	v_readlane_b32 s46, v91, 25
	s_and_b32 s46, s45, s46
	;; [unrolled: 13-line block ×10, first 2 shown]
	s_mov_b32 exec_lo, s46
	s_cbranch_execnz .LBB119_1243
; %bb.867:                              ;   in Loop: Header=BB119_3 Depth=1
	s_or_b32 exec_lo, exec_lo, s45
	s_and_saveexec_b32 s45, s5
	s_cbranch_execnz .LBB119_1244
.LBB119_868:                            ;   in Loop: Header=BB119_3 Depth=1
	s_or_b32 exec_lo, exec_lo, s45
	s_and_saveexec_b32 s45, s20
	s_cbranch_execnz .LBB119_1245
.LBB119_869:                            ;   in Loop: Header=BB119_3 Depth=1
	s_or_b32 exec_lo, exec_lo, s45
	s_and_saveexec_b32 s45, s22
	s_cbranch_execnz .LBB119_1246
.LBB119_870:                            ;   in Loop: Header=BB119_3 Depth=1
	s_or_b32 exec_lo, exec_lo, s45
	s_and_saveexec_b32 s45, s4
	s_cbranch_execz .LBB119_872
.LBB119_871:                            ;   in Loop: Header=BB119_3 Depth=1
	ds_load_b32 v25, v30 offset:12224
	ds_load_b32 v26, v5 offset:8380
	s_wait_dscnt 0x0
	v_fmac_f32_e32 v24, v25, v26
.LBB119_872:                            ;   in Loop: Header=BB119_3 Depth=1
	s_or_b32 exec_lo, exec_lo, s45
	s_delay_alu instid0(VALU_DEP_1)
	v_xor_b32_e32 v24, 0x80000000, v24
.LBB119_873:                            ;   in Loop: Header=BB119_3 Depth=1
	s_or_b32 exec_lo, exec_lo, s82
	s_delay_alu instid0(SALU_CYCLE_1) | instskip(SKIP_2) | instid1(SALU_CYCLE_1)
	s_mov_b32 s45, exec_lo
	v_readlane_b32 s46, v93, 3
	s_and_b32 s46, s45, s46
	s_mov_b32 exec_lo, s46
	s_cbranch_execz .LBB119_875
; %bb.874:                              ;   in Loop: Header=BB119_3 Depth=1
	ds_load_b32 v25, v5 offset:12480
	s_wait_dscnt 0x0
	v_mul_f32_e32 v24, v24, v25
	ds_store_b32 v46, v24
.LBB119_875:                            ;   in Loop: Header=BB119_3 Depth=1
	s_or_b32 exec_lo, exec_lo, s45
	s_wait_dscnt 0x0
	s_barrier_signal -1
	s_barrier_wait -1
	s_mov_b32 s45, exec_lo
	v_readlane_b32 s46, v93, 4
	s_and_b32 s46, s45, s46
	s_delay_alu instid0(SALU_CYCLE_1)
	s_mov_b32 exec_lo, s46
	s_cbranch_execz .LBB119_877
; %bb.876:                              ;   in Loop: Header=BB119_3 Depth=1
	ds_load_b32 v25, v45 offset:12480
	ds_load_b32 v26, v46
	s_wait_dscnt 0x0
	v_fmac_f32_e32 v24, v25, v26
.LBB119_877:                            ;   in Loop: Header=BB119_3 Depth=1
	s_or_b32 exec_lo, exec_lo, s45
	s_barrier_signal -1
	s_barrier_wait -1
	s_mov_b32 s45, exec_lo
	v_readlane_b32 s46, v93, 5
	s_and_b32 s46, s45, s46
	s_delay_alu instid0(SALU_CYCLE_1)
	s_mov_b32 exec_lo, s46
	s_cbranch_execz .LBB119_879
; %bb.878:                              ;   in Loop: Header=BB119_3 Depth=1
	ds_load_b32 v25, v5 offset:12740
	s_wait_dscnt 0x0
	v_mul_f32_e32 v24, v24, v25
	ds_store_b32 v46, v24
.LBB119_879:                            ;   in Loop: Header=BB119_3 Depth=1
	s_or_b32 exec_lo, exec_lo, s45
	s_wait_dscnt 0x0
	s_barrier_signal -1
	s_barrier_wait -1
	s_mov_b32 s45, exec_lo
	v_readlane_b32 s46, v93, 6
	s_and_b32 s46, s45, s46
	s_delay_alu instid0(SALU_CYCLE_1)
	s_mov_b32 exec_lo, s46
	s_cbranch_execz .LBB119_881
; %bb.880:                              ;   in Loop: Header=BB119_3 Depth=1
	ds_load_b32 v25, v45 offset:12736
	ds_load_b32 v26, v46
	s_wait_dscnt 0x0
	v_fmac_f32_e32 v24, v25, v26
.LBB119_881:                            ;   in Loop: Header=BB119_3 Depth=1
	s_or_b32 exec_lo, exec_lo, s45
	s_barrier_signal -1
	s_barrier_wait -1
	s_and_saveexec_b32 s45, s49
	s_cbranch_execz .LBB119_883
; %bb.882:                              ;   in Loop: Header=BB119_3 Depth=1
	ds_load_b32 v25, v5 offset:13000
	s_wait_dscnt 0x0
	v_mul_f32_e32 v24, v24, v25
	ds_store_b32 v46, v24
.LBB119_883:                            ;   in Loop: Header=BB119_3 Depth=1
	s_or_b32 exec_lo, exec_lo, s45
	s_wait_dscnt 0x0
	s_barrier_signal -1
	s_barrier_wait -1
	s_and_saveexec_b32 s45, s50
	s_cbranch_execz .LBB119_885
; %bb.884:                              ;   in Loop: Header=BB119_3 Depth=1
	ds_load_b32 v25, v45 offset:12992
	ds_load_b32 v26, v46
	s_wait_dscnt 0x0
	v_fmac_f32_e32 v24, v25, v26
.LBB119_885:                            ;   in Loop: Header=BB119_3 Depth=1
	s_or_b32 exec_lo, exec_lo, s45
	s_barrier_signal -1
	s_barrier_wait -1
	s_and_saveexec_b32 s45, s51
	s_cbranch_execz .LBB119_887
; %bb.886:                              ;   in Loop: Header=BB119_3 Depth=1
	ds_load_b32 v25, v5 offset:13260
	s_wait_dscnt 0x0
	v_mul_f32_e32 v24, v24, v25
	ds_store_b32 v46, v24
.LBB119_887:                            ;   in Loop: Header=BB119_3 Depth=1
	s_or_b32 exec_lo, exec_lo, s45
	s_wait_dscnt 0x0
	s_barrier_signal -1
	s_barrier_wait -1
	s_and_saveexec_b32 s45, s52
	;; [unrolled: 23-line block ×13, first 2 shown]
	s_cbranch_execz .LBB119_933
; %bb.932:                              ;   in Loop: Header=BB119_3 Depth=1
	ds_load_b32 v25, v5 offset:16124
	ds_load_b32 v26, v46
	s_wait_dscnt 0x0
	v_fmac_f32_e32 v24, v25, v26
.LBB119_933:                            ;   in Loop: Header=BB119_3 Depth=1
	s_or_b32 exec_lo, exec_lo, s45
	s_barrier_signal -1
	s_barrier_wait -1
	s_and_saveexec_b32 s45, s31
	s_cbranch_execz .LBB119_935
; %bb.934:                              ;   in Loop: Header=BB119_3 Depth=1
	ds_load_b32 v25, v5 offset:16380
	s_wait_dscnt 0x0
	v_mul_f32_e32 v24, v24, v25
	ds_store_b32 v46, v24
.LBB119_935:                            ;   in Loop: Header=BB119_3 Depth=1
	s_or_b32 exec_lo, exec_lo, s45
	s_wait_dscnt 0x0
	s_barrier_signal -1
	s_barrier_wait -1
	s_barrier_signal -1
	s_barrier_wait -1
	s_and_saveexec_b32 s45, s6
; %bb.936:                              ;   in Loop: Header=BB119_3 Depth=1
	v_xor_b32_e32 v24, 0x80000000, v24
	ds_store_b32 v47, v24 offset:8384
; %bb.937:                              ;   in Loop: Header=BB119_3 Depth=1
	s_or_b32 exec_lo, exec_lo, s45
	s_wait_dscnt 0x0
	s_barrier_signal -1
	s_barrier_wait -1
	s_barrier_signal -1
	s_barrier_wait -1
	s_and_saveexec_b32 s45, s34
	s_cbranch_execz .LBB119_939
; %bb.938:                              ;   in Loop: Header=BB119_3 Depth=1
	ds_load_b32 v24, v34 offset:8384
	s_wait_dscnt 0x0
	ds_store_b32 v38, v24 offset:12416
	ds_load_b32 v24, v34 offset:8388
	s_wait_dscnt 0x0
	ds_store_b32 v38, v24 offset:12672
	;; [unrolled: 3-line block ×16, first 2 shown]
.LBB119_939:                            ;   in Loop: Header=BB119_3 Depth=1
	s_or_b32 exec_lo, exec_lo, s45
	s_wait_dscnt 0x0
	s_barrier_signal -1
	s_barrier_wait -1
	s_and_saveexec_b32 s45, s15
	s_cbranch_execz .LBB119_941
; %bb.940:                              ;   in Loop: Header=BB119_3 Depth=1
	ds_load_b64 v[24:25], v5 offset:12480
	ds_load_b32 v26, v5 offset:12740
	s_wait_dscnt 0x0
	v_mul_f32_e32 v24, v24, v26
	s_delay_alu instid0(VALU_DEP_1)
	v_mul_f32_e32 v24, v25, v24
	v_add_nc_u32_e64 v25, 0x3000, 0
	ds_store_2addr_b32 v25, v24, v24 offset0:49 offset1:112
.LBB119_941:                            ;   in Loop: Header=BB119_3 Depth=1
	s_or_b32 exec_lo, exec_lo, s45
	v_mov_b32_e32 v24, 0
	s_wait_dscnt 0x0
	s_barrier_signal -1
	s_barrier_wait -1
	s_and_saveexec_b32 s45, s2
	s_cbranch_execz .LBB119_945
; %bb.942:                              ;   in Loop: Header=BB119_3 Depth=1
	ds_load_b32 v24, v65 offset:12488
	ds_load_b32 v25, v29 offset:12480
	s_wait_dscnt 0x0
	v_fma_f32 v24, v24, v25, 0
	s_and_saveexec_b32 s46, s16
	s_cbranch_execz .LBB119_944
; %bb.943:                              ;   in Loop: Header=BB119_3 Depth=1
	ds_load_b32 v25, v30 offset:12744
	ds_load_b32 v26, v5 offset:12484
	s_wait_dscnt 0x0
	v_fmac_f32_e32 v24, v25, v26
.LBB119_944:                            ;   in Loop: Header=BB119_3 Depth=1
	s_or_b32 exec_lo, exec_lo, s46
	s_delay_alu instid0(VALU_DEP_1)
	v_xor_b32_e32 v24, 0x80000000, v24
.LBB119_945:                            ;   in Loop: Header=BB119_3 Depth=1
	s_or_b32 exec_lo, exec_lo, s45
	s_and_saveexec_b32 s45, s90
	s_cbranch_execz .LBB119_947
; %bb.946:                              ;   in Loop: Header=BB119_3 Depth=1
	ds_load_b32 v25, v5 offset:13000
	s_wait_dscnt 0x0
	v_mul_f32_e32 v24, v24, v25
	ds_store_b32 v3, v24
.LBB119_947:                            ;   in Loop: Header=BB119_3 Depth=1
	s_or_b32 exec_lo, exec_lo, s45
	s_wait_dscnt 0x0
	s_barrier_signal -1
	s_barrier_wait -1
	s_and_saveexec_b32 s45, s91
	s_cbranch_execz .LBB119_949
; %bb.948:                              ;   in Loop: Header=BB119_3 Depth=1
	ds_load_b32 v25, v5 offset:13004
	ds_load_b32 v26, v3
	s_wait_dscnt 0x0
	v_fmac_f32_e32 v24, v25, v26
.LBB119_949:                            ;   in Loop: Header=BB119_3 Depth=1
	s_or_b32 exec_lo, exec_lo, s45
	s_barrier_signal -1
	s_barrier_wait -1
	s_and_saveexec_b32 s45, s91
	s_cbranch_execz .LBB119_951
; %bb.950:                              ;   in Loop: Header=BB119_3 Depth=1
	ds_load_b32 v25, v5 offset:13260
	s_wait_dscnt 0x0
	v_mul_f32_e32 v24, v24, v25
	ds_store_b32 v3, v24
.LBB119_951:                            ;   in Loop: Header=BB119_3 Depth=1
	s_or_b32 exec_lo, exec_lo, s45
	s_wait_dscnt 0x0
	s_barrier_signal -1
	s_barrier_wait -1
	s_barrier_signal -1
	s_barrier_wait -1
	s_and_saveexec_b32 s45, s2
; %bb.952:                              ;   in Loop: Header=BB119_3 Depth=1
	v_xor_b32_e32 v24, 0x80000000, v24
	ds_store_b32 v65, v24 offset:12488
; %bb.953:                              ;   in Loop: Header=BB119_3 Depth=1
	s_or_b32 exec_lo, exec_lo, s45
	s_wait_dscnt 0x0
	s_barrier_signal -1
	s_barrier_wait -1
	s_barrier_signal -1
	s_barrier_wait -1
	s_and_saveexec_b32 s45, s92
	s_cbranch_execz .LBB119_955
; %bb.954:                              ;   in Loop: Header=BB119_3 Depth=1
	ds_load_b32 v24, v34 offset:12488
	s_wait_dscnt 0x0
	ds_store_b32 v30, v24 offset:12992
	ds_load_b32 v24, v34 offset:12492
	s_wait_dscnt 0x0
	ds_store_b32 v30, v24 offset:13248
.LBB119_955:                            ;   in Loop: Header=BB119_3 Depth=1
	s_or_b32 exec_lo, exec_lo, s45
	s_wait_dscnt 0x0
	s_barrier_signal -1
	s_barrier_wait -1
	s_and_saveexec_b32 s45, s15
	s_cbranch_execz .LBB119_957
; %bb.956:                              ;   in Loop: Header=BB119_3 Depth=1
	ds_load_b64 v[24:25], v5 offset:13000
	ds_load_b32 v26, v5 offset:13260
	s_wait_dscnt 0x0
	v_mul_f32_e32 v24, v24, v26
	s_delay_alu instid0(VALU_DEP_1)
	v_mul_f32_e32 v24, v25, v24
	v_add_nc_u32_e64 v25, 0x3000, 0
	ds_store_2addr_b32 v25, v24, v24 offset0:179 offset1:242
.LBB119_957:                            ;   in Loop: Header=BB119_3 Depth=1
	s_or_b32 exec_lo, exec_lo, s45
	v_mov_b32_e32 v24, 0
	s_wait_dscnt 0x0
	s_barrier_signal -1
	s_barrier_wait -1
	s_and_saveexec_b32 s82, s4
	s_cbranch_execz .LBB119_963
; %bb.958:                              ;   in Loop: Header=BB119_3 Depth=1
	ds_load_b32 v24, v36 offset:12496
	ds_load_b32 v25, v31 offset:12480
	s_wait_dscnt 0x0
	v_fma_f32 v24, v24, v25, 0
	s_and_saveexec_b32 s45, s17
	s_cbranch_execnz .LBB119_1247
; %bb.959:                              ;   in Loop: Header=BB119_3 Depth=1
	s_or_b32 exec_lo, exec_lo, s45
	s_and_saveexec_b32 s45, s18
	s_cbranch_execnz .LBB119_1248
.LBB119_960:                            ;   in Loop: Header=BB119_3 Depth=1
	s_or_b32 exec_lo, exec_lo, s45
	s_and_saveexec_b32 s45, s2
	s_cbranch_execz .LBB119_962
.LBB119_961:                            ;   in Loop: Header=BB119_3 Depth=1
	ds_load_b32 v25, v38 offset:13264
	ds_load_b32 v26, v5 offset:12492
	s_wait_dscnt 0x0
	v_fmac_f32_e32 v24, v25, v26
.LBB119_962:                            ;   in Loop: Header=BB119_3 Depth=1
	s_or_b32 exec_lo, exec_lo, s45
	s_delay_alu instid0(VALU_DEP_1)
	v_xor_b32_e32 v24, 0x80000000, v24
.LBB119_963:                            ;   in Loop: Header=BB119_3 Depth=1
	s_or_b32 exec_lo, exec_lo, s82
	s_and_saveexec_b32 s45, s93
	s_cbranch_execz .LBB119_965
; %bb.964:                              ;   in Loop: Header=BB119_3 Depth=1
	ds_load_b32 v25, v5 offset:13520
	s_wait_dscnt 0x0
	v_mul_f32_e32 v24, v24, v25
	ds_store_b32 v35, v24
.LBB119_965:                            ;   in Loop: Header=BB119_3 Depth=1
	s_or_b32 exec_lo, exec_lo, s45
	s_wait_dscnt 0x0
	s_barrier_signal -1
	s_barrier_wait -1
	s_and_saveexec_b32 s45, s94
	s_cbranch_execz .LBB119_967
; %bb.966:                              ;   in Loop: Header=BB119_3 Depth=1
	ds_load_b32 v25, v33 offset:13520
	ds_load_b32 v26, v35
	s_wait_dscnt 0x0
	v_fmac_f32_e32 v24, v25, v26
.LBB119_967:                            ;   in Loop: Header=BB119_3 Depth=1
	s_or_b32 exec_lo, exec_lo, s45
	s_barrier_signal -1
	s_barrier_wait -1
	s_and_saveexec_b32 s45, s95
	s_cbranch_execz .LBB119_969
; %bb.968:                              ;   in Loop: Header=BB119_3 Depth=1
	ds_load_b32 v25, v5 offset:13780
	s_wait_dscnt 0x0
	v_mul_f32_e32 v24, v24, v25
	ds_store_b32 v35, v24
.LBB119_969:                            ;   in Loop: Header=BB119_3 Depth=1
	s_or_b32 exec_lo, exec_lo, s45
	s_wait_dscnt 0x0
	s_barrier_signal -1
	s_barrier_wait -1
	s_and_saveexec_b32 s45, s96
	s_cbranch_execz .LBB119_971
; %bb.970:                              ;   in Loop: Header=BB119_3 Depth=1
	ds_load_b32 v25, v33 offset:13776
	ds_load_b32 v26, v35
	s_wait_dscnt 0x0
	v_fmac_f32_e32 v24, v25, v26
.LBB119_971:                            ;   in Loop: Header=BB119_3 Depth=1
	s_or_b32 exec_lo, exec_lo, s45
	s_barrier_signal -1
	s_barrier_wait -1
	;; [unrolled: 23-line block ×3, first 2 shown]
	s_and_saveexec_b32 s45, s98
	s_cbranch_execz .LBB119_977
; %bb.976:                              ;   in Loop: Header=BB119_3 Depth=1
	ds_load_b32 v25, v5 offset:14300
	s_wait_dscnt 0x0
	v_mul_f32_e32 v24, v24, v25
	ds_store_b32 v35, v24
.LBB119_977:                            ;   in Loop: Header=BB119_3 Depth=1
	s_or_b32 exec_lo, exec_lo, s45
	s_wait_dscnt 0x0
	s_barrier_signal -1
	s_barrier_wait -1
	s_barrier_signal -1
	s_barrier_wait -1
	s_and_saveexec_b32 s45, s4
; %bb.978:                              ;   in Loop: Header=BB119_3 Depth=1
	v_xor_b32_e32 v24, 0x80000000, v24
	ds_store_b32 v36, v24 offset:12496
; %bb.979:                              ;   in Loop: Header=BB119_3 Depth=1
	s_or_b32 exec_lo, exec_lo, s45
	s_wait_dscnt 0x0
	s_barrier_signal -1
	s_barrier_wait -1
	s_barrier_signal -1
	s_barrier_wait -1
	s_and_saveexec_b32 s45, s99
	s_cbranch_execz .LBB119_981
; %bb.980:                              ;   in Loop: Header=BB119_3 Depth=1
	ds_load_b32 v24, v51 offset:12496
	s_wait_dscnt 0x0
	ds_store_b32 v52, v24 offset:13504
	ds_load_b32 v24, v51 offset:12500
	s_wait_dscnt 0x0
	ds_store_b32 v52, v24 offset:13760
	;; [unrolled: 3-line block ×4, first 2 shown]
.LBB119_981:                            ;   in Loop: Header=BB119_3 Depth=1
	s_or_b32 exec_lo, exec_lo, s45
	s_wait_dscnt 0x0
	s_barrier_signal -1
	s_barrier_wait -1
	s_and_saveexec_b32 s45, s15
	s_cbranch_execz .LBB119_983
; %bb.982:                              ;   in Loop: Header=BB119_3 Depth=1
	ds_load_b64 v[24:25], v5 offset:13520
	ds_load_b32 v26, v5 offset:13780
	s_wait_dscnt 0x0
	v_mul_f32_e32 v24, v24, v26
	s_delay_alu instid0(VALU_DEP_1)
	v_mul_f32_e32 v24, v25, v24
	v_add_nc_u32_e64 v25, 0x3400, 0
	ds_store_2addr_b32 v25, v24, v24 offset0:53 offset1:116
.LBB119_983:                            ;   in Loop: Header=BB119_3 Depth=1
	s_or_b32 exec_lo, exec_lo, s45
	v_mov_b32_e32 v24, 0
	s_wait_dscnt 0x0
	s_barrier_signal -1
	s_barrier_wait -1
	s_and_saveexec_b32 s45, s2
	s_cbranch_execz .LBB119_987
; %bb.984:                              ;   in Loop: Header=BB119_3 Depth=1
	ds_load_b32 v24, v65 offset:13528
	ds_load_b32 v25, v29 offset:13520
	s_wait_dscnt 0x0
	v_fma_f32 v24, v24, v25, 0
	s_and_saveexec_b32 s46, s16
	s_cbranch_execz .LBB119_986
; %bb.985:                              ;   in Loop: Header=BB119_3 Depth=1
	ds_load_b32 v25, v52 offset:13784
	ds_load_b32 v26, v5 offset:13524
	s_wait_dscnt 0x0
	v_fmac_f32_e32 v24, v25, v26
.LBB119_986:                            ;   in Loop: Header=BB119_3 Depth=1
	s_or_b32 exec_lo, exec_lo, s46
	s_delay_alu instid0(VALU_DEP_1)
	v_xor_b32_e32 v24, 0x80000000, v24
.LBB119_987:                            ;   in Loop: Header=BB119_3 Depth=1
	s_or_b32 exec_lo, exec_lo, s45
	s_and_saveexec_b32 s45, s90
	s_cbranch_execz .LBB119_989
; %bb.988:                              ;   in Loop: Header=BB119_3 Depth=1
	ds_load_b32 v25, v5 offset:14040
	s_wait_dscnt 0x0
	v_mul_f32_e32 v24, v24, v25
	ds_store_b32 v3, v24
.LBB119_989:                            ;   in Loop: Header=BB119_3 Depth=1
	s_or_b32 exec_lo, exec_lo, s45
	s_wait_dscnt 0x0
	s_barrier_signal -1
	s_barrier_wait -1
	s_and_saveexec_b32 s45, s91
	s_cbranch_execz .LBB119_991
; %bb.990:                              ;   in Loop: Header=BB119_3 Depth=1
	ds_load_b32 v25, v5 offset:14044
	ds_load_b32 v26, v3
	s_wait_dscnt 0x0
	v_fmac_f32_e32 v24, v25, v26
.LBB119_991:                            ;   in Loop: Header=BB119_3 Depth=1
	s_or_b32 exec_lo, exec_lo, s45
	s_barrier_signal -1
	s_barrier_wait -1
	s_and_saveexec_b32 s45, s91
	s_cbranch_execz .LBB119_993
; %bb.992:                              ;   in Loop: Header=BB119_3 Depth=1
	ds_load_b32 v25, v5 offset:14300
	s_wait_dscnt 0x0
	v_mul_f32_e32 v24, v24, v25
	ds_store_b32 v3, v24
.LBB119_993:                            ;   in Loop: Header=BB119_3 Depth=1
	s_or_b32 exec_lo, exec_lo, s45
	s_wait_dscnt 0x0
	s_barrier_signal -1
	s_barrier_wait -1
	s_barrier_signal -1
	s_barrier_wait -1
	s_and_saveexec_b32 s45, s2
; %bb.994:                              ;   in Loop: Header=BB119_3 Depth=1
	v_xor_b32_e32 v24, 0x80000000, v24
	ds_store_b32 v65, v24 offset:13528
; %bb.995:                              ;   in Loop: Header=BB119_3 Depth=1
	s_or_b32 exec_lo, exec_lo, s45
	s_wait_dscnt 0x0
	s_barrier_signal -1
	s_barrier_wait -1
	s_barrier_signal -1
	s_barrier_wait -1
	s_and_saveexec_b32 s45, s92
	s_cbranch_execz .LBB119_997
; %bb.996:                              ;   in Loop: Header=BB119_3 Depth=1
	ds_load_b32 v24, v53 offset:13528
	s_wait_dscnt 0x0
	ds_store_b32 v52, v24 offset:14032
	ds_load_b32 v24, v53 offset:13532
	s_wait_dscnt 0x0
	ds_store_b32 v52, v24 offset:14288
.LBB119_997:                            ;   in Loop: Header=BB119_3 Depth=1
	s_or_b32 exec_lo, exec_lo, s45
	s_wait_dscnt 0x0
	s_barrier_signal -1
	s_barrier_wait -1
	s_and_saveexec_b32 s45, s15
	s_cbranch_execz .LBB119_999
; %bb.998:                              ;   in Loop: Header=BB119_3 Depth=1
	ds_load_b64 v[24:25], v5 offset:14040
	ds_load_b32 v26, v5 offset:14300
	s_wait_dscnt 0x0
	v_mul_f32_e32 v24, v24, v26
	s_delay_alu instid0(VALU_DEP_1)
	v_mul_f32_e32 v24, v25, v24
	v_add_nc_u32_e64 v25, 0x3400, 0
	ds_store_2addr_b32 v25, v24, v24 offset0:183 offset1:246
.LBB119_999:                            ;   in Loop: Header=BB119_3 Depth=1
	s_or_b32 exec_lo, exec_lo, s45
	v_mov_b32_e32 v24, 0
	s_wait_dscnt 0x0
	s_barrier_signal -1
	s_barrier_wait -1
	s_and_saveexec_b32 s82, s5
	s_cbranch_execz .LBB119_1009
; %bb.1000:                             ;   in Loop: Header=BB119_3 Depth=1
	ds_load_b32 v24, v42 offset:12512
	ds_load_b32 v25, v39 offset:12480
	s_wait_dscnt 0x0
	v_fma_f32 v24, v24, v25, 0
	s_and_saveexec_b32 s45, s19
	s_cbranch_execnz .LBB119_1249
; %bb.1001:                             ;   in Loop: Header=BB119_3 Depth=1
	s_or_b32 exec_lo, exec_lo, s45
	s_and_saveexec_b32 s45, s20
	s_cbranch_execnz .LBB119_1250
.LBB119_1002:                           ;   in Loop: Header=BB119_3 Depth=1
	s_or_b32 exec_lo, exec_lo, s45
	s_and_saveexec_b32 s45, s21
	s_cbranch_execnz .LBB119_1251
.LBB119_1003:                           ;   in Loop: Header=BB119_3 Depth=1
	s_or_b32 exec_lo, exec_lo, s45
	s_and_saveexec_b32 s45, s22
	s_cbranch_execnz .LBB119_1252
.LBB119_1004:                           ;   in Loop: Header=BB119_3 Depth=1
	s_or_b32 exec_lo, exec_lo, s45
	s_and_saveexec_b32 s45, s23
	s_cbranch_execnz .LBB119_1253
.LBB119_1005:                           ;   in Loop: Header=BB119_3 Depth=1
	s_or_b32 exec_lo, exec_lo, s45
	s_and_saveexec_b32 s45, s4
	s_cbranch_execnz .LBB119_1254
.LBB119_1006:                           ;   in Loop: Header=BB119_3 Depth=1
	s_or_b32 exec_lo, exec_lo, s45
	s_and_saveexec_b32 s45, s18
	s_cbranch_execz .LBB119_1008
.LBB119_1007:                           ;   in Loop: Header=BB119_3 Depth=1
	ds_load_b32 v25, v54 offset:14304
	ds_load_b32 v26, v5 offset:12508
	s_wait_dscnt 0x0
	v_fmac_f32_e32 v24, v25, v26
.LBB119_1008:                           ;   in Loop: Header=BB119_3 Depth=1
	s_or_b32 exec_lo, exec_lo, s45
	s_delay_alu instid0(VALU_DEP_1)
	v_xor_b32_e32 v24, 0x80000000, v24
.LBB119_1009:                           ;   in Loop: Header=BB119_3 Depth=1
	s_or_b32 exec_lo, exec_lo, s82
	s_and_saveexec_b32 s45, s100
	s_cbranch_execz .LBB119_1011
; %bb.1010:                             ;   in Loop: Header=BB119_3 Depth=1
	ds_load_b32 v25, v5 offset:14560
	s_wait_dscnt 0x0
	v_mul_f32_e32 v24, v24, v25
	ds_store_b32 v41, v24
.LBB119_1011:                           ;   in Loop: Header=BB119_3 Depth=1
	s_or_b32 exec_lo, exec_lo, s45
	s_wait_dscnt 0x0
	s_barrier_signal -1
	s_barrier_wait -1
	s_and_saveexec_b32 s45, s101
	s_cbranch_execz .LBB119_1013
; %bb.1012:                             ;   in Loop: Header=BB119_3 Depth=1
	ds_load_b32 v25, v40 offset:14560
	ds_load_b32 v26, v41
	s_wait_dscnt 0x0
	v_fmac_f32_e32 v24, v25, v26
.LBB119_1013:                           ;   in Loop: Header=BB119_3 Depth=1
	s_or_b32 exec_lo, exec_lo, s45
	s_barrier_signal -1
	s_barrier_wait -1
	s_and_saveexec_b32 s45, s102
	s_cbranch_execz .LBB119_1015
; %bb.1014:                             ;   in Loop: Header=BB119_3 Depth=1
	ds_load_b32 v25, v5 offset:14820
	s_wait_dscnt 0x0
	v_mul_f32_e32 v24, v24, v25
	ds_store_b32 v41, v24
.LBB119_1015:                           ;   in Loop: Header=BB119_3 Depth=1
	s_or_b32 exec_lo, exec_lo, s45
	s_wait_dscnt 0x0
	s_barrier_signal -1
	s_barrier_wait -1
	s_and_saveexec_b32 s45, s103
	s_cbranch_execz .LBB119_1017
; %bb.1016:                             ;   in Loop: Header=BB119_3 Depth=1
	ds_load_b32 v25, v40 offset:14816
	ds_load_b32 v26, v41
	s_wait_dscnt 0x0
	v_fmac_f32_e32 v24, v25, v26
.LBB119_1017:                           ;   in Loop: Header=BB119_3 Depth=1
	s_or_b32 exec_lo, exec_lo, s45
	s_barrier_signal -1
	s_barrier_wait -1
	s_and_saveexec_b32 s45, s104
	s_cbranch_execz .LBB119_1019
; %bb.1018:                             ;   in Loop: Header=BB119_3 Depth=1
	ds_load_b32 v25, v5 offset:15080
	s_wait_dscnt 0x0
	v_mul_f32_e32 v24, v24, v25
	ds_store_b32 v41, v24
.LBB119_1019:                           ;   in Loop: Header=BB119_3 Depth=1
	s_or_b32 exec_lo, exec_lo, s45
	s_wait_dscnt 0x0
	s_barrier_signal -1
	s_barrier_wait -1
	s_and_saveexec_b32 s45, vcc_hi
	s_cbranch_execz .LBB119_1021
; %bb.1020:                             ;   in Loop: Header=BB119_3 Depth=1
	ds_load_b32 v25, v40 offset:15072
	ds_load_b32 v26, v41
	s_wait_dscnt 0x0
	v_fmac_f32_e32 v24, v25, v26
.LBB119_1021:                           ;   in Loop: Header=BB119_3 Depth=1
	s_or_b32 exec_lo, exec_lo, s45
	s_barrier_signal -1
	s_barrier_wait -1
	s_and_saveexec_b32 s45, s36
	s_cbranch_execz .LBB119_1023
; %bb.1022:                             ;   in Loop: Header=BB119_3 Depth=1
	ds_load_b32 v25, v5 offset:15340
	s_wait_dscnt 0x0
	v_mul_f32_e32 v24, v24, v25
	ds_store_b32 v41, v24
.LBB119_1023:                           ;   in Loop: Header=BB119_3 Depth=1
	s_or_b32 exec_lo, exec_lo, s45
	s_wait_dscnt 0x0
	s_barrier_signal -1
	s_barrier_wait -1
	s_and_saveexec_b32 s45, s37
	s_cbranch_execz .LBB119_1025
; %bb.1024:                             ;   in Loop: Header=BB119_3 Depth=1
	ds_load_b32 v25, v40 offset:15328
	ds_load_b32 v26, v41
	s_wait_dscnt 0x0
	v_fmac_f32_e32 v24, v25, v26
.LBB119_1025:                           ;   in Loop: Header=BB119_3 Depth=1
	s_or_b32 exec_lo, exec_lo, s45
	s_barrier_signal -1
	s_barrier_wait -1
	s_and_saveexec_b32 s45, s38
	s_cbranch_execz .LBB119_1027
; %bb.1026:                             ;   in Loop: Header=BB119_3 Depth=1
	ds_load_b32 v25, v5 offset:15600
	s_wait_dscnt 0x0
	v_mul_f32_e32 v24, v24, v25
	ds_store_b32 v41, v24
.LBB119_1027:                           ;   in Loop: Header=BB119_3 Depth=1
	s_or_b32 exec_lo, exec_lo, s45
	s_wait_dscnt 0x0
	s_barrier_signal -1
	s_barrier_wait -1
	s_and_saveexec_b32 s45, s39
	;; [unrolled: 23-line block ×4, first 2 shown]
	s_cbranch_execz .LBB119_1037
; %bb.1036:                             ;   in Loop: Header=BB119_3 Depth=1
	ds_load_b32 v25, v5 offset:16124
	ds_load_b32 v26, v41
	s_wait_dscnt 0x0
	v_fmac_f32_e32 v24, v25, v26
.LBB119_1037:                           ;   in Loop: Header=BB119_3 Depth=1
	s_or_b32 exec_lo, exec_lo, s45
	s_barrier_signal -1
	s_barrier_wait -1
	s_and_saveexec_b32 s45, s43
	s_cbranch_execz .LBB119_1039
; %bb.1038:                             ;   in Loop: Header=BB119_3 Depth=1
	ds_load_b32 v25, v5 offset:16380
	s_wait_dscnt 0x0
	v_mul_f32_e32 v24, v24, v25
	ds_store_b32 v41, v24
.LBB119_1039:                           ;   in Loop: Header=BB119_3 Depth=1
	s_or_b32 exec_lo, exec_lo, s45
	s_wait_dscnt 0x0
	s_barrier_signal -1
	s_barrier_wait -1
	s_barrier_signal -1
	s_barrier_wait -1
	s_and_saveexec_b32 s45, s5
; %bb.1040:                             ;   in Loop: Header=BB119_3 Depth=1
	v_xor_b32_e32 v24, 0x80000000, v24
	ds_store_b32 v42, v24 offset:12512
; %bb.1041:                             ;   in Loop: Header=BB119_3 Depth=1
	s_or_b32 exec_lo, exec_lo, s45
	s_wait_dscnt 0x0
	s_barrier_signal -1
	s_barrier_wait -1
	s_barrier_signal -1
	s_barrier_wait -1
	s_and_saveexec_b32 s45, s44
	s_cbranch_execz .LBB119_1043
; %bb.1042:                             ;   in Loop: Header=BB119_3 Depth=1
	ds_load_b32 v24, v55 offset:12512
	s_wait_dscnt 0x0
	ds_store_b32 v56, v24 offset:14528
	ds_load_b32 v24, v55 offset:12516
	s_wait_dscnt 0x0
	ds_store_b32 v56, v24 offset:14784
	;; [unrolled: 3-line block ×8, first 2 shown]
.LBB119_1043:                           ;   in Loop: Header=BB119_3 Depth=1
	s_or_b32 exec_lo, exec_lo, s45
	s_wait_dscnt 0x0
	s_barrier_signal -1
	s_barrier_wait -1
	s_and_saveexec_b32 s45, s15
	s_cbranch_execz .LBB119_1045
; %bb.1044:                             ;   in Loop: Header=BB119_3 Depth=1
	ds_load_b64 v[24:25], v5 offset:14560
	ds_load_b32 v26, v5 offset:14820
	s_wait_dscnt 0x0
	v_mul_f32_e32 v24, v24, v26
	s_delay_alu instid0(VALU_DEP_1)
	v_mul_f32_e32 v24, v25, v24
	v_add_nc_u32_e64 v25, 0x3800, 0
	ds_store_2addr_b32 v25, v24, v24 offset0:57 offset1:120
.LBB119_1045:                           ;   in Loop: Header=BB119_3 Depth=1
	s_or_b32 exec_lo, exec_lo, s45
	v_mov_b32_e32 v24, 0
	s_wait_dscnt 0x0
	s_barrier_signal -1
	s_barrier_wait -1
	s_and_saveexec_b32 s45, s2
	s_cbranch_execz .LBB119_1049
; %bb.1046:                             ;   in Loop: Header=BB119_3 Depth=1
	ds_load_b32 v24, v65 offset:14568
	ds_load_b32 v25, v29 offset:14560
	s_wait_dscnt 0x0
	v_fma_f32 v24, v24, v25, 0
	s_and_saveexec_b32 s46, s16
	s_cbranch_execz .LBB119_1048
; %bb.1047:                             ;   in Loop: Header=BB119_3 Depth=1
	ds_load_b32 v25, v56 offset:14824
	ds_load_b32 v26, v5 offset:14564
	s_wait_dscnt 0x0
	v_fmac_f32_e32 v24, v25, v26
.LBB119_1048:                           ;   in Loop: Header=BB119_3 Depth=1
	s_or_b32 exec_lo, exec_lo, s46
	s_delay_alu instid0(VALU_DEP_1)
	v_xor_b32_e32 v24, 0x80000000, v24
.LBB119_1049:                           ;   in Loop: Header=BB119_3 Depth=1
	s_or_b32 exec_lo, exec_lo, s45
	s_and_saveexec_b32 s45, s90
	s_cbranch_execz .LBB119_1051
; %bb.1050:                             ;   in Loop: Header=BB119_3 Depth=1
	ds_load_b32 v25, v5 offset:15080
	s_wait_dscnt 0x0
	v_mul_f32_e32 v24, v24, v25
	ds_store_b32 v3, v24
.LBB119_1051:                           ;   in Loop: Header=BB119_3 Depth=1
	s_or_b32 exec_lo, exec_lo, s45
	s_wait_dscnt 0x0
	s_barrier_signal -1
	s_barrier_wait -1
	s_and_saveexec_b32 s45, s91
	s_cbranch_execz .LBB119_1053
; %bb.1052:                             ;   in Loop: Header=BB119_3 Depth=1
	ds_load_b32 v25, v5 offset:15084
	ds_load_b32 v26, v3
	s_wait_dscnt 0x0
	v_fmac_f32_e32 v24, v25, v26
.LBB119_1053:                           ;   in Loop: Header=BB119_3 Depth=1
	s_or_b32 exec_lo, exec_lo, s45
	s_barrier_signal -1
	s_barrier_wait -1
	s_and_saveexec_b32 s45, s91
	s_cbranch_execz .LBB119_1055
; %bb.1054:                             ;   in Loop: Header=BB119_3 Depth=1
	ds_load_b32 v25, v5 offset:15340
	s_wait_dscnt 0x0
	v_mul_f32_e32 v24, v24, v25
	ds_store_b32 v3, v24
.LBB119_1055:                           ;   in Loop: Header=BB119_3 Depth=1
	s_or_b32 exec_lo, exec_lo, s45
	s_wait_dscnt 0x0
	s_barrier_signal -1
	s_barrier_wait -1
	s_barrier_signal -1
	s_barrier_wait -1
	s_and_saveexec_b32 s45, s2
; %bb.1056:                             ;   in Loop: Header=BB119_3 Depth=1
	v_xor_b32_e32 v24, 0x80000000, v24
	ds_store_b32 v65, v24 offset:14568
; %bb.1057:                             ;   in Loop: Header=BB119_3 Depth=1
	s_or_b32 exec_lo, exec_lo, s45
	s_wait_dscnt 0x0
	s_barrier_signal -1
	s_barrier_wait -1
	s_barrier_signal -1
	s_barrier_wait -1
	s_and_saveexec_b32 s45, s92
	s_cbranch_execz .LBB119_1059
; %bb.1058:                             ;   in Loop: Header=BB119_3 Depth=1
	ds_load_b32 v24, v57 offset:14568
	s_wait_dscnt 0x0
	ds_store_b32 v56, v24 offset:15072
	ds_load_b32 v24, v57 offset:14572
	s_wait_dscnt 0x0
	ds_store_b32 v56, v24 offset:15328
.LBB119_1059:                           ;   in Loop: Header=BB119_3 Depth=1
	s_or_b32 exec_lo, exec_lo, s45
	s_wait_dscnt 0x0
	s_barrier_signal -1
	s_barrier_wait -1
	s_and_saveexec_b32 s45, s15
	s_cbranch_execz .LBB119_1061
; %bb.1060:                             ;   in Loop: Header=BB119_3 Depth=1
	ds_load_b64 v[24:25], v5 offset:15080
	ds_load_b32 v26, v5 offset:15340
	s_wait_dscnt 0x0
	v_mul_f32_e32 v24, v24, v26
	s_delay_alu instid0(VALU_DEP_1)
	v_mul_f32_e32 v24, v25, v24
	v_add_nc_u32_e64 v25, 0x3800, 0
	ds_store_2addr_b32 v25, v24, v24 offset0:187 offset1:250
.LBB119_1061:                           ;   in Loop: Header=BB119_3 Depth=1
	s_or_b32 exec_lo, exec_lo, s45
	v_mov_b32_e32 v24, 0
	s_wait_dscnt 0x0
	s_barrier_signal -1
	s_barrier_wait -1
	s_and_saveexec_b32 s82, s4
	s_cbranch_execz .LBB119_1067
; %bb.1062:                             ;   in Loop: Header=BB119_3 Depth=1
	ds_load_b32 v24, v36 offset:14576
	ds_load_b32 v25, v31 offset:14560
	s_wait_dscnt 0x0
	v_fma_f32 v24, v24, v25, 0
	s_and_saveexec_b32 s45, s17
	s_cbranch_execnz .LBB119_1255
; %bb.1063:                             ;   in Loop: Header=BB119_3 Depth=1
	s_or_b32 exec_lo, exec_lo, s45
	s_and_saveexec_b32 s45, s18
	s_cbranch_execnz .LBB119_1256
.LBB119_1064:                           ;   in Loop: Header=BB119_3 Depth=1
	s_or_b32 exec_lo, exec_lo, s45
	s_and_saveexec_b32 s45, s2
	s_cbranch_execz .LBB119_1066
.LBB119_1065:                           ;   in Loop: Header=BB119_3 Depth=1
	ds_load_b32 v25, v58 offset:15344
	ds_load_b32 v26, v5 offset:14572
	s_wait_dscnt 0x0
	v_fmac_f32_e32 v24, v25, v26
.LBB119_1066:                           ;   in Loop: Header=BB119_3 Depth=1
	s_or_b32 exec_lo, exec_lo, s45
	s_delay_alu instid0(VALU_DEP_1)
	v_xor_b32_e32 v24, 0x80000000, v24
.LBB119_1067:                           ;   in Loop: Header=BB119_3 Depth=1
	s_or_b32 exec_lo, exec_lo, s82
	s_and_saveexec_b32 s45, s93
	s_cbranch_execz .LBB119_1069
; %bb.1068:                             ;   in Loop: Header=BB119_3 Depth=1
	ds_load_b32 v25, v5 offset:15600
	s_wait_dscnt 0x0
	v_mul_f32_e32 v24, v24, v25
	ds_store_b32 v35, v24
.LBB119_1069:                           ;   in Loop: Header=BB119_3 Depth=1
	s_or_b32 exec_lo, exec_lo, s45
	s_wait_dscnt 0x0
	s_barrier_signal -1
	s_barrier_wait -1
	s_and_saveexec_b32 s45, s94
	s_cbranch_execz .LBB119_1071
; %bb.1070:                             ;   in Loop: Header=BB119_3 Depth=1
	ds_load_b32 v25, v33 offset:15600
	ds_load_b32 v26, v35
	s_wait_dscnt 0x0
	v_fmac_f32_e32 v24, v25, v26
.LBB119_1071:                           ;   in Loop: Header=BB119_3 Depth=1
	s_or_b32 exec_lo, exec_lo, s45
	s_barrier_signal -1
	s_barrier_wait -1
	s_and_saveexec_b32 s45, s95
	s_cbranch_execz .LBB119_1073
; %bb.1072:                             ;   in Loop: Header=BB119_3 Depth=1
	ds_load_b32 v25, v5 offset:15860
	s_wait_dscnt 0x0
	v_mul_f32_e32 v24, v24, v25
	ds_store_b32 v35, v24
.LBB119_1073:                           ;   in Loop: Header=BB119_3 Depth=1
	s_or_b32 exec_lo, exec_lo, s45
	s_wait_dscnt 0x0
	s_barrier_signal -1
	s_barrier_wait -1
	s_and_saveexec_b32 s45, s96
	s_cbranch_execz .LBB119_1075
; %bb.1074:                             ;   in Loop: Header=BB119_3 Depth=1
	ds_load_b32 v25, v33 offset:15856
	ds_load_b32 v26, v35
	s_wait_dscnt 0x0
	v_fmac_f32_e32 v24, v25, v26
.LBB119_1075:                           ;   in Loop: Header=BB119_3 Depth=1
	s_or_b32 exec_lo, exec_lo, s45
	s_barrier_signal -1
	s_barrier_wait -1
	;; [unrolled: 23-line block ×3, first 2 shown]
	s_and_saveexec_b32 s45, s98
	s_cbranch_execz .LBB119_1081
; %bb.1080:                             ;   in Loop: Header=BB119_3 Depth=1
	ds_load_b32 v25, v5 offset:16380
	s_wait_dscnt 0x0
	v_mul_f32_e32 v24, v24, v25
	ds_store_b32 v35, v24
.LBB119_1081:                           ;   in Loop: Header=BB119_3 Depth=1
	s_or_b32 exec_lo, exec_lo, s45
	s_wait_dscnt 0x0
	s_barrier_signal -1
	s_barrier_wait -1
	s_barrier_signal -1
	s_barrier_wait -1
	s_and_saveexec_b32 s45, s4
; %bb.1082:                             ;   in Loop: Header=BB119_3 Depth=1
	v_xor_b32_e32 v24, 0x80000000, v24
	ds_store_b32 v36, v24 offset:14576
; %bb.1083:                             ;   in Loop: Header=BB119_3 Depth=1
	s_or_b32 exec_lo, exec_lo, s45
	s_wait_dscnt 0x0
	s_barrier_signal -1
	s_barrier_wait -1
	s_barrier_signal -1
	s_barrier_wait -1
	s_and_saveexec_b32 s45, s99
	s_cbranch_execz .LBB119_1085
; %bb.1084:                             ;   in Loop: Header=BB119_3 Depth=1
	ds_load_b32 v24, v59 offset:14576
	s_wait_dscnt 0x0
	ds_store_b32 v60, v24 offset:15584
	ds_load_b32 v24, v59 offset:14580
	s_wait_dscnt 0x0
	ds_store_b32 v60, v24 offset:15840
	;; [unrolled: 3-line block ×4, first 2 shown]
.LBB119_1085:                           ;   in Loop: Header=BB119_3 Depth=1
	s_or_b32 exec_lo, exec_lo, s45
	s_wait_dscnt 0x0
	s_barrier_signal -1
	s_barrier_wait -1
	s_and_saveexec_b32 s45, s15
	s_cbranch_execz .LBB119_1087
; %bb.1086:                             ;   in Loop: Header=BB119_3 Depth=1
	ds_load_b64 v[24:25], v5 offset:15600
	ds_load_b32 v26, v5 offset:15860
	s_wait_dscnt 0x0
	v_mul_f32_e32 v24, v24, v26
	s_delay_alu instid0(VALU_DEP_1)
	v_mul_f32_e32 v24, v25, v24
	v_add_nc_u32_e64 v25, 0x3c00, 0
	ds_store_2addr_b32 v25, v24, v24 offset0:61 offset1:124
.LBB119_1087:                           ;   in Loop: Header=BB119_3 Depth=1
	s_or_b32 exec_lo, exec_lo, s45
	v_mov_b32_e32 v24, 0
	s_wait_dscnt 0x0
	s_barrier_signal -1
	s_barrier_wait -1
	s_and_saveexec_b32 s45, s2
	s_cbranch_execz .LBB119_1091
; %bb.1088:                             ;   in Loop: Header=BB119_3 Depth=1
	ds_load_b32 v24, v65 offset:15608
	ds_load_b32 v25, v29 offset:15600
	s_wait_dscnt 0x0
	v_fma_f32 v24, v24, v25, 0
	s_and_saveexec_b32 s46, s16
	s_cbranch_execz .LBB119_1090
; %bb.1089:                             ;   in Loop: Header=BB119_3 Depth=1
	ds_load_b32 v25, v60 offset:15864
	ds_load_b32 v26, v5 offset:15604
	s_wait_dscnt 0x0
	v_fmac_f32_e32 v24, v25, v26
.LBB119_1090:                           ;   in Loop: Header=BB119_3 Depth=1
	s_or_b32 exec_lo, exec_lo, s46
	s_delay_alu instid0(VALU_DEP_1)
	v_xor_b32_e32 v24, 0x80000000, v24
.LBB119_1091:                           ;   in Loop: Header=BB119_3 Depth=1
	s_or_b32 exec_lo, exec_lo, s45
	s_and_saveexec_b32 s45, s90
	s_cbranch_execz .LBB119_1093
; %bb.1092:                             ;   in Loop: Header=BB119_3 Depth=1
	ds_load_b32 v25, v5 offset:16120
	s_wait_dscnt 0x0
	v_mul_f32_e32 v24, v24, v25
	ds_store_b32 v3, v24
.LBB119_1093:                           ;   in Loop: Header=BB119_3 Depth=1
	s_or_b32 exec_lo, exec_lo, s45
	s_wait_dscnt 0x0
	s_barrier_signal -1
	s_barrier_wait -1
	s_and_saveexec_b32 s45, s91
	s_cbranch_execz .LBB119_1095
; %bb.1094:                             ;   in Loop: Header=BB119_3 Depth=1
	ds_load_b32 v25, v5 offset:16124
	ds_load_b32 v26, v3
	s_wait_dscnt 0x0
	v_fmac_f32_e32 v24, v25, v26
.LBB119_1095:                           ;   in Loop: Header=BB119_3 Depth=1
	s_or_b32 exec_lo, exec_lo, s45
	s_barrier_signal -1
	s_barrier_wait -1
	s_and_saveexec_b32 s45, s91
	s_cbranch_execz .LBB119_1097
; %bb.1096:                             ;   in Loop: Header=BB119_3 Depth=1
	ds_load_b32 v25, v5 offset:16380
	s_wait_dscnt 0x0
	v_mul_f32_e32 v24, v24, v25
	ds_store_b32 v3, v24
.LBB119_1097:                           ;   in Loop: Header=BB119_3 Depth=1
	s_or_b32 exec_lo, exec_lo, s45
	s_wait_dscnt 0x0
	s_barrier_signal -1
	s_barrier_wait -1
	s_barrier_signal -1
	s_barrier_wait -1
	s_and_saveexec_b32 s45, s2
; %bb.1098:                             ;   in Loop: Header=BB119_3 Depth=1
	v_xor_b32_e32 v24, 0x80000000, v24
	ds_store_b32 v65, v24 offset:15608
; %bb.1099:                             ;   in Loop: Header=BB119_3 Depth=1
	s_or_b32 exec_lo, exec_lo, s45
	s_wait_dscnt 0x0
	s_barrier_signal -1
	s_barrier_wait -1
	s_barrier_signal -1
	s_barrier_wait -1
	s_and_saveexec_b32 s45, s92
	s_cbranch_execz .LBB119_1101
; %bb.1100:                             ;   in Loop: Header=BB119_3 Depth=1
	ds_load_b32 v24, v61 offset:15608
	s_wait_dscnt 0x0
	ds_store_b32 v60, v24 offset:16112
	ds_load_b32 v24, v61 offset:15612
	s_wait_dscnt 0x0
	ds_store_b32 v60, v24 offset:16368
.LBB119_1101:                           ;   in Loop: Header=BB119_3 Depth=1
	s_or_b32 exec_lo, exec_lo, s45
	s_wait_dscnt 0x0
	s_barrier_signal -1
	s_barrier_wait -1
	s_and_saveexec_b32 s45, s15
	s_cbranch_execz .LBB119_1103
; %bb.1102:                             ;   in Loop: Header=BB119_3 Depth=1
	ds_load_b64 v[24:25], v5 offset:16120
	ds_load_b32 v26, v5 offset:16380
	s_wait_dscnt 0x0
	v_mul_f32_e32 v24, v24, v26
	s_delay_alu instid0(VALU_DEP_1)
	v_mul_f32_e32 v24, v25, v24
	v_add_nc_u32_e64 v25, 0x3c00, 0
	ds_store_2addr_b32 v25, v24, v24 offset0:191 offset1:254
.LBB119_1103:                           ;   in Loop: Header=BB119_3 Depth=1
	s_or_b32 exec_lo, exec_lo, s45
.LBB119_1104:                           ;   in Loop: Header=BB119_3 Depth=1
	v_add_nc_u64_e32 v[22:23], s[74:75], v[22:23]
	v_mov_b32_e32 v84, 0
	s_wait_dscnt 0x0
	s_barrier_signal -1
	s_barrier_wait -1
	s_and_saveexec_b32 s45, s12
	s_cbranch_execz .LBB119_1106
; %bb.1105:                             ;   in Loop: Header=BB119_3 Depth=1
	v_lshl_add_u64 v[24:25], v[16:17], 2, v[22:23]
	v_readlane_b32 s46, v93, 2
	flat_load_b32 v24, v[24:25]
	s_wait_loadcnt_dscnt 0x0
	v_mul_f32_e64 v84, v24, -s46
.LBB119_1106:                           ;   in Loop: Header=BB119_3 Depth=1
	s_or_b32 exec_lo, exec_lo, s45
	s_delay_alu instid0(SALU_CYCLE_1)
	s_and_not1_b32 vcc_lo, exec_lo, s11
	s_cbranch_vccnz .LBB119_1132
; %bb.1107:                             ;   in Loop: Header=BB119_3 Depth=1
	v_mov_b32_e32 v85, -1
	s_lshl_b64 s[46:47], s[66:67], 2
	s_mov_b32 s87, 0
	s_add_nc_u64 s[82:83], s[78:79], s[46:47]
	s_branch .LBB119_1110
.LBB119_1108:                           ;   in Loop: Header=BB119_1110 Depth=2
	s_wait_xcnt 0x0
	ds_load_b32 v24, v68 offset:192
	s_wait_loadcnt_dscnt 0x0
	v_fmac_f32_e32 v84, v26, v24
.LBB119_1109:                           ;   in Loop: Header=BB119_1110 Depth=2
	s_or_b32 exec_lo, exec_lo, s45
	s_add_co_i32 s87, s87, 1
	s_delay_alu instid0(SALU_CYCLE_1)
	s_cmp_eq_u32 s87, s84
	s_cbranch_scc1 .LBB119_1132
.LBB119_1110:                           ;   Parent Loop BB119_3 Depth=1
                                        ; =>  This Loop Header: Depth=2
                                        ;       Child Loop BB119_1112 Depth 3
	v_cmp_gt_i32_e32 vcc_lo, s87, v85
	s_and_b32 s46, s59, vcc_lo
	s_delay_alu instid0(SALU_CYCLE_1)
	s_and_saveexec_b32 s45, s46
	s_cbranch_execz .LBB119_1113
; %bb.1111:                             ;   in Loop: Header=BB119_1110 Depth=2
	global_load_b32 v85, v5, s[82:83]
	s_wait_loadcnt 0x0
	v_cmp_le_i32_e32 vcc_lo, s87, v85
	s_cbranch_vccnz .LBB119_1113
.LBB119_1112:                           ;   Parent Loop BB119_3 Depth=1
                                        ;     Parent Loop BB119_1110 Depth=2
                                        ; =>    This Inner Loop Header: Depth=3
	global_wb scope:SCOPE_DEV
	s_wait_storecnt 0x0
	global_inv scope:SCOPE_DEV
	global_load_b32 v85, v5, s[82:83]
	s_wait_loadcnt 0x0
	v_cmp_gt_i32_e32 vcc_lo, s87, v85
	s_cbranch_vccnz .LBB119_1112
.LBB119_1113:                           ;   in Loop: Header=BB119_1110 Depth=2
	s_or_b32 exec_lo, exec_lo, s45
	s_sub_co_i32 s45, s85, s87
	global_wb scope:SCOPE_DEV
	s_wait_storecnt 0x0
	global_inv scope:SCOPE_DEV
	s_lshl_b32 s46, s45, 6
	s_wait_loadcnt 0x0
	s_barrier_signal -1
	s_barrier_wait -1
	s_and_saveexec_b32 s47, s60
	s_cbranch_execz .LBB119_1117
; %bb.1114:                             ;   in Loop: Header=BB119_1110 Depth=2
	s_ashr_i32 s48, s46, 31
	s_delay_alu instid0(SALU_CYCLE_1) | instskip(SKIP_2) | instid1(VALU_DEP_1)
	v_dual_mov_b32 v26, 0 :: v_dual_mov_b32 v25, s48
	v_or_b32_e32 v24, s46, v4
	s_mov_b32 s48, exec_lo
	v_cmpx_gt_i64_e64 s[76:77], v[24:25]
	s_cbranch_execz .LBB119_1116
; %bb.1115:                             ;   in Loop: Header=BB119_1110 Depth=2
	v_mul_u64_e32 v[24:25], s[80:81], v[24:25]
	s_delay_alu instid0(VALU_DEP_1)
	v_lshl_add_u64 v[24:25], v[24:25], 2, v[22:23]
	flat_load_b32 v26, v[24:25]
.LBB119_1116:                           ;   in Loop: Header=BB119_1110 Depth=2
	s_wait_xcnt 0x0
	s_or_b32 exec_lo, exec_lo, s48
	s_wait_loadcnt_dscnt 0x0
	ds_store_b32 v67, v26
.LBB119_1117:                           ;   in Loop: Header=BB119_1110 Depth=2
	s_or_b32 exec_lo, exec_lo, s47
	v_add_nc_u32_e32 v26, s46, v28
	s_cmp_lg_u32 s45, s65
	s_wait_dscnt 0x0
	s_cselect_b32 s46, -1, 0
	s_barrier_signal -1
	v_ashrrev_i32_e32 v27, 31, v26
	v_cmp_gt_i32_e32 vcc_lo, s76, v26
	s_barrier_wait -1
	s_delay_alu instid0(VALU_DEP_2) | instskip(SKIP_2) | instid1(SALU_CYCLE_1)
	v_lshl_add_u64 v[24:25], v[26:27], 2, v[20:21]
	v_cndmask_b32_e64 v27, 0, 1, s46
	s_and_b32 s47, vcc_lo, s0
	s_and_saveexec_b32 s45, s47
	s_cbranch_execz .LBB119_1121
; %bb.1118:                             ;   in Loop: Header=BB119_1110 Depth=2
	v_mov_b32_e32 v86, v80
	s_and_not1_b32 vcc_lo, exec_lo, s46
	s_cbranch_vccnz .LBB119_1120
; %bb.1119:                             ;   in Loop: Header=BB119_1110 Depth=2
	flat_load_b32 v86, v[24:25]
.LBB119_1120:                           ;   in Loop: Header=BB119_1110 Depth=2
	ds_load_b32 v87, v68
	s_wait_loadcnt_dscnt 0x0
	v_fmac_f32_e32 v84, v86, v87
.LBB119_1121:                           ;   in Loop: Header=BB119_1110 Depth=2
	s_or_b32 exec_lo, exec_lo, s45
	v_add_nc_u32_e32 v86, 16, v26
	s_delay_alu instid0(VALU_DEP_1) | instskip(SKIP_1) | instid1(SALU_CYCLE_1)
	v_cmp_gt_i32_e32 vcc_lo, s76, v86
	s_and_b32 s46, vcc_lo, s0
	s_and_saveexec_b32 s45, s46
	s_cbranch_execz .LBB119_1125
; %bb.1122:                             ;   in Loop: Header=BB119_1110 Depth=2
	v_cmp_ne_u32_e32 vcc_lo, 1, v27
	v_mov_b32_e32 v86, v81
	s_cbranch_vccnz .LBB119_1124
; %bb.1123:                             ;   in Loop: Header=BB119_1110 Depth=2
	flat_load_b32 v86, v[24:25] offset:64
.LBB119_1124:                           ;   in Loop: Header=BB119_1110 Depth=2
	ds_load_b32 v87, v68 offset:64
	s_wait_loadcnt_dscnt 0x0
	v_fmac_f32_e32 v84, v86, v87
.LBB119_1125:                           ;   in Loop: Header=BB119_1110 Depth=2
	s_or_b32 exec_lo, exec_lo, s45
	v_add_nc_u32_e32 v86, 32, v26
	s_delay_alu instid0(VALU_DEP_1) | instskip(SKIP_1) | instid1(SALU_CYCLE_1)
	v_cmp_gt_i32_e32 vcc_lo, s76, v86
	s_and_b32 s46, vcc_lo, s0
	s_and_saveexec_b32 s45, s46
	s_cbranch_execz .LBB119_1129
; %bb.1126:                             ;   in Loop: Header=BB119_1110 Depth=2
	v_cmp_ne_u32_e32 vcc_lo, 1, v27
	v_mov_b32_e32 v86, v82
	s_cbranch_vccnz .LBB119_1128
; %bb.1127:                             ;   in Loop: Header=BB119_1110 Depth=2
	flat_load_b32 v86, v[24:25] offset:128
.LBB119_1128:                           ;   in Loop: Header=BB119_1110 Depth=2
	ds_load_b32 v87, v68 offset:128
	s_wait_loadcnt_dscnt 0x0
	v_fmac_f32_e32 v84, v86, v87
.LBB119_1129:                           ;   in Loop: Header=BB119_1110 Depth=2
	s_or_b32 exec_lo, exec_lo, s45
	v_add_nc_u32_e32 v26, 48, v26
	s_delay_alu instid0(VALU_DEP_1) | instskip(SKIP_1) | instid1(SALU_CYCLE_1)
	v_cmp_gt_i32_e32 vcc_lo, s76, v26
	s_and_b32 s46, vcc_lo, s0
	s_and_saveexec_b32 s45, s46
	s_cbranch_execz .LBB119_1109
; %bb.1130:                             ;   in Loop: Header=BB119_1110 Depth=2
	v_cmp_ne_u32_e32 vcc_lo, 1, v27
	v_mov_b32_e32 v26, v83
	s_cbranch_vccnz .LBB119_1108
; %bb.1131:                             ;   in Loop: Header=BB119_1110 Depth=2
	flat_load_b32 v26, v[24:25] offset:192
	s_branch .LBB119_1108
.LBB119_1132:                           ;   in Loop: Header=BB119_3 Depth=1
	ds_store_b32 v69, v84
	s_wait_dscnt 0x0
	s_barrier_signal -1
	s_barrier_wait -1
	s_and_saveexec_b32 s82, s3
	s_cbranch_execz .LBB119_1134
; %bb.1133:                             ;   in Loop: Header=BB119_3 Depth=1
	ds_load_2addr_stride64_b32 v[20:21], v70 offset0:1 offset1:2
	ds_load_2addr_stride64_b32 v[24:25], v70 offset0:3 offset1:4
	;; [unrolled: 1-line block ×4, first 2 shown]
	v_readlane_b32 s45, v91, 5
	s_wait_dscnt 0x3
	v_add_f32_e32 v20, v84, v20
	s_delay_alu instid0(VALU_DEP_1) | instskip(SKIP_1) | instid1(VALU_DEP_1)
	v_add_f32_e32 v20, v20, v21
	s_wait_dscnt 0x2
	v_add_f32_e32 v20, v20, v24
	s_delay_alu instid0(VALU_DEP_1) | instskip(SKIP_1) | instid1(VALU_DEP_1)
	v_add_f32_e32 v20, v20, v25
	s_wait_dscnt 0x1
	v_add_f32_e32 v24, v20, v26
	ds_load_2addr_stride64_b32 v[20:21], v70 offset0:9 offset1:10
	v_add_f32_e32 v24, v24, v27
	s_wait_dscnt 0x1
	s_delay_alu instid0(VALU_DEP_1)
	v_add_f32_e32 v26, v24, v86
	ds_load_2addr_stride64_b32 v[24:25], v70 offset0:11 offset1:12
	v_add_f32_e32 v84, v26, v87
	ds_load_2addr_stride64_b32 v[26:27], v70 offset0:13 offset1:14
	ds_load_b32 v85, v70 offset:3840
	s_wait_dscnt 0x3
	v_add_f32_e32 v20, v84, v20
	s_delay_alu instid0(VALU_DEP_1) | instskip(SKIP_1) | instid1(VALU_DEP_1)
	v_add_f32_e32 v20, v20, v21
	s_wait_dscnt 0x2
	v_add_f32_e32 v20, v20, v24
	s_delay_alu instid0(VALU_DEP_1) | instskip(SKIP_1) | instid1(VALU_DEP_1)
	v_add_f32_e32 v20, v20, v25
	;; [unrolled: 4-line block ×3, first 2 shown]
	s_wait_dscnt 0x0
	v_add_f32_e32 v20, v20, v85
	s_delay_alu instid0(VALU_DEP_1)
	v_cndmask_b32_e64 v84, -v20, 0, s45
.LBB119_1134:                           ;   in Loop: Header=BB119_3 Depth=1
	s_or_b32 exec_lo, exec_lo, s82
	s_delay_alu instid0(SALU_CYCLE_1)
	s_and_not1_b32 vcc_lo, exec_lo, s89
	s_cbranch_vccnz .LBB119_1144
; %bb.1135:                             ;   in Loop: Header=BB119_3 Depth=1
	s_and_saveexec_b32 s45, s3
; %bb.1136:                             ;   in Loop: Header=BB119_3 Depth=1
	ds_store_b32 v72, v84
; %bb.1137:                             ;   in Loop: Header=BB119_3 Depth=1
	s_or_b32 exec_lo, exec_lo, s45
	v_mov_b32_e32 v20, 0
	s_wait_dscnt 0x0
	s_barrier_signal -1
	s_barrier_wait -1
	s_and_saveexec_b32 s45, s1
	s_cbranch_execnz .LBB119_1200
; %bb.1138:                             ;   in Loop: Header=BB119_3 Depth=1
	s_or_b32 exec_lo, exec_lo, s45
	s_and_saveexec_b32 s45, s8
	s_cbranch_execnz .LBB119_1201
.LBB119_1139:                           ;   in Loop: Header=BB119_3 Depth=1
	s_or_b32 exec_lo, exec_lo, s45
	s_and_saveexec_b32 s45, s9
	s_cbranch_execnz .LBB119_1202
.LBB119_1140:                           ;   in Loop: Header=BB119_3 Depth=1
	s_or_b32 exec_lo, exec_lo, s45
	s_and_saveexec_b32 s45, s10
	s_cbranch_execz .LBB119_1142
.LBB119_1141:                           ;   in Loop: Header=BB119_3 Depth=1
	ds_load_b32 v21, v71 offset:12288
	ds_load_b32 v24, v68 offset:192
	s_wait_dscnt 0x0
	v_fmac_f32_e32 v20, v21, v24
.LBB119_1142:                           ;   in Loop: Header=BB119_3 Depth=1
	s_or_b32 exec_lo, exec_lo, s45
	s_mov_b32 s83, 0
	s_mov_b32 s82, 0
	ds_store_b32 v69, v20
	s_wait_dscnt 0x0
	s_barrier_signal -1
	s_barrier_wait -1
                                        ; implicit-def: $vgpr21
	s_and_saveexec_b32 s87, s3
	s_cbranch_execz .LBB119_1203
; %bb.1143:                             ;   in Loop: Header=BB119_3 Depth=1
	ds_load_2addr_stride64_b32 v[24:25], v70 offset0:1 offset1:2
	ds_load_2addr_stride64_b32 v[26:27], v70 offset0:3 offset1:4
	;; [unrolled: 1-line block ×4, first 2 shown]
	s_mov_b32 s82, exec_lo
	s_wait_dscnt 0x3
	v_add_f32_e32 v20, v20, v24
	s_delay_alu instid0(VALU_DEP_1) | instskip(SKIP_1) | instid1(VALU_DEP_1)
	v_add_f32_e32 v20, v25, v20
	s_wait_dscnt 0x2
	v_add_f32_e32 v20, v26, v20
	s_delay_alu instid0(VALU_DEP_1) | instskip(SKIP_1) | instid1(VALU_DEP_1)
	v_add_f32_e32 v20, v27, v20
	s_wait_dscnt 0x1
	v_add_f32_e32 v24, v86, v20
	ds_load_2addr_stride64_b32 v[20:21], v70 offset0:9 offset1:10
	v_add_f32_e32 v24, v87, v24
	s_wait_dscnt 0x1
	s_delay_alu instid0(VALU_DEP_1)
	v_add_f32_e32 v26, v88, v24
	ds_load_2addr_stride64_b32 v[24:25], v70 offset0:11 offset1:12
	v_add_f32_e32 v85, v89, v26
	ds_load_2addr_stride64_b32 v[26:27], v70 offset0:13 offset1:14
	ds_load_b32 v86, v70 offset:3840
	s_wait_dscnt 0x3
	v_add_f32_e32 v20, v20, v85
	s_delay_alu instid0(VALU_DEP_1) | instskip(SKIP_1) | instid1(VALU_DEP_1)
	v_add_f32_e32 v20, v21, v20
	s_wait_dscnt 0x2
	v_add_f32_e32 v20, v24, v20
	s_delay_alu instid0(VALU_DEP_1) | instskip(SKIP_1) | instid1(VALU_DEP_1)
	v_add_f32_e32 v20, v25, v20
	;; [unrolled: 4-line block ×3, first 2 shown]
	s_wait_dscnt 0x0
	v_add_f32_e32 v21, v86, v20
	s_or_b32 exec_lo, exec_lo, s87
	s_delay_alu instid0(SALU_CYCLE_1)
	s_and_b32 vcc_lo, exec_lo, s83
	s_cbranch_vccnz .LBB119_1145
	s_branch .LBB119_1204
.LBB119_1144:                           ;   in Loop: Header=BB119_3 Depth=1
	s_mov_b32 s82, 0
                                        ; implicit-def: $vgpr21
	s_cbranch_execz .LBB119_1204
.LBB119_1145:                           ;   in Loop: Header=BB119_3 Depth=1
	v_dual_mov_b32 v20, v79 :: v_dual_mov_b32 v21, v78
	s_mov_b32 s83, 63
	s_branch .LBB119_1147
.LBB119_1146:                           ;   in Loop: Header=BB119_1147 Depth=2
	s_or_b32 exec_lo, exec_lo, s45
	v_add_nc_u32_e32 v21, 0xfffffc00, v21
	v_add_nc_u32_e32 v20, 4, v20
	s_add_co_i32 s83, s83, -4
	s_cmp_lg_u32 s87, 0
	s_barrier_signal -1
	s_barrier_wait -1
	s_cbranch_scc0 .LBB119_1163
.LBB119_1147:                           ;   Parent Loop BB119_3 Depth=1
                                        ; =>  This Inner Loop Header: Depth=2
	s_delay_alu instid0(VALU_DEP_1) | instskip(SKIP_2) | instid1(SALU_CYCLE_1)
	v_cmp_eq_u32_e32 vcc_lo, 0, v20
	v_add_nc_u32_e32 v24, v61, v30
	s_and_b32 s46, s3, vcc_lo
	s_and_saveexec_b32 s45, s46
	s_cbranch_execz .LBB119_1149
; %bb.1148:                             ;   in Loop: Header=BB119_1147 Depth=2
	ds_load_b32 v25, v24
	s_wait_dscnt 0x0
	v_mul_f32_e32 v84, v84, v25
	ds_store_b32 v5, v84 offset:20736
.LBB119_1149:                           ;   in Loop: Header=BB119_1147 Depth=2
	s_or_b32 exec_lo, exec_lo, s45
	v_cmp_gt_u32_e32 vcc_lo, s83, v2
	s_wait_dscnt 0x0
	s_barrier_signal -1
	s_barrier_wait -1
	s_and_b32 s46, s3, vcc_lo
	s_delay_alu instid0(SALU_CYCLE_1)
	s_and_saveexec_b32 s45, s46
	s_cbranch_execz .LBB119_1151
; %bb.1150:                             ;   in Loop: Header=BB119_1147 Depth=2
	ds_load_b32 v25, v21 offset:768
	ds_load_b32 v26, v5 offset:20736
	s_wait_dscnt 0x0
	v_fmac_f32_e32 v84, v25, v26
.LBB119_1151:                           ;   in Loop: Header=BB119_1147 Depth=2
	s_or_b32 exec_lo, exec_lo, s45
	s_add_co_i32 s45, s83, -1
	s_delay_alu instid0(SALU_CYCLE_1) | instskip(SKIP_3) | instid1(SALU_CYCLE_1)
	v_cmp_eq_u32_e32 vcc_lo, s45, v2
	s_barrier_signal -1
	s_barrier_wait -1
	s_and_b32 s47, s3, vcc_lo
	s_and_saveexec_b32 s46, s47
	s_cbranch_execz .LBB119_1153
; %bb.1152:                             ;   in Loop: Header=BB119_1147 Depth=2
	ds_load_b32 v25, v24
	s_wait_dscnt 0x0
	v_mul_f32_e32 v84, v84, v25
	ds_store_b32 v5, v84 offset:20736
.LBB119_1153:                           ;   in Loop: Header=BB119_1147 Depth=2
	s_or_b32 exec_lo, exec_lo, s46
	v_cmp_gt_u32_e32 vcc_lo, s45, v2
	s_wait_dscnt 0x0
	s_barrier_signal -1
	s_barrier_wait -1
	s_and_b32 s46, s3, vcc_lo
	s_delay_alu instid0(SALU_CYCLE_1)
	s_and_saveexec_b32 s45, s46
	s_cbranch_execz .LBB119_1155
; %bb.1154:                             ;   in Loop: Header=BB119_1147 Depth=2
	ds_load_b32 v25, v21 offset:512
	ds_load_b32 v26, v5 offset:20736
	s_wait_dscnt 0x0
	v_fmac_f32_e32 v84, v25, v26
.LBB119_1155:                           ;   in Loop: Header=BB119_1147 Depth=2
	s_or_b32 exec_lo, exec_lo, s45
	s_add_co_i32 s45, s83, -2
	s_delay_alu instid0(SALU_CYCLE_1) | instskip(SKIP_3) | instid1(SALU_CYCLE_1)
	v_cmp_eq_u32_e32 vcc_lo, s45, v2
	s_barrier_signal -1
	s_barrier_wait -1
	;; [unrolled: 30-line block ×3, first 2 shown]
	s_and_b32 s46, s3, vcc_lo
	s_and_saveexec_b32 s45, s46
	s_cbranch_execz .LBB119_1161
; %bb.1160:                             ;   in Loop: Header=BB119_1147 Depth=2
	ds_load_b32 v24, v24
	s_wait_dscnt 0x0
	v_mul_f32_e32 v84, v84, v24
	ds_store_b32 v5, v84 offset:20736
.LBB119_1161:                           ;   in Loop: Header=BB119_1147 Depth=2
	s_or_b32 exec_lo, exec_lo, s45
	v_cmp_gt_u32_e32 vcc_lo, s87, v2
	s_wait_dscnt 0x0
	s_barrier_signal -1
	s_barrier_wait -1
	s_and_b32 s46, s3, vcc_lo
	s_delay_alu instid0(SALU_CYCLE_1)
	s_and_saveexec_b32 s45, s46
	s_cbranch_execz .LBB119_1146
; %bb.1162:                             ;   in Loop: Header=BB119_1147 Depth=2
	ds_load_b32 v24, v21
	ds_load_b32 v25, v5 offset:20736
	s_wait_dscnt 0x0
	v_fmac_f32_e32 v84, v24, v25
	s_branch .LBB119_1146
.LBB119_1163:                           ;   in Loop: Header=BB119_3 Depth=1
	s_and_b32 vcc_lo, exec_lo, s86
	s_mov_b32 s45, -1
	s_cbranch_vccnz .LBB119_1205
; %bb.1164:                             ;   in Loop: Header=BB119_3 Depth=1
	s_and_not1_b32 vcc_lo, exec_lo, s45
	s_cbranch_vccz .LBB119_1206
.LBB119_1165:                           ;   in Loop: Header=BB119_3 Depth=1
	s_and_saveexec_b32 s45, s82
	s_cbranch_execz .LBB119_1167
.LBB119_1166:                           ;   in Loop: Header=BB119_3 Depth=1
	v_lshl_add_u64 v[20:21], v[18:19], 2, v[22:23]
	flat_store_b32 v[20:21], v84
.LBB119_1167:                           ;   in Loop: Header=BB119_3 Depth=1
	s_wait_xcnt 0x0
	s_or_b32 exec_lo, exec_lo, s45
	global_wb scope:SCOPE_DEV
	s_wait_storecnt_dscnt 0x0
	global_inv scope:SCOPE_DEV
	s_wait_loadcnt 0x0
	s_barrier_signal -1
	s_barrier_wait -1
	s_and_saveexec_b32 s45, s59
	s_cbranch_execz .LBB119_2
; %bb.1168:                             ;   in Loop: Header=BB119_3 Depth=1
	s_lshl_b64 s[46:47], s[66:67], 2
	s_delay_alu instid0(SALU_CYCLE_1)
	s_add_nc_u64 s[46:47], s[78:79], s[46:47]
	global_load_b32 v20, v5, s[46:47]
	s_wait_loadcnt 0x0
	v_add_nc_u32_e32 v20, 1, v20
	global_store_b32 v5, v20, s[46:47]
	s_branch .LBB119_2
.LBB119_1169:                           ;   in Loop: Header=BB119_3 Depth=1
	s_mov_b32 s45, exec_lo
	v_readlane_b32 s46, v91, 15
	s_and_b32 s46, s45, s46
	s_delay_alu instid0(SALU_CYCLE_1)
	s_xor_b32 s45, s46, s45
	s_mov_b32 exec_lo, s46
	s_cbranch_execz .LBB119_1173
; %bb.1170:                             ;   in Loop: Header=BB119_3 Depth=1
	s_mov_b32 s46, exec_lo
	v_readlane_b32 s47, v90, 25
	s_and_b32 s47, s46, s47
	s_delay_alu instid0(SALU_CYCLE_1)
	s_mov_b32 exec_lo, s47
; %bb.1171:                             ;   in Loop: Header=BB119_3 Depth=1
	ds_store_b32 v73, v5
; %bb.1172:                             ;   in Loop: Header=BB119_3 Depth=1
	s_or_b32 exec_lo, exec_lo, s46
.LBB119_1173:                           ;   in Loop: Header=BB119_3 Depth=1
	s_and_not1_saveexec_b32 s45, s45
	s_cbranch_execz .LBB119_1175
; %bb.1174:                             ;   in Loop: Header=BB119_3 Depth=1
	v_lshl_add_u64 v[26:27], v[0:1], 2, v[24:25]
	flat_load_b32 v26, v[26:27]
	s_wait_loadcnt_dscnt 0x0
	v_div_scale_f32 v27, null, v26, v26, 1.0
	s_delay_alu instid0(VALU_DEP_1) | instskip(SKIP_1) | instid1(TRANS32_DEP_1)
	v_rcp_f32_e32 v84, v27
	v_nop
	v_fma_f32 v85, -v27, v84, 1.0
	s_delay_alu instid0(VALU_DEP_1) | instskip(SKIP_1) | instid1(VALU_DEP_1)
	v_fmac_f32_e32 v84, v85, v84
	v_div_scale_f32 v85, vcc_lo, 1.0, v26, 1.0
	v_mul_f32_e32 v86, v85, v84
	s_delay_alu instid0(VALU_DEP_1) | instskip(NEXT) | instid1(VALU_DEP_1)
	v_fma_f32 v87, -v27, v86, v85
	v_fmac_f32_e32 v86, v87, v84
	s_delay_alu instid0(VALU_DEP_1) | instskip(NEXT) | instid1(VALU_DEP_1)
	v_fma_f32 v27, -v27, v86, v85
	v_div_fmas_f32 v27, v27, v84, v86
	s_delay_alu instid0(VALU_DEP_1)
	v_div_fixup_f32 v26, v27, v26, 1.0
	ds_store_b32 v73, v26
.LBB119_1175:                           ;   in Loop: Header=BB119_3 Depth=1
	s_or_b32 exec_lo, exec_lo, s45
	s_and_not1_saveexec_b32 s45, s82
	s_cbranch_execz .LBB119_16
.LBB119_1176:                           ;   in Loop: Header=BB119_3 Depth=1
	v_lshl_add_u64 v[26:27], v[0:1], 2, v[24:25]
	flat_load_b32 v26, v[26:27]
	s_wait_loadcnt_dscnt 0x0
	v_xor_b32_e32 v26, 0x80000000, v26
	ds_store_b32 v73, v26
	s_or_b32 exec_lo, exec_lo, s45
	s_and_saveexec_b32 s45, s8
	s_delay_alu instid0(SALU_CYCLE_1)
	s_xor_b32 s82, exec_lo, s45
	s_cbranch_execz .LBB119_17
.LBB119_1177:                           ;   in Loop: Header=BB119_3 Depth=1
	s_mov_b32 s45, exec_lo
	v_readlane_b32 s46, v91, 17
	s_and_b32 s46, s45, s46
	s_delay_alu instid0(SALU_CYCLE_1)
	s_xor_b32 s45, s46, s45
	s_mov_b32 exec_lo, s46
	s_cbranch_execz .LBB119_1181
; %bb.1178:                             ;   in Loop: Header=BB119_3 Depth=1
	s_mov_b32 s46, exec_lo
	v_readlane_b32 s47, v90, 26
	s_and_b32 s47, s46, s47
	s_delay_alu instid0(SALU_CYCLE_1)
	s_mov_b32 exec_lo, s47
; %bb.1179:                             ;   in Loop: Header=BB119_3 Depth=1
	ds_store_b32 v74, v5
; %bb.1180:                             ;   in Loop: Header=BB119_3 Depth=1
	s_or_b32 exec_lo, exec_lo, s46
.LBB119_1181:                           ;   in Loop: Header=BB119_3 Depth=1
	s_and_not1_saveexec_b32 s45, s45
	s_cbranch_execz .LBB119_1183
; %bb.1182:                             ;   in Loop: Header=BB119_3 Depth=1
	v_lshl_add_u64 v[26:27], v[10:11], 2, v[24:25]
	flat_load_b32 v26, v[26:27]
	s_wait_loadcnt_dscnt 0x0
	v_div_scale_f32 v27, null, v26, v26, 1.0
	s_delay_alu instid0(VALU_DEP_1) | instskip(SKIP_1) | instid1(TRANS32_DEP_1)
	v_rcp_f32_e32 v84, v27
	v_nop
	v_fma_f32 v85, -v27, v84, 1.0
	s_delay_alu instid0(VALU_DEP_1) | instskip(SKIP_1) | instid1(VALU_DEP_1)
	v_fmac_f32_e32 v84, v85, v84
	v_div_scale_f32 v85, vcc_lo, 1.0, v26, 1.0
	v_mul_f32_e32 v86, v85, v84
	s_delay_alu instid0(VALU_DEP_1) | instskip(NEXT) | instid1(VALU_DEP_1)
	v_fma_f32 v87, -v27, v86, v85
	v_fmac_f32_e32 v86, v87, v84
	s_delay_alu instid0(VALU_DEP_1) | instskip(NEXT) | instid1(VALU_DEP_1)
	v_fma_f32 v27, -v27, v86, v85
	v_div_fmas_f32 v27, v27, v84, v86
	s_delay_alu instid0(VALU_DEP_1)
	v_div_fixup_f32 v26, v27, v26, 1.0
	ds_store_b32 v74, v26
.LBB119_1183:                           ;   in Loop: Header=BB119_3 Depth=1
	s_or_b32 exec_lo, exec_lo, s45
	s_and_not1_saveexec_b32 s45, s82
	s_cbranch_execz .LBB119_18
.LBB119_1184:                           ;   in Loop: Header=BB119_3 Depth=1
	v_lshl_add_u64 v[26:27], v[10:11], 2, v[24:25]
	flat_load_b32 v26, v[26:27]
	s_wait_loadcnt_dscnt 0x0
	v_xor_b32_e32 v26, 0x80000000, v26
	ds_store_b32 v74, v26
	s_or_b32 exec_lo, exec_lo, s45
	s_and_saveexec_b32 s45, s9
	s_delay_alu instid0(SALU_CYCLE_1)
	s_xor_b32 s82, exec_lo, s45
	s_cbranch_execz .LBB119_19
.LBB119_1185:                           ;   in Loop: Header=BB119_3 Depth=1
	s_mov_b32 s45, exec_lo
	v_readlane_b32 s46, v91, 19
	s_and_b32 s46, s45, s46
	s_delay_alu instid0(SALU_CYCLE_1)
	s_xor_b32 s45, s46, s45
	s_mov_b32 exec_lo, s46
	s_cbranch_execz .LBB119_1189
; %bb.1186:                             ;   in Loop: Header=BB119_3 Depth=1
	s_mov_b32 s46, exec_lo
	v_readlane_b32 s47, v90, 27
	s_and_b32 s47, s46, s47
	s_delay_alu instid0(SALU_CYCLE_1)
	s_mov_b32 exec_lo, s47
; %bb.1187:                             ;   in Loop: Header=BB119_3 Depth=1
	ds_store_b32 v75, v5
; %bb.1188:                             ;   in Loop: Header=BB119_3 Depth=1
	s_or_b32 exec_lo, exec_lo, s46
.LBB119_1189:                           ;   in Loop: Header=BB119_3 Depth=1
	s_and_not1_saveexec_b32 s45, s45
	s_cbranch_execz .LBB119_1191
; %bb.1190:                             ;   in Loop: Header=BB119_3 Depth=1
	v_lshl_add_u64 v[26:27], v[12:13], 2, v[24:25]
	flat_load_b32 v26, v[26:27]
	s_wait_loadcnt_dscnt 0x0
	v_div_scale_f32 v27, null, v26, v26, 1.0
	s_delay_alu instid0(VALU_DEP_1) | instskip(SKIP_1) | instid1(TRANS32_DEP_1)
	v_rcp_f32_e32 v84, v27
	v_nop
	v_fma_f32 v85, -v27, v84, 1.0
	s_delay_alu instid0(VALU_DEP_1) | instskip(SKIP_1) | instid1(VALU_DEP_1)
	v_fmac_f32_e32 v84, v85, v84
	v_div_scale_f32 v85, vcc_lo, 1.0, v26, 1.0
	v_mul_f32_e32 v86, v85, v84
	s_delay_alu instid0(VALU_DEP_1) | instskip(NEXT) | instid1(VALU_DEP_1)
	v_fma_f32 v87, -v27, v86, v85
	v_fmac_f32_e32 v86, v87, v84
	s_delay_alu instid0(VALU_DEP_1) | instskip(NEXT) | instid1(VALU_DEP_1)
	v_fma_f32 v27, -v27, v86, v85
	v_div_fmas_f32 v27, v27, v84, v86
	s_delay_alu instid0(VALU_DEP_1)
	v_div_fixup_f32 v26, v27, v26, 1.0
	ds_store_b32 v75, v26
.LBB119_1191:                           ;   in Loop: Header=BB119_3 Depth=1
	s_or_b32 exec_lo, exec_lo, s45
	s_and_not1_saveexec_b32 s45, s82
	s_cbranch_execz .LBB119_20
.LBB119_1192:                           ;   in Loop: Header=BB119_3 Depth=1
	v_lshl_add_u64 v[26:27], v[12:13], 2, v[24:25]
	flat_load_b32 v26, v[26:27]
	s_wait_loadcnt_dscnt 0x0
	v_xor_b32_e32 v26, 0x80000000, v26
	ds_store_b32 v75, v26
	s_or_b32 exec_lo, exec_lo, s45
	s_and_saveexec_b32 s45, s10
	s_delay_alu instid0(SALU_CYCLE_1)
	s_xor_b32 s82, exec_lo, s45
	s_cbranch_execz .LBB119_21
.LBB119_1193:                           ;   in Loop: Header=BB119_3 Depth=1
	s_mov_b32 s45, exec_lo
	v_readlane_b32 s46, v91, 21
	s_and_b32 s46, s45, s46
	s_delay_alu instid0(SALU_CYCLE_1)
	s_xor_b32 s45, s46, s45
	s_mov_b32 exec_lo, s46
	s_cbranch_execz .LBB119_1197
; %bb.1194:                             ;   in Loop: Header=BB119_3 Depth=1
	s_mov_b32 s46, exec_lo
	v_readlane_b32 s47, v90, 28
	s_and_b32 s47, s46, s47
	s_delay_alu instid0(SALU_CYCLE_1)
	s_mov_b32 exec_lo, s47
; %bb.1195:                             ;   in Loop: Header=BB119_3 Depth=1
	ds_store_b32 v76, v5
; %bb.1196:                             ;   in Loop: Header=BB119_3 Depth=1
	s_or_b32 exec_lo, exec_lo, s46
.LBB119_1197:                           ;   in Loop: Header=BB119_3 Depth=1
	s_and_not1_saveexec_b32 s45, s45
	s_cbranch_execz .LBB119_1199
; %bb.1198:                             ;   in Loop: Header=BB119_3 Depth=1
	v_lshl_add_u64 v[26:27], v[14:15], 2, v[24:25]
	flat_load_b32 v26, v[26:27]
	s_wait_loadcnt_dscnt 0x0
	v_div_scale_f32 v27, null, v26, v26, 1.0
	s_delay_alu instid0(VALU_DEP_1) | instskip(SKIP_1) | instid1(TRANS32_DEP_1)
	v_rcp_f32_e32 v84, v27
	v_nop
	v_fma_f32 v85, -v27, v84, 1.0
	s_delay_alu instid0(VALU_DEP_1) | instskip(SKIP_1) | instid1(VALU_DEP_1)
	v_fmac_f32_e32 v84, v85, v84
	v_div_scale_f32 v85, vcc_lo, 1.0, v26, 1.0
	v_mul_f32_e32 v86, v85, v84
	s_delay_alu instid0(VALU_DEP_1) | instskip(NEXT) | instid1(VALU_DEP_1)
	v_fma_f32 v87, -v27, v86, v85
	v_fmac_f32_e32 v86, v87, v84
	s_delay_alu instid0(VALU_DEP_1) | instskip(NEXT) | instid1(VALU_DEP_1)
	v_fma_f32 v27, -v27, v86, v85
	v_div_fmas_f32 v27, v27, v84, v86
	s_delay_alu instid0(VALU_DEP_1)
	v_div_fixup_f32 v26, v27, v26, 1.0
	ds_store_b32 v76, v26
.LBB119_1199:                           ;   in Loop: Header=BB119_3 Depth=1
	s_or_b32 exec_lo, exec_lo, s45
	s_and_not1_saveexec_b32 s45, s82
	s_cbranch_execnz .LBB119_22
	s_branch .LBB119_23
.LBB119_1200:                           ;   in Loop: Header=BB119_3 Depth=1
	ds_load_b32 v20, v71
	ds_load_b32 v21, v68
	s_wait_dscnt 0x0
	v_fma_f32 v20, v20, v21, 0
	s_or_b32 exec_lo, exec_lo, s45
	s_and_saveexec_b32 s45, s8
	s_cbranch_execz .LBB119_1139
.LBB119_1201:                           ;   in Loop: Header=BB119_3 Depth=1
	ds_load_b32 v21, v71 offset:4096
	ds_load_b32 v24, v68 offset:64
	s_wait_dscnt 0x0
	v_fmac_f32_e32 v20, v21, v24
	s_or_b32 exec_lo, exec_lo, s45
	s_and_saveexec_b32 s45, s9
	s_cbranch_execz .LBB119_1140
.LBB119_1202:                           ;   in Loop: Header=BB119_3 Depth=1
	ds_load_b32 v21, v71 offset:8192
	ds_load_b32 v24, v68 offset:128
	s_wait_dscnt 0x0
	v_fmac_f32_e32 v20, v21, v24
	s_or_b32 exec_lo, exec_lo, s45
	s_and_saveexec_b32 s45, s10
	s_cbranch_execnz .LBB119_1141
	s_branch .LBB119_1142
.LBB119_1203:                           ;   in Loop: Header=BB119_3 Depth=1
	s_or_b32 exec_lo, exec_lo, s87
	s_delay_alu instid0(SALU_CYCLE_1)
	s_and_b32 vcc_lo, exec_lo, s83
	s_cbranch_vccnz .LBB119_1145
.LBB119_1204:                           ;   in Loop: Header=BB119_3 Depth=1
	v_mov_b32_e32 v84, v21
	s_and_saveexec_b32 s45, s82
	s_cbranch_execnz .LBB119_1166
	s_branch .LBB119_1167
.LBB119_1205:                           ;   in Loop: Header=BB119_3 Depth=1
	s_and_not1_b32 s46, s82, exec_lo
	s_and_b32 s47, s3, exec_lo
	s_delay_alu instid0(SALU_CYCLE_1)
	s_or_b32 s82, s46, s47
	s_cbranch_execnz .LBB119_1165
.LBB119_1206:                           ;   in Loop: Header=BB119_3 Depth=1
	v_readlane_b32 s46, v91, 6
	s_and_not1_b32 s45, s82, exec_lo
	s_and_b32 s46, s46, exec_lo
	s_delay_alu instid0(SALU_CYCLE_1) | instskip(NEXT) | instid1(SALU_CYCLE_1)
	s_or_b32 s82, s45, s46
	s_and_saveexec_b32 s45, s82
	s_cbranch_execnz .LBB119_1166
	s_branch .LBB119_1167
.LBB119_1207:                           ;   in Loop: Header=BB119_3 Depth=1
	ds_load_b32 v25, v37 offset:272
	ds_load_b32 v26, v31 offset:4
	s_wait_dscnt 0x0
	v_fmac_f32_e32 v24, v25, v26
	s_or_b32 exec_lo, exec_lo, s45
	s_and_saveexec_b32 s45, s18
	s_cbranch_execz .LBB119_88
.LBB119_1208:                           ;   in Loop: Header=BB119_3 Depth=1
	ds_load_b32 v25, v36 offset:528
	ds_load_b32 v26, v31 offset:8
	s_wait_dscnt 0x0
	v_fmac_f32_e32 v24, v25, v26
	s_or_b32 exec_lo, exec_lo, s45
	s_and_saveexec_b32 s45, s2
	s_cbranch_execnz .LBB119_89
	s_branch .LBB119_90
.LBB119_1209:                           ;   in Loop: Header=BB119_3 Depth=1
	ds_load_b32 v25, v43 offset:288
	ds_load_b32 v26, v39 offset:4
	s_wait_dscnt 0x0
	v_fmac_f32_e32 v24, v25, v26
	s_or_b32 exec_lo, exec_lo, s45
	s_and_saveexec_b32 s45, s20
	s_cbranch_execz .LBB119_130
.LBB119_1210:                           ;   in Loop: Header=BB119_3 Depth=1
	ds_load_b32 v25, v43 offset:544
	ds_load_b32 v26, v39 offset:8
	s_wait_dscnt 0x0
	v_fmac_f32_e32 v24, v25, v26
	s_or_b32 exec_lo, exec_lo, s45
	s_and_saveexec_b32 s45, s21
	s_cbranch_execz .LBB119_131
.LBB119_1211:                           ;   in Loop: Header=BB119_3 Depth=1
	ds_load_b32 v25, v43 offset:800
	ds_load_b32 v26, v39 offset:12
	s_wait_dscnt 0x0
	v_fmac_f32_e32 v24, v25, v26
	s_or_b32 exec_lo, exec_lo, s45
	s_and_saveexec_b32 s45, s22
	s_cbranch_execz .LBB119_132
.LBB119_1212:                           ;   in Loop: Header=BB119_3 Depth=1
	ds_load_b32 v25, v42 offset:1056
	ds_load_b32 v26, v39 offset:16
	s_wait_dscnt 0x0
	v_fmac_f32_e32 v24, v25, v26
	s_or_b32 exec_lo, exec_lo, s45
	s_and_saveexec_b32 s45, s23
	s_cbranch_execz .LBB119_133
.LBB119_1213:                           ;   in Loop: Header=BB119_3 Depth=1
	ds_load_b32 v25, v43 offset:1312
	ds_load_b32 v26, v39 offset:20
	s_wait_dscnt 0x0
	v_fmac_f32_e32 v24, v25, v26
	s_or_b32 exec_lo, exec_lo, s45
	s_and_saveexec_b32 s45, s4
	s_cbranch_execz .LBB119_134
.LBB119_1214:                           ;   in Loop: Header=BB119_3 Depth=1
	ds_load_b32 v25, v42 offset:1568
	ds_load_b32 v26, v39 offset:24
	s_wait_dscnt 0x0
	v_fmac_f32_e32 v24, v25, v26
	s_or_b32 exec_lo, exec_lo, s45
	s_and_saveexec_b32 s45, s18
	s_cbranch_execnz .LBB119_135
	s_branch .LBB119_136
.LBB119_1215:                           ;   in Loop: Header=BB119_3 Depth=1
	ds_load_b32 v25, v37 offset:2352
	ds_load_b32 v26, v31 offset:2084
	s_wait_dscnt 0x0
	v_fmac_f32_e32 v24, v25, v26
	s_or_b32 exec_lo, exec_lo, s45
	s_and_saveexec_b32 s45, s18
	s_cbranch_execz .LBB119_192
.LBB119_1216:                           ;   in Loop: Header=BB119_3 Depth=1
	ds_load_b32 v25, v36 offset:2608
	ds_load_b32 v26, v31 offset:2088
	s_wait_dscnt 0x0
	v_fmac_f32_e32 v24, v25, v26
	s_or_b32 exec_lo, exec_lo, s45
	s_and_saveexec_b32 s45, s2
	s_cbranch_execnz .LBB119_193
	s_branch .LBB119_194
.LBB119_1217:                           ;   in Loop: Header=BB119_3 Depth=1
	ds_load_b32 v25, v48 offset:2880
	ds_load_b32 v26, v44 offset:44
	s_wait_dscnt 0x0
	v_fmac_f32_e32 v24, v25, v26
	s_or_b32 exec_lo, exec_lo, s45
	s_and_saveexec_b32 s45, s5
	s_cbranch_execz .LBB119_254
.LBB119_1218:                           ;   in Loop: Header=BB119_3 Depth=1
	ds_load_b32 v25, v47 offset:3136
	ds_load_b32 v26, v44 offset:48
	s_wait_dscnt 0x0
	v_fmac_f32_e32 v24, v25, v26
	s_or_b32 exec_lo, exec_lo, s45
	s_and_saveexec_b32 s45, s20
	s_cbranch_execz .LBB119_255
.LBB119_1219:                           ;   in Loop: Header=BB119_3 Depth=1
	ds_load_b32 v25, v48 offset:3392
	ds_load_b32 v26, v44 offset:52
	s_wait_dscnt 0x0
	v_fmac_f32_e32 v24, v25, v26
	s_or_b32 exec_lo, exec_lo, s45
	s_and_saveexec_b32 s45, s22
	s_cbranch_execz .LBB119_256
.LBB119_1220:                           ;   in Loop: Header=BB119_3 Depth=1
	ds_load_b32 v25, v47 offset:3648
	ds_load_b32 v26, v44 offset:56
	s_wait_dscnt 0x0
	v_fmac_f32_e32 v24, v25, v26
	s_or_b32 exec_lo, exec_lo, s45
	s_and_saveexec_b32 s45, s4
	s_cbranch_execnz .LBB119_257
	s_branch .LBB119_258
.LBB119_1221:                           ;   in Loop: Header=BB119_3 Depth=1
	ds_load_b32 v25, v37 offset:4432
	ds_load_b32 v26, v31 offset:4164
	s_wait_dscnt 0x0
	v_fmac_f32_e32 v24, v25, v26
	s_or_b32 exec_lo, exec_lo, s45
	s_and_saveexec_b32 s45, s18
	s_cbranch_execz .LBB119_346
.LBB119_1222:                           ;   in Loop: Header=BB119_3 Depth=1
	ds_load_b32 v25, v36 offset:4688
	ds_load_b32 v26, v31 offset:4168
	s_wait_dscnt 0x0
	v_fmac_f32_e32 v24, v25, v26
	s_or_b32 exec_lo, exec_lo, s45
	s_and_saveexec_b32 s45, s2
	s_cbranch_execnz .LBB119_347
	s_branch .LBB119_348
.LBB119_1223:                           ;   in Loop: Header=BB119_3 Depth=1
	ds_load_b32 v25, v43 offset:4448
	ds_load_b32 v26, v39 offset:4164
	s_wait_dscnt 0x0
	v_fmac_f32_e32 v24, v25, v26
	s_or_b32 exec_lo, exec_lo, s45
	s_and_saveexec_b32 s45, s20
	s_cbranch_execz .LBB119_388
.LBB119_1224:                           ;   in Loop: Header=BB119_3 Depth=1
	ds_load_b32 v25, v43 offset:4704
	ds_load_b32 v26, v39 offset:4168
	s_wait_dscnt 0x0
	v_fmac_f32_e32 v24, v25, v26
	s_or_b32 exec_lo, exec_lo, s45
	s_and_saveexec_b32 s45, s21
	s_cbranch_execz .LBB119_389
.LBB119_1225:                           ;   in Loop: Header=BB119_3 Depth=1
	ds_load_b32 v25, v43 offset:4960
	ds_load_b32 v26, v39 offset:4172
	s_wait_dscnt 0x0
	v_fmac_f32_e32 v24, v25, v26
	s_or_b32 exec_lo, exec_lo, s45
	s_and_saveexec_b32 s45, s22
	s_cbranch_execz .LBB119_390
.LBB119_1226:                           ;   in Loop: Header=BB119_3 Depth=1
	ds_load_b32 v25, v42 offset:5216
	ds_load_b32 v26, v39 offset:4176
	s_wait_dscnt 0x0
	v_fmac_f32_e32 v24, v25, v26
	s_or_b32 exec_lo, exec_lo, s45
	s_and_saveexec_b32 s45, s23
	s_cbranch_execz .LBB119_391
.LBB119_1227:                           ;   in Loop: Header=BB119_3 Depth=1
	ds_load_b32 v25, v43 offset:5472
	ds_load_b32 v26, v39 offset:4180
	s_wait_dscnt 0x0
	v_fmac_f32_e32 v24, v25, v26
	s_or_b32 exec_lo, exec_lo, s45
	s_and_saveexec_b32 s45, s4
	s_cbranch_execz .LBB119_392
.LBB119_1228:                           ;   in Loop: Header=BB119_3 Depth=1
	ds_load_b32 v25, v42 offset:5728
	ds_load_b32 v26, v39 offset:4184
	s_wait_dscnt 0x0
	v_fmac_f32_e32 v24, v25, v26
	s_or_b32 exec_lo, exec_lo, s45
	s_and_saveexec_b32 s45, s18
	s_cbranch_execnz .LBB119_393
	s_branch .LBB119_394
.LBB119_1229:                           ;   in Loop: Header=BB119_3 Depth=1
	ds_load_b32 v25, v37 offset:6512
	ds_load_b32 v26, v31 offset:6244
	s_wait_dscnt 0x0
	v_fmac_f32_e32 v24, v25, v26
	s_or_b32 exec_lo, exec_lo, s45
	s_and_saveexec_b32 s45, s18
	s_cbranch_execz .LBB119_450
.LBB119_1230:                           ;   in Loop: Header=BB119_3 Depth=1
	ds_load_b32 v25, v36 offset:6768
	ds_load_b32 v26, v31 offset:6248
	s_wait_dscnt 0x0
	v_fmac_f32_e32 v24, v25, v26
	s_or_b32 exec_lo, exec_lo, s45
	s_and_saveexec_b32 s45, s2
	s_cbranch_execnz .LBB119_451
	s_branch .LBB119_452
.LBB119_1231:                           ;   in Loop: Header=BB119_3 Depth=1
	ds_load_b32 v26, v64 offset:7552
	ds_load_b32 v27, v25 offset:116
	s_wait_dscnt 0x0
	v_fmac_f32_e32 v24, v26, v27
	s_or_b32 exec_lo, exec_lo, s45
	s_and_saveexec_b32 s45, s5
	s_cbranch_execz .LBB119_548
.LBB119_1232:                           ;   in Loop: Header=BB119_3 Depth=1
	ds_load_b32 v26, v64 offset:7808
	ds_load_b32 v25, v25 offset:120
	s_wait_dscnt 0x0
	v_fmac_f32_e32 v24, v26, v25
	s_or_b32 exec_lo, exec_lo, s45
	s_and_saveexec_b32 s45, s22
	s_cbranch_execnz .LBB119_549
	s_branch .LBB119_550
.LBB119_1233:                           ;   in Loop: Header=BB119_3 Depth=1
	ds_load_b32 v25, v37 offset:8592
	ds_load_b32 v26, v31 offset:8324
	s_wait_dscnt 0x0
	v_fmac_f32_e32 v24, v25, v26
	s_or_b32 exec_lo, exec_lo, s45
	s_and_saveexec_b32 s45, s18
	s_cbranch_execz .LBB119_702
.LBB119_1234:                           ;   in Loop: Header=BB119_3 Depth=1
	ds_load_b32 v25, v36 offset:8848
	ds_load_b32 v26, v31 offset:8328
	s_wait_dscnt 0x0
	v_fmac_f32_e32 v24, v25, v26
	s_or_b32 exec_lo, exec_lo, s45
	s_and_saveexec_b32 s45, s2
	s_cbranch_execnz .LBB119_703
	s_branch .LBB119_704
.LBB119_1235:                           ;   in Loop: Header=BB119_3 Depth=1
	ds_load_b32 v25, v43 offset:8608
	ds_load_b32 v26, v39 offset:8324
	s_wait_dscnt 0x0
	v_fmac_f32_e32 v24, v25, v26
	s_or_b32 exec_lo, exec_lo, s45
	s_and_saveexec_b32 s45, s20
	s_cbranch_execz .LBB119_744
.LBB119_1236:                           ;   in Loop: Header=BB119_3 Depth=1
	ds_load_b32 v25, v43 offset:8864
	ds_load_b32 v26, v39 offset:8328
	s_wait_dscnt 0x0
	v_fmac_f32_e32 v24, v25, v26
	s_or_b32 exec_lo, exec_lo, s45
	s_and_saveexec_b32 s45, s21
	s_cbranch_execz .LBB119_745
.LBB119_1237:                           ;   in Loop: Header=BB119_3 Depth=1
	ds_load_b32 v25, v43 offset:9120
	ds_load_b32 v26, v39 offset:8332
	s_wait_dscnt 0x0
	v_fmac_f32_e32 v24, v25, v26
	s_or_b32 exec_lo, exec_lo, s45
	s_and_saveexec_b32 s45, s22
	s_cbranch_execz .LBB119_746
.LBB119_1238:                           ;   in Loop: Header=BB119_3 Depth=1
	ds_load_b32 v25, v42 offset:9376
	ds_load_b32 v26, v39 offset:8336
	s_wait_dscnt 0x0
	v_fmac_f32_e32 v24, v25, v26
	s_or_b32 exec_lo, exec_lo, s45
	s_and_saveexec_b32 s45, s23
	s_cbranch_execz .LBB119_747
.LBB119_1239:                           ;   in Loop: Header=BB119_3 Depth=1
	ds_load_b32 v25, v43 offset:9632
	ds_load_b32 v26, v39 offset:8340
	s_wait_dscnt 0x0
	v_fmac_f32_e32 v24, v25, v26
	s_or_b32 exec_lo, exec_lo, s45
	s_and_saveexec_b32 s45, s4
	s_cbranch_execz .LBB119_748
.LBB119_1240:                           ;   in Loop: Header=BB119_3 Depth=1
	ds_load_b32 v25, v42 offset:9888
	ds_load_b32 v26, v39 offset:8344
	s_wait_dscnt 0x0
	v_fmac_f32_e32 v24, v25, v26
	s_or_b32 exec_lo, exec_lo, s45
	s_and_saveexec_b32 s45, s18
	s_cbranch_execnz .LBB119_749
	s_branch .LBB119_750
.LBB119_1241:                           ;   in Loop: Header=BB119_3 Depth=1
	ds_load_b32 v25, v37 offset:10672
	ds_load_b32 v26, v31 offset:10404
	s_wait_dscnt 0x0
	v_fmac_f32_e32 v24, v25, v26
	s_or_b32 exec_lo, exec_lo, s45
	s_and_saveexec_b32 s45, s18
	s_cbranch_execz .LBB119_806
.LBB119_1242:                           ;   in Loop: Header=BB119_3 Depth=1
	ds_load_b32 v25, v36 offset:10928
	ds_load_b32 v26, v31 offset:10408
	s_wait_dscnt 0x0
	v_fmac_f32_e32 v24, v25, v26
	s_or_b32 exec_lo, exec_lo, s45
	s_and_saveexec_b32 s45, s2
	s_cbranch_execnz .LBB119_807
	s_branch .LBB119_808
.LBB119_1243:                           ;   in Loop: Header=BB119_3 Depth=1
	ds_load_b32 v25, v48 offset:11200
	ds_load_b32 v26, v44 offset:8364
	s_wait_dscnt 0x0
	v_fmac_f32_e32 v24, v25, v26
	s_or_b32 exec_lo, exec_lo, s45
	s_and_saveexec_b32 s45, s5
	s_cbranch_execz .LBB119_868
.LBB119_1244:                           ;   in Loop: Header=BB119_3 Depth=1
	ds_load_b32 v25, v47 offset:11456
	ds_load_b32 v26, v44 offset:8368
	s_wait_dscnt 0x0
	v_fmac_f32_e32 v24, v25, v26
	s_or_b32 exec_lo, exec_lo, s45
	s_and_saveexec_b32 s45, s20
	s_cbranch_execz .LBB119_869
.LBB119_1245:                           ;   in Loop: Header=BB119_3 Depth=1
	ds_load_b32 v25, v48 offset:11712
	ds_load_b32 v26, v44 offset:8372
	s_wait_dscnt 0x0
	v_fmac_f32_e32 v24, v25, v26
	s_or_b32 exec_lo, exec_lo, s45
	s_and_saveexec_b32 s45, s22
	s_cbranch_execz .LBB119_870
.LBB119_1246:                           ;   in Loop: Header=BB119_3 Depth=1
	ds_load_b32 v25, v47 offset:11968
	ds_load_b32 v26, v44 offset:8376
	s_wait_dscnt 0x0
	v_fmac_f32_e32 v24, v25, v26
	s_or_b32 exec_lo, exec_lo, s45
	s_and_saveexec_b32 s45, s4
	s_cbranch_execnz .LBB119_871
	s_branch .LBB119_872
.LBB119_1247:                           ;   in Loop: Header=BB119_3 Depth=1
	ds_load_b32 v25, v37 offset:12752
	ds_load_b32 v26, v31 offset:12484
	s_wait_dscnt 0x0
	v_fmac_f32_e32 v24, v25, v26
	s_or_b32 exec_lo, exec_lo, s45
	s_and_saveexec_b32 s45, s18
	s_cbranch_execz .LBB119_960
.LBB119_1248:                           ;   in Loop: Header=BB119_3 Depth=1
	ds_load_b32 v25, v36 offset:13008
	ds_load_b32 v26, v31 offset:12488
	s_wait_dscnt 0x0
	v_fmac_f32_e32 v24, v25, v26
	s_or_b32 exec_lo, exec_lo, s45
	s_and_saveexec_b32 s45, s2
	s_cbranch_execnz .LBB119_961
	s_branch .LBB119_962
.LBB119_1249:                           ;   in Loop: Header=BB119_3 Depth=1
	ds_load_b32 v25, v43 offset:12768
	ds_load_b32 v26, v39 offset:12484
	s_wait_dscnt 0x0
	v_fmac_f32_e32 v24, v25, v26
	s_or_b32 exec_lo, exec_lo, s45
	s_and_saveexec_b32 s45, s20
	s_cbranch_execz .LBB119_1002
.LBB119_1250:                           ;   in Loop: Header=BB119_3 Depth=1
	ds_load_b32 v25, v43 offset:13024
	ds_load_b32 v26, v39 offset:12488
	s_wait_dscnt 0x0
	v_fmac_f32_e32 v24, v25, v26
	s_or_b32 exec_lo, exec_lo, s45
	s_and_saveexec_b32 s45, s21
	s_cbranch_execz .LBB119_1003
.LBB119_1251:                           ;   in Loop: Header=BB119_3 Depth=1
	ds_load_b32 v25, v43 offset:13280
	ds_load_b32 v26, v39 offset:12492
	s_wait_dscnt 0x0
	v_fmac_f32_e32 v24, v25, v26
	s_or_b32 exec_lo, exec_lo, s45
	s_and_saveexec_b32 s45, s22
	s_cbranch_execz .LBB119_1004
.LBB119_1252:                           ;   in Loop: Header=BB119_3 Depth=1
	ds_load_b32 v25, v42 offset:13536
	ds_load_b32 v26, v39 offset:12496
	s_wait_dscnt 0x0
	v_fmac_f32_e32 v24, v25, v26
	s_or_b32 exec_lo, exec_lo, s45
	s_and_saveexec_b32 s45, s23
	s_cbranch_execz .LBB119_1005
.LBB119_1253:                           ;   in Loop: Header=BB119_3 Depth=1
	ds_load_b32 v25, v43 offset:13792
	ds_load_b32 v26, v39 offset:12500
	s_wait_dscnt 0x0
	v_fmac_f32_e32 v24, v25, v26
	s_or_b32 exec_lo, exec_lo, s45
	s_and_saveexec_b32 s45, s4
	s_cbranch_execz .LBB119_1006
.LBB119_1254:                           ;   in Loop: Header=BB119_3 Depth=1
	ds_load_b32 v25, v42 offset:14048
	ds_load_b32 v26, v39 offset:12504
	s_wait_dscnt 0x0
	v_fmac_f32_e32 v24, v25, v26
	s_or_b32 exec_lo, exec_lo, s45
	s_and_saveexec_b32 s45, s18
	s_cbranch_execnz .LBB119_1007
	s_branch .LBB119_1008
.LBB119_1255:                           ;   in Loop: Header=BB119_3 Depth=1
	ds_load_b32 v25, v37 offset:14832
	ds_load_b32 v26, v31 offset:14564
	s_wait_dscnt 0x0
	v_fmac_f32_e32 v24, v25, v26
	s_or_b32 exec_lo, exec_lo, s45
	s_and_saveexec_b32 s45, s18
	s_cbranch_execz .LBB119_1064
.LBB119_1256:                           ;   in Loop: Header=BB119_3 Depth=1
	ds_load_b32 v25, v36 offset:15088
	ds_load_b32 v26, v31 offset:14568
	s_wait_dscnt 0x0
	v_fmac_f32_e32 v24, v25, v26
	s_or_b32 exec_lo, exec_lo, s45
	s_and_saveexec_b32 s45, s2
	s_cbranch_execnz .LBB119_1065
	s_branch .LBB119_1066
.LBB119_1257:
	s_endpgm
	.section	.rodata,"a",@progbits
	.p2align	6, 0x0
	.amdhsa_kernel _ZL19rocblas_trsv_deviceILi64ELi16ELb1ELb1ELb0ELb0EffPKPKfPKPfEviT7_lllT6_T8_lllPii
		.amdhsa_group_segment_fixed_size 20740
		.amdhsa_private_segment_fixed_size 0
		.amdhsa_kernarg_size 352
		.amdhsa_user_sgpr_count 2
		.amdhsa_user_sgpr_dispatch_ptr 0
		.amdhsa_user_sgpr_queue_ptr 0
		.amdhsa_user_sgpr_kernarg_segment_ptr 1
		.amdhsa_user_sgpr_dispatch_id 0
		.amdhsa_user_sgpr_kernarg_preload_length 0
		.amdhsa_user_sgpr_kernarg_preload_offset 0
		.amdhsa_user_sgpr_private_segment_size 0
		.amdhsa_wavefront_size32 1
		.amdhsa_uses_dynamic_stack 0
		.amdhsa_enable_private_segment 0
		.amdhsa_system_sgpr_workgroup_id_x 1
		.amdhsa_system_sgpr_workgroup_id_y 0
		.amdhsa_system_sgpr_workgroup_id_z 1
		.amdhsa_system_sgpr_workgroup_info 0
		.amdhsa_system_vgpr_workitem_id 1
		.amdhsa_next_free_vgpr 94
		.amdhsa_next_free_sgpr 105
		.amdhsa_named_barrier_count 0
		.amdhsa_reserve_vcc 1
		.amdhsa_float_round_mode_32 0
		.amdhsa_float_round_mode_16_64 0
		.amdhsa_float_denorm_mode_32 3
		.amdhsa_float_denorm_mode_16_64 3
		.amdhsa_fp16_overflow 0
		.amdhsa_memory_ordered 1
		.amdhsa_forward_progress 1
		.amdhsa_inst_pref_size 255
		.amdhsa_round_robin_scheduling 0
		.amdhsa_exception_fp_ieee_invalid_op 0
		.amdhsa_exception_fp_denorm_src 0
		.amdhsa_exception_fp_ieee_div_zero 0
		.amdhsa_exception_fp_ieee_overflow 0
		.amdhsa_exception_fp_ieee_underflow 0
		.amdhsa_exception_fp_ieee_inexact 0
		.amdhsa_exception_int_div_zero 0
	.end_amdhsa_kernel
	.section	.text._ZL19rocblas_trsv_deviceILi64ELi16ELb1ELb1ELb0ELb0EffPKPKfPKPfEviT7_lllT6_T8_lllPii,"axG",@progbits,_ZL19rocblas_trsv_deviceILi64ELi16ELb1ELb1ELb0ELb0EffPKPKfPKPfEviT7_lllT6_T8_lllPii,comdat
.Lfunc_end119:
	.size	_ZL19rocblas_trsv_deviceILi64ELi16ELb1ELb1ELb0ELb0EffPKPKfPKPfEviT7_lllT6_T8_lllPii, .Lfunc_end119-_ZL19rocblas_trsv_deviceILi64ELi16ELb1ELb1ELb0ELb0EffPKPKfPKPfEviT7_lllT6_T8_lllPii
                                        ; -- End function
	.set _ZL19rocblas_trsv_deviceILi64ELi16ELb1ELb1ELb0ELb0EffPKPKfPKPfEviT7_lllT6_T8_lllPii.num_vgpr, 94
	.set _ZL19rocblas_trsv_deviceILi64ELi16ELb1ELb1ELb0ELb0EffPKPKfPKPfEviT7_lllT6_T8_lllPii.num_agpr, 0
	.set _ZL19rocblas_trsv_deviceILi64ELi16ELb1ELb1ELb0ELb0EffPKPKfPKPfEviT7_lllT6_T8_lllPii.numbered_sgpr, 105
	.set _ZL19rocblas_trsv_deviceILi64ELi16ELb1ELb1ELb0ELb0EffPKPKfPKPfEviT7_lllT6_T8_lllPii.num_named_barrier, 0
	.set _ZL19rocblas_trsv_deviceILi64ELi16ELb1ELb1ELb0ELb0EffPKPKfPKPfEviT7_lllT6_T8_lllPii.private_seg_size, 0
	.set _ZL19rocblas_trsv_deviceILi64ELi16ELb1ELb1ELb0ELb0EffPKPKfPKPfEviT7_lllT6_T8_lllPii.uses_vcc, 1
	.set _ZL19rocblas_trsv_deviceILi64ELi16ELb1ELb1ELb0ELb0EffPKPKfPKPfEviT7_lllT6_T8_lllPii.uses_flat_scratch, 0
	.set _ZL19rocblas_trsv_deviceILi64ELi16ELb1ELb1ELb0ELb0EffPKPKfPKPfEviT7_lllT6_T8_lllPii.has_dyn_sized_stack, 0
	.set _ZL19rocblas_trsv_deviceILi64ELi16ELb1ELb1ELb0ELb0EffPKPKfPKPfEviT7_lllT6_T8_lllPii.has_recursion, 0
	.set _ZL19rocblas_trsv_deviceILi64ELi16ELb1ELb1ELb0ELb0EffPKPKfPKPfEviT7_lllT6_T8_lllPii.has_indirect_call, 0
	.section	.AMDGPU.csdata,"",@progbits
; Kernel info:
; codeLenInByte = 40144
; TotalNumSgprs: 107
; NumVgprs: 94
; ScratchSize: 0
; MemoryBound: 0
; FloatMode: 240
; IeeeMode: 1
; LDSByteSize: 20740 bytes/workgroup (compile time only)
; SGPRBlocks: 0
; VGPRBlocks: 5
; NumSGPRsForWavesPerEU: 107
; NumVGPRsForWavesPerEU: 94
; NamedBarCnt: 0
; Occupancy: 10
; WaveLimiterHint : 1
; COMPUTE_PGM_RSRC2:SCRATCH_EN: 0
; COMPUTE_PGM_RSRC2:USER_SGPR: 2
; COMPUTE_PGM_RSRC2:TRAP_HANDLER: 0
; COMPUTE_PGM_RSRC2:TGID_X_EN: 1
; COMPUTE_PGM_RSRC2:TGID_Y_EN: 0
; COMPUTE_PGM_RSRC2:TGID_Z_EN: 1
; COMPUTE_PGM_RSRC2:TIDIG_COMP_CNT: 1
	.section	.text._ZL19rocblas_trsv_deviceILi64ELi16ELb1ELb1ELb1ELb0EffPKPKfPKPfEviT7_lllT6_T8_lllPii,"axG",@progbits,_ZL19rocblas_trsv_deviceILi64ELi16ELb1ELb1ELb1ELb0EffPKPKfPKPfEviT7_lllT6_T8_lllPii,comdat
	.globl	_ZL19rocblas_trsv_deviceILi64ELi16ELb1ELb1ELb1ELb0EffPKPKfPKPfEviT7_lllT6_T8_lllPii ; -- Begin function _ZL19rocblas_trsv_deviceILi64ELi16ELb1ELb1ELb1ELb0EffPKPKfPKPfEviT7_lllT6_T8_lllPii
	.p2align	8
	.type	_ZL19rocblas_trsv_deviceILi64ELi16ELb1ELb1ELb1ELb0EffPKPKfPKPfEviT7_lllT6_T8_lllPii,@function
_ZL19rocblas_trsv_deviceILi64ELi16ELb1ELb1ELb1ELb0EffPKPKfPKPfEviT7_lllT6_T8_lllPii: ; @_ZL19rocblas_trsv_deviceILi64ELi16ELb1ELb1ELb1ELb0EffPKPKfPKPfEviT7_lllT6_T8_lllPii
; %bb.0:
	s_load_b32 s6, s[0:1], 0x58
	s_bfe_u32 s2, ttmp6, 0x40014
	s_lshr_b32 s3, ttmp7, 16
	s_add_co_i32 s2, s2, 1
	s_bfe_u32 s5, ttmp6, 0x40008
	s_mul_i32 s4, s3, s2
	s_getreg_b32 s2, hwreg(HW_REG_IB_STS2, 6, 4)
	s_add_co_i32 s5, s5, s4
	s_cmp_eq_u32 s2, 0
	s_mov_b32 s67, 0
	s_cselect_b32 s66, s3, s5
                                        ; implicit-def: $vgpr93 : SGPR spill to VGPR lane
	s_wait_kmcnt 0x0
	s_cmp_ge_u32 s66, s6
	v_writelane_b32 v93, s6, 0
	s_cbranch_scc1 .LBB120_1257
; %bb.1:
	s_clause 0x2
	s_load_b32 s3, s[0:1], 0x6c
	s_load_b32 s85, s[0:1], 0x60
	;; [unrolled: 1-line block ×3, first 2 shown]
	s_bfe_u32 s5, ttmp6, 0x4000c
	s_and_b32 s4, ttmp6, 15
	s_add_co_i32 s5, s5, 1
	s_clause 0x1
	s_load_b64 s[14:15], s[0:1], 0x18
	s_load_b128 s[68:71], s[0:1], 0x8
	s_mul_i32 s5, ttmp9, s5
	s_load_b64 s[78:79], s[0:1], 0x50
	s_add_co_i32 s4, s4, s5
	s_cmp_eq_u32 s2, 0
	v_and_b32_e32 v2, 0x3ff, v0
	s_cselect_b32 s84, ttmp9, s4
	v_mov_b32_e32 v5, 0
	v_bfe_u32 v28, v0, 10, 10
                                        ; implicit-def: $vgpr92 : SGPR spill to VGPR lane
                                        ; implicit-def: $vgpr91 : SGPR spill to VGPR lane
	s_clause 0x1
	s_load_b64 s[80:81], s[0:1], 0x40
	s_load_b128 s[72:75], s[0:1], 0x30
	v_lshlrev_b32_e32 v51, 6, v2
                                        ; implicit-def: $vgpr90 : SGPR spill to VGPR lane
	v_dual_lshlrev_b32 v30, 2, v2 :: v_dual_lshlrev_b32 v32, 8, v2
	s_wait_kmcnt 0x0
	s_and_b32 s4, s3, 0xffff
	s_add_co_i32 s85, s85, -1
	s_add_co_i32 s2, s76, -1
	s_ashr_i32 s77, s76, 31
	s_ashr_i32 s3, s2, 31
	s_lshr_b32 s5, s77, 26
	s_lshr_b32 s3, s3, 26
	s_add_co_i32 s5, s76, s5
	s_add_co_i32 s2, s2, s3
	s_and_not1_b32 s5, s5, 63
	s_sub_co_i32 s65, s85, s84
	s_ashr_i32 s2, s2, 6
	s_sub_co_i32 s18, s76, s5
	s_cmp_eq_u32 s2, s65
	v_dual_mov_b32 v3, v5 :: v_dual_add_nc_u32 v24, 16, v28
	s_cselect_b32 s2, -1, 0
	s_cmp_lg_u32 s18, 0
	v_lshl_add_u32 v22, v28, 6, v2
	s_cselect_b32 s3, -1, 0
	v_lshl_add_u32 v11, v24, 6, v2
	s_and_b32 s19, s3, s2
	v_mad_u32_u24 v4, v28, s4, v2
	s_xor_b32 s86, s19, -1
	s_cmp_lg_u32 s84, 0
	v_cmp_gt_u32_e64 s5, 2, v2
	s_cselect_b32 s2, -1, 0
	s_lshl_b32 s16, s65, 6
	v_writelane_b32 v93, s2, 1
	s_load_b32 s2, s[0:1], 0x28
	v_dual_add_nc_u32 v1, v28, v51 :: v_dual_add_nc_u32 v25, s16, v28
	v_dual_add_nc_u32 v10, v24, v51 :: v_dual_add_nc_u32 v20, s16, v2
	s_cmp_lt_i32 s84, 5
	s_wait_xcnt 0x0
	v_cmp_gt_i32_e64 s0, s18, v2
	v_add_nc_u32_e32 v6, 64, v25
	s_cselect_b32 vcc_lo, -1, 0
	v_dual_cndmask_b32 v26, v22, v1 :: v_dual_ashrrev_i32 v21, 31, v20
	s_or_b32 vcc_lo, vcc_lo, s19
	s_delay_alu instid0(VALU_DEP_2) | instskip(SKIP_4) | instid1(VALU_DEP_3)
	v_ashrrev_i32_e32 v7, 31, v6
	v_dual_cndmask_b32 v27, v11, v10, vcc_lo :: v_dual_lshrrev_b32 v1, 10, v0
	v_dual_lshrrev_b32 v16, 1, v22 :: v_dual_bitop2_b32 v10, 1, v0 bitop3:0x40
	s_ashr_i32 s17, s16, 31
	v_and_b32_e32 v11, -4, v22
	v_bitop3_b32 v23, v0, v1, 0x3ff bitop3:0xa8
	s_wait_kmcnt 0x0
	v_writelane_b32 v93, s2, 2
	s_add_nc_u64 s[2:3], s[14:15], 1
	v_cmp_eq_u32_e64 s4, 1, v10
	v_mad_nc_u64_u32 v[14:15], s2, s16, v[2:3]
	s_mul_i32 s2, s2, s17
	s_mul_i32 s3, s3, s16
	v_dual_lshlrev_b32 v17, 2, v10 :: v_dual_bitop2_b32 v10, 3, v0 bitop3:0x40
	v_lshrrev_b32_e32 v1, 2, v22
	v_add_nc_u32_e32 v35, 0x4000, v11
	s_xor_b32 s89, vcc_lo, -1
	v_mul_u64_e32 v[8:9], s[14:15], v[20:21]
	v_cmp_ne_u32_e64 s6, 0, v10
	v_mul_u32_u24_e32 v31, 0x104, v1
	v_add3_u32 v15, s2, s3, v15
	v_cmp_gt_u32_e64 s2, 4, v22
	s_xor_b32 s3, s4, -1
	v_dual_lshlrev_b32 v33, 2, v10 :: v_dual_sub_nc_u32 v12, v31, v11
	v_cmp_eq_u32_e64 s7, 1, v10
	s_and_b32 s90, s3, s2
	v_cmp_eq_u32_e64 s3, 0, v28
	s_and_b32 s91, s4, s2
	v_cmp_gt_u32_e64 s4, 16, v22
	v_lshl_or_b32 v36, v1, 8, v33
	v_dual_add_nc_u32 v37, v12, v33 :: v_dual_lshrrev_b32 v1, 3, v22
	s_and_b32 s92, s3, s5
	v_cmp_eq_u32_e64 s5, 0, v10
	s_and_b32 s94, s6, s4
	v_cmp_eq_u32_e64 s6, 2, v10
	;; [unrolled: 2-line block ×3, first 2 shown]
	s_and_b32 s93, s5, s4
	v_cmp_lt_u32_e64 s5, 1, v10
	v_dual_lshlrev_b32 v11, 2, v1 :: v_dual_bitop2_b32 v10, 7, v0 bitop3:0x40
	s_and_b32 s97, s6, s4
	s_and_b32 s98, s7, s4
	;; [unrolled: 1-line block ×3, first 2 shown]
	v_cmp_gt_u32_e64 s5, 4, v2
	v_cmp_eq_u32_e64 s6, 0, v10
	v_cmp_ne_u32_e64 s7, 0, v10
	v_mul_u32_u24_e32 v39, 0x104, v1
	v_cmp_eq_u32_e64 s8, 1, v10
	s_and_b32 s99, s3, s5
	v_cmp_gt_u32_e64 s5, 64, v22
	v_lshlrev_b32_e32 v40, 2, v10
	v_add_nc_u32_e32 v41, 0x4000, v11
	v_sub_nc_u32_e32 v11, v39, v11
	v_cmp_eq_u32_e64 s9, 3, v10
	s_and_b32 s100, s6, s5
	s_and_b32 s101, s7, s5
	v_cmp_lt_u32_e64 s6, 1, v10
	v_cmp_eq_u32_e64 s7, 2, v10
	s_and_b32 s102, s8, s5
	v_cmp_lt_u32_e64 s8, 2, v10
	v_lshl_or_b32 v42, v1, 8, v40
	s_and_b32 s103, s6, s5
	v_cmp_lt_u32_e64 s6, 3, v10
	s_and_b32 s104, s7, s5
	v_cmp_eq_u32_e64 s7, 4, v10
	v_dual_add_nc_u32 v43, v11, v40 :: v_dual_lshrrev_b32 v1, 4, v22
	s_and_b32 s37, s6, s5
	v_cmp_lt_u32_e64 s6, 4, v10
	s_and_b32 s38, s7, s5
	v_cmp_eq_u32_e64 s7, 6, v10
	s_and_b32 vcc_hi, s8, s5
	s_and_b32 s36, s9, s5
	v_cmp_eq_u32_e64 s8, 5, v10
	v_cmp_lt_u32_e64 s9, 5, v10
	s_and_b32 s39, s6, s5
	s_and_b32 s42, s7, s5
	v_cmp_eq_u32_e64 s6, 7, v10
	v_cmp_gt_u32_e64 s7, 8, v2
	v_dual_lshlrev_b32 v11, 2, v1 :: v_dual_bitop2_b32 v10, 15, v0 bitop3:0x40
	s_and_b32 s40, s8, s5
	s_and_b32 s43, s6, s5
	;; [unrolled: 1-line block ×3, first 2 shown]
	v_cmp_gt_u32_e64 s6, 0x100, v22
	v_cmp_eq_u32_e64 s7, 0, v10
	v_cmp_ne_u32_e64 s8, 0, v10
	s_and_b32 s41, s9, s5
	v_cmp_eq_u32_e64 s9, 1, v10
	v_mul_u32_u24_e32 v44, 0x104, v1
	s_and_b32 s7, s7, s6
	s_and_b32 s8, s8, s6
	v_writelane_b32 v93, s7, 3
	v_cmp_lt_u32_e64 s7, 1, v10
	s_and_b32 s9, s9, s6
	v_dual_lshlrev_b32 v45, 2, v10 :: v_dual_sub_nc_u32 v12, v44, v11
	v_writelane_b32 v93, s8, 4
	s_and_b32 s7, s7, s6
	v_cmp_eq_u32_e64 s8, 2, v10
	s_delay_alu instid0(VALU_DEP_3)
	v_lshl_or_b32 v47, v1, 8, v45
	v_dual_add_nc_u32 v48, v12, v45 :: v_dual_lshrrev_b32 v1, 5, v22
	v_writelane_b32 v93, s9, 5
	v_cmp_lt_u32_e64 s9, 2, v10
	s_and_b32 s49, s8, s6
	v_cmp_lt_u32_e64 s8, 3, v10
	v_dual_lshlrev_b32 v49, 2, v1 :: v_dual_bitop2_b32 v66, 31, v0 bitop3:0x40
	v_writelane_b32 v93, s7, 6
	v_cmp_eq_u32_e64 s7, 3, v10
	s_and_b32 s50, s9, s6
	v_cmp_eq_u32_e64 s9, 4, v10
	s_and_b32 s52, s8, s6
	v_cmp_eq_u32_e64 s8, 5, v10
	s_and_b32 s51, s7, s6
	v_cmp_lt_u32_e64 s7, 4, v10
	s_and_b32 s53, s9, s6
	v_cmp_lt_u32_e64 s9, 5, v10
	s_and_b32 s55, s8, s6
	v_cmp_lt_u32_e64 s8, 6, v10
	s_and_b32 s54, s7, s6
	v_cmp_eq_u32_e64 s7, 6, v10
	s_and_b32 s56, s9, s6
	v_cmp_eq_u32_e64 s9, 7, v10
	s_and_b32 s58, s8, s6
	v_cmp_eq_u32_e64 s8, 8, v10
	s_and_b32 s57, s7, s6
	v_cmp_lt_u32_e64 s7, 7, v10
	s_and_b32 s61, s9, s6
	v_cmp_lt_u32_e64 s9, 8, v10
	s_and_b32 s63, s8, s6
	v_cmp_lt_u32_e64 s8, 9, v10
	s_and_b32 s62, s7, s6
	;; [unrolled: 12-line block ×3, first 2 shown]
	v_cmp_eq_u32_e64 s7, 12, v10
	s_and_b32 s30, s9, s6
	v_cmp_eq_u32_e64 s9, 13, v10
	s_and_b32 s35, s8, s6
	;; [unrolled: 2-line block ×3, first 2 shown]
	v_cmp_lt_u32_e64 s7, 13, v10
	s_and_b32 s25, s9, s6
	v_cmp_eq_u32_e64 s9, 15, v10
	s_and_b32 s29, s8, s6
	v_cmp_eq_u32_e64 s8, 0, v66
	s_and_b32 s27, s7, s6
	v_cmp_gt_u32_e64 s7, 16, v2
	s_and_b32 s31, s9, s6
	v_cmp_ne_u32_e64 s9, 0, v66
	v_cmp_eq_u32_e64 s10, 1, v66
	v_cmp_lt_u32_e64 s11, 1, v66
	s_and_b32 s34, s3, s7
	v_cmp_gt_u32_e64 s7, 0x400, v22
	v_cmp_eq_u32_e64 s12, 2, v66
	v_dual_lshlrev_b32 v50, 8, v1 :: v_dual_add_nc_u32 v80, 32, v28
	v_add_nc_u32_e32 v81, 48, v28
	s_and_b32 s8, s8, s7
	v_lshlrev_b32_e32 v63, 2, v66
	v_writelane_b32 v93, s8, 7
	s_and_b32 s8, s9, s7
	v_cmp_eq_u32_e64 s9, 3, v66
	v_add_nc_u32_e32 v52, v80, v51
	v_lshl_add_u32 v53, v80, 6, v2
	v_writelane_b32 v93, s8, 8
	s_and_b32 s8, s10, s7
	v_cmp_lt_u32_e64 s10, 3, v66
	v_add_nc_u32_e32 v51, v81, v51
	v_lshl_add_u32 v54, v81, 6, v2
	v_writelane_b32 v93, s8, 9
	s_and_b32 s8, s11, s7
	v_cmp_eq_u32_e64 s11, 4, v66
	v_dual_cndmask_b32 v75, v53, v52 :: v_dual_add_nc_u32 v46, 0x4000, v11
	v_writelane_b32 v93, s8, 10
	s_and_b32 s8, s12, s7
	v_cmp_lt_u32_e64 s12, 4, v66
	v_dual_cndmask_b32 v76, v54, v51 :: v_dual_lshlrev_b32 v77, 2, v28
	v_writelane_b32 v93, s8, 11
	v_cmp_lt_u32_e64 s8, 2, v66
	v_cmp_eq_u32_e32 vcc_lo, 9, v66
	v_mad_nc_u64_u32 v[0:1], s14, v28, v[14:15]
	v_mad_nc_u64_u32 v[10:11], s14, v24, v[14:15]
	;; [unrolled: 1-line block ×3, first 2 shown]
	s_and_b32 s8, s8, s7
	v_mad_nc_u64_u32 v[14:15], s14, v81, v[14:15]
	v_writelane_b32 v93, s8, 12
	s_and_b32 s8, s9, s7
	v_cmp_lt_u32_e64 s9, 5, v66
	v_cmp_gt_i32_e64 s1, s76, v6
	v_lshl_add_u32 v3, v16, 2, 0x4000
	v_writelane_b32 v93, s8, 13
	s_and_b32 s8, s10, s7
	v_cmp_eq_u32_e64 s10, 6, v66
	v_mul_u32_u24_e32 v29, 0x104, v16
	v_lshl_or_b32 v65, v16, 8, v17
	v_writelane_b32 v93, s8, 14
	s_and_b32 s8, s11, s7
	v_cmp_lt_u32_e64 s11, 6, v66
	v_mul_u64_e32 v[16:17], s[80:81], v[20:21]
	v_add_nc_u32_e32 v21, 0x50, v25
	v_writelane_b32 v93, s8, 15
	s_and_b32 s8, s12, s7
	v_cmp_eq_u32_e64 s12, 7, v66
	v_mad_u32 v1, s15, v28, v1
	v_mad_u32 v11, s15, v24, v11
	v_writelane_b32 v93, s8, 16
	v_cmp_eq_u32_e64 s8, 5, v66
	v_mad_u32 v13, s15, v80, v13
	v_mad_u32 v15, s15, v81, v15
	v_add_nc_u64_e32 v[18:19], s[16:17], v[4:5]
	v_cmp_ne_u32_e64 s16, v2, v24
	s_and_b32 s8, s8, s7
	v_cmp_ne_u32_e64 s17, v2, v80
	v_writelane_b32 v93, s8, 17
	s_and_b32 s8, s9, s7
	v_cmp_eq_u32_e64 s9, 8, v66
	v_cmp_gt_u32_e64 s45, 0xf0, v22
	v_mad_u32_u24 v34, 0xfc, v2, v30
	v_writelane_b32 v93, s8, 18
	s_and_b32 s8, s10, s7
	v_cmp_lt_u32_e64 s10, 8, v66
	v_mul_i32_i24_e32 v79, 0xffffff04, v2
	v_mad_i32_i24 v38, 0xffffff04, v2, v34
	v_writelane_b32 v93, s8, 19
	s_and_b32 s8, s11, s7
	v_cmp_lt_u32_e64 s11, 9, v66
	v_mul_u64_e32 v[18:19], s[80:81], v[18:19]
	v_mad_u32_u24 v51, 0xfc, v2, v38
	v_writelane_b32 v93, s8, 20
	s_and_b32 s8, s12, s7
	v_dual_lshlrev_b32 v73, 2, v26 :: v_dual_lshlrev_b32 v74, 2, v27
	s_delay_alu instid0(VALU_DEP_3)
	v_mad_i32_i24 v52, 0xffffff04, v2, v51
	v_writelane_b32 v93, s8, 21
	v_cmp_lt_u32_e64 s8, 7, v66
	v_mul_lo_u32 v26, v79, 6
	v_mul_u32_u24_e32 v78, 0xfc, v2
	v_mad_u32_u24 v53, 0xfc, v2, v52
	v_mul_u32_u24_e32 v27, 0xf8, v2
	s_and_b32 s8, s8, s7
	v_or_b32_e32 v68, 0x5000, v77
	v_writelane_b32 v93, s8, 22
	s_and_b32 s8, s9, s7
	v_mad_i32_i24 v54, 0xffffff04, v2, v53
	v_add_nc_u32_e32 v62, 0x4000, v49
	v_dual_add_nc_u32 v72, v68, v30 :: v_dual_bitop2_b32 v64, v50, v63 bitop3:0x54
	v_writelane_b32 v93, s8, 23
	s_and_b32 s8, s10, s7
	v_cmp_le_i32_e64 s10, s18, v81
	v_mad_u32_u24 v55, 0xfc, v2, v54
	v_mad_u32 v26, v78, 7, v26
	v_writelane_b32 v93, s8, 24
	s_and_b32 s8, vcc_lo, s7
	v_cmp_eq_u32_e32 vcc_lo, 10, v66
	v_mad_i32_i24 v56, 0xffffff04, v2, v55
	v_lshl_add_u32 v67, v4, 2, 0x5000
	v_writelane_b32 v93, s8, 25
	s_and_b32 s8, s11, s7
	v_lshl_add_u32 v69, v22, 2, 0x4000
	v_mad_u32_u24 v57, 0xfc, v2, v56
	v_add_nc_u32_e32 v70, 0x4000, v30
	v_writelane_b32 v93, s8, 26
	s_and_b32 s8, vcc_lo, s7
	v_cmp_lt_u32_e32 vcc_lo, 10, v66
	v_mad_i32_i24 v58, 0xffffff04, v2, v57
	v_sub_nc_u32_e32 v26, v26, v27
	v_writelane_b32 v93, s8, 27
	v_subrev_nc_u32_e32 v79, 63, v2
	s_and_b32 s8, vcc_lo, s7
	v_cmp_eq_u32_e32 vcc_lo, 11, v66
	v_mad_u32_u24 v59, 0xfc, v2, v58
	v_writelane_b32 v93, s8, 28
	v_add_nc_u32_e32 v78, 0x3c00, v26
	v_cmp_gt_u32_e64 s20, 48, v22
	s_and_b32 s8, vcc_lo, s7
	v_cmp_lt_u32_e32 vcc_lo, 11, v66
	v_writelane_b32 v93, s8, 29
	v_mad_i32_i24 v60, 0xffffff04, v2, v59
	v_cmp_gt_u32_e64 s21, 40, v22
	v_cmp_gt_u32_e64 s22, 32, v22
	s_and_b32 s8, vcc_lo, s7
	v_cmp_eq_u32_e32 vcc_lo, 12, v66
	v_writelane_b32 v93, s8, 30
	v_mad_u32_u24 v61, 0xfc, v2, v60
	v_cmp_gt_u32_e64 s23, 24, v22
	v_cmp_eq_u32_e64 s59, 0, v4
	s_and_b32 s8, vcc_lo, s7
	v_cmp_lt_u32_e32 vcc_lo, 12, v66
	v_writelane_b32 v93, s8, 31
	v_cmp_gt_u32_e64 s60, 64, v4
                                        ; implicit-def: $vgpr82
                                        ; implicit-def: $vgpr83
	v_dual_add_nc_u32 v77, v32, v77 :: v_dual_lshlrev_b32 v75, 2, v75
	s_and_b32 s8, vcc_lo, s7
	v_cmp_eq_u32_e32 vcc_lo, 13, v66
	v_writelane_b32 v92, s8, 0
	v_lshlrev_b32_e32 v76, 2, v76
	s_and_b32 s8, vcc_lo, s7
	v_cmp_lt_u32_e32 vcc_lo, 13, v66
	v_writelane_b32 v92, s8, 1
	s_and_b32 s8, vcc_lo, s7
	v_cmp_eq_u32_e32 vcc_lo, 14, v66
	v_writelane_b32 v92, s8, 2
	s_and_b32 s8, vcc_lo, s7
	v_cmp_lt_u32_e32 vcc_lo, 14, v66
	v_writelane_b32 v92, s8, 3
	s_and_b32 s8, vcc_lo, s7
	v_cmp_eq_u32_e32 vcc_lo, 15, v66
	v_writelane_b32 v92, s8, 4
	;; [unrolled: 6-line block ×17, first 2 shown]
	s_and_b32 s8, vcc_lo, s7
	v_cmp_eq_u32_e32 vcc_lo, 31, v66
	v_writelane_b32 v91, s8, 3
	v_mad_i32_i24 v66, 0xffffff04, v2, v32
	s_and_b32 s14, vcc_lo, s7
	v_cmp_gt_u32_e32 vcc_lo, 32, v2
	s_delay_alu instid0(VALU_DEP_2)
	v_lshl_add_u32 v71, v28, 8, v66
	s_and_b32 s8, s3, vcc_lo
	v_cmp_le_i32_e32 vcc_lo, s18, v2
	v_writelane_b32 v91, s8, 4
	s_and_b32 s8, vcc_lo, s19
	v_cmp_gt_u32_e64 s19, 56, v22
	v_writelane_b32 v91, s8, 5
	s_xor_b32 s8, s8, -1
	s_delay_alu instid0(SALU_CYCLE_1)
	s_and_b32 s12, s3, s8
	s_cmp_gt_i32 s84, 0
	s_cselect_b32 s11, -1, 0
	s_and_b32 s0, s3, s0
	s_add_co_i32 s65, s65, 1
	v_writelane_b32 v91, s0, 6
	v_cmp_gt_i32_e64 s0, s76, v20
	v_add_nc_u32_e32 v20, 0x60, v25
	s_lshl_b64 s[70:71], s[70:71], 2
	s_lshl_b64 s[74:75], s[74:75], 2
	s_and_b32 s1, s1, s0
	s_delay_alu instid0(SALU_CYCLE_1) | instskip(SKIP_4) | instid1(SALU_CYCLE_1)
	v_writelane_b32 v91, s1, 7
	v_cmp_gt_i32_e64 s1, s76, v21
	v_add_nc_u32_e32 v21, 0x70, v25
	v_or_b32_e32 v25, v81, v2
	s_and_b32 s1, s1, s0
	v_writelane_b32 v91, s1, 8
	v_cmp_gt_i32_e64 s1, s76, v20
	v_or_b32_e32 v20, v24, v2
	s_and_b32 s1, s1, s0
	s_delay_alu instid0(SALU_CYCLE_1) | instskip(SKIP_3) | instid1(SALU_CYCLE_1)
	v_writelane_b32 v91, s1, 9
	v_cmp_gt_i32_e64 s1, s76, v21
	v_or_b32_e32 v21, v80, v2
	s_and_b32 s1, s1, s0
	v_writelane_b32 v91, s1, 10
	v_cmp_le_i32_e64 s1, s18, v28
	s_or_b32 s8, s1, vcc_lo
	v_cmp_le_u32_e64 s1, v2, v28
	s_or_b32 s8, s8, s1
	s_delay_alu instid0(SALU_CYCLE_1) | instskip(SKIP_4) | instid1(SALU_CYCLE_1)
	v_writelane_b32 v91, s8, 11
	v_cmp_le_i32_e64 s8, s18, v24
	s_or_b32 s9, s8, vcc_lo
	v_cmp_le_u32_e64 s8, v2, v24
	s_or_b32 s9, s9, s8
	v_writelane_b32 v91, s9, 12
	v_cmp_le_i32_e64 s9, s18, v80
	v_cmp_ne_u32_e64 s18, v2, v81
	s_or_b32 s15, s9, vcc_lo
	v_cmp_le_u32_e64 s9, v2, v80
                                        ; implicit-def: $vgpr80
	s_or_b32 s15, s15, s9
	s_delay_alu instid0(SALU_CYCLE_1) | instskip(SKIP_3) | instid1(SALU_CYCLE_1)
	v_writelane_b32 v91, s15, 13
	s_or_b32 s15, s10, vcc_lo
	v_cmp_le_u32_e64 s10, v2, v81
                                        ; implicit-def: $vgpr81
	s_or_b32 s15, s15, s10
	v_writelane_b32 v91, s15, 14
	v_cmp_ne_u32_e64 s15, v2, v28
	s_delay_alu instid0(VALU_DEP_1) | instskip(SKIP_1) | instid1(SALU_CYCLE_1)
	v_writelane_b32 v91, s15, 15
	s_or_b32 s15, vcc_lo, s15
	v_writelane_b32 v91, s15, 16
	s_or_b32 s15, vcc_lo, s16
	v_writelane_b32 v91, s16, 17
	v_cmp_gt_u32_e64 s16, 2, v22
	v_writelane_b32 v91, s15, 18
	s_or_b32 s15, vcc_lo, s17
	v_writelane_b32 v91, s17, 19
	v_cmp_gt_u32_e64 s17, 12, v22
	;; [unrolled: 4-line block ×3, first 2 shown]
	v_writelane_b32 v91, s15, 22
	v_cmp_eq_u32_e64 s15, 0, v23
	v_writelane_b32 v91, s45, 23
	v_cmp_gt_u32_e64 s45, 0xe0, v22
	s_delay_alu instid0(VALU_DEP_1) | instskip(SKIP_1) | instid1(VALU_DEP_1)
	v_writelane_b32 v91, s45, 24
	v_cmp_gt_u32_e64 s45, 0xd0, v22
	v_writelane_b32 v91, s45, 25
	v_cmp_gt_u32_e64 s45, 0xc0, v22
	s_delay_alu instid0(VALU_DEP_1) | instskip(SKIP_1) | instid1(VALU_DEP_1)
	v_writelane_b32 v91, s45, 26
	v_cmp_gt_u32_e64 s45, 0xb0, v22
	;; [unrolled: 5-line block ×18, first 2 shown]
	v_writelane_b32 v90, s45, 27
	v_cmp_gt_u32_e64 s45, 64, v25
	s_delay_alu instid0(VALU_DEP_1)
	v_writelane_b32 v90, s45, 28
	s_branch .LBB120_3
.LBB120_2:                              ;   in Loop: Header=BB120_3 Depth=1
	s_wait_xcnt 0x0
	s_or_b32 exec_lo, exec_lo, s45
	v_readlane_b32 s45, v93, 0
	s_add_co_i32 s66, s66, 0x10000
	global_wb scope:SCOPE_DEV
	s_wait_storecnt 0x0
	global_inv scope:SCOPE_DEV
	s_cmp_lt_u32 s66, s45
	s_cbranch_scc0 .LBB120_1257
.LBB120_3:                              ; =>This Loop Header: Depth=1
                                        ;     Child Loop BB120_1110 Depth 2
                                        ;       Child Loop BB120_1112 Depth 3
                                        ;     Child Loop BB120_1147 Depth 2
	v_mov_b32_e32 v22, s66
	v_readlane_b32 s45, v93, 1
	s_clause 0x1
	global_load_b64 v[20:21], v22, s[68:69] scale_offset
	global_load_b64 v[22:23], v22, s[72:73] scale_offset
	s_and_not1_b32 vcc_lo, exec_lo, s45
	s_wait_loadcnt 0x1
	v_add_nc_u64_e32 v[24:25], s[70:71], v[20:21]
	s_delay_alu instid0(VALU_DEP_1)
	v_lshl_add_u64 v[20:21], v[8:9], 2, v[24:25]
	s_cbranch_vccnz .LBB120_13
; %bb.4:                                ;   in Loop: Header=BB120_3 Depth=1
	s_delay_alu instid0(VALU_DEP_1)
	v_lshl_add_u64 v[26:27], v[6:7], 2, v[20:21]
	v_dual_mov_b32 v81, 0 :: v_dual_mov_b32 v80, 0
	s_wait_loadcnt 0x0
	s_barrier_signal -1
	s_barrier_wait -1
	s_wait_xcnt 0x0
	s_mov_b32 s45, exec_lo
	v_readlane_b32 s46, v91, 7
	s_and_b32 s46, s45, s46
	s_delay_alu instid0(SALU_CYCLE_1)
	s_mov_b32 exec_lo, s46
	s_cbranch_execz .LBB120_6
; %bb.5:                                ;   in Loop: Header=BB120_3 Depth=1
	flat_load_b32 v80, v[26:27]
.LBB120_6:                              ;   in Loop: Header=BB120_3 Depth=1
	s_wait_xcnt 0x0
	s_or_b32 exec_lo, exec_lo, s45
	s_wait_loadcnt_dscnt 0x0
	s_barrier_signal -1
	s_barrier_wait -1
	s_mov_b32 s45, exec_lo
	v_readlane_b32 s46, v91, 8
	s_and_b32 s46, s45, s46
	s_delay_alu instid0(SALU_CYCLE_1)
	s_mov_b32 exec_lo, s46
	s_cbranch_execz .LBB120_8
; %bb.7:                                ;   in Loop: Header=BB120_3 Depth=1
	flat_load_b32 v81, v[26:27] offset:64
.LBB120_8:                              ;   in Loop: Header=BB120_3 Depth=1
	s_wait_xcnt 0x0
	s_or_b32 exec_lo, exec_lo, s45
	v_dual_mov_b32 v83, 0 :: v_dual_mov_b32 v82, 0
	s_wait_loadcnt_dscnt 0x0
	s_barrier_signal -1
	s_barrier_wait -1
	s_mov_b32 s45, exec_lo
	v_readlane_b32 s46, v91, 9
	s_and_b32 s46, s45, s46
	s_delay_alu instid0(SALU_CYCLE_1)
	s_mov_b32 exec_lo, s46
	s_cbranch_execz .LBB120_10
; %bb.9:                                ;   in Loop: Header=BB120_3 Depth=1
	flat_load_b32 v82, v[26:27] offset:128
.LBB120_10:                             ;   in Loop: Header=BB120_3 Depth=1
	s_wait_xcnt 0x0
	s_or_b32 exec_lo, exec_lo, s45
	s_wait_loadcnt_dscnt 0x0
	s_barrier_signal -1
	s_barrier_wait -1
	s_mov_b32 s45, exec_lo
	v_readlane_b32 s46, v91, 10
	s_and_b32 s46, s45, s46
	s_delay_alu instid0(SALU_CYCLE_1)
	s_mov_b32 exec_lo, s46
	s_cbranch_execz .LBB120_12
; %bb.11:                               ;   in Loop: Header=BB120_3 Depth=1
	flat_load_b32 v83, v[26:27] offset:192
.LBB120_12:                             ;   in Loop: Header=BB120_3 Depth=1
	s_wait_xcnt 0x0
	s_or_b32 exec_lo, exec_lo, s45
.LBB120_13:                             ;   in Loop: Header=BB120_3 Depth=1
	s_delay_alu instid0(SALU_CYCLE_1)
	s_and_not1_b32 vcc_lo, exec_lo, s86
	s_mov_b32 s45, -1
	s_cbranch_vccnz .LBB120_24
; %bb.14:                               ;   in Loop: Header=BB120_3 Depth=1
	s_wait_xcnt 0x0
	s_and_saveexec_b32 s45, s1
	s_delay_alu instid0(SALU_CYCLE_1)
	s_xor_b32 s82, exec_lo, s45
	s_cbranch_execnz .LBB120_1169
; %bb.15:                               ;   in Loop: Header=BB120_3 Depth=1
	s_and_not1_saveexec_b32 s45, s82
	s_cbranch_execnz .LBB120_1176
.LBB120_16:                             ;   in Loop: Header=BB120_3 Depth=1
	s_or_b32 exec_lo, exec_lo, s45
	s_and_saveexec_b32 s45, s8
	s_delay_alu instid0(SALU_CYCLE_1)
	s_xor_b32 s82, exec_lo, s45
	s_cbranch_execnz .LBB120_1177
.LBB120_17:                             ;   in Loop: Header=BB120_3 Depth=1
	s_and_not1_saveexec_b32 s45, s82
	s_cbranch_execnz .LBB120_1184
.LBB120_18:                             ;   in Loop: Header=BB120_3 Depth=1
	s_or_b32 exec_lo, exec_lo, s45
	s_and_saveexec_b32 s45, s9
	s_delay_alu instid0(SALU_CYCLE_1)
	s_xor_b32 s82, exec_lo, s45
	s_cbranch_execnz .LBB120_1185
.LBB120_19:                             ;   in Loop: Header=BB120_3 Depth=1
	s_and_not1_saveexec_b32 s45, s82
	s_cbranch_execnz .LBB120_1192
.LBB120_20:                             ;   in Loop: Header=BB120_3 Depth=1
	s_or_b32 exec_lo, exec_lo, s45
	s_and_saveexec_b32 s45, s10
	s_delay_alu instid0(SALU_CYCLE_1)
	s_xor_b32 s82, exec_lo, s45
	s_cbranch_execnz .LBB120_1193
.LBB120_21:                             ;   in Loop: Header=BB120_3 Depth=1
	s_and_not1_saveexec_b32 s45, s82
	s_cbranch_execz .LBB120_23
.LBB120_22:                             ;   in Loop: Header=BB120_3 Depth=1
	v_lshl_add_u64 v[26:27], v[14:15], 2, v[24:25]
	flat_load_b32 v26, v[26:27]
	s_wait_loadcnt_dscnt 0x0
	v_xor_b32_e32 v26, 0x80000000, v26
	ds_store_b32 v76, v26
.LBB120_23:                             ;   in Loop: Header=BB120_3 Depth=1
	s_or_b32 exec_lo, exec_lo, s45
	s_mov_b32 s45, 0
.LBB120_24:                             ;   in Loop: Header=BB120_3 Depth=1
	s_delay_alu instid0(SALU_CYCLE_1)
	s_and_b32 vcc_lo, exec_lo, s45
	s_cbranch_vccz .LBB120_66
; %bb.25:                               ;   in Loop: Header=BB120_3 Depth=1
	s_wait_xcnt 0x0
	s_mov_b32 s45, exec_lo
	v_readlane_b32 s46, v91, 11
	s_and_b32 s46, s45, s46
	s_delay_alu instid0(SALU_CYCLE_1)
	s_xor_b32 s82, s46, s45
	s_mov_b32 exec_lo, s46
	s_cbranch_execz .LBB120_33
; %bb.26:                               ;   in Loop: Header=BB120_3 Depth=1
	s_mov_b32 s45, exec_lo
	v_readlane_b32 s46, v91, 16
	s_and_b32 s46, s45, s46
	s_delay_alu instid0(SALU_CYCLE_1)
	s_xor_b32 s45, s46, s45
	s_mov_b32 exec_lo, s46
	s_cbranch_execz .LBB120_30
; %bb.27:                               ;   in Loop: Header=BB120_3 Depth=1
	s_mov_b32 s46, exec_lo
	v_readlane_b32 s47, v90, 25
	s_and_b32 s47, s46, s47
	s_delay_alu instid0(SALU_CYCLE_1)
	s_mov_b32 exec_lo, s47
; %bb.28:                               ;   in Loop: Header=BB120_3 Depth=1
	ds_store_b32 v77, v5
; %bb.29:                               ;   in Loop: Header=BB120_3 Depth=1
	s_or_b32 exec_lo, exec_lo, s46
.LBB120_30:                             ;   in Loop: Header=BB120_3 Depth=1
	s_and_not1_saveexec_b32 s45, s45
	s_cbranch_execz .LBB120_32
; %bb.31:                               ;   in Loop: Header=BB120_3 Depth=1
	v_lshl_add_u64 v[26:27], v[0:1], 2, v[24:25]
	flat_load_b32 v26, v[26:27]
	s_wait_loadcnt_dscnt 0x0
	v_div_scale_f32 v27, null, v26, v26, 1.0
	s_delay_alu instid0(VALU_DEP_1) | instskip(SKIP_1) | instid1(TRANS32_DEP_1)
	v_rcp_f32_e32 v84, v27
	v_nop
	v_fma_f32 v85, -v27, v84, 1.0
	s_delay_alu instid0(VALU_DEP_1) | instskip(SKIP_1) | instid1(VALU_DEP_1)
	v_fmac_f32_e32 v84, v85, v84
	v_div_scale_f32 v85, vcc_lo, 1.0, v26, 1.0
	v_mul_f32_e32 v86, v85, v84
	s_delay_alu instid0(VALU_DEP_1) | instskip(NEXT) | instid1(VALU_DEP_1)
	v_fma_f32 v87, -v27, v86, v85
	v_fmac_f32_e32 v86, v87, v84
	s_delay_alu instid0(VALU_DEP_1) | instskip(NEXT) | instid1(VALU_DEP_1)
	v_fma_f32 v27, -v27, v86, v85
	v_div_fmas_f32 v27, v27, v84, v86
	s_delay_alu instid0(VALU_DEP_1)
	v_div_fixup_f32 v26, v27, v26, 1.0
	ds_store_b32 v77, v26
.LBB120_32:                             ;   in Loop: Header=BB120_3 Depth=1
	s_or_b32 exec_lo, exec_lo, s45
.LBB120_33:                             ;   in Loop: Header=BB120_3 Depth=1
	s_and_not1_saveexec_b32 s45, s82
	s_cbranch_execz .LBB120_35
; %bb.34:                               ;   in Loop: Header=BB120_3 Depth=1
	v_lshl_add_u64 v[26:27], v[0:1], 2, v[24:25]
	flat_load_b32 v26, v[26:27]
	s_wait_loadcnt_dscnt 0x0
	v_xor_b32_e32 v26, 0x80000000, v26
	ds_store_b32 v77, v26
.LBB120_35:                             ;   in Loop: Header=BB120_3 Depth=1
	s_or_b32 exec_lo, exec_lo, s45
	s_delay_alu instid0(SALU_CYCLE_1) | instskip(SKIP_2) | instid1(SALU_CYCLE_1)
	s_mov_b32 s45, exec_lo
	v_readlane_b32 s46, v91, 12
	s_and_b32 s46, s45, s46
	s_xor_b32 s82, s46, s45
	s_mov_b32 exec_lo, s46
	s_cbranch_execz .LBB120_43
; %bb.36:                               ;   in Loop: Header=BB120_3 Depth=1
	s_mov_b32 s45, exec_lo
	v_readlane_b32 s46, v91, 18
	s_and_b32 s46, s45, s46
	s_delay_alu instid0(SALU_CYCLE_1)
	s_xor_b32 s45, s46, s45
	s_mov_b32 exec_lo, s46
	s_cbranch_execz .LBB120_40
; %bb.37:                               ;   in Loop: Header=BB120_3 Depth=1
	s_mov_b32 s46, exec_lo
	v_readlane_b32 s47, v90, 26
	s_and_b32 s47, s46, s47
	s_delay_alu instid0(SALU_CYCLE_1)
	s_mov_b32 exec_lo, s47
; %bb.38:                               ;   in Loop: Header=BB120_3 Depth=1
	ds_store_b32 v74, v5
; %bb.39:                               ;   in Loop: Header=BB120_3 Depth=1
	s_or_b32 exec_lo, exec_lo, s46
.LBB120_40:                             ;   in Loop: Header=BB120_3 Depth=1
	s_and_not1_saveexec_b32 s45, s45
	s_cbranch_execz .LBB120_42
; %bb.41:                               ;   in Loop: Header=BB120_3 Depth=1
	v_lshl_add_u64 v[26:27], v[10:11], 2, v[24:25]
	flat_load_b32 v26, v[26:27]
	s_wait_loadcnt_dscnt 0x0
	v_div_scale_f32 v27, null, v26, v26, 1.0
	s_delay_alu instid0(VALU_DEP_1) | instskip(SKIP_1) | instid1(TRANS32_DEP_1)
	v_rcp_f32_e32 v84, v27
	v_nop
	v_fma_f32 v85, -v27, v84, 1.0
	s_delay_alu instid0(VALU_DEP_1) | instskip(SKIP_1) | instid1(VALU_DEP_1)
	v_fmac_f32_e32 v84, v85, v84
	v_div_scale_f32 v85, vcc_lo, 1.0, v26, 1.0
	v_mul_f32_e32 v86, v85, v84
	s_delay_alu instid0(VALU_DEP_1) | instskip(NEXT) | instid1(VALU_DEP_1)
	v_fma_f32 v87, -v27, v86, v85
	v_fmac_f32_e32 v86, v87, v84
	s_delay_alu instid0(VALU_DEP_1) | instskip(NEXT) | instid1(VALU_DEP_1)
	v_fma_f32 v27, -v27, v86, v85
	v_div_fmas_f32 v27, v27, v84, v86
	s_delay_alu instid0(VALU_DEP_1)
	v_div_fixup_f32 v26, v27, v26, 1.0
	ds_store_b32 v74, v26
.LBB120_42:                             ;   in Loop: Header=BB120_3 Depth=1
	s_or_b32 exec_lo, exec_lo, s45
.LBB120_43:                             ;   in Loop: Header=BB120_3 Depth=1
	s_and_not1_saveexec_b32 s45, s82
	s_cbranch_execz .LBB120_45
; %bb.44:                               ;   in Loop: Header=BB120_3 Depth=1
	v_lshl_add_u64 v[26:27], v[10:11], 2, v[24:25]
	flat_load_b32 v26, v[26:27]
	s_wait_loadcnt_dscnt 0x0
	v_xor_b32_e32 v26, 0x80000000, v26
	ds_store_b32 v74, v26
.LBB120_45:                             ;   in Loop: Header=BB120_3 Depth=1
	s_or_b32 exec_lo, exec_lo, s45
	s_delay_alu instid0(SALU_CYCLE_1) | instskip(SKIP_2) | instid1(SALU_CYCLE_1)
	s_mov_b32 s45, exec_lo
	v_readlane_b32 s46, v91, 13
	s_and_b32 s46, s45, s46
	;; [unrolled: 63-line block ×3, first 2 shown]
	s_xor_b32 s82, s46, s45
	s_mov_b32 exec_lo, s46
	s_cbranch_execz .LBB120_63
; %bb.56:                               ;   in Loop: Header=BB120_3 Depth=1
	s_mov_b32 s45, exec_lo
	v_readlane_b32 s46, v91, 22
	s_and_b32 s46, s45, s46
	s_delay_alu instid0(SALU_CYCLE_1)
	s_xor_b32 s45, s46, s45
	s_mov_b32 exec_lo, s46
	s_cbranch_execz .LBB120_60
; %bb.57:                               ;   in Loop: Header=BB120_3 Depth=1
	s_mov_b32 s46, exec_lo
	v_readlane_b32 s47, v90, 28
	s_and_b32 s47, s46, s47
	s_delay_alu instid0(SALU_CYCLE_1)
	s_mov_b32 exec_lo, s47
; %bb.58:                               ;   in Loop: Header=BB120_3 Depth=1
	ds_store_b32 v76, v5
; %bb.59:                               ;   in Loop: Header=BB120_3 Depth=1
	s_or_b32 exec_lo, exec_lo, s46
                                        ; implicit-def: $vgpr24_vgpr25
.LBB120_60:                             ;   in Loop: Header=BB120_3 Depth=1
	s_and_not1_saveexec_b32 s45, s45
	s_cbranch_execz .LBB120_62
; %bb.61:                               ;   in Loop: Header=BB120_3 Depth=1
	v_lshl_add_u64 v[24:25], v[14:15], 2, v[24:25]
	flat_load_b32 v24, v[24:25]
	s_wait_loadcnt_dscnt 0x0
	v_div_scale_f32 v25, null, v24, v24, 1.0
	s_delay_alu instid0(VALU_DEP_1) | instskip(SKIP_1) | instid1(TRANS32_DEP_1)
	v_rcp_f32_e32 v26, v25
	v_nop
	v_fma_f32 v27, -v25, v26, 1.0
	s_delay_alu instid0(VALU_DEP_1) | instskip(SKIP_1) | instid1(VALU_DEP_1)
	v_fmac_f32_e32 v26, v27, v26
	v_div_scale_f32 v27, vcc_lo, 1.0, v24, 1.0
	v_mul_f32_e32 v84, v27, v26
	s_delay_alu instid0(VALU_DEP_1) | instskip(NEXT) | instid1(VALU_DEP_1)
	v_fma_f32 v85, -v25, v84, v27
	v_fmac_f32_e32 v84, v85, v26
	s_delay_alu instid0(VALU_DEP_1) | instskip(NEXT) | instid1(VALU_DEP_1)
	v_fma_f32 v25, -v25, v84, v27
	v_div_fmas_f32 v25, v25, v26, v84
	s_delay_alu instid0(VALU_DEP_1)
	v_div_fixup_f32 v24, v25, v24, 1.0
	ds_store_b32 v76, v24
.LBB120_62:                             ;   in Loop: Header=BB120_3 Depth=1
	s_or_b32 exec_lo, exec_lo, s45
                                        ; implicit-def: $vgpr24_vgpr25
.LBB120_63:                             ;   in Loop: Header=BB120_3 Depth=1
	s_and_not1_saveexec_b32 s45, s82
	s_cbranch_execz .LBB120_65
; %bb.64:                               ;   in Loop: Header=BB120_3 Depth=1
	v_lshl_add_u64 v[24:25], v[14:15], 2, v[24:25]
	flat_load_b32 v24, v[24:25]
	s_wait_loadcnt_dscnt 0x0
	v_xor_b32_e32 v24, 0x80000000, v24
	ds_store_b32 v76, v24
.LBB120_65:                             ;   in Loop: Header=BB120_3 Depth=1
	s_or_b32 exec_lo, exec_lo, s45
.LBB120_66:                             ;   in Loop: Header=BB120_3 Depth=1
	s_delay_alu instid0(SALU_CYCLE_1)
	s_and_not1_b32 vcc_lo, exec_lo, s89
	s_wait_loadcnt_dscnt 0x0
	s_barrier_signal -1
	s_barrier_wait -1
	s_cbranch_vccnz .LBB120_1104
; %bb.67:                               ;   in Loop: Header=BB120_3 Depth=1
	s_and_saveexec_b32 s45, s15
	s_cbranch_execz .LBB120_69
; %bb.68:                               ;   in Loop: Header=BB120_3 Depth=1
	ds_load_b64 v[24:25], v5
	ds_load_b32 v26, v5 offset:260
	s_wait_dscnt 0x0
	v_mul_f32_e32 v24, v24, v26
	s_delay_alu instid0(VALU_DEP_1)
	v_mul_f32_e32 v24, v25, v24
	ds_store_2addr_b32 v5, v24, v24 offset0:1 offset1:64
.LBB120_69:                             ;   in Loop: Header=BB120_3 Depth=1
	s_or_b32 exec_lo, exec_lo, s45
	v_mov_b32_e32 v24, 0
	s_wait_dscnt 0x0
	s_barrier_signal -1
	s_barrier_wait -1
	s_and_saveexec_b32 s45, s2
	s_cbranch_execz .LBB120_73
; %bb.70:                               ;   in Loop: Header=BB120_3 Depth=1
	ds_load_b32 v24, v65 offset:8
	ds_load_b32 v25, v29
	s_wait_dscnt 0x0
	v_fma_f32 v24, v24, v25, 0
	s_and_saveexec_b32 s46, s16
	s_cbranch_execz .LBB120_72
; %bb.71:                               ;   in Loop: Header=BB120_3 Depth=1
	ds_load_b32 v25, v30 offset:264
	ds_load_b32 v26, v5 offset:4
	s_wait_dscnt 0x0
	v_fmac_f32_e32 v24, v25, v26
.LBB120_72:                             ;   in Loop: Header=BB120_3 Depth=1
	s_or_b32 exec_lo, exec_lo, s46
	s_delay_alu instid0(VALU_DEP_1)
	v_xor_b32_e32 v24, 0x80000000, v24
.LBB120_73:                             ;   in Loop: Header=BB120_3 Depth=1
	s_or_b32 exec_lo, exec_lo, s45
	s_and_saveexec_b32 s45, s90
	s_cbranch_execz .LBB120_75
; %bb.74:                               ;   in Loop: Header=BB120_3 Depth=1
	ds_load_b32 v25, v5 offset:520
	s_wait_dscnt 0x0
	v_mul_f32_e32 v24, v24, v25
	ds_store_b32 v3, v24
.LBB120_75:                             ;   in Loop: Header=BB120_3 Depth=1
	s_or_b32 exec_lo, exec_lo, s45
	s_wait_dscnt 0x0
	s_barrier_signal -1
	s_barrier_wait -1
	s_and_saveexec_b32 s45, s91
	s_cbranch_execz .LBB120_77
; %bb.76:                               ;   in Loop: Header=BB120_3 Depth=1
	ds_load_b32 v25, v5 offset:524
	ds_load_b32 v26, v3
	s_wait_dscnt 0x0
	v_fmac_f32_e32 v24, v25, v26
.LBB120_77:                             ;   in Loop: Header=BB120_3 Depth=1
	s_or_b32 exec_lo, exec_lo, s45
	s_barrier_signal -1
	s_barrier_wait -1
	s_and_saveexec_b32 s45, s91
	s_cbranch_execz .LBB120_79
; %bb.78:                               ;   in Loop: Header=BB120_3 Depth=1
	ds_load_b32 v25, v5 offset:780
	s_wait_dscnt 0x0
	v_mul_f32_e32 v24, v24, v25
	ds_store_b32 v3, v24
.LBB120_79:                             ;   in Loop: Header=BB120_3 Depth=1
	s_or_b32 exec_lo, exec_lo, s45
	s_wait_dscnt 0x0
	s_barrier_signal -1
	s_barrier_wait -1
	s_barrier_signal -1
	s_barrier_wait -1
	s_and_saveexec_b32 s45, s2
; %bb.80:                               ;   in Loop: Header=BB120_3 Depth=1
	v_xor_b32_e32 v24, 0x80000000, v24
	ds_store_b32 v65, v24 offset:8
; %bb.81:                               ;   in Loop: Header=BB120_3 Depth=1
	s_or_b32 exec_lo, exec_lo, s45
	s_wait_dscnt 0x0
	s_barrier_signal -1
	s_barrier_wait -1
	s_barrier_signal -1
	s_barrier_wait -1
	s_and_saveexec_b32 s45, s92
	s_cbranch_execz .LBB120_83
; %bb.82:                               ;   in Loop: Header=BB120_3 Depth=1
	ds_load_b32 v24, v34 offset:8
	s_wait_dscnt 0x0
	ds_store_b32 v30, v24 offset:512
	ds_load_b32 v24, v34 offset:12
	s_wait_dscnt 0x0
	ds_store_b32 v30, v24 offset:768
.LBB120_83:                             ;   in Loop: Header=BB120_3 Depth=1
	s_or_b32 exec_lo, exec_lo, s45
	s_wait_dscnt 0x0
	s_barrier_signal -1
	s_barrier_wait -1
	s_and_saveexec_b32 s45, s15
	s_cbranch_execz .LBB120_85
; %bb.84:                               ;   in Loop: Header=BB120_3 Depth=1
	ds_load_b64 v[24:25], v5 offset:520
	ds_load_b32 v26, v5 offset:780
	s_wait_dscnt 0x0
	v_mul_f32_e32 v24, v24, v26
	s_delay_alu instid0(VALU_DEP_1)
	v_mul_f32_e32 v24, v25, v24
	ds_store_2addr_b32 v5, v24, v24 offset0:131 offset1:194
.LBB120_85:                             ;   in Loop: Header=BB120_3 Depth=1
	s_or_b32 exec_lo, exec_lo, s45
	v_mov_b32_e32 v24, 0
	s_wait_dscnt 0x0
	s_barrier_signal -1
	s_barrier_wait -1
	s_and_saveexec_b32 s82, s4
	s_cbranch_execz .LBB120_91
; %bb.86:                               ;   in Loop: Header=BB120_3 Depth=1
	ds_load_b32 v24, v36 offset:16
	ds_load_b32 v25, v31
	s_wait_dscnt 0x0
	v_fma_f32 v24, v24, v25, 0
	s_and_saveexec_b32 s45, s17
	s_cbranch_execnz .LBB120_1207
; %bb.87:                               ;   in Loop: Header=BB120_3 Depth=1
	s_or_b32 exec_lo, exec_lo, s45
	s_and_saveexec_b32 s45, s18
	s_cbranch_execnz .LBB120_1208
.LBB120_88:                             ;   in Loop: Header=BB120_3 Depth=1
	s_or_b32 exec_lo, exec_lo, s45
	s_and_saveexec_b32 s45, s2
	s_cbranch_execz .LBB120_90
.LBB120_89:                             ;   in Loop: Header=BB120_3 Depth=1
	ds_load_b32 v25, v38 offset:784
	ds_load_b32 v26, v5 offset:12
	s_wait_dscnt 0x0
	v_fmac_f32_e32 v24, v25, v26
.LBB120_90:                             ;   in Loop: Header=BB120_3 Depth=1
	s_or_b32 exec_lo, exec_lo, s45
	s_delay_alu instid0(VALU_DEP_1)
	v_xor_b32_e32 v24, 0x80000000, v24
.LBB120_91:                             ;   in Loop: Header=BB120_3 Depth=1
	s_or_b32 exec_lo, exec_lo, s82
	s_and_saveexec_b32 s45, s93
	s_cbranch_execz .LBB120_93
; %bb.92:                               ;   in Loop: Header=BB120_3 Depth=1
	ds_load_b32 v25, v5 offset:1040
	s_wait_dscnt 0x0
	v_mul_f32_e32 v24, v24, v25
	ds_store_b32 v35, v24
.LBB120_93:                             ;   in Loop: Header=BB120_3 Depth=1
	s_or_b32 exec_lo, exec_lo, s45
	s_wait_dscnt 0x0
	s_barrier_signal -1
	s_barrier_wait -1
	s_and_saveexec_b32 s45, s94
	s_cbranch_execz .LBB120_95
; %bb.94:                               ;   in Loop: Header=BB120_3 Depth=1
	ds_load_b32 v25, v33 offset:1040
	ds_load_b32 v26, v35
	s_wait_dscnt 0x0
	v_fmac_f32_e32 v24, v25, v26
.LBB120_95:                             ;   in Loop: Header=BB120_3 Depth=1
	s_or_b32 exec_lo, exec_lo, s45
	s_barrier_signal -1
	s_barrier_wait -1
	s_and_saveexec_b32 s45, s95
	s_cbranch_execz .LBB120_97
; %bb.96:                               ;   in Loop: Header=BB120_3 Depth=1
	ds_load_b32 v25, v5 offset:1300
	s_wait_dscnt 0x0
	v_mul_f32_e32 v24, v24, v25
	ds_store_b32 v35, v24
.LBB120_97:                             ;   in Loop: Header=BB120_3 Depth=1
	s_or_b32 exec_lo, exec_lo, s45
	s_wait_dscnt 0x0
	s_barrier_signal -1
	s_barrier_wait -1
	s_and_saveexec_b32 s45, s96
	s_cbranch_execz .LBB120_99
; %bb.98:                               ;   in Loop: Header=BB120_3 Depth=1
	ds_load_b32 v25, v33 offset:1296
	ds_load_b32 v26, v35
	s_wait_dscnt 0x0
	v_fmac_f32_e32 v24, v25, v26
.LBB120_99:                             ;   in Loop: Header=BB120_3 Depth=1
	s_or_b32 exec_lo, exec_lo, s45
	s_barrier_signal -1
	s_barrier_wait -1
	s_and_saveexec_b32 s45, s97
	s_cbranch_execz .LBB120_101
; %bb.100:                              ;   in Loop: Header=BB120_3 Depth=1
	ds_load_b32 v25, v5 offset:1560
	s_wait_dscnt 0x0
	v_mul_f32_e32 v24, v24, v25
	ds_store_b32 v35, v24
.LBB120_101:                            ;   in Loop: Header=BB120_3 Depth=1
	s_or_b32 exec_lo, exec_lo, s45
	s_wait_dscnt 0x0
	s_barrier_signal -1
	s_barrier_wait -1
	s_and_saveexec_b32 s45, s98
	s_cbranch_execz .LBB120_103
; %bb.102:                              ;   in Loop: Header=BB120_3 Depth=1
	ds_load_b32 v25, v5 offset:1564
	ds_load_b32 v26, v35
	s_wait_dscnt 0x0
	v_fmac_f32_e32 v24, v25, v26
.LBB120_103:                            ;   in Loop: Header=BB120_3 Depth=1
	s_or_b32 exec_lo, exec_lo, s45
	s_barrier_signal -1
	s_barrier_wait -1
	s_and_saveexec_b32 s45, s98
	s_cbranch_execz .LBB120_105
; %bb.104:                              ;   in Loop: Header=BB120_3 Depth=1
	ds_load_b32 v25, v5 offset:1820
	s_wait_dscnt 0x0
	v_mul_f32_e32 v24, v24, v25
	ds_store_b32 v35, v24
.LBB120_105:                            ;   in Loop: Header=BB120_3 Depth=1
	s_or_b32 exec_lo, exec_lo, s45
	s_wait_dscnt 0x0
	s_barrier_signal -1
	s_barrier_wait -1
	s_barrier_signal -1
	s_barrier_wait -1
	s_and_saveexec_b32 s45, s4
; %bb.106:                              ;   in Loop: Header=BB120_3 Depth=1
	v_xor_b32_e32 v24, 0x80000000, v24
	ds_store_b32 v36, v24 offset:16
; %bb.107:                              ;   in Loop: Header=BB120_3 Depth=1
	s_or_b32 exec_lo, exec_lo, s45
	s_wait_dscnt 0x0
	s_barrier_signal -1
	s_barrier_wait -1
	s_barrier_signal -1
	s_barrier_wait -1
	s_and_saveexec_b32 s45, s99
	s_cbranch_execz .LBB120_109
; %bb.108:                              ;   in Loop: Header=BB120_3 Depth=1
	ds_load_b32 v24, v51 offset:16
	s_wait_dscnt 0x0
	ds_store_b32 v52, v24 offset:1024
	ds_load_b32 v24, v51 offset:20
	s_wait_dscnt 0x0
	ds_store_b32 v52, v24 offset:1280
	;; [unrolled: 3-line block ×4, first 2 shown]
.LBB120_109:                            ;   in Loop: Header=BB120_3 Depth=1
	s_or_b32 exec_lo, exec_lo, s45
	s_wait_dscnt 0x0
	s_barrier_signal -1
	s_barrier_wait -1
	s_and_saveexec_b32 s45, s15
	s_cbranch_execz .LBB120_111
; %bb.110:                              ;   in Loop: Header=BB120_3 Depth=1
	ds_load_b64 v[24:25], v5 offset:1040
	ds_load_b32 v26, v5 offset:1300
	s_wait_dscnt 0x0
	v_mul_f32_e32 v24, v24, v26
	s_delay_alu instid0(VALU_DEP_1)
	v_mul_f32_e32 v24, v25, v24
	v_add_nc_u32_e64 v25, 0x400, 0
	ds_store_2addr_b32 v25, v24, v24 offset0:5 offset1:68
.LBB120_111:                            ;   in Loop: Header=BB120_3 Depth=1
	s_or_b32 exec_lo, exec_lo, s45
	v_mov_b32_e32 v24, 0
	s_wait_dscnt 0x0
	s_barrier_signal -1
	s_barrier_wait -1
	s_and_saveexec_b32 s45, s2
	s_cbranch_execz .LBB120_115
; %bb.112:                              ;   in Loop: Header=BB120_3 Depth=1
	ds_load_b32 v24, v65 offset:1048
	ds_load_b32 v25, v29 offset:1040
	s_wait_dscnt 0x0
	v_fma_f32 v24, v24, v25, 0
	s_and_saveexec_b32 s46, s16
	s_cbranch_execz .LBB120_114
; %bb.113:                              ;   in Loop: Header=BB120_3 Depth=1
	ds_load_b32 v25, v52 offset:1304
	ds_load_b32 v26, v5 offset:1044
	s_wait_dscnt 0x0
	v_fmac_f32_e32 v24, v25, v26
.LBB120_114:                            ;   in Loop: Header=BB120_3 Depth=1
	s_or_b32 exec_lo, exec_lo, s46
	s_delay_alu instid0(VALU_DEP_1)
	v_xor_b32_e32 v24, 0x80000000, v24
.LBB120_115:                            ;   in Loop: Header=BB120_3 Depth=1
	s_or_b32 exec_lo, exec_lo, s45
	s_and_saveexec_b32 s45, s90
	s_cbranch_execz .LBB120_117
; %bb.116:                              ;   in Loop: Header=BB120_3 Depth=1
	ds_load_b32 v25, v5 offset:1560
	s_wait_dscnt 0x0
	v_mul_f32_e32 v24, v24, v25
	ds_store_b32 v3, v24
.LBB120_117:                            ;   in Loop: Header=BB120_3 Depth=1
	s_or_b32 exec_lo, exec_lo, s45
	s_wait_dscnt 0x0
	s_barrier_signal -1
	s_barrier_wait -1
	s_and_saveexec_b32 s45, s91
	s_cbranch_execz .LBB120_119
; %bb.118:                              ;   in Loop: Header=BB120_3 Depth=1
	ds_load_b32 v25, v5 offset:1564
	ds_load_b32 v26, v3
	s_wait_dscnt 0x0
	v_fmac_f32_e32 v24, v25, v26
.LBB120_119:                            ;   in Loop: Header=BB120_3 Depth=1
	s_or_b32 exec_lo, exec_lo, s45
	s_barrier_signal -1
	s_barrier_wait -1
	s_and_saveexec_b32 s45, s91
	s_cbranch_execz .LBB120_121
; %bb.120:                              ;   in Loop: Header=BB120_3 Depth=1
	ds_load_b32 v25, v5 offset:1820
	s_wait_dscnt 0x0
	v_mul_f32_e32 v24, v24, v25
	ds_store_b32 v3, v24
.LBB120_121:                            ;   in Loop: Header=BB120_3 Depth=1
	s_or_b32 exec_lo, exec_lo, s45
	s_wait_dscnt 0x0
	s_barrier_signal -1
	s_barrier_wait -1
	s_barrier_signal -1
	s_barrier_wait -1
	s_and_saveexec_b32 s45, s2
; %bb.122:                              ;   in Loop: Header=BB120_3 Depth=1
	v_xor_b32_e32 v24, 0x80000000, v24
	ds_store_b32 v65, v24 offset:1048
; %bb.123:                              ;   in Loop: Header=BB120_3 Depth=1
	s_or_b32 exec_lo, exec_lo, s45
	s_wait_dscnt 0x0
	s_barrier_signal -1
	s_barrier_wait -1
	s_barrier_signal -1
	s_barrier_wait -1
	s_and_saveexec_b32 s45, s92
	s_cbranch_execz .LBB120_125
; %bb.124:                              ;   in Loop: Header=BB120_3 Depth=1
	ds_load_b32 v24, v53 offset:1048
	s_wait_dscnt 0x0
	ds_store_b32 v52, v24 offset:1552
	ds_load_b32 v24, v53 offset:1052
	s_wait_dscnt 0x0
	ds_store_b32 v52, v24 offset:1808
.LBB120_125:                            ;   in Loop: Header=BB120_3 Depth=1
	s_or_b32 exec_lo, exec_lo, s45
	s_wait_dscnt 0x0
	s_barrier_signal -1
	s_barrier_wait -1
	s_and_saveexec_b32 s45, s15
	s_cbranch_execz .LBB120_127
; %bb.126:                              ;   in Loop: Header=BB120_3 Depth=1
	ds_load_b64 v[24:25], v5 offset:1560
	ds_load_b32 v26, v5 offset:1820
	s_wait_dscnt 0x0
	v_mul_f32_e32 v24, v24, v26
	s_delay_alu instid0(VALU_DEP_1)
	v_mul_f32_e32 v24, v25, v24
	v_add_nc_u32_e64 v25, 0x400, 0
	ds_store_2addr_b32 v25, v24, v24 offset0:135 offset1:198
.LBB120_127:                            ;   in Loop: Header=BB120_3 Depth=1
	s_or_b32 exec_lo, exec_lo, s45
	v_mov_b32_e32 v24, 0
	s_wait_dscnt 0x0
	s_barrier_signal -1
	s_barrier_wait -1
	s_and_saveexec_b32 s82, s5
	s_cbranch_execz .LBB120_137
; %bb.128:                              ;   in Loop: Header=BB120_3 Depth=1
	ds_load_b32 v24, v42 offset:32
	ds_load_b32 v25, v39
	s_wait_dscnt 0x0
	v_fma_f32 v24, v24, v25, 0
	s_and_saveexec_b32 s45, s19
	s_cbranch_execnz .LBB120_1209
; %bb.129:                              ;   in Loop: Header=BB120_3 Depth=1
	s_or_b32 exec_lo, exec_lo, s45
	s_and_saveexec_b32 s45, s20
	s_cbranch_execnz .LBB120_1210
.LBB120_130:                            ;   in Loop: Header=BB120_3 Depth=1
	s_or_b32 exec_lo, exec_lo, s45
	s_and_saveexec_b32 s45, s21
	s_cbranch_execnz .LBB120_1211
.LBB120_131:                            ;   in Loop: Header=BB120_3 Depth=1
	s_or_b32 exec_lo, exec_lo, s45
	s_and_saveexec_b32 s45, s22
	s_cbranch_execnz .LBB120_1212
.LBB120_132:                            ;   in Loop: Header=BB120_3 Depth=1
	s_or_b32 exec_lo, exec_lo, s45
	s_and_saveexec_b32 s45, s23
	s_cbranch_execnz .LBB120_1213
.LBB120_133:                            ;   in Loop: Header=BB120_3 Depth=1
	s_or_b32 exec_lo, exec_lo, s45
	s_and_saveexec_b32 s45, s4
	s_cbranch_execnz .LBB120_1214
.LBB120_134:                            ;   in Loop: Header=BB120_3 Depth=1
	s_or_b32 exec_lo, exec_lo, s45
	s_and_saveexec_b32 s45, s18
	s_cbranch_execz .LBB120_136
.LBB120_135:                            ;   in Loop: Header=BB120_3 Depth=1
	ds_load_b32 v25, v54 offset:1824
	ds_load_b32 v26, v5 offset:28
	s_wait_dscnt 0x0
	v_fmac_f32_e32 v24, v25, v26
.LBB120_136:                            ;   in Loop: Header=BB120_3 Depth=1
	s_or_b32 exec_lo, exec_lo, s45
	s_delay_alu instid0(VALU_DEP_1)
	v_xor_b32_e32 v24, 0x80000000, v24
.LBB120_137:                            ;   in Loop: Header=BB120_3 Depth=1
	s_or_b32 exec_lo, exec_lo, s82
	s_and_saveexec_b32 s45, s100
	s_cbranch_execz .LBB120_139
; %bb.138:                              ;   in Loop: Header=BB120_3 Depth=1
	ds_load_b32 v25, v5 offset:2080
	s_wait_dscnt 0x0
	v_mul_f32_e32 v24, v24, v25
	ds_store_b32 v41, v24
.LBB120_139:                            ;   in Loop: Header=BB120_3 Depth=1
	s_or_b32 exec_lo, exec_lo, s45
	s_wait_dscnt 0x0
	s_barrier_signal -1
	s_barrier_wait -1
	s_and_saveexec_b32 s45, s101
	s_cbranch_execz .LBB120_141
; %bb.140:                              ;   in Loop: Header=BB120_3 Depth=1
	ds_load_b32 v25, v40 offset:2080
	ds_load_b32 v26, v41
	s_wait_dscnt 0x0
	v_fmac_f32_e32 v24, v25, v26
.LBB120_141:                            ;   in Loop: Header=BB120_3 Depth=1
	s_or_b32 exec_lo, exec_lo, s45
	s_barrier_signal -1
	s_barrier_wait -1
	s_and_saveexec_b32 s45, s102
	s_cbranch_execz .LBB120_143
; %bb.142:                              ;   in Loop: Header=BB120_3 Depth=1
	ds_load_b32 v25, v5 offset:2340
	s_wait_dscnt 0x0
	v_mul_f32_e32 v24, v24, v25
	ds_store_b32 v41, v24
.LBB120_143:                            ;   in Loop: Header=BB120_3 Depth=1
	s_or_b32 exec_lo, exec_lo, s45
	s_wait_dscnt 0x0
	s_barrier_signal -1
	s_barrier_wait -1
	s_and_saveexec_b32 s45, s103
	s_cbranch_execz .LBB120_145
; %bb.144:                              ;   in Loop: Header=BB120_3 Depth=1
	ds_load_b32 v25, v40 offset:2336
	ds_load_b32 v26, v41
	s_wait_dscnt 0x0
	v_fmac_f32_e32 v24, v25, v26
.LBB120_145:                            ;   in Loop: Header=BB120_3 Depth=1
	s_or_b32 exec_lo, exec_lo, s45
	s_barrier_signal -1
	s_barrier_wait -1
	s_and_saveexec_b32 s45, s104
	s_cbranch_execz .LBB120_147
; %bb.146:                              ;   in Loop: Header=BB120_3 Depth=1
	ds_load_b32 v25, v5 offset:2600
	s_wait_dscnt 0x0
	v_mul_f32_e32 v24, v24, v25
	ds_store_b32 v41, v24
.LBB120_147:                            ;   in Loop: Header=BB120_3 Depth=1
	s_or_b32 exec_lo, exec_lo, s45
	s_wait_dscnt 0x0
	s_barrier_signal -1
	s_barrier_wait -1
	s_and_saveexec_b32 s45, vcc_hi
	s_cbranch_execz .LBB120_149
; %bb.148:                              ;   in Loop: Header=BB120_3 Depth=1
	ds_load_b32 v25, v40 offset:2592
	ds_load_b32 v26, v41
	s_wait_dscnt 0x0
	v_fmac_f32_e32 v24, v25, v26
.LBB120_149:                            ;   in Loop: Header=BB120_3 Depth=1
	s_or_b32 exec_lo, exec_lo, s45
	s_barrier_signal -1
	s_barrier_wait -1
	s_and_saveexec_b32 s45, s36
	s_cbranch_execz .LBB120_151
; %bb.150:                              ;   in Loop: Header=BB120_3 Depth=1
	ds_load_b32 v25, v5 offset:2860
	s_wait_dscnt 0x0
	v_mul_f32_e32 v24, v24, v25
	ds_store_b32 v41, v24
.LBB120_151:                            ;   in Loop: Header=BB120_3 Depth=1
	s_or_b32 exec_lo, exec_lo, s45
	s_wait_dscnt 0x0
	s_barrier_signal -1
	s_barrier_wait -1
	s_and_saveexec_b32 s45, s37
	s_cbranch_execz .LBB120_153
; %bb.152:                              ;   in Loop: Header=BB120_3 Depth=1
	ds_load_b32 v25, v40 offset:2848
	ds_load_b32 v26, v41
	s_wait_dscnt 0x0
	v_fmac_f32_e32 v24, v25, v26
.LBB120_153:                            ;   in Loop: Header=BB120_3 Depth=1
	s_or_b32 exec_lo, exec_lo, s45
	s_barrier_signal -1
	s_barrier_wait -1
	s_and_saveexec_b32 s45, s38
	s_cbranch_execz .LBB120_155
; %bb.154:                              ;   in Loop: Header=BB120_3 Depth=1
	ds_load_b32 v25, v5 offset:3120
	s_wait_dscnt 0x0
	v_mul_f32_e32 v24, v24, v25
	ds_store_b32 v41, v24
.LBB120_155:                            ;   in Loop: Header=BB120_3 Depth=1
	s_or_b32 exec_lo, exec_lo, s45
	s_wait_dscnt 0x0
	s_barrier_signal -1
	s_barrier_wait -1
	s_and_saveexec_b32 s45, s39
	;; [unrolled: 23-line block ×4, first 2 shown]
	s_cbranch_execz .LBB120_165
; %bb.164:                              ;   in Loop: Header=BB120_3 Depth=1
	ds_load_b32 v25, v5 offset:3644
	ds_load_b32 v26, v41
	s_wait_dscnt 0x0
	v_fmac_f32_e32 v24, v25, v26
.LBB120_165:                            ;   in Loop: Header=BB120_3 Depth=1
	s_or_b32 exec_lo, exec_lo, s45
	s_barrier_signal -1
	s_barrier_wait -1
	s_and_saveexec_b32 s45, s43
	s_cbranch_execz .LBB120_167
; %bb.166:                              ;   in Loop: Header=BB120_3 Depth=1
	ds_load_b32 v25, v5 offset:3900
	s_wait_dscnt 0x0
	v_mul_f32_e32 v24, v24, v25
	ds_store_b32 v41, v24
.LBB120_167:                            ;   in Loop: Header=BB120_3 Depth=1
	s_or_b32 exec_lo, exec_lo, s45
	s_wait_dscnt 0x0
	s_barrier_signal -1
	s_barrier_wait -1
	s_barrier_signal -1
	s_barrier_wait -1
	s_and_saveexec_b32 s45, s5
; %bb.168:                              ;   in Loop: Header=BB120_3 Depth=1
	v_xor_b32_e32 v24, 0x80000000, v24
	ds_store_b32 v42, v24 offset:32
; %bb.169:                              ;   in Loop: Header=BB120_3 Depth=1
	s_or_b32 exec_lo, exec_lo, s45
	s_wait_dscnt 0x0
	s_barrier_signal -1
	s_barrier_wait -1
	s_barrier_signal -1
	s_barrier_wait -1
	s_and_saveexec_b32 s45, s44
	s_cbranch_execz .LBB120_171
; %bb.170:                              ;   in Loop: Header=BB120_3 Depth=1
	ds_load_b32 v24, v55 offset:32
	s_wait_dscnt 0x0
	ds_store_b32 v56, v24 offset:2048
	ds_load_b32 v24, v55 offset:36
	s_wait_dscnt 0x0
	ds_store_b32 v56, v24 offset:2304
	;; [unrolled: 3-line block ×8, first 2 shown]
.LBB120_171:                            ;   in Loop: Header=BB120_3 Depth=1
	s_or_b32 exec_lo, exec_lo, s45
	s_wait_dscnt 0x0
	s_barrier_signal -1
	s_barrier_wait -1
	s_and_saveexec_b32 s45, s15
	s_cbranch_execz .LBB120_173
; %bb.172:                              ;   in Loop: Header=BB120_3 Depth=1
	ds_load_b64 v[24:25], v5 offset:2080
	ds_load_b32 v26, v5 offset:2340
	s_wait_dscnt 0x0
	v_mul_f32_e32 v24, v24, v26
	s_delay_alu instid0(VALU_DEP_1)
	v_mul_f32_e32 v24, v25, v24
	v_add_nc_u32_e64 v25, 0x800, 0
	ds_store_2addr_b32 v25, v24, v24 offset0:9 offset1:72
.LBB120_173:                            ;   in Loop: Header=BB120_3 Depth=1
	s_or_b32 exec_lo, exec_lo, s45
	v_mov_b32_e32 v24, 0
	s_wait_dscnt 0x0
	s_barrier_signal -1
	s_barrier_wait -1
	s_and_saveexec_b32 s45, s2
	s_cbranch_execz .LBB120_177
; %bb.174:                              ;   in Loop: Header=BB120_3 Depth=1
	ds_load_b32 v24, v65 offset:2088
	ds_load_b32 v25, v29 offset:2080
	s_wait_dscnt 0x0
	v_fma_f32 v24, v24, v25, 0
	s_and_saveexec_b32 s46, s16
	s_cbranch_execz .LBB120_176
; %bb.175:                              ;   in Loop: Header=BB120_3 Depth=1
	ds_load_b32 v25, v56 offset:2344
	ds_load_b32 v26, v5 offset:2084
	s_wait_dscnt 0x0
	v_fmac_f32_e32 v24, v25, v26
.LBB120_176:                            ;   in Loop: Header=BB120_3 Depth=1
	s_or_b32 exec_lo, exec_lo, s46
	s_delay_alu instid0(VALU_DEP_1)
	v_xor_b32_e32 v24, 0x80000000, v24
.LBB120_177:                            ;   in Loop: Header=BB120_3 Depth=1
	s_or_b32 exec_lo, exec_lo, s45
	s_and_saveexec_b32 s45, s90
	s_cbranch_execz .LBB120_179
; %bb.178:                              ;   in Loop: Header=BB120_3 Depth=1
	ds_load_b32 v25, v5 offset:2600
	s_wait_dscnt 0x0
	v_mul_f32_e32 v24, v24, v25
	ds_store_b32 v3, v24
.LBB120_179:                            ;   in Loop: Header=BB120_3 Depth=1
	s_or_b32 exec_lo, exec_lo, s45
	s_wait_dscnt 0x0
	s_barrier_signal -1
	s_barrier_wait -1
	s_and_saveexec_b32 s45, s91
	s_cbranch_execz .LBB120_181
; %bb.180:                              ;   in Loop: Header=BB120_3 Depth=1
	ds_load_b32 v25, v5 offset:2604
	ds_load_b32 v26, v3
	s_wait_dscnt 0x0
	v_fmac_f32_e32 v24, v25, v26
.LBB120_181:                            ;   in Loop: Header=BB120_3 Depth=1
	s_or_b32 exec_lo, exec_lo, s45
	s_barrier_signal -1
	s_barrier_wait -1
	s_and_saveexec_b32 s45, s91
	s_cbranch_execz .LBB120_183
; %bb.182:                              ;   in Loop: Header=BB120_3 Depth=1
	ds_load_b32 v25, v5 offset:2860
	s_wait_dscnt 0x0
	v_mul_f32_e32 v24, v24, v25
	ds_store_b32 v3, v24
.LBB120_183:                            ;   in Loop: Header=BB120_3 Depth=1
	s_or_b32 exec_lo, exec_lo, s45
	s_wait_dscnt 0x0
	s_barrier_signal -1
	s_barrier_wait -1
	s_barrier_signal -1
	s_barrier_wait -1
	s_and_saveexec_b32 s45, s2
; %bb.184:                              ;   in Loop: Header=BB120_3 Depth=1
	v_xor_b32_e32 v24, 0x80000000, v24
	ds_store_b32 v65, v24 offset:2088
; %bb.185:                              ;   in Loop: Header=BB120_3 Depth=1
	s_or_b32 exec_lo, exec_lo, s45
	s_wait_dscnt 0x0
	s_barrier_signal -1
	s_barrier_wait -1
	s_barrier_signal -1
	s_barrier_wait -1
	s_and_saveexec_b32 s45, s92
	s_cbranch_execz .LBB120_187
; %bb.186:                              ;   in Loop: Header=BB120_3 Depth=1
	ds_load_b32 v24, v57 offset:2088
	s_wait_dscnt 0x0
	ds_store_b32 v56, v24 offset:2592
	ds_load_b32 v24, v57 offset:2092
	s_wait_dscnt 0x0
	ds_store_b32 v56, v24 offset:2848
.LBB120_187:                            ;   in Loop: Header=BB120_3 Depth=1
	s_or_b32 exec_lo, exec_lo, s45
	s_wait_dscnt 0x0
	s_barrier_signal -1
	s_barrier_wait -1
	s_and_saveexec_b32 s45, s15
	s_cbranch_execz .LBB120_189
; %bb.188:                              ;   in Loop: Header=BB120_3 Depth=1
	ds_load_b64 v[24:25], v5 offset:2600
	ds_load_b32 v26, v5 offset:2860
	s_wait_dscnt 0x0
	v_mul_f32_e32 v24, v24, v26
	s_delay_alu instid0(VALU_DEP_1)
	v_mul_f32_e32 v24, v25, v24
	v_add_nc_u32_e64 v25, 0x800, 0
	ds_store_2addr_b32 v25, v24, v24 offset0:139 offset1:202
.LBB120_189:                            ;   in Loop: Header=BB120_3 Depth=1
	s_or_b32 exec_lo, exec_lo, s45
	v_mov_b32_e32 v24, 0
	s_wait_dscnt 0x0
	s_barrier_signal -1
	s_barrier_wait -1
	s_and_saveexec_b32 s82, s4
	s_cbranch_execz .LBB120_195
; %bb.190:                              ;   in Loop: Header=BB120_3 Depth=1
	ds_load_b32 v24, v36 offset:2096
	ds_load_b32 v25, v31 offset:2080
	s_wait_dscnt 0x0
	v_fma_f32 v24, v24, v25, 0
	s_and_saveexec_b32 s45, s17
	s_cbranch_execnz .LBB120_1215
; %bb.191:                              ;   in Loop: Header=BB120_3 Depth=1
	s_or_b32 exec_lo, exec_lo, s45
	s_and_saveexec_b32 s45, s18
	s_cbranch_execnz .LBB120_1216
.LBB120_192:                            ;   in Loop: Header=BB120_3 Depth=1
	s_or_b32 exec_lo, exec_lo, s45
	s_and_saveexec_b32 s45, s2
	s_cbranch_execz .LBB120_194
.LBB120_193:                            ;   in Loop: Header=BB120_3 Depth=1
	ds_load_b32 v25, v58 offset:2864
	ds_load_b32 v26, v5 offset:2092
	s_wait_dscnt 0x0
	v_fmac_f32_e32 v24, v25, v26
.LBB120_194:                            ;   in Loop: Header=BB120_3 Depth=1
	s_or_b32 exec_lo, exec_lo, s45
	s_delay_alu instid0(VALU_DEP_1)
	v_xor_b32_e32 v24, 0x80000000, v24
.LBB120_195:                            ;   in Loop: Header=BB120_3 Depth=1
	s_or_b32 exec_lo, exec_lo, s82
	s_and_saveexec_b32 s45, s93
	s_cbranch_execz .LBB120_197
; %bb.196:                              ;   in Loop: Header=BB120_3 Depth=1
	ds_load_b32 v25, v5 offset:3120
	s_wait_dscnt 0x0
	v_mul_f32_e32 v24, v24, v25
	ds_store_b32 v35, v24
.LBB120_197:                            ;   in Loop: Header=BB120_3 Depth=1
	s_or_b32 exec_lo, exec_lo, s45
	s_wait_dscnt 0x0
	s_barrier_signal -1
	s_barrier_wait -1
	s_and_saveexec_b32 s45, s94
	s_cbranch_execz .LBB120_199
; %bb.198:                              ;   in Loop: Header=BB120_3 Depth=1
	ds_load_b32 v25, v33 offset:3120
	ds_load_b32 v26, v35
	s_wait_dscnt 0x0
	v_fmac_f32_e32 v24, v25, v26
.LBB120_199:                            ;   in Loop: Header=BB120_3 Depth=1
	s_or_b32 exec_lo, exec_lo, s45
	s_barrier_signal -1
	s_barrier_wait -1
	s_and_saveexec_b32 s45, s95
	s_cbranch_execz .LBB120_201
; %bb.200:                              ;   in Loop: Header=BB120_3 Depth=1
	ds_load_b32 v25, v5 offset:3380
	s_wait_dscnt 0x0
	v_mul_f32_e32 v24, v24, v25
	ds_store_b32 v35, v24
.LBB120_201:                            ;   in Loop: Header=BB120_3 Depth=1
	s_or_b32 exec_lo, exec_lo, s45
	s_wait_dscnt 0x0
	s_barrier_signal -1
	s_barrier_wait -1
	s_and_saveexec_b32 s45, s96
	s_cbranch_execz .LBB120_203
; %bb.202:                              ;   in Loop: Header=BB120_3 Depth=1
	ds_load_b32 v25, v33 offset:3376
	ds_load_b32 v26, v35
	s_wait_dscnt 0x0
	v_fmac_f32_e32 v24, v25, v26
.LBB120_203:                            ;   in Loop: Header=BB120_3 Depth=1
	s_or_b32 exec_lo, exec_lo, s45
	s_barrier_signal -1
	s_barrier_wait -1
	;; [unrolled: 23-line block ×3, first 2 shown]
	s_and_saveexec_b32 s45, s98
	s_cbranch_execz .LBB120_209
; %bb.208:                              ;   in Loop: Header=BB120_3 Depth=1
	ds_load_b32 v25, v5 offset:3900
	s_wait_dscnt 0x0
	v_mul_f32_e32 v24, v24, v25
	ds_store_b32 v35, v24
.LBB120_209:                            ;   in Loop: Header=BB120_3 Depth=1
	s_or_b32 exec_lo, exec_lo, s45
	s_wait_dscnt 0x0
	s_barrier_signal -1
	s_barrier_wait -1
	s_barrier_signal -1
	s_barrier_wait -1
	s_and_saveexec_b32 s45, s4
; %bb.210:                              ;   in Loop: Header=BB120_3 Depth=1
	v_xor_b32_e32 v24, 0x80000000, v24
	ds_store_b32 v36, v24 offset:2096
; %bb.211:                              ;   in Loop: Header=BB120_3 Depth=1
	s_or_b32 exec_lo, exec_lo, s45
	s_wait_dscnt 0x0
	s_barrier_signal -1
	s_barrier_wait -1
	s_barrier_signal -1
	s_barrier_wait -1
	s_and_saveexec_b32 s45, s99
	s_cbranch_execz .LBB120_213
; %bb.212:                              ;   in Loop: Header=BB120_3 Depth=1
	ds_load_b32 v24, v59 offset:2096
	s_wait_dscnt 0x0
	ds_store_b32 v60, v24 offset:3104
	ds_load_b32 v24, v59 offset:2100
	s_wait_dscnt 0x0
	ds_store_b32 v60, v24 offset:3360
	;; [unrolled: 3-line block ×4, first 2 shown]
.LBB120_213:                            ;   in Loop: Header=BB120_3 Depth=1
	s_or_b32 exec_lo, exec_lo, s45
	s_wait_dscnt 0x0
	s_barrier_signal -1
	s_barrier_wait -1
	s_and_saveexec_b32 s45, s15
	s_cbranch_execz .LBB120_215
; %bb.214:                              ;   in Loop: Header=BB120_3 Depth=1
	ds_load_b64 v[24:25], v5 offset:3120
	ds_load_b32 v26, v5 offset:3380
	s_wait_dscnt 0x0
	v_mul_f32_e32 v24, v24, v26
	s_delay_alu instid0(VALU_DEP_1)
	v_mul_f32_e32 v24, v25, v24
	v_add_nc_u32_e64 v25, 0xc00, 0
	ds_store_2addr_b32 v25, v24, v24 offset0:13 offset1:76
.LBB120_215:                            ;   in Loop: Header=BB120_3 Depth=1
	s_or_b32 exec_lo, exec_lo, s45
	v_mov_b32_e32 v24, 0
	s_wait_dscnt 0x0
	s_barrier_signal -1
	s_barrier_wait -1
	s_and_saveexec_b32 s45, s2
	s_cbranch_execz .LBB120_219
; %bb.216:                              ;   in Loop: Header=BB120_3 Depth=1
	ds_load_b32 v24, v65 offset:3128
	ds_load_b32 v25, v29 offset:3120
	s_wait_dscnt 0x0
	v_fma_f32 v24, v24, v25, 0
	s_and_saveexec_b32 s46, s16
	s_cbranch_execz .LBB120_218
; %bb.217:                              ;   in Loop: Header=BB120_3 Depth=1
	ds_load_b32 v25, v60 offset:3384
	ds_load_b32 v26, v5 offset:3124
	s_wait_dscnt 0x0
	v_fmac_f32_e32 v24, v25, v26
.LBB120_218:                            ;   in Loop: Header=BB120_3 Depth=1
	s_or_b32 exec_lo, exec_lo, s46
	s_delay_alu instid0(VALU_DEP_1)
	v_xor_b32_e32 v24, 0x80000000, v24
.LBB120_219:                            ;   in Loop: Header=BB120_3 Depth=1
	s_or_b32 exec_lo, exec_lo, s45
	s_and_saveexec_b32 s45, s90
	s_cbranch_execz .LBB120_221
; %bb.220:                              ;   in Loop: Header=BB120_3 Depth=1
	ds_load_b32 v25, v5 offset:3640
	s_wait_dscnt 0x0
	v_mul_f32_e32 v24, v24, v25
	ds_store_b32 v3, v24
.LBB120_221:                            ;   in Loop: Header=BB120_3 Depth=1
	s_or_b32 exec_lo, exec_lo, s45
	s_wait_dscnt 0x0
	s_barrier_signal -1
	s_barrier_wait -1
	s_and_saveexec_b32 s45, s91
	s_cbranch_execz .LBB120_223
; %bb.222:                              ;   in Loop: Header=BB120_3 Depth=1
	ds_load_b32 v25, v5 offset:3644
	ds_load_b32 v26, v3
	s_wait_dscnt 0x0
	v_fmac_f32_e32 v24, v25, v26
.LBB120_223:                            ;   in Loop: Header=BB120_3 Depth=1
	s_or_b32 exec_lo, exec_lo, s45
	s_barrier_signal -1
	s_barrier_wait -1
	s_and_saveexec_b32 s45, s91
	s_cbranch_execz .LBB120_225
; %bb.224:                              ;   in Loop: Header=BB120_3 Depth=1
	ds_load_b32 v25, v5 offset:3900
	s_wait_dscnt 0x0
	v_mul_f32_e32 v24, v24, v25
	ds_store_b32 v3, v24
.LBB120_225:                            ;   in Loop: Header=BB120_3 Depth=1
	s_or_b32 exec_lo, exec_lo, s45
	s_wait_dscnt 0x0
	s_barrier_signal -1
	s_barrier_wait -1
	s_barrier_signal -1
	s_barrier_wait -1
	s_and_saveexec_b32 s45, s2
; %bb.226:                              ;   in Loop: Header=BB120_3 Depth=1
	v_xor_b32_e32 v24, 0x80000000, v24
	ds_store_b32 v65, v24 offset:3128
; %bb.227:                              ;   in Loop: Header=BB120_3 Depth=1
	s_or_b32 exec_lo, exec_lo, s45
	s_wait_dscnt 0x0
	s_barrier_signal -1
	s_barrier_wait -1
	s_barrier_signal -1
	s_barrier_wait -1
	s_and_saveexec_b32 s45, s92
	s_cbranch_execz .LBB120_229
; %bb.228:                              ;   in Loop: Header=BB120_3 Depth=1
	ds_load_b32 v24, v61 offset:3128
	s_wait_dscnt 0x0
	ds_store_b32 v60, v24 offset:3632
	ds_load_b32 v24, v61 offset:3132
	s_wait_dscnt 0x0
	ds_store_b32 v60, v24 offset:3888
.LBB120_229:                            ;   in Loop: Header=BB120_3 Depth=1
	s_or_b32 exec_lo, exec_lo, s45
	s_wait_dscnt 0x0
	s_barrier_signal -1
	s_barrier_wait -1
	s_and_saveexec_b32 s45, s15
	s_cbranch_execz .LBB120_231
; %bb.230:                              ;   in Loop: Header=BB120_3 Depth=1
	ds_load_b64 v[24:25], v5 offset:3640
	ds_load_b32 v26, v5 offset:3900
	s_wait_dscnt 0x0
	v_mul_f32_e32 v24, v24, v26
	s_delay_alu instid0(VALU_DEP_1)
	v_mul_f32_e32 v24, v25, v24
	v_add_nc_u32_e64 v25, 0xc00, 0
	ds_store_2addr_b32 v25, v24, v24 offset0:143 offset1:206
.LBB120_231:                            ;   in Loop: Header=BB120_3 Depth=1
	s_or_b32 exec_lo, exec_lo, s45
	v_mov_b32_e32 v24, 0
	s_wait_dscnt 0x0
	s_barrier_signal -1
	s_barrier_wait -1
	s_and_saveexec_b32 s82, s6
	s_cbranch_execz .LBB120_259
; %bb.232:                              ;   in Loop: Header=BB120_3 Depth=1
	ds_load_b32 v24, v47 offset:64
	ds_load_b32 v25, v44
	s_wait_dscnt 0x0
	v_fma_f32 v24, v24, v25, 0
	s_mov_b32 s45, exec_lo
	v_readlane_b32 s46, v91, 23
	s_and_b32 s46, s45, s46
	s_delay_alu instid0(SALU_CYCLE_1)
	s_mov_b32 exec_lo, s46
	s_cbranch_execz .LBB120_234
; %bb.233:                              ;   in Loop: Header=BB120_3 Depth=1
	ds_load_b32 v25, v48 offset:320
	ds_load_b32 v26, v44 offset:4
	s_wait_dscnt 0x0
	v_fmac_f32_e32 v24, v25, v26
.LBB120_234:                            ;   in Loop: Header=BB120_3 Depth=1
	s_or_b32 exec_lo, exec_lo, s45
	s_delay_alu instid0(SALU_CYCLE_1) | instskip(SKIP_2) | instid1(SALU_CYCLE_1)
	s_mov_b32 s45, exec_lo
	v_readlane_b32 s46, v91, 24
	s_and_b32 s46, s45, s46
	s_mov_b32 exec_lo, s46
	s_cbranch_execz .LBB120_236
; %bb.235:                              ;   in Loop: Header=BB120_3 Depth=1
	ds_load_b32 v25, v48 offset:576
	ds_load_b32 v26, v44 offset:8
	s_wait_dscnt 0x0
	v_fmac_f32_e32 v24, v25, v26
.LBB120_236:                            ;   in Loop: Header=BB120_3 Depth=1
	s_or_b32 exec_lo, exec_lo, s45
	s_delay_alu instid0(SALU_CYCLE_1) | instskip(SKIP_2) | instid1(SALU_CYCLE_1)
	s_mov_b32 s45, exec_lo
	v_readlane_b32 s46, v91, 25
	s_and_b32 s46, s45, s46
	;; [unrolled: 13-line block ×10, first 2 shown]
	s_mov_b32 exec_lo, s46
	s_cbranch_execnz .LBB120_1217
; %bb.253:                              ;   in Loop: Header=BB120_3 Depth=1
	s_or_b32 exec_lo, exec_lo, s45
	s_and_saveexec_b32 s45, s5
	s_cbranch_execnz .LBB120_1218
.LBB120_254:                            ;   in Loop: Header=BB120_3 Depth=1
	s_or_b32 exec_lo, exec_lo, s45
	s_and_saveexec_b32 s45, s20
	s_cbranch_execnz .LBB120_1219
.LBB120_255:                            ;   in Loop: Header=BB120_3 Depth=1
	s_or_b32 exec_lo, exec_lo, s45
	s_and_saveexec_b32 s45, s22
	s_cbranch_execnz .LBB120_1220
.LBB120_256:                            ;   in Loop: Header=BB120_3 Depth=1
	s_or_b32 exec_lo, exec_lo, s45
	s_and_saveexec_b32 s45, s4
	s_cbranch_execz .LBB120_258
.LBB120_257:                            ;   in Loop: Header=BB120_3 Depth=1
	ds_load_b32 v25, v30 offset:3904
	ds_load_b32 v26, v5 offset:60
	s_wait_dscnt 0x0
	v_fmac_f32_e32 v24, v25, v26
.LBB120_258:                            ;   in Loop: Header=BB120_3 Depth=1
	s_or_b32 exec_lo, exec_lo, s45
	s_delay_alu instid0(VALU_DEP_1)
	v_xor_b32_e32 v24, 0x80000000, v24
.LBB120_259:                            ;   in Loop: Header=BB120_3 Depth=1
	s_or_b32 exec_lo, exec_lo, s82
	s_delay_alu instid0(SALU_CYCLE_1) | instskip(SKIP_2) | instid1(SALU_CYCLE_1)
	s_mov_b32 s45, exec_lo
	v_readlane_b32 s46, v93, 3
	s_and_b32 s46, s45, s46
	s_mov_b32 exec_lo, s46
	s_cbranch_execz .LBB120_261
; %bb.260:                              ;   in Loop: Header=BB120_3 Depth=1
	ds_load_b32 v25, v5 offset:4160
	s_wait_dscnt 0x0
	v_mul_f32_e32 v24, v24, v25
	ds_store_b32 v46, v24
.LBB120_261:                            ;   in Loop: Header=BB120_3 Depth=1
	s_or_b32 exec_lo, exec_lo, s45
	s_wait_dscnt 0x0
	s_barrier_signal -1
	s_barrier_wait -1
	s_mov_b32 s45, exec_lo
	v_readlane_b32 s46, v93, 4
	s_and_b32 s46, s45, s46
	s_delay_alu instid0(SALU_CYCLE_1)
	s_mov_b32 exec_lo, s46
	s_cbranch_execz .LBB120_263
; %bb.262:                              ;   in Loop: Header=BB120_3 Depth=1
	ds_load_b32 v25, v45 offset:4160
	ds_load_b32 v26, v46
	s_wait_dscnt 0x0
	v_fmac_f32_e32 v24, v25, v26
.LBB120_263:                            ;   in Loop: Header=BB120_3 Depth=1
	s_or_b32 exec_lo, exec_lo, s45
	s_barrier_signal -1
	s_barrier_wait -1
	s_mov_b32 s45, exec_lo
	v_readlane_b32 s46, v93, 5
	s_and_b32 s46, s45, s46
	s_delay_alu instid0(SALU_CYCLE_1)
	s_mov_b32 exec_lo, s46
	s_cbranch_execz .LBB120_265
; %bb.264:                              ;   in Loop: Header=BB120_3 Depth=1
	ds_load_b32 v25, v5 offset:4420
	s_wait_dscnt 0x0
	v_mul_f32_e32 v24, v24, v25
	ds_store_b32 v46, v24
.LBB120_265:                            ;   in Loop: Header=BB120_3 Depth=1
	s_or_b32 exec_lo, exec_lo, s45
	s_wait_dscnt 0x0
	s_barrier_signal -1
	s_barrier_wait -1
	s_mov_b32 s45, exec_lo
	v_readlane_b32 s46, v93, 6
	s_and_b32 s46, s45, s46
	s_delay_alu instid0(SALU_CYCLE_1)
	s_mov_b32 exec_lo, s46
	s_cbranch_execz .LBB120_267
; %bb.266:                              ;   in Loop: Header=BB120_3 Depth=1
	ds_load_b32 v25, v45 offset:4416
	ds_load_b32 v26, v46
	s_wait_dscnt 0x0
	v_fmac_f32_e32 v24, v25, v26
.LBB120_267:                            ;   in Loop: Header=BB120_3 Depth=1
	s_or_b32 exec_lo, exec_lo, s45
	s_barrier_signal -1
	s_barrier_wait -1
	s_and_saveexec_b32 s45, s49
	s_cbranch_execz .LBB120_269
; %bb.268:                              ;   in Loop: Header=BB120_3 Depth=1
	ds_load_b32 v25, v5 offset:4680
	s_wait_dscnt 0x0
	v_mul_f32_e32 v24, v24, v25
	ds_store_b32 v46, v24
.LBB120_269:                            ;   in Loop: Header=BB120_3 Depth=1
	s_or_b32 exec_lo, exec_lo, s45
	s_wait_dscnt 0x0
	s_barrier_signal -1
	s_barrier_wait -1
	s_and_saveexec_b32 s45, s50
	s_cbranch_execz .LBB120_271
; %bb.270:                              ;   in Loop: Header=BB120_3 Depth=1
	ds_load_b32 v25, v45 offset:4672
	ds_load_b32 v26, v46
	s_wait_dscnt 0x0
	v_fmac_f32_e32 v24, v25, v26
.LBB120_271:                            ;   in Loop: Header=BB120_3 Depth=1
	s_or_b32 exec_lo, exec_lo, s45
	s_barrier_signal -1
	s_barrier_wait -1
	s_and_saveexec_b32 s45, s51
	s_cbranch_execz .LBB120_273
; %bb.272:                              ;   in Loop: Header=BB120_3 Depth=1
	ds_load_b32 v25, v5 offset:4940
	s_wait_dscnt 0x0
	v_mul_f32_e32 v24, v24, v25
	ds_store_b32 v46, v24
.LBB120_273:                            ;   in Loop: Header=BB120_3 Depth=1
	s_or_b32 exec_lo, exec_lo, s45
	s_wait_dscnt 0x0
	s_barrier_signal -1
	s_barrier_wait -1
	s_and_saveexec_b32 s45, s52
	s_cbranch_execz .LBB120_275
; %bb.274:                              ;   in Loop: Header=BB120_3 Depth=1
	ds_load_b32 v25, v45 offset:4928
	ds_load_b32 v26, v46
	s_wait_dscnt 0x0
	v_fmac_f32_e32 v24, v25, v26
.LBB120_275:                            ;   in Loop: Header=BB120_3 Depth=1
	s_or_b32 exec_lo, exec_lo, s45
	s_barrier_signal -1
	s_barrier_wait -1
	s_and_saveexec_b32 s45, s53
	s_cbranch_execz .LBB120_277
; %bb.276:                              ;   in Loop: Header=BB120_3 Depth=1
	ds_load_b32 v25, v5 offset:5200
	s_wait_dscnt 0x0
	v_mul_f32_e32 v24, v24, v25
	ds_store_b32 v46, v24
.LBB120_277:                            ;   in Loop: Header=BB120_3 Depth=1
	s_or_b32 exec_lo, exec_lo, s45
	s_wait_dscnt 0x0
	s_barrier_signal -1
	s_barrier_wait -1
	s_and_saveexec_b32 s45, s54
	s_cbranch_execz .LBB120_279
; %bb.278:                              ;   in Loop: Header=BB120_3 Depth=1
	ds_load_b32 v25, v45 offset:5184
	ds_load_b32 v26, v46
	s_wait_dscnt 0x0
	v_fmac_f32_e32 v24, v25, v26
.LBB120_279:                            ;   in Loop: Header=BB120_3 Depth=1
	s_or_b32 exec_lo, exec_lo, s45
	s_barrier_signal -1
	s_barrier_wait -1
	s_and_saveexec_b32 s45, s55
	s_cbranch_execz .LBB120_281
; %bb.280:                              ;   in Loop: Header=BB120_3 Depth=1
	ds_load_b32 v25, v5 offset:5460
	s_wait_dscnt 0x0
	v_mul_f32_e32 v24, v24, v25
	ds_store_b32 v46, v24
.LBB120_281:                            ;   in Loop: Header=BB120_3 Depth=1
	s_or_b32 exec_lo, exec_lo, s45
	s_wait_dscnt 0x0
	s_barrier_signal -1
	s_barrier_wait -1
	s_and_saveexec_b32 s45, s56
	s_cbranch_execz .LBB120_283
; %bb.282:                              ;   in Loop: Header=BB120_3 Depth=1
	ds_load_b32 v25, v45 offset:5440
	ds_load_b32 v26, v46
	s_wait_dscnt 0x0
	v_fmac_f32_e32 v24, v25, v26
.LBB120_283:                            ;   in Loop: Header=BB120_3 Depth=1
	s_or_b32 exec_lo, exec_lo, s45
	s_barrier_signal -1
	s_barrier_wait -1
	s_and_saveexec_b32 s45, s57
	s_cbranch_execz .LBB120_285
; %bb.284:                              ;   in Loop: Header=BB120_3 Depth=1
	ds_load_b32 v25, v5 offset:5720
	s_wait_dscnt 0x0
	v_mul_f32_e32 v24, v24, v25
	ds_store_b32 v46, v24
.LBB120_285:                            ;   in Loop: Header=BB120_3 Depth=1
	s_or_b32 exec_lo, exec_lo, s45
	s_wait_dscnt 0x0
	s_barrier_signal -1
	s_barrier_wait -1
	s_and_saveexec_b32 s45, s58
	s_cbranch_execz .LBB120_287
; %bb.286:                              ;   in Loop: Header=BB120_3 Depth=1
	ds_load_b32 v25, v45 offset:5696
	ds_load_b32 v26, v46
	s_wait_dscnt 0x0
	v_fmac_f32_e32 v24, v25, v26
.LBB120_287:                            ;   in Loop: Header=BB120_3 Depth=1
	s_or_b32 exec_lo, exec_lo, s45
	s_barrier_signal -1
	s_barrier_wait -1
	s_and_saveexec_b32 s45, s61
	s_cbranch_execz .LBB120_289
; %bb.288:                              ;   in Loop: Header=BB120_3 Depth=1
	ds_load_b32 v25, v5 offset:5980
	s_wait_dscnt 0x0
	v_mul_f32_e32 v24, v24, v25
	ds_store_b32 v46, v24
.LBB120_289:                            ;   in Loop: Header=BB120_3 Depth=1
	s_or_b32 exec_lo, exec_lo, s45
	s_wait_dscnt 0x0
	s_barrier_signal -1
	s_barrier_wait -1
	s_and_saveexec_b32 s45, s62
	s_cbranch_execz .LBB120_291
; %bb.290:                              ;   in Loop: Header=BB120_3 Depth=1
	ds_load_b32 v25, v45 offset:5952
	ds_load_b32 v26, v46
	s_wait_dscnt 0x0
	v_fmac_f32_e32 v24, v25, v26
.LBB120_291:                            ;   in Loop: Header=BB120_3 Depth=1
	s_or_b32 exec_lo, exec_lo, s45
	s_barrier_signal -1
	s_barrier_wait -1
	s_and_saveexec_b32 s45, s63
	s_cbranch_execz .LBB120_293
; %bb.292:                              ;   in Loop: Header=BB120_3 Depth=1
	ds_load_b32 v25, v5 offset:6240
	s_wait_dscnt 0x0
	v_mul_f32_e32 v24, v24, v25
	ds_store_b32 v46, v24
.LBB120_293:                            ;   in Loop: Header=BB120_3 Depth=1
	s_or_b32 exec_lo, exec_lo, s45
	s_wait_dscnt 0x0
	s_barrier_signal -1
	s_barrier_wait -1
	s_and_saveexec_b32 s45, s64
	s_cbranch_execz .LBB120_295
; %bb.294:                              ;   in Loop: Header=BB120_3 Depth=1
	ds_load_b32 v25, v45 offset:6208
	ds_load_b32 v26, v46
	s_wait_dscnt 0x0
	v_fmac_f32_e32 v24, v25, v26
.LBB120_295:                            ;   in Loop: Header=BB120_3 Depth=1
	s_or_b32 exec_lo, exec_lo, s45
	s_barrier_signal -1
	s_barrier_wait -1
	s_and_saveexec_b32 s45, s13
	s_cbranch_execz .LBB120_297
; %bb.296:                              ;   in Loop: Header=BB120_3 Depth=1
	ds_load_b32 v25, v5 offset:6500
	s_wait_dscnt 0x0
	v_mul_f32_e32 v24, v24, v25
	ds_store_b32 v46, v24
.LBB120_297:                            ;   in Loop: Header=BB120_3 Depth=1
	s_or_b32 exec_lo, exec_lo, s45
	s_wait_dscnt 0x0
	s_barrier_signal -1
	s_barrier_wait -1
	s_and_saveexec_b32 s45, s88
	s_cbranch_execz .LBB120_299
; %bb.298:                              ;   in Loop: Header=BB120_3 Depth=1
	ds_load_b32 v25, v45 offset:6464
	ds_load_b32 v26, v46
	s_wait_dscnt 0x0
	v_fmac_f32_e32 v24, v25, v26
.LBB120_299:                            ;   in Loop: Header=BB120_3 Depth=1
	s_or_b32 exec_lo, exec_lo, s45
	s_barrier_signal -1
	s_barrier_wait -1
	s_and_saveexec_b32 s45, s24
	s_cbranch_execz .LBB120_301
; %bb.300:                              ;   in Loop: Header=BB120_3 Depth=1
	ds_load_b32 v25, v5 offset:6760
	s_wait_dscnt 0x0
	v_mul_f32_e32 v24, v24, v25
	ds_store_b32 v46, v24
.LBB120_301:                            ;   in Loop: Header=BB120_3 Depth=1
	s_or_b32 exec_lo, exec_lo, s45
	s_wait_dscnt 0x0
	s_barrier_signal -1
	s_barrier_wait -1
	s_and_saveexec_b32 s45, s26
	s_cbranch_execz .LBB120_303
; %bb.302:                              ;   in Loop: Header=BB120_3 Depth=1
	ds_load_b32 v25, v45 offset:6720
	ds_load_b32 v26, v46
	s_wait_dscnt 0x0
	v_fmac_f32_e32 v24, v25, v26
.LBB120_303:                            ;   in Loop: Header=BB120_3 Depth=1
	s_or_b32 exec_lo, exec_lo, s45
	s_barrier_signal -1
	s_barrier_wait -1
	s_and_saveexec_b32 s45, s28
	s_cbranch_execz .LBB120_305
; %bb.304:                              ;   in Loop: Header=BB120_3 Depth=1
	ds_load_b32 v25, v5 offset:7020
	s_wait_dscnt 0x0
	v_mul_f32_e32 v24, v24, v25
	ds_store_b32 v46, v24
.LBB120_305:                            ;   in Loop: Header=BB120_3 Depth=1
	s_or_b32 exec_lo, exec_lo, s45
	s_wait_dscnt 0x0
	s_barrier_signal -1
	s_barrier_wait -1
	s_and_saveexec_b32 s45, s30
	s_cbranch_execz .LBB120_307
; %bb.306:                              ;   in Loop: Header=BB120_3 Depth=1
	ds_load_b32 v25, v45 offset:6976
	ds_load_b32 v26, v46
	s_wait_dscnt 0x0
	v_fmac_f32_e32 v24, v25, v26
.LBB120_307:                            ;   in Loop: Header=BB120_3 Depth=1
	s_or_b32 exec_lo, exec_lo, s45
	s_barrier_signal -1
	s_barrier_wait -1
	s_and_saveexec_b32 s45, s33
	s_cbranch_execz .LBB120_309
; %bb.308:                              ;   in Loop: Header=BB120_3 Depth=1
	ds_load_b32 v25, v5 offset:7280
	s_wait_dscnt 0x0
	v_mul_f32_e32 v24, v24, v25
	ds_store_b32 v46, v24
.LBB120_309:                            ;   in Loop: Header=BB120_3 Depth=1
	s_or_b32 exec_lo, exec_lo, s45
	s_wait_dscnt 0x0
	s_barrier_signal -1
	s_barrier_wait -1
	s_and_saveexec_b32 s45, s35
	s_cbranch_execz .LBB120_311
; %bb.310:                              ;   in Loop: Header=BB120_3 Depth=1
	ds_load_b32 v25, v45 offset:7232
	ds_load_b32 v26, v46
	s_wait_dscnt 0x0
	v_fmac_f32_e32 v24, v25, v26
.LBB120_311:                            ;   in Loop: Header=BB120_3 Depth=1
	s_or_b32 exec_lo, exec_lo, s45
	s_barrier_signal -1
	s_barrier_wait -1
	s_and_saveexec_b32 s45, s25
	s_cbranch_execz .LBB120_313
; %bb.312:                              ;   in Loop: Header=BB120_3 Depth=1
	ds_load_b32 v25, v5 offset:7540
	s_wait_dscnt 0x0
	v_mul_f32_e32 v24, v24, v25
	ds_store_b32 v46, v24
.LBB120_313:                            ;   in Loop: Header=BB120_3 Depth=1
	s_or_b32 exec_lo, exec_lo, s45
	s_wait_dscnt 0x0
	s_barrier_signal -1
	s_barrier_wait -1
	s_and_saveexec_b32 s45, s27
	s_cbranch_execz .LBB120_315
; %bb.314:                              ;   in Loop: Header=BB120_3 Depth=1
	ds_load_b32 v25, v45 offset:7488
	ds_load_b32 v26, v46
	s_wait_dscnt 0x0
	v_fmac_f32_e32 v24, v25, v26
.LBB120_315:                            ;   in Loop: Header=BB120_3 Depth=1
	s_or_b32 exec_lo, exec_lo, s45
	s_barrier_signal -1
	s_barrier_wait -1
	s_and_saveexec_b32 s45, s29
	s_cbranch_execz .LBB120_317
; %bb.316:                              ;   in Loop: Header=BB120_3 Depth=1
	ds_load_b32 v25, v5 offset:7800
	s_wait_dscnt 0x0
	v_mul_f32_e32 v24, v24, v25
	ds_store_b32 v46, v24
.LBB120_317:                            ;   in Loop: Header=BB120_3 Depth=1
	s_or_b32 exec_lo, exec_lo, s45
	s_wait_dscnt 0x0
	s_barrier_signal -1
	s_barrier_wait -1
	s_and_saveexec_b32 s45, s31
	s_cbranch_execz .LBB120_319
; %bb.318:                              ;   in Loop: Header=BB120_3 Depth=1
	ds_load_b32 v25, v5 offset:7804
	ds_load_b32 v26, v46
	s_wait_dscnt 0x0
	v_fmac_f32_e32 v24, v25, v26
.LBB120_319:                            ;   in Loop: Header=BB120_3 Depth=1
	s_or_b32 exec_lo, exec_lo, s45
	s_barrier_signal -1
	s_barrier_wait -1
	s_and_saveexec_b32 s45, s31
	s_cbranch_execz .LBB120_321
; %bb.320:                              ;   in Loop: Header=BB120_3 Depth=1
	ds_load_b32 v25, v5 offset:8060
	s_wait_dscnt 0x0
	v_mul_f32_e32 v24, v24, v25
	ds_store_b32 v46, v24
.LBB120_321:                            ;   in Loop: Header=BB120_3 Depth=1
	s_or_b32 exec_lo, exec_lo, s45
	s_wait_dscnt 0x0
	s_barrier_signal -1
	s_barrier_wait -1
	s_barrier_signal -1
	s_barrier_wait -1
	s_and_saveexec_b32 s45, s6
; %bb.322:                              ;   in Loop: Header=BB120_3 Depth=1
	v_xor_b32_e32 v24, 0x80000000, v24
	ds_store_b32 v47, v24 offset:64
; %bb.323:                              ;   in Loop: Header=BB120_3 Depth=1
	s_or_b32 exec_lo, exec_lo, s45
	s_wait_dscnt 0x0
	s_barrier_signal -1
	s_barrier_wait -1
	s_barrier_signal -1
	s_barrier_wait -1
	s_and_saveexec_b32 s45, s34
	s_cbranch_execz .LBB120_325
; %bb.324:                              ;   in Loop: Header=BB120_3 Depth=1
	ds_load_b32 v24, v34 offset:64
	s_wait_dscnt 0x0
	ds_store_b32 v38, v24 offset:4096
	ds_load_b32 v24, v34 offset:68
	s_wait_dscnt 0x0
	ds_store_b32 v38, v24 offset:4352
	;; [unrolled: 3-line block ×16, first 2 shown]
.LBB120_325:                            ;   in Loop: Header=BB120_3 Depth=1
	s_or_b32 exec_lo, exec_lo, s45
	s_wait_dscnt 0x0
	s_barrier_signal -1
	s_barrier_wait -1
	s_and_saveexec_b32 s45, s15
	s_cbranch_execz .LBB120_327
; %bb.326:                              ;   in Loop: Header=BB120_3 Depth=1
	ds_load_b64 v[24:25], v5 offset:4160
	ds_load_b32 v26, v5 offset:4420
	s_wait_dscnt 0x0
	v_mul_f32_e32 v24, v24, v26
	s_delay_alu instid0(VALU_DEP_1)
	v_mul_f32_e32 v24, v25, v24
	v_add_nc_u32_e64 v25, 0x1000, 0
	ds_store_2addr_b32 v25, v24, v24 offset0:17 offset1:80
.LBB120_327:                            ;   in Loop: Header=BB120_3 Depth=1
	s_or_b32 exec_lo, exec_lo, s45
	v_mov_b32_e32 v24, 0
	s_wait_dscnt 0x0
	s_barrier_signal -1
	s_barrier_wait -1
	s_and_saveexec_b32 s45, s2
	s_cbranch_execz .LBB120_331
; %bb.328:                              ;   in Loop: Header=BB120_3 Depth=1
	ds_load_b32 v24, v65 offset:4168
	ds_load_b32 v25, v29 offset:4160
	s_wait_dscnt 0x0
	v_fma_f32 v24, v24, v25, 0
	s_and_saveexec_b32 s46, s16
	s_cbranch_execz .LBB120_330
; %bb.329:                              ;   in Loop: Header=BB120_3 Depth=1
	ds_load_b32 v25, v30 offset:4424
	ds_load_b32 v26, v5 offset:4164
	s_wait_dscnt 0x0
	v_fmac_f32_e32 v24, v25, v26
.LBB120_330:                            ;   in Loop: Header=BB120_3 Depth=1
	s_or_b32 exec_lo, exec_lo, s46
	s_delay_alu instid0(VALU_DEP_1)
	v_xor_b32_e32 v24, 0x80000000, v24
.LBB120_331:                            ;   in Loop: Header=BB120_3 Depth=1
	s_or_b32 exec_lo, exec_lo, s45
	s_and_saveexec_b32 s45, s90
	s_cbranch_execz .LBB120_333
; %bb.332:                              ;   in Loop: Header=BB120_3 Depth=1
	ds_load_b32 v25, v5 offset:4680
	s_wait_dscnt 0x0
	v_mul_f32_e32 v24, v24, v25
	ds_store_b32 v3, v24
.LBB120_333:                            ;   in Loop: Header=BB120_3 Depth=1
	s_or_b32 exec_lo, exec_lo, s45
	s_wait_dscnt 0x0
	s_barrier_signal -1
	s_barrier_wait -1
	s_and_saveexec_b32 s45, s91
	s_cbranch_execz .LBB120_335
; %bb.334:                              ;   in Loop: Header=BB120_3 Depth=1
	ds_load_b32 v25, v5 offset:4684
	ds_load_b32 v26, v3
	s_wait_dscnt 0x0
	v_fmac_f32_e32 v24, v25, v26
.LBB120_335:                            ;   in Loop: Header=BB120_3 Depth=1
	s_or_b32 exec_lo, exec_lo, s45
	s_barrier_signal -1
	s_barrier_wait -1
	s_and_saveexec_b32 s45, s91
	s_cbranch_execz .LBB120_337
; %bb.336:                              ;   in Loop: Header=BB120_3 Depth=1
	ds_load_b32 v25, v5 offset:4940
	s_wait_dscnt 0x0
	v_mul_f32_e32 v24, v24, v25
	ds_store_b32 v3, v24
.LBB120_337:                            ;   in Loop: Header=BB120_3 Depth=1
	s_or_b32 exec_lo, exec_lo, s45
	s_wait_dscnt 0x0
	s_barrier_signal -1
	s_barrier_wait -1
	s_barrier_signal -1
	s_barrier_wait -1
	s_and_saveexec_b32 s45, s2
; %bb.338:                              ;   in Loop: Header=BB120_3 Depth=1
	v_xor_b32_e32 v24, 0x80000000, v24
	ds_store_b32 v65, v24 offset:4168
; %bb.339:                              ;   in Loop: Header=BB120_3 Depth=1
	s_or_b32 exec_lo, exec_lo, s45
	s_wait_dscnt 0x0
	s_barrier_signal -1
	s_barrier_wait -1
	s_barrier_signal -1
	s_barrier_wait -1
	s_and_saveexec_b32 s45, s92
	s_cbranch_execz .LBB120_341
; %bb.340:                              ;   in Loop: Header=BB120_3 Depth=1
	ds_load_b32 v24, v34 offset:4168
	s_wait_dscnt 0x0
	ds_store_b32 v30, v24 offset:4672
	ds_load_b32 v24, v34 offset:4172
	s_wait_dscnt 0x0
	ds_store_b32 v30, v24 offset:4928
.LBB120_341:                            ;   in Loop: Header=BB120_3 Depth=1
	s_or_b32 exec_lo, exec_lo, s45
	s_wait_dscnt 0x0
	s_barrier_signal -1
	s_barrier_wait -1
	s_and_saveexec_b32 s45, s15
	s_cbranch_execz .LBB120_343
; %bb.342:                              ;   in Loop: Header=BB120_3 Depth=1
	ds_load_b64 v[24:25], v5 offset:4680
	ds_load_b32 v26, v5 offset:4940
	s_wait_dscnt 0x0
	v_mul_f32_e32 v24, v24, v26
	s_delay_alu instid0(VALU_DEP_1)
	v_mul_f32_e32 v24, v25, v24
	v_add_nc_u32_e64 v25, 0x1000, 0
	ds_store_2addr_b32 v25, v24, v24 offset0:147 offset1:210
.LBB120_343:                            ;   in Loop: Header=BB120_3 Depth=1
	s_or_b32 exec_lo, exec_lo, s45
	v_mov_b32_e32 v24, 0
	s_wait_dscnt 0x0
	s_barrier_signal -1
	s_barrier_wait -1
	s_and_saveexec_b32 s82, s4
	s_cbranch_execz .LBB120_349
; %bb.344:                              ;   in Loop: Header=BB120_3 Depth=1
	ds_load_b32 v24, v36 offset:4176
	ds_load_b32 v25, v31 offset:4160
	s_wait_dscnt 0x0
	v_fma_f32 v24, v24, v25, 0
	s_and_saveexec_b32 s45, s17
	s_cbranch_execnz .LBB120_1221
; %bb.345:                              ;   in Loop: Header=BB120_3 Depth=1
	s_or_b32 exec_lo, exec_lo, s45
	s_and_saveexec_b32 s45, s18
	s_cbranch_execnz .LBB120_1222
.LBB120_346:                            ;   in Loop: Header=BB120_3 Depth=1
	s_or_b32 exec_lo, exec_lo, s45
	s_and_saveexec_b32 s45, s2
	s_cbranch_execz .LBB120_348
.LBB120_347:                            ;   in Loop: Header=BB120_3 Depth=1
	ds_load_b32 v25, v38 offset:4944
	ds_load_b32 v26, v5 offset:4172
	s_wait_dscnt 0x0
	v_fmac_f32_e32 v24, v25, v26
.LBB120_348:                            ;   in Loop: Header=BB120_3 Depth=1
	s_or_b32 exec_lo, exec_lo, s45
	s_delay_alu instid0(VALU_DEP_1)
	v_xor_b32_e32 v24, 0x80000000, v24
.LBB120_349:                            ;   in Loop: Header=BB120_3 Depth=1
	s_or_b32 exec_lo, exec_lo, s82
	s_and_saveexec_b32 s45, s93
	s_cbranch_execz .LBB120_351
; %bb.350:                              ;   in Loop: Header=BB120_3 Depth=1
	ds_load_b32 v25, v5 offset:5200
	s_wait_dscnt 0x0
	v_mul_f32_e32 v24, v24, v25
	ds_store_b32 v35, v24
.LBB120_351:                            ;   in Loop: Header=BB120_3 Depth=1
	s_or_b32 exec_lo, exec_lo, s45
	s_wait_dscnt 0x0
	s_barrier_signal -1
	s_barrier_wait -1
	s_and_saveexec_b32 s45, s94
	s_cbranch_execz .LBB120_353
; %bb.352:                              ;   in Loop: Header=BB120_3 Depth=1
	ds_load_b32 v25, v33 offset:5200
	ds_load_b32 v26, v35
	s_wait_dscnt 0x0
	v_fmac_f32_e32 v24, v25, v26
.LBB120_353:                            ;   in Loop: Header=BB120_3 Depth=1
	s_or_b32 exec_lo, exec_lo, s45
	s_barrier_signal -1
	s_barrier_wait -1
	s_and_saveexec_b32 s45, s95
	s_cbranch_execz .LBB120_355
; %bb.354:                              ;   in Loop: Header=BB120_3 Depth=1
	ds_load_b32 v25, v5 offset:5460
	s_wait_dscnt 0x0
	v_mul_f32_e32 v24, v24, v25
	ds_store_b32 v35, v24
.LBB120_355:                            ;   in Loop: Header=BB120_3 Depth=1
	s_or_b32 exec_lo, exec_lo, s45
	s_wait_dscnt 0x0
	s_barrier_signal -1
	s_barrier_wait -1
	s_and_saveexec_b32 s45, s96
	s_cbranch_execz .LBB120_357
; %bb.356:                              ;   in Loop: Header=BB120_3 Depth=1
	ds_load_b32 v25, v33 offset:5456
	ds_load_b32 v26, v35
	s_wait_dscnt 0x0
	v_fmac_f32_e32 v24, v25, v26
.LBB120_357:                            ;   in Loop: Header=BB120_3 Depth=1
	s_or_b32 exec_lo, exec_lo, s45
	s_barrier_signal -1
	s_barrier_wait -1
	s_and_saveexec_b32 s45, s97
	s_cbranch_execz .LBB120_359
; %bb.358:                              ;   in Loop: Header=BB120_3 Depth=1
	ds_load_b32 v25, v5 offset:5720
	s_wait_dscnt 0x0
	v_mul_f32_e32 v24, v24, v25
	ds_store_b32 v35, v24
.LBB120_359:                            ;   in Loop: Header=BB120_3 Depth=1
	s_or_b32 exec_lo, exec_lo, s45
	s_wait_dscnt 0x0
	s_barrier_signal -1
	s_barrier_wait -1
	s_and_saveexec_b32 s45, s98
	s_cbranch_execz .LBB120_361
; %bb.360:                              ;   in Loop: Header=BB120_3 Depth=1
	ds_load_b32 v25, v5 offset:5724
	ds_load_b32 v26, v35
	s_wait_dscnt 0x0
	v_fmac_f32_e32 v24, v25, v26
.LBB120_361:                            ;   in Loop: Header=BB120_3 Depth=1
	s_or_b32 exec_lo, exec_lo, s45
	s_barrier_signal -1
	s_barrier_wait -1
	s_and_saveexec_b32 s45, s98
	s_cbranch_execz .LBB120_363
; %bb.362:                              ;   in Loop: Header=BB120_3 Depth=1
	ds_load_b32 v25, v5 offset:5980
	s_wait_dscnt 0x0
	v_mul_f32_e32 v24, v24, v25
	ds_store_b32 v35, v24
.LBB120_363:                            ;   in Loop: Header=BB120_3 Depth=1
	s_or_b32 exec_lo, exec_lo, s45
	s_wait_dscnt 0x0
	s_barrier_signal -1
	s_barrier_wait -1
	s_barrier_signal -1
	s_barrier_wait -1
	s_and_saveexec_b32 s45, s4
; %bb.364:                              ;   in Loop: Header=BB120_3 Depth=1
	v_xor_b32_e32 v24, 0x80000000, v24
	ds_store_b32 v36, v24 offset:4176
; %bb.365:                              ;   in Loop: Header=BB120_3 Depth=1
	s_or_b32 exec_lo, exec_lo, s45
	s_wait_dscnt 0x0
	s_barrier_signal -1
	s_barrier_wait -1
	s_barrier_signal -1
	s_barrier_wait -1
	s_and_saveexec_b32 s45, s99
	s_cbranch_execz .LBB120_367
; %bb.366:                              ;   in Loop: Header=BB120_3 Depth=1
	ds_load_b32 v24, v51 offset:4176
	s_wait_dscnt 0x0
	ds_store_b32 v52, v24 offset:5184
	ds_load_b32 v24, v51 offset:4180
	s_wait_dscnt 0x0
	ds_store_b32 v52, v24 offset:5440
	;; [unrolled: 3-line block ×4, first 2 shown]
.LBB120_367:                            ;   in Loop: Header=BB120_3 Depth=1
	s_or_b32 exec_lo, exec_lo, s45
	s_wait_dscnt 0x0
	s_barrier_signal -1
	s_barrier_wait -1
	s_and_saveexec_b32 s45, s15
	s_cbranch_execz .LBB120_369
; %bb.368:                              ;   in Loop: Header=BB120_3 Depth=1
	ds_load_b64 v[24:25], v5 offset:5200
	ds_load_b32 v26, v5 offset:5460
	s_wait_dscnt 0x0
	v_mul_f32_e32 v24, v24, v26
	s_delay_alu instid0(VALU_DEP_1)
	v_mul_f32_e32 v24, v25, v24
	v_add_nc_u32_e64 v25, 0x1400, 0
	ds_store_2addr_b32 v25, v24, v24 offset0:21 offset1:84
.LBB120_369:                            ;   in Loop: Header=BB120_3 Depth=1
	s_or_b32 exec_lo, exec_lo, s45
	v_mov_b32_e32 v24, 0
	s_wait_dscnt 0x0
	s_barrier_signal -1
	s_barrier_wait -1
	s_and_saveexec_b32 s45, s2
	s_cbranch_execz .LBB120_373
; %bb.370:                              ;   in Loop: Header=BB120_3 Depth=1
	ds_load_b32 v24, v65 offset:5208
	ds_load_b32 v25, v29 offset:5200
	s_wait_dscnt 0x0
	v_fma_f32 v24, v24, v25, 0
	s_and_saveexec_b32 s46, s16
	s_cbranch_execz .LBB120_372
; %bb.371:                              ;   in Loop: Header=BB120_3 Depth=1
	ds_load_b32 v25, v52 offset:5464
	ds_load_b32 v26, v5 offset:5204
	s_wait_dscnt 0x0
	v_fmac_f32_e32 v24, v25, v26
.LBB120_372:                            ;   in Loop: Header=BB120_3 Depth=1
	s_or_b32 exec_lo, exec_lo, s46
	s_delay_alu instid0(VALU_DEP_1)
	v_xor_b32_e32 v24, 0x80000000, v24
.LBB120_373:                            ;   in Loop: Header=BB120_3 Depth=1
	s_or_b32 exec_lo, exec_lo, s45
	s_and_saveexec_b32 s45, s90
	s_cbranch_execz .LBB120_375
; %bb.374:                              ;   in Loop: Header=BB120_3 Depth=1
	ds_load_b32 v25, v5 offset:5720
	s_wait_dscnt 0x0
	v_mul_f32_e32 v24, v24, v25
	ds_store_b32 v3, v24
.LBB120_375:                            ;   in Loop: Header=BB120_3 Depth=1
	s_or_b32 exec_lo, exec_lo, s45
	s_wait_dscnt 0x0
	s_barrier_signal -1
	s_barrier_wait -1
	s_and_saveexec_b32 s45, s91
	s_cbranch_execz .LBB120_377
; %bb.376:                              ;   in Loop: Header=BB120_3 Depth=1
	ds_load_b32 v25, v5 offset:5724
	ds_load_b32 v26, v3
	s_wait_dscnt 0x0
	v_fmac_f32_e32 v24, v25, v26
.LBB120_377:                            ;   in Loop: Header=BB120_3 Depth=1
	s_or_b32 exec_lo, exec_lo, s45
	s_barrier_signal -1
	s_barrier_wait -1
	s_and_saveexec_b32 s45, s91
	s_cbranch_execz .LBB120_379
; %bb.378:                              ;   in Loop: Header=BB120_3 Depth=1
	ds_load_b32 v25, v5 offset:5980
	s_wait_dscnt 0x0
	v_mul_f32_e32 v24, v24, v25
	ds_store_b32 v3, v24
.LBB120_379:                            ;   in Loop: Header=BB120_3 Depth=1
	s_or_b32 exec_lo, exec_lo, s45
	s_wait_dscnt 0x0
	s_barrier_signal -1
	s_barrier_wait -1
	s_barrier_signal -1
	s_barrier_wait -1
	s_and_saveexec_b32 s45, s2
; %bb.380:                              ;   in Loop: Header=BB120_3 Depth=1
	v_xor_b32_e32 v24, 0x80000000, v24
	ds_store_b32 v65, v24 offset:5208
; %bb.381:                              ;   in Loop: Header=BB120_3 Depth=1
	s_or_b32 exec_lo, exec_lo, s45
	s_wait_dscnt 0x0
	s_barrier_signal -1
	s_barrier_wait -1
	s_barrier_signal -1
	s_barrier_wait -1
	s_and_saveexec_b32 s45, s92
	s_cbranch_execz .LBB120_383
; %bb.382:                              ;   in Loop: Header=BB120_3 Depth=1
	ds_load_b32 v24, v53 offset:5208
	s_wait_dscnt 0x0
	ds_store_b32 v52, v24 offset:5712
	ds_load_b32 v24, v53 offset:5212
	s_wait_dscnt 0x0
	ds_store_b32 v52, v24 offset:5968
.LBB120_383:                            ;   in Loop: Header=BB120_3 Depth=1
	s_or_b32 exec_lo, exec_lo, s45
	s_wait_dscnt 0x0
	s_barrier_signal -1
	s_barrier_wait -1
	s_and_saveexec_b32 s45, s15
	s_cbranch_execz .LBB120_385
; %bb.384:                              ;   in Loop: Header=BB120_3 Depth=1
	ds_load_b64 v[24:25], v5 offset:5720
	ds_load_b32 v26, v5 offset:5980
	s_wait_dscnt 0x0
	v_mul_f32_e32 v24, v24, v26
	s_delay_alu instid0(VALU_DEP_1)
	v_mul_f32_e32 v24, v25, v24
	v_add_nc_u32_e64 v25, 0x1400, 0
	ds_store_2addr_b32 v25, v24, v24 offset0:151 offset1:214
.LBB120_385:                            ;   in Loop: Header=BB120_3 Depth=1
	s_or_b32 exec_lo, exec_lo, s45
	v_mov_b32_e32 v24, 0
	s_wait_dscnt 0x0
	s_barrier_signal -1
	s_barrier_wait -1
	s_and_saveexec_b32 s82, s5
	s_cbranch_execz .LBB120_395
; %bb.386:                              ;   in Loop: Header=BB120_3 Depth=1
	ds_load_b32 v24, v42 offset:4192
	ds_load_b32 v25, v39 offset:4160
	s_wait_dscnt 0x0
	v_fma_f32 v24, v24, v25, 0
	s_and_saveexec_b32 s45, s19
	s_cbranch_execnz .LBB120_1223
; %bb.387:                              ;   in Loop: Header=BB120_3 Depth=1
	s_or_b32 exec_lo, exec_lo, s45
	s_and_saveexec_b32 s45, s20
	s_cbranch_execnz .LBB120_1224
.LBB120_388:                            ;   in Loop: Header=BB120_3 Depth=1
	s_or_b32 exec_lo, exec_lo, s45
	s_and_saveexec_b32 s45, s21
	s_cbranch_execnz .LBB120_1225
.LBB120_389:                            ;   in Loop: Header=BB120_3 Depth=1
	s_or_b32 exec_lo, exec_lo, s45
	s_and_saveexec_b32 s45, s22
	s_cbranch_execnz .LBB120_1226
.LBB120_390:                            ;   in Loop: Header=BB120_3 Depth=1
	s_or_b32 exec_lo, exec_lo, s45
	s_and_saveexec_b32 s45, s23
	s_cbranch_execnz .LBB120_1227
.LBB120_391:                            ;   in Loop: Header=BB120_3 Depth=1
	s_or_b32 exec_lo, exec_lo, s45
	s_and_saveexec_b32 s45, s4
	s_cbranch_execnz .LBB120_1228
.LBB120_392:                            ;   in Loop: Header=BB120_3 Depth=1
	s_or_b32 exec_lo, exec_lo, s45
	s_and_saveexec_b32 s45, s18
	s_cbranch_execz .LBB120_394
.LBB120_393:                            ;   in Loop: Header=BB120_3 Depth=1
	ds_load_b32 v25, v54 offset:5984
	ds_load_b32 v26, v5 offset:4188
	s_wait_dscnt 0x0
	v_fmac_f32_e32 v24, v25, v26
.LBB120_394:                            ;   in Loop: Header=BB120_3 Depth=1
	s_or_b32 exec_lo, exec_lo, s45
	s_delay_alu instid0(VALU_DEP_1)
	v_xor_b32_e32 v24, 0x80000000, v24
.LBB120_395:                            ;   in Loop: Header=BB120_3 Depth=1
	s_or_b32 exec_lo, exec_lo, s82
	s_and_saveexec_b32 s45, s100
	s_cbranch_execz .LBB120_397
; %bb.396:                              ;   in Loop: Header=BB120_3 Depth=1
	ds_load_b32 v25, v5 offset:6240
	s_wait_dscnt 0x0
	v_mul_f32_e32 v24, v24, v25
	ds_store_b32 v41, v24
.LBB120_397:                            ;   in Loop: Header=BB120_3 Depth=1
	s_or_b32 exec_lo, exec_lo, s45
	s_wait_dscnt 0x0
	s_barrier_signal -1
	s_barrier_wait -1
	s_and_saveexec_b32 s45, s101
	s_cbranch_execz .LBB120_399
; %bb.398:                              ;   in Loop: Header=BB120_3 Depth=1
	ds_load_b32 v25, v40 offset:6240
	ds_load_b32 v26, v41
	s_wait_dscnt 0x0
	v_fmac_f32_e32 v24, v25, v26
.LBB120_399:                            ;   in Loop: Header=BB120_3 Depth=1
	s_or_b32 exec_lo, exec_lo, s45
	s_barrier_signal -1
	s_barrier_wait -1
	s_and_saveexec_b32 s45, s102
	s_cbranch_execz .LBB120_401
; %bb.400:                              ;   in Loop: Header=BB120_3 Depth=1
	ds_load_b32 v25, v5 offset:6500
	s_wait_dscnt 0x0
	v_mul_f32_e32 v24, v24, v25
	ds_store_b32 v41, v24
.LBB120_401:                            ;   in Loop: Header=BB120_3 Depth=1
	s_or_b32 exec_lo, exec_lo, s45
	s_wait_dscnt 0x0
	s_barrier_signal -1
	s_barrier_wait -1
	s_and_saveexec_b32 s45, s103
	s_cbranch_execz .LBB120_403
; %bb.402:                              ;   in Loop: Header=BB120_3 Depth=1
	ds_load_b32 v25, v40 offset:6496
	ds_load_b32 v26, v41
	s_wait_dscnt 0x0
	v_fmac_f32_e32 v24, v25, v26
.LBB120_403:                            ;   in Loop: Header=BB120_3 Depth=1
	s_or_b32 exec_lo, exec_lo, s45
	s_barrier_signal -1
	s_barrier_wait -1
	s_and_saveexec_b32 s45, s104
	s_cbranch_execz .LBB120_405
; %bb.404:                              ;   in Loop: Header=BB120_3 Depth=1
	ds_load_b32 v25, v5 offset:6760
	s_wait_dscnt 0x0
	v_mul_f32_e32 v24, v24, v25
	ds_store_b32 v41, v24
.LBB120_405:                            ;   in Loop: Header=BB120_3 Depth=1
	s_or_b32 exec_lo, exec_lo, s45
	s_wait_dscnt 0x0
	s_barrier_signal -1
	s_barrier_wait -1
	s_and_saveexec_b32 s45, vcc_hi
	s_cbranch_execz .LBB120_407
; %bb.406:                              ;   in Loop: Header=BB120_3 Depth=1
	ds_load_b32 v25, v40 offset:6752
	ds_load_b32 v26, v41
	s_wait_dscnt 0x0
	v_fmac_f32_e32 v24, v25, v26
.LBB120_407:                            ;   in Loop: Header=BB120_3 Depth=1
	s_or_b32 exec_lo, exec_lo, s45
	s_barrier_signal -1
	s_barrier_wait -1
	s_and_saveexec_b32 s45, s36
	s_cbranch_execz .LBB120_409
; %bb.408:                              ;   in Loop: Header=BB120_3 Depth=1
	ds_load_b32 v25, v5 offset:7020
	s_wait_dscnt 0x0
	v_mul_f32_e32 v24, v24, v25
	ds_store_b32 v41, v24
.LBB120_409:                            ;   in Loop: Header=BB120_3 Depth=1
	s_or_b32 exec_lo, exec_lo, s45
	s_wait_dscnt 0x0
	s_barrier_signal -1
	s_barrier_wait -1
	s_and_saveexec_b32 s45, s37
	s_cbranch_execz .LBB120_411
; %bb.410:                              ;   in Loop: Header=BB120_3 Depth=1
	ds_load_b32 v25, v40 offset:7008
	ds_load_b32 v26, v41
	s_wait_dscnt 0x0
	v_fmac_f32_e32 v24, v25, v26
.LBB120_411:                            ;   in Loop: Header=BB120_3 Depth=1
	s_or_b32 exec_lo, exec_lo, s45
	s_barrier_signal -1
	s_barrier_wait -1
	s_and_saveexec_b32 s45, s38
	s_cbranch_execz .LBB120_413
; %bb.412:                              ;   in Loop: Header=BB120_3 Depth=1
	ds_load_b32 v25, v5 offset:7280
	s_wait_dscnt 0x0
	v_mul_f32_e32 v24, v24, v25
	ds_store_b32 v41, v24
.LBB120_413:                            ;   in Loop: Header=BB120_3 Depth=1
	s_or_b32 exec_lo, exec_lo, s45
	s_wait_dscnt 0x0
	s_barrier_signal -1
	s_barrier_wait -1
	s_and_saveexec_b32 s45, s39
	;; [unrolled: 23-line block ×4, first 2 shown]
	s_cbranch_execz .LBB120_423
; %bb.422:                              ;   in Loop: Header=BB120_3 Depth=1
	ds_load_b32 v25, v5 offset:7804
	ds_load_b32 v26, v41
	s_wait_dscnt 0x0
	v_fmac_f32_e32 v24, v25, v26
.LBB120_423:                            ;   in Loop: Header=BB120_3 Depth=1
	s_or_b32 exec_lo, exec_lo, s45
	s_barrier_signal -1
	s_barrier_wait -1
	s_and_saveexec_b32 s45, s43
	s_cbranch_execz .LBB120_425
; %bb.424:                              ;   in Loop: Header=BB120_3 Depth=1
	ds_load_b32 v25, v5 offset:8060
	s_wait_dscnt 0x0
	v_mul_f32_e32 v24, v24, v25
	ds_store_b32 v41, v24
.LBB120_425:                            ;   in Loop: Header=BB120_3 Depth=1
	s_or_b32 exec_lo, exec_lo, s45
	s_wait_dscnt 0x0
	s_barrier_signal -1
	s_barrier_wait -1
	s_barrier_signal -1
	s_barrier_wait -1
	s_and_saveexec_b32 s45, s5
; %bb.426:                              ;   in Loop: Header=BB120_3 Depth=1
	v_xor_b32_e32 v24, 0x80000000, v24
	ds_store_b32 v42, v24 offset:4192
; %bb.427:                              ;   in Loop: Header=BB120_3 Depth=1
	s_or_b32 exec_lo, exec_lo, s45
	s_wait_dscnt 0x0
	s_barrier_signal -1
	s_barrier_wait -1
	s_barrier_signal -1
	s_barrier_wait -1
	s_and_saveexec_b32 s45, s44
	s_cbranch_execz .LBB120_429
; %bb.428:                              ;   in Loop: Header=BB120_3 Depth=1
	ds_load_b32 v24, v55 offset:4192
	s_wait_dscnt 0x0
	ds_store_b32 v56, v24 offset:6208
	ds_load_b32 v24, v55 offset:4196
	s_wait_dscnt 0x0
	ds_store_b32 v56, v24 offset:6464
	;; [unrolled: 3-line block ×8, first 2 shown]
.LBB120_429:                            ;   in Loop: Header=BB120_3 Depth=1
	s_or_b32 exec_lo, exec_lo, s45
	s_wait_dscnt 0x0
	s_barrier_signal -1
	s_barrier_wait -1
	s_and_saveexec_b32 s45, s15
	s_cbranch_execz .LBB120_431
; %bb.430:                              ;   in Loop: Header=BB120_3 Depth=1
	ds_load_b64 v[24:25], v5 offset:6240
	ds_load_b32 v26, v5 offset:6500
	s_wait_dscnt 0x0
	v_mul_f32_e32 v24, v24, v26
	s_delay_alu instid0(VALU_DEP_1)
	v_mul_f32_e32 v24, v25, v24
	v_add_nc_u32_e64 v25, 0x1800, 0
	ds_store_2addr_b32 v25, v24, v24 offset0:25 offset1:88
.LBB120_431:                            ;   in Loop: Header=BB120_3 Depth=1
	s_or_b32 exec_lo, exec_lo, s45
	v_mov_b32_e32 v24, 0
	s_wait_dscnt 0x0
	s_barrier_signal -1
	s_barrier_wait -1
	s_and_saveexec_b32 s45, s2
	s_cbranch_execz .LBB120_435
; %bb.432:                              ;   in Loop: Header=BB120_3 Depth=1
	ds_load_b32 v24, v65 offset:6248
	ds_load_b32 v25, v29 offset:6240
	s_wait_dscnt 0x0
	v_fma_f32 v24, v24, v25, 0
	s_and_saveexec_b32 s46, s16
	s_cbranch_execz .LBB120_434
; %bb.433:                              ;   in Loop: Header=BB120_3 Depth=1
	ds_load_b32 v25, v56 offset:6504
	ds_load_b32 v26, v5 offset:6244
	s_wait_dscnt 0x0
	v_fmac_f32_e32 v24, v25, v26
.LBB120_434:                            ;   in Loop: Header=BB120_3 Depth=1
	s_or_b32 exec_lo, exec_lo, s46
	s_delay_alu instid0(VALU_DEP_1)
	v_xor_b32_e32 v24, 0x80000000, v24
.LBB120_435:                            ;   in Loop: Header=BB120_3 Depth=1
	s_or_b32 exec_lo, exec_lo, s45
	s_and_saveexec_b32 s45, s90
	s_cbranch_execz .LBB120_437
; %bb.436:                              ;   in Loop: Header=BB120_3 Depth=1
	ds_load_b32 v25, v5 offset:6760
	s_wait_dscnt 0x0
	v_mul_f32_e32 v24, v24, v25
	ds_store_b32 v3, v24
.LBB120_437:                            ;   in Loop: Header=BB120_3 Depth=1
	s_or_b32 exec_lo, exec_lo, s45
	s_wait_dscnt 0x0
	s_barrier_signal -1
	s_barrier_wait -1
	s_and_saveexec_b32 s45, s91
	s_cbranch_execz .LBB120_439
; %bb.438:                              ;   in Loop: Header=BB120_3 Depth=1
	ds_load_b32 v25, v5 offset:6764
	ds_load_b32 v26, v3
	s_wait_dscnt 0x0
	v_fmac_f32_e32 v24, v25, v26
.LBB120_439:                            ;   in Loop: Header=BB120_3 Depth=1
	s_or_b32 exec_lo, exec_lo, s45
	s_barrier_signal -1
	s_barrier_wait -1
	s_and_saveexec_b32 s45, s91
	s_cbranch_execz .LBB120_441
; %bb.440:                              ;   in Loop: Header=BB120_3 Depth=1
	ds_load_b32 v25, v5 offset:7020
	s_wait_dscnt 0x0
	v_mul_f32_e32 v24, v24, v25
	ds_store_b32 v3, v24
.LBB120_441:                            ;   in Loop: Header=BB120_3 Depth=1
	s_or_b32 exec_lo, exec_lo, s45
	s_wait_dscnt 0x0
	s_barrier_signal -1
	s_barrier_wait -1
	s_barrier_signal -1
	s_barrier_wait -1
	s_and_saveexec_b32 s45, s2
; %bb.442:                              ;   in Loop: Header=BB120_3 Depth=1
	v_xor_b32_e32 v24, 0x80000000, v24
	ds_store_b32 v65, v24 offset:6248
; %bb.443:                              ;   in Loop: Header=BB120_3 Depth=1
	s_or_b32 exec_lo, exec_lo, s45
	s_wait_dscnt 0x0
	s_barrier_signal -1
	s_barrier_wait -1
	s_barrier_signal -1
	s_barrier_wait -1
	s_and_saveexec_b32 s45, s92
	s_cbranch_execz .LBB120_445
; %bb.444:                              ;   in Loop: Header=BB120_3 Depth=1
	ds_load_b32 v24, v57 offset:6248
	s_wait_dscnt 0x0
	ds_store_b32 v56, v24 offset:6752
	ds_load_b32 v24, v57 offset:6252
	s_wait_dscnt 0x0
	ds_store_b32 v56, v24 offset:7008
.LBB120_445:                            ;   in Loop: Header=BB120_3 Depth=1
	s_or_b32 exec_lo, exec_lo, s45
	s_wait_dscnt 0x0
	s_barrier_signal -1
	s_barrier_wait -1
	s_and_saveexec_b32 s45, s15
	s_cbranch_execz .LBB120_447
; %bb.446:                              ;   in Loop: Header=BB120_3 Depth=1
	ds_load_b64 v[24:25], v5 offset:6760
	ds_load_b32 v26, v5 offset:7020
	s_wait_dscnt 0x0
	v_mul_f32_e32 v24, v24, v26
	s_delay_alu instid0(VALU_DEP_1)
	v_mul_f32_e32 v24, v25, v24
	v_add_nc_u32_e64 v25, 0x1800, 0
	ds_store_2addr_b32 v25, v24, v24 offset0:155 offset1:218
.LBB120_447:                            ;   in Loop: Header=BB120_3 Depth=1
	s_or_b32 exec_lo, exec_lo, s45
	v_mov_b32_e32 v24, 0
	s_wait_dscnt 0x0
	s_barrier_signal -1
	s_barrier_wait -1
	s_and_saveexec_b32 s82, s4
	s_cbranch_execz .LBB120_453
; %bb.448:                              ;   in Loop: Header=BB120_3 Depth=1
	ds_load_b32 v24, v36 offset:6256
	ds_load_b32 v25, v31 offset:6240
	s_wait_dscnt 0x0
	v_fma_f32 v24, v24, v25, 0
	s_and_saveexec_b32 s45, s17
	s_cbranch_execnz .LBB120_1229
; %bb.449:                              ;   in Loop: Header=BB120_3 Depth=1
	s_or_b32 exec_lo, exec_lo, s45
	s_and_saveexec_b32 s45, s18
	s_cbranch_execnz .LBB120_1230
.LBB120_450:                            ;   in Loop: Header=BB120_3 Depth=1
	s_or_b32 exec_lo, exec_lo, s45
	s_and_saveexec_b32 s45, s2
	s_cbranch_execz .LBB120_452
.LBB120_451:                            ;   in Loop: Header=BB120_3 Depth=1
	ds_load_b32 v25, v58 offset:7024
	ds_load_b32 v26, v5 offset:6252
	s_wait_dscnt 0x0
	v_fmac_f32_e32 v24, v25, v26
.LBB120_452:                            ;   in Loop: Header=BB120_3 Depth=1
	s_or_b32 exec_lo, exec_lo, s45
	s_delay_alu instid0(VALU_DEP_1)
	v_xor_b32_e32 v24, 0x80000000, v24
.LBB120_453:                            ;   in Loop: Header=BB120_3 Depth=1
	s_or_b32 exec_lo, exec_lo, s82
	s_and_saveexec_b32 s45, s93
	s_cbranch_execz .LBB120_455
; %bb.454:                              ;   in Loop: Header=BB120_3 Depth=1
	ds_load_b32 v25, v5 offset:7280
	s_wait_dscnt 0x0
	v_mul_f32_e32 v24, v24, v25
	ds_store_b32 v35, v24
.LBB120_455:                            ;   in Loop: Header=BB120_3 Depth=1
	s_or_b32 exec_lo, exec_lo, s45
	s_wait_dscnt 0x0
	s_barrier_signal -1
	s_barrier_wait -1
	s_and_saveexec_b32 s45, s94
	s_cbranch_execz .LBB120_457
; %bb.456:                              ;   in Loop: Header=BB120_3 Depth=1
	ds_load_b32 v25, v33 offset:7280
	ds_load_b32 v26, v35
	s_wait_dscnt 0x0
	v_fmac_f32_e32 v24, v25, v26
.LBB120_457:                            ;   in Loop: Header=BB120_3 Depth=1
	s_or_b32 exec_lo, exec_lo, s45
	s_barrier_signal -1
	s_barrier_wait -1
	s_and_saveexec_b32 s45, s95
	s_cbranch_execz .LBB120_459
; %bb.458:                              ;   in Loop: Header=BB120_3 Depth=1
	ds_load_b32 v25, v5 offset:7540
	s_wait_dscnt 0x0
	v_mul_f32_e32 v24, v24, v25
	ds_store_b32 v35, v24
.LBB120_459:                            ;   in Loop: Header=BB120_3 Depth=1
	s_or_b32 exec_lo, exec_lo, s45
	s_wait_dscnt 0x0
	s_barrier_signal -1
	s_barrier_wait -1
	s_and_saveexec_b32 s45, s96
	s_cbranch_execz .LBB120_461
; %bb.460:                              ;   in Loop: Header=BB120_3 Depth=1
	ds_load_b32 v25, v33 offset:7536
	ds_load_b32 v26, v35
	s_wait_dscnt 0x0
	v_fmac_f32_e32 v24, v25, v26
.LBB120_461:                            ;   in Loop: Header=BB120_3 Depth=1
	s_or_b32 exec_lo, exec_lo, s45
	s_barrier_signal -1
	s_barrier_wait -1
	;; [unrolled: 23-line block ×3, first 2 shown]
	s_and_saveexec_b32 s45, s98
	s_cbranch_execz .LBB120_467
; %bb.466:                              ;   in Loop: Header=BB120_3 Depth=1
	ds_load_b32 v25, v5 offset:8060
	s_wait_dscnt 0x0
	v_mul_f32_e32 v24, v24, v25
	ds_store_b32 v35, v24
.LBB120_467:                            ;   in Loop: Header=BB120_3 Depth=1
	s_or_b32 exec_lo, exec_lo, s45
	s_wait_dscnt 0x0
	s_barrier_signal -1
	s_barrier_wait -1
	s_barrier_signal -1
	s_barrier_wait -1
	s_and_saveexec_b32 s45, s4
; %bb.468:                              ;   in Loop: Header=BB120_3 Depth=1
	v_xor_b32_e32 v24, 0x80000000, v24
	ds_store_b32 v36, v24 offset:6256
; %bb.469:                              ;   in Loop: Header=BB120_3 Depth=1
	s_or_b32 exec_lo, exec_lo, s45
	s_wait_dscnt 0x0
	s_barrier_signal -1
	s_barrier_wait -1
	s_barrier_signal -1
	s_barrier_wait -1
	s_and_saveexec_b32 s45, s99
	s_cbranch_execz .LBB120_471
; %bb.470:                              ;   in Loop: Header=BB120_3 Depth=1
	ds_load_b32 v24, v59 offset:6256
	s_wait_dscnt 0x0
	ds_store_b32 v60, v24 offset:7264
	ds_load_b32 v24, v59 offset:6260
	s_wait_dscnt 0x0
	ds_store_b32 v60, v24 offset:7520
	;; [unrolled: 3-line block ×4, first 2 shown]
.LBB120_471:                            ;   in Loop: Header=BB120_3 Depth=1
	s_or_b32 exec_lo, exec_lo, s45
	s_wait_dscnt 0x0
	s_barrier_signal -1
	s_barrier_wait -1
	s_and_saveexec_b32 s45, s15
	s_cbranch_execz .LBB120_473
; %bb.472:                              ;   in Loop: Header=BB120_3 Depth=1
	ds_load_b64 v[24:25], v5 offset:7280
	ds_load_b32 v26, v5 offset:7540
	s_wait_dscnt 0x0
	v_mul_f32_e32 v24, v24, v26
	s_delay_alu instid0(VALU_DEP_1)
	v_mul_f32_e32 v24, v25, v24
	v_add_nc_u32_e64 v25, 0x1c00, 0
	ds_store_2addr_b32 v25, v24, v24 offset0:29 offset1:92
.LBB120_473:                            ;   in Loop: Header=BB120_3 Depth=1
	s_or_b32 exec_lo, exec_lo, s45
	v_mov_b32_e32 v24, 0
	s_wait_dscnt 0x0
	s_barrier_signal -1
	s_barrier_wait -1
	s_and_saveexec_b32 s45, s2
	s_cbranch_execz .LBB120_477
; %bb.474:                              ;   in Loop: Header=BB120_3 Depth=1
	ds_load_b32 v24, v65 offset:7288
	ds_load_b32 v25, v29 offset:7280
	s_wait_dscnt 0x0
	v_fma_f32 v24, v24, v25, 0
	s_and_saveexec_b32 s46, s16
	s_cbranch_execz .LBB120_476
; %bb.475:                              ;   in Loop: Header=BB120_3 Depth=1
	ds_load_b32 v25, v60 offset:7544
	ds_load_b32 v26, v5 offset:7284
	s_wait_dscnt 0x0
	v_fmac_f32_e32 v24, v25, v26
.LBB120_476:                            ;   in Loop: Header=BB120_3 Depth=1
	s_or_b32 exec_lo, exec_lo, s46
	s_delay_alu instid0(VALU_DEP_1)
	v_xor_b32_e32 v24, 0x80000000, v24
.LBB120_477:                            ;   in Loop: Header=BB120_3 Depth=1
	s_or_b32 exec_lo, exec_lo, s45
	s_and_saveexec_b32 s45, s90
	s_cbranch_execz .LBB120_479
; %bb.478:                              ;   in Loop: Header=BB120_3 Depth=1
	ds_load_b32 v25, v5 offset:7800
	s_wait_dscnt 0x0
	v_mul_f32_e32 v24, v24, v25
	ds_store_b32 v3, v24
.LBB120_479:                            ;   in Loop: Header=BB120_3 Depth=1
	s_or_b32 exec_lo, exec_lo, s45
	s_wait_dscnt 0x0
	s_barrier_signal -1
	s_barrier_wait -1
	s_and_saveexec_b32 s45, s91
	s_cbranch_execz .LBB120_481
; %bb.480:                              ;   in Loop: Header=BB120_3 Depth=1
	ds_load_b32 v25, v5 offset:7804
	ds_load_b32 v26, v3
	s_wait_dscnt 0x0
	v_fmac_f32_e32 v24, v25, v26
.LBB120_481:                            ;   in Loop: Header=BB120_3 Depth=1
	s_or_b32 exec_lo, exec_lo, s45
	s_barrier_signal -1
	s_barrier_wait -1
	s_and_saveexec_b32 s45, s91
	s_cbranch_execz .LBB120_483
; %bb.482:                              ;   in Loop: Header=BB120_3 Depth=1
	ds_load_b32 v25, v5 offset:8060
	s_wait_dscnt 0x0
	v_mul_f32_e32 v24, v24, v25
	ds_store_b32 v3, v24
.LBB120_483:                            ;   in Loop: Header=BB120_3 Depth=1
	s_or_b32 exec_lo, exec_lo, s45
	s_wait_dscnt 0x0
	s_barrier_signal -1
	s_barrier_wait -1
	s_barrier_signal -1
	s_barrier_wait -1
	s_and_saveexec_b32 s45, s2
; %bb.484:                              ;   in Loop: Header=BB120_3 Depth=1
	v_xor_b32_e32 v24, 0x80000000, v24
	ds_store_b32 v65, v24 offset:7288
; %bb.485:                              ;   in Loop: Header=BB120_3 Depth=1
	s_or_b32 exec_lo, exec_lo, s45
	s_wait_dscnt 0x0
	s_barrier_signal -1
	s_barrier_wait -1
	s_barrier_signal -1
	s_barrier_wait -1
	s_and_saveexec_b32 s45, s92
	s_cbranch_execz .LBB120_487
; %bb.486:                              ;   in Loop: Header=BB120_3 Depth=1
	ds_load_b32 v24, v61 offset:7288
	s_wait_dscnt 0x0
	ds_store_b32 v60, v24 offset:7792
	ds_load_b32 v24, v61 offset:7292
	s_wait_dscnt 0x0
	ds_store_b32 v60, v24 offset:8048
.LBB120_487:                            ;   in Loop: Header=BB120_3 Depth=1
	s_or_b32 exec_lo, exec_lo, s45
	s_wait_dscnt 0x0
	s_barrier_signal -1
	s_barrier_wait -1
	s_and_saveexec_b32 s45, s15
	s_cbranch_execz .LBB120_489
; %bb.488:                              ;   in Loop: Header=BB120_3 Depth=1
	ds_load_b64 v[24:25], v5 offset:7800
	ds_load_b32 v26, v5 offset:8060
	s_wait_dscnt 0x0
	v_mul_f32_e32 v24, v24, v26
	s_delay_alu instid0(VALU_DEP_1)
	v_mul_f32_e32 v24, v25, v24
	v_add_nc_u32_e64 v25, 0x1c00, 0
	ds_store_2addr_b32 v25, v24, v24 offset0:159 offset1:222
.LBB120_489:                            ;   in Loop: Header=BB120_3 Depth=1
	s_or_b32 exec_lo, exec_lo, s45
	v_mov_b32_e32 v24, 0
	s_wait_dscnt 0x0
	s_barrier_signal -1
	s_barrier_wait -1
	s_and_saveexec_b32 s82, s7
	s_cbranch_execz .LBB120_551
; %bb.490:                              ;   in Loop: Header=BB120_3 Depth=1
	v_add_nc_u32_e32 v25, v50, v49
	ds_load_b32 v24, v64 offset:128
	ds_load_b32 v26, v25
	s_wait_dscnt 0x0
	v_fma_f32 v24, v24, v26, 0
	s_mov_b32 s45, exec_lo
	v_readlane_b32 s46, v90, 2
	s_and_b32 s46, s45, s46
	s_delay_alu instid0(SALU_CYCLE_1)
	s_mov_b32 exec_lo, s46
	s_cbranch_execz .LBB120_492
; %bb.491:                              ;   in Loop: Header=BB120_3 Depth=1
	ds_load_b32 v26, v64 offset:384
	ds_load_b32 v27, v25 offset:4
	s_wait_dscnt 0x0
	v_fmac_f32_e32 v24, v26, v27
.LBB120_492:                            ;   in Loop: Header=BB120_3 Depth=1
	s_or_b32 exec_lo, exec_lo, s45
	s_delay_alu instid0(SALU_CYCLE_1) | instskip(SKIP_2) | instid1(SALU_CYCLE_1)
	s_mov_b32 s45, exec_lo
	v_readlane_b32 s46, v90, 3
	s_and_b32 s46, s45, s46
	s_mov_b32 exec_lo, s46
	s_cbranch_execz .LBB120_494
; %bb.493:                              ;   in Loop: Header=BB120_3 Depth=1
	ds_load_b32 v26, v64 offset:640
	ds_load_b32 v27, v25 offset:8
	s_wait_dscnt 0x0
	v_fmac_f32_e32 v24, v26, v27
.LBB120_494:                            ;   in Loop: Header=BB120_3 Depth=1
	s_or_b32 exec_lo, exec_lo, s45
	s_delay_alu instid0(SALU_CYCLE_1) | instskip(SKIP_2) | instid1(SALU_CYCLE_1)
	s_mov_b32 s45, exec_lo
	v_readlane_b32 s46, v90, 4
	s_and_b32 s46, s45, s46
	;; [unrolled: 13-line block ×22, first 2 shown]
	s_mov_b32 exec_lo, s46
	s_cbranch_execz .LBB120_536
; %bb.535:                              ;   in Loop: Header=BB120_3 Depth=1
	ds_load_b32 v26, v64 offset:6016
	ds_load_b32 v27, v25 offset:92
	s_wait_dscnt 0x0
	v_fmac_f32_e32 v24, v26, v27
.LBB120_536:                            ;   in Loop: Header=BB120_3 Depth=1
	s_or_b32 exec_lo, exec_lo, s45
	s_and_saveexec_b32 s45, s6
	s_cbranch_execz .LBB120_538
; %bb.537:                              ;   in Loop: Header=BB120_3 Depth=1
	ds_load_b32 v26, v64 offset:6272
	ds_load_b32 v27, v25 offset:96
	s_wait_dscnt 0x0
	v_fmac_f32_e32 v24, v26, v27
.LBB120_538:                            ;   in Loop: Header=BB120_3 Depth=1
	s_or_b32 exec_lo, exec_lo, s45
	s_delay_alu instid0(SALU_CYCLE_1) | instskip(SKIP_2) | instid1(SALU_CYCLE_1)
	s_mov_b32 s45, exec_lo
	v_readlane_b32 s46, v91, 24
	s_and_b32 s46, s45, s46
	s_mov_b32 exec_lo, s46
	s_cbranch_execz .LBB120_540
; %bb.539:                              ;   in Loop: Header=BB120_3 Depth=1
	ds_load_b32 v26, v64 offset:6528
	ds_load_b32 v27, v25 offset:100
	s_wait_dscnt 0x0
	v_fmac_f32_e32 v24, v26, v27
.LBB120_540:                            ;   in Loop: Header=BB120_3 Depth=1
	s_or_b32 exec_lo, exec_lo, s45
	s_delay_alu instid0(SALU_CYCLE_1) | instskip(SKIP_2) | instid1(SALU_CYCLE_1)
	s_mov_b32 s45, exec_lo
	v_readlane_b32 s46, v91, 26
	s_and_b32 s46, s45, s46
	s_mov_b32 exec_lo, s46
	;; [unrolled: 13-line block ×5, first 2 shown]
	s_cbranch_execnz .LBB120_1231
; %bb.547:                              ;   in Loop: Header=BB120_3 Depth=1
	s_or_b32 exec_lo, exec_lo, s45
	s_and_saveexec_b32 s45, s5
	s_cbranch_execnz .LBB120_1232
.LBB120_548:                            ;   in Loop: Header=BB120_3 Depth=1
	s_or_b32 exec_lo, exec_lo, s45
	s_and_saveexec_b32 s45, s22
	s_cbranch_execz .LBB120_550
.LBB120_549:                            ;   in Loop: Header=BB120_3 Depth=1
	ds_load_b32 v25, v30 offset:8064
	ds_load_b32 v26, v5 offset:124
	s_wait_dscnt 0x0
	v_fmac_f32_e32 v24, v25, v26
.LBB120_550:                            ;   in Loop: Header=BB120_3 Depth=1
	s_or_b32 exec_lo, exec_lo, s45
	s_delay_alu instid0(VALU_DEP_1)
	v_xor_b32_e32 v24, 0x80000000, v24
.LBB120_551:                            ;   in Loop: Header=BB120_3 Depth=1
	s_or_b32 exec_lo, exec_lo, s82
	s_delay_alu instid0(SALU_CYCLE_1) | instskip(SKIP_2) | instid1(SALU_CYCLE_1)
	s_mov_b32 s45, exec_lo
	v_readlane_b32 s46, v93, 7
	s_and_b32 s46, s45, s46
	s_mov_b32 exec_lo, s46
	s_cbranch_execz .LBB120_553
; %bb.552:                              ;   in Loop: Header=BB120_3 Depth=1
	ds_load_b32 v25, v5 offset:8320
	s_wait_dscnt 0x0
	v_mul_f32_e32 v24, v24, v25
	ds_store_b32 v62, v24
.LBB120_553:                            ;   in Loop: Header=BB120_3 Depth=1
	s_or_b32 exec_lo, exec_lo, s45
	s_wait_dscnt 0x0
	s_barrier_signal -1
	s_barrier_wait -1
	s_mov_b32 s45, exec_lo
	v_readlane_b32 s46, v93, 8
	s_and_b32 s46, s45, s46
	s_delay_alu instid0(SALU_CYCLE_1)
	s_mov_b32 exec_lo, s46
	s_cbranch_execz .LBB120_555
; %bb.554:                              ;   in Loop: Header=BB120_3 Depth=1
	ds_load_b32 v25, v63 offset:8320
	ds_load_b32 v26, v62
	s_wait_dscnt 0x0
	v_fmac_f32_e32 v24, v25, v26
.LBB120_555:                            ;   in Loop: Header=BB120_3 Depth=1
	s_or_b32 exec_lo, exec_lo, s45
	s_barrier_signal -1
	s_barrier_wait -1
	s_mov_b32 s45, exec_lo
	v_readlane_b32 s46, v93, 9
	s_and_b32 s46, s45, s46
	s_delay_alu instid0(SALU_CYCLE_1)
	s_mov_b32 exec_lo, s46
	s_cbranch_execz .LBB120_557
; %bb.556:                              ;   in Loop: Header=BB120_3 Depth=1
	ds_load_b32 v25, v5 offset:8580
	s_wait_dscnt 0x0
	v_mul_f32_e32 v24, v24, v25
	ds_store_b32 v62, v24
.LBB120_557:                            ;   in Loop: Header=BB120_3 Depth=1
	s_or_b32 exec_lo, exec_lo, s45
	s_wait_dscnt 0x0
	s_barrier_signal -1
	s_barrier_wait -1
	s_mov_b32 s45, exec_lo
	v_readlane_b32 s46, v93, 10
	s_and_b32 s46, s45, s46
	s_delay_alu instid0(SALU_CYCLE_1)
	s_mov_b32 exec_lo, s46
	s_cbranch_execz .LBB120_559
; %bb.558:                              ;   in Loop: Header=BB120_3 Depth=1
	ds_load_b32 v25, v63 offset:8576
	ds_load_b32 v26, v62
	s_wait_dscnt 0x0
	v_fmac_f32_e32 v24, v25, v26
.LBB120_559:                            ;   in Loop: Header=BB120_3 Depth=1
	s_or_b32 exec_lo, exec_lo, s45
	s_barrier_signal -1
	s_barrier_wait -1
	s_mov_b32 s45, exec_lo
	v_readlane_b32 s46, v93, 11
	s_and_b32 s46, s45, s46
	s_delay_alu instid0(SALU_CYCLE_1)
	;; [unrolled: 31-line block ×30, first 2 shown]
	s_mov_b32 exec_lo, s46
	s_cbranch_execz .LBB120_673
; %bb.672:                              ;   in Loop: Header=BB120_3 Depth=1
	ds_load_b32 v25, v5 offset:16120
	s_wait_dscnt 0x0
	v_mul_f32_e32 v24, v24, v25
	ds_store_b32 v62, v24
.LBB120_673:                            ;   in Loop: Header=BB120_3 Depth=1
	s_or_b32 exec_lo, exec_lo, s45
	s_wait_dscnt 0x0
	s_barrier_signal -1
	s_barrier_wait -1
	s_and_saveexec_b32 s45, s14
	s_cbranch_execz .LBB120_675
; %bb.674:                              ;   in Loop: Header=BB120_3 Depth=1
	ds_load_b32 v25, v5 offset:16124
	ds_load_b32 v26, v62
	s_wait_dscnt 0x0
	v_fmac_f32_e32 v24, v25, v26
.LBB120_675:                            ;   in Loop: Header=BB120_3 Depth=1
	s_or_b32 exec_lo, exec_lo, s45
	s_barrier_signal -1
	s_barrier_wait -1
	s_and_saveexec_b32 s45, s14
	s_cbranch_execz .LBB120_677
; %bb.676:                              ;   in Loop: Header=BB120_3 Depth=1
	ds_load_b32 v25, v5 offset:16380
	s_wait_dscnt 0x0
	v_mul_f32_e32 v24, v24, v25
	ds_store_b32 v62, v24
.LBB120_677:                            ;   in Loop: Header=BB120_3 Depth=1
	s_or_b32 exec_lo, exec_lo, s45
	s_wait_dscnt 0x0
	s_barrier_signal -1
	s_barrier_wait -1
	s_barrier_signal -1
	s_barrier_wait -1
	s_and_saveexec_b32 s45, s7
; %bb.678:                              ;   in Loop: Header=BB120_3 Depth=1
	v_xor_b32_e32 v24, 0x80000000, v24
	ds_store_b32 v64, v24 offset:128
; %bb.679:                              ;   in Loop: Header=BB120_3 Depth=1
	s_or_b32 exec_lo, exec_lo, s45
	s_wait_dscnt 0x0
	s_barrier_signal -1
	s_barrier_wait -1
	s_barrier_signal -1
	s_barrier_wait -1
	s_mov_b32 s82, exec_lo
	v_readlane_b32 s45, v91, 4
	s_and_b32 s45, s82, s45
	s_delay_alu instid0(SALU_CYCLE_1)
	s_mov_b32 exec_lo, s45
	s_cbranch_execz .LBB120_681
; %bb.680:                              ;   in Loop: Header=BB120_3 Depth=1
	ds_load_b32 v24, v32 offset:128
	s_wait_dscnt 0x0
	ds_store_b32 v66, v24 offset:8192
	ds_load_b32 v24, v32 offset:132
	s_wait_dscnt 0x0
	ds_store_b32 v66, v24 offset:8448
	;; [unrolled: 3-line block ×32, first 2 shown]
.LBB120_681:                            ;   in Loop: Header=BB120_3 Depth=1
	s_or_b32 exec_lo, exec_lo, s82
	s_wait_dscnt 0x0
	s_barrier_signal -1
	s_barrier_wait -1
	s_and_saveexec_b32 s45, s15
	s_cbranch_execz .LBB120_683
; %bb.682:                              ;   in Loop: Header=BB120_3 Depth=1
	ds_load_b64 v[24:25], v5 offset:8320
	ds_load_b32 v26, v5 offset:8580
	s_wait_dscnt 0x0
	v_mul_f32_e32 v24, v24, v26
	s_delay_alu instid0(VALU_DEP_1)
	v_mul_f32_e32 v24, v25, v24
	v_add_nc_u32_e64 v25, 0x2000, 0
	ds_store_2addr_b32 v25, v24, v24 offset0:33 offset1:96
.LBB120_683:                            ;   in Loop: Header=BB120_3 Depth=1
	s_or_b32 exec_lo, exec_lo, s45
	v_mov_b32_e32 v24, 0
	s_wait_dscnt 0x0
	s_barrier_signal -1
	s_barrier_wait -1
	s_and_saveexec_b32 s45, s2
	s_cbranch_execz .LBB120_687
; %bb.684:                              ;   in Loop: Header=BB120_3 Depth=1
	ds_load_b32 v24, v65 offset:8328
	ds_load_b32 v25, v29 offset:8320
	s_wait_dscnt 0x0
	v_fma_f32 v24, v24, v25, 0
	s_and_saveexec_b32 s46, s16
	s_cbranch_execz .LBB120_686
; %bb.685:                              ;   in Loop: Header=BB120_3 Depth=1
	ds_load_b32 v25, v30 offset:8584
	ds_load_b32 v26, v5 offset:8324
	s_wait_dscnt 0x0
	v_fmac_f32_e32 v24, v25, v26
.LBB120_686:                            ;   in Loop: Header=BB120_3 Depth=1
	s_or_b32 exec_lo, exec_lo, s46
	s_delay_alu instid0(VALU_DEP_1)
	v_xor_b32_e32 v24, 0x80000000, v24
.LBB120_687:                            ;   in Loop: Header=BB120_3 Depth=1
	s_or_b32 exec_lo, exec_lo, s45
	s_and_saveexec_b32 s45, s90
	s_cbranch_execz .LBB120_689
; %bb.688:                              ;   in Loop: Header=BB120_3 Depth=1
	ds_load_b32 v25, v5 offset:8840
	s_wait_dscnt 0x0
	v_mul_f32_e32 v24, v24, v25
	ds_store_b32 v3, v24
.LBB120_689:                            ;   in Loop: Header=BB120_3 Depth=1
	s_or_b32 exec_lo, exec_lo, s45
	s_wait_dscnt 0x0
	s_barrier_signal -1
	s_barrier_wait -1
	s_and_saveexec_b32 s45, s91
	s_cbranch_execz .LBB120_691
; %bb.690:                              ;   in Loop: Header=BB120_3 Depth=1
	ds_load_b32 v25, v5 offset:8844
	ds_load_b32 v26, v3
	s_wait_dscnt 0x0
	v_fmac_f32_e32 v24, v25, v26
.LBB120_691:                            ;   in Loop: Header=BB120_3 Depth=1
	s_or_b32 exec_lo, exec_lo, s45
	s_barrier_signal -1
	s_barrier_wait -1
	s_and_saveexec_b32 s45, s91
	s_cbranch_execz .LBB120_693
; %bb.692:                              ;   in Loop: Header=BB120_3 Depth=1
	ds_load_b32 v25, v5 offset:9100
	s_wait_dscnt 0x0
	v_mul_f32_e32 v24, v24, v25
	ds_store_b32 v3, v24
.LBB120_693:                            ;   in Loop: Header=BB120_3 Depth=1
	s_or_b32 exec_lo, exec_lo, s45
	s_wait_dscnt 0x0
	s_barrier_signal -1
	s_barrier_wait -1
	s_barrier_signal -1
	s_barrier_wait -1
	s_and_saveexec_b32 s45, s2
; %bb.694:                              ;   in Loop: Header=BB120_3 Depth=1
	v_xor_b32_e32 v24, 0x80000000, v24
	ds_store_b32 v65, v24 offset:8328
; %bb.695:                              ;   in Loop: Header=BB120_3 Depth=1
	s_or_b32 exec_lo, exec_lo, s45
	s_wait_dscnt 0x0
	s_barrier_signal -1
	s_barrier_wait -1
	s_barrier_signal -1
	s_barrier_wait -1
	s_and_saveexec_b32 s45, s92
	s_cbranch_execz .LBB120_697
; %bb.696:                              ;   in Loop: Header=BB120_3 Depth=1
	ds_load_b32 v24, v34 offset:8328
	s_wait_dscnt 0x0
	ds_store_b32 v30, v24 offset:8832
	ds_load_b32 v24, v34 offset:8332
	s_wait_dscnt 0x0
	ds_store_b32 v30, v24 offset:9088
.LBB120_697:                            ;   in Loop: Header=BB120_3 Depth=1
	s_or_b32 exec_lo, exec_lo, s45
	s_wait_dscnt 0x0
	s_barrier_signal -1
	s_barrier_wait -1
	s_and_saveexec_b32 s45, s15
	s_cbranch_execz .LBB120_699
; %bb.698:                              ;   in Loop: Header=BB120_3 Depth=1
	ds_load_b64 v[24:25], v5 offset:8840
	ds_load_b32 v26, v5 offset:9100
	s_wait_dscnt 0x0
	v_mul_f32_e32 v24, v24, v26
	s_delay_alu instid0(VALU_DEP_1)
	v_mul_f32_e32 v24, v25, v24
	v_add_nc_u32_e64 v25, 0x2000, 0
	ds_store_2addr_b32 v25, v24, v24 offset0:163 offset1:226
.LBB120_699:                            ;   in Loop: Header=BB120_3 Depth=1
	s_or_b32 exec_lo, exec_lo, s45
	v_mov_b32_e32 v24, 0
	s_wait_dscnt 0x0
	s_barrier_signal -1
	s_barrier_wait -1
	s_and_saveexec_b32 s82, s4
	s_cbranch_execz .LBB120_705
; %bb.700:                              ;   in Loop: Header=BB120_3 Depth=1
	ds_load_b32 v24, v36 offset:8336
	ds_load_b32 v25, v31 offset:8320
	s_wait_dscnt 0x0
	v_fma_f32 v24, v24, v25, 0
	s_and_saveexec_b32 s45, s17
	s_cbranch_execnz .LBB120_1233
; %bb.701:                              ;   in Loop: Header=BB120_3 Depth=1
	s_or_b32 exec_lo, exec_lo, s45
	s_and_saveexec_b32 s45, s18
	s_cbranch_execnz .LBB120_1234
.LBB120_702:                            ;   in Loop: Header=BB120_3 Depth=1
	s_or_b32 exec_lo, exec_lo, s45
	s_and_saveexec_b32 s45, s2
	s_cbranch_execz .LBB120_704
.LBB120_703:                            ;   in Loop: Header=BB120_3 Depth=1
	ds_load_b32 v25, v38 offset:9104
	ds_load_b32 v26, v5 offset:8332
	s_wait_dscnt 0x0
	v_fmac_f32_e32 v24, v25, v26
.LBB120_704:                            ;   in Loop: Header=BB120_3 Depth=1
	s_or_b32 exec_lo, exec_lo, s45
	s_delay_alu instid0(VALU_DEP_1)
	v_xor_b32_e32 v24, 0x80000000, v24
.LBB120_705:                            ;   in Loop: Header=BB120_3 Depth=1
	s_or_b32 exec_lo, exec_lo, s82
	s_and_saveexec_b32 s45, s93
	s_cbranch_execz .LBB120_707
; %bb.706:                              ;   in Loop: Header=BB120_3 Depth=1
	ds_load_b32 v25, v5 offset:9360
	s_wait_dscnt 0x0
	v_mul_f32_e32 v24, v24, v25
	ds_store_b32 v35, v24
.LBB120_707:                            ;   in Loop: Header=BB120_3 Depth=1
	s_or_b32 exec_lo, exec_lo, s45
	s_wait_dscnt 0x0
	s_barrier_signal -1
	s_barrier_wait -1
	s_and_saveexec_b32 s45, s94
	s_cbranch_execz .LBB120_709
; %bb.708:                              ;   in Loop: Header=BB120_3 Depth=1
	ds_load_b32 v25, v33 offset:9360
	ds_load_b32 v26, v35
	s_wait_dscnt 0x0
	v_fmac_f32_e32 v24, v25, v26
.LBB120_709:                            ;   in Loop: Header=BB120_3 Depth=1
	s_or_b32 exec_lo, exec_lo, s45
	s_barrier_signal -1
	s_barrier_wait -1
	s_and_saveexec_b32 s45, s95
	s_cbranch_execz .LBB120_711
; %bb.710:                              ;   in Loop: Header=BB120_3 Depth=1
	ds_load_b32 v25, v5 offset:9620
	s_wait_dscnt 0x0
	v_mul_f32_e32 v24, v24, v25
	ds_store_b32 v35, v24
.LBB120_711:                            ;   in Loop: Header=BB120_3 Depth=1
	s_or_b32 exec_lo, exec_lo, s45
	s_wait_dscnt 0x0
	s_barrier_signal -1
	s_barrier_wait -1
	s_and_saveexec_b32 s45, s96
	s_cbranch_execz .LBB120_713
; %bb.712:                              ;   in Loop: Header=BB120_3 Depth=1
	ds_load_b32 v25, v33 offset:9616
	ds_load_b32 v26, v35
	s_wait_dscnt 0x0
	v_fmac_f32_e32 v24, v25, v26
.LBB120_713:                            ;   in Loop: Header=BB120_3 Depth=1
	s_or_b32 exec_lo, exec_lo, s45
	s_barrier_signal -1
	s_barrier_wait -1
	;; [unrolled: 23-line block ×3, first 2 shown]
	s_and_saveexec_b32 s45, s98
	s_cbranch_execz .LBB120_719
; %bb.718:                              ;   in Loop: Header=BB120_3 Depth=1
	ds_load_b32 v25, v5 offset:10140
	s_wait_dscnt 0x0
	v_mul_f32_e32 v24, v24, v25
	ds_store_b32 v35, v24
.LBB120_719:                            ;   in Loop: Header=BB120_3 Depth=1
	s_or_b32 exec_lo, exec_lo, s45
	s_wait_dscnt 0x0
	s_barrier_signal -1
	s_barrier_wait -1
	s_barrier_signal -1
	s_barrier_wait -1
	s_and_saveexec_b32 s45, s4
; %bb.720:                              ;   in Loop: Header=BB120_3 Depth=1
	v_xor_b32_e32 v24, 0x80000000, v24
	ds_store_b32 v36, v24 offset:8336
; %bb.721:                              ;   in Loop: Header=BB120_3 Depth=1
	s_or_b32 exec_lo, exec_lo, s45
	s_wait_dscnt 0x0
	s_barrier_signal -1
	s_barrier_wait -1
	s_barrier_signal -1
	s_barrier_wait -1
	s_and_saveexec_b32 s45, s99
	s_cbranch_execz .LBB120_723
; %bb.722:                              ;   in Loop: Header=BB120_3 Depth=1
	ds_load_b32 v24, v51 offset:8336
	s_wait_dscnt 0x0
	ds_store_b32 v52, v24 offset:9344
	ds_load_b32 v24, v51 offset:8340
	s_wait_dscnt 0x0
	ds_store_b32 v52, v24 offset:9600
	;; [unrolled: 3-line block ×4, first 2 shown]
.LBB120_723:                            ;   in Loop: Header=BB120_3 Depth=1
	s_or_b32 exec_lo, exec_lo, s45
	s_wait_dscnt 0x0
	s_barrier_signal -1
	s_barrier_wait -1
	s_and_saveexec_b32 s45, s15
	s_cbranch_execz .LBB120_725
; %bb.724:                              ;   in Loop: Header=BB120_3 Depth=1
	ds_load_b64 v[24:25], v5 offset:9360
	ds_load_b32 v26, v5 offset:9620
	s_wait_dscnt 0x0
	v_mul_f32_e32 v24, v24, v26
	s_delay_alu instid0(VALU_DEP_1)
	v_mul_f32_e32 v24, v25, v24
	v_add_nc_u32_e64 v25, 0x2400, 0
	ds_store_2addr_b32 v25, v24, v24 offset0:37 offset1:100
.LBB120_725:                            ;   in Loop: Header=BB120_3 Depth=1
	s_or_b32 exec_lo, exec_lo, s45
	v_mov_b32_e32 v24, 0
	s_wait_dscnt 0x0
	s_barrier_signal -1
	s_barrier_wait -1
	s_and_saveexec_b32 s45, s2
	s_cbranch_execz .LBB120_729
; %bb.726:                              ;   in Loop: Header=BB120_3 Depth=1
	ds_load_b32 v24, v65 offset:9368
	ds_load_b32 v25, v29 offset:9360
	s_wait_dscnt 0x0
	v_fma_f32 v24, v24, v25, 0
	s_and_saveexec_b32 s46, s16
	s_cbranch_execz .LBB120_728
; %bb.727:                              ;   in Loop: Header=BB120_3 Depth=1
	ds_load_b32 v25, v52 offset:9624
	ds_load_b32 v26, v5 offset:9364
	s_wait_dscnt 0x0
	v_fmac_f32_e32 v24, v25, v26
.LBB120_728:                            ;   in Loop: Header=BB120_3 Depth=1
	s_or_b32 exec_lo, exec_lo, s46
	s_delay_alu instid0(VALU_DEP_1)
	v_xor_b32_e32 v24, 0x80000000, v24
.LBB120_729:                            ;   in Loop: Header=BB120_3 Depth=1
	s_or_b32 exec_lo, exec_lo, s45
	s_and_saveexec_b32 s45, s90
	s_cbranch_execz .LBB120_731
; %bb.730:                              ;   in Loop: Header=BB120_3 Depth=1
	ds_load_b32 v25, v5 offset:9880
	s_wait_dscnt 0x0
	v_mul_f32_e32 v24, v24, v25
	ds_store_b32 v3, v24
.LBB120_731:                            ;   in Loop: Header=BB120_3 Depth=1
	s_or_b32 exec_lo, exec_lo, s45
	s_wait_dscnt 0x0
	s_barrier_signal -1
	s_barrier_wait -1
	s_and_saveexec_b32 s45, s91
	s_cbranch_execz .LBB120_733
; %bb.732:                              ;   in Loop: Header=BB120_3 Depth=1
	ds_load_b32 v25, v5 offset:9884
	ds_load_b32 v26, v3
	s_wait_dscnt 0x0
	v_fmac_f32_e32 v24, v25, v26
.LBB120_733:                            ;   in Loop: Header=BB120_3 Depth=1
	s_or_b32 exec_lo, exec_lo, s45
	s_barrier_signal -1
	s_barrier_wait -1
	s_and_saveexec_b32 s45, s91
	s_cbranch_execz .LBB120_735
; %bb.734:                              ;   in Loop: Header=BB120_3 Depth=1
	ds_load_b32 v25, v5 offset:10140
	s_wait_dscnt 0x0
	v_mul_f32_e32 v24, v24, v25
	ds_store_b32 v3, v24
.LBB120_735:                            ;   in Loop: Header=BB120_3 Depth=1
	s_or_b32 exec_lo, exec_lo, s45
	s_wait_dscnt 0x0
	s_barrier_signal -1
	s_barrier_wait -1
	s_barrier_signal -1
	s_barrier_wait -1
	s_and_saveexec_b32 s45, s2
; %bb.736:                              ;   in Loop: Header=BB120_3 Depth=1
	v_xor_b32_e32 v24, 0x80000000, v24
	ds_store_b32 v65, v24 offset:9368
; %bb.737:                              ;   in Loop: Header=BB120_3 Depth=1
	s_or_b32 exec_lo, exec_lo, s45
	s_wait_dscnt 0x0
	s_barrier_signal -1
	s_barrier_wait -1
	s_barrier_signal -1
	s_barrier_wait -1
	s_and_saveexec_b32 s45, s92
	s_cbranch_execz .LBB120_739
; %bb.738:                              ;   in Loop: Header=BB120_3 Depth=1
	ds_load_b32 v24, v53 offset:9368
	s_wait_dscnt 0x0
	ds_store_b32 v52, v24 offset:9872
	ds_load_b32 v24, v53 offset:9372
	s_wait_dscnt 0x0
	ds_store_b32 v52, v24 offset:10128
.LBB120_739:                            ;   in Loop: Header=BB120_3 Depth=1
	s_or_b32 exec_lo, exec_lo, s45
	s_wait_dscnt 0x0
	s_barrier_signal -1
	s_barrier_wait -1
	s_and_saveexec_b32 s45, s15
	s_cbranch_execz .LBB120_741
; %bb.740:                              ;   in Loop: Header=BB120_3 Depth=1
	ds_load_b64 v[24:25], v5 offset:9880
	ds_load_b32 v26, v5 offset:10140
	s_wait_dscnt 0x0
	v_mul_f32_e32 v24, v24, v26
	s_delay_alu instid0(VALU_DEP_1)
	v_mul_f32_e32 v24, v25, v24
	v_add_nc_u32_e64 v25, 0x2400, 0
	ds_store_2addr_b32 v25, v24, v24 offset0:167 offset1:230
.LBB120_741:                            ;   in Loop: Header=BB120_3 Depth=1
	s_or_b32 exec_lo, exec_lo, s45
	v_mov_b32_e32 v24, 0
	s_wait_dscnt 0x0
	s_barrier_signal -1
	s_barrier_wait -1
	s_and_saveexec_b32 s82, s5
	s_cbranch_execz .LBB120_751
; %bb.742:                              ;   in Loop: Header=BB120_3 Depth=1
	ds_load_b32 v24, v42 offset:8352
	ds_load_b32 v25, v39 offset:8320
	s_wait_dscnt 0x0
	v_fma_f32 v24, v24, v25, 0
	s_and_saveexec_b32 s45, s19
	s_cbranch_execnz .LBB120_1235
; %bb.743:                              ;   in Loop: Header=BB120_3 Depth=1
	s_or_b32 exec_lo, exec_lo, s45
	s_and_saveexec_b32 s45, s20
	s_cbranch_execnz .LBB120_1236
.LBB120_744:                            ;   in Loop: Header=BB120_3 Depth=1
	s_or_b32 exec_lo, exec_lo, s45
	s_and_saveexec_b32 s45, s21
	s_cbranch_execnz .LBB120_1237
.LBB120_745:                            ;   in Loop: Header=BB120_3 Depth=1
	s_or_b32 exec_lo, exec_lo, s45
	s_and_saveexec_b32 s45, s22
	s_cbranch_execnz .LBB120_1238
.LBB120_746:                            ;   in Loop: Header=BB120_3 Depth=1
	s_or_b32 exec_lo, exec_lo, s45
	s_and_saveexec_b32 s45, s23
	s_cbranch_execnz .LBB120_1239
.LBB120_747:                            ;   in Loop: Header=BB120_3 Depth=1
	s_or_b32 exec_lo, exec_lo, s45
	s_and_saveexec_b32 s45, s4
	s_cbranch_execnz .LBB120_1240
.LBB120_748:                            ;   in Loop: Header=BB120_3 Depth=1
	s_or_b32 exec_lo, exec_lo, s45
	s_and_saveexec_b32 s45, s18
	s_cbranch_execz .LBB120_750
.LBB120_749:                            ;   in Loop: Header=BB120_3 Depth=1
	ds_load_b32 v25, v54 offset:10144
	ds_load_b32 v26, v5 offset:8348
	s_wait_dscnt 0x0
	v_fmac_f32_e32 v24, v25, v26
.LBB120_750:                            ;   in Loop: Header=BB120_3 Depth=1
	s_or_b32 exec_lo, exec_lo, s45
	s_delay_alu instid0(VALU_DEP_1)
	v_xor_b32_e32 v24, 0x80000000, v24
.LBB120_751:                            ;   in Loop: Header=BB120_3 Depth=1
	s_or_b32 exec_lo, exec_lo, s82
	s_and_saveexec_b32 s45, s100
	s_cbranch_execz .LBB120_753
; %bb.752:                              ;   in Loop: Header=BB120_3 Depth=1
	ds_load_b32 v25, v5 offset:10400
	s_wait_dscnt 0x0
	v_mul_f32_e32 v24, v24, v25
	ds_store_b32 v41, v24
.LBB120_753:                            ;   in Loop: Header=BB120_3 Depth=1
	s_or_b32 exec_lo, exec_lo, s45
	s_wait_dscnt 0x0
	s_barrier_signal -1
	s_barrier_wait -1
	s_and_saveexec_b32 s45, s101
	s_cbranch_execz .LBB120_755
; %bb.754:                              ;   in Loop: Header=BB120_3 Depth=1
	ds_load_b32 v25, v40 offset:10400
	ds_load_b32 v26, v41
	s_wait_dscnt 0x0
	v_fmac_f32_e32 v24, v25, v26
.LBB120_755:                            ;   in Loop: Header=BB120_3 Depth=1
	s_or_b32 exec_lo, exec_lo, s45
	s_barrier_signal -1
	s_barrier_wait -1
	s_and_saveexec_b32 s45, s102
	s_cbranch_execz .LBB120_757
; %bb.756:                              ;   in Loop: Header=BB120_3 Depth=1
	ds_load_b32 v25, v5 offset:10660
	s_wait_dscnt 0x0
	v_mul_f32_e32 v24, v24, v25
	ds_store_b32 v41, v24
.LBB120_757:                            ;   in Loop: Header=BB120_3 Depth=1
	s_or_b32 exec_lo, exec_lo, s45
	s_wait_dscnt 0x0
	s_barrier_signal -1
	s_barrier_wait -1
	s_and_saveexec_b32 s45, s103
	s_cbranch_execz .LBB120_759
; %bb.758:                              ;   in Loop: Header=BB120_3 Depth=1
	ds_load_b32 v25, v40 offset:10656
	ds_load_b32 v26, v41
	s_wait_dscnt 0x0
	v_fmac_f32_e32 v24, v25, v26
.LBB120_759:                            ;   in Loop: Header=BB120_3 Depth=1
	s_or_b32 exec_lo, exec_lo, s45
	s_barrier_signal -1
	s_barrier_wait -1
	s_and_saveexec_b32 s45, s104
	s_cbranch_execz .LBB120_761
; %bb.760:                              ;   in Loop: Header=BB120_3 Depth=1
	ds_load_b32 v25, v5 offset:10920
	s_wait_dscnt 0x0
	v_mul_f32_e32 v24, v24, v25
	ds_store_b32 v41, v24
.LBB120_761:                            ;   in Loop: Header=BB120_3 Depth=1
	s_or_b32 exec_lo, exec_lo, s45
	s_wait_dscnt 0x0
	s_barrier_signal -1
	s_barrier_wait -1
	s_and_saveexec_b32 s45, vcc_hi
	s_cbranch_execz .LBB120_763
; %bb.762:                              ;   in Loop: Header=BB120_3 Depth=1
	ds_load_b32 v25, v40 offset:10912
	ds_load_b32 v26, v41
	s_wait_dscnt 0x0
	v_fmac_f32_e32 v24, v25, v26
.LBB120_763:                            ;   in Loop: Header=BB120_3 Depth=1
	s_or_b32 exec_lo, exec_lo, s45
	s_barrier_signal -1
	s_barrier_wait -1
	s_and_saveexec_b32 s45, s36
	s_cbranch_execz .LBB120_765
; %bb.764:                              ;   in Loop: Header=BB120_3 Depth=1
	ds_load_b32 v25, v5 offset:11180
	s_wait_dscnt 0x0
	v_mul_f32_e32 v24, v24, v25
	ds_store_b32 v41, v24
.LBB120_765:                            ;   in Loop: Header=BB120_3 Depth=1
	s_or_b32 exec_lo, exec_lo, s45
	s_wait_dscnt 0x0
	s_barrier_signal -1
	s_barrier_wait -1
	s_and_saveexec_b32 s45, s37
	s_cbranch_execz .LBB120_767
; %bb.766:                              ;   in Loop: Header=BB120_3 Depth=1
	ds_load_b32 v25, v40 offset:11168
	ds_load_b32 v26, v41
	s_wait_dscnt 0x0
	v_fmac_f32_e32 v24, v25, v26
.LBB120_767:                            ;   in Loop: Header=BB120_3 Depth=1
	s_or_b32 exec_lo, exec_lo, s45
	s_barrier_signal -1
	s_barrier_wait -1
	s_and_saveexec_b32 s45, s38
	s_cbranch_execz .LBB120_769
; %bb.768:                              ;   in Loop: Header=BB120_3 Depth=1
	ds_load_b32 v25, v5 offset:11440
	s_wait_dscnt 0x0
	v_mul_f32_e32 v24, v24, v25
	ds_store_b32 v41, v24
.LBB120_769:                            ;   in Loop: Header=BB120_3 Depth=1
	s_or_b32 exec_lo, exec_lo, s45
	s_wait_dscnt 0x0
	s_barrier_signal -1
	s_barrier_wait -1
	s_and_saveexec_b32 s45, s39
	s_cbranch_execz .LBB120_771
; %bb.770:                              ;   in Loop: Header=BB120_3 Depth=1
	ds_load_b32 v25, v40 offset:11424
	ds_load_b32 v26, v41
	s_wait_dscnt 0x0
	v_fmac_f32_e32 v24, v25, v26
.LBB120_771:                            ;   in Loop: Header=BB120_3 Depth=1
	s_or_b32 exec_lo, exec_lo, s45
	s_barrier_signal -1
	s_barrier_wait -1
	s_and_saveexec_b32 s45, s40
	s_cbranch_execz .LBB120_773
; %bb.772:                              ;   in Loop: Header=BB120_3 Depth=1
	ds_load_b32 v25, v5 offset:11700
	s_wait_dscnt 0x0
	v_mul_f32_e32 v24, v24, v25
	ds_store_b32 v41, v24
.LBB120_773:                            ;   in Loop: Header=BB120_3 Depth=1
	s_or_b32 exec_lo, exec_lo, s45
	s_wait_dscnt 0x0
	s_barrier_signal -1
	s_barrier_wait -1
	s_and_saveexec_b32 s45, s41
	s_cbranch_execz .LBB120_775
; %bb.774:                              ;   in Loop: Header=BB120_3 Depth=1
	ds_load_b32 v25, v40 offset:11680
	ds_load_b32 v26, v41
	s_wait_dscnt 0x0
	v_fmac_f32_e32 v24, v25, v26
.LBB120_775:                            ;   in Loop: Header=BB120_3 Depth=1
	s_or_b32 exec_lo, exec_lo, s45
	s_barrier_signal -1
	s_barrier_wait -1
	s_and_saveexec_b32 s45, s42
	s_cbranch_execz .LBB120_777
; %bb.776:                              ;   in Loop: Header=BB120_3 Depth=1
	ds_load_b32 v25, v5 offset:11960
	s_wait_dscnt 0x0
	v_mul_f32_e32 v24, v24, v25
	ds_store_b32 v41, v24
.LBB120_777:                            ;   in Loop: Header=BB120_3 Depth=1
	s_or_b32 exec_lo, exec_lo, s45
	s_wait_dscnt 0x0
	s_barrier_signal -1
	s_barrier_wait -1
	s_and_saveexec_b32 s45, s43
	s_cbranch_execz .LBB120_779
; %bb.778:                              ;   in Loop: Header=BB120_3 Depth=1
	ds_load_b32 v25, v5 offset:11964
	ds_load_b32 v26, v41
	s_wait_dscnt 0x0
	v_fmac_f32_e32 v24, v25, v26
.LBB120_779:                            ;   in Loop: Header=BB120_3 Depth=1
	s_or_b32 exec_lo, exec_lo, s45
	s_barrier_signal -1
	s_barrier_wait -1
	s_and_saveexec_b32 s45, s43
	s_cbranch_execz .LBB120_781
; %bb.780:                              ;   in Loop: Header=BB120_3 Depth=1
	ds_load_b32 v25, v5 offset:12220
	s_wait_dscnt 0x0
	v_mul_f32_e32 v24, v24, v25
	ds_store_b32 v41, v24
.LBB120_781:                            ;   in Loop: Header=BB120_3 Depth=1
	s_or_b32 exec_lo, exec_lo, s45
	s_wait_dscnt 0x0
	s_barrier_signal -1
	s_barrier_wait -1
	s_barrier_signal -1
	s_barrier_wait -1
	s_and_saveexec_b32 s45, s5
; %bb.782:                              ;   in Loop: Header=BB120_3 Depth=1
	v_xor_b32_e32 v24, 0x80000000, v24
	ds_store_b32 v42, v24 offset:8352
; %bb.783:                              ;   in Loop: Header=BB120_3 Depth=1
	s_or_b32 exec_lo, exec_lo, s45
	s_wait_dscnt 0x0
	s_barrier_signal -1
	s_barrier_wait -1
	s_barrier_signal -1
	s_barrier_wait -1
	s_and_saveexec_b32 s45, s44
	s_cbranch_execz .LBB120_785
; %bb.784:                              ;   in Loop: Header=BB120_3 Depth=1
	ds_load_b32 v24, v55 offset:8352
	s_wait_dscnt 0x0
	ds_store_b32 v56, v24 offset:10368
	ds_load_b32 v24, v55 offset:8356
	s_wait_dscnt 0x0
	ds_store_b32 v56, v24 offset:10624
	;; [unrolled: 3-line block ×8, first 2 shown]
.LBB120_785:                            ;   in Loop: Header=BB120_3 Depth=1
	s_or_b32 exec_lo, exec_lo, s45
	s_wait_dscnt 0x0
	s_barrier_signal -1
	s_barrier_wait -1
	s_and_saveexec_b32 s45, s15
	s_cbranch_execz .LBB120_787
; %bb.786:                              ;   in Loop: Header=BB120_3 Depth=1
	ds_load_b64 v[24:25], v5 offset:10400
	ds_load_b32 v26, v5 offset:10660
	s_wait_dscnt 0x0
	v_mul_f32_e32 v24, v24, v26
	s_delay_alu instid0(VALU_DEP_1)
	v_mul_f32_e32 v24, v25, v24
	v_add_nc_u32_e64 v25, 0x2800, 0
	ds_store_2addr_b32 v25, v24, v24 offset0:41 offset1:104
.LBB120_787:                            ;   in Loop: Header=BB120_3 Depth=1
	s_or_b32 exec_lo, exec_lo, s45
	v_mov_b32_e32 v24, 0
	s_wait_dscnt 0x0
	s_barrier_signal -1
	s_barrier_wait -1
	s_and_saveexec_b32 s45, s2
	s_cbranch_execz .LBB120_791
; %bb.788:                              ;   in Loop: Header=BB120_3 Depth=1
	ds_load_b32 v24, v65 offset:10408
	ds_load_b32 v25, v29 offset:10400
	s_wait_dscnt 0x0
	v_fma_f32 v24, v24, v25, 0
	s_and_saveexec_b32 s46, s16
	s_cbranch_execz .LBB120_790
; %bb.789:                              ;   in Loop: Header=BB120_3 Depth=1
	ds_load_b32 v25, v56 offset:10664
	ds_load_b32 v26, v5 offset:10404
	s_wait_dscnt 0x0
	v_fmac_f32_e32 v24, v25, v26
.LBB120_790:                            ;   in Loop: Header=BB120_3 Depth=1
	s_or_b32 exec_lo, exec_lo, s46
	s_delay_alu instid0(VALU_DEP_1)
	v_xor_b32_e32 v24, 0x80000000, v24
.LBB120_791:                            ;   in Loop: Header=BB120_3 Depth=1
	s_or_b32 exec_lo, exec_lo, s45
	s_and_saveexec_b32 s45, s90
	s_cbranch_execz .LBB120_793
; %bb.792:                              ;   in Loop: Header=BB120_3 Depth=1
	ds_load_b32 v25, v5 offset:10920
	s_wait_dscnt 0x0
	v_mul_f32_e32 v24, v24, v25
	ds_store_b32 v3, v24
.LBB120_793:                            ;   in Loop: Header=BB120_3 Depth=1
	s_or_b32 exec_lo, exec_lo, s45
	s_wait_dscnt 0x0
	s_barrier_signal -1
	s_barrier_wait -1
	s_and_saveexec_b32 s45, s91
	s_cbranch_execz .LBB120_795
; %bb.794:                              ;   in Loop: Header=BB120_3 Depth=1
	ds_load_b32 v25, v5 offset:10924
	ds_load_b32 v26, v3
	s_wait_dscnt 0x0
	v_fmac_f32_e32 v24, v25, v26
.LBB120_795:                            ;   in Loop: Header=BB120_3 Depth=1
	s_or_b32 exec_lo, exec_lo, s45
	s_barrier_signal -1
	s_barrier_wait -1
	s_and_saveexec_b32 s45, s91
	s_cbranch_execz .LBB120_797
; %bb.796:                              ;   in Loop: Header=BB120_3 Depth=1
	ds_load_b32 v25, v5 offset:11180
	s_wait_dscnt 0x0
	v_mul_f32_e32 v24, v24, v25
	ds_store_b32 v3, v24
.LBB120_797:                            ;   in Loop: Header=BB120_3 Depth=1
	s_or_b32 exec_lo, exec_lo, s45
	s_wait_dscnt 0x0
	s_barrier_signal -1
	s_barrier_wait -1
	s_barrier_signal -1
	s_barrier_wait -1
	s_and_saveexec_b32 s45, s2
; %bb.798:                              ;   in Loop: Header=BB120_3 Depth=1
	v_xor_b32_e32 v24, 0x80000000, v24
	ds_store_b32 v65, v24 offset:10408
; %bb.799:                              ;   in Loop: Header=BB120_3 Depth=1
	s_or_b32 exec_lo, exec_lo, s45
	s_wait_dscnt 0x0
	s_barrier_signal -1
	s_barrier_wait -1
	s_barrier_signal -1
	s_barrier_wait -1
	s_and_saveexec_b32 s45, s92
	s_cbranch_execz .LBB120_801
; %bb.800:                              ;   in Loop: Header=BB120_3 Depth=1
	ds_load_b32 v24, v57 offset:10408
	s_wait_dscnt 0x0
	ds_store_b32 v56, v24 offset:10912
	ds_load_b32 v24, v57 offset:10412
	s_wait_dscnt 0x0
	ds_store_b32 v56, v24 offset:11168
.LBB120_801:                            ;   in Loop: Header=BB120_3 Depth=1
	s_or_b32 exec_lo, exec_lo, s45
	s_wait_dscnt 0x0
	s_barrier_signal -1
	s_barrier_wait -1
	s_and_saveexec_b32 s45, s15
	s_cbranch_execz .LBB120_803
; %bb.802:                              ;   in Loop: Header=BB120_3 Depth=1
	ds_load_b64 v[24:25], v5 offset:10920
	ds_load_b32 v26, v5 offset:11180
	s_wait_dscnt 0x0
	v_mul_f32_e32 v24, v24, v26
	s_delay_alu instid0(VALU_DEP_1)
	v_mul_f32_e32 v24, v25, v24
	v_add_nc_u32_e64 v25, 0x2800, 0
	ds_store_2addr_b32 v25, v24, v24 offset0:171 offset1:234
.LBB120_803:                            ;   in Loop: Header=BB120_3 Depth=1
	s_or_b32 exec_lo, exec_lo, s45
	v_mov_b32_e32 v24, 0
	s_wait_dscnt 0x0
	s_barrier_signal -1
	s_barrier_wait -1
	s_and_saveexec_b32 s82, s4
	s_cbranch_execz .LBB120_809
; %bb.804:                              ;   in Loop: Header=BB120_3 Depth=1
	ds_load_b32 v24, v36 offset:10416
	ds_load_b32 v25, v31 offset:10400
	s_wait_dscnt 0x0
	v_fma_f32 v24, v24, v25, 0
	s_and_saveexec_b32 s45, s17
	s_cbranch_execnz .LBB120_1241
; %bb.805:                              ;   in Loop: Header=BB120_3 Depth=1
	s_or_b32 exec_lo, exec_lo, s45
	s_and_saveexec_b32 s45, s18
	s_cbranch_execnz .LBB120_1242
.LBB120_806:                            ;   in Loop: Header=BB120_3 Depth=1
	s_or_b32 exec_lo, exec_lo, s45
	s_and_saveexec_b32 s45, s2
	s_cbranch_execz .LBB120_808
.LBB120_807:                            ;   in Loop: Header=BB120_3 Depth=1
	ds_load_b32 v25, v58 offset:11184
	ds_load_b32 v26, v5 offset:10412
	s_wait_dscnt 0x0
	v_fmac_f32_e32 v24, v25, v26
.LBB120_808:                            ;   in Loop: Header=BB120_3 Depth=1
	s_or_b32 exec_lo, exec_lo, s45
	s_delay_alu instid0(VALU_DEP_1)
	v_xor_b32_e32 v24, 0x80000000, v24
.LBB120_809:                            ;   in Loop: Header=BB120_3 Depth=1
	s_or_b32 exec_lo, exec_lo, s82
	s_and_saveexec_b32 s45, s93
	s_cbranch_execz .LBB120_811
; %bb.810:                              ;   in Loop: Header=BB120_3 Depth=1
	ds_load_b32 v25, v5 offset:11440
	s_wait_dscnt 0x0
	v_mul_f32_e32 v24, v24, v25
	ds_store_b32 v35, v24
.LBB120_811:                            ;   in Loop: Header=BB120_3 Depth=1
	s_or_b32 exec_lo, exec_lo, s45
	s_wait_dscnt 0x0
	s_barrier_signal -1
	s_barrier_wait -1
	s_and_saveexec_b32 s45, s94
	s_cbranch_execz .LBB120_813
; %bb.812:                              ;   in Loop: Header=BB120_3 Depth=1
	ds_load_b32 v25, v33 offset:11440
	ds_load_b32 v26, v35
	s_wait_dscnt 0x0
	v_fmac_f32_e32 v24, v25, v26
.LBB120_813:                            ;   in Loop: Header=BB120_3 Depth=1
	s_or_b32 exec_lo, exec_lo, s45
	s_barrier_signal -1
	s_barrier_wait -1
	s_and_saveexec_b32 s45, s95
	s_cbranch_execz .LBB120_815
; %bb.814:                              ;   in Loop: Header=BB120_3 Depth=1
	ds_load_b32 v25, v5 offset:11700
	s_wait_dscnt 0x0
	v_mul_f32_e32 v24, v24, v25
	ds_store_b32 v35, v24
.LBB120_815:                            ;   in Loop: Header=BB120_3 Depth=1
	s_or_b32 exec_lo, exec_lo, s45
	s_wait_dscnt 0x0
	s_barrier_signal -1
	s_barrier_wait -1
	s_and_saveexec_b32 s45, s96
	s_cbranch_execz .LBB120_817
; %bb.816:                              ;   in Loop: Header=BB120_3 Depth=1
	ds_load_b32 v25, v33 offset:11696
	ds_load_b32 v26, v35
	s_wait_dscnt 0x0
	v_fmac_f32_e32 v24, v25, v26
.LBB120_817:                            ;   in Loop: Header=BB120_3 Depth=1
	s_or_b32 exec_lo, exec_lo, s45
	s_barrier_signal -1
	s_barrier_wait -1
	;; [unrolled: 23-line block ×3, first 2 shown]
	s_and_saveexec_b32 s45, s98
	s_cbranch_execz .LBB120_823
; %bb.822:                              ;   in Loop: Header=BB120_3 Depth=1
	ds_load_b32 v25, v5 offset:12220
	s_wait_dscnt 0x0
	v_mul_f32_e32 v24, v24, v25
	ds_store_b32 v35, v24
.LBB120_823:                            ;   in Loop: Header=BB120_3 Depth=1
	s_or_b32 exec_lo, exec_lo, s45
	s_wait_dscnt 0x0
	s_barrier_signal -1
	s_barrier_wait -1
	s_barrier_signal -1
	s_barrier_wait -1
	s_and_saveexec_b32 s45, s4
; %bb.824:                              ;   in Loop: Header=BB120_3 Depth=1
	v_xor_b32_e32 v24, 0x80000000, v24
	ds_store_b32 v36, v24 offset:10416
; %bb.825:                              ;   in Loop: Header=BB120_3 Depth=1
	s_or_b32 exec_lo, exec_lo, s45
	s_wait_dscnt 0x0
	s_barrier_signal -1
	s_barrier_wait -1
	s_barrier_signal -1
	s_barrier_wait -1
	s_and_saveexec_b32 s45, s99
	s_cbranch_execz .LBB120_827
; %bb.826:                              ;   in Loop: Header=BB120_3 Depth=1
	ds_load_b32 v24, v59 offset:10416
	s_wait_dscnt 0x0
	ds_store_b32 v60, v24 offset:11424
	ds_load_b32 v24, v59 offset:10420
	s_wait_dscnt 0x0
	ds_store_b32 v60, v24 offset:11680
	;; [unrolled: 3-line block ×4, first 2 shown]
.LBB120_827:                            ;   in Loop: Header=BB120_3 Depth=1
	s_or_b32 exec_lo, exec_lo, s45
	s_wait_dscnt 0x0
	s_barrier_signal -1
	s_barrier_wait -1
	s_and_saveexec_b32 s45, s15
	s_cbranch_execz .LBB120_829
; %bb.828:                              ;   in Loop: Header=BB120_3 Depth=1
	ds_load_b64 v[24:25], v5 offset:11440
	ds_load_b32 v26, v5 offset:11700
	s_wait_dscnt 0x0
	v_mul_f32_e32 v24, v24, v26
	s_delay_alu instid0(VALU_DEP_1)
	v_mul_f32_e32 v24, v25, v24
	v_add_nc_u32_e64 v25, 0x2c00, 0
	ds_store_2addr_b32 v25, v24, v24 offset0:45 offset1:108
.LBB120_829:                            ;   in Loop: Header=BB120_3 Depth=1
	s_or_b32 exec_lo, exec_lo, s45
	v_mov_b32_e32 v24, 0
	s_wait_dscnt 0x0
	s_barrier_signal -1
	s_barrier_wait -1
	s_and_saveexec_b32 s45, s2
	s_cbranch_execz .LBB120_833
; %bb.830:                              ;   in Loop: Header=BB120_3 Depth=1
	ds_load_b32 v24, v65 offset:11448
	ds_load_b32 v25, v29 offset:11440
	s_wait_dscnt 0x0
	v_fma_f32 v24, v24, v25, 0
	s_and_saveexec_b32 s46, s16
	s_cbranch_execz .LBB120_832
; %bb.831:                              ;   in Loop: Header=BB120_3 Depth=1
	ds_load_b32 v25, v60 offset:11704
	ds_load_b32 v26, v5 offset:11444
	s_wait_dscnt 0x0
	v_fmac_f32_e32 v24, v25, v26
.LBB120_832:                            ;   in Loop: Header=BB120_3 Depth=1
	s_or_b32 exec_lo, exec_lo, s46
	s_delay_alu instid0(VALU_DEP_1)
	v_xor_b32_e32 v24, 0x80000000, v24
.LBB120_833:                            ;   in Loop: Header=BB120_3 Depth=1
	s_or_b32 exec_lo, exec_lo, s45
	s_and_saveexec_b32 s45, s90
	s_cbranch_execz .LBB120_835
; %bb.834:                              ;   in Loop: Header=BB120_3 Depth=1
	ds_load_b32 v25, v5 offset:11960
	s_wait_dscnt 0x0
	v_mul_f32_e32 v24, v24, v25
	ds_store_b32 v3, v24
.LBB120_835:                            ;   in Loop: Header=BB120_3 Depth=1
	s_or_b32 exec_lo, exec_lo, s45
	s_wait_dscnt 0x0
	s_barrier_signal -1
	s_barrier_wait -1
	s_and_saveexec_b32 s45, s91
	s_cbranch_execz .LBB120_837
; %bb.836:                              ;   in Loop: Header=BB120_3 Depth=1
	ds_load_b32 v25, v5 offset:11964
	ds_load_b32 v26, v3
	s_wait_dscnt 0x0
	v_fmac_f32_e32 v24, v25, v26
.LBB120_837:                            ;   in Loop: Header=BB120_3 Depth=1
	s_or_b32 exec_lo, exec_lo, s45
	s_barrier_signal -1
	s_barrier_wait -1
	s_and_saveexec_b32 s45, s91
	s_cbranch_execz .LBB120_839
; %bb.838:                              ;   in Loop: Header=BB120_3 Depth=1
	ds_load_b32 v25, v5 offset:12220
	s_wait_dscnt 0x0
	v_mul_f32_e32 v24, v24, v25
	ds_store_b32 v3, v24
.LBB120_839:                            ;   in Loop: Header=BB120_3 Depth=1
	s_or_b32 exec_lo, exec_lo, s45
	s_wait_dscnt 0x0
	s_barrier_signal -1
	s_barrier_wait -1
	s_barrier_signal -1
	s_barrier_wait -1
	s_and_saveexec_b32 s45, s2
; %bb.840:                              ;   in Loop: Header=BB120_3 Depth=1
	v_xor_b32_e32 v24, 0x80000000, v24
	ds_store_b32 v65, v24 offset:11448
; %bb.841:                              ;   in Loop: Header=BB120_3 Depth=1
	s_or_b32 exec_lo, exec_lo, s45
	s_wait_dscnt 0x0
	s_barrier_signal -1
	s_barrier_wait -1
	s_barrier_signal -1
	s_barrier_wait -1
	s_and_saveexec_b32 s45, s92
	s_cbranch_execz .LBB120_843
; %bb.842:                              ;   in Loop: Header=BB120_3 Depth=1
	ds_load_b32 v24, v61 offset:11448
	s_wait_dscnt 0x0
	ds_store_b32 v60, v24 offset:11952
	ds_load_b32 v24, v61 offset:11452
	s_wait_dscnt 0x0
	ds_store_b32 v60, v24 offset:12208
.LBB120_843:                            ;   in Loop: Header=BB120_3 Depth=1
	s_or_b32 exec_lo, exec_lo, s45
	s_wait_dscnt 0x0
	s_barrier_signal -1
	s_barrier_wait -1
	s_and_saveexec_b32 s45, s15
	s_cbranch_execz .LBB120_845
; %bb.844:                              ;   in Loop: Header=BB120_3 Depth=1
	ds_load_b64 v[24:25], v5 offset:11960
	ds_load_b32 v26, v5 offset:12220
	s_wait_dscnt 0x0
	v_mul_f32_e32 v24, v24, v26
	s_delay_alu instid0(VALU_DEP_1)
	v_mul_f32_e32 v24, v25, v24
	v_add_nc_u32_e64 v25, 0x2c00, 0
	ds_store_2addr_b32 v25, v24, v24 offset0:175 offset1:238
.LBB120_845:                            ;   in Loop: Header=BB120_3 Depth=1
	s_or_b32 exec_lo, exec_lo, s45
	v_mov_b32_e32 v24, 0
	s_wait_dscnt 0x0
	s_barrier_signal -1
	s_barrier_wait -1
	s_and_saveexec_b32 s82, s6
	s_cbranch_execz .LBB120_873
; %bb.846:                              ;   in Loop: Header=BB120_3 Depth=1
	ds_load_b32 v24, v47 offset:8384
	ds_load_b32 v25, v44 offset:8320
	s_wait_dscnt 0x0
	v_fma_f32 v24, v24, v25, 0
	s_mov_b32 s45, exec_lo
	v_readlane_b32 s46, v91, 23
	s_and_b32 s46, s45, s46
	s_delay_alu instid0(SALU_CYCLE_1)
	s_mov_b32 exec_lo, s46
	s_cbranch_execz .LBB120_848
; %bb.847:                              ;   in Loop: Header=BB120_3 Depth=1
	ds_load_b32 v25, v48 offset:8640
	ds_load_b32 v26, v44 offset:8324
	s_wait_dscnt 0x0
	v_fmac_f32_e32 v24, v25, v26
.LBB120_848:                            ;   in Loop: Header=BB120_3 Depth=1
	s_or_b32 exec_lo, exec_lo, s45
	s_delay_alu instid0(SALU_CYCLE_1) | instskip(SKIP_2) | instid1(SALU_CYCLE_1)
	s_mov_b32 s45, exec_lo
	v_readlane_b32 s46, v91, 24
	s_and_b32 s46, s45, s46
	s_mov_b32 exec_lo, s46
	s_cbranch_execz .LBB120_850
; %bb.849:                              ;   in Loop: Header=BB120_3 Depth=1
	ds_load_b32 v25, v48 offset:8896
	ds_load_b32 v26, v44 offset:8328
	s_wait_dscnt 0x0
	v_fmac_f32_e32 v24, v25, v26
.LBB120_850:                            ;   in Loop: Header=BB120_3 Depth=1
	s_or_b32 exec_lo, exec_lo, s45
	s_delay_alu instid0(SALU_CYCLE_1) | instskip(SKIP_2) | instid1(SALU_CYCLE_1)
	s_mov_b32 s45, exec_lo
	v_readlane_b32 s46, v91, 25
	s_and_b32 s46, s45, s46
	;; [unrolled: 13-line block ×10, first 2 shown]
	s_mov_b32 exec_lo, s46
	s_cbranch_execnz .LBB120_1243
; %bb.867:                              ;   in Loop: Header=BB120_3 Depth=1
	s_or_b32 exec_lo, exec_lo, s45
	s_and_saveexec_b32 s45, s5
	s_cbranch_execnz .LBB120_1244
.LBB120_868:                            ;   in Loop: Header=BB120_3 Depth=1
	s_or_b32 exec_lo, exec_lo, s45
	s_and_saveexec_b32 s45, s20
	s_cbranch_execnz .LBB120_1245
.LBB120_869:                            ;   in Loop: Header=BB120_3 Depth=1
	s_or_b32 exec_lo, exec_lo, s45
	s_and_saveexec_b32 s45, s22
	s_cbranch_execnz .LBB120_1246
.LBB120_870:                            ;   in Loop: Header=BB120_3 Depth=1
	s_or_b32 exec_lo, exec_lo, s45
	s_and_saveexec_b32 s45, s4
	s_cbranch_execz .LBB120_872
.LBB120_871:                            ;   in Loop: Header=BB120_3 Depth=1
	ds_load_b32 v25, v30 offset:12224
	ds_load_b32 v26, v5 offset:8380
	s_wait_dscnt 0x0
	v_fmac_f32_e32 v24, v25, v26
.LBB120_872:                            ;   in Loop: Header=BB120_3 Depth=1
	s_or_b32 exec_lo, exec_lo, s45
	s_delay_alu instid0(VALU_DEP_1)
	v_xor_b32_e32 v24, 0x80000000, v24
.LBB120_873:                            ;   in Loop: Header=BB120_3 Depth=1
	s_or_b32 exec_lo, exec_lo, s82
	s_delay_alu instid0(SALU_CYCLE_1) | instskip(SKIP_2) | instid1(SALU_CYCLE_1)
	s_mov_b32 s45, exec_lo
	v_readlane_b32 s46, v93, 3
	s_and_b32 s46, s45, s46
	s_mov_b32 exec_lo, s46
	s_cbranch_execz .LBB120_875
; %bb.874:                              ;   in Loop: Header=BB120_3 Depth=1
	ds_load_b32 v25, v5 offset:12480
	s_wait_dscnt 0x0
	v_mul_f32_e32 v24, v24, v25
	ds_store_b32 v46, v24
.LBB120_875:                            ;   in Loop: Header=BB120_3 Depth=1
	s_or_b32 exec_lo, exec_lo, s45
	s_wait_dscnt 0x0
	s_barrier_signal -1
	s_barrier_wait -1
	s_mov_b32 s45, exec_lo
	v_readlane_b32 s46, v93, 4
	s_and_b32 s46, s45, s46
	s_delay_alu instid0(SALU_CYCLE_1)
	s_mov_b32 exec_lo, s46
	s_cbranch_execz .LBB120_877
; %bb.876:                              ;   in Loop: Header=BB120_3 Depth=1
	ds_load_b32 v25, v45 offset:12480
	ds_load_b32 v26, v46
	s_wait_dscnt 0x0
	v_fmac_f32_e32 v24, v25, v26
.LBB120_877:                            ;   in Loop: Header=BB120_3 Depth=1
	s_or_b32 exec_lo, exec_lo, s45
	s_barrier_signal -1
	s_barrier_wait -1
	s_mov_b32 s45, exec_lo
	v_readlane_b32 s46, v93, 5
	s_and_b32 s46, s45, s46
	s_delay_alu instid0(SALU_CYCLE_1)
	s_mov_b32 exec_lo, s46
	s_cbranch_execz .LBB120_879
; %bb.878:                              ;   in Loop: Header=BB120_3 Depth=1
	ds_load_b32 v25, v5 offset:12740
	s_wait_dscnt 0x0
	v_mul_f32_e32 v24, v24, v25
	ds_store_b32 v46, v24
.LBB120_879:                            ;   in Loop: Header=BB120_3 Depth=1
	s_or_b32 exec_lo, exec_lo, s45
	s_wait_dscnt 0x0
	s_barrier_signal -1
	s_barrier_wait -1
	s_mov_b32 s45, exec_lo
	v_readlane_b32 s46, v93, 6
	s_and_b32 s46, s45, s46
	s_delay_alu instid0(SALU_CYCLE_1)
	s_mov_b32 exec_lo, s46
	s_cbranch_execz .LBB120_881
; %bb.880:                              ;   in Loop: Header=BB120_3 Depth=1
	ds_load_b32 v25, v45 offset:12736
	ds_load_b32 v26, v46
	s_wait_dscnt 0x0
	v_fmac_f32_e32 v24, v25, v26
.LBB120_881:                            ;   in Loop: Header=BB120_3 Depth=1
	s_or_b32 exec_lo, exec_lo, s45
	s_barrier_signal -1
	s_barrier_wait -1
	s_and_saveexec_b32 s45, s49
	s_cbranch_execz .LBB120_883
; %bb.882:                              ;   in Loop: Header=BB120_3 Depth=1
	ds_load_b32 v25, v5 offset:13000
	s_wait_dscnt 0x0
	v_mul_f32_e32 v24, v24, v25
	ds_store_b32 v46, v24
.LBB120_883:                            ;   in Loop: Header=BB120_3 Depth=1
	s_or_b32 exec_lo, exec_lo, s45
	s_wait_dscnt 0x0
	s_barrier_signal -1
	s_barrier_wait -1
	s_and_saveexec_b32 s45, s50
	s_cbranch_execz .LBB120_885
; %bb.884:                              ;   in Loop: Header=BB120_3 Depth=1
	ds_load_b32 v25, v45 offset:12992
	ds_load_b32 v26, v46
	s_wait_dscnt 0x0
	v_fmac_f32_e32 v24, v25, v26
.LBB120_885:                            ;   in Loop: Header=BB120_3 Depth=1
	s_or_b32 exec_lo, exec_lo, s45
	s_barrier_signal -1
	s_barrier_wait -1
	s_and_saveexec_b32 s45, s51
	s_cbranch_execz .LBB120_887
; %bb.886:                              ;   in Loop: Header=BB120_3 Depth=1
	ds_load_b32 v25, v5 offset:13260
	s_wait_dscnt 0x0
	v_mul_f32_e32 v24, v24, v25
	ds_store_b32 v46, v24
.LBB120_887:                            ;   in Loop: Header=BB120_3 Depth=1
	s_or_b32 exec_lo, exec_lo, s45
	s_wait_dscnt 0x0
	s_barrier_signal -1
	s_barrier_wait -1
	s_and_saveexec_b32 s45, s52
	;; [unrolled: 23-line block ×13, first 2 shown]
	s_cbranch_execz .LBB120_933
; %bb.932:                              ;   in Loop: Header=BB120_3 Depth=1
	ds_load_b32 v25, v5 offset:16124
	ds_load_b32 v26, v46
	s_wait_dscnt 0x0
	v_fmac_f32_e32 v24, v25, v26
.LBB120_933:                            ;   in Loop: Header=BB120_3 Depth=1
	s_or_b32 exec_lo, exec_lo, s45
	s_barrier_signal -1
	s_barrier_wait -1
	s_and_saveexec_b32 s45, s31
	s_cbranch_execz .LBB120_935
; %bb.934:                              ;   in Loop: Header=BB120_3 Depth=1
	ds_load_b32 v25, v5 offset:16380
	s_wait_dscnt 0x0
	v_mul_f32_e32 v24, v24, v25
	ds_store_b32 v46, v24
.LBB120_935:                            ;   in Loop: Header=BB120_3 Depth=1
	s_or_b32 exec_lo, exec_lo, s45
	s_wait_dscnt 0x0
	s_barrier_signal -1
	s_barrier_wait -1
	s_barrier_signal -1
	s_barrier_wait -1
	s_and_saveexec_b32 s45, s6
; %bb.936:                              ;   in Loop: Header=BB120_3 Depth=1
	v_xor_b32_e32 v24, 0x80000000, v24
	ds_store_b32 v47, v24 offset:8384
; %bb.937:                              ;   in Loop: Header=BB120_3 Depth=1
	s_or_b32 exec_lo, exec_lo, s45
	s_wait_dscnt 0x0
	s_barrier_signal -1
	s_barrier_wait -1
	s_barrier_signal -1
	s_barrier_wait -1
	s_and_saveexec_b32 s45, s34
	s_cbranch_execz .LBB120_939
; %bb.938:                              ;   in Loop: Header=BB120_3 Depth=1
	ds_load_b32 v24, v34 offset:8384
	s_wait_dscnt 0x0
	ds_store_b32 v38, v24 offset:12416
	ds_load_b32 v24, v34 offset:8388
	s_wait_dscnt 0x0
	ds_store_b32 v38, v24 offset:12672
	;; [unrolled: 3-line block ×16, first 2 shown]
.LBB120_939:                            ;   in Loop: Header=BB120_3 Depth=1
	s_or_b32 exec_lo, exec_lo, s45
	s_wait_dscnt 0x0
	s_barrier_signal -1
	s_barrier_wait -1
	s_and_saveexec_b32 s45, s15
	s_cbranch_execz .LBB120_941
; %bb.940:                              ;   in Loop: Header=BB120_3 Depth=1
	ds_load_b64 v[24:25], v5 offset:12480
	ds_load_b32 v26, v5 offset:12740
	s_wait_dscnt 0x0
	v_mul_f32_e32 v24, v24, v26
	s_delay_alu instid0(VALU_DEP_1)
	v_mul_f32_e32 v24, v25, v24
	v_add_nc_u32_e64 v25, 0x3000, 0
	ds_store_2addr_b32 v25, v24, v24 offset0:49 offset1:112
.LBB120_941:                            ;   in Loop: Header=BB120_3 Depth=1
	s_or_b32 exec_lo, exec_lo, s45
	v_mov_b32_e32 v24, 0
	s_wait_dscnt 0x0
	s_barrier_signal -1
	s_barrier_wait -1
	s_and_saveexec_b32 s45, s2
	s_cbranch_execz .LBB120_945
; %bb.942:                              ;   in Loop: Header=BB120_3 Depth=1
	ds_load_b32 v24, v65 offset:12488
	ds_load_b32 v25, v29 offset:12480
	s_wait_dscnt 0x0
	v_fma_f32 v24, v24, v25, 0
	s_and_saveexec_b32 s46, s16
	s_cbranch_execz .LBB120_944
; %bb.943:                              ;   in Loop: Header=BB120_3 Depth=1
	ds_load_b32 v25, v30 offset:12744
	ds_load_b32 v26, v5 offset:12484
	s_wait_dscnt 0x0
	v_fmac_f32_e32 v24, v25, v26
.LBB120_944:                            ;   in Loop: Header=BB120_3 Depth=1
	s_or_b32 exec_lo, exec_lo, s46
	s_delay_alu instid0(VALU_DEP_1)
	v_xor_b32_e32 v24, 0x80000000, v24
.LBB120_945:                            ;   in Loop: Header=BB120_3 Depth=1
	s_or_b32 exec_lo, exec_lo, s45
	s_and_saveexec_b32 s45, s90
	s_cbranch_execz .LBB120_947
; %bb.946:                              ;   in Loop: Header=BB120_3 Depth=1
	ds_load_b32 v25, v5 offset:13000
	s_wait_dscnt 0x0
	v_mul_f32_e32 v24, v24, v25
	ds_store_b32 v3, v24
.LBB120_947:                            ;   in Loop: Header=BB120_3 Depth=1
	s_or_b32 exec_lo, exec_lo, s45
	s_wait_dscnt 0x0
	s_barrier_signal -1
	s_barrier_wait -1
	s_and_saveexec_b32 s45, s91
	s_cbranch_execz .LBB120_949
; %bb.948:                              ;   in Loop: Header=BB120_3 Depth=1
	ds_load_b32 v25, v5 offset:13004
	ds_load_b32 v26, v3
	s_wait_dscnt 0x0
	v_fmac_f32_e32 v24, v25, v26
.LBB120_949:                            ;   in Loop: Header=BB120_3 Depth=1
	s_or_b32 exec_lo, exec_lo, s45
	s_barrier_signal -1
	s_barrier_wait -1
	s_and_saveexec_b32 s45, s91
	s_cbranch_execz .LBB120_951
; %bb.950:                              ;   in Loop: Header=BB120_3 Depth=1
	ds_load_b32 v25, v5 offset:13260
	s_wait_dscnt 0x0
	v_mul_f32_e32 v24, v24, v25
	ds_store_b32 v3, v24
.LBB120_951:                            ;   in Loop: Header=BB120_3 Depth=1
	s_or_b32 exec_lo, exec_lo, s45
	s_wait_dscnt 0x0
	s_barrier_signal -1
	s_barrier_wait -1
	s_barrier_signal -1
	s_barrier_wait -1
	s_and_saveexec_b32 s45, s2
; %bb.952:                              ;   in Loop: Header=BB120_3 Depth=1
	v_xor_b32_e32 v24, 0x80000000, v24
	ds_store_b32 v65, v24 offset:12488
; %bb.953:                              ;   in Loop: Header=BB120_3 Depth=1
	s_or_b32 exec_lo, exec_lo, s45
	s_wait_dscnt 0x0
	s_barrier_signal -1
	s_barrier_wait -1
	s_barrier_signal -1
	s_barrier_wait -1
	s_and_saveexec_b32 s45, s92
	s_cbranch_execz .LBB120_955
; %bb.954:                              ;   in Loop: Header=BB120_3 Depth=1
	ds_load_b32 v24, v34 offset:12488
	s_wait_dscnt 0x0
	ds_store_b32 v30, v24 offset:12992
	ds_load_b32 v24, v34 offset:12492
	s_wait_dscnt 0x0
	ds_store_b32 v30, v24 offset:13248
.LBB120_955:                            ;   in Loop: Header=BB120_3 Depth=1
	s_or_b32 exec_lo, exec_lo, s45
	s_wait_dscnt 0x0
	s_barrier_signal -1
	s_barrier_wait -1
	s_and_saveexec_b32 s45, s15
	s_cbranch_execz .LBB120_957
; %bb.956:                              ;   in Loop: Header=BB120_3 Depth=1
	ds_load_b64 v[24:25], v5 offset:13000
	ds_load_b32 v26, v5 offset:13260
	s_wait_dscnt 0x0
	v_mul_f32_e32 v24, v24, v26
	s_delay_alu instid0(VALU_DEP_1)
	v_mul_f32_e32 v24, v25, v24
	v_add_nc_u32_e64 v25, 0x3000, 0
	ds_store_2addr_b32 v25, v24, v24 offset0:179 offset1:242
.LBB120_957:                            ;   in Loop: Header=BB120_3 Depth=1
	s_or_b32 exec_lo, exec_lo, s45
	v_mov_b32_e32 v24, 0
	s_wait_dscnt 0x0
	s_barrier_signal -1
	s_barrier_wait -1
	s_and_saveexec_b32 s82, s4
	s_cbranch_execz .LBB120_963
; %bb.958:                              ;   in Loop: Header=BB120_3 Depth=1
	ds_load_b32 v24, v36 offset:12496
	ds_load_b32 v25, v31 offset:12480
	s_wait_dscnt 0x0
	v_fma_f32 v24, v24, v25, 0
	s_and_saveexec_b32 s45, s17
	s_cbranch_execnz .LBB120_1247
; %bb.959:                              ;   in Loop: Header=BB120_3 Depth=1
	s_or_b32 exec_lo, exec_lo, s45
	s_and_saveexec_b32 s45, s18
	s_cbranch_execnz .LBB120_1248
.LBB120_960:                            ;   in Loop: Header=BB120_3 Depth=1
	s_or_b32 exec_lo, exec_lo, s45
	s_and_saveexec_b32 s45, s2
	s_cbranch_execz .LBB120_962
.LBB120_961:                            ;   in Loop: Header=BB120_3 Depth=1
	ds_load_b32 v25, v38 offset:13264
	ds_load_b32 v26, v5 offset:12492
	s_wait_dscnt 0x0
	v_fmac_f32_e32 v24, v25, v26
.LBB120_962:                            ;   in Loop: Header=BB120_3 Depth=1
	s_or_b32 exec_lo, exec_lo, s45
	s_delay_alu instid0(VALU_DEP_1)
	v_xor_b32_e32 v24, 0x80000000, v24
.LBB120_963:                            ;   in Loop: Header=BB120_3 Depth=1
	s_or_b32 exec_lo, exec_lo, s82
	s_and_saveexec_b32 s45, s93
	s_cbranch_execz .LBB120_965
; %bb.964:                              ;   in Loop: Header=BB120_3 Depth=1
	ds_load_b32 v25, v5 offset:13520
	s_wait_dscnt 0x0
	v_mul_f32_e32 v24, v24, v25
	ds_store_b32 v35, v24
.LBB120_965:                            ;   in Loop: Header=BB120_3 Depth=1
	s_or_b32 exec_lo, exec_lo, s45
	s_wait_dscnt 0x0
	s_barrier_signal -1
	s_barrier_wait -1
	s_and_saveexec_b32 s45, s94
	s_cbranch_execz .LBB120_967
; %bb.966:                              ;   in Loop: Header=BB120_3 Depth=1
	ds_load_b32 v25, v33 offset:13520
	ds_load_b32 v26, v35
	s_wait_dscnt 0x0
	v_fmac_f32_e32 v24, v25, v26
.LBB120_967:                            ;   in Loop: Header=BB120_3 Depth=1
	s_or_b32 exec_lo, exec_lo, s45
	s_barrier_signal -1
	s_barrier_wait -1
	s_and_saveexec_b32 s45, s95
	s_cbranch_execz .LBB120_969
; %bb.968:                              ;   in Loop: Header=BB120_3 Depth=1
	ds_load_b32 v25, v5 offset:13780
	s_wait_dscnt 0x0
	v_mul_f32_e32 v24, v24, v25
	ds_store_b32 v35, v24
.LBB120_969:                            ;   in Loop: Header=BB120_3 Depth=1
	s_or_b32 exec_lo, exec_lo, s45
	s_wait_dscnt 0x0
	s_barrier_signal -1
	s_barrier_wait -1
	s_and_saveexec_b32 s45, s96
	s_cbranch_execz .LBB120_971
; %bb.970:                              ;   in Loop: Header=BB120_3 Depth=1
	ds_load_b32 v25, v33 offset:13776
	ds_load_b32 v26, v35
	s_wait_dscnt 0x0
	v_fmac_f32_e32 v24, v25, v26
.LBB120_971:                            ;   in Loop: Header=BB120_3 Depth=1
	s_or_b32 exec_lo, exec_lo, s45
	s_barrier_signal -1
	s_barrier_wait -1
	;; [unrolled: 23-line block ×3, first 2 shown]
	s_and_saveexec_b32 s45, s98
	s_cbranch_execz .LBB120_977
; %bb.976:                              ;   in Loop: Header=BB120_3 Depth=1
	ds_load_b32 v25, v5 offset:14300
	s_wait_dscnt 0x0
	v_mul_f32_e32 v24, v24, v25
	ds_store_b32 v35, v24
.LBB120_977:                            ;   in Loop: Header=BB120_3 Depth=1
	s_or_b32 exec_lo, exec_lo, s45
	s_wait_dscnt 0x0
	s_barrier_signal -1
	s_barrier_wait -1
	s_barrier_signal -1
	s_barrier_wait -1
	s_and_saveexec_b32 s45, s4
; %bb.978:                              ;   in Loop: Header=BB120_3 Depth=1
	v_xor_b32_e32 v24, 0x80000000, v24
	ds_store_b32 v36, v24 offset:12496
; %bb.979:                              ;   in Loop: Header=BB120_3 Depth=1
	s_or_b32 exec_lo, exec_lo, s45
	s_wait_dscnt 0x0
	s_barrier_signal -1
	s_barrier_wait -1
	s_barrier_signal -1
	s_barrier_wait -1
	s_and_saveexec_b32 s45, s99
	s_cbranch_execz .LBB120_981
; %bb.980:                              ;   in Loop: Header=BB120_3 Depth=1
	ds_load_b32 v24, v51 offset:12496
	s_wait_dscnt 0x0
	ds_store_b32 v52, v24 offset:13504
	ds_load_b32 v24, v51 offset:12500
	s_wait_dscnt 0x0
	ds_store_b32 v52, v24 offset:13760
	;; [unrolled: 3-line block ×4, first 2 shown]
.LBB120_981:                            ;   in Loop: Header=BB120_3 Depth=1
	s_or_b32 exec_lo, exec_lo, s45
	s_wait_dscnt 0x0
	s_barrier_signal -1
	s_barrier_wait -1
	s_and_saveexec_b32 s45, s15
	s_cbranch_execz .LBB120_983
; %bb.982:                              ;   in Loop: Header=BB120_3 Depth=1
	ds_load_b64 v[24:25], v5 offset:13520
	ds_load_b32 v26, v5 offset:13780
	s_wait_dscnt 0x0
	v_mul_f32_e32 v24, v24, v26
	s_delay_alu instid0(VALU_DEP_1)
	v_mul_f32_e32 v24, v25, v24
	v_add_nc_u32_e64 v25, 0x3400, 0
	ds_store_2addr_b32 v25, v24, v24 offset0:53 offset1:116
.LBB120_983:                            ;   in Loop: Header=BB120_3 Depth=1
	s_or_b32 exec_lo, exec_lo, s45
	v_mov_b32_e32 v24, 0
	s_wait_dscnt 0x0
	s_barrier_signal -1
	s_barrier_wait -1
	s_and_saveexec_b32 s45, s2
	s_cbranch_execz .LBB120_987
; %bb.984:                              ;   in Loop: Header=BB120_3 Depth=1
	ds_load_b32 v24, v65 offset:13528
	ds_load_b32 v25, v29 offset:13520
	s_wait_dscnt 0x0
	v_fma_f32 v24, v24, v25, 0
	s_and_saveexec_b32 s46, s16
	s_cbranch_execz .LBB120_986
; %bb.985:                              ;   in Loop: Header=BB120_3 Depth=1
	ds_load_b32 v25, v52 offset:13784
	ds_load_b32 v26, v5 offset:13524
	s_wait_dscnt 0x0
	v_fmac_f32_e32 v24, v25, v26
.LBB120_986:                            ;   in Loop: Header=BB120_3 Depth=1
	s_or_b32 exec_lo, exec_lo, s46
	s_delay_alu instid0(VALU_DEP_1)
	v_xor_b32_e32 v24, 0x80000000, v24
.LBB120_987:                            ;   in Loop: Header=BB120_3 Depth=1
	s_or_b32 exec_lo, exec_lo, s45
	s_and_saveexec_b32 s45, s90
	s_cbranch_execz .LBB120_989
; %bb.988:                              ;   in Loop: Header=BB120_3 Depth=1
	ds_load_b32 v25, v5 offset:14040
	s_wait_dscnt 0x0
	v_mul_f32_e32 v24, v24, v25
	ds_store_b32 v3, v24
.LBB120_989:                            ;   in Loop: Header=BB120_3 Depth=1
	s_or_b32 exec_lo, exec_lo, s45
	s_wait_dscnt 0x0
	s_barrier_signal -1
	s_barrier_wait -1
	s_and_saveexec_b32 s45, s91
	s_cbranch_execz .LBB120_991
; %bb.990:                              ;   in Loop: Header=BB120_3 Depth=1
	ds_load_b32 v25, v5 offset:14044
	ds_load_b32 v26, v3
	s_wait_dscnt 0x0
	v_fmac_f32_e32 v24, v25, v26
.LBB120_991:                            ;   in Loop: Header=BB120_3 Depth=1
	s_or_b32 exec_lo, exec_lo, s45
	s_barrier_signal -1
	s_barrier_wait -1
	s_and_saveexec_b32 s45, s91
	s_cbranch_execz .LBB120_993
; %bb.992:                              ;   in Loop: Header=BB120_3 Depth=1
	ds_load_b32 v25, v5 offset:14300
	s_wait_dscnt 0x0
	v_mul_f32_e32 v24, v24, v25
	ds_store_b32 v3, v24
.LBB120_993:                            ;   in Loop: Header=BB120_3 Depth=1
	s_or_b32 exec_lo, exec_lo, s45
	s_wait_dscnt 0x0
	s_barrier_signal -1
	s_barrier_wait -1
	s_barrier_signal -1
	s_barrier_wait -1
	s_and_saveexec_b32 s45, s2
; %bb.994:                              ;   in Loop: Header=BB120_3 Depth=1
	v_xor_b32_e32 v24, 0x80000000, v24
	ds_store_b32 v65, v24 offset:13528
; %bb.995:                              ;   in Loop: Header=BB120_3 Depth=1
	s_or_b32 exec_lo, exec_lo, s45
	s_wait_dscnt 0x0
	s_barrier_signal -1
	s_barrier_wait -1
	s_barrier_signal -1
	s_barrier_wait -1
	s_and_saveexec_b32 s45, s92
	s_cbranch_execz .LBB120_997
; %bb.996:                              ;   in Loop: Header=BB120_3 Depth=1
	ds_load_b32 v24, v53 offset:13528
	s_wait_dscnt 0x0
	ds_store_b32 v52, v24 offset:14032
	ds_load_b32 v24, v53 offset:13532
	s_wait_dscnt 0x0
	ds_store_b32 v52, v24 offset:14288
.LBB120_997:                            ;   in Loop: Header=BB120_3 Depth=1
	s_or_b32 exec_lo, exec_lo, s45
	s_wait_dscnt 0x0
	s_barrier_signal -1
	s_barrier_wait -1
	s_and_saveexec_b32 s45, s15
	s_cbranch_execz .LBB120_999
; %bb.998:                              ;   in Loop: Header=BB120_3 Depth=1
	ds_load_b64 v[24:25], v5 offset:14040
	ds_load_b32 v26, v5 offset:14300
	s_wait_dscnt 0x0
	v_mul_f32_e32 v24, v24, v26
	s_delay_alu instid0(VALU_DEP_1)
	v_mul_f32_e32 v24, v25, v24
	v_add_nc_u32_e64 v25, 0x3400, 0
	ds_store_2addr_b32 v25, v24, v24 offset0:183 offset1:246
.LBB120_999:                            ;   in Loop: Header=BB120_3 Depth=1
	s_or_b32 exec_lo, exec_lo, s45
	v_mov_b32_e32 v24, 0
	s_wait_dscnt 0x0
	s_barrier_signal -1
	s_barrier_wait -1
	s_and_saveexec_b32 s82, s5
	s_cbranch_execz .LBB120_1009
; %bb.1000:                             ;   in Loop: Header=BB120_3 Depth=1
	ds_load_b32 v24, v42 offset:12512
	ds_load_b32 v25, v39 offset:12480
	s_wait_dscnt 0x0
	v_fma_f32 v24, v24, v25, 0
	s_and_saveexec_b32 s45, s19
	s_cbranch_execnz .LBB120_1249
; %bb.1001:                             ;   in Loop: Header=BB120_3 Depth=1
	s_or_b32 exec_lo, exec_lo, s45
	s_and_saveexec_b32 s45, s20
	s_cbranch_execnz .LBB120_1250
.LBB120_1002:                           ;   in Loop: Header=BB120_3 Depth=1
	s_or_b32 exec_lo, exec_lo, s45
	s_and_saveexec_b32 s45, s21
	s_cbranch_execnz .LBB120_1251
.LBB120_1003:                           ;   in Loop: Header=BB120_3 Depth=1
	s_or_b32 exec_lo, exec_lo, s45
	s_and_saveexec_b32 s45, s22
	s_cbranch_execnz .LBB120_1252
.LBB120_1004:                           ;   in Loop: Header=BB120_3 Depth=1
	s_or_b32 exec_lo, exec_lo, s45
	s_and_saveexec_b32 s45, s23
	s_cbranch_execnz .LBB120_1253
.LBB120_1005:                           ;   in Loop: Header=BB120_3 Depth=1
	s_or_b32 exec_lo, exec_lo, s45
	s_and_saveexec_b32 s45, s4
	s_cbranch_execnz .LBB120_1254
.LBB120_1006:                           ;   in Loop: Header=BB120_3 Depth=1
	s_or_b32 exec_lo, exec_lo, s45
	s_and_saveexec_b32 s45, s18
	s_cbranch_execz .LBB120_1008
.LBB120_1007:                           ;   in Loop: Header=BB120_3 Depth=1
	ds_load_b32 v25, v54 offset:14304
	ds_load_b32 v26, v5 offset:12508
	s_wait_dscnt 0x0
	v_fmac_f32_e32 v24, v25, v26
.LBB120_1008:                           ;   in Loop: Header=BB120_3 Depth=1
	s_or_b32 exec_lo, exec_lo, s45
	s_delay_alu instid0(VALU_DEP_1)
	v_xor_b32_e32 v24, 0x80000000, v24
.LBB120_1009:                           ;   in Loop: Header=BB120_3 Depth=1
	s_or_b32 exec_lo, exec_lo, s82
	s_and_saveexec_b32 s45, s100
	s_cbranch_execz .LBB120_1011
; %bb.1010:                             ;   in Loop: Header=BB120_3 Depth=1
	ds_load_b32 v25, v5 offset:14560
	s_wait_dscnt 0x0
	v_mul_f32_e32 v24, v24, v25
	ds_store_b32 v41, v24
.LBB120_1011:                           ;   in Loop: Header=BB120_3 Depth=1
	s_or_b32 exec_lo, exec_lo, s45
	s_wait_dscnt 0x0
	s_barrier_signal -1
	s_barrier_wait -1
	s_and_saveexec_b32 s45, s101
	s_cbranch_execz .LBB120_1013
; %bb.1012:                             ;   in Loop: Header=BB120_3 Depth=1
	ds_load_b32 v25, v40 offset:14560
	ds_load_b32 v26, v41
	s_wait_dscnt 0x0
	v_fmac_f32_e32 v24, v25, v26
.LBB120_1013:                           ;   in Loop: Header=BB120_3 Depth=1
	s_or_b32 exec_lo, exec_lo, s45
	s_barrier_signal -1
	s_barrier_wait -1
	s_and_saveexec_b32 s45, s102
	s_cbranch_execz .LBB120_1015
; %bb.1014:                             ;   in Loop: Header=BB120_3 Depth=1
	ds_load_b32 v25, v5 offset:14820
	s_wait_dscnt 0x0
	v_mul_f32_e32 v24, v24, v25
	ds_store_b32 v41, v24
.LBB120_1015:                           ;   in Loop: Header=BB120_3 Depth=1
	s_or_b32 exec_lo, exec_lo, s45
	s_wait_dscnt 0x0
	s_barrier_signal -1
	s_barrier_wait -1
	s_and_saveexec_b32 s45, s103
	s_cbranch_execz .LBB120_1017
; %bb.1016:                             ;   in Loop: Header=BB120_3 Depth=1
	ds_load_b32 v25, v40 offset:14816
	ds_load_b32 v26, v41
	s_wait_dscnt 0x0
	v_fmac_f32_e32 v24, v25, v26
.LBB120_1017:                           ;   in Loop: Header=BB120_3 Depth=1
	s_or_b32 exec_lo, exec_lo, s45
	s_barrier_signal -1
	s_barrier_wait -1
	s_and_saveexec_b32 s45, s104
	s_cbranch_execz .LBB120_1019
; %bb.1018:                             ;   in Loop: Header=BB120_3 Depth=1
	ds_load_b32 v25, v5 offset:15080
	s_wait_dscnt 0x0
	v_mul_f32_e32 v24, v24, v25
	ds_store_b32 v41, v24
.LBB120_1019:                           ;   in Loop: Header=BB120_3 Depth=1
	s_or_b32 exec_lo, exec_lo, s45
	s_wait_dscnt 0x0
	s_barrier_signal -1
	s_barrier_wait -1
	s_and_saveexec_b32 s45, vcc_hi
	s_cbranch_execz .LBB120_1021
; %bb.1020:                             ;   in Loop: Header=BB120_3 Depth=1
	ds_load_b32 v25, v40 offset:15072
	ds_load_b32 v26, v41
	s_wait_dscnt 0x0
	v_fmac_f32_e32 v24, v25, v26
.LBB120_1021:                           ;   in Loop: Header=BB120_3 Depth=1
	s_or_b32 exec_lo, exec_lo, s45
	s_barrier_signal -1
	s_barrier_wait -1
	s_and_saveexec_b32 s45, s36
	s_cbranch_execz .LBB120_1023
; %bb.1022:                             ;   in Loop: Header=BB120_3 Depth=1
	ds_load_b32 v25, v5 offset:15340
	s_wait_dscnt 0x0
	v_mul_f32_e32 v24, v24, v25
	ds_store_b32 v41, v24
.LBB120_1023:                           ;   in Loop: Header=BB120_3 Depth=1
	s_or_b32 exec_lo, exec_lo, s45
	s_wait_dscnt 0x0
	s_barrier_signal -1
	s_barrier_wait -1
	s_and_saveexec_b32 s45, s37
	s_cbranch_execz .LBB120_1025
; %bb.1024:                             ;   in Loop: Header=BB120_3 Depth=1
	ds_load_b32 v25, v40 offset:15328
	ds_load_b32 v26, v41
	s_wait_dscnt 0x0
	v_fmac_f32_e32 v24, v25, v26
.LBB120_1025:                           ;   in Loop: Header=BB120_3 Depth=1
	s_or_b32 exec_lo, exec_lo, s45
	s_barrier_signal -1
	s_barrier_wait -1
	s_and_saveexec_b32 s45, s38
	s_cbranch_execz .LBB120_1027
; %bb.1026:                             ;   in Loop: Header=BB120_3 Depth=1
	ds_load_b32 v25, v5 offset:15600
	s_wait_dscnt 0x0
	v_mul_f32_e32 v24, v24, v25
	ds_store_b32 v41, v24
.LBB120_1027:                           ;   in Loop: Header=BB120_3 Depth=1
	s_or_b32 exec_lo, exec_lo, s45
	s_wait_dscnt 0x0
	s_barrier_signal -1
	s_barrier_wait -1
	s_and_saveexec_b32 s45, s39
	s_cbranch_execz .LBB120_1029
; %bb.1028:                             ;   in Loop: Header=BB120_3 Depth=1
	ds_load_b32 v25, v40 offset:15584
	ds_load_b32 v26, v41
	s_wait_dscnt 0x0
	v_fmac_f32_e32 v24, v25, v26
.LBB120_1029:                           ;   in Loop: Header=BB120_3 Depth=1
	s_or_b32 exec_lo, exec_lo, s45
	s_barrier_signal -1
	s_barrier_wait -1
	s_and_saveexec_b32 s45, s40
	s_cbranch_execz .LBB120_1031
; %bb.1030:                             ;   in Loop: Header=BB120_3 Depth=1
	ds_load_b32 v25, v5 offset:15860
	s_wait_dscnt 0x0
	v_mul_f32_e32 v24, v24, v25
	ds_store_b32 v41, v24
.LBB120_1031:                           ;   in Loop: Header=BB120_3 Depth=1
	s_or_b32 exec_lo, exec_lo, s45
	s_wait_dscnt 0x0
	s_barrier_signal -1
	s_barrier_wait -1
	s_and_saveexec_b32 s45, s41
	s_cbranch_execz .LBB120_1033
; %bb.1032:                             ;   in Loop: Header=BB120_3 Depth=1
	ds_load_b32 v25, v40 offset:15840
	ds_load_b32 v26, v41
	s_wait_dscnt 0x0
	v_fmac_f32_e32 v24, v25, v26
.LBB120_1033:                           ;   in Loop: Header=BB120_3 Depth=1
	s_or_b32 exec_lo, exec_lo, s45
	s_barrier_signal -1
	s_barrier_wait -1
	s_and_saveexec_b32 s45, s42
	s_cbranch_execz .LBB120_1035
; %bb.1034:                             ;   in Loop: Header=BB120_3 Depth=1
	ds_load_b32 v25, v5 offset:16120
	s_wait_dscnt 0x0
	v_mul_f32_e32 v24, v24, v25
	ds_store_b32 v41, v24
.LBB120_1035:                           ;   in Loop: Header=BB120_3 Depth=1
	s_or_b32 exec_lo, exec_lo, s45
	s_wait_dscnt 0x0
	s_barrier_signal -1
	s_barrier_wait -1
	s_and_saveexec_b32 s45, s43
	s_cbranch_execz .LBB120_1037
; %bb.1036:                             ;   in Loop: Header=BB120_3 Depth=1
	ds_load_b32 v25, v5 offset:16124
	ds_load_b32 v26, v41
	s_wait_dscnt 0x0
	v_fmac_f32_e32 v24, v25, v26
.LBB120_1037:                           ;   in Loop: Header=BB120_3 Depth=1
	s_or_b32 exec_lo, exec_lo, s45
	s_barrier_signal -1
	s_barrier_wait -1
	s_and_saveexec_b32 s45, s43
	s_cbranch_execz .LBB120_1039
; %bb.1038:                             ;   in Loop: Header=BB120_3 Depth=1
	ds_load_b32 v25, v5 offset:16380
	s_wait_dscnt 0x0
	v_mul_f32_e32 v24, v24, v25
	ds_store_b32 v41, v24
.LBB120_1039:                           ;   in Loop: Header=BB120_3 Depth=1
	s_or_b32 exec_lo, exec_lo, s45
	s_wait_dscnt 0x0
	s_barrier_signal -1
	s_barrier_wait -1
	s_barrier_signal -1
	s_barrier_wait -1
	s_and_saveexec_b32 s45, s5
; %bb.1040:                             ;   in Loop: Header=BB120_3 Depth=1
	v_xor_b32_e32 v24, 0x80000000, v24
	ds_store_b32 v42, v24 offset:12512
; %bb.1041:                             ;   in Loop: Header=BB120_3 Depth=1
	s_or_b32 exec_lo, exec_lo, s45
	s_wait_dscnt 0x0
	s_barrier_signal -1
	s_barrier_wait -1
	s_barrier_signal -1
	s_barrier_wait -1
	s_and_saveexec_b32 s45, s44
	s_cbranch_execz .LBB120_1043
; %bb.1042:                             ;   in Loop: Header=BB120_3 Depth=1
	ds_load_b32 v24, v55 offset:12512
	s_wait_dscnt 0x0
	ds_store_b32 v56, v24 offset:14528
	ds_load_b32 v24, v55 offset:12516
	s_wait_dscnt 0x0
	ds_store_b32 v56, v24 offset:14784
	;; [unrolled: 3-line block ×8, first 2 shown]
.LBB120_1043:                           ;   in Loop: Header=BB120_3 Depth=1
	s_or_b32 exec_lo, exec_lo, s45
	s_wait_dscnt 0x0
	s_barrier_signal -1
	s_barrier_wait -1
	s_and_saveexec_b32 s45, s15
	s_cbranch_execz .LBB120_1045
; %bb.1044:                             ;   in Loop: Header=BB120_3 Depth=1
	ds_load_b64 v[24:25], v5 offset:14560
	ds_load_b32 v26, v5 offset:14820
	s_wait_dscnt 0x0
	v_mul_f32_e32 v24, v24, v26
	s_delay_alu instid0(VALU_DEP_1)
	v_mul_f32_e32 v24, v25, v24
	v_add_nc_u32_e64 v25, 0x3800, 0
	ds_store_2addr_b32 v25, v24, v24 offset0:57 offset1:120
.LBB120_1045:                           ;   in Loop: Header=BB120_3 Depth=1
	s_or_b32 exec_lo, exec_lo, s45
	v_mov_b32_e32 v24, 0
	s_wait_dscnt 0x0
	s_barrier_signal -1
	s_barrier_wait -1
	s_and_saveexec_b32 s45, s2
	s_cbranch_execz .LBB120_1049
; %bb.1046:                             ;   in Loop: Header=BB120_3 Depth=1
	ds_load_b32 v24, v65 offset:14568
	ds_load_b32 v25, v29 offset:14560
	s_wait_dscnt 0x0
	v_fma_f32 v24, v24, v25, 0
	s_and_saveexec_b32 s46, s16
	s_cbranch_execz .LBB120_1048
; %bb.1047:                             ;   in Loop: Header=BB120_3 Depth=1
	ds_load_b32 v25, v56 offset:14824
	ds_load_b32 v26, v5 offset:14564
	s_wait_dscnt 0x0
	v_fmac_f32_e32 v24, v25, v26
.LBB120_1048:                           ;   in Loop: Header=BB120_3 Depth=1
	s_or_b32 exec_lo, exec_lo, s46
	s_delay_alu instid0(VALU_DEP_1)
	v_xor_b32_e32 v24, 0x80000000, v24
.LBB120_1049:                           ;   in Loop: Header=BB120_3 Depth=1
	s_or_b32 exec_lo, exec_lo, s45
	s_and_saveexec_b32 s45, s90
	s_cbranch_execz .LBB120_1051
; %bb.1050:                             ;   in Loop: Header=BB120_3 Depth=1
	ds_load_b32 v25, v5 offset:15080
	s_wait_dscnt 0x0
	v_mul_f32_e32 v24, v24, v25
	ds_store_b32 v3, v24
.LBB120_1051:                           ;   in Loop: Header=BB120_3 Depth=1
	s_or_b32 exec_lo, exec_lo, s45
	s_wait_dscnt 0x0
	s_barrier_signal -1
	s_barrier_wait -1
	s_and_saveexec_b32 s45, s91
	s_cbranch_execz .LBB120_1053
; %bb.1052:                             ;   in Loop: Header=BB120_3 Depth=1
	ds_load_b32 v25, v5 offset:15084
	ds_load_b32 v26, v3
	s_wait_dscnt 0x0
	v_fmac_f32_e32 v24, v25, v26
.LBB120_1053:                           ;   in Loop: Header=BB120_3 Depth=1
	s_or_b32 exec_lo, exec_lo, s45
	s_barrier_signal -1
	s_barrier_wait -1
	s_and_saveexec_b32 s45, s91
	s_cbranch_execz .LBB120_1055
; %bb.1054:                             ;   in Loop: Header=BB120_3 Depth=1
	ds_load_b32 v25, v5 offset:15340
	s_wait_dscnt 0x0
	v_mul_f32_e32 v24, v24, v25
	ds_store_b32 v3, v24
.LBB120_1055:                           ;   in Loop: Header=BB120_3 Depth=1
	s_or_b32 exec_lo, exec_lo, s45
	s_wait_dscnt 0x0
	s_barrier_signal -1
	s_barrier_wait -1
	s_barrier_signal -1
	s_barrier_wait -1
	s_and_saveexec_b32 s45, s2
; %bb.1056:                             ;   in Loop: Header=BB120_3 Depth=1
	v_xor_b32_e32 v24, 0x80000000, v24
	ds_store_b32 v65, v24 offset:14568
; %bb.1057:                             ;   in Loop: Header=BB120_3 Depth=1
	s_or_b32 exec_lo, exec_lo, s45
	s_wait_dscnt 0x0
	s_barrier_signal -1
	s_barrier_wait -1
	s_barrier_signal -1
	s_barrier_wait -1
	s_and_saveexec_b32 s45, s92
	s_cbranch_execz .LBB120_1059
; %bb.1058:                             ;   in Loop: Header=BB120_3 Depth=1
	ds_load_b32 v24, v57 offset:14568
	s_wait_dscnt 0x0
	ds_store_b32 v56, v24 offset:15072
	ds_load_b32 v24, v57 offset:14572
	s_wait_dscnt 0x0
	ds_store_b32 v56, v24 offset:15328
.LBB120_1059:                           ;   in Loop: Header=BB120_3 Depth=1
	s_or_b32 exec_lo, exec_lo, s45
	s_wait_dscnt 0x0
	s_barrier_signal -1
	s_barrier_wait -1
	s_and_saveexec_b32 s45, s15
	s_cbranch_execz .LBB120_1061
; %bb.1060:                             ;   in Loop: Header=BB120_3 Depth=1
	ds_load_b64 v[24:25], v5 offset:15080
	ds_load_b32 v26, v5 offset:15340
	s_wait_dscnt 0x0
	v_mul_f32_e32 v24, v24, v26
	s_delay_alu instid0(VALU_DEP_1)
	v_mul_f32_e32 v24, v25, v24
	v_add_nc_u32_e64 v25, 0x3800, 0
	ds_store_2addr_b32 v25, v24, v24 offset0:187 offset1:250
.LBB120_1061:                           ;   in Loop: Header=BB120_3 Depth=1
	s_or_b32 exec_lo, exec_lo, s45
	v_mov_b32_e32 v24, 0
	s_wait_dscnt 0x0
	s_barrier_signal -1
	s_barrier_wait -1
	s_and_saveexec_b32 s82, s4
	s_cbranch_execz .LBB120_1067
; %bb.1062:                             ;   in Loop: Header=BB120_3 Depth=1
	ds_load_b32 v24, v36 offset:14576
	ds_load_b32 v25, v31 offset:14560
	s_wait_dscnt 0x0
	v_fma_f32 v24, v24, v25, 0
	s_and_saveexec_b32 s45, s17
	s_cbranch_execnz .LBB120_1255
; %bb.1063:                             ;   in Loop: Header=BB120_3 Depth=1
	s_or_b32 exec_lo, exec_lo, s45
	s_and_saveexec_b32 s45, s18
	s_cbranch_execnz .LBB120_1256
.LBB120_1064:                           ;   in Loop: Header=BB120_3 Depth=1
	s_or_b32 exec_lo, exec_lo, s45
	s_and_saveexec_b32 s45, s2
	s_cbranch_execz .LBB120_1066
.LBB120_1065:                           ;   in Loop: Header=BB120_3 Depth=1
	ds_load_b32 v25, v58 offset:15344
	ds_load_b32 v26, v5 offset:14572
	s_wait_dscnt 0x0
	v_fmac_f32_e32 v24, v25, v26
.LBB120_1066:                           ;   in Loop: Header=BB120_3 Depth=1
	s_or_b32 exec_lo, exec_lo, s45
	s_delay_alu instid0(VALU_DEP_1)
	v_xor_b32_e32 v24, 0x80000000, v24
.LBB120_1067:                           ;   in Loop: Header=BB120_3 Depth=1
	s_or_b32 exec_lo, exec_lo, s82
	s_and_saveexec_b32 s45, s93
	s_cbranch_execz .LBB120_1069
; %bb.1068:                             ;   in Loop: Header=BB120_3 Depth=1
	ds_load_b32 v25, v5 offset:15600
	s_wait_dscnt 0x0
	v_mul_f32_e32 v24, v24, v25
	ds_store_b32 v35, v24
.LBB120_1069:                           ;   in Loop: Header=BB120_3 Depth=1
	s_or_b32 exec_lo, exec_lo, s45
	s_wait_dscnt 0x0
	s_barrier_signal -1
	s_barrier_wait -1
	s_and_saveexec_b32 s45, s94
	s_cbranch_execz .LBB120_1071
; %bb.1070:                             ;   in Loop: Header=BB120_3 Depth=1
	ds_load_b32 v25, v33 offset:15600
	ds_load_b32 v26, v35
	s_wait_dscnt 0x0
	v_fmac_f32_e32 v24, v25, v26
.LBB120_1071:                           ;   in Loop: Header=BB120_3 Depth=1
	s_or_b32 exec_lo, exec_lo, s45
	s_barrier_signal -1
	s_barrier_wait -1
	s_and_saveexec_b32 s45, s95
	s_cbranch_execz .LBB120_1073
; %bb.1072:                             ;   in Loop: Header=BB120_3 Depth=1
	ds_load_b32 v25, v5 offset:15860
	s_wait_dscnt 0x0
	v_mul_f32_e32 v24, v24, v25
	ds_store_b32 v35, v24
.LBB120_1073:                           ;   in Loop: Header=BB120_3 Depth=1
	s_or_b32 exec_lo, exec_lo, s45
	s_wait_dscnt 0x0
	s_barrier_signal -1
	s_barrier_wait -1
	s_and_saveexec_b32 s45, s96
	s_cbranch_execz .LBB120_1075
; %bb.1074:                             ;   in Loop: Header=BB120_3 Depth=1
	ds_load_b32 v25, v33 offset:15856
	ds_load_b32 v26, v35
	s_wait_dscnt 0x0
	v_fmac_f32_e32 v24, v25, v26
.LBB120_1075:                           ;   in Loop: Header=BB120_3 Depth=1
	s_or_b32 exec_lo, exec_lo, s45
	s_barrier_signal -1
	s_barrier_wait -1
	;; [unrolled: 23-line block ×3, first 2 shown]
	s_and_saveexec_b32 s45, s98
	s_cbranch_execz .LBB120_1081
; %bb.1080:                             ;   in Loop: Header=BB120_3 Depth=1
	ds_load_b32 v25, v5 offset:16380
	s_wait_dscnt 0x0
	v_mul_f32_e32 v24, v24, v25
	ds_store_b32 v35, v24
.LBB120_1081:                           ;   in Loop: Header=BB120_3 Depth=1
	s_or_b32 exec_lo, exec_lo, s45
	s_wait_dscnt 0x0
	s_barrier_signal -1
	s_barrier_wait -1
	s_barrier_signal -1
	s_barrier_wait -1
	s_and_saveexec_b32 s45, s4
; %bb.1082:                             ;   in Loop: Header=BB120_3 Depth=1
	v_xor_b32_e32 v24, 0x80000000, v24
	ds_store_b32 v36, v24 offset:14576
; %bb.1083:                             ;   in Loop: Header=BB120_3 Depth=1
	s_or_b32 exec_lo, exec_lo, s45
	s_wait_dscnt 0x0
	s_barrier_signal -1
	s_barrier_wait -1
	s_barrier_signal -1
	s_barrier_wait -1
	s_and_saveexec_b32 s45, s99
	s_cbranch_execz .LBB120_1085
; %bb.1084:                             ;   in Loop: Header=BB120_3 Depth=1
	ds_load_b32 v24, v59 offset:14576
	s_wait_dscnt 0x0
	ds_store_b32 v60, v24 offset:15584
	ds_load_b32 v24, v59 offset:14580
	s_wait_dscnt 0x0
	ds_store_b32 v60, v24 offset:15840
	;; [unrolled: 3-line block ×4, first 2 shown]
.LBB120_1085:                           ;   in Loop: Header=BB120_3 Depth=1
	s_or_b32 exec_lo, exec_lo, s45
	s_wait_dscnt 0x0
	s_barrier_signal -1
	s_barrier_wait -1
	s_and_saveexec_b32 s45, s15
	s_cbranch_execz .LBB120_1087
; %bb.1086:                             ;   in Loop: Header=BB120_3 Depth=1
	ds_load_b64 v[24:25], v5 offset:15600
	ds_load_b32 v26, v5 offset:15860
	s_wait_dscnt 0x0
	v_mul_f32_e32 v24, v24, v26
	s_delay_alu instid0(VALU_DEP_1)
	v_mul_f32_e32 v24, v25, v24
	v_add_nc_u32_e64 v25, 0x3c00, 0
	ds_store_2addr_b32 v25, v24, v24 offset0:61 offset1:124
.LBB120_1087:                           ;   in Loop: Header=BB120_3 Depth=1
	s_or_b32 exec_lo, exec_lo, s45
	v_mov_b32_e32 v24, 0
	s_wait_dscnt 0x0
	s_barrier_signal -1
	s_barrier_wait -1
	s_and_saveexec_b32 s45, s2
	s_cbranch_execz .LBB120_1091
; %bb.1088:                             ;   in Loop: Header=BB120_3 Depth=1
	ds_load_b32 v24, v65 offset:15608
	ds_load_b32 v25, v29 offset:15600
	s_wait_dscnt 0x0
	v_fma_f32 v24, v24, v25, 0
	s_and_saveexec_b32 s46, s16
	s_cbranch_execz .LBB120_1090
; %bb.1089:                             ;   in Loop: Header=BB120_3 Depth=1
	ds_load_b32 v25, v60 offset:15864
	ds_load_b32 v26, v5 offset:15604
	s_wait_dscnt 0x0
	v_fmac_f32_e32 v24, v25, v26
.LBB120_1090:                           ;   in Loop: Header=BB120_3 Depth=1
	s_or_b32 exec_lo, exec_lo, s46
	s_delay_alu instid0(VALU_DEP_1)
	v_xor_b32_e32 v24, 0x80000000, v24
.LBB120_1091:                           ;   in Loop: Header=BB120_3 Depth=1
	s_or_b32 exec_lo, exec_lo, s45
	s_and_saveexec_b32 s45, s90
	s_cbranch_execz .LBB120_1093
; %bb.1092:                             ;   in Loop: Header=BB120_3 Depth=1
	ds_load_b32 v25, v5 offset:16120
	s_wait_dscnt 0x0
	v_mul_f32_e32 v24, v24, v25
	ds_store_b32 v3, v24
.LBB120_1093:                           ;   in Loop: Header=BB120_3 Depth=1
	s_or_b32 exec_lo, exec_lo, s45
	s_wait_dscnt 0x0
	s_barrier_signal -1
	s_barrier_wait -1
	s_and_saveexec_b32 s45, s91
	s_cbranch_execz .LBB120_1095
; %bb.1094:                             ;   in Loop: Header=BB120_3 Depth=1
	ds_load_b32 v25, v5 offset:16124
	ds_load_b32 v26, v3
	s_wait_dscnt 0x0
	v_fmac_f32_e32 v24, v25, v26
.LBB120_1095:                           ;   in Loop: Header=BB120_3 Depth=1
	s_or_b32 exec_lo, exec_lo, s45
	s_barrier_signal -1
	s_barrier_wait -1
	s_and_saveexec_b32 s45, s91
	s_cbranch_execz .LBB120_1097
; %bb.1096:                             ;   in Loop: Header=BB120_3 Depth=1
	ds_load_b32 v25, v5 offset:16380
	s_wait_dscnt 0x0
	v_mul_f32_e32 v24, v24, v25
	ds_store_b32 v3, v24
.LBB120_1097:                           ;   in Loop: Header=BB120_3 Depth=1
	s_or_b32 exec_lo, exec_lo, s45
	s_wait_dscnt 0x0
	s_barrier_signal -1
	s_barrier_wait -1
	s_barrier_signal -1
	s_barrier_wait -1
	s_and_saveexec_b32 s45, s2
; %bb.1098:                             ;   in Loop: Header=BB120_3 Depth=1
	v_xor_b32_e32 v24, 0x80000000, v24
	ds_store_b32 v65, v24 offset:15608
; %bb.1099:                             ;   in Loop: Header=BB120_3 Depth=1
	s_or_b32 exec_lo, exec_lo, s45
	s_wait_dscnt 0x0
	s_barrier_signal -1
	s_barrier_wait -1
	s_barrier_signal -1
	s_barrier_wait -1
	s_and_saveexec_b32 s45, s92
	s_cbranch_execz .LBB120_1101
; %bb.1100:                             ;   in Loop: Header=BB120_3 Depth=1
	ds_load_b32 v24, v61 offset:15608
	s_wait_dscnt 0x0
	ds_store_b32 v60, v24 offset:16112
	ds_load_b32 v24, v61 offset:15612
	s_wait_dscnt 0x0
	ds_store_b32 v60, v24 offset:16368
.LBB120_1101:                           ;   in Loop: Header=BB120_3 Depth=1
	s_or_b32 exec_lo, exec_lo, s45
	s_wait_dscnt 0x0
	s_barrier_signal -1
	s_barrier_wait -1
	s_and_saveexec_b32 s45, s15
	s_cbranch_execz .LBB120_1103
; %bb.1102:                             ;   in Loop: Header=BB120_3 Depth=1
	ds_load_b64 v[24:25], v5 offset:16120
	ds_load_b32 v26, v5 offset:16380
	s_wait_dscnt 0x0
	v_mul_f32_e32 v24, v24, v26
	s_delay_alu instid0(VALU_DEP_1)
	v_mul_f32_e32 v24, v25, v24
	v_add_nc_u32_e64 v25, 0x3c00, 0
	ds_store_2addr_b32 v25, v24, v24 offset0:191 offset1:254
.LBB120_1103:                           ;   in Loop: Header=BB120_3 Depth=1
	s_or_b32 exec_lo, exec_lo, s45
.LBB120_1104:                           ;   in Loop: Header=BB120_3 Depth=1
	v_add_nc_u64_e32 v[22:23], s[74:75], v[22:23]
	v_mov_b32_e32 v84, 0
	s_wait_dscnt 0x0
	s_barrier_signal -1
	s_barrier_wait -1
	s_and_saveexec_b32 s45, s12
	s_cbranch_execz .LBB120_1106
; %bb.1105:                             ;   in Loop: Header=BB120_3 Depth=1
	v_lshl_add_u64 v[24:25], v[16:17], 2, v[22:23]
	v_readlane_b32 s46, v93, 2
	flat_load_b32 v24, v[24:25]
	s_wait_loadcnt_dscnt 0x0
	v_mul_f32_e64 v84, v24, -s46
.LBB120_1106:                           ;   in Loop: Header=BB120_3 Depth=1
	s_or_b32 exec_lo, exec_lo, s45
	s_delay_alu instid0(SALU_CYCLE_1)
	s_and_not1_b32 vcc_lo, exec_lo, s11
	s_cbranch_vccnz .LBB120_1132
; %bb.1107:                             ;   in Loop: Header=BB120_3 Depth=1
	v_mov_b32_e32 v85, -1
	s_lshl_b64 s[46:47], s[66:67], 2
	s_mov_b32 s87, 0
	s_add_nc_u64 s[82:83], s[78:79], s[46:47]
	s_branch .LBB120_1110
.LBB120_1108:                           ;   in Loop: Header=BB120_1110 Depth=2
	s_wait_xcnt 0x0
	ds_load_b32 v24, v68 offset:192
	s_wait_loadcnt_dscnt 0x0
	v_fmac_f32_e32 v84, v26, v24
.LBB120_1109:                           ;   in Loop: Header=BB120_1110 Depth=2
	s_or_b32 exec_lo, exec_lo, s45
	s_add_co_i32 s87, s87, 1
	s_delay_alu instid0(SALU_CYCLE_1)
	s_cmp_eq_u32 s87, s84
	s_cbranch_scc1 .LBB120_1132
.LBB120_1110:                           ;   Parent Loop BB120_3 Depth=1
                                        ; =>  This Loop Header: Depth=2
                                        ;       Child Loop BB120_1112 Depth 3
	v_cmp_gt_i32_e32 vcc_lo, s87, v85
	s_and_b32 s46, s59, vcc_lo
	s_delay_alu instid0(SALU_CYCLE_1)
	s_and_saveexec_b32 s45, s46
	s_cbranch_execz .LBB120_1113
; %bb.1111:                             ;   in Loop: Header=BB120_1110 Depth=2
	global_load_b32 v85, v5, s[82:83]
	s_wait_loadcnt 0x0
	v_cmp_le_i32_e32 vcc_lo, s87, v85
	s_cbranch_vccnz .LBB120_1113
.LBB120_1112:                           ;   Parent Loop BB120_3 Depth=1
                                        ;     Parent Loop BB120_1110 Depth=2
                                        ; =>    This Inner Loop Header: Depth=3
	global_wb scope:SCOPE_DEV
	s_wait_storecnt 0x0
	global_inv scope:SCOPE_DEV
	global_load_b32 v85, v5, s[82:83]
	s_wait_loadcnt 0x0
	v_cmp_gt_i32_e32 vcc_lo, s87, v85
	s_cbranch_vccnz .LBB120_1112
.LBB120_1113:                           ;   in Loop: Header=BB120_1110 Depth=2
	s_or_b32 exec_lo, exec_lo, s45
	s_sub_co_i32 s45, s85, s87
	global_wb scope:SCOPE_DEV
	s_wait_storecnt 0x0
	global_inv scope:SCOPE_DEV
	s_lshl_b32 s46, s45, 6
	s_wait_loadcnt 0x0
	s_barrier_signal -1
	s_barrier_wait -1
	s_and_saveexec_b32 s47, s60
	s_cbranch_execz .LBB120_1117
; %bb.1114:                             ;   in Loop: Header=BB120_1110 Depth=2
	s_ashr_i32 s48, s46, 31
	s_delay_alu instid0(SALU_CYCLE_1) | instskip(SKIP_2) | instid1(VALU_DEP_1)
	v_dual_mov_b32 v26, 0 :: v_dual_mov_b32 v25, s48
	v_or_b32_e32 v24, s46, v4
	s_mov_b32 s48, exec_lo
	v_cmpx_gt_i64_e64 s[76:77], v[24:25]
	s_cbranch_execz .LBB120_1116
; %bb.1115:                             ;   in Loop: Header=BB120_1110 Depth=2
	v_mul_u64_e32 v[24:25], s[80:81], v[24:25]
	s_delay_alu instid0(VALU_DEP_1)
	v_lshl_add_u64 v[24:25], v[24:25], 2, v[22:23]
	flat_load_b32 v26, v[24:25]
.LBB120_1116:                           ;   in Loop: Header=BB120_1110 Depth=2
	s_wait_xcnt 0x0
	s_or_b32 exec_lo, exec_lo, s48
	s_wait_loadcnt_dscnt 0x0
	ds_store_b32 v67, v26
.LBB120_1117:                           ;   in Loop: Header=BB120_1110 Depth=2
	s_or_b32 exec_lo, exec_lo, s47
	v_add_nc_u32_e32 v26, s46, v28
	s_cmp_lg_u32 s45, s65
	s_wait_dscnt 0x0
	s_cselect_b32 s46, -1, 0
	s_barrier_signal -1
	v_ashrrev_i32_e32 v27, 31, v26
	v_cmp_gt_i32_e32 vcc_lo, s76, v26
	s_barrier_wait -1
	s_delay_alu instid0(VALU_DEP_2) | instskip(SKIP_2) | instid1(SALU_CYCLE_1)
	v_lshl_add_u64 v[24:25], v[26:27], 2, v[20:21]
	v_cndmask_b32_e64 v27, 0, 1, s46
	s_and_b32 s47, vcc_lo, s0
	s_and_saveexec_b32 s45, s47
	s_cbranch_execz .LBB120_1121
; %bb.1118:                             ;   in Loop: Header=BB120_1110 Depth=2
	v_mov_b32_e32 v86, v80
	s_and_not1_b32 vcc_lo, exec_lo, s46
	s_cbranch_vccnz .LBB120_1120
; %bb.1119:                             ;   in Loop: Header=BB120_1110 Depth=2
	flat_load_b32 v86, v[24:25]
.LBB120_1120:                           ;   in Loop: Header=BB120_1110 Depth=2
	ds_load_b32 v87, v68
	s_wait_loadcnt_dscnt 0x0
	v_fmac_f32_e32 v84, v86, v87
.LBB120_1121:                           ;   in Loop: Header=BB120_1110 Depth=2
	s_or_b32 exec_lo, exec_lo, s45
	v_add_nc_u32_e32 v86, 16, v26
	s_delay_alu instid0(VALU_DEP_1) | instskip(SKIP_1) | instid1(SALU_CYCLE_1)
	v_cmp_gt_i32_e32 vcc_lo, s76, v86
	s_and_b32 s46, vcc_lo, s0
	s_and_saveexec_b32 s45, s46
	s_cbranch_execz .LBB120_1125
; %bb.1122:                             ;   in Loop: Header=BB120_1110 Depth=2
	v_cmp_ne_u32_e32 vcc_lo, 1, v27
	v_mov_b32_e32 v86, v81
	s_cbranch_vccnz .LBB120_1124
; %bb.1123:                             ;   in Loop: Header=BB120_1110 Depth=2
	flat_load_b32 v86, v[24:25] offset:64
.LBB120_1124:                           ;   in Loop: Header=BB120_1110 Depth=2
	ds_load_b32 v87, v68 offset:64
	s_wait_loadcnt_dscnt 0x0
	v_fmac_f32_e32 v84, v86, v87
.LBB120_1125:                           ;   in Loop: Header=BB120_1110 Depth=2
	s_or_b32 exec_lo, exec_lo, s45
	v_add_nc_u32_e32 v86, 32, v26
	s_delay_alu instid0(VALU_DEP_1) | instskip(SKIP_1) | instid1(SALU_CYCLE_1)
	v_cmp_gt_i32_e32 vcc_lo, s76, v86
	s_and_b32 s46, vcc_lo, s0
	s_and_saveexec_b32 s45, s46
	s_cbranch_execz .LBB120_1129
; %bb.1126:                             ;   in Loop: Header=BB120_1110 Depth=2
	v_cmp_ne_u32_e32 vcc_lo, 1, v27
	v_mov_b32_e32 v86, v82
	s_cbranch_vccnz .LBB120_1128
; %bb.1127:                             ;   in Loop: Header=BB120_1110 Depth=2
	flat_load_b32 v86, v[24:25] offset:128
.LBB120_1128:                           ;   in Loop: Header=BB120_1110 Depth=2
	ds_load_b32 v87, v68 offset:128
	s_wait_loadcnt_dscnt 0x0
	v_fmac_f32_e32 v84, v86, v87
.LBB120_1129:                           ;   in Loop: Header=BB120_1110 Depth=2
	s_or_b32 exec_lo, exec_lo, s45
	v_add_nc_u32_e32 v26, 48, v26
	s_delay_alu instid0(VALU_DEP_1) | instskip(SKIP_1) | instid1(SALU_CYCLE_1)
	v_cmp_gt_i32_e32 vcc_lo, s76, v26
	s_and_b32 s46, vcc_lo, s0
	s_and_saveexec_b32 s45, s46
	s_cbranch_execz .LBB120_1109
; %bb.1130:                             ;   in Loop: Header=BB120_1110 Depth=2
	v_cmp_ne_u32_e32 vcc_lo, 1, v27
	v_mov_b32_e32 v26, v83
	s_cbranch_vccnz .LBB120_1108
; %bb.1131:                             ;   in Loop: Header=BB120_1110 Depth=2
	flat_load_b32 v26, v[24:25] offset:192
	s_branch .LBB120_1108
.LBB120_1132:                           ;   in Loop: Header=BB120_3 Depth=1
	ds_store_b32 v69, v84
	s_wait_dscnt 0x0
	s_barrier_signal -1
	s_barrier_wait -1
	s_and_saveexec_b32 s82, s3
	s_cbranch_execz .LBB120_1134
; %bb.1133:                             ;   in Loop: Header=BB120_3 Depth=1
	ds_load_2addr_stride64_b32 v[20:21], v70 offset0:1 offset1:2
	ds_load_2addr_stride64_b32 v[24:25], v70 offset0:3 offset1:4
	;; [unrolled: 1-line block ×4, first 2 shown]
	v_readlane_b32 s45, v91, 5
	s_wait_dscnt 0x3
	v_add_f32_e32 v20, v84, v20
	s_delay_alu instid0(VALU_DEP_1) | instskip(SKIP_1) | instid1(VALU_DEP_1)
	v_add_f32_e32 v20, v20, v21
	s_wait_dscnt 0x2
	v_add_f32_e32 v20, v20, v24
	s_delay_alu instid0(VALU_DEP_1) | instskip(SKIP_1) | instid1(VALU_DEP_1)
	v_add_f32_e32 v20, v20, v25
	s_wait_dscnt 0x1
	v_add_f32_e32 v24, v20, v26
	ds_load_2addr_stride64_b32 v[20:21], v70 offset0:9 offset1:10
	v_add_f32_e32 v24, v24, v27
	s_wait_dscnt 0x1
	s_delay_alu instid0(VALU_DEP_1)
	v_add_f32_e32 v26, v24, v86
	ds_load_2addr_stride64_b32 v[24:25], v70 offset0:11 offset1:12
	v_add_f32_e32 v84, v26, v87
	ds_load_2addr_stride64_b32 v[26:27], v70 offset0:13 offset1:14
	ds_load_b32 v85, v70 offset:3840
	s_wait_dscnt 0x3
	v_add_f32_e32 v20, v84, v20
	s_delay_alu instid0(VALU_DEP_1) | instskip(SKIP_1) | instid1(VALU_DEP_1)
	v_add_f32_e32 v20, v20, v21
	s_wait_dscnt 0x2
	v_add_f32_e32 v20, v20, v24
	s_delay_alu instid0(VALU_DEP_1) | instskip(SKIP_1) | instid1(VALU_DEP_1)
	v_add_f32_e32 v20, v20, v25
	;; [unrolled: 4-line block ×3, first 2 shown]
	s_wait_dscnt 0x0
	v_add_f32_e32 v20, v20, v85
	s_delay_alu instid0(VALU_DEP_1)
	v_cndmask_b32_e64 v84, -v20, 0, s45
.LBB120_1134:                           ;   in Loop: Header=BB120_3 Depth=1
	s_or_b32 exec_lo, exec_lo, s82
	s_delay_alu instid0(SALU_CYCLE_1)
	s_and_not1_b32 vcc_lo, exec_lo, s89
	s_cbranch_vccnz .LBB120_1144
; %bb.1135:                             ;   in Loop: Header=BB120_3 Depth=1
	s_and_saveexec_b32 s45, s3
; %bb.1136:                             ;   in Loop: Header=BB120_3 Depth=1
	ds_store_b32 v72, v84
; %bb.1137:                             ;   in Loop: Header=BB120_3 Depth=1
	s_or_b32 exec_lo, exec_lo, s45
	v_mov_b32_e32 v20, 0
	s_wait_dscnt 0x0
	s_barrier_signal -1
	s_barrier_wait -1
	s_and_saveexec_b32 s45, s1
	s_cbranch_execnz .LBB120_1200
; %bb.1138:                             ;   in Loop: Header=BB120_3 Depth=1
	s_or_b32 exec_lo, exec_lo, s45
	s_and_saveexec_b32 s45, s8
	s_cbranch_execnz .LBB120_1201
.LBB120_1139:                           ;   in Loop: Header=BB120_3 Depth=1
	s_or_b32 exec_lo, exec_lo, s45
	s_and_saveexec_b32 s45, s9
	s_cbranch_execnz .LBB120_1202
.LBB120_1140:                           ;   in Loop: Header=BB120_3 Depth=1
	s_or_b32 exec_lo, exec_lo, s45
	s_and_saveexec_b32 s45, s10
	s_cbranch_execz .LBB120_1142
.LBB120_1141:                           ;   in Loop: Header=BB120_3 Depth=1
	ds_load_b32 v21, v71 offset:12288
	ds_load_b32 v24, v68 offset:192
	s_wait_dscnt 0x0
	v_fmac_f32_e32 v20, v21, v24
.LBB120_1142:                           ;   in Loop: Header=BB120_3 Depth=1
	s_or_b32 exec_lo, exec_lo, s45
	s_mov_b32 s83, 0
	s_mov_b32 s82, 0
	ds_store_b32 v69, v20
	s_wait_dscnt 0x0
	s_barrier_signal -1
	s_barrier_wait -1
                                        ; implicit-def: $vgpr21
	s_and_saveexec_b32 s87, s3
	s_cbranch_execz .LBB120_1203
; %bb.1143:                             ;   in Loop: Header=BB120_3 Depth=1
	ds_load_2addr_stride64_b32 v[24:25], v70 offset0:1 offset1:2
	ds_load_2addr_stride64_b32 v[26:27], v70 offset0:3 offset1:4
	;; [unrolled: 1-line block ×4, first 2 shown]
	s_mov_b32 s82, exec_lo
	s_wait_dscnt 0x3
	v_add_f32_e32 v20, v20, v24
	s_delay_alu instid0(VALU_DEP_1) | instskip(SKIP_1) | instid1(VALU_DEP_1)
	v_add_f32_e32 v20, v25, v20
	s_wait_dscnt 0x2
	v_add_f32_e32 v20, v26, v20
	s_delay_alu instid0(VALU_DEP_1) | instskip(SKIP_1) | instid1(VALU_DEP_1)
	v_add_f32_e32 v20, v27, v20
	s_wait_dscnt 0x1
	v_add_f32_e32 v24, v86, v20
	ds_load_2addr_stride64_b32 v[20:21], v70 offset0:9 offset1:10
	v_add_f32_e32 v24, v87, v24
	s_wait_dscnt 0x1
	s_delay_alu instid0(VALU_DEP_1)
	v_add_f32_e32 v26, v88, v24
	ds_load_2addr_stride64_b32 v[24:25], v70 offset0:11 offset1:12
	v_add_f32_e32 v85, v89, v26
	ds_load_2addr_stride64_b32 v[26:27], v70 offset0:13 offset1:14
	ds_load_b32 v86, v70 offset:3840
	s_wait_dscnt 0x3
	v_add_f32_e32 v20, v20, v85
	s_delay_alu instid0(VALU_DEP_1) | instskip(SKIP_1) | instid1(VALU_DEP_1)
	v_add_f32_e32 v20, v21, v20
	s_wait_dscnt 0x2
	v_add_f32_e32 v20, v24, v20
	s_delay_alu instid0(VALU_DEP_1) | instskip(SKIP_1) | instid1(VALU_DEP_1)
	v_add_f32_e32 v20, v25, v20
	;; [unrolled: 4-line block ×3, first 2 shown]
	s_wait_dscnt 0x0
	v_add_f32_e32 v21, v86, v20
	s_or_b32 exec_lo, exec_lo, s87
	s_delay_alu instid0(SALU_CYCLE_1)
	s_and_b32 vcc_lo, exec_lo, s83
	s_cbranch_vccnz .LBB120_1145
	s_branch .LBB120_1204
.LBB120_1144:                           ;   in Loop: Header=BB120_3 Depth=1
	s_mov_b32 s82, 0
                                        ; implicit-def: $vgpr21
	s_cbranch_execz .LBB120_1204
.LBB120_1145:                           ;   in Loop: Header=BB120_3 Depth=1
	v_dual_mov_b32 v20, v79 :: v_dual_mov_b32 v21, v78
	s_mov_b32 s83, 63
	s_branch .LBB120_1147
.LBB120_1146:                           ;   in Loop: Header=BB120_1147 Depth=2
	s_or_b32 exec_lo, exec_lo, s45
	v_add_nc_u32_e32 v21, 0xfffffc00, v21
	v_add_nc_u32_e32 v20, 4, v20
	s_add_co_i32 s83, s83, -4
	s_cmp_lg_u32 s87, 0
	s_barrier_signal -1
	s_barrier_wait -1
	s_cbranch_scc0 .LBB120_1163
.LBB120_1147:                           ;   Parent Loop BB120_3 Depth=1
                                        ; =>  This Inner Loop Header: Depth=2
	s_delay_alu instid0(VALU_DEP_1) | instskip(SKIP_2) | instid1(SALU_CYCLE_1)
	v_cmp_eq_u32_e32 vcc_lo, 0, v20
	v_add_nc_u32_e32 v24, v61, v30
	s_and_b32 s46, s3, vcc_lo
	s_and_saveexec_b32 s45, s46
	s_cbranch_execz .LBB120_1149
; %bb.1148:                             ;   in Loop: Header=BB120_1147 Depth=2
	ds_load_b32 v25, v24
	s_wait_dscnt 0x0
	v_mul_f32_e32 v84, v84, v25
	ds_store_b32 v5, v84 offset:20736
.LBB120_1149:                           ;   in Loop: Header=BB120_1147 Depth=2
	s_or_b32 exec_lo, exec_lo, s45
	v_cmp_gt_u32_e32 vcc_lo, s83, v2
	s_wait_dscnt 0x0
	s_barrier_signal -1
	s_barrier_wait -1
	s_and_b32 s46, s3, vcc_lo
	s_delay_alu instid0(SALU_CYCLE_1)
	s_and_saveexec_b32 s45, s46
	s_cbranch_execz .LBB120_1151
; %bb.1150:                             ;   in Loop: Header=BB120_1147 Depth=2
	ds_load_b32 v25, v21 offset:768
	ds_load_b32 v26, v5 offset:20736
	s_wait_dscnt 0x0
	v_fmac_f32_e32 v84, v25, v26
.LBB120_1151:                           ;   in Loop: Header=BB120_1147 Depth=2
	s_or_b32 exec_lo, exec_lo, s45
	s_add_co_i32 s45, s83, -1
	s_delay_alu instid0(SALU_CYCLE_1) | instskip(SKIP_3) | instid1(SALU_CYCLE_1)
	v_cmp_eq_u32_e32 vcc_lo, s45, v2
	s_barrier_signal -1
	s_barrier_wait -1
	s_and_b32 s47, s3, vcc_lo
	s_and_saveexec_b32 s46, s47
	s_cbranch_execz .LBB120_1153
; %bb.1152:                             ;   in Loop: Header=BB120_1147 Depth=2
	ds_load_b32 v25, v24
	s_wait_dscnt 0x0
	v_mul_f32_e32 v84, v84, v25
	ds_store_b32 v5, v84 offset:20736
.LBB120_1153:                           ;   in Loop: Header=BB120_1147 Depth=2
	s_or_b32 exec_lo, exec_lo, s46
	v_cmp_gt_u32_e32 vcc_lo, s45, v2
	s_wait_dscnt 0x0
	s_barrier_signal -1
	s_barrier_wait -1
	s_and_b32 s46, s3, vcc_lo
	s_delay_alu instid0(SALU_CYCLE_1)
	s_and_saveexec_b32 s45, s46
	s_cbranch_execz .LBB120_1155
; %bb.1154:                             ;   in Loop: Header=BB120_1147 Depth=2
	ds_load_b32 v25, v21 offset:512
	ds_load_b32 v26, v5 offset:20736
	s_wait_dscnt 0x0
	v_fmac_f32_e32 v84, v25, v26
.LBB120_1155:                           ;   in Loop: Header=BB120_1147 Depth=2
	s_or_b32 exec_lo, exec_lo, s45
	s_add_co_i32 s45, s83, -2
	s_delay_alu instid0(SALU_CYCLE_1) | instskip(SKIP_3) | instid1(SALU_CYCLE_1)
	v_cmp_eq_u32_e32 vcc_lo, s45, v2
	s_barrier_signal -1
	s_barrier_wait -1
	;; [unrolled: 30-line block ×3, first 2 shown]
	s_and_b32 s46, s3, vcc_lo
	s_and_saveexec_b32 s45, s46
	s_cbranch_execz .LBB120_1161
; %bb.1160:                             ;   in Loop: Header=BB120_1147 Depth=2
	ds_load_b32 v24, v24
	s_wait_dscnt 0x0
	v_mul_f32_e32 v84, v84, v24
	ds_store_b32 v5, v84 offset:20736
.LBB120_1161:                           ;   in Loop: Header=BB120_1147 Depth=2
	s_or_b32 exec_lo, exec_lo, s45
	v_cmp_gt_u32_e32 vcc_lo, s87, v2
	s_wait_dscnt 0x0
	s_barrier_signal -1
	s_barrier_wait -1
	s_and_b32 s46, s3, vcc_lo
	s_delay_alu instid0(SALU_CYCLE_1)
	s_and_saveexec_b32 s45, s46
	s_cbranch_execz .LBB120_1146
; %bb.1162:                             ;   in Loop: Header=BB120_1147 Depth=2
	ds_load_b32 v24, v21
	ds_load_b32 v25, v5 offset:20736
	s_wait_dscnt 0x0
	v_fmac_f32_e32 v84, v24, v25
	s_branch .LBB120_1146
.LBB120_1163:                           ;   in Loop: Header=BB120_3 Depth=1
	s_and_b32 vcc_lo, exec_lo, s86
	s_mov_b32 s45, -1
	s_cbranch_vccnz .LBB120_1205
; %bb.1164:                             ;   in Loop: Header=BB120_3 Depth=1
	s_and_not1_b32 vcc_lo, exec_lo, s45
	s_cbranch_vccz .LBB120_1206
.LBB120_1165:                           ;   in Loop: Header=BB120_3 Depth=1
	s_and_saveexec_b32 s45, s82
	s_cbranch_execz .LBB120_1167
.LBB120_1166:                           ;   in Loop: Header=BB120_3 Depth=1
	v_lshl_add_u64 v[20:21], v[18:19], 2, v[22:23]
	flat_store_b32 v[20:21], v84
.LBB120_1167:                           ;   in Loop: Header=BB120_3 Depth=1
	s_wait_xcnt 0x0
	s_or_b32 exec_lo, exec_lo, s45
	global_wb scope:SCOPE_DEV
	s_wait_storecnt_dscnt 0x0
	global_inv scope:SCOPE_DEV
	s_wait_loadcnt 0x0
	s_barrier_signal -1
	s_barrier_wait -1
	s_and_saveexec_b32 s45, s59
	s_cbranch_execz .LBB120_2
; %bb.1168:                             ;   in Loop: Header=BB120_3 Depth=1
	s_lshl_b64 s[46:47], s[66:67], 2
	s_delay_alu instid0(SALU_CYCLE_1)
	s_add_nc_u64 s[46:47], s[78:79], s[46:47]
	global_load_b32 v20, v5, s[46:47]
	s_wait_loadcnt 0x0
	v_add_nc_u32_e32 v20, 1, v20
	global_store_b32 v5, v20, s[46:47]
	s_branch .LBB120_2
.LBB120_1169:                           ;   in Loop: Header=BB120_3 Depth=1
	s_mov_b32 s45, exec_lo
	v_readlane_b32 s46, v91, 15
	s_and_b32 s46, s45, s46
	s_delay_alu instid0(SALU_CYCLE_1)
	s_xor_b32 s45, s46, s45
	s_mov_b32 exec_lo, s46
	s_cbranch_execz .LBB120_1173
; %bb.1170:                             ;   in Loop: Header=BB120_3 Depth=1
	s_mov_b32 s46, exec_lo
	v_readlane_b32 s47, v90, 25
	s_and_b32 s47, s46, s47
	s_delay_alu instid0(SALU_CYCLE_1)
	s_mov_b32 exec_lo, s47
; %bb.1171:                             ;   in Loop: Header=BB120_3 Depth=1
	ds_store_b32 v73, v5
; %bb.1172:                             ;   in Loop: Header=BB120_3 Depth=1
	s_or_b32 exec_lo, exec_lo, s46
.LBB120_1173:                           ;   in Loop: Header=BB120_3 Depth=1
	s_and_not1_saveexec_b32 s45, s45
	s_cbranch_execz .LBB120_1175
; %bb.1174:                             ;   in Loop: Header=BB120_3 Depth=1
	v_lshl_add_u64 v[26:27], v[0:1], 2, v[24:25]
	flat_load_b32 v26, v[26:27]
	s_wait_loadcnt_dscnt 0x0
	v_div_scale_f32 v27, null, v26, v26, 1.0
	s_delay_alu instid0(VALU_DEP_1) | instskip(SKIP_1) | instid1(TRANS32_DEP_1)
	v_rcp_f32_e32 v84, v27
	v_nop
	v_fma_f32 v85, -v27, v84, 1.0
	s_delay_alu instid0(VALU_DEP_1) | instskip(SKIP_1) | instid1(VALU_DEP_1)
	v_fmac_f32_e32 v84, v85, v84
	v_div_scale_f32 v85, vcc_lo, 1.0, v26, 1.0
	v_mul_f32_e32 v86, v85, v84
	s_delay_alu instid0(VALU_DEP_1) | instskip(NEXT) | instid1(VALU_DEP_1)
	v_fma_f32 v87, -v27, v86, v85
	v_fmac_f32_e32 v86, v87, v84
	s_delay_alu instid0(VALU_DEP_1) | instskip(NEXT) | instid1(VALU_DEP_1)
	v_fma_f32 v27, -v27, v86, v85
	v_div_fmas_f32 v27, v27, v84, v86
	s_delay_alu instid0(VALU_DEP_1)
	v_div_fixup_f32 v26, v27, v26, 1.0
	ds_store_b32 v73, v26
.LBB120_1175:                           ;   in Loop: Header=BB120_3 Depth=1
	s_or_b32 exec_lo, exec_lo, s45
	s_and_not1_saveexec_b32 s45, s82
	s_cbranch_execz .LBB120_16
.LBB120_1176:                           ;   in Loop: Header=BB120_3 Depth=1
	v_lshl_add_u64 v[26:27], v[0:1], 2, v[24:25]
	flat_load_b32 v26, v[26:27]
	s_wait_loadcnt_dscnt 0x0
	v_xor_b32_e32 v26, 0x80000000, v26
	ds_store_b32 v73, v26
	s_or_b32 exec_lo, exec_lo, s45
	s_and_saveexec_b32 s45, s8
	s_delay_alu instid0(SALU_CYCLE_1)
	s_xor_b32 s82, exec_lo, s45
	s_cbranch_execz .LBB120_17
.LBB120_1177:                           ;   in Loop: Header=BB120_3 Depth=1
	s_mov_b32 s45, exec_lo
	v_readlane_b32 s46, v91, 17
	s_and_b32 s46, s45, s46
	s_delay_alu instid0(SALU_CYCLE_1)
	s_xor_b32 s45, s46, s45
	s_mov_b32 exec_lo, s46
	s_cbranch_execz .LBB120_1181
; %bb.1178:                             ;   in Loop: Header=BB120_3 Depth=1
	s_mov_b32 s46, exec_lo
	v_readlane_b32 s47, v90, 26
	s_and_b32 s47, s46, s47
	s_delay_alu instid0(SALU_CYCLE_1)
	s_mov_b32 exec_lo, s47
; %bb.1179:                             ;   in Loop: Header=BB120_3 Depth=1
	ds_store_b32 v74, v5
; %bb.1180:                             ;   in Loop: Header=BB120_3 Depth=1
	s_or_b32 exec_lo, exec_lo, s46
.LBB120_1181:                           ;   in Loop: Header=BB120_3 Depth=1
	s_and_not1_saveexec_b32 s45, s45
	s_cbranch_execz .LBB120_1183
; %bb.1182:                             ;   in Loop: Header=BB120_3 Depth=1
	v_lshl_add_u64 v[26:27], v[10:11], 2, v[24:25]
	flat_load_b32 v26, v[26:27]
	s_wait_loadcnt_dscnt 0x0
	v_div_scale_f32 v27, null, v26, v26, 1.0
	s_delay_alu instid0(VALU_DEP_1) | instskip(SKIP_1) | instid1(TRANS32_DEP_1)
	v_rcp_f32_e32 v84, v27
	v_nop
	v_fma_f32 v85, -v27, v84, 1.0
	s_delay_alu instid0(VALU_DEP_1) | instskip(SKIP_1) | instid1(VALU_DEP_1)
	v_fmac_f32_e32 v84, v85, v84
	v_div_scale_f32 v85, vcc_lo, 1.0, v26, 1.0
	v_mul_f32_e32 v86, v85, v84
	s_delay_alu instid0(VALU_DEP_1) | instskip(NEXT) | instid1(VALU_DEP_1)
	v_fma_f32 v87, -v27, v86, v85
	v_fmac_f32_e32 v86, v87, v84
	s_delay_alu instid0(VALU_DEP_1) | instskip(NEXT) | instid1(VALU_DEP_1)
	v_fma_f32 v27, -v27, v86, v85
	v_div_fmas_f32 v27, v27, v84, v86
	s_delay_alu instid0(VALU_DEP_1)
	v_div_fixup_f32 v26, v27, v26, 1.0
	ds_store_b32 v74, v26
.LBB120_1183:                           ;   in Loop: Header=BB120_3 Depth=1
	s_or_b32 exec_lo, exec_lo, s45
	s_and_not1_saveexec_b32 s45, s82
	s_cbranch_execz .LBB120_18
.LBB120_1184:                           ;   in Loop: Header=BB120_3 Depth=1
	v_lshl_add_u64 v[26:27], v[10:11], 2, v[24:25]
	flat_load_b32 v26, v[26:27]
	s_wait_loadcnt_dscnt 0x0
	v_xor_b32_e32 v26, 0x80000000, v26
	ds_store_b32 v74, v26
	s_or_b32 exec_lo, exec_lo, s45
	s_and_saveexec_b32 s45, s9
	s_delay_alu instid0(SALU_CYCLE_1)
	s_xor_b32 s82, exec_lo, s45
	s_cbranch_execz .LBB120_19
.LBB120_1185:                           ;   in Loop: Header=BB120_3 Depth=1
	s_mov_b32 s45, exec_lo
	v_readlane_b32 s46, v91, 19
	s_and_b32 s46, s45, s46
	s_delay_alu instid0(SALU_CYCLE_1)
	s_xor_b32 s45, s46, s45
	s_mov_b32 exec_lo, s46
	s_cbranch_execz .LBB120_1189
; %bb.1186:                             ;   in Loop: Header=BB120_3 Depth=1
	s_mov_b32 s46, exec_lo
	v_readlane_b32 s47, v90, 27
	s_and_b32 s47, s46, s47
	s_delay_alu instid0(SALU_CYCLE_1)
	s_mov_b32 exec_lo, s47
; %bb.1187:                             ;   in Loop: Header=BB120_3 Depth=1
	ds_store_b32 v75, v5
; %bb.1188:                             ;   in Loop: Header=BB120_3 Depth=1
	s_or_b32 exec_lo, exec_lo, s46
.LBB120_1189:                           ;   in Loop: Header=BB120_3 Depth=1
	s_and_not1_saveexec_b32 s45, s45
	s_cbranch_execz .LBB120_1191
; %bb.1190:                             ;   in Loop: Header=BB120_3 Depth=1
	v_lshl_add_u64 v[26:27], v[12:13], 2, v[24:25]
	flat_load_b32 v26, v[26:27]
	s_wait_loadcnt_dscnt 0x0
	v_div_scale_f32 v27, null, v26, v26, 1.0
	s_delay_alu instid0(VALU_DEP_1) | instskip(SKIP_1) | instid1(TRANS32_DEP_1)
	v_rcp_f32_e32 v84, v27
	v_nop
	v_fma_f32 v85, -v27, v84, 1.0
	s_delay_alu instid0(VALU_DEP_1) | instskip(SKIP_1) | instid1(VALU_DEP_1)
	v_fmac_f32_e32 v84, v85, v84
	v_div_scale_f32 v85, vcc_lo, 1.0, v26, 1.0
	v_mul_f32_e32 v86, v85, v84
	s_delay_alu instid0(VALU_DEP_1) | instskip(NEXT) | instid1(VALU_DEP_1)
	v_fma_f32 v87, -v27, v86, v85
	v_fmac_f32_e32 v86, v87, v84
	s_delay_alu instid0(VALU_DEP_1) | instskip(NEXT) | instid1(VALU_DEP_1)
	v_fma_f32 v27, -v27, v86, v85
	v_div_fmas_f32 v27, v27, v84, v86
	s_delay_alu instid0(VALU_DEP_1)
	v_div_fixup_f32 v26, v27, v26, 1.0
	ds_store_b32 v75, v26
.LBB120_1191:                           ;   in Loop: Header=BB120_3 Depth=1
	s_or_b32 exec_lo, exec_lo, s45
	s_and_not1_saveexec_b32 s45, s82
	s_cbranch_execz .LBB120_20
.LBB120_1192:                           ;   in Loop: Header=BB120_3 Depth=1
	v_lshl_add_u64 v[26:27], v[12:13], 2, v[24:25]
	flat_load_b32 v26, v[26:27]
	s_wait_loadcnt_dscnt 0x0
	v_xor_b32_e32 v26, 0x80000000, v26
	ds_store_b32 v75, v26
	s_or_b32 exec_lo, exec_lo, s45
	s_and_saveexec_b32 s45, s10
	s_delay_alu instid0(SALU_CYCLE_1)
	s_xor_b32 s82, exec_lo, s45
	s_cbranch_execz .LBB120_21
.LBB120_1193:                           ;   in Loop: Header=BB120_3 Depth=1
	s_mov_b32 s45, exec_lo
	v_readlane_b32 s46, v91, 21
	s_and_b32 s46, s45, s46
	s_delay_alu instid0(SALU_CYCLE_1)
	s_xor_b32 s45, s46, s45
	s_mov_b32 exec_lo, s46
	s_cbranch_execz .LBB120_1197
; %bb.1194:                             ;   in Loop: Header=BB120_3 Depth=1
	s_mov_b32 s46, exec_lo
	v_readlane_b32 s47, v90, 28
	s_and_b32 s47, s46, s47
	s_delay_alu instid0(SALU_CYCLE_1)
	s_mov_b32 exec_lo, s47
; %bb.1195:                             ;   in Loop: Header=BB120_3 Depth=1
	ds_store_b32 v76, v5
; %bb.1196:                             ;   in Loop: Header=BB120_3 Depth=1
	s_or_b32 exec_lo, exec_lo, s46
.LBB120_1197:                           ;   in Loop: Header=BB120_3 Depth=1
	s_and_not1_saveexec_b32 s45, s45
	s_cbranch_execz .LBB120_1199
; %bb.1198:                             ;   in Loop: Header=BB120_3 Depth=1
	v_lshl_add_u64 v[26:27], v[14:15], 2, v[24:25]
	flat_load_b32 v26, v[26:27]
	s_wait_loadcnt_dscnt 0x0
	v_div_scale_f32 v27, null, v26, v26, 1.0
	s_delay_alu instid0(VALU_DEP_1) | instskip(SKIP_1) | instid1(TRANS32_DEP_1)
	v_rcp_f32_e32 v84, v27
	v_nop
	v_fma_f32 v85, -v27, v84, 1.0
	s_delay_alu instid0(VALU_DEP_1) | instskip(SKIP_1) | instid1(VALU_DEP_1)
	v_fmac_f32_e32 v84, v85, v84
	v_div_scale_f32 v85, vcc_lo, 1.0, v26, 1.0
	v_mul_f32_e32 v86, v85, v84
	s_delay_alu instid0(VALU_DEP_1) | instskip(NEXT) | instid1(VALU_DEP_1)
	v_fma_f32 v87, -v27, v86, v85
	v_fmac_f32_e32 v86, v87, v84
	s_delay_alu instid0(VALU_DEP_1) | instskip(NEXT) | instid1(VALU_DEP_1)
	v_fma_f32 v27, -v27, v86, v85
	v_div_fmas_f32 v27, v27, v84, v86
	s_delay_alu instid0(VALU_DEP_1)
	v_div_fixup_f32 v26, v27, v26, 1.0
	ds_store_b32 v76, v26
.LBB120_1199:                           ;   in Loop: Header=BB120_3 Depth=1
	s_or_b32 exec_lo, exec_lo, s45
	s_and_not1_saveexec_b32 s45, s82
	s_cbranch_execnz .LBB120_22
	s_branch .LBB120_23
.LBB120_1200:                           ;   in Loop: Header=BB120_3 Depth=1
	ds_load_b32 v20, v71
	ds_load_b32 v21, v68
	s_wait_dscnt 0x0
	v_fma_f32 v20, v20, v21, 0
	s_or_b32 exec_lo, exec_lo, s45
	s_and_saveexec_b32 s45, s8
	s_cbranch_execz .LBB120_1139
.LBB120_1201:                           ;   in Loop: Header=BB120_3 Depth=1
	ds_load_b32 v21, v71 offset:4096
	ds_load_b32 v24, v68 offset:64
	s_wait_dscnt 0x0
	v_fmac_f32_e32 v20, v21, v24
	s_or_b32 exec_lo, exec_lo, s45
	s_and_saveexec_b32 s45, s9
	s_cbranch_execz .LBB120_1140
.LBB120_1202:                           ;   in Loop: Header=BB120_3 Depth=1
	ds_load_b32 v21, v71 offset:8192
	ds_load_b32 v24, v68 offset:128
	s_wait_dscnt 0x0
	v_fmac_f32_e32 v20, v21, v24
	s_or_b32 exec_lo, exec_lo, s45
	s_and_saveexec_b32 s45, s10
	s_cbranch_execnz .LBB120_1141
	s_branch .LBB120_1142
.LBB120_1203:                           ;   in Loop: Header=BB120_3 Depth=1
	s_or_b32 exec_lo, exec_lo, s87
	s_delay_alu instid0(SALU_CYCLE_1)
	s_and_b32 vcc_lo, exec_lo, s83
	s_cbranch_vccnz .LBB120_1145
.LBB120_1204:                           ;   in Loop: Header=BB120_3 Depth=1
	v_mov_b32_e32 v84, v21
	s_and_saveexec_b32 s45, s82
	s_cbranch_execnz .LBB120_1166
	s_branch .LBB120_1167
.LBB120_1205:                           ;   in Loop: Header=BB120_3 Depth=1
	s_and_not1_b32 s46, s82, exec_lo
	s_and_b32 s47, s3, exec_lo
	s_delay_alu instid0(SALU_CYCLE_1)
	s_or_b32 s82, s46, s47
	s_cbranch_execnz .LBB120_1165
.LBB120_1206:                           ;   in Loop: Header=BB120_3 Depth=1
	v_readlane_b32 s46, v91, 6
	s_and_not1_b32 s45, s82, exec_lo
	s_and_b32 s46, s46, exec_lo
	s_delay_alu instid0(SALU_CYCLE_1) | instskip(NEXT) | instid1(SALU_CYCLE_1)
	s_or_b32 s82, s45, s46
	s_and_saveexec_b32 s45, s82
	s_cbranch_execnz .LBB120_1166
	s_branch .LBB120_1167
.LBB120_1207:                           ;   in Loop: Header=BB120_3 Depth=1
	ds_load_b32 v25, v37 offset:272
	ds_load_b32 v26, v31 offset:4
	s_wait_dscnt 0x0
	v_fmac_f32_e32 v24, v25, v26
	s_or_b32 exec_lo, exec_lo, s45
	s_and_saveexec_b32 s45, s18
	s_cbranch_execz .LBB120_88
.LBB120_1208:                           ;   in Loop: Header=BB120_3 Depth=1
	ds_load_b32 v25, v36 offset:528
	ds_load_b32 v26, v31 offset:8
	s_wait_dscnt 0x0
	v_fmac_f32_e32 v24, v25, v26
	s_or_b32 exec_lo, exec_lo, s45
	s_and_saveexec_b32 s45, s2
	s_cbranch_execnz .LBB120_89
	s_branch .LBB120_90
.LBB120_1209:                           ;   in Loop: Header=BB120_3 Depth=1
	ds_load_b32 v25, v43 offset:288
	ds_load_b32 v26, v39 offset:4
	s_wait_dscnt 0x0
	v_fmac_f32_e32 v24, v25, v26
	s_or_b32 exec_lo, exec_lo, s45
	s_and_saveexec_b32 s45, s20
	s_cbranch_execz .LBB120_130
.LBB120_1210:                           ;   in Loop: Header=BB120_3 Depth=1
	ds_load_b32 v25, v43 offset:544
	ds_load_b32 v26, v39 offset:8
	s_wait_dscnt 0x0
	v_fmac_f32_e32 v24, v25, v26
	s_or_b32 exec_lo, exec_lo, s45
	s_and_saveexec_b32 s45, s21
	s_cbranch_execz .LBB120_131
.LBB120_1211:                           ;   in Loop: Header=BB120_3 Depth=1
	ds_load_b32 v25, v43 offset:800
	ds_load_b32 v26, v39 offset:12
	s_wait_dscnt 0x0
	v_fmac_f32_e32 v24, v25, v26
	s_or_b32 exec_lo, exec_lo, s45
	s_and_saveexec_b32 s45, s22
	s_cbranch_execz .LBB120_132
.LBB120_1212:                           ;   in Loop: Header=BB120_3 Depth=1
	ds_load_b32 v25, v42 offset:1056
	ds_load_b32 v26, v39 offset:16
	s_wait_dscnt 0x0
	v_fmac_f32_e32 v24, v25, v26
	s_or_b32 exec_lo, exec_lo, s45
	s_and_saveexec_b32 s45, s23
	s_cbranch_execz .LBB120_133
.LBB120_1213:                           ;   in Loop: Header=BB120_3 Depth=1
	ds_load_b32 v25, v43 offset:1312
	ds_load_b32 v26, v39 offset:20
	s_wait_dscnt 0x0
	v_fmac_f32_e32 v24, v25, v26
	s_or_b32 exec_lo, exec_lo, s45
	s_and_saveexec_b32 s45, s4
	s_cbranch_execz .LBB120_134
.LBB120_1214:                           ;   in Loop: Header=BB120_3 Depth=1
	ds_load_b32 v25, v42 offset:1568
	ds_load_b32 v26, v39 offset:24
	s_wait_dscnt 0x0
	v_fmac_f32_e32 v24, v25, v26
	s_or_b32 exec_lo, exec_lo, s45
	s_and_saveexec_b32 s45, s18
	s_cbranch_execnz .LBB120_135
	s_branch .LBB120_136
.LBB120_1215:                           ;   in Loop: Header=BB120_3 Depth=1
	ds_load_b32 v25, v37 offset:2352
	ds_load_b32 v26, v31 offset:2084
	s_wait_dscnt 0x0
	v_fmac_f32_e32 v24, v25, v26
	s_or_b32 exec_lo, exec_lo, s45
	s_and_saveexec_b32 s45, s18
	s_cbranch_execz .LBB120_192
.LBB120_1216:                           ;   in Loop: Header=BB120_3 Depth=1
	ds_load_b32 v25, v36 offset:2608
	ds_load_b32 v26, v31 offset:2088
	s_wait_dscnt 0x0
	v_fmac_f32_e32 v24, v25, v26
	s_or_b32 exec_lo, exec_lo, s45
	s_and_saveexec_b32 s45, s2
	s_cbranch_execnz .LBB120_193
	s_branch .LBB120_194
.LBB120_1217:                           ;   in Loop: Header=BB120_3 Depth=1
	ds_load_b32 v25, v48 offset:2880
	ds_load_b32 v26, v44 offset:44
	s_wait_dscnt 0x0
	v_fmac_f32_e32 v24, v25, v26
	s_or_b32 exec_lo, exec_lo, s45
	s_and_saveexec_b32 s45, s5
	s_cbranch_execz .LBB120_254
.LBB120_1218:                           ;   in Loop: Header=BB120_3 Depth=1
	ds_load_b32 v25, v47 offset:3136
	ds_load_b32 v26, v44 offset:48
	s_wait_dscnt 0x0
	v_fmac_f32_e32 v24, v25, v26
	s_or_b32 exec_lo, exec_lo, s45
	s_and_saveexec_b32 s45, s20
	s_cbranch_execz .LBB120_255
.LBB120_1219:                           ;   in Loop: Header=BB120_3 Depth=1
	ds_load_b32 v25, v48 offset:3392
	ds_load_b32 v26, v44 offset:52
	s_wait_dscnt 0x0
	v_fmac_f32_e32 v24, v25, v26
	s_or_b32 exec_lo, exec_lo, s45
	s_and_saveexec_b32 s45, s22
	s_cbranch_execz .LBB120_256
.LBB120_1220:                           ;   in Loop: Header=BB120_3 Depth=1
	ds_load_b32 v25, v47 offset:3648
	ds_load_b32 v26, v44 offset:56
	s_wait_dscnt 0x0
	v_fmac_f32_e32 v24, v25, v26
	s_or_b32 exec_lo, exec_lo, s45
	s_and_saveexec_b32 s45, s4
	s_cbranch_execnz .LBB120_257
	s_branch .LBB120_258
.LBB120_1221:                           ;   in Loop: Header=BB120_3 Depth=1
	ds_load_b32 v25, v37 offset:4432
	ds_load_b32 v26, v31 offset:4164
	s_wait_dscnt 0x0
	v_fmac_f32_e32 v24, v25, v26
	s_or_b32 exec_lo, exec_lo, s45
	s_and_saveexec_b32 s45, s18
	s_cbranch_execz .LBB120_346
.LBB120_1222:                           ;   in Loop: Header=BB120_3 Depth=1
	ds_load_b32 v25, v36 offset:4688
	ds_load_b32 v26, v31 offset:4168
	s_wait_dscnt 0x0
	v_fmac_f32_e32 v24, v25, v26
	s_or_b32 exec_lo, exec_lo, s45
	s_and_saveexec_b32 s45, s2
	s_cbranch_execnz .LBB120_347
	s_branch .LBB120_348
.LBB120_1223:                           ;   in Loop: Header=BB120_3 Depth=1
	ds_load_b32 v25, v43 offset:4448
	ds_load_b32 v26, v39 offset:4164
	s_wait_dscnt 0x0
	v_fmac_f32_e32 v24, v25, v26
	s_or_b32 exec_lo, exec_lo, s45
	s_and_saveexec_b32 s45, s20
	s_cbranch_execz .LBB120_388
.LBB120_1224:                           ;   in Loop: Header=BB120_3 Depth=1
	ds_load_b32 v25, v43 offset:4704
	ds_load_b32 v26, v39 offset:4168
	s_wait_dscnt 0x0
	v_fmac_f32_e32 v24, v25, v26
	s_or_b32 exec_lo, exec_lo, s45
	s_and_saveexec_b32 s45, s21
	s_cbranch_execz .LBB120_389
.LBB120_1225:                           ;   in Loop: Header=BB120_3 Depth=1
	ds_load_b32 v25, v43 offset:4960
	ds_load_b32 v26, v39 offset:4172
	s_wait_dscnt 0x0
	v_fmac_f32_e32 v24, v25, v26
	s_or_b32 exec_lo, exec_lo, s45
	s_and_saveexec_b32 s45, s22
	s_cbranch_execz .LBB120_390
.LBB120_1226:                           ;   in Loop: Header=BB120_3 Depth=1
	ds_load_b32 v25, v42 offset:5216
	ds_load_b32 v26, v39 offset:4176
	s_wait_dscnt 0x0
	v_fmac_f32_e32 v24, v25, v26
	s_or_b32 exec_lo, exec_lo, s45
	s_and_saveexec_b32 s45, s23
	s_cbranch_execz .LBB120_391
.LBB120_1227:                           ;   in Loop: Header=BB120_3 Depth=1
	ds_load_b32 v25, v43 offset:5472
	ds_load_b32 v26, v39 offset:4180
	s_wait_dscnt 0x0
	v_fmac_f32_e32 v24, v25, v26
	s_or_b32 exec_lo, exec_lo, s45
	s_and_saveexec_b32 s45, s4
	s_cbranch_execz .LBB120_392
.LBB120_1228:                           ;   in Loop: Header=BB120_3 Depth=1
	ds_load_b32 v25, v42 offset:5728
	ds_load_b32 v26, v39 offset:4184
	s_wait_dscnt 0x0
	v_fmac_f32_e32 v24, v25, v26
	s_or_b32 exec_lo, exec_lo, s45
	s_and_saveexec_b32 s45, s18
	s_cbranch_execnz .LBB120_393
	s_branch .LBB120_394
.LBB120_1229:                           ;   in Loop: Header=BB120_3 Depth=1
	ds_load_b32 v25, v37 offset:6512
	ds_load_b32 v26, v31 offset:6244
	s_wait_dscnt 0x0
	v_fmac_f32_e32 v24, v25, v26
	s_or_b32 exec_lo, exec_lo, s45
	s_and_saveexec_b32 s45, s18
	s_cbranch_execz .LBB120_450
.LBB120_1230:                           ;   in Loop: Header=BB120_3 Depth=1
	ds_load_b32 v25, v36 offset:6768
	ds_load_b32 v26, v31 offset:6248
	s_wait_dscnt 0x0
	v_fmac_f32_e32 v24, v25, v26
	s_or_b32 exec_lo, exec_lo, s45
	s_and_saveexec_b32 s45, s2
	s_cbranch_execnz .LBB120_451
	s_branch .LBB120_452
.LBB120_1231:                           ;   in Loop: Header=BB120_3 Depth=1
	ds_load_b32 v26, v64 offset:7552
	ds_load_b32 v27, v25 offset:116
	s_wait_dscnt 0x0
	v_fmac_f32_e32 v24, v26, v27
	s_or_b32 exec_lo, exec_lo, s45
	s_and_saveexec_b32 s45, s5
	s_cbranch_execz .LBB120_548
.LBB120_1232:                           ;   in Loop: Header=BB120_3 Depth=1
	ds_load_b32 v26, v64 offset:7808
	ds_load_b32 v25, v25 offset:120
	s_wait_dscnt 0x0
	v_fmac_f32_e32 v24, v26, v25
	s_or_b32 exec_lo, exec_lo, s45
	s_and_saveexec_b32 s45, s22
	s_cbranch_execnz .LBB120_549
	s_branch .LBB120_550
.LBB120_1233:                           ;   in Loop: Header=BB120_3 Depth=1
	ds_load_b32 v25, v37 offset:8592
	ds_load_b32 v26, v31 offset:8324
	s_wait_dscnt 0x0
	v_fmac_f32_e32 v24, v25, v26
	s_or_b32 exec_lo, exec_lo, s45
	s_and_saveexec_b32 s45, s18
	s_cbranch_execz .LBB120_702
.LBB120_1234:                           ;   in Loop: Header=BB120_3 Depth=1
	ds_load_b32 v25, v36 offset:8848
	ds_load_b32 v26, v31 offset:8328
	s_wait_dscnt 0x0
	v_fmac_f32_e32 v24, v25, v26
	s_or_b32 exec_lo, exec_lo, s45
	s_and_saveexec_b32 s45, s2
	s_cbranch_execnz .LBB120_703
	s_branch .LBB120_704
.LBB120_1235:                           ;   in Loop: Header=BB120_3 Depth=1
	ds_load_b32 v25, v43 offset:8608
	ds_load_b32 v26, v39 offset:8324
	s_wait_dscnt 0x0
	v_fmac_f32_e32 v24, v25, v26
	s_or_b32 exec_lo, exec_lo, s45
	s_and_saveexec_b32 s45, s20
	s_cbranch_execz .LBB120_744
.LBB120_1236:                           ;   in Loop: Header=BB120_3 Depth=1
	ds_load_b32 v25, v43 offset:8864
	ds_load_b32 v26, v39 offset:8328
	s_wait_dscnt 0x0
	v_fmac_f32_e32 v24, v25, v26
	s_or_b32 exec_lo, exec_lo, s45
	s_and_saveexec_b32 s45, s21
	s_cbranch_execz .LBB120_745
.LBB120_1237:                           ;   in Loop: Header=BB120_3 Depth=1
	ds_load_b32 v25, v43 offset:9120
	ds_load_b32 v26, v39 offset:8332
	s_wait_dscnt 0x0
	v_fmac_f32_e32 v24, v25, v26
	s_or_b32 exec_lo, exec_lo, s45
	s_and_saveexec_b32 s45, s22
	s_cbranch_execz .LBB120_746
.LBB120_1238:                           ;   in Loop: Header=BB120_3 Depth=1
	ds_load_b32 v25, v42 offset:9376
	ds_load_b32 v26, v39 offset:8336
	s_wait_dscnt 0x0
	v_fmac_f32_e32 v24, v25, v26
	s_or_b32 exec_lo, exec_lo, s45
	s_and_saveexec_b32 s45, s23
	s_cbranch_execz .LBB120_747
.LBB120_1239:                           ;   in Loop: Header=BB120_3 Depth=1
	ds_load_b32 v25, v43 offset:9632
	ds_load_b32 v26, v39 offset:8340
	s_wait_dscnt 0x0
	v_fmac_f32_e32 v24, v25, v26
	s_or_b32 exec_lo, exec_lo, s45
	s_and_saveexec_b32 s45, s4
	s_cbranch_execz .LBB120_748
.LBB120_1240:                           ;   in Loop: Header=BB120_3 Depth=1
	ds_load_b32 v25, v42 offset:9888
	ds_load_b32 v26, v39 offset:8344
	s_wait_dscnt 0x0
	v_fmac_f32_e32 v24, v25, v26
	s_or_b32 exec_lo, exec_lo, s45
	s_and_saveexec_b32 s45, s18
	s_cbranch_execnz .LBB120_749
	s_branch .LBB120_750
.LBB120_1241:                           ;   in Loop: Header=BB120_3 Depth=1
	ds_load_b32 v25, v37 offset:10672
	ds_load_b32 v26, v31 offset:10404
	s_wait_dscnt 0x0
	v_fmac_f32_e32 v24, v25, v26
	s_or_b32 exec_lo, exec_lo, s45
	s_and_saveexec_b32 s45, s18
	s_cbranch_execz .LBB120_806
.LBB120_1242:                           ;   in Loop: Header=BB120_3 Depth=1
	ds_load_b32 v25, v36 offset:10928
	ds_load_b32 v26, v31 offset:10408
	s_wait_dscnt 0x0
	v_fmac_f32_e32 v24, v25, v26
	s_or_b32 exec_lo, exec_lo, s45
	s_and_saveexec_b32 s45, s2
	s_cbranch_execnz .LBB120_807
	s_branch .LBB120_808
.LBB120_1243:                           ;   in Loop: Header=BB120_3 Depth=1
	ds_load_b32 v25, v48 offset:11200
	ds_load_b32 v26, v44 offset:8364
	s_wait_dscnt 0x0
	v_fmac_f32_e32 v24, v25, v26
	s_or_b32 exec_lo, exec_lo, s45
	s_and_saveexec_b32 s45, s5
	s_cbranch_execz .LBB120_868
.LBB120_1244:                           ;   in Loop: Header=BB120_3 Depth=1
	ds_load_b32 v25, v47 offset:11456
	ds_load_b32 v26, v44 offset:8368
	s_wait_dscnt 0x0
	v_fmac_f32_e32 v24, v25, v26
	s_or_b32 exec_lo, exec_lo, s45
	s_and_saveexec_b32 s45, s20
	s_cbranch_execz .LBB120_869
.LBB120_1245:                           ;   in Loop: Header=BB120_3 Depth=1
	ds_load_b32 v25, v48 offset:11712
	ds_load_b32 v26, v44 offset:8372
	s_wait_dscnt 0x0
	v_fmac_f32_e32 v24, v25, v26
	s_or_b32 exec_lo, exec_lo, s45
	s_and_saveexec_b32 s45, s22
	s_cbranch_execz .LBB120_870
.LBB120_1246:                           ;   in Loop: Header=BB120_3 Depth=1
	ds_load_b32 v25, v47 offset:11968
	ds_load_b32 v26, v44 offset:8376
	s_wait_dscnt 0x0
	v_fmac_f32_e32 v24, v25, v26
	s_or_b32 exec_lo, exec_lo, s45
	s_and_saveexec_b32 s45, s4
	s_cbranch_execnz .LBB120_871
	s_branch .LBB120_872
.LBB120_1247:                           ;   in Loop: Header=BB120_3 Depth=1
	ds_load_b32 v25, v37 offset:12752
	ds_load_b32 v26, v31 offset:12484
	s_wait_dscnt 0x0
	v_fmac_f32_e32 v24, v25, v26
	s_or_b32 exec_lo, exec_lo, s45
	s_and_saveexec_b32 s45, s18
	s_cbranch_execz .LBB120_960
.LBB120_1248:                           ;   in Loop: Header=BB120_3 Depth=1
	ds_load_b32 v25, v36 offset:13008
	ds_load_b32 v26, v31 offset:12488
	s_wait_dscnt 0x0
	v_fmac_f32_e32 v24, v25, v26
	s_or_b32 exec_lo, exec_lo, s45
	s_and_saveexec_b32 s45, s2
	s_cbranch_execnz .LBB120_961
	s_branch .LBB120_962
.LBB120_1249:                           ;   in Loop: Header=BB120_3 Depth=1
	ds_load_b32 v25, v43 offset:12768
	ds_load_b32 v26, v39 offset:12484
	s_wait_dscnt 0x0
	v_fmac_f32_e32 v24, v25, v26
	s_or_b32 exec_lo, exec_lo, s45
	s_and_saveexec_b32 s45, s20
	s_cbranch_execz .LBB120_1002
.LBB120_1250:                           ;   in Loop: Header=BB120_3 Depth=1
	ds_load_b32 v25, v43 offset:13024
	ds_load_b32 v26, v39 offset:12488
	s_wait_dscnt 0x0
	v_fmac_f32_e32 v24, v25, v26
	s_or_b32 exec_lo, exec_lo, s45
	s_and_saveexec_b32 s45, s21
	s_cbranch_execz .LBB120_1003
.LBB120_1251:                           ;   in Loop: Header=BB120_3 Depth=1
	ds_load_b32 v25, v43 offset:13280
	ds_load_b32 v26, v39 offset:12492
	s_wait_dscnt 0x0
	v_fmac_f32_e32 v24, v25, v26
	s_or_b32 exec_lo, exec_lo, s45
	s_and_saveexec_b32 s45, s22
	s_cbranch_execz .LBB120_1004
.LBB120_1252:                           ;   in Loop: Header=BB120_3 Depth=1
	ds_load_b32 v25, v42 offset:13536
	ds_load_b32 v26, v39 offset:12496
	s_wait_dscnt 0x0
	v_fmac_f32_e32 v24, v25, v26
	s_or_b32 exec_lo, exec_lo, s45
	s_and_saveexec_b32 s45, s23
	s_cbranch_execz .LBB120_1005
.LBB120_1253:                           ;   in Loop: Header=BB120_3 Depth=1
	ds_load_b32 v25, v43 offset:13792
	ds_load_b32 v26, v39 offset:12500
	s_wait_dscnt 0x0
	v_fmac_f32_e32 v24, v25, v26
	s_or_b32 exec_lo, exec_lo, s45
	s_and_saveexec_b32 s45, s4
	s_cbranch_execz .LBB120_1006
.LBB120_1254:                           ;   in Loop: Header=BB120_3 Depth=1
	ds_load_b32 v25, v42 offset:14048
	ds_load_b32 v26, v39 offset:12504
	s_wait_dscnt 0x0
	v_fmac_f32_e32 v24, v25, v26
	s_or_b32 exec_lo, exec_lo, s45
	s_and_saveexec_b32 s45, s18
	s_cbranch_execnz .LBB120_1007
	s_branch .LBB120_1008
.LBB120_1255:                           ;   in Loop: Header=BB120_3 Depth=1
	ds_load_b32 v25, v37 offset:14832
	ds_load_b32 v26, v31 offset:14564
	s_wait_dscnt 0x0
	v_fmac_f32_e32 v24, v25, v26
	s_or_b32 exec_lo, exec_lo, s45
	s_and_saveexec_b32 s45, s18
	s_cbranch_execz .LBB120_1064
.LBB120_1256:                           ;   in Loop: Header=BB120_3 Depth=1
	ds_load_b32 v25, v36 offset:15088
	ds_load_b32 v26, v31 offset:14568
	s_wait_dscnt 0x0
	v_fmac_f32_e32 v24, v25, v26
	s_or_b32 exec_lo, exec_lo, s45
	s_and_saveexec_b32 s45, s2
	s_cbranch_execnz .LBB120_1065
	s_branch .LBB120_1066
.LBB120_1257:
	s_endpgm
	.section	.rodata,"a",@progbits
	.p2align	6, 0x0
	.amdhsa_kernel _ZL19rocblas_trsv_deviceILi64ELi16ELb1ELb1ELb1ELb0EffPKPKfPKPfEviT7_lllT6_T8_lllPii
		.amdhsa_group_segment_fixed_size 20740
		.amdhsa_private_segment_fixed_size 0
		.amdhsa_kernarg_size 352
		.amdhsa_user_sgpr_count 2
		.amdhsa_user_sgpr_dispatch_ptr 0
		.amdhsa_user_sgpr_queue_ptr 0
		.amdhsa_user_sgpr_kernarg_segment_ptr 1
		.amdhsa_user_sgpr_dispatch_id 0
		.amdhsa_user_sgpr_kernarg_preload_length 0
		.amdhsa_user_sgpr_kernarg_preload_offset 0
		.amdhsa_user_sgpr_private_segment_size 0
		.amdhsa_wavefront_size32 1
		.amdhsa_uses_dynamic_stack 0
		.amdhsa_enable_private_segment 0
		.amdhsa_system_sgpr_workgroup_id_x 1
		.amdhsa_system_sgpr_workgroup_id_y 0
		.amdhsa_system_sgpr_workgroup_id_z 1
		.amdhsa_system_sgpr_workgroup_info 0
		.amdhsa_system_vgpr_workitem_id 1
		.amdhsa_next_free_vgpr 94
		.amdhsa_next_free_sgpr 105
		.amdhsa_named_barrier_count 0
		.amdhsa_reserve_vcc 1
		.amdhsa_float_round_mode_32 0
		.amdhsa_float_round_mode_16_64 0
		.amdhsa_float_denorm_mode_32 3
		.amdhsa_float_denorm_mode_16_64 3
		.amdhsa_fp16_overflow 0
		.amdhsa_memory_ordered 1
		.amdhsa_forward_progress 1
		.amdhsa_inst_pref_size 255
		.amdhsa_round_robin_scheduling 0
		.amdhsa_exception_fp_ieee_invalid_op 0
		.amdhsa_exception_fp_denorm_src 0
		.amdhsa_exception_fp_ieee_div_zero 0
		.amdhsa_exception_fp_ieee_overflow 0
		.amdhsa_exception_fp_ieee_underflow 0
		.amdhsa_exception_fp_ieee_inexact 0
		.amdhsa_exception_int_div_zero 0
	.end_amdhsa_kernel
	.section	.text._ZL19rocblas_trsv_deviceILi64ELi16ELb1ELb1ELb1ELb0EffPKPKfPKPfEviT7_lllT6_T8_lllPii,"axG",@progbits,_ZL19rocblas_trsv_deviceILi64ELi16ELb1ELb1ELb1ELb0EffPKPKfPKPfEviT7_lllT6_T8_lllPii,comdat
.Lfunc_end120:
	.size	_ZL19rocblas_trsv_deviceILi64ELi16ELb1ELb1ELb1ELb0EffPKPKfPKPfEviT7_lllT6_T8_lllPii, .Lfunc_end120-_ZL19rocblas_trsv_deviceILi64ELi16ELb1ELb1ELb1ELb0EffPKPKfPKPfEviT7_lllT6_T8_lllPii
                                        ; -- End function
	.set _ZL19rocblas_trsv_deviceILi64ELi16ELb1ELb1ELb1ELb0EffPKPKfPKPfEviT7_lllT6_T8_lllPii.num_vgpr, 94
	.set _ZL19rocblas_trsv_deviceILi64ELi16ELb1ELb1ELb1ELb0EffPKPKfPKPfEviT7_lllT6_T8_lllPii.num_agpr, 0
	.set _ZL19rocblas_trsv_deviceILi64ELi16ELb1ELb1ELb1ELb0EffPKPKfPKPfEviT7_lllT6_T8_lllPii.numbered_sgpr, 105
	.set _ZL19rocblas_trsv_deviceILi64ELi16ELb1ELb1ELb1ELb0EffPKPKfPKPfEviT7_lllT6_T8_lllPii.num_named_barrier, 0
	.set _ZL19rocblas_trsv_deviceILi64ELi16ELb1ELb1ELb1ELb0EffPKPKfPKPfEviT7_lllT6_T8_lllPii.private_seg_size, 0
	.set _ZL19rocblas_trsv_deviceILi64ELi16ELb1ELb1ELb1ELb0EffPKPKfPKPfEviT7_lllT6_T8_lllPii.uses_vcc, 1
	.set _ZL19rocblas_trsv_deviceILi64ELi16ELb1ELb1ELb1ELb0EffPKPKfPKPfEviT7_lllT6_T8_lllPii.uses_flat_scratch, 0
	.set _ZL19rocblas_trsv_deviceILi64ELi16ELb1ELb1ELb1ELb0EffPKPKfPKPfEviT7_lllT6_T8_lllPii.has_dyn_sized_stack, 0
	.set _ZL19rocblas_trsv_deviceILi64ELi16ELb1ELb1ELb1ELb0EffPKPKfPKPfEviT7_lllT6_T8_lllPii.has_recursion, 0
	.set _ZL19rocblas_trsv_deviceILi64ELi16ELb1ELb1ELb1ELb0EffPKPKfPKPfEviT7_lllT6_T8_lllPii.has_indirect_call, 0
	.section	.AMDGPU.csdata,"",@progbits
; Kernel info:
; codeLenInByte = 40144
; TotalNumSgprs: 107
; NumVgprs: 94
; ScratchSize: 0
; MemoryBound: 0
; FloatMode: 240
; IeeeMode: 1
; LDSByteSize: 20740 bytes/workgroup (compile time only)
; SGPRBlocks: 0
; VGPRBlocks: 5
; NumSGPRsForWavesPerEU: 107
; NumVGPRsForWavesPerEU: 94
; NamedBarCnt: 0
; Occupancy: 10
; WaveLimiterHint : 1
; COMPUTE_PGM_RSRC2:SCRATCH_EN: 0
; COMPUTE_PGM_RSRC2:USER_SGPR: 2
; COMPUTE_PGM_RSRC2:TRAP_HANDLER: 0
; COMPUTE_PGM_RSRC2:TGID_X_EN: 1
; COMPUTE_PGM_RSRC2:TGID_Y_EN: 0
; COMPUTE_PGM_RSRC2:TGID_Z_EN: 1
; COMPUTE_PGM_RSRC2:TIDIG_COMP_CNT: 1
	.section	.text._ZL19rocblas_trsv_deviceILi64ELi16ELb0ELb0ELb0ELb1EdPKdPKS1_PKPdEviT7_lllT6_T8_lllPii,"axG",@progbits,_ZL19rocblas_trsv_deviceILi64ELi16ELb0ELb0ELb0ELb1EdPKdPKS1_PKPdEviT7_lllT6_T8_lllPii,comdat
	.globl	_ZL19rocblas_trsv_deviceILi64ELi16ELb0ELb0ELb0ELb1EdPKdPKS1_PKPdEviT7_lllT6_T8_lllPii ; -- Begin function _ZL19rocblas_trsv_deviceILi64ELi16ELb0ELb0ELb0ELb1EdPKdPKS1_PKPdEviT7_lllT6_T8_lllPii
	.p2align	8
	.type	_ZL19rocblas_trsv_deviceILi64ELi16ELb0ELb0ELb0ELb1EdPKdPKS1_PKPdEviT7_lllT6_T8_lllPii,@function
_ZL19rocblas_trsv_deviceILi64ELi16ELb0ELb0ELb0ELb1EdPKdPKS1_PKPdEviT7_lllT6_T8_lllPii: ; @_ZL19rocblas_trsv_deviceILi64ELi16ELb0ELb0ELb0ELb1EdPKdPKS1_PKPdEviT7_lllT6_T8_lllPii
; %bb.0:
	s_load_b32 s65, s[0:1], 0x58
	s_bfe_u32 s2, ttmp6, 0x40014
	s_lshr_b32 s3, ttmp7, 16
	s_add_co_i32 s2, s2, 1
	s_bfe_u32 s5, ttmp6, 0x40008
	s_mul_i32 s4, s3, s2
	s_getreg_b32 s2, hwreg(HW_REG_IB_STS2, 6, 4)
	s_add_co_i32 s5, s5, s4
	s_cmp_eq_u32 s2, 0
	s_mov_b32 s67, 0
	s_cselect_b32 s66, s3, s5
	s_wait_kmcnt 0x0
	s_cmp_ge_u32 s66, s65
	s_cbranch_scc1 .LBB121_1055
; %bb.1:
	s_clause 0x2
	s_load_b32 s3, s[0:1], 0x6c
	s_load_b32 s97, s[0:1], 0x60
	;; [unrolled: 1-line block ×3, first 2 shown]
	s_bfe_u32 s5, ttmp6, 0x4000c
	s_and_b32 s4, ttmp6, 15
	s_add_co_i32 s5, s5, 1
	s_clause 0x1
	s_load_b64 s[82:83], s[0:1], 0x18
	s_load_b128 s[76:79], s[0:1], 0x8
	s_mul_i32 s5, ttmp9, s5
	s_load_b256 s[68:75], s[0:1], 0x28
	s_add_co_i32 s4, s4, s5
	s_cmp_eq_u32 s2, 0
	s_load_b64 s[84:85], s[0:1], 0x50
	s_cselect_b32 s96, ttmp9, s4
	v_bfe_u32 v2, v0, 10, 10
	v_and_b32_e32 v4, 0x3ff, v0
	v_dual_mov_b32 v1, 0 :: v_dual_lshrrev_b32 v3, 10, v0
	v_and_b32_e32 v12, 1, v0
                                        ; implicit-def: $vgpr86 : SGPR spill to VGPR lane
	s_delay_alu instid0(VALU_DEP_4)
	v_lshl_add_u32 v70, v2, 3, 0xa000
	s_wait_kmcnt 0x0
	s_and_b32 s2, s3, 0xffff
	s_add_co_i32 s97, s97, -1
	s_add_co_i32 s0, s80, -1
	s_ashr_i32 s81, s80, 31
	s_ashr_i32 s1, s0, 31
	s_lshr_b32 s3, s81, 26
	s_lshr_b32 s1, s1, 26
	s_add_co_i32 s3, s80, s3
	s_add_co_i32 s0, s0, s1
	s_and_not1_b32 s3, s3, 63
	s_sub_co_i32 s24, s97, s96
	s_ashr_i32 s0, s0, 6
	s_sub_co_i32 s14, s80, s3
	s_cmp_eq_u32 s0, s24
	v_lshl_add_u32 v41, v2, 6, v4
	s_cselect_b32 s0, -1, 0
	s_cmp_lg_u32 s14, 0
	v_bitop3_b32 v40, v0, v3, 0x3ff bitop3:0xa8
	s_cselect_b32 s1, -1, 0
	v_mov_b32_e32 v7, v1
	s_and_b32 s9, s1, s0
	v_mad_u32_u24 v6, v2, s2, v4
	s_xor_b32 s98, s9, -1
	s_cmp_lg_u32 s96, 0
	v_cmp_eq_u32_e64 s2, 1, v12
	s_cselect_b32 s0, -1, 0
	s_lshl_b32 s10, s24, 6
	s_delay_alu instid0(SALU_CYCLE_1) | instskip(SKIP_3) | instid1(VALU_DEP_3)
	v_dual_lshrrev_b32 v5, 1, v41 :: v_dual_add_nc_u32 v3, s10, v2
	s_ashr_i32 s11, s10, 31
	v_cmp_eq_u32_e64 s3, 0, v12
	v_dual_lshlrev_b32 v49, 3, v12 :: v_dual_lshrrev_b32 v12, 2, v41
	v_dual_lshlrev_b32 v13, 9, v5 :: v_dual_add_nc_u32 v14, 64, v3
	v_add_nc_u32_e32 v8, s10, v4
	v_writelane_b32 v86, s0, 0
	s_add_nc_u64 s[0:1], s[82:83], 1
	s_cmp_gt_i32 s96, 4
	v_ashrrev_i32_e32 v15, 31, v14
	s_mul_u64 s[12:13], s[0:1], s[10:11]
	s_cselect_b32 s1, -1, 0
	v_dual_ashrrev_i32 v9, 31, v8 :: v_dual_sub_nc_u32 v48, 0, v13
	s_and_b32 s100, s1, s98
	v_mul_u64_e32 v[10:11], s[82:83], v[14:15]
	v_cmp_gt_u32_e64 s1, 4, v41
	v_dual_lshlrev_b32 v50, 3, v4 :: v_dual_sub_nc_u32 v51, v49, v13
	v_lshlrev_b32_e32 v13, 9, v12
	v_and_b32_e32 v15, 3, v0
	s_and_b32 s101, s2, s1
	s_and_b32 s102, s3, s1
	v_cmp_gt_u32_e64 s2, 16, v41
	v_sub_nc_u32_e32 v53, 0, v13
	v_cmp_eq_u32_e64 s3, 3, v15
	v_cmp_ne_u32_e64 s4, 3, v15
	v_cmp_eq_u32_e64 s5, 2, v15
	v_lshl_add_u32 v52, v12, 3, 0x8000
	v_dual_lshlrev_b32 v12, 6, v41 :: v_dual_bitop2_b32 v16, 7, v0 bitop3:0x40
	s_and_b32 s103, s3, s2
	s_and_b32 s104, s4, s2
	v_cmp_gt_u32_e64 s3, 2, v15
	v_cmp_eq_u32_e64 s4, 1, v15
	s_and_b32 vcc_hi, s5, s2
	v_cmp_eq_u32_e64 s5, 0, v15
	v_lshlrev_b32_e32 v54, 3, v15
	s_and_b32 s33, s3, s2
	s_and_b32 s34, s4, s2
	v_cmp_gt_u32_e64 s3, 64, v41
	s_and_b32 s35, s5, s2
	v_cmp_eq_u32_e64 s4, 7, v16
	v_cmp_ne_u32_e64 s5, 7, v16
	v_cmp_eq_u32_e64 s6, 6, v16
	v_cmp_gt_u32_e64 s7, 6, v16
	v_and_b32_e32 v15, 0x1fff8, v41
	v_and_b32_e32 v12, 0xfffffe00, v12
	v_dual_sub_nc_u32 v55, v54, v13 :: v_dual_lshlrev_b32 v58, 3, v16
	v_lshrrev_b32_e32 v13, 4, v41
	v_cmp_eq_u32_e64 s8, 5, v16
	s_and_b32 s36, s4, s3
	s_and_b32 s37, s5, s3
	s_and_b32 s38, s6, s3
	s_and_b32 s39, s7, s3
	v_cmp_gt_u32_e64 s4, 5, v16
	v_cmp_eq_u32_e64 s5, 4, v16
	v_cmp_gt_u32_e64 s6, 4, v16
	v_cmp_eq_u32_e64 s7, 3, v16
	v_add_nc_u32_e32 v56, 0x8000, v15
	s_and_b32 s40, s8, s3
	v_cmp_gt_u32_e64 s8, 3, v16
	s_and_b32 s41, s4, s3
	s_and_b32 s42, s5, s3
	;; [unrolled: 1-line block ×4, first 2 shown]
	v_cmp_eq_u32_e64 s4, 2, v16
	v_cmp_gt_u32_e64 s5, 2, v16
	v_cmp_eq_u32_e64 s6, 1, v16
	v_cmp_eq_u32_e64 s7, 0, v16
	v_dual_lshlrev_b32 v15, 9, v13 :: v_dual_bitop2_b32 v16, 15, v0 bitop3:0x40
	s_and_b32 s46, s4, s3
	s_and_b32 s47, s5, s3
	v_cmp_gt_u32_e64 s4, 0x100, v41
	s_and_b32 s48, s6, s3
	v_cmp_eq_u32_e64 s5, 15, v16
	v_cmp_ne_u32_e64 s6, 15, v16
	s_and_b32 s49, s7, s3
	v_cmp_eq_u32_e64 s7, 14, v16
	s_and_b32 s45, s8, s3
	s_and_b32 s5, s5, s4
	;; [unrolled: 1-line block ×3, first 2 shown]
	v_writelane_b32 v86, s5, 1
	v_cmp_gt_u32_e64 s8, 14, v16
	v_cmp_eq_u32_e64 s5, 13, v16
	v_cmp_gt_i32_e32 vcc_lo, s14, v4
	v_sub_nc_u32_e32 v57, 0, v12
	v_writelane_b32 v86, s6, 2
	s_and_b32 s6, s7, s4
	s_and_b32 s5, s5, s4
	v_cmp_gt_u32_e64 s7, 12, v16
	v_dual_sub_nc_u32 v59, v58, v12 :: v_dual_sub_nc_u32 v61, 0, v15
	v_writelane_b32 v86, s6, 3
	s_and_b32 s6, s8, s4
	v_cmp_eq_u32_e64 s8, 11, v16
	v_dual_lshlrev_b32 v62, 3, v16 :: v_dual_lshrrev_b32 v12, 5, v41
	v_writelane_b32 v86, s6, 4
	v_cmp_gt_u32_e64 s6, 13, v16
	v_cmp_gt_i32_e64 s0, s80, v8
	v_lshl_add_u32 v60, v13, 3, 0x8000
	v_dual_sub_nc_u32 v63, v62, v15 :: v_dual_bitop2_b32 v64, 31, v0 bitop3:0x40
	v_writelane_b32 v86, s5, 5
	v_cmp_eq_u32_e64 s5, 12, v16
	s_and_b32 s6, s6, s4
	v_lshl_add_u32 v65, v12, 3, 0x8000
	v_lshlrev_b32_e32 v0, 9, v12
	v_writelane_b32 v86, s6, 6
	s_and_b32 s5, s5, s4
	v_cmp_gt_u32_e64 s6, 11, v16
	v_add_nc_u64_e32 v[12:13], s[10:11], v[6:7]
	v_add_nc_u32_e32 v15, 0x50, v3
	v_writelane_b32 v86, s5, 7
	s_and_b32 s5, s7, s4
	s_and_b32 s6, s6, s4
	v_cmp_eq_u32_e64 s7, 9, v16
	v_lshlrev_b32_e32 v66, 3, v64
	v_writelane_b32 v86, s5, 8
	s_and_b32 s5, s8, s4
	v_cmp_gt_u32_e64 s8, 9, v16
	s_and_b32 s58, s7, s4
	v_cmp_gt_u32_e64 s7, 7, v16
	v_writelane_b32 v86, s5, 9
	v_cmp_eq_u32_e64 s5, 10, v16
	s_and_b32 s59, s8, s4
	v_cmp_eq_u32_e64 s8, 6, v16
	s_and_b32 s63, s7, s4
	v_writelane_b32 v86, s6, 10
	v_cmp_gt_u32_e64 s6, 10, v16
	s_and_b32 s28, s5, s4
	v_cmp_eq_u32_e64 s5, 8, v16
	v_cmp_eq_u32_e64 s7, 4, v16
	s_and_b32 s64, s8, s4
	s_and_b32 s30, s6, s4
	v_cmp_gt_u32_e64 s6, 8, v16
	s_and_b32 s60, s5, s4
	v_cmp_eq_u32_e64 s5, 7, v16
	v_cmp_gt_u32_e64 s8, 4, v16
	s_and_b32 s27, s7, s4
	s_and_b32 s61, s6, s4
	v_cmp_gt_u32_e64 s6, 6, v16
	s_and_b32 s62, s5, s4
	v_cmp_eq_u32_e64 s5, 5, v16
	v_cmp_gt_u32_e64 s7, 2, v16
	s_and_b32 s29, s8, s4
	s_and_b32 s21, s6, s4
	v_cmp_gt_u32_e64 s6, 5, v16
	s_and_b32 s23, s5, s4
	v_cmp_eq_u32_e64 s5, 3, v16
	v_cmp_eq_u32_e64 s8, 1, v16
	s_and_b32 s52, s7, s4
	s_and_b32 s25, s6, s4
	v_cmp_gt_u32_e64 s6, 3, v16
	s_and_b32 s99, s5, s4
	v_cmp_eq_u32_e64 s5, 2, v16
	s_and_b32 s53, s8, s4
	v_cmp_gt_i32_e64 s8, s80, v15
	s_and_b32 s50, s6, s4
	v_cmp_eq_u32_e64 s6, 0, v16
	s_and_b32 s51, s5, s4
	v_cmp_eq_u32_e64 s5, 0, v2
	v_dual_mov_b32 v37, v1 :: v_dual_add_nc_u32 v16, 0x60, v3
	s_and_b32 s54, s6, s4
	v_cmp_le_i32_e64 s6, s14, v4
	v_add_nc_u32_e32 v3, 0x70, v3
	v_dual_add_nc_u32 v7, v70, v50 :: v_dual_sub_nc_u32 v67, 0, v0
	v_sub_nc_u32_e32 v68, v66, v0
	s_and_b32 s55, s6, s9
	v_cmp_gt_i32_e64 s9, s80, v16
	s_xor_b32 s7, s55, -1
	v_add_nc_u32_e32 v0, 16, v2
	s_and_b32 s20, s5, s7
	s_cmp_gt_i32 s96, 0
	v_cmp_gt_i32_e64 s7, s80, v14
	s_cselect_b32 s22, -1, 0
	s_and_b32 s11, s5, vcc_lo
	v_dual_add_nc_u32 v38, 32, v2 :: v_dual_add_nc_u32 v36, 48, v2
	v_writelane_b32 v86, s11, 11
	s_and_b32 s7, s0, s7
	v_cmp_gt_i32_e64 s10, s80, v3
	v_cmp_le_i32_e32 vcc_lo, s14, v2
	v_cmp_le_u32_e64 s11, v0, v4
	v_writelane_b32 v86, s7, 12
	s_and_b32 s7, s0, s8
	v_cmp_le_i32_e64 s8, s14, v38
	s_and_b32 s10, s0, s10
                                        ; implicit-def: $vgpr85 : SGPR spill to VGPR lane
	v_dual_mov_b32 v39, v1 :: v_dual_add_nc_u32 v72, 0x8000, v50
	v_writelane_b32 v86, s7, 13
	s_and_b32 s7, s0, s9
	v_cmp_le_i32_e64 s9, s14, v36
	s_or_b32 s8, s8, s6
	v_mov_b32_e32 v3, v1
	v_writelane_b32 v86, s7, 14
	v_cmp_le_i32_e64 s7, s14, v0
	v_mul_u64_e32 v[12:13], s[74:75], v[12:13]
	v_mul_u64_e32 v[14:15], s[82:83], v[0:1]
	v_mul_u64_e32 v[16:17], s[74:75], v[8:9]
	v_writelane_b32 v86, s10, 15
	s_or_b32 s10, vcc_lo, s6
	s_or_b32 s7, s7, s6
	s_or_b32 s6, s9, s6
	v_cmp_le_u32_e64 s9, v2, v4
	s_or_b32 s7, s7, s11
	v_mul_u64_e32 v[18:19], s[82:83], v[2:3]
	v_mul_u64_e32 v[20:21], s[82:83], v[38:39]
	;; [unrolled: 1-line block ×3, first 2 shown]
	v_writelane_b32 v86, s9, 16
	s_or_b32 s9, s10, s9
	v_or_b32_e32 v42, v0, v4
	v_lshl_add_u32 v74, v0, 9, v50
	v_or_b32_e32 v43, v38, v4
	v_writelane_b32 v86, s9, 17
	v_cmp_le_u32_e64 s9, v36, v4
	v_or_b32_e32 v44, v36, v4
	v_mov_b64_e32 v[24:25], 0
	v_mov_b64_e32 v[26:27], 1.0
	v_writelane_b32 v86, s11, 18
	s_or_b32 s6, s6, s9
	v_cmp_lt_u32_e32 vcc_lo, 0x3ff, v41
                                        ; implicit-def: $vgpr84 : SGPR spill to VGPR lane
	v_lshl_add_u32 v5, v5, 3, 0x8000
	v_lshl_add_u32 v69, v6, 3, 0xa000
	v_writelane_b32 v86, s7, 19
	v_cmp_le_u32_e64 s7, v38, v4
	v_lshl_add_u32 v71, v41, 3, 0x8000
	v_lshl_add_u32 v73, v2, 9, v50
	;; [unrolled: 1-line block ×4, first 2 shown]
	v_writelane_b32 v86, s7, 20
	s_or_b32 s7, s8, s7
	v_or_b32_e32 v77, 0x3800, v66
	v_subrev_nc_u32_e32 v3, 31, v64
	s_lshl_b64 s[86:87], s[12:13], 3
	v_writelane_b32 v86, s7, 21
	v_add_nc_u32_e32 v78, 0x7800, v50
	v_subrev_nc_u32_e32 v79, 63, v4
	v_cmp_eq_u32_e64 s11, 0, v40
	v_cmp_gt_u32_e64 s12, 2, v41
	v_writelane_b32 v86, s9, 22
	v_cmp_gt_u32_e64 s13, 12, v41
	v_cmp_gt_u32_e64 s14, 8, v41
	;; [unrolled: 1-line block ×4, first 2 shown]
	v_writelane_b32 v86, s6, 23
	v_cmp_le_u32_e64 s6, v4, v0
	v_lshlrev_b32_e32 v0, 3, v4
	v_cmp_gt_u32_e64 s17, 40, v41
	v_cmp_gt_u32_e64 s18, 32, v41
	;; [unrolled: 1-line block ×3, first 2 shown]
	v_writelane_b32 v86, s6, 24
	v_cmp_gt_u32_e64 s6, 0xf0, v41
	v_cmp_gt_u32_e64 s31, 0x400, v41
	v_cmp_eq_u32_e64 s56, 0, v6
	v_cmp_gt_u32_e64 s57, 64, v6
	s_add_co_i32 s24, s24, 1
	v_writelane_b32 v86, s6, 25
	v_cmp_gt_u32_e64 s6, 0xe0, v41
	s_xor_b32 s10, vcc_lo, -1
	s_lshl_b64 s[88:89], s[82:83], 7
	s_lshl_b64 s[90:91], s[82:83], 8
	s_mul_u64 s[92:93], s[82:83], 0x180
	v_writelane_b32 v86, s6, 26
	v_cmp_gt_u32_e64 s6, 0xd0, v41
	s_lshl_b64 s[78:79], s[78:79], 3
	s_lshl_b64 s[72:73], s[72:73], 3
                                        ; implicit-def: $vgpr28_vgpr29
                                        ; implicit-def: $vgpr30_vgpr31
                                        ; implicit-def: $vgpr32_vgpr33
                                        ; implicit-def: $vgpr34_vgpr35
	v_writelane_b32 v86, s6, 27
	v_cmp_gt_u32_e64 s6, 0xc0, v41
	s_delay_alu instid0(VALU_DEP_1) | instskip(SKIP_1) | instid1(VALU_DEP_1)
	v_writelane_b32 v86, s6, 28
	v_cmp_gt_u32_e64 s6, 0xb0, v41
	v_writelane_b32 v86, s6, 29
	v_cmp_gt_u32_e64 s6, 0xa0, v41
	s_delay_alu instid0(VALU_DEP_1) | instskip(SKIP_1) | instid1(VALU_DEP_1)
	v_writelane_b32 v86, s6, 30
	v_cmp_gt_u32_e64 s6, 0x90, v41
	;; [unrolled: 5-line block ×15, first 2 shown]
	v_writelane_b32 v85, s6, 25
	v_cmp_gt_u32_e64 s6, 0x120, v41
	s_delay_alu instid0(VALU_DEP_1) | instskip(SKIP_1) | instid1(VALU_DEP_1)
	v_writelane_b32 v85, s6, 26
	v_cmp_le_u32_e64 s6, v4, v2
	v_writelane_b32 v85, s6, 27
	v_cmp_le_u32_e64 s6, v4, v38
	s_delay_alu instid0(VALU_DEP_1) | instskip(SKIP_1) | instid1(VALU_DEP_1)
	v_writelane_b32 v85, s6, 28
	v_cmp_le_u32_e64 s6, v4, v36
	v_writelane_b32 v85, s6, 29
	v_cmp_gt_u32_e64 s6, 64, v40
	s_delay_alu instid0(VALU_DEP_1) | instskip(SKIP_1) | instid1(VALU_DEP_1)
	v_writelane_b32 v85, s6, 30
	v_cmp_gt_u32_e64 s6, 64, v42
	v_writelane_b32 v85, s6, 31
	v_cmp_gt_u32_e64 s6, 64, v43
	s_delay_alu instid0(VALU_DEP_1) | instskip(SKIP_1) | instid1(VALU_DEP_1)
	v_writelane_b32 v84, s6, 0
	v_cmp_gt_u32_e64 s6, 64, v44
	v_writelane_b32 v84, s6, 1
	s_branch .LBB121_3
.LBB121_2:                              ;   in Loop: Header=BB121_3 Depth=1
	s_wait_xcnt 0x0
	s_or_b32 exec_lo, exec_lo, s6
	s_add_co_i32 s66, s66, 0x10000
	global_wb scope:SCOPE_DEV
	s_wait_storecnt 0x0
	global_inv scope:SCOPE_DEV
	s_cmp_lt_u32 s66, s65
	s_cbranch_scc0 .LBB121_1055
.LBB121_3:                              ; =>This Loop Header: Depth=1
                                        ;     Child Loop BB121_518 Depth 2
                                        ;     Child Loop BB121_935 Depth 2
                                        ;       Child Loop BB121_937 Depth 3
                                        ;     Child Loop BB121_975 Depth 2
	v_mov_b32_e32 v38, s66
	v_readlane_b32 s6, v86, 0
	s_clause 0x1
	global_load_b64 v[36:37], v38, s[76:77] scale_offset
	global_load_b64 v[40:41], v38, s[70:71] scale_offset
	global_load_b64 v[38:39], v1, s[68:69]
	s_and_not1_b32 vcc_lo, exec_lo, s6
	s_wait_loadcnt 0x2
	v_add_nc_u64_e32 v[36:37], s[78:79], v[36:37]
	s_cbranch_vccnz .LBB121_13
; %bb.4:                                ;   in Loop: Header=BB121_3 Depth=1
	s_delay_alu instid0(VALU_DEP_1)
	v_lshl_add_u64 v[32:33], v[10:11], 3, v[36:37]
	v_mov_b64_e32 v[30:31], 0
	v_mov_b64_e32 v[28:29], 0
	s_wait_loadcnt 0x0
	s_barrier_signal -1
	v_lshl_add_u64 v[42:43], v[8:9], 3, v[32:33]
	s_barrier_wait -1
	s_wait_xcnt 0x0
	s_mov_b32 s6, exec_lo
	v_readlane_b32 s7, v86, 12
	s_and_b32 s7, s6, s7
	s_delay_alu instid0(SALU_CYCLE_1)
	s_mov_b32 exec_lo, s7
	s_cbranch_execz .LBB121_6
; %bb.5:                                ;   in Loop: Header=BB121_3 Depth=1
	flat_load_b64 v[28:29], v[42:43]
.LBB121_6:                              ;   in Loop: Header=BB121_3 Depth=1
	s_wait_xcnt 0x0
	s_or_b32 exec_lo, exec_lo, s6
	s_wait_loadcnt_dscnt 0x0
	s_barrier_signal -1
	s_barrier_wait -1
	s_mov_b32 s6, exec_lo
	v_readlane_b32 s7, v86, 13
	s_and_b32 s7, s6, s7
	s_delay_alu instid0(SALU_CYCLE_1)
	s_mov_b32 exec_lo, s7
	s_cbranch_execz .LBB121_8
; %bb.7:                                ;   in Loop: Header=BB121_3 Depth=1
	v_add_nc_u64_e32 v[30:31], s[88:89], v[42:43]
	flat_load_b64 v[30:31], v[30:31]
.LBB121_8:                              ;   in Loop: Header=BB121_3 Depth=1
	s_wait_xcnt 0x0
	s_or_b32 exec_lo, exec_lo, s6
	v_mov_b64_e32 v[34:35], 0
	v_mov_b64_e32 v[32:33], 0
	s_wait_loadcnt_dscnt 0x0
	s_barrier_signal -1
	s_barrier_wait -1
	s_mov_b32 s6, exec_lo
	v_readlane_b32 s7, v86, 14
	s_and_b32 s7, s6, s7
	s_delay_alu instid0(SALU_CYCLE_1)
	s_mov_b32 exec_lo, s7
	s_cbranch_execz .LBB121_10
; %bb.9:                                ;   in Loop: Header=BB121_3 Depth=1
	v_add_nc_u64_e32 v[32:33], s[90:91], v[42:43]
	flat_load_b64 v[32:33], v[32:33]
.LBB121_10:                             ;   in Loop: Header=BB121_3 Depth=1
	s_wait_xcnt 0x0
	s_or_b32 exec_lo, exec_lo, s6
	s_wait_loadcnt_dscnt 0x0
	s_barrier_signal -1
	s_barrier_wait -1
	s_mov_b32 s6, exec_lo
	v_readlane_b32 s7, v86, 15
	s_and_b32 s7, s6, s7
	s_delay_alu instid0(SALU_CYCLE_1)
	s_mov_b32 exec_lo, s7
	s_cbranch_execz .LBB121_12
; %bb.11:                               ;   in Loop: Header=BB121_3 Depth=1
	v_add_nc_u64_e32 v[34:35], s[92:93], v[42:43]
	flat_load_b64 v[34:35], v[34:35]
.LBB121_12:                             ;   in Loop: Header=BB121_3 Depth=1
	s_wait_xcnt 0x0
	s_or_b32 exec_lo, exec_lo, s6
.LBB121_13:                             ;   in Loop: Header=BB121_3 Depth=1
	s_delay_alu instid0(VALU_DEP_1) | instskip(SKIP_2) | instid1(VALU_DEP_1)
	v_add_nc_u64_e32 v[42:43], s[86:87], v[36:37]
	s_and_not1_b32 vcc_lo, exec_lo, s98
	s_mov_b32 s6, -1
	v_add_nc_u64_e32 v[42:43], v[42:43], v[0:1]
	s_cbranch_vccnz .LBB121_37
; %bb.14:                               ;   in Loop: Header=BB121_3 Depth=1
	s_mov_b32 s6, 0
	s_wait_xcnt 0x0
	s_mov_b32 s7, exec_lo
	v_readlane_b32 s8, v86, 16
	s_and_b32 s8, s7, s8
	s_delay_alu instid0(SALU_CYCLE_1)
	s_xor_b32 s7, s8, s7
	s_mov_b32 exec_lo, s8
	s_cbranch_execnz .LBB121_997
; %bb.15:                               ;   in Loop: Header=BB121_3 Depth=1
	s_or_saveexec_b32 s7, s7
	v_mov_b64_e32 v[44:45], 0
	s_xor_b32 exec_lo, exec_lo, s7
	s_cbranch_execnz .LBB121_998
.LBB121_16:                             ;   in Loop: Header=BB121_3 Depth=1
	s_or_b32 exec_lo, exec_lo, s7
	s_and_saveexec_b32 s7, s6
.LBB121_17:                             ;   in Loop: Header=BB121_3 Depth=1
	ds_store_b64 v73, v[44:45]
.LBB121_18:                             ;   in Loop: Header=BB121_3 Depth=1
	s_or_b32 exec_lo, exec_lo, s7
	s_delay_alu instid0(SALU_CYCLE_1) | instskip(SKIP_2) | instid1(SALU_CYCLE_1)
	s_mov_b32 s6, exec_lo
	v_readlane_b32 s7, v86, 18
	s_and_b32 s7, s6, s7
	s_xor_b32 s6, s7, s6
	s_mov_b32 exec_lo, s7
	s_cbranch_execz .LBB121_22
; %bb.19:                               ;   in Loop: Header=BB121_3 Depth=1
	s_mov_b32 s7, exec_lo
	v_readlane_b32 s8, v85, 31
	s_and_b32 s8, s7, s8
	s_delay_alu instid0(SALU_CYCLE_1)
	s_mov_b32 exec_lo, s8
; %bb.20:                               ;   in Loop: Header=BB121_3 Depth=1
	ds_store_b64 v74, v[24:25]
; %bb.21:                               ;   in Loop: Header=BB121_3 Depth=1
	s_or_b32 exec_lo, exec_lo, s7
.LBB121_22:                             ;   in Loop: Header=BB121_3 Depth=1
	s_and_not1_saveexec_b32 s6, s6
	s_cbranch_execz .LBB121_24
; %bb.23:                               ;   in Loop: Header=BB121_3 Depth=1
	v_lshl_add_u64 v[44:45], v[14:15], 3, v[42:43]
	flat_load_b64 v[44:45], v[44:45]
	s_wait_loadcnt_dscnt 0x0
	v_xor_b32_e32 v45, 0x80000000, v45
	ds_store_b64 v74, v[44:45]
.LBB121_24:                             ;   in Loop: Header=BB121_3 Depth=1
	s_or_b32 exec_lo, exec_lo, s6
	s_delay_alu instid0(SALU_CYCLE_1) | instskip(SKIP_2) | instid1(SALU_CYCLE_1)
	s_mov_b32 s6, exec_lo
	v_readlane_b32 s7, v86, 20
	s_and_b32 s7, s6, s7
	s_xor_b32 s6, s7, s6
	s_mov_b32 exec_lo, s7
	s_cbranch_execz .LBB121_28
; %bb.25:                               ;   in Loop: Header=BB121_3 Depth=1
	s_mov_b32 s7, exec_lo
	v_readlane_b32 s8, v84, 0
	s_and_b32 s8, s7, s8
	s_delay_alu instid0(SALU_CYCLE_1)
	s_mov_b32 exec_lo, s8
; %bb.26:                               ;   in Loop: Header=BB121_3 Depth=1
	ds_store_b64 v75, v[24:25]
; %bb.27:                               ;   in Loop: Header=BB121_3 Depth=1
	s_or_b32 exec_lo, exec_lo, s7
.LBB121_28:                             ;   in Loop: Header=BB121_3 Depth=1
	s_and_not1_saveexec_b32 s6, s6
	s_cbranch_execz .LBB121_30
; %bb.29:                               ;   in Loop: Header=BB121_3 Depth=1
	v_lshl_add_u64 v[44:45], v[20:21], 3, v[42:43]
	flat_load_b64 v[44:45], v[44:45]
	s_wait_loadcnt_dscnt 0x0
	v_xor_b32_e32 v45, 0x80000000, v45
	ds_store_b64 v75, v[44:45]
.LBB121_30:                             ;   in Loop: Header=BB121_3 Depth=1
	;; [unrolled: 28-line block ×3, first 2 shown]
	s_or_b32 exec_lo, exec_lo, s6
	s_mov_b32 s6, 0
.LBB121_37:                             ;   in Loop: Header=BB121_3 Depth=1
	s_delay_alu instid0(SALU_CYCLE_1)
	s_and_b32 vcc_lo, exec_lo, s6
	s_cbranch_vccz .LBB121_61
; %bb.38:                               ;   in Loop: Header=BB121_3 Depth=1
	s_mov_b32 s6, 0
	s_wait_xcnt 0x0
	s_mov_b32 s7, exec_lo
	v_readlane_b32 s8, v86, 17
	s_and_b32 s8, s7, s8
	s_delay_alu instid0(SALU_CYCLE_1)
	s_xor_b32 s7, s8, s7
	s_mov_b32 exec_lo, s8
	s_cbranch_execnz .LBB121_999
; %bb.39:                               ;   in Loop: Header=BB121_3 Depth=1
	s_or_saveexec_b32 s7, s7
	v_mov_b64_e32 v[44:45], 0
	s_xor_b32 exec_lo, exec_lo, s7
	s_cbranch_execnz .LBB121_1000
.LBB121_40:                             ;   in Loop: Header=BB121_3 Depth=1
	s_or_b32 exec_lo, exec_lo, s7
	s_and_saveexec_b32 s7, s6
.LBB121_41:                             ;   in Loop: Header=BB121_3 Depth=1
	ds_store_b64 v73, v[44:45]
.LBB121_42:                             ;   in Loop: Header=BB121_3 Depth=1
	s_or_b32 exec_lo, exec_lo, s7
	s_delay_alu instid0(SALU_CYCLE_1) | instskip(SKIP_2) | instid1(SALU_CYCLE_1)
	s_mov_b32 s6, exec_lo
	v_readlane_b32 s7, v86, 19
	s_and_b32 s7, s6, s7
	s_xor_b32 s6, s7, s6
	s_mov_b32 exec_lo, s7
	s_cbranch_execz .LBB121_46
; %bb.43:                               ;   in Loop: Header=BB121_3 Depth=1
	s_mov_b32 s7, exec_lo
	v_readlane_b32 s8, v85, 31
	s_and_b32 s8, s7, s8
	s_delay_alu instid0(SALU_CYCLE_1)
	s_mov_b32 exec_lo, s8
; %bb.44:                               ;   in Loop: Header=BB121_3 Depth=1
	ds_store_b64 v74, v[24:25]
; %bb.45:                               ;   in Loop: Header=BB121_3 Depth=1
	s_or_b32 exec_lo, exec_lo, s7
.LBB121_46:                             ;   in Loop: Header=BB121_3 Depth=1
	s_and_not1_saveexec_b32 s6, s6
	s_cbranch_execz .LBB121_48
; %bb.47:                               ;   in Loop: Header=BB121_3 Depth=1
	v_lshl_add_u64 v[44:45], v[14:15], 3, v[42:43]
	flat_load_b64 v[44:45], v[44:45]
	s_wait_loadcnt_dscnt 0x0
	v_xor_b32_e32 v45, 0x80000000, v45
	ds_store_b64 v74, v[44:45]
.LBB121_48:                             ;   in Loop: Header=BB121_3 Depth=1
	s_or_b32 exec_lo, exec_lo, s6
	s_delay_alu instid0(SALU_CYCLE_1) | instskip(SKIP_2) | instid1(SALU_CYCLE_1)
	s_mov_b32 s6, exec_lo
	v_readlane_b32 s7, v86, 21
	s_and_b32 s7, s6, s7
	s_xor_b32 s6, s7, s6
	s_mov_b32 exec_lo, s7
	s_cbranch_execz .LBB121_52
; %bb.49:                               ;   in Loop: Header=BB121_3 Depth=1
	s_mov_b32 s7, exec_lo
	v_readlane_b32 s8, v84, 0
	s_and_b32 s8, s7, s8
	s_delay_alu instid0(SALU_CYCLE_1)
	s_mov_b32 exec_lo, s8
; %bb.50:                               ;   in Loop: Header=BB121_3 Depth=1
	ds_store_b64 v75, v[24:25]
; %bb.51:                               ;   in Loop: Header=BB121_3 Depth=1
	s_or_b32 exec_lo, exec_lo, s7
.LBB121_52:                             ;   in Loop: Header=BB121_3 Depth=1
	s_and_not1_saveexec_b32 s6, s6
	s_cbranch_execz .LBB121_54
; %bb.53:                               ;   in Loop: Header=BB121_3 Depth=1
	v_lshl_add_u64 v[44:45], v[20:21], 3, v[42:43]
	flat_load_b64 v[44:45], v[44:45]
	s_wait_loadcnt_dscnt 0x0
	v_xor_b32_e32 v45, 0x80000000, v45
	ds_store_b64 v75, v[44:45]
.LBB121_54:                             ;   in Loop: Header=BB121_3 Depth=1
	s_or_b32 exec_lo, exec_lo, s6
	s_delay_alu instid0(SALU_CYCLE_1) | instskip(SKIP_2) | instid1(SALU_CYCLE_1)
	s_mov_b32 s6, exec_lo
	v_readlane_b32 s7, v86, 23
	s_and_b32 s7, s6, s7
	s_xor_b32 s6, s7, s6
	s_mov_b32 exec_lo, s7
	s_cbranch_execz .LBB121_58
; %bb.55:                               ;   in Loop: Header=BB121_3 Depth=1
	s_mov_b32 s7, exec_lo
	v_readlane_b32 s8, v84, 1
	s_and_b32 s8, s7, s8
	s_delay_alu instid0(SALU_CYCLE_1)
	s_mov_b32 exec_lo, s8
; %bb.56:                               ;   in Loop: Header=BB121_3 Depth=1
	ds_store_b64 v76, v[24:25]
; %bb.57:                               ;   in Loop: Header=BB121_3 Depth=1
	s_or_b32 exec_lo, exec_lo, s7
                                        ; implicit-def: $vgpr42_vgpr43
.LBB121_58:                             ;   in Loop: Header=BB121_3 Depth=1
	s_and_not1_saveexec_b32 s6, s6
	s_cbranch_execz .LBB121_60
; %bb.59:                               ;   in Loop: Header=BB121_3 Depth=1
	v_lshl_add_u64 v[42:43], v[22:23], 3, v[42:43]
	flat_load_b64 v[42:43], v[42:43]
	s_wait_loadcnt_dscnt 0x0
	v_xor_b32_e32 v43, 0x80000000, v43
	ds_store_b64 v76, v[42:43]
.LBB121_60:                             ;   in Loop: Header=BB121_3 Depth=1
	s_or_b32 exec_lo, exec_lo, s6
.LBB121_61:                             ;   in Loop: Header=BB121_3 Depth=1
	s_delay_alu instid0(SALU_CYCLE_1)
	s_and_not1_b32 vcc_lo, exec_lo, s100
	s_wait_loadcnt_dscnt 0x0
	s_barrier_signal -1
	s_barrier_wait -1
	s_cbranch_vccnz .LBB121_929
; %bb.62:                               ;   in Loop: Header=BB121_3 Depth=1
	s_and_saveexec_b32 s6, s11
; %bb.63:                               ;   in Loop: Header=BB121_3 Depth=1
	v_add_nc_u32_e64 v42, 0x7800, 0
	ds_store_2addr_b64 v42, v[26:27], v[26:27] offset0:190 offset1:255
; %bb.64:                               ;   in Loop: Header=BB121_3 Depth=1
	s_or_b32 exec_lo, exec_lo, s6
	v_mov_b64_e32 v[42:43], 0
	s_wait_dscnt 0x0
	s_barrier_signal -1
	s_barrier_wait -1
	global_wb scope:SCOPE_DEV
	s_wait_storecnt 0x0
	global_inv scope:SCOPE_DEV
	s_and_saveexec_b32 s6, s1
	s_cbranch_execz .LBB121_68
; %bb.65:                               ;   in Loop: Header=BB121_3 Depth=1
	ds_load_b64 v[42:43], v49 offset:32224
	ds_load_b64 v[44:45], v48 offset:32752
	s_wait_dscnt 0x0
	v_fma_f64 v[42:43], v[42:43], v[44:45], 0
	s_and_saveexec_b32 s7, s12
	s_cbranch_execz .LBB121_67
; %bb.66:                               ;   in Loop: Header=BB121_3 Depth=1
	ds_load_b64 v[44:45], v50 offset:32736
	ds_load_b64 v[46:47], v1 offset:32760
	s_wait_dscnt 0x0
	v_fmac_f64_e32 v[42:43], v[44:45], v[46:47]
.LBB121_67:                             ;   in Loop: Header=BB121_3 Depth=1
	s_or_b32 exec_lo, exec_lo, s7
.LBB121_68:                             ;   in Loop: Header=BB121_3 Depth=1
	s_delay_alu instid0(SALU_CYCLE_1)
	s_or_b32 exec_lo, exec_lo, s6
	s_and_saveexec_b32 s6, s101
; %bb.69:                               ;   in Loop: Header=BB121_3 Depth=1
	s_delay_alu instid0(VALU_DEP_1) | instskip(NEXT) | instid1(VALU_DEP_2)
	v_xor_b32_e32 v45, 0x80000000, v43
	v_mov_b32_e32 v44, v42
	ds_store_b64 v5, v[44:45]
; %bb.70:                               ;   in Loop: Header=BB121_3 Depth=1
	s_or_b32 exec_lo, exec_lo, s6
	s_wait_loadcnt_dscnt 0x0
	s_barrier_signal -1
	s_barrier_wait -1
	s_and_saveexec_b32 s6, s102
	s_cbranch_execz .LBB121_72
; %bb.71:                               ;   in Loop: Header=BB121_3 Depth=1
	ds_load_b64 v[44:45], v1 offset:31712
	ds_load_b64 v[46:47], v5
	s_wait_dscnt 0x0
	v_fma_f64 v[42:43], -v[44:45], v[46:47], v[42:43]
.LBB121_72:                             ;   in Loop: Header=BB121_3 Depth=1
	s_or_b32 exec_lo, exec_lo, s6
	s_barrier_signal -1
	s_barrier_wait -1
	s_and_saveexec_b32 s6, s102
; %bb.73:                               ;   in Loop: Header=BB121_3 Depth=1
	s_delay_alu instid0(VALU_DEP_1) | instskip(NEXT) | instid1(VALU_DEP_2)
	v_xor_b32_e32 v45, 0x80000000, v43
	v_mov_b32_e32 v44, v42
	ds_store_b64 v5, v[44:45]
; %bb.74:                               ;   in Loop: Header=BB121_3 Depth=1
	s_or_b32 exec_lo, exec_lo, s6
	s_wait_dscnt 0x0
	s_barrier_signal -1
	s_barrier_wait -1
	s_barrier_signal -1
	s_barrier_wait -1
	s_and_saveexec_b32 s6, s1
; %bb.75:                               ;   in Loop: Header=BB121_3 Depth=1
	ds_store_b64 v51, v[42:43] offset:32736
; %bb.76:                               ;   in Loop: Header=BB121_3 Depth=1
	s_or_b32 exec_lo, exec_lo, s6
	s_wait_dscnt 0x0
	s_barrier_signal -1
	s_barrier_wait -1
	s_barrier_signal -1
	s_barrier_wait -1
	s_and_saveexec_b32 s6, s11
; %bb.77:                               ;   in Loop: Header=BB121_3 Depth=1
	v_add_nc_u32_e64 v42, 0x7800, 0
	ds_store_2addr_b64 v42, v[26:27], v[26:27] offset0:60 offset1:125
; %bb.78:                               ;   in Loop: Header=BB121_3 Depth=1
	s_or_b32 exec_lo, exec_lo, s6
	v_mov_b64_e32 v[42:43], 0
	s_wait_dscnt 0x0
	s_barrier_signal -1
	s_barrier_wait -1
	global_wb scope:SCOPE_DEV
	s_wait_storecnt 0x0
	global_inv scope:SCOPE_DEV
	s_and_saveexec_b32 s6, s2
	s_cbranch_execz .LBB121_84
; %bb.79:                               ;   in Loop: Header=BB121_3 Depth=1
	ds_load_b64 v[42:43], v54 offset:31168
	ds_load_b64 v[44:45], v53 offset:32736
	s_wait_dscnt 0x0
	v_fma_f64 v[42:43], v[42:43], v[44:45], 0
	s_and_saveexec_b32 s7, s13
	s_cbranch_execnz .LBB121_1005
; %bb.80:                               ;   in Loop: Header=BB121_3 Depth=1
	s_or_b32 exec_lo, exec_lo, s7
	s_and_saveexec_b32 s7, s14
	s_cbranch_execnz .LBB121_1006
.LBB121_81:                             ;   in Loop: Header=BB121_3 Depth=1
	s_or_b32 exec_lo, exec_lo, s7
	s_and_saveexec_b32 s7, s1
	s_cbranch_execz .LBB121_83
.LBB121_82:                             ;   in Loop: Header=BB121_3 Depth=1
	ds_load_b64 v[44:45], v50 offset:32704
	ds_load_b64 v[46:47], v1 offset:32760
	s_wait_dscnt 0x0
	v_fmac_f64_e32 v[42:43], v[44:45], v[46:47]
.LBB121_83:                             ;   in Loop: Header=BB121_3 Depth=1
	s_or_b32 exec_lo, exec_lo, s7
.LBB121_84:                             ;   in Loop: Header=BB121_3 Depth=1
	s_delay_alu instid0(SALU_CYCLE_1)
	s_or_b32 exec_lo, exec_lo, s6
	s_and_saveexec_b32 s6, s103
; %bb.85:                               ;   in Loop: Header=BB121_3 Depth=1
	s_delay_alu instid0(VALU_DEP_1) | instskip(NEXT) | instid1(VALU_DEP_2)
	v_xor_b32_e32 v45, 0x80000000, v43
	v_mov_b32_e32 v44, v42
	ds_store_b64 v52, v[44:45]
; %bb.86:                               ;   in Loop: Header=BB121_3 Depth=1
	s_or_b32 exec_lo, exec_lo, s6
	s_wait_loadcnt_dscnt 0x0
	s_barrier_signal -1
	s_barrier_wait -1
	s_and_saveexec_b32 s6, s104
	s_cbranch_execz .LBB121_88
; %bb.87:                               ;   in Loop: Header=BB121_3 Depth=1
	ds_load_b64 v[44:45], v54 offset:30656
	ds_load_b64 v[46:47], v52
	s_wait_dscnt 0x0
	v_fma_f64 v[42:43], -v[44:45], v[46:47], v[42:43]
.LBB121_88:                             ;   in Loop: Header=BB121_3 Depth=1
	s_or_b32 exec_lo, exec_lo, s6
	s_barrier_signal -1
	s_barrier_wait -1
	s_and_saveexec_b32 s6, vcc_hi
; %bb.89:                               ;   in Loop: Header=BB121_3 Depth=1
	s_delay_alu instid0(VALU_DEP_1) | instskip(NEXT) | instid1(VALU_DEP_2)
	v_xor_b32_e32 v45, 0x80000000, v43
	v_mov_b32_e32 v44, v42
	ds_store_b64 v52, v[44:45]
; %bb.90:                               ;   in Loop: Header=BB121_3 Depth=1
	s_or_b32 exec_lo, exec_lo, s6
	s_wait_dscnt 0x0
	s_barrier_signal -1
	s_barrier_wait -1
	s_and_saveexec_b32 s6, s33
	s_cbranch_execz .LBB121_92
; %bb.91:                               ;   in Loop: Header=BB121_3 Depth=1
	ds_load_b64 v[44:45], v54 offset:30144
	ds_load_b64 v[46:47], v52
	s_wait_dscnt 0x0
	v_fma_f64 v[42:43], -v[44:45], v[46:47], v[42:43]
.LBB121_92:                             ;   in Loop: Header=BB121_3 Depth=1
	s_or_b32 exec_lo, exec_lo, s6
	s_barrier_signal -1
	s_barrier_wait -1
	s_and_saveexec_b32 s6, s34
; %bb.93:                               ;   in Loop: Header=BB121_3 Depth=1
	s_delay_alu instid0(VALU_DEP_1) | instskip(NEXT) | instid1(VALU_DEP_2)
	v_xor_b32_e32 v45, 0x80000000, v43
	v_mov_b32_e32 v44, v42
	ds_store_b64 v52, v[44:45]
; %bb.94:                               ;   in Loop: Header=BB121_3 Depth=1
	s_or_b32 exec_lo, exec_lo, s6
	s_wait_dscnt 0x0
	s_barrier_signal -1
	s_barrier_wait -1
	s_and_saveexec_b32 s6, s35
	s_cbranch_execz .LBB121_96
; %bb.95:                               ;   in Loop: Header=BB121_3 Depth=1
	ds_load_b64 v[44:45], v1 offset:29632
	ds_load_b64 v[46:47], v52
	s_wait_dscnt 0x0
	v_fma_f64 v[42:43], -v[44:45], v[46:47], v[42:43]
.LBB121_96:                             ;   in Loop: Header=BB121_3 Depth=1
	s_or_b32 exec_lo, exec_lo, s6
	s_barrier_signal -1
	s_barrier_wait -1
	s_and_saveexec_b32 s6, s35
; %bb.97:                               ;   in Loop: Header=BB121_3 Depth=1
	s_delay_alu instid0(VALU_DEP_1) | instskip(NEXT) | instid1(VALU_DEP_2)
	v_xor_b32_e32 v45, 0x80000000, v43
	v_mov_b32_e32 v44, v42
	ds_store_b64 v52, v[44:45]
; %bb.98:                               ;   in Loop: Header=BB121_3 Depth=1
	s_or_b32 exec_lo, exec_lo, s6
	s_wait_dscnt 0x0
	s_barrier_signal -1
	s_barrier_wait -1
	s_barrier_signal -1
	s_barrier_wait -1
	s_and_saveexec_b32 s6, s2
; %bb.99:                               ;   in Loop: Header=BB121_3 Depth=1
	ds_store_b64 v55, v[42:43] offset:32704
; %bb.100:                              ;   in Loop: Header=BB121_3 Depth=1
	s_or_b32 exec_lo, exec_lo, s6
	s_wait_dscnt 0x0
	s_barrier_signal -1
	s_barrier_wait -1
	s_barrier_signal -1
	s_barrier_wait -1
	s_and_saveexec_b32 s6, s11
; %bb.101:                              ;   in Loop: Header=BB121_3 Depth=1
	v_add_nc_u32_e64 v42, 0x7000, 0
	ds_store_2addr_b64 v42, v[26:27], v[26:27] offset0:186 offset1:251
; %bb.102:                              ;   in Loop: Header=BB121_3 Depth=1
	s_or_b32 exec_lo, exec_lo, s6
	v_mov_b64_e32 v[42:43], 0
	s_wait_dscnt 0x0
	s_barrier_signal -1
	s_barrier_wait -1
	global_wb scope:SCOPE_DEV
	s_wait_storecnt 0x0
	global_inv scope:SCOPE_DEV
	s_and_saveexec_b32 s6, s1
	s_cbranch_execz .LBB121_106
; %bb.103:                              ;   in Loop: Header=BB121_3 Depth=1
	ds_load_b64 v[42:43], v49 offset:30144
	ds_load_b64 v[44:45], v48 offset:30672
	s_wait_dscnt 0x0
	v_fma_f64 v[42:43], v[42:43], v[44:45], 0
	s_and_saveexec_b32 s7, s12
	s_cbranch_execz .LBB121_105
; %bb.104:                              ;   in Loop: Header=BB121_3 Depth=1
	ds_load_b64 v[44:45], v50 offset:30656
	ds_load_b64 v[46:47], v1 offset:30680
	s_wait_dscnt 0x0
	v_fmac_f64_e32 v[42:43], v[44:45], v[46:47]
.LBB121_105:                            ;   in Loop: Header=BB121_3 Depth=1
	s_or_b32 exec_lo, exec_lo, s7
.LBB121_106:                            ;   in Loop: Header=BB121_3 Depth=1
	s_delay_alu instid0(SALU_CYCLE_1)
	s_or_b32 exec_lo, exec_lo, s6
	s_and_saveexec_b32 s6, s101
; %bb.107:                              ;   in Loop: Header=BB121_3 Depth=1
	s_delay_alu instid0(VALU_DEP_1) | instskip(NEXT) | instid1(VALU_DEP_2)
	v_xor_b32_e32 v45, 0x80000000, v43
	v_mov_b32_e32 v44, v42
	ds_store_b64 v5, v[44:45]
; %bb.108:                              ;   in Loop: Header=BB121_3 Depth=1
	s_or_b32 exec_lo, exec_lo, s6
	s_wait_loadcnt_dscnt 0x0
	s_barrier_signal -1
	s_barrier_wait -1
	s_and_saveexec_b32 s6, s102
	s_cbranch_execz .LBB121_110
; %bb.109:                              ;   in Loop: Header=BB121_3 Depth=1
	ds_load_b64 v[44:45], v1 offset:29632
	ds_load_b64 v[46:47], v5
	s_wait_dscnt 0x0
	v_fma_f64 v[42:43], -v[44:45], v[46:47], v[42:43]
.LBB121_110:                            ;   in Loop: Header=BB121_3 Depth=1
	s_or_b32 exec_lo, exec_lo, s6
	s_barrier_signal -1
	s_barrier_wait -1
	s_and_saveexec_b32 s6, s102
; %bb.111:                              ;   in Loop: Header=BB121_3 Depth=1
	s_delay_alu instid0(VALU_DEP_1) | instskip(NEXT) | instid1(VALU_DEP_2)
	v_xor_b32_e32 v45, 0x80000000, v43
	v_mov_b32_e32 v44, v42
	ds_store_b64 v5, v[44:45]
; %bb.112:                              ;   in Loop: Header=BB121_3 Depth=1
	s_or_b32 exec_lo, exec_lo, s6
	s_wait_dscnt 0x0
	s_barrier_signal -1
	s_barrier_wait -1
	s_barrier_signal -1
	s_barrier_wait -1
	s_and_saveexec_b32 s6, s1
; %bb.113:                              ;   in Loop: Header=BB121_3 Depth=1
	ds_store_b64 v51, v[42:43] offset:30656
; %bb.114:                              ;   in Loop: Header=BB121_3 Depth=1
	s_or_b32 exec_lo, exec_lo, s6
	s_wait_dscnt 0x0
	s_barrier_signal -1
	s_barrier_wait -1
	s_barrier_signal -1
	s_barrier_wait -1
	s_and_saveexec_b32 s6, s11
; %bb.115:                              ;   in Loop: Header=BB121_3 Depth=1
	v_add_nc_u32_e64 v42, 0x7000, 0
	ds_store_2addr_b64 v42, v[26:27], v[26:27] offset0:56 offset1:121
; %bb.116:                              ;   in Loop: Header=BB121_3 Depth=1
	s_or_b32 exec_lo, exec_lo, s6
	v_mov_b64_e32 v[42:43], 0
	s_wait_dscnt 0x0
	s_barrier_signal -1
	s_barrier_wait -1
	global_wb scope:SCOPE_DEV
	s_wait_storecnt 0x0
	global_inv scope:SCOPE_DEV
	s_and_saveexec_b32 s6, s3
	s_cbranch_execz .LBB121_126
; %bb.117:                              ;   in Loop: Header=BB121_3 Depth=1
	ds_load_b64 v[42:43], v58 offset:29056
	ds_load_b64 v[44:45], v57 offset:32704
	s_wait_dscnt 0x0
	v_fma_f64 v[42:43], v[42:43], v[44:45], 0
	s_and_saveexec_b32 s7, s15
	s_cbranch_execnz .LBB121_1007
; %bb.118:                              ;   in Loop: Header=BB121_3 Depth=1
	s_or_b32 exec_lo, exec_lo, s7
	s_and_saveexec_b32 s7, s16
	s_cbranch_execnz .LBB121_1008
.LBB121_119:                            ;   in Loop: Header=BB121_3 Depth=1
	s_or_b32 exec_lo, exec_lo, s7
	s_and_saveexec_b32 s7, s17
	s_cbranch_execnz .LBB121_1009
.LBB121_120:                            ;   in Loop: Header=BB121_3 Depth=1
	s_or_b32 exec_lo, exec_lo, s7
	s_and_saveexec_b32 s7, s18
	s_cbranch_execnz .LBB121_1010
.LBB121_121:                            ;   in Loop: Header=BB121_3 Depth=1
	s_or_b32 exec_lo, exec_lo, s7
	s_and_saveexec_b32 s7, s19
	s_cbranch_execnz .LBB121_1011
.LBB121_122:                            ;   in Loop: Header=BB121_3 Depth=1
	s_or_b32 exec_lo, exec_lo, s7
	s_and_saveexec_b32 s7, s2
	s_cbranch_execnz .LBB121_1012
.LBB121_123:                            ;   in Loop: Header=BB121_3 Depth=1
	s_or_b32 exec_lo, exec_lo, s7
	s_and_saveexec_b32 s7, s14
	s_cbranch_execz .LBB121_125
.LBB121_124:                            ;   in Loop: Header=BB121_3 Depth=1
	ds_load_b64 v[44:45], v50 offset:32640
	ds_load_b64 v[46:47], v1 offset:32760
	s_wait_dscnt 0x0
	v_fmac_f64_e32 v[42:43], v[44:45], v[46:47]
.LBB121_125:                            ;   in Loop: Header=BB121_3 Depth=1
	s_or_b32 exec_lo, exec_lo, s7
.LBB121_126:                            ;   in Loop: Header=BB121_3 Depth=1
	s_delay_alu instid0(SALU_CYCLE_1)
	s_or_b32 exec_lo, exec_lo, s6
	s_and_saveexec_b32 s6, s36
; %bb.127:                              ;   in Loop: Header=BB121_3 Depth=1
	s_delay_alu instid0(VALU_DEP_1) | instskip(NEXT) | instid1(VALU_DEP_2)
	v_xor_b32_e32 v45, 0x80000000, v43
	v_mov_b32_e32 v44, v42
	ds_store_b64 v56, v[44:45]
; %bb.128:                              ;   in Loop: Header=BB121_3 Depth=1
	s_or_b32 exec_lo, exec_lo, s6
	s_wait_loadcnt_dscnt 0x0
	s_barrier_signal -1
	s_barrier_wait -1
	s_and_saveexec_b32 s6, s37
	s_cbranch_execz .LBB121_130
; %bb.129:                              ;   in Loop: Header=BB121_3 Depth=1
	ds_load_b64 v[44:45], v58 offset:28544
	ds_load_b64 v[46:47], v56
	s_wait_dscnt 0x0
	v_fma_f64 v[42:43], -v[44:45], v[46:47], v[42:43]
.LBB121_130:                            ;   in Loop: Header=BB121_3 Depth=1
	s_or_b32 exec_lo, exec_lo, s6
	s_barrier_signal -1
	s_barrier_wait -1
	s_and_saveexec_b32 s6, s38
; %bb.131:                              ;   in Loop: Header=BB121_3 Depth=1
	s_delay_alu instid0(VALU_DEP_1) | instskip(NEXT) | instid1(VALU_DEP_2)
	v_xor_b32_e32 v45, 0x80000000, v43
	v_mov_b32_e32 v44, v42
	ds_store_b64 v56, v[44:45]
; %bb.132:                              ;   in Loop: Header=BB121_3 Depth=1
	s_or_b32 exec_lo, exec_lo, s6
	s_wait_dscnt 0x0
	s_barrier_signal -1
	s_barrier_wait -1
	s_and_saveexec_b32 s6, s39
	s_cbranch_execz .LBB121_134
; %bb.133:                              ;   in Loop: Header=BB121_3 Depth=1
	ds_load_b64 v[44:45], v58 offset:28032
	ds_load_b64 v[46:47], v56
	s_wait_dscnt 0x0
	v_fma_f64 v[42:43], -v[44:45], v[46:47], v[42:43]
.LBB121_134:                            ;   in Loop: Header=BB121_3 Depth=1
	s_or_b32 exec_lo, exec_lo, s6
	s_barrier_signal -1
	s_barrier_wait -1
	s_and_saveexec_b32 s6, s40
; %bb.135:                              ;   in Loop: Header=BB121_3 Depth=1
	s_delay_alu instid0(VALU_DEP_1) | instskip(NEXT) | instid1(VALU_DEP_2)
	v_xor_b32_e32 v45, 0x80000000, v43
	v_mov_b32_e32 v44, v42
	ds_store_b64 v56, v[44:45]
; %bb.136:                              ;   in Loop: Header=BB121_3 Depth=1
	s_or_b32 exec_lo, exec_lo, s6
	s_wait_dscnt 0x0
	;; [unrolled: 22-line block ×7, first 2 shown]
	s_barrier_signal -1
	s_barrier_wait -1
	s_barrier_signal -1
	s_barrier_wait -1
	s_and_saveexec_b32 s6, s3
; %bb.157:                              ;   in Loop: Header=BB121_3 Depth=1
	ds_store_b64 v59, v[42:43] offset:32640
; %bb.158:                              ;   in Loop: Header=BB121_3 Depth=1
	s_or_b32 exec_lo, exec_lo, s6
	s_wait_dscnt 0x0
	s_barrier_signal -1
	s_barrier_wait -1
	s_barrier_signal -1
	s_barrier_wait -1
	s_and_saveexec_b32 s6, s11
; %bb.159:                              ;   in Loop: Header=BB121_3 Depth=1
	v_add_nc_u32_e64 v42, 0x6800, 0
	ds_store_2addr_b64 v42, v[26:27], v[26:27] offset0:182 offset1:247
; %bb.160:                              ;   in Loop: Header=BB121_3 Depth=1
	s_or_b32 exec_lo, exec_lo, s6
	v_mov_b64_e32 v[42:43], 0
	s_wait_dscnt 0x0
	s_barrier_signal -1
	s_barrier_wait -1
	global_wb scope:SCOPE_DEV
	s_wait_storecnt 0x0
	global_inv scope:SCOPE_DEV
	s_and_saveexec_b32 s6, s1
	s_cbranch_execz .LBB121_164
; %bb.161:                              ;   in Loop: Header=BB121_3 Depth=1
	ds_load_b64 v[42:43], v49 offset:28064
	ds_load_b64 v[44:45], v48 offset:28592
	s_wait_dscnt 0x0
	v_fma_f64 v[42:43], v[42:43], v[44:45], 0
	s_and_saveexec_b32 s7, s12
	s_cbranch_execz .LBB121_163
; %bb.162:                              ;   in Loop: Header=BB121_3 Depth=1
	ds_load_b64 v[44:45], v50 offset:28576
	ds_load_b64 v[46:47], v1 offset:28600
	s_wait_dscnt 0x0
	v_fmac_f64_e32 v[42:43], v[44:45], v[46:47]
.LBB121_163:                            ;   in Loop: Header=BB121_3 Depth=1
	s_or_b32 exec_lo, exec_lo, s7
.LBB121_164:                            ;   in Loop: Header=BB121_3 Depth=1
	s_delay_alu instid0(SALU_CYCLE_1)
	s_or_b32 exec_lo, exec_lo, s6
	s_and_saveexec_b32 s6, s101
; %bb.165:                              ;   in Loop: Header=BB121_3 Depth=1
	s_delay_alu instid0(VALU_DEP_1) | instskip(NEXT) | instid1(VALU_DEP_2)
	v_xor_b32_e32 v45, 0x80000000, v43
	v_mov_b32_e32 v44, v42
	ds_store_b64 v5, v[44:45]
; %bb.166:                              ;   in Loop: Header=BB121_3 Depth=1
	s_or_b32 exec_lo, exec_lo, s6
	s_wait_loadcnt_dscnt 0x0
	s_barrier_signal -1
	s_barrier_wait -1
	s_and_saveexec_b32 s6, s102
	s_cbranch_execz .LBB121_168
; %bb.167:                              ;   in Loop: Header=BB121_3 Depth=1
	ds_load_b64 v[44:45], v1 offset:27552
	ds_load_b64 v[46:47], v5
	s_wait_dscnt 0x0
	v_fma_f64 v[42:43], -v[44:45], v[46:47], v[42:43]
.LBB121_168:                            ;   in Loop: Header=BB121_3 Depth=1
	s_or_b32 exec_lo, exec_lo, s6
	s_barrier_signal -1
	s_barrier_wait -1
	s_and_saveexec_b32 s6, s102
; %bb.169:                              ;   in Loop: Header=BB121_3 Depth=1
	s_delay_alu instid0(VALU_DEP_1) | instskip(NEXT) | instid1(VALU_DEP_2)
	v_xor_b32_e32 v45, 0x80000000, v43
	v_mov_b32_e32 v44, v42
	ds_store_b64 v5, v[44:45]
; %bb.170:                              ;   in Loop: Header=BB121_3 Depth=1
	s_or_b32 exec_lo, exec_lo, s6
	s_wait_dscnt 0x0
	s_barrier_signal -1
	s_barrier_wait -1
	s_barrier_signal -1
	s_barrier_wait -1
	s_and_saveexec_b32 s6, s1
; %bb.171:                              ;   in Loop: Header=BB121_3 Depth=1
	ds_store_b64 v51, v[42:43] offset:28576
; %bb.172:                              ;   in Loop: Header=BB121_3 Depth=1
	s_or_b32 exec_lo, exec_lo, s6
	s_wait_dscnt 0x0
	s_barrier_signal -1
	s_barrier_wait -1
	s_barrier_signal -1
	s_barrier_wait -1
	s_and_saveexec_b32 s6, s11
; %bb.173:                              ;   in Loop: Header=BB121_3 Depth=1
	v_add_nc_u32_e64 v42, 0x6800, 0
	ds_store_2addr_b64 v42, v[26:27], v[26:27] offset0:52 offset1:117
; %bb.174:                              ;   in Loop: Header=BB121_3 Depth=1
	s_or_b32 exec_lo, exec_lo, s6
	v_mov_b64_e32 v[42:43], 0
	s_wait_dscnt 0x0
	s_barrier_signal -1
	s_barrier_wait -1
	global_wb scope:SCOPE_DEV
	s_wait_storecnt 0x0
	global_inv scope:SCOPE_DEV
	s_and_saveexec_b32 s6, s2
	s_cbranch_execz .LBB121_180
; %bb.175:                              ;   in Loop: Header=BB121_3 Depth=1
	ds_load_b64 v[42:43], v54 offset:27008
	ds_load_b64 v[44:45], v53 offset:28576
	s_wait_dscnt 0x0
	v_fma_f64 v[42:43], v[42:43], v[44:45], 0
	s_and_saveexec_b32 s7, s13
	s_cbranch_execnz .LBB121_1013
; %bb.176:                              ;   in Loop: Header=BB121_3 Depth=1
	s_or_b32 exec_lo, exec_lo, s7
	s_and_saveexec_b32 s7, s14
	s_cbranch_execnz .LBB121_1014
.LBB121_177:                            ;   in Loop: Header=BB121_3 Depth=1
	s_or_b32 exec_lo, exec_lo, s7
	s_and_saveexec_b32 s7, s1
	s_cbranch_execz .LBB121_179
.LBB121_178:                            ;   in Loop: Header=BB121_3 Depth=1
	ds_load_b64 v[44:45], v50 offset:28544
	ds_load_b64 v[46:47], v1 offset:28600
	s_wait_dscnt 0x0
	v_fmac_f64_e32 v[42:43], v[44:45], v[46:47]
.LBB121_179:                            ;   in Loop: Header=BB121_3 Depth=1
	s_or_b32 exec_lo, exec_lo, s7
.LBB121_180:                            ;   in Loop: Header=BB121_3 Depth=1
	s_delay_alu instid0(SALU_CYCLE_1)
	s_or_b32 exec_lo, exec_lo, s6
	s_and_saveexec_b32 s6, s103
; %bb.181:                              ;   in Loop: Header=BB121_3 Depth=1
	s_delay_alu instid0(VALU_DEP_1) | instskip(NEXT) | instid1(VALU_DEP_2)
	v_xor_b32_e32 v45, 0x80000000, v43
	v_mov_b32_e32 v44, v42
	ds_store_b64 v52, v[44:45]
; %bb.182:                              ;   in Loop: Header=BB121_3 Depth=1
	s_or_b32 exec_lo, exec_lo, s6
	s_wait_loadcnt_dscnt 0x0
	s_barrier_signal -1
	s_barrier_wait -1
	s_and_saveexec_b32 s6, s104
	s_cbranch_execz .LBB121_184
; %bb.183:                              ;   in Loop: Header=BB121_3 Depth=1
	ds_load_b64 v[44:45], v54 offset:26496
	ds_load_b64 v[46:47], v52
	s_wait_dscnt 0x0
	v_fma_f64 v[42:43], -v[44:45], v[46:47], v[42:43]
.LBB121_184:                            ;   in Loop: Header=BB121_3 Depth=1
	s_or_b32 exec_lo, exec_lo, s6
	s_barrier_signal -1
	s_barrier_wait -1
	s_and_saveexec_b32 s6, vcc_hi
; %bb.185:                              ;   in Loop: Header=BB121_3 Depth=1
	s_delay_alu instid0(VALU_DEP_1) | instskip(NEXT) | instid1(VALU_DEP_2)
	v_xor_b32_e32 v45, 0x80000000, v43
	v_mov_b32_e32 v44, v42
	ds_store_b64 v52, v[44:45]
; %bb.186:                              ;   in Loop: Header=BB121_3 Depth=1
	s_or_b32 exec_lo, exec_lo, s6
	s_wait_dscnt 0x0
	s_barrier_signal -1
	s_barrier_wait -1
	s_and_saveexec_b32 s6, s33
	s_cbranch_execz .LBB121_188
; %bb.187:                              ;   in Loop: Header=BB121_3 Depth=1
	ds_load_b64 v[44:45], v54 offset:25984
	ds_load_b64 v[46:47], v52
	s_wait_dscnt 0x0
	v_fma_f64 v[42:43], -v[44:45], v[46:47], v[42:43]
.LBB121_188:                            ;   in Loop: Header=BB121_3 Depth=1
	s_or_b32 exec_lo, exec_lo, s6
	s_barrier_signal -1
	s_barrier_wait -1
	s_and_saveexec_b32 s6, s34
; %bb.189:                              ;   in Loop: Header=BB121_3 Depth=1
	s_delay_alu instid0(VALU_DEP_1) | instskip(NEXT) | instid1(VALU_DEP_2)
	v_xor_b32_e32 v45, 0x80000000, v43
	v_mov_b32_e32 v44, v42
	ds_store_b64 v52, v[44:45]
; %bb.190:                              ;   in Loop: Header=BB121_3 Depth=1
	s_or_b32 exec_lo, exec_lo, s6
	s_wait_dscnt 0x0
	s_barrier_signal -1
	s_barrier_wait -1
	s_and_saveexec_b32 s6, s35
	s_cbranch_execz .LBB121_192
; %bb.191:                              ;   in Loop: Header=BB121_3 Depth=1
	ds_load_b64 v[44:45], v1 offset:25472
	ds_load_b64 v[46:47], v52
	s_wait_dscnt 0x0
	v_fma_f64 v[42:43], -v[44:45], v[46:47], v[42:43]
.LBB121_192:                            ;   in Loop: Header=BB121_3 Depth=1
	s_or_b32 exec_lo, exec_lo, s6
	s_barrier_signal -1
	s_barrier_wait -1
	s_and_saveexec_b32 s6, s35
; %bb.193:                              ;   in Loop: Header=BB121_3 Depth=1
	s_delay_alu instid0(VALU_DEP_1) | instskip(NEXT) | instid1(VALU_DEP_2)
	v_xor_b32_e32 v45, 0x80000000, v43
	v_mov_b32_e32 v44, v42
	ds_store_b64 v52, v[44:45]
; %bb.194:                              ;   in Loop: Header=BB121_3 Depth=1
	s_or_b32 exec_lo, exec_lo, s6
	s_wait_dscnt 0x0
	s_barrier_signal -1
	s_barrier_wait -1
	s_barrier_signal -1
	s_barrier_wait -1
	s_and_saveexec_b32 s6, s2
; %bb.195:                              ;   in Loop: Header=BB121_3 Depth=1
	ds_store_b64 v55, v[42:43] offset:28544
; %bb.196:                              ;   in Loop: Header=BB121_3 Depth=1
	s_or_b32 exec_lo, exec_lo, s6
	s_wait_dscnt 0x0
	s_barrier_signal -1
	s_barrier_wait -1
	s_barrier_signal -1
	s_barrier_wait -1
	s_and_saveexec_b32 s6, s11
; %bb.197:                              ;   in Loop: Header=BB121_3 Depth=1
	v_add_nc_u32_e64 v42, 0x6000, 0
	ds_store_2addr_b64 v42, v[26:27], v[26:27] offset0:178 offset1:243
; %bb.198:                              ;   in Loop: Header=BB121_3 Depth=1
	s_or_b32 exec_lo, exec_lo, s6
	v_mov_b64_e32 v[42:43], 0
	s_wait_dscnt 0x0
	s_barrier_signal -1
	s_barrier_wait -1
	global_wb scope:SCOPE_DEV
	s_wait_storecnt 0x0
	global_inv scope:SCOPE_DEV
	s_and_saveexec_b32 s6, s1
	s_cbranch_execz .LBB121_202
; %bb.199:                              ;   in Loop: Header=BB121_3 Depth=1
	ds_load_b64 v[42:43], v49 offset:25984
	ds_load_b64 v[44:45], v48 offset:26512
	s_wait_dscnt 0x0
	v_fma_f64 v[42:43], v[42:43], v[44:45], 0
	s_and_saveexec_b32 s7, s12
	s_cbranch_execz .LBB121_201
; %bb.200:                              ;   in Loop: Header=BB121_3 Depth=1
	ds_load_b64 v[44:45], v50 offset:26496
	ds_load_b64 v[46:47], v1 offset:26520
	s_wait_dscnt 0x0
	v_fmac_f64_e32 v[42:43], v[44:45], v[46:47]
.LBB121_201:                            ;   in Loop: Header=BB121_3 Depth=1
	s_or_b32 exec_lo, exec_lo, s7
.LBB121_202:                            ;   in Loop: Header=BB121_3 Depth=1
	s_delay_alu instid0(SALU_CYCLE_1)
	s_or_b32 exec_lo, exec_lo, s6
	s_and_saveexec_b32 s6, s101
; %bb.203:                              ;   in Loop: Header=BB121_3 Depth=1
	s_delay_alu instid0(VALU_DEP_1) | instskip(NEXT) | instid1(VALU_DEP_2)
	v_xor_b32_e32 v45, 0x80000000, v43
	v_mov_b32_e32 v44, v42
	ds_store_b64 v5, v[44:45]
; %bb.204:                              ;   in Loop: Header=BB121_3 Depth=1
	s_or_b32 exec_lo, exec_lo, s6
	s_wait_loadcnt_dscnt 0x0
	s_barrier_signal -1
	s_barrier_wait -1
	s_and_saveexec_b32 s6, s102
	s_cbranch_execz .LBB121_206
; %bb.205:                              ;   in Loop: Header=BB121_3 Depth=1
	ds_load_b64 v[44:45], v1 offset:25472
	ds_load_b64 v[46:47], v5
	s_wait_dscnt 0x0
	v_fma_f64 v[42:43], -v[44:45], v[46:47], v[42:43]
.LBB121_206:                            ;   in Loop: Header=BB121_3 Depth=1
	s_or_b32 exec_lo, exec_lo, s6
	s_barrier_signal -1
	s_barrier_wait -1
	s_and_saveexec_b32 s6, s102
; %bb.207:                              ;   in Loop: Header=BB121_3 Depth=1
	s_delay_alu instid0(VALU_DEP_1) | instskip(NEXT) | instid1(VALU_DEP_2)
	v_xor_b32_e32 v45, 0x80000000, v43
	v_mov_b32_e32 v44, v42
	ds_store_b64 v5, v[44:45]
; %bb.208:                              ;   in Loop: Header=BB121_3 Depth=1
	s_or_b32 exec_lo, exec_lo, s6
	s_wait_dscnt 0x0
	s_barrier_signal -1
	s_barrier_wait -1
	s_barrier_signal -1
	s_barrier_wait -1
	s_and_saveexec_b32 s6, s1
; %bb.209:                              ;   in Loop: Header=BB121_3 Depth=1
	ds_store_b64 v51, v[42:43] offset:26496
; %bb.210:                              ;   in Loop: Header=BB121_3 Depth=1
	s_or_b32 exec_lo, exec_lo, s6
	s_wait_dscnt 0x0
	s_barrier_signal -1
	s_barrier_wait -1
	s_barrier_signal -1
	s_barrier_wait -1
	s_and_saveexec_b32 s6, s11
; %bb.211:                              ;   in Loop: Header=BB121_3 Depth=1
	v_add_nc_u32_e64 v42, 0x6000, 0
	ds_store_2addr_b64 v42, v[26:27], v[26:27] offset0:48 offset1:113
; %bb.212:                              ;   in Loop: Header=BB121_3 Depth=1
	s_or_b32 exec_lo, exec_lo, s6
	v_mov_b64_e32 v[42:43], 0
	s_wait_dscnt 0x0
	s_barrier_signal -1
	s_barrier_wait -1
	global_wb scope:SCOPE_DEV
	s_wait_storecnt 0x0
	global_inv scope:SCOPE_DEV
	s_and_saveexec_b32 s6, s4
	s_cbranch_execz .LBB121_240
; %bb.213:                              ;   in Loop: Header=BB121_3 Depth=1
	ds_load_b64 v[42:43], v62 offset:24832
	ds_load_b64 v[44:45], v61 offset:32640
	s_wait_dscnt 0x0
	v_fma_f64 v[42:43], v[42:43], v[44:45], 0
	s_mov_b32 s7, exec_lo
	v_readlane_b32 s8, v86, 25
	s_and_b32 s8, s7, s8
	s_delay_alu instid0(SALU_CYCLE_1)
	s_mov_b32 exec_lo, s8
	s_cbranch_execz .LBB121_215
; %bb.214:                              ;   in Loop: Header=BB121_3 Depth=1
	ds_load_b64 v[44:45], v62 offset:25344
	ds_load_b64 v[46:47], v61 offset:32648
	s_wait_dscnt 0x0
	v_fmac_f64_e32 v[42:43], v[44:45], v[46:47]
.LBB121_215:                            ;   in Loop: Header=BB121_3 Depth=1
	s_or_b32 exec_lo, exec_lo, s7
	s_delay_alu instid0(SALU_CYCLE_1) | instskip(SKIP_2) | instid1(SALU_CYCLE_1)
	s_mov_b32 s7, exec_lo
	v_readlane_b32 s8, v86, 26
	s_and_b32 s8, s7, s8
	s_mov_b32 exec_lo, s8
	s_cbranch_execz .LBB121_217
; %bb.216:                              ;   in Loop: Header=BB121_3 Depth=1
	ds_load_b64 v[44:45], v62 offset:25856
	ds_load_b64 v[46:47], v61 offset:32656
	s_wait_dscnt 0x0
	v_fmac_f64_e32 v[42:43], v[44:45], v[46:47]
.LBB121_217:                            ;   in Loop: Header=BB121_3 Depth=1
	s_or_b32 exec_lo, exec_lo, s7
	s_delay_alu instid0(SALU_CYCLE_1) | instskip(SKIP_2) | instid1(SALU_CYCLE_1)
	s_mov_b32 s7, exec_lo
	v_readlane_b32 s8, v86, 27
	s_and_b32 s8, s7, s8
	;; [unrolled: 13-line block ×10, first 2 shown]
	s_mov_b32 exec_lo, s8
	s_cbranch_execnz .LBB121_1015
; %bb.234:                              ;   in Loop: Header=BB121_3 Depth=1
	s_or_b32 exec_lo, exec_lo, s7
	s_and_saveexec_b32 s7, s3
	s_cbranch_execnz .LBB121_1016
.LBB121_235:                            ;   in Loop: Header=BB121_3 Depth=1
	s_or_b32 exec_lo, exec_lo, s7
	s_and_saveexec_b32 s7, s16
	s_cbranch_execnz .LBB121_1017
.LBB121_236:                            ;   in Loop: Header=BB121_3 Depth=1
	s_or_b32 exec_lo, exec_lo, s7
	s_and_saveexec_b32 s7, s18
	s_cbranch_execnz .LBB121_1018
.LBB121_237:                            ;   in Loop: Header=BB121_3 Depth=1
	s_or_b32 exec_lo, exec_lo, s7
	s_and_saveexec_b32 s7, s2
	s_cbranch_execz .LBB121_239
.LBB121_238:                            ;   in Loop: Header=BB121_3 Depth=1
	ds_load_b64 v[44:45], v50 offset:32512
	ds_load_b64 v[46:47], v1 offset:32760
	s_wait_dscnt 0x0
	v_fmac_f64_e32 v[42:43], v[44:45], v[46:47]
.LBB121_239:                            ;   in Loop: Header=BB121_3 Depth=1
	s_or_b32 exec_lo, exec_lo, s7
.LBB121_240:                            ;   in Loop: Header=BB121_3 Depth=1
	s_delay_alu instid0(SALU_CYCLE_1) | instskip(NEXT) | instid1(SALU_CYCLE_1)
	s_or_b32 exec_lo, exec_lo, s6
	s_mov_b32 s6, exec_lo
	v_readlane_b32 s7, v86, 1
	s_and_b32 s7, s6, s7
	s_delay_alu instid0(SALU_CYCLE_1)
	s_mov_b32 exec_lo, s7
; %bb.241:                              ;   in Loop: Header=BB121_3 Depth=1
	v_xor_b32_e32 v45, 0x80000000, v43
	v_mov_b32_e32 v44, v42
	ds_store_b64 v60, v[44:45]
; %bb.242:                              ;   in Loop: Header=BB121_3 Depth=1
	s_or_b32 exec_lo, exec_lo, s6
	s_wait_loadcnt_dscnt 0x0
	s_barrier_signal -1
	s_barrier_wait -1
	s_mov_b32 s6, exec_lo
	v_readlane_b32 s7, v86, 2
	s_and_b32 s7, s6, s7
	s_delay_alu instid0(SALU_CYCLE_1)
	s_mov_b32 exec_lo, s7
	s_cbranch_execz .LBB121_244
; %bb.243:                              ;   in Loop: Header=BB121_3 Depth=1
	ds_load_b64 v[44:45], v62 offset:24320
	ds_load_b64 v[46:47], v60
	s_wait_dscnt 0x0
	v_fma_f64 v[42:43], -v[44:45], v[46:47], v[42:43]
.LBB121_244:                            ;   in Loop: Header=BB121_3 Depth=1
	s_or_b32 exec_lo, exec_lo, s6
	s_barrier_signal -1
	s_barrier_wait -1
	s_mov_b32 s6, exec_lo
	v_readlane_b32 s7, v86, 3
	s_and_b32 s7, s6, s7
	s_delay_alu instid0(SALU_CYCLE_1)
	s_mov_b32 exec_lo, s7
; %bb.245:                              ;   in Loop: Header=BB121_3 Depth=1
	v_xor_b32_e32 v45, 0x80000000, v43
	v_mov_b32_e32 v44, v42
	ds_store_b64 v60, v[44:45]
; %bb.246:                              ;   in Loop: Header=BB121_3 Depth=1
	s_or_b32 exec_lo, exec_lo, s6
	s_wait_dscnt 0x0
	s_barrier_signal -1
	s_barrier_wait -1
	s_mov_b32 s6, exec_lo
	v_readlane_b32 s7, v86, 4
	s_and_b32 s7, s6, s7
	s_delay_alu instid0(SALU_CYCLE_1)
	s_mov_b32 exec_lo, s7
	s_cbranch_execz .LBB121_248
; %bb.247:                              ;   in Loop: Header=BB121_3 Depth=1
	ds_load_b64 v[44:45], v62 offset:23808
	ds_load_b64 v[46:47], v60
	s_wait_dscnt 0x0
	v_fma_f64 v[42:43], -v[44:45], v[46:47], v[42:43]
.LBB121_248:                            ;   in Loop: Header=BB121_3 Depth=1
	s_or_b32 exec_lo, exec_lo, s6
	s_barrier_signal -1
	s_barrier_wait -1
	s_mov_b32 s6, exec_lo
	v_readlane_b32 s7, v86, 5
	s_and_b32 s7, s6, s7
	s_delay_alu instid0(SALU_CYCLE_1)
	s_mov_b32 exec_lo, s7
; %bb.249:                              ;   in Loop: Header=BB121_3 Depth=1
	v_xor_b32_e32 v45, 0x80000000, v43
	v_mov_b32_e32 v44, v42
	ds_store_b64 v60, v[44:45]
; %bb.250:                              ;   in Loop: Header=BB121_3 Depth=1
	s_or_b32 exec_lo, exec_lo, s6
	s_wait_dscnt 0x0
	;; [unrolled: 29-line block ×4, first 2 shown]
	s_barrier_signal -1
	s_barrier_wait -1
	s_mov_b32 s6, exec_lo
	v_readlane_b32 s7, v86, 10
	s_and_b32 s7, s6, s7
	s_delay_alu instid0(SALU_CYCLE_1)
	s_mov_b32 exec_lo, s7
	s_cbranch_execz .LBB121_260
; %bb.259:                              ;   in Loop: Header=BB121_3 Depth=1
	ds_load_b64 v[44:45], v62 offset:22272
	ds_load_b64 v[46:47], v60
	s_wait_dscnt 0x0
	v_fma_f64 v[42:43], -v[44:45], v[46:47], v[42:43]
.LBB121_260:                            ;   in Loop: Header=BB121_3 Depth=1
	s_or_b32 exec_lo, exec_lo, s6
	s_barrier_signal -1
	s_barrier_wait -1
	s_and_saveexec_b32 s6, s28
; %bb.261:                              ;   in Loop: Header=BB121_3 Depth=1
	s_delay_alu instid0(VALU_DEP_1) | instskip(NEXT) | instid1(VALU_DEP_2)
	v_xor_b32_e32 v45, 0x80000000, v43
	v_mov_b32_e32 v44, v42
	ds_store_b64 v60, v[44:45]
; %bb.262:                              ;   in Loop: Header=BB121_3 Depth=1
	s_or_b32 exec_lo, exec_lo, s6
	s_wait_dscnt 0x0
	s_barrier_signal -1
	s_barrier_wait -1
	s_and_saveexec_b32 s6, s30
	s_cbranch_execz .LBB121_264
; %bb.263:                              ;   in Loop: Header=BB121_3 Depth=1
	ds_load_b64 v[44:45], v62 offset:21760
	ds_load_b64 v[46:47], v60
	s_wait_dscnt 0x0
	v_fma_f64 v[42:43], -v[44:45], v[46:47], v[42:43]
.LBB121_264:                            ;   in Loop: Header=BB121_3 Depth=1
	s_or_b32 exec_lo, exec_lo, s6
	s_barrier_signal -1
	s_barrier_wait -1
	s_and_saveexec_b32 s6, s58
; %bb.265:                              ;   in Loop: Header=BB121_3 Depth=1
	s_delay_alu instid0(VALU_DEP_1) | instskip(NEXT) | instid1(VALU_DEP_2)
	v_xor_b32_e32 v45, 0x80000000, v43
	v_mov_b32_e32 v44, v42
	ds_store_b64 v60, v[44:45]
; %bb.266:                              ;   in Loop: Header=BB121_3 Depth=1
	s_or_b32 exec_lo, exec_lo, s6
	s_wait_dscnt 0x0
	s_barrier_signal -1
	s_barrier_wait -1
	s_and_saveexec_b32 s6, s59
	;; [unrolled: 22-line block ×10, first 2 shown]
	s_cbranch_execz .LBB121_300
; %bb.299:                              ;   in Loop: Header=BB121_3 Depth=1
	ds_load_b64 v[44:45], v1 offset:17152
	ds_load_b64 v[46:47], v60
	s_wait_dscnt 0x0
	v_fma_f64 v[42:43], -v[44:45], v[46:47], v[42:43]
.LBB121_300:                            ;   in Loop: Header=BB121_3 Depth=1
	s_or_b32 exec_lo, exec_lo, s6
	s_barrier_signal -1
	s_barrier_wait -1
	s_and_saveexec_b32 s6, s54
; %bb.301:                              ;   in Loop: Header=BB121_3 Depth=1
	s_delay_alu instid0(VALU_DEP_1) | instskip(NEXT) | instid1(VALU_DEP_2)
	v_xor_b32_e32 v45, 0x80000000, v43
	v_mov_b32_e32 v44, v42
	ds_store_b64 v60, v[44:45]
; %bb.302:                              ;   in Loop: Header=BB121_3 Depth=1
	s_or_b32 exec_lo, exec_lo, s6
	s_wait_dscnt 0x0
	s_barrier_signal -1
	s_barrier_wait -1
	s_barrier_signal -1
	s_barrier_wait -1
	s_and_saveexec_b32 s6, s4
; %bb.303:                              ;   in Loop: Header=BB121_3 Depth=1
	ds_store_b64 v63, v[42:43] offset:32512
; %bb.304:                              ;   in Loop: Header=BB121_3 Depth=1
	s_or_b32 exec_lo, exec_lo, s6
	s_wait_dscnt 0x0
	s_barrier_signal -1
	s_barrier_wait -1
	s_barrier_signal -1
	s_barrier_wait -1
	s_and_saveexec_b32 s6, s11
; %bb.305:                              ;   in Loop: Header=BB121_3 Depth=1
	v_add_nc_u32_e64 v42, 0x5800, 0
	ds_store_2addr_b64 v42, v[26:27], v[26:27] offset0:174 offset1:239
; %bb.306:                              ;   in Loop: Header=BB121_3 Depth=1
	s_or_b32 exec_lo, exec_lo, s6
	v_mov_b64_e32 v[42:43], 0
	s_wait_dscnt 0x0
	s_barrier_signal -1
	s_barrier_wait -1
	global_wb scope:SCOPE_DEV
	s_wait_storecnt 0x0
	global_inv scope:SCOPE_DEV
	s_and_saveexec_b32 s6, s1
	s_cbranch_execz .LBB121_310
; %bb.307:                              ;   in Loop: Header=BB121_3 Depth=1
	ds_load_b64 v[42:43], v49 offset:23904
	ds_load_b64 v[44:45], v48 offset:24432
	s_wait_dscnt 0x0
	v_fma_f64 v[42:43], v[42:43], v[44:45], 0
	s_and_saveexec_b32 s7, s12
	s_cbranch_execz .LBB121_309
; %bb.308:                              ;   in Loop: Header=BB121_3 Depth=1
	ds_load_b64 v[44:45], v50 offset:24416
	ds_load_b64 v[46:47], v1 offset:24440
	s_wait_dscnt 0x0
	v_fmac_f64_e32 v[42:43], v[44:45], v[46:47]
.LBB121_309:                            ;   in Loop: Header=BB121_3 Depth=1
	s_or_b32 exec_lo, exec_lo, s7
.LBB121_310:                            ;   in Loop: Header=BB121_3 Depth=1
	s_delay_alu instid0(SALU_CYCLE_1)
	s_or_b32 exec_lo, exec_lo, s6
	s_and_saveexec_b32 s6, s101
; %bb.311:                              ;   in Loop: Header=BB121_3 Depth=1
	s_delay_alu instid0(VALU_DEP_1) | instskip(NEXT) | instid1(VALU_DEP_2)
	v_xor_b32_e32 v45, 0x80000000, v43
	v_mov_b32_e32 v44, v42
	ds_store_b64 v5, v[44:45]
; %bb.312:                              ;   in Loop: Header=BB121_3 Depth=1
	s_or_b32 exec_lo, exec_lo, s6
	s_wait_loadcnt_dscnt 0x0
	s_barrier_signal -1
	s_barrier_wait -1
	s_and_saveexec_b32 s6, s102
	s_cbranch_execz .LBB121_314
; %bb.313:                              ;   in Loop: Header=BB121_3 Depth=1
	ds_load_b64 v[44:45], v1 offset:23392
	ds_load_b64 v[46:47], v5
	s_wait_dscnt 0x0
	v_fma_f64 v[42:43], -v[44:45], v[46:47], v[42:43]
.LBB121_314:                            ;   in Loop: Header=BB121_3 Depth=1
	s_or_b32 exec_lo, exec_lo, s6
	s_barrier_signal -1
	s_barrier_wait -1
	s_and_saveexec_b32 s6, s102
; %bb.315:                              ;   in Loop: Header=BB121_3 Depth=1
	s_delay_alu instid0(VALU_DEP_1) | instskip(NEXT) | instid1(VALU_DEP_2)
	v_xor_b32_e32 v45, 0x80000000, v43
	v_mov_b32_e32 v44, v42
	ds_store_b64 v5, v[44:45]
; %bb.316:                              ;   in Loop: Header=BB121_3 Depth=1
	s_or_b32 exec_lo, exec_lo, s6
	s_wait_dscnt 0x0
	s_barrier_signal -1
	s_barrier_wait -1
	s_barrier_signal -1
	s_barrier_wait -1
	s_and_saveexec_b32 s6, s1
; %bb.317:                              ;   in Loop: Header=BB121_3 Depth=1
	ds_store_b64 v51, v[42:43] offset:24416
; %bb.318:                              ;   in Loop: Header=BB121_3 Depth=1
	s_or_b32 exec_lo, exec_lo, s6
	s_wait_dscnt 0x0
	s_barrier_signal -1
	s_barrier_wait -1
	s_barrier_signal -1
	s_barrier_wait -1
	s_and_saveexec_b32 s6, s11
; %bb.319:                              ;   in Loop: Header=BB121_3 Depth=1
	v_add_nc_u32_e64 v42, 0x5800, 0
	ds_store_2addr_b64 v42, v[26:27], v[26:27] offset0:44 offset1:109
; %bb.320:                              ;   in Loop: Header=BB121_3 Depth=1
	s_or_b32 exec_lo, exec_lo, s6
	v_mov_b64_e32 v[42:43], 0
	s_wait_dscnt 0x0
	s_barrier_signal -1
	s_barrier_wait -1
	global_wb scope:SCOPE_DEV
	s_wait_storecnt 0x0
	global_inv scope:SCOPE_DEV
	s_and_saveexec_b32 s6, s2
	s_cbranch_execz .LBB121_326
; %bb.321:                              ;   in Loop: Header=BB121_3 Depth=1
	ds_load_b64 v[42:43], v54 offset:22848
	ds_load_b64 v[44:45], v53 offset:24416
	s_wait_dscnt 0x0
	v_fma_f64 v[42:43], v[42:43], v[44:45], 0
	s_and_saveexec_b32 s7, s13
	s_cbranch_execnz .LBB121_1019
; %bb.322:                              ;   in Loop: Header=BB121_3 Depth=1
	s_or_b32 exec_lo, exec_lo, s7
	s_and_saveexec_b32 s7, s14
	s_cbranch_execnz .LBB121_1020
.LBB121_323:                            ;   in Loop: Header=BB121_3 Depth=1
	s_or_b32 exec_lo, exec_lo, s7
	s_and_saveexec_b32 s7, s1
	s_cbranch_execz .LBB121_325
.LBB121_324:                            ;   in Loop: Header=BB121_3 Depth=1
	ds_load_b64 v[44:45], v50 offset:24384
	ds_load_b64 v[46:47], v1 offset:24440
	s_wait_dscnt 0x0
	v_fmac_f64_e32 v[42:43], v[44:45], v[46:47]
.LBB121_325:                            ;   in Loop: Header=BB121_3 Depth=1
	s_or_b32 exec_lo, exec_lo, s7
.LBB121_326:                            ;   in Loop: Header=BB121_3 Depth=1
	s_delay_alu instid0(SALU_CYCLE_1)
	s_or_b32 exec_lo, exec_lo, s6
	s_and_saveexec_b32 s6, s103
; %bb.327:                              ;   in Loop: Header=BB121_3 Depth=1
	s_delay_alu instid0(VALU_DEP_1) | instskip(NEXT) | instid1(VALU_DEP_2)
	v_xor_b32_e32 v45, 0x80000000, v43
	v_mov_b32_e32 v44, v42
	ds_store_b64 v52, v[44:45]
; %bb.328:                              ;   in Loop: Header=BB121_3 Depth=1
	s_or_b32 exec_lo, exec_lo, s6
	s_wait_loadcnt_dscnt 0x0
	s_barrier_signal -1
	s_barrier_wait -1
	s_and_saveexec_b32 s6, s104
	s_cbranch_execz .LBB121_330
; %bb.329:                              ;   in Loop: Header=BB121_3 Depth=1
	ds_load_b64 v[44:45], v54 offset:22336
	ds_load_b64 v[46:47], v52
	s_wait_dscnt 0x0
	v_fma_f64 v[42:43], -v[44:45], v[46:47], v[42:43]
.LBB121_330:                            ;   in Loop: Header=BB121_3 Depth=1
	s_or_b32 exec_lo, exec_lo, s6
	s_barrier_signal -1
	s_barrier_wait -1
	s_and_saveexec_b32 s6, vcc_hi
; %bb.331:                              ;   in Loop: Header=BB121_3 Depth=1
	s_delay_alu instid0(VALU_DEP_1) | instskip(NEXT) | instid1(VALU_DEP_2)
	v_xor_b32_e32 v45, 0x80000000, v43
	v_mov_b32_e32 v44, v42
	ds_store_b64 v52, v[44:45]
; %bb.332:                              ;   in Loop: Header=BB121_3 Depth=1
	s_or_b32 exec_lo, exec_lo, s6
	s_wait_dscnt 0x0
	s_barrier_signal -1
	s_barrier_wait -1
	s_and_saveexec_b32 s6, s33
	s_cbranch_execz .LBB121_334
; %bb.333:                              ;   in Loop: Header=BB121_3 Depth=1
	ds_load_b64 v[44:45], v54 offset:21824
	ds_load_b64 v[46:47], v52
	s_wait_dscnt 0x0
	v_fma_f64 v[42:43], -v[44:45], v[46:47], v[42:43]
.LBB121_334:                            ;   in Loop: Header=BB121_3 Depth=1
	s_or_b32 exec_lo, exec_lo, s6
	s_barrier_signal -1
	s_barrier_wait -1
	s_and_saveexec_b32 s6, s34
; %bb.335:                              ;   in Loop: Header=BB121_3 Depth=1
	s_delay_alu instid0(VALU_DEP_1) | instskip(NEXT) | instid1(VALU_DEP_2)
	v_xor_b32_e32 v45, 0x80000000, v43
	v_mov_b32_e32 v44, v42
	ds_store_b64 v52, v[44:45]
; %bb.336:                              ;   in Loop: Header=BB121_3 Depth=1
	s_or_b32 exec_lo, exec_lo, s6
	s_wait_dscnt 0x0
	s_barrier_signal -1
	s_barrier_wait -1
	s_and_saveexec_b32 s6, s35
	s_cbranch_execz .LBB121_338
; %bb.337:                              ;   in Loop: Header=BB121_3 Depth=1
	ds_load_b64 v[44:45], v1 offset:21312
	ds_load_b64 v[46:47], v52
	s_wait_dscnt 0x0
	v_fma_f64 v[42:43], -v[44:45], v[46:47], v[42:43]
.LBB121_338:                            ;   in Loop: Header=BB121_3 Depth=1
	s_or_b32 exec_lo, exec_lo, s6
	s_barrier_signal -1
	s_barrier_wait -1
	s_and_saveexec_b32 s6, s35
; %bb.339:                              ;   in Loop: Header=BB121_3 Depth=1
	s_delay_alu instid0(VALU_DEP_1) | instskip(NEXT) | instid1(VALU_DEP_2)
	v_xor_b32_e32 v45, 0x80000000, v43
	v_mov_b32_e32 v44, v42
	ds_store_b64 v52, v[44:45]
; %bb.340:                              ;   in Loop: Header=BB121_3 Depth=1
	s_or_b32 exec_lo, exec_lo, s6
	s_wait_dscnt 0x0
	s_barrier_signal -1
	s_barrier_wait -1
	s_barrier_signal -1
	s_barrier_wait -1
	s_and_saveexec_b32 s6, s2
; %bb.341:                              ;   in Loop: Header=BB121_3 Depth=1
	ds_store_b64 v55, v[42:43] offset:24384
; %bb.342:                              ;   in Loop: Header=BB121_3 Depth=1
	s_or_b32 exec_lo, exec_lo, s6
	s_wait_dscnt 0x0
	s_barrier_signal -1
	s_barrier_wait -1
	s_barrier_signal -1
	s_barrier_wait -1
	s_and_saveexec_b32 s6, s11
; %bb.343:                              ;   in Loop: Header=BB121_3 Depth=1
	v_add_nc_u32_e64 v42, 0x5000, 0
	ds_store_2addr_b64 v42, v[26:27], v[26:27] offset0:170 offset1:235
; %bb.344:                              ;   in Loop: Header=BB121_3 Depth=1
	s_or_b32 exec_lo, exec_lo, s6
	v_mov_b64_e32 v[42:43], 0
	s_wait_dscnt 0x0
	s_barrier_signal -1
	s_barrier_wait -1
	global_wb scope:SCOPE_DEV
	s_wait_storecnt 0x0
	global_inv scope:SCOPE_DEV
	s_and_saveexec_b32 s6, s1
	s_cbranch_execz .LBB121_348
; %bb.345:                              ;   in Loop: Header=BB121_3 Depth=1
	ds_load_b64 v[42:43], v49 offset:21824
	ds_load_b64 v[44:45], v48 offset:22352
	s_wait_dscnt 0x0
	v_fma_f64 v[42:43], v[42:43], v[44:45], 0
	s_and_saveexec_b32 s7, s12
	s_cbranch_execz .LBB121_347
; %bb.346:                              ;   in Loop: Header=BB121_3 Depth=1
	ds_load_b64 v[44:45], v50 offset:22336
	ds_load_b64 v[46:47], v1 offset:22360
	s_wait_dscnt 0x0
	v_fmac_f64_e32 v[42:43], v[44:45], v[46:47]
.LBB121_347:                            ;   in Loop: Header=BB121_3 Depth=1
	s_or_b32 exec_lo, exec_lo, s7
.LBB121_348:                            ;   in Loop: Header=BB121_3 Depth=1
	s_delay_alu instid0(SALU_CYCLE_1)
	s_or_b32 exec_lo, exec_lo, s6
	s_and_saveexec_b32 s6, s101
; %bb.349:                              ;   in Loop: Header=BB121_3 Depth=1
	s_delay_alu instid0(VALU_DEP_1) | instskip(NEXT) | instid1(VALU_DEP_2)
	v_xor_b32_e32 v45, 0x80000000, v43
	v_mov_b32_e32 v44, v42
	ds_store_b64 v5, v[44:45]
; %bb.350:                              ;   in Loop: Header=BB121_3 Depth=1
	s_or_b32 exec_lo, exec_lo, s6
	s_wait_loadcnt_dscnt 0x0
	s_barrier_signal -1
	s_barrier_wait -1
	s_and_saveexec_b32 s6, s102
	s_cbranch_execz .LBB121_352
; %bb.351:                              ;   in Loop: Header=BB121_3 Depth=1
	ds_load_b64 v[44:45], v1 offset:21312
	ds_load_b64 v[46:47], v5
	s_wait_dscnt 0x0
	v_fma_f64 v[42:43], -v[44:45], v[46:47], v[42:43]
.LBB121_352:                            ;   in Loop: Header=BB121_3 Depth=1
	s_or_b32 exec_lo, exec_lo, s6
	s_barrier_signal -1
	s_barrier_wait -1
	s_and_saveexec_b32 s6, s102
; %bb.353:                              ;   in Loop: Header=BB121_3 Depth=1
	s_delay_alu instid0(VALU_DEP_1) | instskip(NEXT) | instid1(VALU_DEP_2)
	v_xor_b32_e32 v45, 0x80000000, v43
	v_mov_b32_e32 v44, v42
	ds_store_b64 v5, v[44:45]
; %bb.354:                              ;   in Loop: Header=BB121_3 Depth=1
	s_or_b32 exec_lo, exec_lo, s6
	s_wait_dscnt 0x0
	s_barrier_signal -1
	s_barrier_wait -1
	s_barrier_signal -1
	s_barrier_wait -1
	s_and_saveexec_b32 s6, s1
; %bb.355:                              ;   in Loop: Header=BB121_3 Depth=1
	ds_store_b64 v51, v[42:43] offset:22336
; %bb.356:                              ;   in Loop: Header=BB121_3 Depth=1
	s_or_b32 exec_lo, exec_lo, s6
	s_wait_dscnt 0x0
	s_barrier_signal -1
	s_barrier_wait -1
	s_barrier_signal -1
	s_barrier_wait -1
	s_and_saveexec_b32 s6, s11
; %bb.357:                              ;   in Loop: Header=BB121_3 Depth=1
	v_add_nc_u32_e64 v42, 0x5000, 0
	ds_store_2addr_b64 v42, v[26:27], v[26:27] offset0:40 offset1:105
; %bb.358:                              ;   in Loop: Header=BB121_3 Depth=1
	s_or_b32 exec_lo, exec_lo, s6
	v_mov_b64_e32 v[42:43], 0
	s_wait_dscnt 0x0
	s_barrier_signal -1
	s_barrier_wait -1
	global_wb scope:SCOPE_DEV
	s_wait_storecnt 0x0
	global_inv scope:SCOPE_DEV
	s_and_saveexec_b32 s6, s3
	s_cbranch_execz .LBB121_368
; %bb.359:                              ;   in Loop: Header=BB121_3 Depth=1
	ds_load_b64 v[42:43], v58 offset:20736
	ds_load_b64 v[44:45], v57 offset:24384
	s_wait_dscnt 0x0
	v_fma_f64 v[42:43], v[42:43], v[44:45], 0
	s_and_saveexec_b32 s7, s15
	s_cbranch_execnz .LBB121_1021
; %bb.360:                              ;   in Loop: Header=BB121_3 Depth=1
	s_or_b32 exec_lo, exec_lo, s7
	s_and_saveexec_b32 s7, s16
	s_cbranch_execnz .LBB121_1022
.LBB121_361:                            ;   in Loop: Header=BB121_3 Depth=1
	s_or_b32 exec_lo, exec_lo, s7
	s_and_saveexec_b32 s7, s17
	s_cbranch_execnz .LBB121_1023
.LBB121_362:                            ;   in Loop: Header=BB121_3 Depth=1
	s_or_b32 exec_lo, exec_lo, s7
	s_and_saveexec_b32 s7, s18
	s_cbranch_execnz .LBB121_1024
.LBB121_363:                            ;   in Loop: Header=BB121_3 Depth=1
	s_or_b32 exec_lo, exec_lo, s7
	s_and_saveexec_b32 s7, s19
	s_cbranch_execnz .LBB121_1025
.LBB121_364:                            ;   in Loop: Header=BB121_3 Depth=1
	s_or_b32 exec_lo, exec_lo, s7
	s_and_saveexec_b32 s7, s2
	s_cbranch_execnz .LBB121_1026
.LBB121_365:                            ;   in Loop: Header=BB121_3 Depth=1
	s_or_b32 exec_lo, exec_lo, s7
	s_and_saveexec_b32 s7, s14
	s_cbranch_execz .LBB121_367
.LBB121_366:                            ;   in Loop: Header=BB121_3 Depth=1
	ds_load_b64 v[44:45], v50 offset:24320
	ds_load_b64 v[46:47], v1 offset:24440
	s_wait_dscnt 0x0
	v_fmac_f64_e32 v[42:43], v[44:45], v[46:47]
.LBB121_367:                            ;   in Loop: Header=BB121_3 Depth=1
	s_or_b32 exec_lo, exec_lo, s7
.LBB121_368:                            ;   in Loop: Header=BB121_3 Depth=1
	s_delay_alu instid0(SALU_CYCLE_1)
	s_or_b32 exec_lo, exec_lo, s6
	s_and_saveexec_b32 s6, s36
; %bb.369:                              ;   in Loop: Header=BB121_3 Depth=1
	s_delay_alu instid0(VALU_DEP_1) | instskip(NEXT) | instid1(VALU_DEP_2)
	v_xor_b32_e32 v45, 0x80000000, v43
	v_mov_b32_e32 v44, v42
	ds_store_b64 v56, v[44:45]
; %bb.370:                              ;   in Loop: Header=BB121_3 Depth=1
	s_or_b32 exec_lo, exec_lo, s6
	s_wait_loadcnt_dscnt 0x0
	s_barrier_signal -1
	s_barrier_wait -1
	s_and_saveexec_b32 s6, s37
	s_cbranch_execz .LBB121_372
; %bb.371:                              ;   in Loop: Header=BB121_3 Depth=1
	ds_load_b64 v[44:45], v58 offset:20224
	ds_load_b64 v[46:47], v56
	s_wait_dscnt 0x0
	v_fma_f64 v[42:43], -v[44:45], v[46:47], v[42:43]
.LBB121_372:                            ;   in Loop: Header=BB121_3 Depth=1
	s_or_b32 exec_lo, exec_lo, s6
	s_barrier_signal -1
	s_barrier_wait -1
	s_and_saveexec_b32 s6, s38
; %bb.373:                              ;   in Loop: Header=BB121_3 Depth=1
	s_delay_alu instid0(VALU_DEP_1) | instskip(NEXT) | instid1(VALU_DEP_2)
	v_xor_b32_e32 v45, 0x80000000, v43
	v_mov_b32_e32 v44, v42
	ds_store_b64 v56, v[44:45]
; %bb.374:                              ;   in Loop: Header=BB121_3 Depth=1
	s_or_b32 exec_lo, exec_lo, s6
	s_wait_dscnt 0x0
	s_barrier_signal -1
	s_barrier_wait -1
	s_and_saveexec_b32 s6, s39
	s_cbranch_execz .LBB121_376
; %bb.375:                              ;   in Loop: Header=BB121_3 Depth=1
	ds_load_b64 v[44:45], v58 offset:19712
	ds_load_b64 v[46:47], v56
	s_wait_dscnt 0x0
	v_fma_f64 v[42:43], -v[44:45], v[46:47], v[42:43]
.LBB121_376:                            ;   in Loop: Header=BB121_3 Depth=1
	s_or_b32 exec_lo, exec_lo, s6
	s_barrier_signal -1
	s_barrier_wait -1
	s_and_saveexec_b32 s6, s40
; %bb.377:                              ;   in Loop: Header=BB121_3 Depth=1
	s_delay_alu instid0(VALU_DEP_1) | instskip(NEXT) | instid1(VALU_DEP_2)
	v_xor_b32_e32 v45, 0x80000000, v43
	v_mov_b32_e32 v44, v42
	ds_store_b64 v56, v[44:45]
; %bb.378:                              ;   in Loop: Header=BB121_3 Depth=1
	s_or_b32 exec_lo, exec_lo, s6
	s_wait_dscnt 0x0
	s_barrier_signal -1
	s_barrier_wait -1
	s_and_saveexec_b32 s6, s41
	s_cbranch_execz .LBB121_380
; %bb.379:                              ;   in Loop: Header=BB121_3 Depth=1
	ds_load_b64 v[44:45], v58 offset:19200
	ds_load_b64 v[46:47], v56
	s_wait_dscnt 0x0
	v_fma_f64 v[42:43], -v[44:45], v[46:47], v[42:43]
.LBB121_380:                            ;   in Loop: Header=BB121_3 Depth=1
	s_or_b32 exec_lo, exec_lo, s6
	s_barrier_signal -1
	s_barrier_wait -1
	s_and_saveexec_b32 s6, s42
; %bb.381:                              ;   in Loop: Header=BB121_3 Depth=1
	s_delay_alu instid0(VALU_DEP_1) | instskip(NEXT) | instid1(VALU_DEP_2)
	v_xor_b32_e32 v45, 0x80000000, v43
	v_mov_b32_e32 v44, v42
	ds_store_b64 v56, v[44:45]
; %bb.382:                              ;   in Loop: Header=BB121_3 Depth=1
	s_or_b32 exec_lo, exec_lo, s6
	s_wait_dscnt 0x0
	s_barrier_signal -1
	s_barrier_wait -1
	s_and_saveexec_b32 s6, s43
	s_cbranch_execz .LBB121_384
; %bb.383:                              ;   in Loop: Header=BB121_3 Depth=1
	ds_load_b64 v[44:45], v58 offset:18688
	ds_load_b64 v[46:47], v56
	s_wait_dscnt 0x0
	v_fma_f64 v[42:43], -v[44:45], v[46:47], v[42:43]
.LBB121_384:                            ;   in Loop: Header=BB121_3 Depth=1
	s_or_b32 exec_lo, exec_lo, s6
	s_barrier_signal -1
	s_barrier_wait -1
	s_and_saveexec_b32 s6, s44
; %bb.385:                              ;   in Loop: Header=BB121_3 Depth=1
	s_delay_alu instid0(VALU_DEP_1) | instskip(NEXT) | instid1(VALU_DEP_2)
	v_xor_b32_e32 v45, 0x80000000, v43
	v_mov_b32_e32 v44, v42
	ds_store_b64 v56, v[44:45]
; %bb.386:                              ;   in Loop: Header=BB121_3 Depth=1
	s_or_b32 exec_lo, exec_lo, s6
	s_wait_dscnt 0x0
	s_barrier_signal -1
	s_barrier_wait -1
	s_and_saveexec_b32 s6, s45
	s_cbranch_execz .LBB121_388
; %bb.387:                              ;   in Loop: Header=BB121_3 Depth=1
	ds_load_b64 v[44:45], v58 offset:18176
	ds_load_b64 v[46:47], v56
	s_wait_dscnt 0x0
	v_fma_f64 v[42:43], -v[44:45], v[46:47], v[42:43]
.LBB121_388:                            ;   in Loop: Header=BB121_3 Depth=1
	s_or_b32 exec_lo, exec_lo, s6
	s_barrier_signal -1
	s_barrier_wait -1
	s_and_saveexec_b32 s6, s46
; %bb.389:                              ;   in Loop: Header=BB121_3 Depth=1
	s_delay_alu instid0(VALU_DEP_1) | instskip(NEXT) | instid1(VALU_DEP_2)
	v_xor_b32_e32 v45, 0x80000000, v43
	v_mov_b32_e32 v44, v42
	ds_store_b64 v56, v[44:45]
; %bb.390:                              ;   in Loop: Header=BB121_3 Depth=1
	s_or_b32 exec_lo, exec_lo, s6
	s_wait_dscnt 0x0
	s_barrier_signal -1
	s_barrier_wait -1
	s_and_saveexec_b32 s6, s47
	s_cbranch_execz .LBB121_392
; %bb.391:                              ;   in Loop: Header=BB121_3 Depth=1
	ds_load_b64 v[44:45], v58 offset:17664
	ds_load_b64 v[46:47], v56
	s_wait_dscnt 0x0
	v_fma_f64 v[42:43], -v[44:45], v[46:47], v[42:43]
.LBB121_392:                            ;   in Loop: Header=BB121_3 Depth=1
	s_or_b32 exec_lo, exec_lo, s6
	s_barrier_signal -1
	s_barrier_wait -1
	s_and_saveexec_b32 s6, s48
; %bb.393:                              ;   in Loop: Header=BB121_3 Depth=1
	s_delay_alu instid0(VALU_DEP_1) | instskip(NEXT) | instid1(VALU_DEP_2)
	v_xor_b32_e32 v45, 0x80000000, v43
	v_mov_b32_e32 v44, v42
	ds_store_b64 v56, v[44:45]
; %bb.394:                              ;   in Loop: Header=BB121_3 Depth=1
	s_or_b32 exec_lo, exec_lo, s6
	s_wait_dscnt 0x0
	s_barrier_signal -1
	s_barrier_wait -1
	s_and_saveexec_b32 s6, s49
	s_cbranch_execz .LBB121_396
; %bb.395:                              ;   in Loop: Header=BB121_3 Depth=1
	ds_load_b64 v[44:45], v1 offset:17152
	ds_load_b64 v[46:47], v56
	s_wait_dscnt 0x0
	v_fma_f64 v[42:43], -v[44:45], v[46:47], v[42:43]
.LBB121_396:                            ;   in Loop: Header=BB121_3 Depth=1
	s_or_b32 exec_lo, exec_lo, s6
	s_barrier_signal -1
	s_barrier_wait -1
	s_and_saveexec_b32 s6, s49
; %bb.397:                              ;   in Loop: Header=BB121_3 Depth=1
	s_delay_alu instid0(VALU_DEP_1) | instskip(NEXT) | instid1(VALU_DEP_2)
	v_xor_b32_e32 v45, 0x80000000, v43
	v_mov_b32_e32 v44, v42
	ds_store_b64 v56, v[44:45]
; %bb.398:                              ;   in Loop: Header=BB121_3 Depth=1
	s_or_b32 exec_lo, exec_lo, s6
	s_wait_dscnt 0x0
	s_barrier_signal -1
	s_barrier_wait -1
	s_barrier_signal -1
	s_barrier_wait -1
	s_and_saveexec_b32 s6, s3
; %bb.399:                              ;   in Loop: Header=BB121_3 Depth=1
	ds_store_b64 v59, v[42:43] offset:24320
; %bb.400:                              ;   in Loop: Header=BB121_3 Depth=1
	s_or_b32 exec_lo, exec_lo, s6
	s_wait_dscnt 0x0
	s_barrier_signal -1
	s_barrier_wait -1
	s_barrier_signal -1
	s_barrier_wait -1
	s_and_saveexec_b32 s6, s11
; %bb.401:                              ;   in Loop: Header=BB121_3 Depth=1
	v_add_nc_u32_e64 v42, 0x4800, 0
	ds_store_2addr_b64 v42, v[26:27], v[26:27] offset0:166 offset1:231
; %bb.402:                              ;   in Loop: Header=BB121_3 Depth=1
	s_or_b32 exec_lo, exec_lo, s6
	v_mov_b64_e32 v[42:43], 0
	s_wait_dscnt 0x0
	s_barrier_signal -1
	s_barrier_wait -1
	global_wb scope:SCOPE_DEV
	s_wait_storecnt 0x0
	global_inv scope:SCOPE_DEV
	s_and_saveexec_b32 s6, s1
	s_cbranch_execz .LBB121_406
; %bb.403:                              ;   in Loop: Header=BB121_3 Depth=1
	ds_load_b64 v[42:43], v49 offset:19744
	ds_load_b64 v[44:45], v48 offset:20272
	s_wait_dscnt 0x0
	v_fma_f64 v[42:43], v[42:43], v[44:45], 0
	s_and_saveexec_b32 s7, s12
	s_cbranch_execz .LBB121_405
; %bb.404:                              ;   in Loop: Header=BB121_3 Depth=1
	ds_load_b64 v[44:45], v50 offset:20256
	ds_load_b64 v[46:47], v1 offset:20280
	s_wait_dscnt 0x0
	v_fmac_f64_e32 v[42:43], v[44:45], v[46:47]
.LBB121_405:                            ;   in Loop: Header=BB121_3 Depth=1
	s_or_b32 exec_lo, exec_lo, s7
.LBB121_406:                            ;   in Loop: Header=BB121_3 Depth=1
	s_delay_alu instid0(SALU_CYCLE_1)
	s_or_b32 exec_lo, exec_lo, s6
	s_and_saveexec_b32 s6, s101
; %bb.407:                              ;   in Loop: Header=BB121_3 Depth=1
	s_delay_alu instid0(VALU_DEP_1) | instskip(NEXT) | instid1(VALU_DEP_2)
	v_xor_b32_e32 v45, 0x80000000, v43
	v_mov_b32_e32 v44, v42
	ds_store_b64 v5, v[44:45]
; %bb.408:                              ;   in Loop: Header=BB121_3 Depth=1
	s_or_b32 exec_lo, exec_lo, s6
	s_wait_loadcnt_dscnt 0x0
	s_barrier_signal -1
	s_barrier_wait -1
	s_and_saveexec_b32 s6, s102
	s_cbranch_execz .LBB121_410
; %bb.409:                              ;   in Loop: Header=BB121_3 Depth=1
	ds_load_b64 v[44:45], v1 offset:19232
	ds_load_b64 v[46:47], v5
	s_wait_dscnt 0x0
	v_fma_f64 v[42:43], -v[44:45], v[46:47], v[42:43]
.LBB121_410:                            ;   in Loop: Header=BB121_3 Depth=1
	s_or_b32 exec_lo, exec_lo, s6
	s_barrier_signal -1
	s_barrier_wait -1
	s_and_saveexec_b32 s6, s102
; %bb.411:                              ;   in Loop: Header=BB121_3 Depth=1
	s_delay_alu instid0(VALU_DEP_1) | instskip(NEXT) | instid1(VALU_DEP_2)
	v_xor_b32_e32 v45, 0x80000000, v43
	v_mov_b32_e32 v44, v42
	ds_store_b64 v5, v[44:45]
; %bb.412:                              ;   in Loop: Header=BB121_3 Depth=1
	s_or_b32 exec_lo, exec_lo, s6
	s_wait_dscnt 0x0
	s_barrier_signal -1
	s_barrier_wait -1
	s_barrier_signal -1
	s_barrier_wait -1
	s_and_saveexec_b32 s6, s1
; %bb.413:                              ;   in Loop: Header=BB121_3 Depth=1
	ds_store_b64 v51, v[42:43] offset:20256
; %bb.414:                              ;   in Loop: Header=BB121_3 Depth=1
	s_or_b32 exec_lo, exec_lo, s6
	s_wait_dscnt 0x0
	s_barrier_signal -1
	s_barrier_wait -1
	s_barrier_signal -1
	s_barrier_wait -1
	s_and_saveexec_b32 s6, s11
; %bb.415:                              ;   in Loop: Header=BB121_3 Depth=1
	v_add_nc_u32_e64 v42, 0x4800, 0
	ds_store_2addr_b64 v42, v[26:27], v[26:27] offset0:36 offset1:101
; %bb.416:                              ;   in Loop: Header=BB121_3 Depth=1
	s_or_b32 exec_lo, exec_lo, s6
	v_mov_b64_e32 v[42:43], 0
	s_wait_dscnt 0x0
	s_barrier_signal -1
	s_barrier_wait -1
	global_wb scope:SCOPE_DEV
	s_wait_storecnt 0x0
	global_inv scope:SCOPE_DEV
	s_and_saveexec_b32 s6, s2
	s_cbranch_execz .LBB121_422
; %bb.417:                              ;   in Loop: Header=BB121_3 Depth=1
	ds_load_b64 v[42:43], v54 offset:18688
	ds_load_b64 v[44:45], v53 offset:20256
	s_wait_dscnt 0x0
	v_fma_f64 v[42:43], v[42:43], v[44:45], 0
	s_and_saveexec_b32 s7, s13
	s_cbranch_execnz .LBB121_1027
; %bb.418:                              ;   in Loop: Header=BB121_3 Depth=1
	s_or_b32 exec_lo, exec_lo, s7
	s_and_saveexec_b32 s7, s14
	s_cbranch_execnz .LBB121_1028
.LBB121_419:                            ;   in Loop: Header=BB121_3 Depth=1
	s_or_b32 exec_lo, exec_lo, s7
	s_and_saveexec_b32 s7, s1
	s_cbranch_execz .LBB121_421
.LBB121_420:                            ;   in Loop: Header=BB121_3 Depth=1
	ds_load_b64 v[44:45], v50 offset:20224
	ds_load_b64 v[46:47], v1 offset:20280
	s_wait_dscnt 0x0
	v_fmac_f64_e32 v[42:43], v[44:45], v[46:47]
.LBB121_421:                            ;   in Loop: Header=BB121_3 Depth=1
	s_or_b32 exec_lo, exec_lo, s7
.LBB121_422:                            ;   in Loop: Header=BB121_3 Depth=1
	s_delay_alu instid0(SALU_CYCLE_1)
	s_or_b32 exec_lo, exec_lo, s6
	s_and_saveexec_b32 s6, s103
; %bb.423:                              ;   in Loop: Header=BB121_3 Depth=1
	s_delay_alu instid0(VALU_DEP_1) | instskip(NEXT) | instid1(VALU_DEP_2)
	v_xor_b32_e32 v45, 0x80000000, v43
	v_mov_b32_e32 v44, v42
	ds_store_b64 v52, v[44:45]
; %bb.424:                              ;   in Loop: Header=BB121_3 Depth=1
	s_or_b32 exec_lo, exec_lo, s6
	s_wait_loadcnt_dscnt 0x0
	s_barrier_signal -1
	s_barrier_wait -1
	s_and_saveexec_b32 s6, s104
	s_cbranch_execz .LBB121_426
; %bb.425:                              ;   in Loop: Header=BB121_3 Depth=1
	ds_load_b64 v[44:45], v54 offset:18176
	ds_load_b64 v[46:47], v52
	s_wait_dscnt 0x0
	v_fma_f64 v[42:43], -v[44:45], v[46:47], v[42:43]
.LBB121_426:                            ;   in Loop: Header=BB121_3 Depth=1
	s_or_b32 exec_lo, exec_lo, s6
	s_barrier_signal -1
	s_barrier_wait -1
	s_and_saveexec_b32 s6, vcc_hi
; %bb.427:                              ;   in Loop: Header=BB121_3 Depth=1
	s_delay_alu instid0(VALU_DEP_1) | instskip(NEXT) | instid1(VALU_DEP_2)
	v_xor_b32_e32 v45, 0x80000000, v43
	v_mov_b32_e32 v44, v42
	ds_store_b64 v52, v[44:45]
; %bb.428:                              ;   in Loop: Header=BB121_3 Depth=1
	s_or_b32 exec_lo, exec_lo, s6
	s_wait_dscnt 0x0
	s_barrier_signal -1
	s_barrier_wait -1
	s_and_saveexec_b32 s6, s33
	s_cbranch_execz .LBB121_430
; %bb.429:                              ;   in Loop: Header=BB121_3 Depth=1
	ds_load_b64 v[44:45], v54 offset:17664
	ds_load_b64 v[46:47], v52
	s_wait_dscnt 0x0
	v_fma_f64 v[42:43], -v[44:45], v[46:47], v[42:43]
.LBB121_430:                            ;   in Loop: Header=BB121_3 Depth=1
	s_or_b32 exec_lo, exec_lo, s6
	s_barrier_signal -1
	s_barrier_wait -1
	s_and_saveexec_b32 s6, s34
; %bb.431:                              ;   in Loop: Header=BB121_3 Depth=1
	s_delay_alu instid0(VALU_DEP_1) | instskip(NEXT) | instid1(VALU_DEP_2)
	v_xor_b32_e32 v45, 0x80000000, v43
	v_mov_b32_e32 v44, v42
	ds_store_b64 v52, v[44:45]
; %bb.432:                              ;   in Loop: Header=BB121_3 Depth=1
	s_or_b32 exec_lo, exec_lo, s6
	s_wait_dscnt 0x0
	s_barrier_signal -1
	s_barrier_wait -1
	s_and_saveexec_b32 s6, s35
	s_cbranch_execz .LBB121_434
; %bb.433:                              ;   in Loop: Header=BB121_3 Depth=1
	ds_load_b64 v[44:45], v1 offset:17152
	ds_load_b64 v[46:47], v52
	s_wait_dscnt 0x0
	v_fma_f64 v[42:43], -v[44:45], v[46:47], v[42:43]
.LBB121_434:                            ;   in Loop: Header=BB121_3 Depth=1
	s_or_b32 exec_lo, exec_lo, s6
	s_barrier_signal -1
	s_barrier_wait -1
	s_and_saveexec_b32 s6, s35
; %bb.435:                              ;   in Loop: Header=BB121_3 Depth=1
	s_delay_alu instid0(VALU_DEP_1) | instskip(NEXT) | instid1(VALU_DEP_2)
	v_xor_b32_e32 v45, 0x80000000, v43
	v_mov_b32_e32 v44, v42
	ds_store_b64 v52, v[44:45]
; %bb.436:                              ;   in Loop: Header=BB121_3 Depth=1
	s_or_b32 exec_lo, exec_lo, s6
	s_wait_dscnt 0x0
	s_barrier_signal -1
	s_barrier_wait -1
	s_barrier_signal -1
	s_barrier_wait -1
	s_and_saveexec_b32 s6, s2
; %bb.437:                              ;   in Loop: Header=BB121_3 Depth=1
	ds_store_b64 v55, v[42:43] offset:20224
; %bb.438:                              ;   in Loop: Header=BB121_3 Depth=1
	s_or_b32 exec_lo, exec_lo, s6
	s_wait_dscnt 0x0
	s_barrier_signal -1
	s_barrier_wait -1
	s_barrier_signal -1
	s_barrier_wait -1
	s_and_saveexec_b32 s6, s11
; %bb.439:                              ;   in Loop: Header=BB121_3 Depth=1
	v_add_nc_u32_e64 v42, 0x4000, 0
	ds_store_2addr_b64 v42, v[26:27], v[26:27] offset0:162 offset1:227
; %bb.440:                              ;   in Loop: Header=BB121_3 Depth=1
	s_or_b32 exec_lo, exec_lo, s6
	v_mov_b64_e32 v[42:43], 0
	s_wait_dscnt 0x0
	s_barrier_signal -1
	s_barrier_wait -1
	global_wb scope:SCOPE_DEV
	s_wait_storecnt 0x0
	global_inv scope:SCOPE_DEV
	s_and_saveexec_b32 s6, s1
	s_cbranch_execz .LBB121_444
; %bb.441:                              ;   in Loop: Header=BB121_3 Depth=1
	ds_load_b64 v[42:43], v49 offset:17664
	ds_load_b64 v[44:45], v48 offset:18192
	s_wait_dscnt 0x0
	v_fma_f64 v[42:43], v[42:43], v[44:45], 0
	s_and_saveexec_b32 s7, s12
	s_cbranch_execz .LBB121_443
; %bb.442:                              ;   in Loop: Header=BB121_3 Depth=1
	ds_load_b64 v[44:45], v50 offset:18176
	ds_load_b64 v[46:47], v1 offset:18200
	s_wait_dscnt 0x0
	v_fmac_f64_e32 v[42:43], v[44:45], v[46:47]
.LBB121_443:                            ;   in Loop: Header=BB121_3 Depth=1
	s_or_b32 exec_lo, exec_lo, s7
.LBB121_444:                            ;   in Loop: Header=BB121_3 Depth=1
	s_delay_alu instid0(SALU_CYCLE_1)
	s_or_b32 exec_lo, exec_lo, s6
	s_and_saveexec_b32 s6, s101
; %bb.445:                              ;   in Loop: Header=BB121_3 Depth=1
	s_delay_alu instid0(VALU_DEP_1) | instskip(NEXT) | instid1(VALU_DEP_2)
	v_xor_b32_e32 v45, 0x80000000, v43
	v_mov_b32_e32 v44, v42
	ds_store_b64 v5, v[44:45]
; %bb.446:                              ;   in Loop: Header=BB121_3 Depth=1
	s_or_b32 exec_lo, exec_lo, s6
	s_wait_loadcnt_dscnt 0x0
	s_barrier_signal -1
	s_barrier_wait -1
	s_and_saveexec_b32 s6, s102
	s_cbranch_execz .LBB121_448
; %bb.447:                              ;   in Loop: Header=BB121_3 Depth=1
	ds_load_b64 v[44:45], v1 offset:17152
	ds_load_b64 v[46:47], v5
	s_wait_dscnt 0x0
	v_fma_f64 v[42:43], -v[44:45], v[46:47], v[42:43]
.LBB121_448:                            ;   in Loop: Header=BB121_3 Depth=1
	s_or_b32 exec_lo, exec_lo, s6
	s_barrier_signal -1
	s_barrier_wait -1
	s_and_saveexec_b32 s6, s102
; %bb.449:                              ;   in Loop: Header=BB121_3 Depth=1
	s_delay_alu instid0(VALU_DEP_1) | instskip(NEXT) | instid1(VALU_DEP_2)
	v_xor_b32_e32 v45, 0x80000000, v43
	v_mov_b32_e32 v44, v42
	ds_store_b64 v5, v[44:45]
; %bb.450:                              ;   in Loop: Header=BB121_3 Depth=1
	s_or_b32 exec_lo, exec_lo, s6
	s_wait_dscnt 0x0
	s_barrier_signal -1
	s_barrier_wait -1
	s_barrier_signal -1
	s_barrier_wait -1
	s_and_saveexec_b32 s6, s1
; %bb.451:                              ;   in Loop: Header=BB121_3 Depth=1
	ds_store_b64 v51, v[42:43] offset:18176
; %bb.452:                              ;   in Loop: Header=BB121_3 Depth=1
	s_or_b32 exec_lo, exec_lo, s6
	s_wait_dscnt 0x0
	s_barrier_signal -1
	s_barrier_wait -1
	s_barrier_signal -1
	s_barrier_wait -1
	s_and_saveexec_b32 s6, s11
; %bb.453:                              ;   in Loop: Header=BB121_3 Depth=1
	v_add_nc_u32_e64 v42, 0x4000, 0
	ds_store_2addr_b64 v42, v[26:27], v[26:27] offset0:32 offset1:97
; %bb.454:                              ;   in Loop: Header=BB121_3 Depth=1
	s_or_b32 exec_lo, exec_lo, s6
	v_mov_b64_e32 v[42:43], 0
	s_wait_dscnt 0x0
	s_barrier_signal -1
	s_barrier_wait -1
	global_wb scope:SCOPE_DEV
	s_wait_storecnt 0x0
	global_inv scope:SCOPE_DEV
	s_and_saveexec_b32 s94, s31
	s_cbranch_execz .LBB121_516
; %bb.455:                              ;   in Loop: Header=BB121_3 Depth=1
	ds_load_b64 v[42:43], v66 offset:16384
	ds_load_b64 v[44:45], v67 offset:32512
	s_wait_dscnt 0x0
	v_fma_f64 v[42:43], v[42:43], v[44:45], 0
	s_mov_b32 s6, exec_lo
	v_readlane_b32 s7, v85, 4
	s_and_b32 s7, s6, s7
	s_delay_alu instid0(SALU_CYCLE_1)
	s_mov_b32 exec_lo, s7
	s_cbranch_execz .LBB121_457
; %bb.456:                              ;   in Loop: Header=BB121_3 Depth=1
	ds_load_b64 v[44:45], v66 offset:16896
	ds_load_b64 v[46:47], v67 offset:32520
	s_wait_dscnt 0x0
	v_fmac_f64_e32 v[42:43], v[44:45], v[46:47]
.LBB121_457:                            ;   in Loop: Header=BB121_3 Depth=1
	s_or_b32 exec_lo, exec_lo, s6
	s_delay_alu instid0(SALU_CYCLE_1) | instskip(SKIP_2) | instid1(SALU_CYCLE_1)
	s_mov_b32 s6, exec_lo
	v_readlane_b32 s7, v85, 5
	s_and_b32 s7, s6, s7
	s_mov_b32 exec_lo, s7
	s_cbranch_execz .LBB121_459
; %bb.458:                              ;   in Loop: Header=BB121_3 Depth=1
	ds_load_b64 v[44:45], v66 offset:17408
	ds_load_b64 v[46:47], v67 offset:32528
	s_wait_dscnt 0x0
	v_fmac_f64_e32 v[42:43], v[44:45], v[46:47]
.LBB121_459:                            ;   in Loop: Header=BB121_3 Depth=1
	s_or_b32 exec_lo, exec_lo, s6
	s_delay_alu instid0(SALU_CYCLE_1) | instskip(SKIP_2) | instid1(SALU_CYCLE_1)
	s_mov_b32 s6, exec_lo
	v_readlane_b32 s7, v85, 6
	s_and_b32 s7, s6, s7
	;; [unrolled: 13-line block ×22, first 2 shown]
	s_mov_b32 exec_lo, s7
	s_cbranch_execz .LBB121_501
; %bb.500:                              ;   in Loop: Header=BB121_3 Depth=1
	ds_load_b64 v[44:45], v66 offset:28160
	ds_load_b64 v[46:47], v67 offset:32696
	s_wait_dscnt 0x0
	v_fmac_f64_e32 v[42:43], v[44:45], v[46:47]
.LBB121_501:                            ;   in Loop: Header=BB121_3 Depth=1
	s_or_b32 exec_lo, exec_lo, s6
	s_and_saveexec_b32 s6, s4
	s_cbranch_execz .LBB121_503
; %bb.502:                              ;   in Loop: Header=BB121_3 Depth=1
	ds_load_b64 v[44:45], v66 offset:28672
	ds_load_b64 v[46:47], v67 offset:32704
	s_wait_dscnt 0x0
	v_fmac_f64_e32 v[42:43], v[44:45], v[46:47]
.LBB121_503:                            ;   in Loop: Header=BB121_3 Depth=1
	s_or_b32 exec_lo, exec_lo, s6
	s_delay_alu instid0(SALU_CYCLE_1) | instskip(SKIP_2) | instid1(SALU_CYCLE_1)
	s_mov_b32 s6, exec_lo
	v_readlane_b32 s7, v86, 26
	s_and_b32 s7, s6, s7
	s_mov_b32 exec_lo, s7
	s_cbranch_execz .LBB121_505
; %bb.504:                              ;   in Loop: Header=BB121_3 Depth=1
	ds_load_b64 v[44:45], v66 offset:29184
	ds_load_b64 v[46:47], v67 offset:32712
	s_wait_dscnt 0x0
	v_fmac_f64_e32 v[42:43], v[44:45], v[46:47]
.LBB121_505:                            ;   in Loop: Header=BB121_3 Depth=1
	s_or_b32 exec_lo, exec_lo, s6
	s_delay_alu instid0(SALU_CYCLE_1) | instskip(SKIP_2) | instid1(SALU_CYCLE_1)
	s_mov_b32 s6, exec_lo
	v_readlane_b32 s7, v86, 28
	s_and_b32 s7, s6, s7
	s_mov_b32 exec_lo, s7
	;; [unrolled: 13-line block ×5, first 2 shown]
	s_cbranch_execnz .LBB121_1029
; %bb.512:                              ;   in Loop: Header=BB121_3 Depth=1
	s_or_b32 exec_lo, exec_lo, s6
	s_and_saveexec_b32 s6, s3
	s_cbranch_execnz .LBB121_1030
.LBB121_513:                            ;   in Loop: Header=BB121_3 Depth=1
	s_or_b32 exec_lo, exec_lo, s6
	s_and_saveexec_b32 s6, s18
	s_delay_alu instid0(SALU_CYCLE_1)
	s_xor_b32 s6, exec_lo, s6
	s_cbranch_execz .LBB121_515
.LBB121_514:                            ;   in Loop: Header=BB121_3 Depth=1
	ds_load_b64 v[44:45], v50 offset:32256
	ds_load_b64 v[46:47], v1 offset:32760
	s_wait_dscnt 0x0
	v_fmac_f64_e32 v[42:43], v[44:45], v[46:47]
.LBB121_515:                            ;   in Loop: Header=BB121_3 Depth=1
	s_or_b32 exec_lo, exec_lo, s6
.LBB121_516:                            ;   in Loop: Header=BB121_3 Depth=1
	s_delay_alu instid0(SALU_CYCLE_1)
	s_or_b32 exec_lo, exec_lo, s94
	v_dual_mov_b32 v44, v3 :: v_dual_mov_b32 v45, v77
	s_mov_b32 s6, 31
	s_branch .LBB121_518
.LBB121_517:                            ;   in Loop: Header=BB121_518 Depth=2
	s_or_b32 exec_lo, exec_lo, s8
	v_add_nc_u32_e32 v45, 0xfffff800, v45
	v_add_nc_u32_e32 v44, 4, v44
	s_add_co_i32 s6, s6, -4
	s_cmp_eq_u32 s7, 0
	s_barrier_signal -1
	s_barrier_wait -1
	s_cbranch_scc1 .LBB121_534
.LBB121_518:                            ;   Parent Loop BB121_3 Depth=1
                                        ; =>  This Inner Loop Header: Depth=2
	s_delay_alu instid0(VALU_DEP_1) | instskip(SKIP_1) | instid1(SALU_CYCLE_1)
	v_cmp_eq_u32_e32 vcc_lo, 0, v44
	s_and_b32 s8, s10, vcc_lo
	s_and_saveexec_b32 s7, s8
; %bb.519:                              ;   in Loop: Header=BB121_518 Depth=2
	s_delay_alu instid0(VALU_DEP_3) | instskip(NEXT) | instid1(VALU_DEP_4)
	v_xor_b32_e32 v47, 0x80000000, v43
	v_mov_b32_e32 v46, v42
	ds_store_b64 v65, v[46:47]
; %bb.520:                              ;   in Loop: Header=BB121_518 Depth=2
	s_or_b32 exec_lo, exec_lo, s7
	v_cmp_gt_u32_e32 vcc_lo, s6, v64
	s_wait_loadcnt_dscnt 0x0
	s_barrier_signal -1
	s_barrier_wait -1
	s_and_b32 s8, s10, vcc_lo
	s_delay_alu instid0(SALU_CYCLE_1)
	s_and_saveexec_b32 s7, s8
	s_cbranch_execz .LBB121_522
; %bb.521:                              ;   in Loop: Header=BB121_518 Depth=2
	ds_load_b64 v[46:47], v45 offset:1536
	ds_load_b64 v[80:81], v65
	s_wait_dscnt 0x0
	v_fma_f64 v[42:43], -v[46:47], v[80:81], v[42:43]
.LBB121_522:                            ;   in Loop: Header=BB121_518 Depth=2
	s_or_b32 exec_lo, exec_lo, s7
	s_add_co_i32 s7, s6, -1
	s_delay_alu instid0(SALU_CYCLE_1) | instskip(SKIP_3) | instid1(SALU_CYCLE_1)
	v_cmp_eq_u32_e32 vcc_lo, s7, v64
	s_barrier_signal -1
	s_barrier_wait -1
	s_and_b32 s9, s10, vcc_lo
	s_and_saveexec_b32 s8, s9
; %bb.523:                              ;   in Loop: Header=BB121_518 Depth=2
	s_delay_alu instid0(VALU_DEP_2) | instskip(NEXT) | instid1(VALU_DEP_3)
	v_xor_b32_e32 v47, 0x80000000, v43
	v_mov_b32_e32 v46, v42
	ds_store_b64 v65, v[46:47]
; %bb.524:                              ;   in Loop: Header=BB121_518 Depth=2
	s_or_b32 exec_lo, exec_lo, s8
	v_cmp_gt_u32_e32 vcc_lo, s7, v64
	s_wait_dscnt 0x0
	s_barrier_signal -1
	s_barrier_wait -1
	s_and_b32 s8, s10, vcc_lo
	s_delay_alu instid0(SALU_CYCLE_1)
	s_and_saveexec_b32 s7, s8
	s_cbranch_execz .LBB121_526
; %bb.525:                              ;   in Loop: Header=BB121_518 Depth=2
	ds_load_b64 v[46:47], v45 offset:1024
	ds_load_b64 v[80:81], v65
	s_wait_dscnt 0x0
	v_fma_f64 v[42:43], -v[46:47], v[80:81], v[42:43]
.LBB121_526:                            ;   in Loop: Header=BB121_518 Depth=2
	s_or_b32 exec_lo, exec_lo, s7
	s_add_co_i32 s7, s6, -2
	s_delay_alu instid0(SALU_CYCLE_1) | instskip(SKIP_3) | instid1(SALU_CYCLE_1)
	v_cmp_eq_u32_e32 vcc_lo, s7, v64
	s_barrier_signal -1
	s_barrier_wait -1
	s_and_b32 s9, s10, vcc_lo
	s_and_saveexec_b32 s8, s9
; %bb.527:                              ;   in Loop: Header=BB121_518 Depth=2
	s_delay_alu instid0(VALU_DEP_2) | instskip(NEXT) | instid1(VALU_DEP_3)
	v_xor_b32_e32 v47, 0x80000000, v43
	v_mov_b32_e32 v46, v42
	ds_store_b64 v65, v[46:47]
; %bb.528:                              ;   in Loop: Header=BB121_518 Depth=2
	s_or_b32 exec_lo, exec_lo, s8
	v_cmp_gt_u32_e32 vcc_lo, s7, v64
	s_wait_dscnt 0x0
	;; [unrolled: 29-line block ×3, first 2 shown]
	s_barrier_signal -1
	s_barrier_wait -1
	s_and_b32 s9, s10, vcc_lo
	s_delay_alu instid0(SALU_CYCLE_1)
	s_and_saveexec_b32 s8, s9
	s_cbranch_execz .LBB121_517
; %bb.533:                              ;   in Loop: Header=BB121_518 Depth=2
	ds_load_b64 v[46:47], v45
	ds_load_b64 v[80:81], v65
	s_wait_dscnt 0x0
	v_fma_f64 v[42:43], -v[46:47], v[80:81], v[42:43]
	s_branch .LBB121_517
.LBB121_534:                            ;   in Loop: Header=BB121_3 Depth=1
	s_and_saveexec_b32 s6, s31
; %bb.535:                              ;   in Loop: Header=BB121_3 Depth=1
	ds_store_b64 v68, v[42:43] offset:32256
; %bb.536:                              ;   in Loop: Header=BB121_3 Depth=1
	s_or_b32 exec_lo, exec_lo, s6
	s_wait_dscnt 0x0
	s_barrier_signal -1
	s_barrier_wait -1
	s_barrier_signal -1
	s_barrier_wait -1
	s_and_saveexec_b32 s6, s11
; %bb.537:                              ;   in Loop: Header=BB121_3 Depth=1
	v_add_nc_u32_e64 v42, 0x3800, 0
	ds_store_2addr_b64 v42, v[26:27], v[26:27] offset0:158 offset1:223
; %bb.538:                              ;   in Loop: Header=BB121_3 Depth=1
	s_or_b32 exec_lo, exec_lo, s6
	v_mov_b64_e32 v[42:43], 0
	s_wait_dscnt 0x0
	s_barrier_signal -1
	s_barrier_wait -1
	global_wb scope:SCOPE_DEV
	s_wait_storecnt 0x0
	global_inv scope:SCOPE_DEV
	s_and_saveexec_b32 s6, s1
	s_cbranch_execz .LBB121_542
; %bb.539:                              ;   in Loop: Header=BB121_3 Depth=1
	ds_load_b64 v[42:43], v49 offset:15584
	ds_load_b64 v[44:45], v48 offset:16112
	s_wait_dscnt 0x0
	v_fma_f64 v[42:43], v[42:43], v[44:45], 0
	s_and_saveexec_b32 s7, s12
	s_cbranch_execz .LBB121_541
; %bb.540:                              ;   in Loop: Header=BB121_3 Depth=1
	ds_load_b64 v[44:45], v50 offset:16096
	ds_load_b64 v[46:47], v1 offset:16120
	s_wait_dscnt 0x0
	v_fmac_f64_e32 v[42:43], v[44:45], v[46:47]
.LBB121_541:                            ;   in Loop: Header=BB121_3 Depth=1
	s_or_b32 exec_lo, exec_lo, s7
.LBB121_542:                            ;   in Loop: Header=BB121_3 Depth=1
	s_delay_alu instid0(SALU_CYCLE_1)
	s_or_b32 exec_lo, exec_lo, s6
	s_and_saveexec_b32 s6, s101
; %bb.543:                              ;   in Loop: Header=BB121_3 Depth=1
	s_delay_alu instid0(VALU_DEP_1) | instskip(NEXT) | instid1(VALU_DEP_2)
	v_xor_b32_e32 v45, 0x80000000, v43
	v_mov_b32_e32 v44, v42
	ds_store_b64 v5, v[44:45]
; %bb.544:                              ;   in Loop: Header=BB121_3 Depth=1
	s_or_b32 exec_lo, exec_lo, s6
	s_wait_loadcnt_dscnt 0x0
	s_barrier_signal -1
	s_barrier_wait -1
	s_and_saveexec_b32 s6, s102
	s_cbranch_execz .LBB121_546
; %bb.545:                              ;   in Loop: Header=BB121_3 Depth=1
	ds_load_b64 v[44:45], v1 offset:15072
	ds_load_b64 v[46:47], v5
	s_wait_dscnt 0x0
	v_fma_f64 v[42:43], -v[44:45], v[46:47], v[42:43]
.LBB121_546:                            ;   in Loop: Header=BB121_3 Depth=1
	s_or_b32 exec_lo, exec_lo, s6
	s_barrier_signal -1
	s_barrier_wait -1
	s_and_saveexec_b32 s6, s102
; %bb.547:                              ;   in Loop: Header=BB121_3 Depth=1
	s_delay_alu instid0(VALU_DEP_1) | instskip(NEXT) | instid1(VALU_DEP_2)
	v_xor_b32_e32 v45, 0x80000000, v43
	v_mov_b32_e32 v44, v42
	ds_store_b64 v5, v[44:45]
; %bb.548:                              ;   in Loop: Header=BB121_3 Depth=1
	s_or_b32 exec_lo, exec_lo, s6
	s_wait_dscnt 0x0
	s_barrier_signal -1
	s_barrier_wait -1
	s_barrier_signal -1
	s_barrier_wait -1
	s_and_saveexec_b32 s6, s1
; %bb.549:                              ;   in Loop: Header=BB121_3 Depth=1
	ds_store_b64 v51, v[42:43] offset:16096
; %bb.550:                              ;   in Loop: Header=BB121_3 Depth=1
	s_or_b32 exec_lo, exec_lo, s6
	s_wait_dscnt 0x0
	s_barrier_signal -1
	s_barrier_wait -1
	s_barrier_signal -1
	s_barrier_wait -1
	s_and_saveexec_b32 s6, s11
; %bb.551:                              ;   in Loop: Header=BB121_3 Depth=1
	v_add_nc_u32_e64 v42, 0x3800, 0
	ds_store_2addr_b64 v42, v[26:27], v[26:27] offset0:28 offset1:93
; %bb.552:                              ;   in Loop: Header=BB121_3 Depth=1
	s_or_b32 exec_lo, exec_lo, s6
	v_mov_b64_e32 v[42:43], 0
	s_wait_dscnt 0x0
	s_barrier_signal -1
	s_barrier_wait -1
	global_wb scope:SCOPE_DEV
	s_wait_storecnt 0x0
	global_inv scope:SCOPE_DEV
	s_and_saveexec_b32 s6, s2
	s_cbranch_execz .LBB121_558
; %bb.553:                              ;   in Loop: Header=BB121_3 Depth=1
	ds_load_b64 v[42:43], v54 offset:14528
	ds_load_b64 v[44:45], v53 offset:16096
	s_wait_dscnt 0x0
	v_fma_f64 v[42:43], v[42:43], v[44:45], 0
	s_and_saveexec_b32 s7, s13
	s_cbranch_execnz .LBB121_1031
; %bb.554:                              ;   in Loop: Header=BB121_3 Depth=1
	s_or_b32 exec_lo, exec_lo, s7
	s_and_saveexec_b32 s7, s14
	s_cbranch_execnz .LBB121_1032
.LBB121_555:                            ;   in Loop: Header=BB121_3 Depth=1
	s_or_b32 exec_lo, exec_lo, s7
	s_and_saveexec_b32 s7, s1
	s_cbranch_execz .LBB121_557
.LBB121_556:                            ;   in Loop: Header=BB121_3 Depth=1
	ds_load_b64 v[44:45], v50 offset:16064
	ds_load_b64 v[46:47], v1 offset:16120
	s_wait_dscnt 0x0
	v_fmac_f64_e32 v[42:43], v[44:45], v[46:47]
.LBB121_557:                            ;   in Loop: Header=BB121_3 Depth=1
	s_or_b32 exec_lo, exec_lo, s7
.LBB121_558:                            ;   in Loop: Header=BB121_3 Depth=1
	s_delay_alu instid0(SALU_CYCLE_1)
	s_or_b32 exec_lo, exec_lo, s6
	s_and_saveexec_b32 s6, s103
; %bb.559:                              ;   in Loop: Header=BB121_3 Depth=1
	s_delay_alu instid0(VALU_DEP_1) | instskip(NEXT) | instid1(VALU_DEP_2)
	v_xor_b32_e32 v45, 0x80000000, v43
	v_mov_b32_e32 v44, v42
	ds_store_b64 v52, v[44:45]
; %bb.560:                              ;   in Loop: Header=BB121_3 Depth=1
	s_or_b32 exec_lo, exec_lo, s6
	s_wait_loadcnt_dscnt 0x0
	s_barrier_signal -1
	s_barrier_wait -1
	s_and_saveexec_b32 s6, s104
	s_cbranch_execz .LBB121_562
; %bb.561:                              ;   in Loop: Header=BB121_3 Depth=1
	ds_load_b64 v[44:45], v54 offset:14016
	ds_load_b64 v[46:47], v52
	s_wait_dscnt 0x0
	v_fma_f64 v[42:43], -v[44:45], v[46:47], v[42:43]
.LBB121_562:                            ;   in Loop: Header=BB121_3 Depth=1
	s_or_b32 exec_lo, exec_lo, s6
	s_barrier_signal -1
	s_barrier_wait -1
	s_and_saveexec_b32 s6, vcc_hi
; %bb.563:                              ;   in Loop: Header=BB121_3 Depth=1
	s_delay_alu instid0(VALU_DEP_1) | instskip(NEXT) | instid1(VALU_DEP_2)
	v_xor_b32_e32 v45, 0x80000000, v43
	v_mov_b32_e32 v44, v42
	ds_store_b64 v52, v[44:45]
; %bb.564:                              ;   in Loop: Header=BB121_3 Depth=1
	s_or_b32 exec_lo, exec_lo, s6
	s_wait_dscnt 0x0
	s_barrier_signal -1
	s_barrier_wait -1
	s_and_saveexec_b32 s6, s33
	s_cbranch_execz .LBB121_566
; %bb.565:                              ;   in Loop: Header=BB121_3 Depth=1
	ds_load_b64 v[44:45], v54 offset:13504
	ds_load_b64 v[46:47], v52
	s_wait_dscnt 0x0
	v_fma_f64 v[42:43], -v[44:45], v[46:47], v[42:43]
.LBB121_566:                            ;   in Loop: Header=BB121_3 Depth=1
	s_or_b32 exec_lo, exec_lo, s6
	s_barrier_signal -1
	s_barrier_wait -1
	s_and_saveexec_b32 s6, s34
; %bb.567:                              ;   in Loop: Header=BB121_3 Depth=1
	s_delay_alu instid0(VALU_DEP_1) | instskip(NEXT) | instid1(VALU_DEP_2)
	v_xor_b32_e32 v45, 0x80000000, v43
	v_mov_b32_e32 v44, v42
	ds_store_b64 v52, v[44:45]
; %bb.568:                              ;   in Loop: Header=BB121_3 Depth=1
	s_or_b32 exec_lo, exec_lo, s6
	s_wait_dscnt 0x0
	s_barrier_signal -1
	s_barrier_wait -1
	s_and_saveexec_b32 s6, s35
	s_cbranch_execz .LBB121_570
; %bb.569:                              ;   in Loop: Header=BB121_3 Depth=1
	ds_load_b64 v[44:45], v1 offset:12992
	ds_load_b64 v[46:47], v52
	s_wait_dscnt 0x0
	v_fma_f64 v[42:43], -v[44:45], v[46:47], v[42:43]
.LBB121_570:                            ;   in Loop: Header=BB121_3 Depth=1
	s_or_b32 exec_lo, exec_lo, s6
	s_barrier_signal -1
	s_barrier_wait -1
	s_and_saveexec_b32 s6, s35
; %bb.571:                              ;   in Loop: Header=BB121_3 Depth=1
	s_delay_alu instid0(VALU_DEP_1) | instskip(NEXT) | instid1(VALU_DEP_2)
	v_xor_b32_e32 v45, 0x80000000, v43
	v_mov_b32_e32 v44, v42
	ds_store_b64 v52, v[44:45]
; %bb.572:                              ;   in Loop: Header=BB121_3 Depth=1
	s_or_b32 exec_lo, exec_lo, s6
	s_wait_dscnt 0x0
	s_barrier_signal -1
	s_barrier_wait -1
	s_barrier_signal -1
	s_barrier_wait -1
	s_and_saveexec_b32 s6, s2
; %bb.573:                              ;   in Loop: Header=BB121_3 Depth=1
	ds_store_b64 v55, v[42:43] offset:16064
; %bb.574:                              ;   in Loop: Header=BB121_3 Depth=1
	s_or_b32 exec_lo, exec_lo, s6
	s_wait_dscnt 0x0
	s_barrier_signal -1
	s_barrier_wait -1
	s_barrier_signal -1
	s_barrier_wait -1
	s_and_saveexec_b32 s6, s11
; %bb.575:                              ;   in Loop: Header=BB121_3 Depth=1
	v_add_nc_u32_e64 v42, 0x3000, 0
	ds_store_2addr_b64 v42, v[26:27], v[26:27] offset0:154 offset1:219
; %bb.576:                              ;   in Loop: Header=BB121_3 Depth=1
	s_or_b32 exec_lo, exec_lo, s6
	v_mov_b64_e32 v[42:43], 0
	s_wait_dscnt 0x0
	s_barrier_signal -1
	s_barrier_wait -1
	global_wb scope:SCOPE_DEV
	s_wait_storecnt 0x0
	global_inv scope:SCOPE_DEV
	s_and_saveexec_b32 s6, s1
	s_cbranch_execz .LBB121_580
; %bb.577:                              ;   in Loop: Header=BB121_3 Depth=1
	ds_load_b64 v[42:43], v49 offset:13504
	ds_load_b64 v[44:45], v48 offset:14032
	s_wait_dscnt 0x0
	v_fma_f64 v[42:43], v[42:43], v[44:45], 0
	s_and_saveexec_b32 s7, s12
	s_cbranch_execz .LBB121_579
; %bb.578:                              ;   in Loop: Header=BB121_3 Depth=1
	ds_load_b64 v[44:45], v50 offset:14016
	ds_load_b64 v[46:47], v1 offset:14040
	s_wait_dscnt 0x0
	v_fmac_f64_e32 v[42:43], v[44:45], v[46:47]
.LBB121_579:                            ;   in Loop: Header=BB121_3 Depth=1
	s_or_b32 exec_lo, exec_lo, s7
.LBB121_580:                            ;   in Loop: Header=BB121_3 Depth=1
	s_delay_alu instid0(SALU_CYCLE_1)
	s_or_b32 exec_lo, exec_lo, s6
	s_and_saveexec_b32 s6, s101
; %bb.581:                              ;   in Loop: Header=BB121_3 Depth=1
	s_delay_alu instid0(VALU_DEP_1) | instskip(NEXT) | instid1(VALU_DEP_2)
	v_xor_b32_e32 v45, 0x80000000, v43
	v_mov_b32_e32 v44, v42
	ds_store_b64 v5, v[44:45]
; %bb.582:                              ;   in Loop: Header=BB121_3 Depth=1
	s_or_b32 exec_lo, exec_lo, s6
	s_wait_loadcnt_dscnt 0x0
	s_barrier_signal -1
	s_barrier_wait -1
	s_and_saveexec_b32 s6, s102
	s_cbranch_execz .LBB121_584
; %bb.583:                              ;   in Loop: Header=BB121_3 Depth=1
	ds_load_b64 v[44:45], v1 offset:12992
	ds_load_b64 v[46:47], v5
	s_wait_dscnt 0x0
	v_fma_f64 v[42:43], -v[44:45], v[46:47], v[42:43]
.LBB121_584:                            ;   in Loop: Header=BB121_3 Depth=1
	s_or_b32 exec_lo, exec_lo, s6
	s_barrier_signal -1
	s_barrier_wait -1
	s_and_saveexec_b32 s6, s102
; %bb.585:                              ;   in Loop: Header=BB121_3 Depth=1
	s_delay_alu instid0(VALU_DEP_1) | instskip(NEXT) | instid1(VALU_DEP_2)
	v_xor_b32_e32 v45, 0x80000000, v43
	v_mov_b32_e32 v44, v42
	ds_store_b64 v5, v[44:45]
; %bb.586:                              ;   in Loop: Header=BB121_3 Depth=1
	s_or_b32 exec_lo, exec_lo, s6
	s_wait_dscnt 0x0
	s_barrier_signal -1
	s_barrier_wait -1
	s_barrier_signal -1
	s_barrier_wait -1
	s_and_saveexec_b32 s6, s1
; %bb.587:                              ;   in Loop: Header=BB121_3 Depth=1
	ds_store_b64 v51, v[42:43] offset:14016
; %bb.588:                              ;   in Loop: Header=BB121_3 Depth=1
	s_or_b32 exec_lo, exec_lo, s6
	s_wait_dscnt 0x0
	s_barrier_signal -1
	s_barrier_wait -1
	s_barrier_signal -1
	s_barrier_wait -1
	s_and_saveexec_b32 s6, s11
; %bb.589:                              ;   in Loop: Header=BB121_3 Depth=1
	v_add_nc_u32_e64 v42, 0x3000, 0
	ds_store_2addr_b64 v42, v[26:27], v[26:27] offset0:24 offset1:89
; %bb.590:                              ;   in Loop: Header=BB121_3 Depth=1
	s_or_b32 exec_lo, exec_lo, s6
	v_mov_b64_e32 v[42:43], 0
	s_wait_dscnt 0x0
	s_barrier_signal -1
	s_barrier_wait -1
	global_wb scope:SCOPE_DEV
	s_wait_storecnt 0x0
	global_inv scope:SCOPE_DEV
	s_and_saveexec_b32 s6, s3
	s_cbranch_execz .LBB121_600
; %bb.591:                              ;   in Loop: Header=BB121_3 Depth=1
	ds_load_b64 v[42:43], v58 offset:12416
	ds_load_b64 v[44:45], v57 offset:16064
	s_wait_dscnt 0x0
	v_fma_f64 v[42:43], v[42:43], v[44:45], 0
	s_and_saveexec_b32 s7, s15
	s_cbranch_execnz .LBB121_1033
; %bb.592:                              ;   in Loop: Header=BB121_3 Depth=1
	s_or_b32 exec_lo, exec_lo, s7
	s_and_saveexec_b32 s7, s16
	s_cbranch_execnz .LBB121_1034
.LBB121_593:                            ;   in Loop: Header=BB121_3 Depth=1
	s_or_b32 exec_lo, exec_lo, s7
	s_and_saveexec_b32 s7, s17
	s_cbranch_execnz .LBB121_1035
.LBB121_594:                            ;   in Loop: Header=BB121_3 Depth=1
	s_or_b32 exec_lo, exec_lo, s7
	s_and_saveexec_b32 s7, s18
	s_cbranch_execnz .LBB121_1036
.LBB121_595:                            ;   in Loop: Header=BB121_3 Depth=1
	s_or_b32 exec_lo, exec_lo, s7
	s_and_saveexec_b32 s7, s19
	s_cbranch_execnz .LBB121_1037
.LBB121_596:                            ;   in Loop: Header=BB121_3 Depth=1
	s_or_b32 exec_lo, exec_lo, s7
	s_and_saveexec_b32 s7, s2
	s_cbranch_execnz .LBB121_1038
.LBB121_597:                            ;   in Loop: Header=BB121_3 Depth=1
	s_or_b32 exec_lo, exec_lo, s7
	s_and_saveexec_b32 s7, s14
	s_cbranch_execz .LBB121_599
.LBB121_598:                            ;   in Loop: Header=BB121_3 Depth=1
	ds_load_b64 v[44:45], v50 offset:16000
	ds_load_b64 v[46:47], v1 offset:16120
	s_wait_dscnt 0x0
	v_fmac_f64_e32 v[42:43], v[44:45], v[46:47]
.LBB121_599:                            ;   in Loop: Header=BB121_3 Depth=1
	s_or_b32 exec_lo, exec_lo, s7
.LBB121_600:                            ;   in Loop: Header=BB121_3 Depth=1
	s_delay_alu instid0(SALU_CYCLE_1)
	s_or_b32 exec_lo, exec_lo, s6
	s_and_saveexec_b32 s6, s36
; %bb.601:                              ;   in Loop: Header=BB121_3 Depth=1
	s_delay_alu instid0(VALU_DEP_1) | instskip(NEXT) | instid1(VALU_DEP_2)
	v_xor_b32_e32 v45, 0x80000000, v43
	v_mov_b32_e32 v44, v42
	ds_store_b64 v56, v[44:45]
; %bb.602:                              ;   in Loop: Header=BB121_3 Depth=1
	s_or_b32 exec_lo, exec_lo, s6
	s_wait_loadcnt_dscnt 0x0
	s_barrier_signal -1
	s_barrier_wait -1
	s_and_saveexec_b32 s6, s37
	s_cbranch_execz .LBB121_604
; %bb.603:                              ;   in Loop: Header=BB121_3 Depth=1
	ds_load_b64 v[44:45], v58 offset:11904
	ds_load_b64 v[46:47], v56
	s_wait_dscnt 0x0
	v_fma_f64 v[42:43], -v[44:45], v[46:47], v[42:43]
.LBB121_604:                            ;   in Loop: Header=BB121_3 Depth=1
	s_or_b32 exec_lo, exec_lo, s6
	s_barrier_signal -1
	s_barrier_wait -1
	s_and_saveexec_b32 s6, s38
; %bb.605:                              ;   in Loop: Header=BB121_3 Depth=1
	s_delay_alu instid0(VALU_DEP_1) | instskip(NEXT) | instid1(VALU_DEP_2)
	v_xor_b32_e32 v45, 0x80000000, v43
	v_mov_b32_e32 v44, v42
	ds_store_b64 v56, v[44:45]
; %bb.606:                              ;   in Loop: Header=BB121_3 Depth=1
	s_or_b32 exec_lo, exec_lo, s6
	s_wait_dscnt 0x0
	s_barrier_signal -1
	s_barrier_wait -1
	s_and_saveexec_b32 s6, s39
	s_cbranch_execz .LBB121_608
; %bb.607:                              ;   in Loop: Header=BB121_3 Depth=1
	ds_load_b64 v[44:45], v58 offset:11392
	ds_load_b64 v[46:47], v56
	s_wait_dscnt 0x0
	v_fma_f64 v[42:43], -v[44:45], v[46:47], v[42:43]
.LBB121_608:                            ;   in Loop: Header=BB121_3 Depth=1
	s_or_b32 exec_lo, exec_lo, s6
	s_barrier_signal -1
	s_barrier_wait -1
	s_and_saveexec_b32 s6, s40
; %bb.609:                              ;   in Loop: Header=BB121_3 Depth=1
	s_delay_alu instid0(VALU_DEP_1) | instskip(NEXT) | instid1(VALU_DEP_2)
	v_xor_b32_e32 v45, 0x80000000, v43
	v_mov_b32_e32 v44, v42
	ds_store_b64 v56, v[44:45]
; %bb.610:                              ;   in Loop: Header=BB121_3 Depth=1
	s_or_b32 exec_lo, exec_lo, s6
	s_wait_dscnt 0x0
	;; [unrolled: 22-line block ×7, first 2 shown]
	s_barrier_signal -1
	s_barrier_wait -1
	s_barrier_signal -1
	s_barrier_wait -1
	s_and_saveexec_b32 s6, s3
; %bb.631:                              ;   in Loop: Header=BB121_3 Depth=1
	ds_store_b64 v59, v[42:43] offset:16000
; %bb.632:                              ;   in Loop: Header=BB121_3 Depth=1
	s_or_b32 exec_lo, exec_lo, s6
	s_wait_dscnt 0x0
	s_barrier_signal -1
	s_barrier_wait -1
	s_barrier_signal -1
	s_barrier_wait -1
	s_and_saveexec_b32 s6, s11
; %bb.633:                              ;   in Loop: Header=BB121_3 Depth=1
	v_add_nc_u32_e64 v42, 0x2800, 0
	ds_store_2addr_b64 v42, v[26:27], v[26:27] offset0:150 offset1:215
; %bb.634:                              ;   in Loop: Header=BB121_3 Depth=1
	s_or_b32 exec_lo, exec_lo, s6
	v_mov_b64_e32 v[42:43], 0
	s_wait_dscnt 0x0
	s_barrier_signal -1
	s_barrier_wait -1
	global_wb scope:SCOPE_DEV
	s_wait_storecnt 0x0
	global_inv scope:SCOPE_DEV
	s_and_saveexec_b32 s6, s1
	s_cbranch_execz .LBB121_638
; %bb.635:                              ;   in Loop: Header=BB121_3 Depth=1
	ds_load_b64 v[42:43], v49 offset:11424
	ds_load_b64 v[44:45], v48 offset:11952
	s_wait_dscnt 0x0
	v_fma_f64 v[42:43], v[42:43], v[44:45], 0
	s_and_saveexec_b32 s7, s12
	s_cbranch_execz .LBB121_637
; %bb.636:                              ;   in Loop: Header=BB121_3 Depth=1
	ds_load_b64 v[44:45], v50 offset:11936
	ds_load_b64 v[46:47], v1 offset:11960
	s_wait_dscnt 0x0
	v_fmac_f64_e32 v[42:43], v[44:45], v[46:47]
.LBB121_637:                            ;   in Loop: Header=BB121_3 Depth=1
	s_or_b32 exec_lo, exec_lo, s7
.LBB121_638:                            ;   in Loop: Header=BB121_3 Depth=1
	s_delay_alu instid0(SALU_CYCLE_1)
	s_or_b32 exec_lo, exec_lo, s6
	s_and_saveexec_b32 s6, s101
; %bb.639:                              ;   in Loop: Header=BB121_3 Depth=1
	s_delay_alu instid0(VALU_DEP_1) | instskip(NEXT) | instid1(VALU_DEP_2)
	v_xor_b32_e32 v45, 0x80000000, v43
	v_mov_b32_e32 v44, v42
	ds_store_b64 v5, v[44:45]
; %bb.640:                              ;   in Loop: Header=BB121_3 Depth=1
	s_or_b32 exec_lo, exec_lo, s6
	s_wait_loadcnt_dscnt 0x0
	s_barrier_signal -1
	s_barrier_wait -1
	s_and_saveexec_b32 s6, s102
	s_cbranch_execz .LBB121_642
; %bb.641:                              ;   in Loop: Header=BB121_3 Depth=1
	ds_load_b64 v[44:45], v1 offset:10912
	ds_load_b64 v[46:47], v5
	s_wait_dscnt 0x0
	v_fma_f64 v[42:43], -v[44:45], v[46:47], v[42:43]
.LBB121_642:                            ;   in Loop: Header=BB121_3 Depth=1
	s_or_b32 exec_lo, exec_lo, s6
	s_barrier_signal -1
	s_barrier_wait -1
	s_and_saveexec_b32 s6, s102
; %bb.643:                              ;   in Loop: Header=BB121_3 Depth=1
	s_delay_alu instid0(VALU_DEP_1) | instskip(NEXT) | instid1(VALU_DEP_2)
	v_xor_b32_e32 v45, 0x80000000, v43
	v_mov_b32_e32 v44, v42
	ds_store_b64 v5, v[44:45]
; %bb.644:                              ;   in Loop: Header=BB121_3 Depth=1
	s_or_b32 exec_lo, exec_lo, s6
	s_wait_dscnt 0x0
	s_barrier_signal -1
	s_barrier_wait -1
	s_barrier_signal -1
	s_barrier_wait -1
	s_and_saveexec_b32 s6, s1
; %bb.645:                              ;   in Loop: Header=BB121_3 Depth=1
	ds_store_b64 v51, v[42:43] offset:11936
; %bb.646:                              ;   in Loop: Header=BB121_3 Depth=1
	s_or_b32 exec_lo, exec_lo, s6
	s_wait_dscnt 0x0
	s_barrier_signal -1
	s_barrier_wait -1
	s_barrier_signal -1
	s_barrier_wait -1
	s_and_saveexec_b32 s6, s11
; %bb.647:                              ;   in Loop: Header=BB121_3 Depth=1
	v_add_nc_u32_e64 v42, 0x2800, 0
	ds_store_2addr_b64 v42, v[26:27], v[26:27] offset0:20 offset1:85
; %bb.648:                              ;   in Loop: Header=BB121_3 Depth=1
	s_or_b32 exec_lo, exec_lo, s6
	v_mov_b64_e32 v[42:43], 0
	s_wait_dscnt 0x0
	s_barrier_signal -1
	s_barrier_wait -1
	global_wb scope:SCOPE_DEV
	s_wait_storecnt 0x0
	global_inv scope:SCOPE_DEV
	s_and_saveexec_b32 s6, s2
	s_cbranch_execz .LBB121_654
; %bb.649:                              ;   in Loop: Header=BB121_3 Depth=1
	ds_load_b64 v[42:43], v54 offset:10368
	ds_load_b64 v[44:45], v53 offset:11936
	s_wait_dscnt 0x0
	v_fma_f64 v[42:43], v[42:43], v[44:45], 0
	s_and_saveexec_b32 s7, s13
	s_cbranch_execnz .LBB121_1039
; %bb.650:                              ;   in Loop: Header=BB121_3 Depth=1
	s_or_b32 exec_lo, exec_lo, s7
	s_and_saveexec_b32 s7, s14
	s_cbranch_execnz .LBB121_1040
.LBB121_651:                            ;   in Loop: Header=BB121_3 Depth=1
	s_or_b32 exec_lo, exec_lo, s7
	s_and_saveexec_b32 s7, s1
	s_cbranch_execz .LBB121_653
.LBB121_652:                            ;   in Loop: Header=BB121_3 Depth=1
	ds_load_b64 v[44:45], v50 offset:11904
	ds_load_b64 v[46:47], v1 offset:11960
	s_wait_dscnt 0x0
	v_fmac_f64_e32 v[42:43], v[44:45], v[46:47]
.LBB121_653:                            ;   in Loop: Header=BB121_3 Depth=1
	s_or_b32 exec_lo, exec_lo, s7
.LBB121_654:                            ;   in Loop: Header=BB121_3 Depth=1
	s_delay_alu instid0(SALU_CYCLE_1)
	s_or_b32 exec_lo, exec_lo, s6
	s_and_saveexec_b32 s6, s103
; %bb.655:                              ;   in Loop: Header=BB121_3 Depth=1
	s_delay_alu instid0(VALU_DEP_1) | instskip(NEXT) | instid1(VALU_DEP_2)
	v_xor_b32_e32 v45, 0x80000000, v43
	v_mov_b32_e32 v44, v42
	ds_store_b64 v52, v[44:45]
; %bb.656:                              ;   in Loop: Header=BB121_3 Depth=1
	s_or_b32 exec_lo, exec_lo, s6
	s_wait_loadcnt_dscnt 0x0
	s_barrier_signal -1
	s_barrier_wait -1
	s_and_saveexec_b32 s6, s104
	s_cbranch_execz .LBB121_658
; %bb.657:                              ;   in Loop: Header=BB121_3 Depth=1
	ds_load_b64 v[44:45], v54 offset:9856
	ds_load_b64 v[46:47], v52
	s_wait_dscnt 0x0
	v_fma_f64 v[42:43], -v[44:45], v[46:47], v[42:43]
.LBB121_658:                            ;   in Loop: Header=BB121_3 Depth=1
	s_or_b32 exec_lo, exec_lo, s6
	s_barrier_signal -1
	s_barrier_wait -1
	s_and_saveexec_b32 s6, vcc_hi
; %bb.659:                              ;   in Loop: Header=BB121_3 Depth=1
	s_delay_alu instid0(VALU_DEP_1) | instskip(NEXT) | instid1(VALU_DEP_2)
	v_xor_b32_e32 v45, 0x80000000, v43
	v_mov_b32_e32 v44, v42
	ds_store_b64 v52, v[44:45]
; %bb.660:                              ;   in Loop: Header=BB121_3 Depth=1
	s_or_b32 exec_lo, exec_lo, s6
	s_wait_dscnt 0x0
	s_barrier_signal -1
	s_barrier_wait -1
	s_and_saveexec_b32 s6, s33
	s_cbranch_execz .LBB121_662
; %bb.661:                              ;   in Loop: Header=BB121_3 Depth=1
	ds_load_b64 v[44:45], v54 offset:9344
	ds_load_b64 v[46:47], v52
	s_wait_dscnt 0x0
	v_fma_f64 v[42:43], -v[44:45], v[46:47], v[42:43]
.LBB121_662:                            ;   in Loop: Header=BB121_3 Depth=1
	s_or_b32 exec_lo, exec_lo, s6
	s_barrier_signal -1
	s_barrier_wait -1
	s_and_saveexec_b32 s6, s34
; %bb.663:                              ;   in Loop: Header=BB121_3 Depth=1
	s_delay_alu instid0(VALU_DEP_1) | instskip(NEXT) | instid1(VALU_DEP_2)
	v_xor_b32_e32 v45, 0x80000000, v43
	v_mov_b32_e32 v44, v42
	ds_store_b64 v52, v[44:45]
; %bb.664:                              ;   in Loop: Header=BB121_3 Depth=1
	s_or_b32 exec_lo, exec_lo, s6
	s_wait_dscnt 0x0
	s_barrier_signal -1
	s_barrier_wait -1
	s_and_saveexec_b32 s6, s35
	s_cbranch_execz .LBB121_666
; %bb.665:                              ;   in Loop: Header=BB121_3 Depth=1
	ds_load_b64 v[44:45], v1 offset:8832
	ds_load_b64 v[46:47], v52
	s_wait_dscnt 0x0
	v_fma_f64 v[42:43], -v[44:45], v[46:47], v[42:43]
.LBB121_666:                            ;   in Loop: Header=BB121_3 Depth=1
	s_or_b32 exec_lo, exec_lo, s6
	s_barrier_signal -1
	s_barrier_wait -1
	s_and_saveexec_b32 s6, s35
; %bb.667:                              ;   in Loop: Header=BB121_3 Depth=1
	s_delay_alu instid0(VALU_DEP_1) | instskip(NEXT) | instid1(VALU_DEP_2)
	v_xor_b32_e32 v45, 0x80000000, v43
	v_mov_b32_e32 v44, v42
	ds_store_b64 v52, v[44:45]
; %bb.668:                              ;   in Loop: Header=BB121_3 Depth=1
	s_or_b32 exec_lo, exec_lo, s6
	s_wait_dscnt 0x0
	s_barrier_signal -1
	s_barrier_wait -1
	s_barrier_signal -1
	s_barrier_wait -1
	s_and_saveexec_b32 s6, s2
; %bb.669:                              ;   in Loop: Header=BB121_3 Depth=1
	ds_store_b64 v55, v[42:43] offset:11904
; %bb.670:                              ;   in Loop: Header=BB121_3 Depth=1
	s_or_b32 exec_lo, exec_lo, s6
	s_wait_dscnt 0x0
	s_barrier_signal -1
	s_barrier_wait -1
	s_barrier_signal -1
	s_barrier_wait -1
	s_and_saveexec_b32 s6, s11
; %bb.671:                              ;   in Loop: Header=BB121_3 Depth=1
	v_add_nc_u32_e64 v42, 0x2000, 0
	ds_store_2addr_b64 v42, v[26:27], v[26:27] offset0:146 offset1:211
; %bb.672:                              ;   in Loop: Header=BB121_3 Depth=1
	s_or_b32 exec_lo, exec_lo, s6
	v_mov_b64_e32 v[42:43], 0
	s_wait_dscnt 0x0
	s_barrier_signal -1
	s_barrier_wait -1
	global_wb scope:SCOPE_DEV
	s_wait_storecnt 0x0
	global_inv scope:SCOPE_DEV
	s_and_saveexec_b32 s6, s1
	s_cbranch_execz .LBB121_676
; %bb.673:                              ;   in Loop: Header=BB121_3 Depth=1
	ds_load_b64 v[42:43], v49 offset:9344
	ds_load_b64 v[44:45], v48 offset:9872
	s_wait_dscnt 0x0
	v_fma_f64 v[42:43], v[42:43], v[44:45], 0
	s_and_saveexec_b32 s7, s12
	s_cbranch_execz .LBB121_675
; %bb.674:                              ;   in Loop: Header=BB121_3 Depth=1
	ds_load_b64 v[44:45], v50 offset:9856
	ds_load_b64 v[46:47], v1 offset:9880
	s_wait_dscnt 0x0
	v_fmac_f64_e32 v[42:43], v[44:45], v[46:47]
.LBB121_675:                            ;   in Loop: Header=BB121_3 Depth=1
	s_or_b32 exec_lo, exec_lo, s7
.LBB121_676:                            ;   in Loop: Header=BB121_3 Depth=1
	s_delay_alu instid0(SALU_CYCLE_1)
	s_or_b32 exec_lo, exec_lo, s6
	s_and_saveexec_b32 s6, s101
; %bb.677:                              ;   in Loop: Header=BB121_3 Depth=1
	s_delay_alu instid0(VALU_DEP_1) | instskip(NEXT) | instid1(VALU_DEP_2)
	v_xor_b32_e32 v45, 0x80000000, v43
	v_mov_b32_e32 v44, v42
	ds_store_b64 v5, v[44:45]
; %bb.678:                              ;   in Loop: Header=BB121_3 Depth=1
	s_or_b32 exec_lo, exec_lo, s6
	s_wait_loadcnt_dscnt 0x0
	s_barrier_signal -1
	s_barrier_wait -1
	s_and_saveexec_b32 s6, s102
	s_cbranch_execz .LBB121_680
; %bb.679:                              ;   in Loop: Header=BB121_3 Depth=1
	ds_load_b64 v[44:45], v1 offset:8832
	ds_load_b64 v[46:47], v5
	s_wait_dscnt 0x0
	v_fma_f64 v[42:43], -v[44:45], v[46:47], v[42:43]
.LBB121_680:                            ;   in Loop: Header=BB121_3 Depth=1
	s_or_b32 exec_lo, exec_lo, s6
	s_barrier_signal -1
	s_barrier_wait -1
	s_and_saveexec_b32 s6, s102
; %bb.681:                              ;   in Loop: Header=BB121_3 Depth=1
	s_delay_alu instid0(VALU_DEP_1) | instskip(NEXT) | instid1(VALU_DEP_2)
	v_xor_b32_e32 v45, 0x80000000, v43
	v_mov_b32_e32 v44, v42
	ds_store_b64 v5, v[44:45]
; %bb.682:                              ;   in Loop: Header=BB121_3 Depth=1
	s_or_b32 exec_lo, exec_lo, s6
	s_wait_dscnt 0x0
	s_barrier_signal -1
	s_barrier_wait -1
	s_barrier_signal -1
	s_barrier_wait -1
	s_and_saveexec_b32 s6, s1
; %bb.683:                              ;   in Loop: Header=BB121_3 Depth=1
	ds_store_b64 v51, v[42:43] offset:9856
; %bb.684:                              ;   in Loop: Header=BB121_3 Depth=1
	s_or_b32 exec_lo, exec_lo, s6
	s_wait_dscnt 0x0
	s_barrier_signal -1
	s_barrier_wait -1
	s_barrier_signal -1
	s_barrier_wait -1
	s_and_saveexec_b32 s6, s11
; %bb.685:                              ;   in Loop: Header=BB121_3 Depth=1
	v_add_nc_u32_e64 v42, 0x2000, 0
	ds_store_2addr_b64 v42, v[26:27], v[26:27] offset0:16 offset1:81
; %bb.686:                              ;   in Loop: Header=BB121_3 Depth=1
	s_or_b32 exec_lo, exec_lo, s6
	v_mov_b64_e32 v[42:43], 0
	s_wait_dscnt 0x0
	s_barrier_signal -1
	s_barrier_wait -1
	global_wb scope:SCOPE_DEV
	s_wait_storecnt 0x0
	global_inv scope:SCOPE_DEV
	s_and_saveexec_b32 s6, s4
	s_cbranch_execz .LBB121_714
; %bb.687:                              ;   in Loop: Header=BB121_3 Depth=1
	ds_load_b64 v[42:43], v62 offset:8192
	ds_load_b64 v[44:45], v61 offset:16000
	s_wait_dscnt 0x0
	v_fma_f64 v[42:43], v[42:43], v[44:45], 0
	s_mov_b32 s7, exec_lo
	v_readlane_b32 s8, v86, 25
	s_and_b32 s8, s7, s8
	s_delay_alu instid0(SALU_CYCLE_1)
	s_mov_b32 exec_lo, s8
	s_cbranch_execz .LBB121_689
; %bb.688:                              ;   in Loop: Header=BB121_3 Depth=1
	ds_load_b64 v[44:45], v62 offset:8704
	ds_load_b64 v[46:47], v61 offset:16008
	s_wait_dscnt 0x0
	v_fmac_f64_e32 v[42:43], v[44:45], v[46:47]
.LBB121_689:                            ;   in Loop: Header=BB121_3 Depth=1
	s_or_b32 exec_lo, exec_lo, s7
	s_delay_alu instid0(SALU_CYCLE_1) | instskip(SKIP_2) | instid1(SALU_CYCLE_1)
	s_mov_b32 s7, exec_lo
	v_readlane_b32 s8, v86, 26
	s_and_b32 s8, s7, s8
	s_mov_b32 exec_lo, s8
	s_cbranch_execz .LBB121_691
; %bb.690:                              ;   in Loop: Header=BB121_3 Depth=1
	ds_load_b64 v[44:45], v62 offset:9216
	ds_load_b64 v[46:47], v61 offset:16016
	s_wait_dscnt 0x0
	v_fmac_f64_e32 v[42:43], v[44:45], v[46:47]
.LBB121_691:                            ;   in Loop: Header=BB121_3 Depth=1
	s_or_b32 exec_lo, exec_lo, s7
	s_delay_alu instid0(SALU_CYCLE_1) | instskip(SKIP_2) | instid1(SALU_CYCLE_1)
	s_mov_b32 s7, exec_lo
	v_readlane_b32 s8, v86, 27
	s_and_b32 s8, s7, s8
	;; [unrolled: 13-line block ×10, first 2 shown]
	s_mov_b32 exec_lo, s8
	s_cbranch_execnz .LBB121_1041
; %bb.708:                              ;   in Loop: Header=BB121_3 Depth=1
	s_or_b32 exec_lo, exec_lo, s7
	s_and_saveexec_b32 s7, s3
	s_cbranch_execnz .LBB121_1042
.LBB121_709:                            ;   in Loop: Header=BB121_3 Depth=1
	s_or_b32 exec_lo, exec_lo, s7
	s_and_saveexec_b32 s7, s16
	s_cbranch_execnz .LBB121_1043
.LBB121_710:                            ;   in Loop: Header=BB121_3 Depth=1
	s_or_b32 exec_lo, exec_lo, s7
	s_and_saveexec_b32 s7, s18
	s_cbranch_execnz .LBB121_1044
.LBB121_711:                            ;   in Loop: Header=BB121_3 Depth=1
	s_or_b32 exec_lo, exec_lo, s7
	s_and_saveexec_b32 s7, s2
	s_cbranch_execz .LBB121_713
.LBB121_712:                            ;   in Loop: Header=BB121_3 Depth=1
	ds_load_b64 v[44:45], v50 offset:15872
	ds_load_b64 v[46:47], v1 offset:16120
	s_wait_dscnt 0x0
	v_fmac_f64_e32 v[42:43], v[44:45], v[46:47]
.LBB121_713:                            ;   in Loop: Header=BB121_3 Depth=1
	s_or_b32 exec_lo, exec_lo, s7
.LBB121_714:                            ;   in Loop: Header=BB121_3 Depth=1
	s_delay_alu instid0(SALU_CYCLE_1) | instskip(NEXT) | instid1(SALU_CYCLE_1)
	s_or_b32 exec_lo, exec_lo, s6
	s_mov_b32 s6, exec_lo
	v_readlane_b32 s7, v86, 1
	s_and_b32 s7, s6, s7
	s_delay_alu instid0(SALU_CYCLE_1)
	s_mov_b32 exec_lo, s7
; %bb.715:                              ;   in Loop: Header=BB121_3 Depth=1
	v_xor_b32_e32 v45, 0x80000000, v43
	v_mov_b32_e32 v44, v42
	ds_store_b64 v60, v[44:45]
; %bb.716:                              ;   in Loop: Header=BB121_3 Depth=1
	s_or_b32 exec_lo, exec_lo, s6
	s_wait_loadcnt_dscnt 0x0
	s_barrier_signal -1
	s_barrier_wait -1
	s_mov_b32 s6, exec_lo
	v_readlane_b32 s7, v86, 2
	s_and_b32 s7, s6, s7
	s_delay_alu instid0(SALU_CYCLE_1)
	s_mov_b32 exec_lo, s7
	s_cbranch_execz .LBB121_718
; %bb.717:                              ;   in Loop: Header=BB121_3 Depth=1
	ds_load_b64 v[44:45], v62 offset:7680
	ds_load_b64 v[46:47], v60
	s_wait_dscnt 0x0
	v_fma_f64 v[42:43], -v[44:45], v[46:47], v[42:43]
.LBB121_718:                            ;   in Loop: Header=BB121_3 Depth=1
	s_or_b32 exec_lo, exec_lo, s6
	s_barrier_signal -1
	s_barrier_wait -1
	s_mov_b32 s6, exec_lo
	v_readlane_b32 s7, v86, 3
	s_and_b32 s7, s6, s7
	s_delay_alu instid0(SALU_CYCLE_1)
	s_mov_b32 exec_lo, s7
; %bb.719:                              ;   in Loop: Header=BB121_3 Depth=1
	v_xor_b32_e32 v45, 0x80000000, v43
	v_mov_b32_e32 v44, v42
	ds_store_b64 v60, v[44:45]
; %bb.720:                              ;   in Loop: Header=BB121_3 Depth=1
	s_or_b32 exec_lo, exec_lo, s6
	s_wait_dscnt 0x0
	s_barrier_signal -1
	s_barrier_wait -1
	s_mov_b32 s6, exec_lo
	v_readlane_b32 s7, v86, 4
	s_and_b32 s7, s6, s7
	s_delay_alu instid0(SALU_CYCLE_1)
	s_mov_b32 exec_lo, s7
	s_cbranch_execz .LBB121_722
; %bb.721:                              ;   in Loop: Header=BB121_3 Depth=1
	ds_load_b64 v[44:45], v62 offset:7168
	ds_load_b64 v[46:47], v60
	s_wait_dscnt 0x0
	v_fma_f64 v[42:43], -v[44:45], v[46:47], v[42:43]
.LBB121_722:                            ;   in Loop: Header=BB121_3 Depth=1
	s_or_b32 exec_lo, exec_lo, s6
	s_barrier_signal -1
	s_barrier_wait -1
	s_mov_b32 s6, exec_lo
	v_readlane_b32 s7, v86, 5
	s_and_b32 s7, s6, s7
	s_delay_alu instid0(SALU_CYCLE_1)
	s_mov_b32 exec_lo, s7
; %bb.723:                              ;   in Loop: Header=BB121_3 Depth=1
	v_xor_b32_e32 v45, 0x80000000, v43
	v_mov_b32_e32 v44, v42
	ds_store_b64 v60, v[44:45]
; %bb.724:                              ;   in Loop: Header=BB121_3 Depth=1
	s_or_b32 exec_lo, exec_lo, s6
	s_wait_dscnt 0x0
	;; [unrolled: 29-line block ×4, first 2 shown]
	s_barrier_signal -1
	s_barrier_wait -1
	s_mov_b32 s6, exec_lo
	v_readlane_b32 s7, v86, 10
	s_and_b32 s7, s6, s7
	s_delay_alu instid0(SALU_CYCLE_1)
	s_mov_b32 exec_lo, s7
	s_cbranch_execz .LBB121_734
; %bb.733:                              ;   in Loop: Header=BB121_3 Depth=1
	ds_load_b64 v[44:45], v62 offset:5632
	ds_load_b64 v[46:47], v60
	s_wait_dscnt 0x0
	v_fma_f64 v[42:43], -v[44:45], v[46:47], v[42:43]
.LBB121_734:                            ;   in Loop: Header=BB121_3 Depth=1
	s_or_b32 exec_lo, exec_lo, s6
	s_barrier_signal -1
	s_barrier_wait -1
	s_and_saveexec_b32 s6, s28
; %bb.735:                              ;   in Loop: Header=BB121_3 Depth=1
	s_delay_alu instid0(VALU_DEP_1) | instskip(NEXT) | instid1(VALU_DEP_2)
	v_xor_b32_e32 v45, 0x80000000, v43
	v_mov_b32_e32 v44, v42
	ds_store_b64 v60, v[44:45]
; %bb.736:                              ;   in Loop: Header=BB121_3 Depth=1
	s_or_b32 exec_lo, exec_lo, s6
	s_wait_dscnt 0x0
	s_barrier_signal -1
	s_barrier_wait -1
	s_and_saveexec_b32 s6, s30
	s_cbranch_execz .LBB121_738
; %bb.737:                              ;   in Loop: Header=BB121_3 Depth=1
	ds_load_b64 v[44:45], v62 offset:5120
	ds_load_b64 v[46:47], v60
	s_wait_dscnt 0x0
	v_fma_f64 v[42:43], -v[44:45], v[46:47], v[42:43]
.LBB121_738:                            ;   in Loop: Header=BB121_3 Depth=1
	s_or_b32 exec_lo, exec_lo, s6
	s_barrier_signal -1
	s_barrier_wait -1
	s_and_saveexec_b32 s6, s58
; %bb.739:                              ;   in Loop: Header=BB121_3 Depth=1
	s_delay_alu instid0(VALU_DEP_1) | instskip(NEXT) | instid1(VALU_DEP_2)
	v_xor_b32_e32 v45, 0x80000000, v43
	v_mov_b32_e32 v44, v42
	ds_store_b64 v60, v[44:45]
; %bb.740:                              ;   in Loop: Header=BB121_3 Depth=1
	s_or_b32 exec_lo, exec_lo, s6
	s_wait_dscnt 0x0
	s_barrier_signal -1
	s_barrier_wait -1
	s_and_saveexec_b32 s6, s59
	;; [unrolled: 22-line block ×10, first 2 shown]
	s_cbranch_execz .LBB121_774
; %bb.773:                              ;   in Loop: Header=BB121_3 Depth=1
	ds_load_b64 v[44:45], v1 offset:512
	ds_load_b64 v[46:47], v60
	s_wait_dscnt 0x0
	v_fma_f64 v[42:43], -v[44:45], v[46:47], v[42:43]
.LBB121_774:                            ;   in Loop: Header=BB121_3 Depth=1
	s_or_b32 exec_lo, exec_lo, s6
	s_barrier_signal -1
	s_barrier_wait -1
	s_and_saveexec_b32 s6, s54
; %bb.775:                              ;   in Loop: Header=BB121_3 Depth=1
	s_delay_alu instid0(VALU_DEP_1) | instskip(NEXT) | instid1(VALU_DEP_2)
	v_xor_b32_e32 v45, 0x80000000, v43
	v_mov_b32_e32 v44, v42
	ds_store_b64 v60, v[44:45]
; %bb.776:                              ;   in Loop: Header=BB121_3 Depth=1
	s_or_b32 exec_lo, exec_lo, s6
	s_wait_dscnt 0x0
	s_barrier_signal -1
	s_barrier_wait -1
	s_barrier_signal -1
	s_barrier_wait -1
	s_and_saveexec_b32 s6, s4
; %bb.777:                              ;   in Loop: Header=BB121_3 Depth=1
	ds_store_b64 v63, v[42:43] offset:15872
; %bb.778:                              ;   in Loop: Header=BB121_3 Depth=1
	s_or_b32 exec_lo, exec_lo, s6
	s_wait_dscnt 0x0
	s_barrier_signal -1
	s_barrier_wait -1
	s_barrier_signal -1
	s_barrier_wait -1
	s_and_saveexec_b32 s6, s11
; %bb.779:                              ;   in Loop: Header=BB121_3 Depth=1
	v_add_nc_u32_e64 v42, 0x1800, 0
	ds_store_2addr_b64 v42, v[26:27], v[26:27] offset0:142 offset1:207
; %bb.780:                              ;   in Loop: Header=BB121_3 Depth=1
	s_or_b32 exec_lo, exec_lo, s6
	v_mov_b64_e32 v[42:43], 0
	s_wait_dscnt 0x0
	s_barrier_signal -1
	s_barrier_wait -1
	global_wb scope:SCOPE_DEV
	s_wait_storecnt 0x0
	global_inv scope:SCOPE_DEV
	s_and_saveexec_b32 s6, s1
	s_cbranch_execz .LBB121_784
; %bb.781:                              ;   in Loop: Header=BB121_3 Depth=1
	ds_load_b64 v[42:43], v49 offset:7264
	ds_load_b64 v[44:45], v48 offset:7792
	s_wait_dscnt 0x0
	v_fma_f64 v[42:43], v[42:43], v[44:45], 0
	s_and_saveexec_b32 s7, s12
	s_cbranch_execz .LBB121_783
; %bb.782:                              ;   in Loop: Header=BB121_3 Depth=1
	ds_load_b64 v[44:45], v50 offset:7776
	ds_load_b64 v[46:47], v1 offset:7800
	s_wait_dscnt 0x0
	v_fmac_f64_e32 v[42:43], v[44:45], v[46:47]
.LBB121_783:                            ;   in Loop: Header=BB121_3 Depth=1
	s_or_b32 exec_lo, exec_lo, s7
.LBB121_784:                            ;   in Loop: Header=BB121_3 Depth=1
	s_delay_alu instid0(SALU_CYCLE_1)
	s_or_b32 exec_lo, exec_lo, s6
	s_and_saveexec_b32 s6, s101
; %bb.785:                              ;   in Loop: Header=BB121_3 Depth=1
	s_delay_alu instid0(VALU_DEP_1) | instskip(NEXT) | instid1(VALU_DEP_2)
	v_xor_b32_e32 v45, 0x80000000, v43
	v_mov_b32_e32 v44, v42
	ds_store_b64 v5, v[44:45]
; %bb.786:                              ;   in Loop: Header=BB121_3 Depth=1
	s_or_b32 exec_lo, exec_lo, s6
	s_wait_loadcnt_dscnt 0x0
	s_barrier_signal -1
	s_barrier_wait -1
	s_and_saveexec_b32 s6, s102
	s_cbranch_execz .LBB121_788
; %bb.787:                              ;   in Loop: Header=BB121_3 Depth=1
	ds_load_b64 v[44:45], v1 offset:6752
	ds_load_b64 v[46:47], v5
	s_wait_dscnt 0x0
	v_fma_f64 v[42:43], -v[44:45], v[46:47], v[42:43]
.LBB121_788:                            ;   in Loop: Header=BB121_3 Depth=1
	s_or_b32 exec_lo, exec_lo, s6
	s_barrier_signal -1
	s_barrier_wait -1
	s_and_saveexec_b32 s6, s102
; %bb.789:                              ;   in Loop: Header=BB121_3 Depth=1
	s_delay_alu instid0(VALU_DEP_1) | instskip(NEXT) | instid1(VALU_DEP_2)
	v_xor_b32_e32 v45, 0x80000000, v43
	v_mov_b32_e32 v44, v42
	ds_store_b64 v5, v[44:45]
; %bb.790:                              ;   in Loop: Header=BB121_3 Depth=1
	s_or_b32 exec_lo, exec_lo, s6
	s_wait_dscnt 0x0
	s_barrier_signal -1
	s_barrier_wait -1
	s_barrier_signal -1
	s_barrier_wait -1
	s_and_saveexec_b32 s6, s1
; %bb.791:                              ;   in Loop: Header=BB121_3 Depth=1
	ds_store_b64 v51, v[42:43] offset:7776
; %bb.792:                              ;   in Loop: Header=BB121_3 Depth=1
	s_or_b32 exec_lo, exec_lo, s6
	s_wait_dscnt 0x0
	s_barrier_signal -1
	s_barrier_wait -1
	s_barrier_signal -1
	s_barrier_wait -1
	s_and_saveexec_b32 s6, s11
; %bb.793:                              ;   in Loop: Header=BB121_3 Depth=1
	v_add_nc_u32_e64 v42, 0x1800, 0
	ds_store_2addr_b64 v42, v[26:27], v[26:27] offset0:12 offset1:77
; %bb.794:                              ;   in Loop: Header=BB121_3 Depth=1
	s_or_b32 exec_lo, exec_lo, s6
	v_mov_b64_e32 v[42:43], 0
	s_wait_dscnt 0x0
	s_barrier_signal -1
	s_barrier_wait -1
	global_wb scope:SCOPE_DEV
	s_wait_storecnt 0x0
	global_inv scope:SCOPE_DEV
	s_and_saveexec_b32 s6, s2
	s_cbranch_execz .LBB121_800
; %bb.795:                              ;   in Loop: Header=BB121_3 Depth=1
	ds_load_b64 v[42:43], v54 offset:6208
	ds_load_b64 v[44:45], v53 offset:7776
	s_wait_dscnt 0x0
	v_fma_f64 v[42:43], v[42:43], v[44:45], 0
	s_and_saveexec_b32 s7, s13
	s_cbranch_execnz .LBB121_1045
; %bb.796:                              ;   in Loop: Header=BB121_3 Depth=1
	s_or_b32 exec_lo, exec_lo, s7
	s_and_saveexec_b32 s7, s14
	s_cbranch_execnz .LBB121_1046
.LBB121_797:                            ;   in Loop: Header=BB121_3 Depth=1
	s_or_b32 exec_lo, exec_lo, s7
	s_and_saveexec_b32 s7, s1
	s_cbranch_execz .LBB121_799
.LBB121_798:                            ;   in Loop: Header=BB121_3 Depth=1
	ds_load_b64 v[44:45], v50 offset:7744
	ds_load_b64 v[46:47], v1 offset:7800
	s_wait_dscnt 0x0
	v_fmac_f64_e32 v[42:43], v[44:45], v[46:47]
.LBB121_799:                            ;   in Loop: Header=BB121_3 Depth=1
	s_or_b32 exec_lo, exec_lo, s7
.LBB121_800:                            ;   in Loop: Header=BB121_3 Depth=1
	s_delay_alu instid0(SALU_CYCLE_1)
	s_or_b32 exec_lo, exec_lo, s6
	s_and_saveexec_b32 s6, s103
; %bb.801:                              ;   in Loop: Header=BB121_3 Depth=1
	s_delay_alu instid0(VALU_DEP_1) | instskip(NEXT) | instid1(VALU_DEP_2)
	v_xor_b32_e32 v45, 0x80000000, v43
	v_mov_b32_e32 v44, v42
	ds_store_b64 v52, v[44:45]
; %bb.802:                              ;   in Loop: Header=BB121_3 Depth=1
	s_or_b32 exec_lo, exec_lo, s6
	s_wait_loadcnt_dscnt 0x0
	s_barrier_signal -1
	s_barrier_wait -1
	s_and_saveexec_b32 s6, s104
	s_cbranch_execz .LBB121_804
; %bb.803:                              ;   in Loop: Header=BB121_3 Depth=1
	ds_load_b64 v[44:45], v54 offset:5696
	ds_load_b64 v[46:47], v52
	s_wait_dscnt 0x0
	v_fma_f64 v[42:43], -v[44:45], v[46:47], v[42:43]
.LBB121_804:                            ;   in Loop: Header=BB121_3 Depth=1
	s_or_b32 exec_lo, exec_lo, s6
	s_barrier_signal -1
	s_barrier_wait -1
	s_and_saveexec_b32 s6, vcc_hi
; %bb.805:                              ;   in Loop: Header=BB121_3 Depth=1
	s_delay_alu instid0(VALU_DEP_1) | instskip(NEXT) | instid1(VALU_DEP_2)
	v_xor_b32_e32 v45, 0x80000000, v43
	v_mov_b32_e32 v44, v42
	ds_store_b64 v52, v[44:45]
; %bb.806:                              ;   in Loop: Header=BB121_3 Depth=1
	s_or_b32 exec_lo, exec_lo, s6
	s_wait_dscnt 0x0
	s_barrier_signal -1
	s_barrier_wait -1
	s_and_saveexec_b32 s6, s33
	s_cbranch_execz .LBB121_808
; %bb.807:                              ;   in Loop: Header=BB121_3 Depth=1
	ds_load_b64 v[44:45], v54 offset:5184
	ds_load_b64 v[46:47], v52
	s_wait_dscnt 0x0
	v_fma_f64 v[42:43], -v[44:45], v[46:47], v[42:43]
.LBB121_808:                            ;   in Loop: Header=BB121_3 Depth=1
	s_or_b32 exec_lo, exec_lo, s6
	s_barrier_signal -1
	s_barrier_wait -1
	s_and_saveexec_b32 s6, s34
; %bb.809:                              ;   in Loop: Header=BB121_3 Depth=1
	s_delay_alu instid0(VALU_DEP_1) | instskip(NEXT) | instid1(VALU_DEP_2)
	v_xor_b32_e32 v45, 0x80000000, v43
	v_mov_b32_e32 v44, v42
	ds_store_b64 v52, v[44:45]
; %bb.810:                              ;   in Loop: Header=BB121_3 Depth=1
	s_or_b32 exec_lo, exec_lo, s6
	s_wait_dscnt 0x0
	s_barrier_signal -1
	s_barrier_wait -1
	s_and_saveexec_b32 s6, s35
	s_cbranch_execz .LBB121_812
; %bb.811:                              ;   in Loop: Header=BB121_3 Depth=1
	ds_load_b64 v[44:45], v1 offset:4672
	ds_load_b64 v[46:47], v52
	s_wait_dscnt 0x0
	v_fma_f64 v[42:43], -v[44:45], v[46:47], v[42:43]
.LBB121_812:                            ;   in Loop: Header=BB121_3 Depth=1
	s_or_b32 exec_lo, exec_lo, s6
	s_barrier_signal -1
	s_barrier_wait -1
	s_and_saveexec_b32 s6, s35
; %bb.813:                              ;   in Loop: Header=BB121_3 Depth=1
	s_delay_alu instid0(VALU_DEP_1) | instskip(NEXT) | instid1(VALU_DEP_2)
	v_xor_b32_e32 v45, 0x80000000, v43
	v_mov_b32_e32 v44, v42
	ds_store_b64 v52, v[44:45]
; %bb.814:                              ;   in Loop: Header=BB121_3 Depth=1
	s_or_b32 exec_lo, exec_lo, s6
	s_wait_dscnt 0x0
	s_barrier_signal -1
	s_barrier_wait -1
	s_barrier_signal -1
	s_barrier_wait -1
	s_and_saveexec_b32 s6, s2
; %bb.815:                              ;   in Loop: Header=BB121_3 Depth=1
	ds_store_b64 v55, v[42:43] offset:7744
; %bb.816:                              ;   in Loop: Header=BB121_3 Depth=1
	s_or_b32 exec_lo, exec_lo, s6
	s_wait_dscnt 0x0
	s_barrier_signal -1
	s_barrier_wait -1
	s_barrier_signal -1
	s_barrier_wait -1
	s_and_saveexec_b32 s6, s11
; %bb.817:                              ;   in Loop: Header=BB121_3 Depth=1
	v_add_nc_u32_e64 v42, 0x1000, 0
	ds_store_2addr_b64 v42, v[26:27], v[26:27] offset0:138 offset1:203
; %bb.818:                              ;   in Loop: Header=BB121_3 Depth=1
	s_or_b32 exec_lo, exec_lo, s6
	v_mov_b64_e32 v[42:43], 0
	s_wait_dscnt 0x0
	s_barrier_signal -1
	s_barrier_wait -1
	global_wb scope:SCOPE_DEV
	s_wait_storecnt 0x0
	global_inv scope:SCOPE_DEV
	s_and_saveexec_b32 s6, s1
	s_cbranch_execz .LBB121_822
; %bb.819:                              ;   in Loop: Header=BB121_3 Depth=1
	ds_load_b64 v[42:43], v49 offset:5184
	ds_load_b64 v[44:45], v48 offset:5712
	s_wait_dscnt 0x0
	v_fma_f64 v[42:43], v[42:43], v[44:45], 0
	s_and_saveexec_b32 s7, s12
	s_cbranch_execz .LBB121_821
; %bb.820:                              ;   in Loop: Header=BB121_3 Depth=1
	ds_load_b64 v[44:45], v50 offset:5696
	ds_load_b64 v[46:47], v1 offset:5720
	s_wait_dscnt 0x0
	v_fmac_f64_e32 v[42:43], v[44:45], v[46:47]
.LBB121_821:                            ;   in Loop: Header=BB121_3 Depth=1
	s_or_b32 exec_lo, exec_lo, s7
.LBB121_822:                            ;   in Loop: Header=BB121_3 Depth=1
	s_delay_alu instid0(SALU_CYCLE_1)
	s_or_b32 exec_lo, exec_lo, s6
	s_and_saveexec_b32 s6, s101
; %bb.823:                              ;   in Loop: Header=BB121_3 Depth=1
	s_delay_alu instid0(VALU_DEP_1) | instskip(NEXT) | instid1(VALU_DEP_2)
	v_xor_b32_e32 v45, 0x80000000, v43
	v_mov_b32_e32 v44, v42
	ds_store_b64 v5, v[44:45]
; %bb.824:                              ;   in Loop: Header=BB121_3 Depth=1
	s_or_b32 exec_lo, exec_lo, s6
	s_wait_loadcnt_dscnt 0x0
	s_barrier_signal -1
	s_barrier_wait -1
	s_and_saveexec_b32 s6, s102
	s_cbranch_execz .LBB121_826
; %bb.825:                              ;   in Loop: Header=BB121_3 Depth=1
	ds_load_b64 v[44:45], v1 offset:4672
	ds_load_b64 v[46:47], v5
	s_wait_dscnt 0x0
	v_fma_f64 v[42:43], -v[44:45], v[46:47], v[42:43]
.LBB121_826:                            ;   in Loop: Header=BB121_3 Depth=1
	s_or_b32 exec_lo, exec_lo, s6
	s_barrier_signal -1
	s_barrier_wait -1
	s_and_saveexec_b32 s6, s102
; %bb.827:                              ;   in Loop: Header=BB121_3 Depth=1
	s_delay_alu instid0(VALU_DEP_1) | instskip(NEXT) | instid1(VALU_DEP_2)
	v_xor_b32_e32 v45, 0x80000000, v43
	v_mov_b32_e32 v44, v42
	ds_store_b64 v5, v[44:45]
; %bb.828:                              ;   in Loop: Header=BB121_3 Depth=1
	s_or_b32 exec_lo, exec_lo, s6
	s_wait_dscnt 0x0
	s_barrier_signal -1
	s_barrier_wait -1
	s_barrier_signal -1
	s_barrier_wait -1
	s_and_saveexec_b32 s6, s1
; %bb.829:                              ;   in Loop: Header=BB121_3 Depth=1
	ds_store_b64 v51, v[42:43] offset:5696
; %bb.830:                              ;   in Loop: Header=BB121_3 Depth=1
	s_or_b32 exec_lo, exec_lo, s6
	s_wait_dscnt 0x0
	s_barrier_signal -1
	s_barrier_wait -1
	s_barrier_signal -1
	s_barrier_wait -1
	s_and_saveexec_b32 s6, s11
; %bb.831:                              ;   in Loop: Header=BB121_3 Depth=1
	v_add_nc_u32_e64 v42, 0x1000, 0
	ds_store_2addr_b64 v42, v[26:27], v[26:27] offset0:8 offset1:73
; %bb.832:                              ;   in Loop: Header=BB121_3 Depth=1
	s_or_b32 exec_lo, exec_lo, s6
	v_mov_b64_e32 v[42:43], 0
	s_wait_dscnt 0x0
	s_barrier_signal -1
	s_barrier_wait -1
	global_wb scope:SCOPE_DEV
	s_wait_storecnt 0x0
	global_inv scope:SCOPE_DEV
	s_and_saveexec_b32 s6, s3
	s_cbranch_execz .LBB121_842
; %bb.833:                              ;   in Loop: Header=BB121_3 Depth=1
	ds_load_b64 v[42:43], v58 offset:4096
	ds_load_b64 v[44:45], v57 offset:7744
	s_wait_dscnt 0x0
	v_fma_f64 v[42:43], v[42:43], v[44:45], 0
	s_and_saveexec_b32 s7, s15
	s_cbranch_execnz .LBB121_1047
; %bb.834:                              ;   in Loop: Header=BB121_3 Depth=1
	s_or_b32 exec_lo, exec_lo, s7
	s_and_saveexec_b32 s7, s16
	s_cbranch_execnz .LBB121_1048
.LBB121_835:                            ;   in Loop: Header=BB121_3 Depth=1
	s_or_b32 exec_lo, exec_lo, s7
	s_and_saveexec_b32 s7, s17
	s_cbranch_execnz .LBB121_1049
.LBB121_836:                            ;   in Loop: Header=BB121_3 Depth=1
	s_or_b32 exec_lo, exec_lo, s7
	s_and_saveexec_b32 s7, s18
	s_cbranch_execnz .LBB121_1050
.LBB121_837:                            ;   in Loop: Header=BB121_3 Depth=1
	s_or_b32 exec_lo, exec_lo, s7
	s_and_saveexec_b32 s7, s19
	s_cbranch_execnz .LBB121_1051
.LBB121_838:                            ;   in Loop: Header=BB121_3 Depth=1
	s_or_b32 exec_lo, exec_lo, s7
	s_and_saveexec_b32 s7, s2
	s_cbranch_execnz .LBB121_1052
.LBB121_839:                            ;   in Loop: Header=BB121_3 Depth=1
	s_or_b32 exec_lo, exec_lo, s7
	s_and_saveexec_b32 s7, s14
	s_cbranch_execz .LBB121_841
.LBB121_840:                            ;   in Loop: Header=BB121_3 Depth=1
	ds_load_b64 v[44:45], v50 offset:7680
	ds_load_b64 v[46:47], v1 offset:7800
	s_wait_dscnt 0x0
	v_fmac_f64_e32 v[42:43], v[44:45], v[46:47]
.LBB121_841:                            ;   in Loop: Header=BB121_3 Depth=1
	s_or_b32 exec_lo, exec_lo, s7
.LBB121_842:                            ;   in Loop: Header=BB121_3 Depth=1
	s_delay_alu instid0(SALU_CYCLE_1)
	s_or_b32 exec_lo, exec_lo, s6
	s_and_saveexec_b32 s6, s36
; %bb.843:                              ;   in Loop: Header=BB121_3 Depth=1
	s_delay_alu instid0(VALU_DEP_1) | instskip(NEXT) | instid1(VALU_DEP_2)
	v_xor_b32_e32 v45, 0x80000000, v43
	v_mov_b32_e32 v44, v42
	ds_store_b64 v56, v[44:45]
; %bb.844:                              ;   in Loop: Header=BB121_3 Depth=1
	s_or_b32 exec_lo, exec_lo, s6
	s_wait_loadcnt_dscnt 0x0
	s_barrier_signal -1
	s_barrier_wait -1
	s_and_saveexec_b32 s6, s37
	s_cbranch_execz .LBB121_846
; %bb.845:                              ;   in Loop: Header=BB121_3 Depth=1
	ds_load_b64 v[44:45], v58 offset:3584
	ds_load_b64 v[46:47], v56
	s_wait_dscnt 0x0
	v_fma_f64 v[42:43], -v[44:45], v[46:47], v[42:43]
.LBB121_846:                            ;   in Loop: Header=BB121_3 Depth=1
	s_or_b32 exec_lo, exec_lo, s6
	s_barrier_signal -1
	s_barrier_wait -1
	s_and_saveexec_b32 s6, s38
; %bb.847:                              ;   in Loop: Header=BB121_3 Depth=1
	s_delay_alu instid0(VALU_DEP_1) | instskip(NEXT) | instid1(VALU_DEP_2)
	v_xor_b32_e32 v45, 0x80000000, v43
	v_mov_b32_e32 v44, v42
	ds_store_b64 v56, v[44:45]
; %bb.848:                              ;   in Loop: Header=BB121_3 Depth=1
	s_or_b32 exec_lo, exec_lo, s6
	s_wait_dscnt 0x0
	s_barrier_signal -1
	s_barrier_wait -1
	s_and_saveexec_b32 s6, s39
	s_cbranch_execz .LBB121_850
; %bb.849:                              ;   in Loop: Header=BB121_3 Depth=1
	ds_load_b64 v[44:45], v58 offset:3072
	ds_load_b64 v[46:47], v56
	s_wait_dscnt 0x0
	v_fma_f64 v[42:43], -v[44:45], v[46:47], v[42:43]
.LBB121_850:                            ;   in Loop: Header=BB121_3 Depth=1
	s_or_b32 exec_lo, exec_lo, s6
	s_barrier_signal -1
	s_barrier_wait -1
	s_and_saveexec_b32 s6, s40
; %bb.851:                              ;   in Loop: Header=BB121_3 Depth=1
	s_delay_alu instid0(VALU_DEP_1) | instskip(NEXT) | instid1(VALU_DEP_2)
	v_xor_b32_e32 v45, 0x80000000, v43
	v_mov_b32_e32 v44, v42
	ds_store_b64 v56, v[44:45]
; %bb.852:                              ;   in Loop: Header=BB121_3 Depth=1
	s_or_b32 exec_lo, exec_lo, s6
	s_wait_dscnt 0x0
	;; [unrolled: 22-line block ×7, first 2 shown]
	s_barrier_signal -1
	s_barrier_wait -1
	s_barrier_signal -1
	s_barrier_wait -1
	s_and_saveexec_b32 s6, s3
; %bb.873:                              ;   in Loop: Header=BB121_3 Depth=1
	ds_store_b64 v59, v[42:43] offset:7680
; %bb.874:                              ;   in Loop: Header=BB121_3 Depth=1
	s_or_b32 exec_lo, exec_lo, s6
	s_wait_dscnt 0x0
	s_barrier_signal -1
	s_barrier_wait -1
	s_barrier_signal -1
	s_barrier_wait -1
	s_and_saveexec_b32 s6, s11
; %bb.875:                              ;   in Loop: Header=BB121_3 Depth=1
	v_add_nc_u32_e64 v42, 0x800, 0
	ds_store_2addr_b64 v42, v[26:27], v[26:27] offset0:134 offset1:199
; %bb.876:                              ;   in Loop: Header=BB121_3 Depth=1
	s_or_b32 exec_lo, exec_lo, s6
	v_mov_b64_e32 v[42:43], 0
	s_wait_dscnt 0x0
	s_barrier_signal -1
	s_barrier_wait -1
	global_wb scope:SCOPE_DEV
	s_wait_storecnt 0x0
	global_inv scope:SCOPE_DEV
	s_and_saveexec_b32 s6, s1
	s_cbranch_execz .LBB121_880
; %bb.877:                              ;   in Loop: Header=BB121_3 Depth=1
	ds_load_b64 v[42:43], v49 offset:3104
	ds_load_b64 v[44:45], v48 offset:3632
	s_wait_dscnt 0x0
	v_fma_f64 v[42:43], v[42:43], v[44:45], 0
	s_and_saveexec_b32 s7, s12
	s_cbranch_execz .LBB121_879
; %bb.878:                              ;   in Loop: Header=BB121_3 Depth=1
	ds_load_b64 v[44:45], v50 offset:3616
	ds_load_b64 v[46:47], v1 offset:3640
	s_wait_dscnt 0x0
	v_fmac_f64_e32 v[42:43], v[44:45], v[46:47]
.LBB121_879:                            ;   in Loop: Header=BB121_3 Depth=1
	s_or_b32 exec_lo, exec_lo, s7
.LBB121_880:                            ;   in Loop: Header=BB121_3 Depth=1
	s_delay_alu instid0(SALU_CYCLE_1)
	s_or_b32 exec_lo, exec_lo, s6
	s_and_saveexec_b32 s6, s101
; %bb.881:                              ;   in Loop: Header=BB121_3 Depth=1
	s_delay_alu instid0(VALU_DEP_1) | instskip(NEXT) | instid1(VALU_DEP_2)
	v_xor_b32_e32 v45, 0x80000000, v43
	v_mov_b32_e32 v44, v42
	ds_store_b64 v5, v[44:45]
; %bb.882:                              ;   in Loop: Header=BB121_3 Depth=1
	s_or_b32 exec_lo, exec_lo, s6
	s_wait_loadcnt_dscnt 0x0
	s_barrier_signal -1
	s_barrier_wait -1
	s_and_saveexec_b32 s6, s102
	s_cbranch_execz .LBB121_884
; %bb.883:                              ;   in Loop: Header=BB121_3 Depth=1
	ds_load_b64 v[44:45], v1 offset:2592
	ds_load_b64 v[46:47], v5
	s_wait_dscnt 0x0
	v_fma_f64 v[42:43], -v[44:45], v[46:47], v[42:43]
.LBB121_884:                            ;   in Loop: Header=BB121_3 Depth=1
	s_or_b32 exec_lo, exec_lo, s6
	s_barrier_signal -1
	s_barrier_wait -1
	s_and_saveexec_b32 s6, s102
; %bb.885:                              ;   in Loop: Header=BB121_3 Depth=1
	s_delay_alu instid0(VALU_DEP_1) | instskip(NEXT) | instid1(VALU_DEP_2)
	v_xor_b32_e32 v45, 0x80000000, v43
	v_mov_b32_e32 v44, v42
	ds_store_b64 v5, v[44:45]
; %bb.886:                              ;   in Loop: Header=BB121_3 Depth=1
	s_or_b32 exec_lo, exec_lo, s6
	s_wait_dscnt 0x0
	s_barrier_signal -1
	s_barrier_wait -1
	s_barrier_signal -1
	s_barrier_wait -1
	s_and_saveexec_b32 s6, s1
; %bb.887:                              ;   in Loop: Header=BB121_3 Depth=1
	ds_store_b64 v51, v[42:43] offset:3616
; %bb.888:                              ;   in Loop: Header=BB121_3 Depth=1
	s_or_b32 exec_lo, exec_lo, s6
	s_wait_dscnt 0x0
	s_barrier_signal -1
	s_barrier_wait -1
	s_barrier_signal -1
	s_barrier_wait -1
	s_and_saveexec_b32 s6, s11
; %bb.889:                              ;   in Loop: Header=BB121_3 Depth=1
	v_add_nc_u32_e64 v42, 0x800, 0
	ds_store_2addr_b64 v42, v[26:27], v[26:27] offset0:4 offset1:69
; %bb.890:                              ;   in Loop: Header=BB121_3 Depth=1
	s_or_b32 exec_lo, exec_lo, s6
	v_mov_b64_e32 v[42:43], 0
	s_wait_dscnt 0x0
	s_barrier_signal -1
	s_barrier_wait -1
	global_wb scope:SCOPE_DEV
	s_wait_storecnt 0x0
	global_inv scope:SCOPE_DEV
	s_and_saveexec_b32 s6, s2
	s_cbranch_execz .LBB121_896
; %bb.891:                              ;   in Loop: Header=BB121_3 Depth=1
	ds_load_b64 v[42:43], v54 offset:2048
	ds_load_b64 v[44:45], v53 offset:3616
	s_wait_dscnt 0x0
	v_fma_f64 v[42:43], v[42:43], v[44:45], 0
	s_and_saveexec_b32 s7, s13
	s_cbranch_execnz .LBB121_1053
; %bb.892:                              ;   in Loop: Header=BB121_3 Depth=1
	s_or_b32 exec_lo, exec_lo, s7
	s_and_saveexec_b32 s7, s14
	s_cbranch_execnz .LBB121_1054
.LBB121_893:                            ;   in Loop: Header=BB121_3 Depth=1
	s_or_b32 exec_lo, exec_lo, s7
	s_and_saveexec_b32 s7, s1
	s_cbranch_execz .LBB121_895
.LBB121_894:                            ;   in Loop: Header=BB121_3 Depth=1
	ds_load_b64 v[44:45], v50 offset:3584
	ds_load_b64 v[46:47], v1 offset:3640
	s_wait_dscnt 0x0
	v_fmac_f64_e32 v[42:43], v[44:45], v[46:47]
.LBB121_895:                            ;   in Loop: Header=BB121_3 Depth=1
	s_or_b32 exec_lo, exec_lo, s7
.LBB121_896:                            ;   in Loop: Header=BB121_3 Depth=1
	s_delay_alu instid0(SALU_CYCLE_1)
	s_or_b32 exec_lo, exec_lo, s6
	s_and_saveexec_b32 s6, s103
; %bb.897:                              ;   in Loop: Header=BB121_3 Depth=1
	s_delay_alu instid0(VALU_DEP_1) | instskip(NEXT) | instid1(VALU_DEP_2)
	v_xor_b32_e32 v45, 0x80000000, v43
	v_mov_b32_e32 v44, v42
	ds_store_b64 v52, v[44:45]
; %bb.898:                              ;   in Loop: Header=BB121_3 Depth=1
	s_or_b32 exec_lo, exec_lo, s6
	s_wait_loadcnt_dscnt 0x0
	s_barrier_signal -1
	s_barrier_wait -1
	s_and_saveexec_b32 s6, s104
	s_cbranch_execz .LBB121_900
; %bb.899:                              ;   in Loop: Header=BB121_3 Depth=1
	ds_load_b64 v[44:45], v54 offset:1536
	ds_load_b64 v[46:47], v52
	s_wait_dscnt 0x0
	v_fma_f64 v[42:43], -v[44:45], v[46:47], v[42:43]
.LBB121_900:                            ;   in Loop: Header=BB121_3 Depth=1
	s_or_b32 exec_lo, exec_lo, s6
	s_barrier_signal -1
	s_barrier_wait -1
	s_and_saveexec_b32 s6, vcc_hi
; %bb.901:                              ;   in Loop: Header=BB121_3 Depth=1
	s_delay_alu instid0(VALU_DEP_1) | instskip(NEXT) | instid1(VALU_DEP_2)
	v_xor_b32_e32 v45, 0x80000000, v43
	v_mov_b32_e32 v44, v42
	ds_store_b64 v52, v[44:45]
; %bb.902:                              ;   in Loop: Header=BB121_3 Depth=1
	s_or_b32 exec_lo, exec_lo, s6
	s_wait_dscnt 0x0
	s_barrier_signal -1
	s_barrier_wait -1
	s_and_saveexec_b32 s6, s33
	s_cbranch_execz .LBB121_904
; %bb.903:                              ;   in Loop: Header=BB121_3 Depth=1
	ds_load_b64 v[44:45], v54 offset:1024
	ds_load_b64 v[46:47], v52
	s_wait_dscnt 0x0
	v_fma_f64 v[42:43], -v[44:45], v[46:47], v[42:43]
.LBB121_904:                            ;   in Loop: Header=BB121_3 Depth=1
	s_or_b32 exec_lo, exec_lo, s6
	s_barrier_signal -1
	s_barrier_wait -1
	s_and_saveexec_b32 s6, s34
; %bb.905:                              ;   in Loop: Header=BB121_3 Depth=1
	s_delay_alu instid0(VALU_DEP_1) | instskip(NEXT) | instid1(VALU_DEP_2)
	v_xor_b32_e32 v45, 0x80000000, v43
	v_mov_b32_e32 v44, v42
	ds_store_b64 v52, v[44:45]
; %bb.906:                              ;   in Loop: Header=BB121_3 Depth=1
	s_or_b32 exec_lo, exec_lo, s6
	s_wait_dscnt 0x0
	s_barrier_signal -1
	s_barrier_wait -1
	s_and_saveexec_b32 s6, s35
	s_cbranch_execz .LBB121_908
; %bb.907:                              ;   in Loop: Header=BB121_3 Depth=1
	ds_load_b64 v[44:45], v1 offset:512
	ds_load_b64 v[46:47], v52
	s_wait_dscnt 0x0
	v_fma_f64 v[42:43], -v[44:45], v[46:47], v[42:43]
.LBB121_908:                            ;   in Loop: Header=BB121_3 Depth=1
	s_or_b32 exec_lo, exec_lo, s6
	s_barrier_signal -1
	s_barrier_wait -1
	s_and_saveexec_b32 s6, s35
; %bb.909:                              ;   in Loop: Header=BB121_3 Depth=1
	s_delay_alu instid0(VALU_DEP_1) | instskip(NEXT) | instid1(VALU_DEP_2)
	v_xor_b32_e32 v45, 0x80000000, v43
	v_mov_b32_e32 v44, v42
	ds_store_b64 v52, v[44:45]
; %bb.910:                              ;   in Loop: Header=BB121_3 Depth=1
	s_or_b32 exec_lo, exec_lo, s6
	s_wait_dscnt 0x0
	s_barrier_signal -1
	s_barrier_wait -1
	s_barrier_signal -1
	s_barrier_wait -1
	s_and_saveexec_b32 s6, s2
; %bb.911:                              ;   in Loop: Header=BB121_3 Depth=1
	ds_store_b64 v55, v[42:43] offset:3584
; %bb.912:                              ;   in Loop: Header=BB121_3 Depth=1
	s_or_b32 exec_lo, exec_lo, s6
	s_wait_dscnt 0x0
	s_barrier_signal -1
	s_barrier_wait -1
	s_barrier_signal -1
	s_barrier_wait -1
	s_and_saveexec_b32 s6, s11
; %bb.913:                              ;   in Loop: Header=BB121_3 Depth=1
	ds_store_2addr_b64 v1, v[26:27], v[26:27] offset0:130 offset1:195
; %bb.914:                              ;   in Loop: Header=BB121_3 Depth=1
	s_or_b32 exec_lo, exec_lo, s6
	v_mov_b64_e32 v[42:43], 0
	s_wait_dscnt 0x0
	s_barrier_signal -1
	s_barrier_wait -1
	global_wb scope:SCOPE_DEV
	s_wait_storecnt 0x0
	global_inv scope:SCOPE_DEV
	s_and_saveexec_b32 s6, s1
	s_cbranch_execz .LBB121_918
; %bb.915:                              ;   in Loop: Header=BB121_3 Depth=1
	ds_load_b64 v[42:43], v49 offset:1024
	ds_load_b64 v[44:45], v48 offset:1552
	s_wait_dscnt 0x0
	v_fma_f64 v[42:43], v[42:43], v[44:45], 0
	s_and_saveexec_b32 s7, s12
	s_cbranch_execz .LBB121_917
; %bb.916:                              ;   in Loop: Header=BB121_3 Depth=1
	ds_load_b64 v[44:45], v50 offset:1536
	ds_load_b64 v[46:47], v1 offset:1560
	s_wait_dscnt 0x0
	v_fmac_f64_e32 v[42:43], v[44:45], v[46:47]
.LBB121_917:                            ;   in Loop: Header=BB121_3 Depth=1
	s_or_b32 exec_lo, exec_lo, s7
.LBB121_918:                            ;   in Loop: Header=BB121_3 Depth=1
	s_delay_alu instid0(SALU_CYCLE_1)
	s_or_b32 exec_lo, exec_lo, s6
	s_and_saveexec_b32 s6, s101
; %bb.919:                              ;   in Loop: Header=BB121_3 Depth=1
	s_delay_alu instid0(VALU_DEP_1) | instskip(NEXT) | instid1(VALU_DEP_2)
	v_xor_b32_e32 v45, 0x80000000, v43
	v_mov_b32_e32 v44, v42
	ds_store_b64 v5, v[44:45]
; %bb.920:                              ;   in Loop: Header=BB121_3 Depth=1
	s_or_b32 exec_lo, exec_lo, s6
	s_wait_loadcnt_dscnt 0x0
	s_barrier_signal -1
	s_barrier_wait -1
	s_and_saveexec_b32 s6, s102
	s_cbranch_execz .LBB121_922
; %bb.921:                              ;   in Loop: Header=BB121_3 Depth=1
	ds_load_b64 v[44:45], v1 offset:512
	ds_load_b64 v[46:47], v5
	s_wait_dscnt 0x0
	v_fma_f64 v[42:43], -v[44:45], v[46:47], v[42:43]
.LBB121_922:                            ;   in Loop: Header=BB121_3 Depth=1
	s_or_b32 exec_lo, exec_lo, s6
	s_barrier_signal -1
	s_barrier_wait -1
	s_and_saveexec_b32 s6, s102
; %bb.923:                              ;   in Loop: Header=BB121_3 Depth=1
	s_delay_alu instid0(VALU_DEP_1) | instskip(NEXT) | instid1(VALU_DEP_2)
	v_xor_b32_e32 v45, 0x80000000, v43
	v_mov_b32_e32 v44, v42
	ds_store_b64 v5, v[44:45]
; %bb.924:                              ;   in Loop: Header=BB121_3 Depth=1
	s_or_b32 exec_lo, exec_lo, s6
	s_wait_dscnt 0x0
	s_barrier_signal -1
	s_barrier_wait -1
	s_barrier_signal -1
	s_barrier_wait -1
	s_and_saveexec_b32 s6, s1
; %bb.925:                              ;   in Loop: Header=BB121_3 Depth=1
	ds_store_b64 v51, v[42:43] offset:1536
; %bb.926:                              ;   in Loop: Header=BB121_3 Depth=1
	s_or_b32 exec_lo, exec_lo, s6
	s_wait_dscnt 0x0
	s_barrier_signal -1
	s_barrier_wait -1
	s_barrier_signal -1
	s_barrier_wait -1
	s_and_saveexec_b32 s6, s11
; %bb.927:                              ;   in Loop: Header=BB121_3 Depth=1
	ds_store_2addr_b64 v1, v[26:27], v[26:27] offset1:65
; %bb.928:                              ;   in Loop: Header=BB121_3 Depth=1
	s_or_b32 exec_lo, exec_lo, s6
.LBB121_929:                            ;   in Loop: Header=BB121_3 Depth=1
	v_add_nc_u64_e32 v[40:41], s[72:73], v[40:41]
	v_mov_b64_e32 v[42:43], 0
	s_wait_dscnt 0x0
	s_barrier_signal -1
	s_barrier_wait -1
	s_and_saveexec_b32 s6, s20
	s_cbranch_execz .LBB121_931
; %bb.930:                              ;   in Loop: Header=BB121_3 Depth=1
	v_lshl_add_u64 v[42:43], v[16:17], 3, v[40:41]
	flat_load_b64 v[42:43], v[42:43]
	s_wait_loadcnt_dscnt 0x0
	v_mul_f64_e64 v[42:43], v[42:43], -v[38:39]
.LBB121_931:                            ;   in Loop: Header=BB121_3 Depth=1
	s_or_b32 exec_lo, exec_lo, s6
	s_delay_alu instid0(SALU_CYCLE_1)
	s_and_not1_b32 vcc_lo, exec_lo, s22
	s_cbranch_vccnz .LBB121_957
; %bb.932:                              ;   in Loop: Header=BB121_3 Depth=1
	v_lshl_add_u64 v[36:37], v[8:9], 3, v[36:37]
	v_mov_b32_e32 v80, -1
	s_lshl_b64 s[6:7], s[66:67], 2
	s_delay_alu instid0(SALU_CYCLE_1)
	s_add_nc_u64 s[94:95], s[84:85], s[6:7]
	s_mov_b32 s6, 0
	s_branch .LBB121_935
.LBB121_933:                            ;   in Loop: Header=BB121_935 Depth=2
	s_wait_xcnt 0x0
	ds_load_b64 v[38:39], v70 offset:384
	s_wait_loadcnt_dscnt 0x0
	v_fmac_f64_e32 v[42:43], v[44:45], v[38:39]
.LBB121_934:                            ;   in Loop: Header=BB121_935 Depth=2
	s_or_b32 exec_lo, exec_lo, s7
	s_add_co_i32 s6, s6, 1
	s_delay_alu instid0(SALU_CYCLE_1)
	s_cmp_eq_u32 s6, s96
	s_cbranch_scc1 .LBB121_957
.LBB121_935:                            ;   Parent Loop BB121_3 Depth=1
                                        ; =>  This Loop Header: Depth=2
                                        ;       Child Loop BB121_937 Depth 3
	v_cmp_gt_i32_e32 vcc_lo, s6, v80
	s_and_b32 s8, s56, vcc_lo
	s_delay_alu instid0(SALU_CYCLE_1)
	s_and_saveexec_b32 s7, s8
	s_cbranch_execz .LBB121_938
; %bb.936:                              ;   in Loop: Header=BB121_935 Depth=2
	global_load_b32 v80, v1, s[94:95]
	s_wait_loadcnt 0x0
	v_cmp_le_i32_e32 vcc_lo, s6, v80
	s_cbranch_vccnz .LBB121_938
.LBB121_937:                            ;   Parent Loop BB121_3 Depth=1
                                        ;     Parent Loop BB121_935 Depth=2
                                        ; =>    This Inner Loop Header: Depth=3
	global_wb scope:SCOPE_DEV
	s_wait_storecnt 0x0
	global_inv scope:SCOPE_DEV
	global_load_b32 v80, v1, s[94:95]
	s_wait_loadcnt 0x0
	v_cmp_gt_i32_e32 vcc_lo, s6, v80
	s_cbranch_vccnz .LBB121_937
.LBB121_938:                            ;   in Loop: Header=BB121_935 Depth=2
	s_or_b32 exec_lo, exec_lo, s7
	s_sub_co_i32 s7, s97, s6
	global_wb scope:SCOPE_DEV
	s_wait_storecnt 0x0
	global_inv scope:SCOPE_DEV
	s_lshl_b32 s8, s7, 6
	s_wait_loadcnt 0x0
	s_barrier_signal -1
	s_barrier_wait -1
	s_and_saveexec_b32 s9, s57
	s_cbranch_execz .LBB121_942
; %bb.939:                              ;   in Loop: Header=BB121_935 Depth=2
	s_ashr_i32 s26, s8, 31
	v_mov_b64_e32 v[44:45], 0
	v_dual_mov_b32 v39, s26 :: v_dual_bitop2_b32 v38, s8, v6 bitop3:0x54
	s_mov_b32 s26, exec_lo
	s_delay_alu instid0(VALU_DEP_1)
	v_cmpx_gt_i64_e64 s[80:81], v[38:39]
	s_cbranch_execz .LBB121_941
; %bb.940:                              ;   in Loop: Header=BB121_935 Depth=2
	v_mul_u64_e32 v[38:39], s[74:75], v[38:39]
	s_delay_alu instid0(VALU_DEP_1)
	v_lshl_add_u64 v[38:39], v[38:39], 3, v[40:41]
	flat_load_b64 v[44:45], v[38:39]
.LBB121_941:                            ;   in Loop: Header=BB121_935 Depth=2
	s_wait_xcnt 0x0
	s_or_b32 exec_lo, exec_lo, s26
	s_wait_loadcnt_dscnt 0x0
	ds_store_b64 v69, v[44:45]
.LBB121_942:                            ;   in Loop: Header=BB121_935 Depth=2
	s_or_b32 exec_lo, exec_lo, s9
	v_add_nc_u32_e32 v44, s8, v2
	s_cmp_lg_u32 s7, s24
	s_wait_dscnt 0x0
	s_cselect_b32 s8, -1, 0
	s_barrier_signal -1
	v_ashrrev_i32_e32 v45, 31, v44
	v_cmp_gt_i32_e32 vcc_lo, s80, v44
	s_barrier_wait -1
	s_delay_alu instid0(VALU_DEP_2) | instskip(SKIP_2) | instid1(VALU_DEP_2)
	v_mul_u64_e32 v[38:39], s[82:83], v[44:45]
	v_cndmask_b32_e64 v45, 0, 1, s8
	s_and_b32 s9, s0, vcc_lo
	v_lshl_add_u64 v[38:39], v[38:39], 3, v[36:37]
	s_and_saveexec_b32 s7, s9
	s_cbranch_execz .LBB121_946
; %bb.943:                              ;   in Loop: Header=BB121_935 Depth=2
	v_mov_b64_e32 v[46:47], v[28:29]
	s_and_not1_b32 vcc_lo, exec_lo, s8
	s_cbranch_vccnz .LBB121_945
; %bb.944:                              ;   in Loop: Header=BB121_935 Depth=2
	flat_load_b64 v[46:47], v[38:39]
.LBB121_945:                            ;   in Loop: Header=BB121_935 Depth=2
	ds_load_b64 v[82:83], v70
	s_wait_loadcnt_dscnt 0x0
	v_fmac_f64_e32 v[42:43], v[46:47], v[82:83]
.LBB121_946:                            ;   in Loop: Header=BB121_935 Depth=2
	s_or_b32 exec_lo, exec_lo, s7
	v_add_nc_u32_e32 v46, 16, v44
	s_delay_alu instid0(VALU_DEP_1) | instskip(SKIP_1) | instid1(SALU_CYCLE_1)
	v_cmp_gt_i32_e32 vcc_lo, s80, v46
	s_and_b32 s8, s0, vcc_lo
	s_and_saveexec_b32 s7, s8
	s_cbranch_execz .LBB121_950
; %bb.947:                              ;   in Loop: Header=BB121_935 Depth=2
	v_cmp_ne_u32_e32 vcc_lo, 1, v45
	v_mov_b64_e32 v[46:47], v[30:31]
	s_cbranch_vccnz .LBB121_949
; %bb.948:                              ;   in Loop: Header=BB121_935 Depth=2
	v_add_nc_u64_e32 v[46:47], s[88:89], v[38:39]
	flat_load_b64 v[46:47], v[46:47]
.LBB121_949:                            ;   in Loop: Header=BB121_935 Depth=2
	ds_load_b64 v[82:83], v70 offset:128
	s_wait_loadcnt_dscnt 0x0
	v_fmac_f64_e32 v[42:43], v[46:47], v[82:83]
.LBB121_950:                            ;   in Loop: Header=BB121_935 Depth=2
	s_or_b32 exec_lo, exec_lo, s7
	v_add_nc_u32_e32 v46, 32, v44
	s_delay_alu instid0(VALU_DEP_1) | instskip(SKIP_1) | instid1(SALU_CYCLE_1)
	v_cmp_gt_i32_e32 vcc_lo, s80, v46
	s_and_b32 s8, s0, vcc_lo
	s_and_saveexec_b32 s7, s8
	s_cbranch_execz .LBB121_954
; %bb.951:                              ;   in Loop: Header=BB121_935 Depth=2
	v_cmp_ne_u32_e32 vcc_lo, 1, v45
	v_mov_b64_e32 v[46:47], v[32:33]
	s_cbranch_vccnz .LBB121_953
; %bb.952:                              ;   in Loop: Header=BB121_935 Depth=2
	v_add_nc_u64_e32 v[46:47], s[90:91], v[38:39]
	flat_load_b64 v[46:47], v[46:47]
.LBB121_953:                            ;   in Loop: Header=BB121_935 Depth=2
	ds_load_b64 v[82:83], v70 offset:256
	s_wait_loadcnt_dscnt 0x0
	v_fmac_f64_e32 v[42:43], v[46:47], v[82:83]
.LBB121_954:                            ;   in Loop: Header=BB121_935 Depth=2
	s_or_b32 exec_lo, exec_lo, s7
	v_add_nc_u32_e32 v44, 48, v44
	s_delay_alu instid0(VALU_DEP_1) | instskip(SKIP_1) | instid1(SALU_CYCLE_1)
	v_cmp_gt_i32_e32 vcc_lo, s80, v44
	s_and_b32 s8, s0, vcc_lo
	s_and_saveexec_b32 s7, s8
	s_cbranch_execz .LBB121_934
; %bb.955:                              ;   in Loop: Header=BB121_935 Depth=2
	v_cmp_ne_u32_e32 vcc_lo, 1, v45
	v_mov_b64_e32 v[44:45], v[34:35]
	s_cbranch_vccnz .LBB121_933
; %bb.956:                              ;   in Loop: Header=BB121_935 Depth=2
	v_add_nc_u64_e32 v[38:39], s[92:93], v[38:39]
	flat_load_b64 v[44:45], v[38:39]
	s_branch .LBB121_933
.LBB121_957:                            ;   in Loop: Header=BB121_3 Depth=1
	ds_store_b64 v71, v[42:43]
	s_wait_dscnt 0x0
	s_barrier_signal -1
	s_barrier_wait -1
	s_and_saveexec_b32 s6, s5
	s_cbranch_execz .LBB121_959
; %bb.958:                              ;   in Loop: Header=BB121_3 Depth=1
	ds_load_2addr_stride64_b64 v[36:39], v72 offset0:1 offset1:2
	ds_load_2addr_stride64_b64 v[44:47], v72 offset0:3 offset1:4
	s_wait_dscnt 0x1
	v_add_f64_e32 v[36:37], v[42:43], v[36:37]
	s_delay_alu instid0(VALU_DEP_1) | instskip(SKIP_1) | instid1(VALU_DEP_1)
	v_add_f64_e32 v[36:37], v[36:37], v[38:39]
	s_wait_dscnt 0x0
	v_add_f64_e32 v[36:37], v[36:37], v[44:45]
	s_delay_alu instid0(VALU_DEP_1) | instskip(SKIP_4) | instid1(VALU_DEP_1)
	v_add_f64_e32 v[46:47], v[36:37], v[46:47]
	ds_load_2addr_stride64_b64 v[36:39], v72 offset0:5 offset1:6
	ds_load_2addr_stride64_b64 v[42:45], v72 offset0:7 offset1:8
	s_wait_dscnt 0x1
	v_add_f64_e32 v[36:37], v[46:47], v[36:37]
	v_add_f64_e32 v[36:37], v[36:37], v[38:39]
	s_wait_dscnt 0x0
	s_delay_alu instid0(VALU_DEP_1) | instskip(NEXT) | instid1(VALU_DEP_1)
	v_add_f64_e32 v[36:37], v[36:37], v[42:43]
	v_add_f64_e32 v[46:47], v[36:37], v[44:45]
	ds_load_2addr_stride64_b64 v[36:39], v72 offset0:9 offset1:10
	ds_load_2addr_stride64_b64 v[42:45], v72 offset0:11 offset1:12
	s_wait_dscnt 0x1
	v_add_f64_e32 v[36:37], v[46:47], v[36:37]
	s_delay_alu instid0(VALU_DEP_1) | instskip(SKIP_1) | instid1(VALU_DEP_1)
	v_add_f64_e32 v[36:37], v[36:37], v[38:39]
	s_wait_dscnt 0x0
	v_add_f64_e32 v[36:37], v[36:37], v[42:43]
	s_delay_alu instid0(VALU_DEP_1) | instskip(SKIP_4) | instid1(VALU_DEP_1)
	v_add_f64_e32 v[42:43], v[36:37], v[44:45]
	ds_load_2addr_stride64_b64 v[36:39], v72 offset0:13 offset1:14
	ds_load_b64 v[44:45], v72 offset:7680
	s_wait_dscnt 0x1
	v_add_f64_e32 v[36:37], v[42:43], v[36:37]
	v_add_f64_e32 v[36:37], v[36:37], v[38:39]
	s_wait_dscnt 0x0
	s_delay_alu instid0(VALU_DEP_1) | instskip(NEXT) | instid1(VALU_DEP_1)
	v_add_f64_e32 v[36:37], v[36:37], v[44:45]
	v_xor_b32_e32 v37, 0x80000000, v37
	s_delay_alu instid0(VALU_DEP_2) | instskip(NEXT) | instid1(VALU_DEP_2)
	v_cndmask_b32_e64 v42, v36, 0, s55
	v_cndmask_b32_e64 v43, v37, 0, s55
.LBB121_959:                            ;   in Loop: Header=BB121_3 Depth=1
	s_or_b32 exec_lo, exec_lo, s6
	s_delay_alu instid0(SALU_CYCLE_1)
	s_and_not1_b32 vcc_lo, exec_lo, s100
	s_cbranch_vccnz .LBB121_972
; %bb.960:                              ;   in Loop: Header=BB121_3 Depth=1
	s_and_saveexec_b32 s6, s5
; %bb.961:                              ;   in Loop: Header=BB121_3 Depth=1
	ds_store_b64 v7, v[42:43]
; %bb.962:                              ;   in Loop: Header=BB121_3 Depth=1
	s_or_b32 exec_lo, exec_lo, s6
	v_mov_b64_e32 v[36:37], 0
	s_wait_dscnt 0x0
	s_barrier_signal -1
	s_barrier_wait -1
	s_mov_b32 s6, exec_lo
	v_readlane_b32 s7, v85, 27
	s_and_b32 s7, s6, s7
	s_delay_alu instid0(SALU_CYCLE_1)
	s_mov_b32 exec_lo, s7
	s_cbranch_execz .LBB121_964
; %bb.963:                              ;   in Loop: Header=BB121_3 Depth=1
	ds_load_b64 v[36:37], v73
	ds_load_b64 v[38:39], v70
	s_wait_dscnt 0x0
	v_fma_f64 v[36:37], v[36:37], v[38:39], 0
.LBB121_964:                            ;   in Loop: Header=BB121_3 Depth=1
	s_or_b32 exec_lo, exec_lo, s6
	s_delay_alu instid0(SALU_CYCLE_1) | instskip(SKIP_2) | instid1(SALU_CYCLE_1)
	s_mov_b32 s6, exec_lo
	v_readlane_b32 s7, v86, 24
	s_and_b32 s7, s6, s7
	s_mov_b32 exec_lo, s7
	s_cbranch_execz .LBB121_966
; %bb.965:                              ;   in Loop: Header=BB121_3 Depth=1
	ds_load_b64 v[38:39], v73 offset:8192
	ds_load_b64 v[44:45], v70 offset:128
	s_wait_dscnt 0x0
	v_fmac_f64_e32 v[36:37], v[38:39], v[44:45]
.LBB121_966:                            ;   in Loop: Header=BB121_3 Depth=1
	s_or_b32 exec_lo, exec_lo, s6
	s_delay_alu instid0(SALU_CYCLE_1) | instskip(SKIP_2) | instid1(SALU_CYCLE_1)
	s_mov_b32 s6, exec_lo
	v_readlane_b32 s7, v85, 28
	s_and_b32 s7, s6, s7
	s_mov_b32 exec_lo, s7
	s_cbranch_execz .LBB121_968
; %bb.967:                              ;   in Loop: Header=BB121_3 Depth=1
	ds_load_b64 v[38:39], v73 offset:16384
	ds_load_b64 v[44:45], v70 offset:256
	s_wait_dscnt 0x0
	v_fmac_f64_e32 v[36:37], v[38:39], v[44:45]
.LBB121_968:                            ;   in Loop: Header=BB121_3 Depth=1
	;; [unrolled: 13-line block ×3, first 2 shown]
	s_or_b32 exec_lo, exec_lo, s6
	s_mov_b32 s6, 0
	s_mov_b32 s94, 0
	ds_store_b64 v71, v[36:37]
	s_wait_dscnt 0x0
	s_barrier_signal -1
	s_barrier_wait -1
                                        ; implicit-def: $vgpr38_vgpr39
	s_and_saveexec_b32 s95, s5
	s_cbranch_execz .LBB121_1001
; %bb.971:                              ;   in Loop: Header=BB121_3 Depth=1
	ds_load_2addr_stride64_b64 v[44:47], v72 offset0:1 offset1:2
	ds_load_2addr_stride64_b64 v[80:83], v72 offset0:3 offset1:4
	s_mov_b32 s94, exec_lo
	s_wait_dscnt 0x1
	v_add_f64_e32 v[36:37], v[36:37], v[44:45]
	s_delay_alu instid0(VALU_DEP_1) | instskip(SKIP_1) | instid1(VALU_DEP_1)
	v_add_f64_e32 v[36:37], v[46:47], v[36:37]
	s_wait_dscnt 0x0
	v_add_f64_e32 v[36:37], v[80:81], v[36:37]
	s_delay_alu instid0(VALU_DEP_1) | instskip(SKIP_4) | instid1(VALU_DEP_1)
	v_add_f64_e32 v[80:81], v[82:83], v[36:37]
	ds_load_2addr_stride64_b64 v[36:39], v72 offset0:5 offset1:6
	ds_load_2addr_stride64_b64 v[44:47], v72 offset0:7 offset1:8
	s_wait_dscnt 0x1
	v_add_f64_e32 v[36:37], v[36:37], v[80:81]
	v_add_f64_e32 v[36:37], v[38:39], v[36:37]
	s_wait_dscnt 0x0
	s_delay_alu instid0(VALU_DEP_1) | instskip(NEXT) | instid1(VALU_DEP_1)
	v_add_f64_e32 v[36:37], v[44:45], v[36:37]
	v_add_f64_e32 v[80:81], v[46:47], v[36:37]
	ds_load_2addr_stride64_b64 v[36:39], v72 offset0:9 offset1:10
	ds_load_2addr_stride64_b64 v[44:47], v72 offset0:11 offset1:12
	s_wait_dscnt 0x1
	v_add_f64_e32 v[36:37], v[36:37], v[80:81]
	s_delay_alu instid0(VALU_DEP_1) | instskip(SKIP_1) | instid1(VALU_DEP_1)
	v_add_f64_e32 v[36:37], v[38:39], v[36:37]
	s_wait_dscnt 0x0
	v_add_f64_e32 v[36:37], v[44:45], v[36:37]
	s_delay_alu instid0(VALU_DEP_1) | instskip(SKIP_4) | instid1(VALU_DEP_1)
	v_add_f64_e32 v[44:45], v[46:47], v[36:37]
	ds_load_2addr_stride64_b64 v[36:39], v72 offset0:13 offset1:14
	ds_load_b64 v[46:47], v72 offset:7680
	s_wait_dscnt 0x1
	v_add_f64_e32 v[36:37], v[36:37], v[44:45]
	v_add_f64_e32 v[36:37], v[38:39], v[36:37]
	s_wait_dscnt 0x0
	s_delay_alu instid0(VALU_DEP_1) | instskip(SKIP_1) | instid1(SALU_CYCLE_1)
	v_add_f64_e32 v[38:39], v[46:47], v[36:37]
	s_or_b32 exec_lo, exec_lo, s95
	s_and_b32 vcc_lo, exec_lo, s6
	s_cbranch_vccnz .LBB121_973
	s_branch .LBB121_1002
.LBB121_972:                            ;   in Loop: Header=BB121_3 Depth=1
	s_mov_b32 s94, 0
                                        ; implicit-def: $vgpr38_vgpr39
	s_cbranch_execz .LBB121_1002
.LBB121_973:                            ;   in Loop: Header=BB121_3 Depth=1
	v_dual_mov_b32 v36, v79 :: v_dual_mov_b32 v37, v78
	s_mov_b32 s6, 63
	s_branch .LBB121_975
.LBB121_974:                            ;   in Loop: Header=BB121_975 Depth=2
	s_or_b32 exec_lo, exec_lo, s8
	v_add_nc_u32_e32 v37, 0xfffff800, v37
	v_add_nc_u32_e32 v36, 4, v36
	s_add_co_i32 s6, s6, -4
	s_cmp_lg_u32 s7, 0
	s_barrier_signal -1
	s_barrier_wait -1
	s_cbranch_scc0 .LBB121_991
.LBB121_975:                            ;   Parent Loop BB121_3 Depth=1
                                        ; =>  This Inner Loop Header: Depth=2
	s_delay_alu instid0(VALU_DEP_1) | instskip(SKIP_1) | instid1(SALU_CYCLE_1)
	v_cmp_eq_u32_e32 vcc_lo, 0, v36
	s_and_b32 s8, s5, vcc_lo
	s_and_saveexec_b32 s7, s8
; %bb.976:                              ;   in Loop: Header=BB121_975 Depth=2
	ds_store_b64 v1, v[42:43] offset:41472
; %bb.977:                              ;   in Loop: Header=BB121_975 Depth=2
	s_or_b32 exec_lo, exec_lo, s7
	v_cmp_gt_u32_e32 vcc_lo, s6, v4
	s_wait_dscnt 0x0
	s_barrier_signal -1
	s_barrier_wait -1
	s_and_b32 s8, s5, vcc_lo
	s_delay_alu instid0(SALU_CYCLE_1)
	s_and_saveexec_b32 s7, s8
	s_cbranch_execz .LBB121_979
; %bb.978:                              ;   in Loop: Header=BB121_975 Depth=2
	ds_load_b64 v[38:39], v37 offset:1536
	ds_load_b64 v[44:45], v1 offset:41472
	s_wait_dscnt 0x0
	v_fmac_f64_e32 v[42:43], v[38:39], v[44:45]
.LBB121_979:                            ;   in Loop: Header=BB121_975 Depth=2
	s_or_b32 exec_lo, exec_lo, s7
	s_add_co_i32 s7, s6, -1
	s_delay_alu instid0(SALU_CYCLE_1) | instskip(SKIP_3) | instid1(SALU_CYCLE_1)
	v_cmp_eq_u32_e32 vcc_lo, s7, v4
	s_barrier_signal -1
	s_barrier_wait -1
	s_and_b32 s9, s5, vcc_lo
	s_and_saveexec_b32 s8, s9
; %bb.980:                              ;   in Loop: Header=BB121_975 Depth=2
	ds_store_b64 v1, v[42:43] offset:41472
; %bb.981:                              ;   in Loop: Header=BB121_975 Depth=2
	s_or_b32 exec_lo, exec_lo, s8
	v_cmp_gt_u32_e32 vcc_lo, s7, v4
	s_wait_dscnt 0x0
	s_barrier_signal -1
	s_barrier_wait -1
	s_and_b32 s8, s5, vcc_lo
	s_delay_alu instid0(SALU_CYCLE_1)
	s_and_saveexec_b32 s7, s8
	s_cbranch_execz .LBB121_983
; %bb.982:                              ;   in Loop: Header=BB121_975 Depth=2
	ds_load_b64 v[38:39], v37 offset:1024
	ds_load_b64 v[44:45], v1 offset:41472
	s_wait_dscnt 0x0
	v_fmac_f64_e32 v[42:43], v[38:39], v[44:45]
.LBB121_983:                            ;   in Loop: Header=BB121_975 Depth=2
	s_or_b32 exec_lo, exec_lo, s7
	s_add_co_i32 s7, s6, -2
	s_delay_alu instid0(SALU_CYCLE_1) | instskip(SKIP_3) | instid1(SALU_CYCLE_1)
	v_cmp_eq_u32_e32 vcc_lo, s7, v4
	s_barrier_signal -1
	s_barrier_wait -1
	;; [unrolled: 26-line block ×3, first 2 shown]
	s_and_b32 s9, s5, vcc_lo
	s_and_saveexec_b32 s8, s9
; %bb.988:                              ;   in Loop: Header=BB121_975 Depth=2
	ds_store_b64 v1, v[42:43] offset:41472
; %bb.989:                              ;   in Loop: Header=BB121_975 Depth=2
	s_or_b32 exec_lo, exec_lo, s8
	v_cmp_gt_u32_e32 vcc_lo, s7, v4
	s_wait_dscnt 0x0
	s_barrier_signal -1
	s_barrier_wait -1
	s_and_b32 s9, s5, vcc_lo
	s_delay_alu instid0(SALU_CYCLE_1)
	s_and_saveexec_b32 s8, s9
	s_cbranch_execz .LBB121_974
; %bb.990:                              ;   in Loop: Header=BB121_975 Depth=2
	ds_load_b64 v[38:39], v37
	ds_load_b64 v[44:45], v1 offset:41472
	s_wait_dscnt 0x0
	v_fmac_f64_e32 v[42:43], v[38:39], v[44:45]
	s_branch .LBB121_974
.LBB121_991:                            ;   in Loop: Header=BB121_3 Depth=1
	s_and_b32 vcc_lo, exec_lo, s98
	s_mov_b32 s6, -1
	s_cbranch_vccnz .LBB121_1003
; %bb.992:                              ;   in Loop: Header=BB121_3 Depth=1
	s_and_not1_b32 vcc_lo, exec_lo, s6
	s_cbranch_vccz .LBB121_1004
.LBB121_993:                            ;   in Loop: Header=BB121_3 Depth=1
	s_and_saveexec_b32 s6, s94
	s_cbranch_execz .LBB121_995
.LBB121_994:                            ;   in Loop: Header=BB121_3 Depth=1
	v_lshl_add_u64 v[36:37], v[12:13], 3, v[40:41]
	flat_store_b64 v[36:37], v[42:43]
.LBB121_995:                            ;   in Loop: Header=BB121_3 Depth=1
	s_wait_xcnt 0x0
	s_or_b32 exec_lo, exec_lo, s6
	global_wb scope:SCOPE_DEV
	s_wait_storecnt_dscnt 0x0
	global_inv scope:SCOPE_DEV
	s_wait_loadcnt 0x0
	s_barrier_signal -1
	s_barrier_wait -1
	s_and_saveexec_b32 s6, s56
	s_cbranch_execz .LBB121_2
; %bb.996:                              ;   in Loop: Header=BB121_3 Depth=1
	s_lshl_b64 s[8:9], s[66:67], 2
	s_delay_alu instid0(SALU_CYCLE_1)
	s_add_nc_u64 s[8:9], s[84:85], s[8:9]
	global_load_b32 v36, v1, s[8:9]
	s_wait_loadcnt 0x0
	v_add_nc_u32_e32 v36, 1, v36
	global_store_b32 v1, v36, s[8:9]
	s_branch .LBB121_2
.LBB121_997:                            ;   in Loop: Header=BB121_3 Depth=1
	v_readlane_b32 s6, v85, 30
	s_and_b32 s6, s6, exec_lo
	s_or_saveexec_b32 s7, s7
	v_mov_b64_e32 v[44:45], 0
	s_xor_b32 exec_lo, exec_lo, s7
	s_cbranch_execz .LBB121_16
.LBB121_998:                            ;   in Loop: Header=BB121_3 Depth=1
	v_lshl_add_u64 v[44:45], v[18:19], 3, v[42:43]
	s_or_b32 s6, s6, exec_lo
	flat_load_b64 v[44:45], v[44:45]
	s_wait_loadcnt_dscnt 0x0
	v_xor_b32_e32 v45, 0x80000000, v45
	s_or_b32 exec_lo, exec_lo, s7
	s_and_saveexec_b32 s7, s6
	s_cbranch_execnz .LBB121_17
	s_branch .LBB121_18
.LBB121_999:                            ;   in Loop: Header=BB121_3 Depth=1
	v_readlane_b32 s6, v85, 30
	s_and_b32 s6, s6, exec_lo
	s_or_saveexec_b32 s7, s7
	v_mov_b64_e32 v[44:45], 0
	s_xor_b32 exec_lo, exec_lo, s7
	s_cbranch_execz .LBB121_40
.LBB121_1000:                           ;   in Loop: Header=BB121_3 Depth=1
	v_lshl_add_u64 v[44:45], v[18:19], 3, v[42:43]
	s_or_b32 s6, s6, exec_lo
	flat_load_b64 v[44:45], v[44:45]
	s_wait_loadcnt_dscnt 0x0
	v_xor_b32_e32 v45, 0x80000000, v45
	s_or_b32 exec_lo, exec_lo, s7
	s_and_saveexec_b32 s7, s6
	s_cbranch_execnz .LBB121_41
	s_branch .LBB121_42
.LBB121_1001:                           ;   in Loop: Header=BB121_3 Depth=1
	s_or_b32 exec_lo, exec_lo, s95
	s_delay_alu instid0(SALU_CYCLE_1)
	s_and_b32 vcc_lo, exec_lo, s6
	s_cbranch_vccnz .LBB121_973
.LBB121_1002:                           ;   in Loop: Header=BB121_3 Depth=1
	s_delay_alu instid0(VALU_DEP_1)
	v_mov_b64_e32 v[42:43], v[38:39]
	s_and_saveexec_b32 s6, s94
	s_cbranch_execnz .LBB121_994
	s_branch .LBB121_995
.LBB121_1003:                           ;   in Loop: Header=BB121_3 Depth=1
	s_and_not1_b32 s7, s94, exec_lo
	s_and_b32 s8, s5, exec_lo
	s_delay_alu instid0(SALU_CYCLE_1)
	s_or_b32 s94, s7, s8
	s_cbranch_execnz .LBB121_993
.LBB121_1004:                           ;   in Loop: Header=BB121_3 Depth=1
	v_readlane_b32 s7, v86, 11
	s_and_not1_b32 s6, s94, exec_lo
	s_and_b32 s7, s7, exec_lo
	s_delay_alu instid0(SALU_CYCLE_1) | instskip(NEXT) | instid1(SALU_CYCLE_1)
	s_or_b32 s94, s6, s7
	s_and_saveexec_b32 s6, s94
	s_cbranch_execnz .LBB121_994
	s_branch .LBB121_995
.LBB121_1005:                           ;   in Loop: Header=BB121_3 Depth=1
	ds_load_b64 v[44:45], v54 offset:31680
	ds_load_b64 v[46:47], v53 offset:32744
	s_wait_dscnt 0x0
	v_fmac_f64_e32 v[42:43], v[44:45], v[46:47]
	s_or_b32 exec_lo, exec_lo, s7
	s_and_saveexec_b32 s7, s14
	s_cbranch_execz .LBB121_81
.LBB121_1006:                           ;   in Loop: Header=BB121_3 Depth=1
	ds_load_b64 v[44:45], v54 offset:32192
	ds_load_b64 v[46:47], v53 offset:32752
	s_wait_dscnt 0x0
	v_fmac_f64_e32 v[42:43], v[44:45], v[46:47]
	s_or_b32 exec_lo, exec_lo, s7
	s_and_saveexec_b32 s7, s1
	s_cbranch_execnz .LBB121_82
	s_branch .LBB121_83
.LBB121_1007:                           ;   in Loop: Header=BB121_3 Depth=1
	ds_load_b64 v[44:45], v58 offset:29568
	ds_load_b64 v[46:47], v57 offset:32712
	s_wait_dscnt 0x0
	v_fmac_f64_e32 v[42:43], v[44:45], v[46:47]
	s_or_b32 exec_lo, exec_lo, s7
	s_and_saveexec_b32 s7, s16
	s_cbranch_execz .LBB121_119
.LBB121_1008:                           ;   in Loop: Header=BB121_3 Depth=1
	ds_load_b64 v[44:45], v58 offset:30080
	ds_load_b64 v[46:47], v57 offset:32720
	s_wait_dscnt 0x0
	v_fmac_f64_e32 v[42:43], v[44:45], v[46:47]
	s_or_b32 exec_lo, exec_lo, s7
	s_and_saveexec_b32 s7, s17
	s_cbranch_execz .LBB121_120
.LBB121_1009:                           ;   in Loop: Header=BB121_3 Depth=1
	ds_load_b64 v[44:45], v58 offset:30592
	ds_load_b64 v[46:47], v57 offset:32728
	s_wait_dscnt 0x0
	v_fmac_f64_e32 v[42:43], v[44:45], v[46:47]
	s_or_b32 exec_lo, exec_lo, s7
	s_and_saveexec_b32 s7, s18
	s_cbranch_execz .LBB121_121
.LBB121_1010:                           ;   in Loop: Header=BB121_3 Depth=1
	ds_load_b64 v[44:45], v58 offset:31104
	ds_load_b64 v[46:47], v57 offset:32736
	s_wait_dscnt 0x0
	v_fmac_f64_e32 v[42:43], v[44:45], v[46:47]
	s_or_b32 exec_lo, exec_lo, s7
	s_and_saveexec_b32 s7, s19
	s_cbranch_execz .LBB121_122
.LBB121_1011:                           ;   in Loop: Header=BB121_3 Depth=1
	ds_load_b64 v[44:45], v58 offset:31616
	ds_load_b64 v[46:47], v57 offset:32744
	s_wait_dscnt 0x0
	v_fmac_f64_e32 v[42:43], v[44:45], v[46:47]
	s_or_b32 exec_lo, exec_lo, s7
	s_and_saveexec_b32 s7, s2
	s_cbranch_execz .LBB121_123
.LBB121_1012:                           ;   in Loop: Header=BB121_3 Depth=1
	ds_load_b64 v[44:45], v58 offset:32128
	ds_load_b64 v[46:47], v57 offset:32752
	s_wait_dscnt 0x0
	v_fmac_f64_e32 v[42:43], v[44:45], v[46:47]
	s_or_b32 exec_lo, exec_lo, s7
	s_and_saveexec_b32 s7, s14
	s_cbranch_execnz .LBB121_124
	s_branch .LBB121_125
.LBB121_1013:                           ;   in Loop: Header=BB121_3 Depth=1
	ds_load_b64 v[44:45], v54 offset:27520
	ds_load_b64 v[46:47], v53 offset:28584
	s_wait_dscnt 0x0
	v_fmac_f64_e32 v[42:43], v[44:45], v[46:47]
	s_or_b32 exec_lo, exec_lo, s7
	s_and_saveexec_b32 s7, s14
	s_cbranch_execz .LBB121_177
.LBB121_1014:                           ;   in Loop: Header=BB121_3 Depth=1
	ds_load_b64 v[44:45], v54 offset:28032
	ds_load_b64 v[46:47], v53 offset:28592
	s_wait_dscnt 0x0
	v_fmac_f64_e32 v[42:43], v[44:45], v[46:47]
	s_or_b32 exec_lo, exec_lo, s7
	s_and_saveexec_b32 s7, s1
	s_cbranch_execnz .LBB121_178
	s_branch .LBB121_179
.LBB121_1015:                           ;   in Loop: Header=BB121_3 Depth=1
	ds_load_b64 v[44:45], v62 offset:30464
	ds_load_b64 v[46:47], v61 offset:32728
	s_wait_dscnt 0x0
	v_fmac_f64_e32 v[42:43], v[44:45], v[46:47]
	s_or_b32 exec_lo, exec_lo, s7
	s_and_saveexec_b32 s7, s3
	s_cbranch_execz .LBB121_235
.LBB121_1016:                           ;   in Loop: Header=BB121_3 Depth=1
	ds_load_b64 v[44:45], v62 offset:30976
	ds_load_b64 v[46:47], v61 offset:32736
	s_wait_dscnt 0x0
	v_fmac_f64_e32 v[42:43], v[44:45], v[46:47]
	s_or_b32 exec_lo, exec_lo, s7
	s_and_saveexec_b32 s7, s16
	s_cbranch_execz .LBB121_236
.LBB121_1017:                           ;   in Loop: Header=BB121_3 Depth=1
	ds_load_b64 v[44:45], v62 offset:31488
	ds_load_b64 v[46:47], v61 offset:32744
	s_wait_dscnt 0x0
	v_fmac_f64_e32 v[42:43], v[44:45], v[46:47]
	s_or_b32 exec_lo, exec_lo, s7
	s_and_saveexec_b32 s7, s18
	s_cbranch_execz .LBB121_237
.LBB121_1018:                           ;   in Loop: Header=BB121_3 Depth=1
	ds_load_b64 v[44:45], v62 offset:32000
	ds_load_b64 v[46:47], v61 offset:32752
	s_wait_dscnt 0x0
	v_fmac_f64_e32 v[42:43], v[44:45], v[46:47]
	s_or_b32 exec_lo, exec_lo, s7
	s_and_saveexec_b32 s7, s2
	s_cbranch_execnz .LBB121_238
	s_branch .LBB121_239
.LBB121_1019:                           ;   in Loop: Header=BB121_3 Depth=1
	ds_load_b64 v[44:45], v54 offset:23360
	ds_load_b64 v[46:47], v53 offset:24424
	s_wait_dscnt 0x0
	v_fmac_f64_e32 v[42:43], v[44:45], v[46:47]
	s_or_b32 exec_lo, exec_lo, s7
	s_and_saveexec_b32 s7, s14
	s_cbranch_execz .LBB121_323
.LBB121_1020:                           ;   in Loop: Header=BB121_3 Depth=1
	ds_load_b64 v[44:45], v54 offset:23872
	ds_load_b64 v[46:47], v53 offset:24432
	s_wait_dscnt 0x0
	v_fmac_f64_e32 v[42:43], v[44:45], v[46:47]
	s_or_b32 exec_lo, exec_lo, s7
	s_and_saveexec_b32 s7, s1
	s_cbranch_execnz .LBB121_324
	s_branch .LBB121_325
.LBB121_1021:                           ;   in Loop: Header=BB121_3 Depth=1
	ds_load_b64 v[44:45], v58 offset:21248
	ds_load_b64 v[46:47], v57 offset:24392
	s_wait_dscnt 0x0
	v_fmac_f64_e32 v[42:43], v[44:45], v[46:47]
	s_or_b32 exec_lo, exec_lo, s7
	s_and_saveexec_b32 s7, s16
	s_cbranch_execz .LBB121_361
.LBB121_1022:                           ;   in Loop: Header=BB121_3 Depth=1
	ds_load_b64 v[44:45], v58 offset:21760
	ds_load_b64 v[46:47], v57 offset:24400
	s_wait_dscnt 0x0
	v_fmac_f64_e32 v[42:43], v[44:45], v[46:47]
	s_or_b32 exec_lo, exec_lo, s7
	s_and_saveexec_b32 s7, s17
	s_cbranch_execz .LBB121_362
.LBB121_1023:                           ;   in Loop: Header=BB121_3 Depth=1
	ds_load_b64 v[44:45], v58 offset:22272
	ds_load_b64 v[46:47], v57 offset:24408
	s_wait_dscnt 0x0
	v_fmac_f64_e32 v[42:43], v[44:45], v[46:47]
	s_or_b32 exec_lo, exec_lo, s7
	s_and_saveexec_b32 s7, s18
	s_cbranch_execz .LBB121_363
.LBB121_1024:                           ;   in Loop: Header=BB121_3 Depth=1
	ds_load_b64 v[44:45], v58 offset:22784
	ds_load_b64 v[46:47], v57 offset:24416
	s_wait_dscnt 0x0
	v_fmac_f64_e32 v[42:43], v[44:45], v[46:47]
	s_or_b32 exec_lo, exec_lo, s7
	s_and_saveexec_b32 s7, s19
	s_cbranch_execz .LBB121_364
.LBB121_1025:                           ;   in Loop: Header=BB121_3 Depth=1
	ds_load_b64 v[44:45], v58 offset:23296
	ds_load_b64 v[46:47], v57 offset:24424
	s_wait_dscnt 0x0
	v_fmac_f64_e32 v[42:43], v[44:45], v[46:47]
	s_or_b32 exec_lo, exec_lo, s7
	s_and_saveexec_b32 s7, s2
	s_cbranch_execz .LBB121_365
.LBB121_1026:                           ;   in Loop: Header=BB121_3 Depth=1
	ds_load_b64 v[44:45], v58 offset:23808
	ds_load_b64 v[46:47], v57 offset:24432
	s_wait_dscnt 0x0
	v_fmac_f64_e32 v[42:43], v[44:45], v[46:47]
	s_or_b32 exec_lo, exec_lo, s7
	s_and_saveexec_b32 s7, s14
	s_cbranch_execnz .LBB121_366
	s_branch .LBB121_367
.LBB121_1027:                           ;   in Loop: Header=BB121_3 Depth=1
	ds_load_b64 v[44:45], v54 offset:19200
	ds_load_b64 v[46:47], v53 offset:20264
	s_wait_dscnt 0x0
	v_fmac_f64_e32 v[42:43], v[44:45], v[46:47]
	s_or_b32 exec_lo, exec_lo, s7
	s_and_saveexec_b32 s7, s14
	s_cbranch_execz .LBB121_419
.LBB121_1028:                           ;   in Loop: Header=BB121_3 Depth=1
	ds_load_b64 v[44:45], v54 offset:19712
	ds_load_b64 v[46:47], v53 offset:20272
	s_wait_dscnt 0x0
	v_fmac_f64_e32 v[42:43], v[44:45], v[46:47]
	s_or_b32 exec_lo, exec_lo, s7
	s_and_saveexec_b32 s7, s1
	s_cbranch_execnz .LBB121_420
	s_branch .LBB121_421
.LBB121_1029:                           ;   in Loop: Header=BB121_3 Depth=1
	ds_load_b64 v[44:45], v66 offset:31232
	ds_load_b64 v[46:47], v67 offset:32744
	s_wait_dscnt 0x0
	v_fmac_f64_e32 v[42:43], v[44:45], v[46:47]
	s_or_b32 exec_lo, exec_lo, s6
	s_and_saveexec_b32 s6, s3
	s_cbranch_execz .LBB121_513
.LBB121_1030:                           ;   in Loop: Header=BB121_3 Depth=1
	ds_load_b64 v[44:45], v66 offset:31744
	ds_load_b64 v[46:47], v67 offset:32752
	s_wait_dscnt 0x0
	v_fmac_f64_e32 v[42:43], v[44:45], v[46:47]
	s_or_b32 exec_lo, exec_lo, s6
	s_and_saveexec_b32 s6, s18
	s_delay_alu instid0(SALU_CYCLE_1)
	s_xor_b32 s6, exec_lo, s6
	s_cbranch_execnz .LBB121_514
	s_branch .LBB121_515
.LBB121_1031:                           ;   in Loop: Header=BB121_3 Depth=1
	ds_load_b64 v[44:45], v54 offset:15040
	ds_load_b64 v[46:47], v53 offset:16104
	s_wait_dscnt 0x0
	v_fmac_f64_e32 v[42:43], v[44:45], v[46:47]
	s_or_b32 exec_lo, exec_lo, s7
	s_and_saveexec_b32 s7, s14
	s_cbranch_execz .LBB121_555
.LBB121_1032:                           ;   in Loop: Header=BB121_3 Depth=1
	ds_load_b64 v[44:45], v54 offset:15552
	ds_load_b64 v[46:47], v53 offset:16112
	s_wait_dscnt 0x0
	v_fmac_f64_e32 v[42:43], v[44:45], v[46:47]
	s_or_b32 exec_lo, exec_lo, s7
	s_and_saveexec_b32 s7, s1
	s_cbranch_execnz .LBB121_556
	s_branch .LBB121_557
.LBB121_1033:                           ;   in Loop: Header=BB121_3 Depth=1
	ds_load_b64 v[44:45], v58 offset:12928
	ds_load_b64 v[46:47], v57 offset:16072
	s_wait_dscnt 0x0
	v_fmac_f64_e32 v[42:43], v[44:45], v[46:47]
	s_or_b32 exec_lo, exec_lo, s7
	s_and_saveexec_b32 s7, s16
	s_cbranch_execz .LBB121_593
.LBB121_1034:                           ;   in Loop: Header=BB121_3 Depth=1
	ds_load_b64 v[44:45], v58 offset:13440
	ds_load_b64 v[46:47], v57 offset:16080
	s_wait_dscnt 0x0
	v_fmac_f64_e32 v[42:43], v[44:45], v[46:47]
	s_or_b32 exec_lo, exec_lo, s7
	s_and_saveexec_b32 s7, s17
	s_cbranch_execz .LBB121_594
.LBB121_1035:                           ;   in Loop: Header=BB121_3 Depth=1
	ds_load_b64 v[44:45], v58 offset:13952
	ds_load_b64 v[46:47], v57 offset:16088
	s_wait_dscnt 0x0
	v_fmac_f64_e32 v[42:43], v[44:45], v[46:47]
	s_or_b32 exec_lo, exec_lo, s7
	s_and_saveexec_b32 s7, s18
	s_cbranch_execz .LBB121_595
.LBB121_1036:                           ;   in Loop: Header=BB121_3 Depth=1
	ds_load_b64 v[44:45], v58 offset:14464
	ds_load_b64 v[46:47], v57 offset:16096
	s_wait_dscnt 0x0
	v_fmac_f64_e32 v[42:43], v[44:45], v[46:47]
	s_or_b32 exec_lo, exec_lo, s7
	s_and_saveexec_b32 s7, s19
	s_cbranch_execz .LBB121_596
.LBB121_1037:                           ;   in Loop: Header=BB121_3 Depth=1
	ds_load_b64 v[44:45], v58 offset:14976
	ds_load_b64 v[46:47], v57 offset:16104
	s_wait_dscnt 0x0
	v_fmac_f64_e32 v[42:43], v[44:45], v[46:47]
	s_or_b32 exec_lo, exec_lo, s7
	s_and_saveexec_b32 s7, s2
	s_cbranch_execz .LBB121_597
.LBB121_1038:                           ;   in Loop: Header=BB121_3 Depth=1
	ds_load_b64 v[44:45], v58 offset:15488
	ds_load_b64 v[46:47], v57 offset:16112
	s_wait_dscnt 0x0
	v_fmac_f64_e32 v[42:43], v[44:45], v[46:47]
	s_or_b32 exec_lo, exec_lo, s7
	s_and_saveexec_b32 s7, s14
	s_cbranch_execnz .LBB121_598
	s_branch .LBB121_599
.LBB121_1039:                           ;   in Loop: Header=BB121_3 Depth=1
	ds_load_b64 v[44:45], v54 offset:10880
	ds_load_b64 v[46:47], v53 offset:11944
	s_wait_dscnt 0x0
	v_fmac_f64_e32 v[42:43], v[44:45], v[46:47]
	s_or_b32 exec_lo, exec_lo, s7
	s_and_saveexec_b32 s7, s14
	s_cbranch_execz .LBB121_651
.LBB121_1040:                           ;   in Loop: Header=BB121_3 Depth=1
	ds_load_b64 v[44:45], v54 offset:11392
	ds_load_b64 v[46:47], v53 offset:11952
	s_wait_dscnt 0x0
	v_fmac_f64_e32 v[42:43], v[44:45], v[46:47]
	s_or_b32 exec_lo, exec_lo, s7
	s_and_saveexec_b32 s7, s1
	s_cbranch_execnz .LBB121_652
	s_branch .LBB121_653
.LBB121_1041:                           ;   in Loop: Header=BB121_3 Depth=1
	ds_load_b64 v[44:45], v62 offset:13824
	ds_load_b64 v[46:47], v61 offset:16088
	s_wait_dscnt 0x0
	v_fmac_f64_e32 v[42:43], v[44:45], v[46:47]
	s_or_b32 exec_lo, exec_lo, s7
	s_and_saveexec_b32 s7, s3
	s_cbranch_execz .LBB121_709
.LBB121_1042:                           ;   in Loop: Header=BB121_3 Depth=1
	ds_load_b64 v[44:45], v62 offset:14336
	ds_load_b64 v[46:47], v61 offset:16096
	s_wait_dscnt 0x0
	v_fmac_f64_e32 v[42:43], v[44:45], v[46:47]
	s_or_b32 exec_lo, exec_lo, s7
	s_and_saveexec_b32 s7, s16
	s_cbranch_execz .LBB121_710
.LBB121_1043:                           ;   in Loop: Header=BB121_3 Depth=1
	ds_load_b64 v[44:45], v62 offset:14848
	ds_load_b64 v[46:47], v61 offset:16104
	s_wait_dscnt 0x0
	v_fmac_f64_e32 v[42:43], v[44:45], v[46:47]
	s_or_b32 exec_lo, exec_lo, s7
	s_and_saveexec_b32 s7, s18
	s_cbranch_execz .LBB121_711
.LBB121_1044:                           ;   in Loop: Header=BB121_3 Depth=1
	ds_load_b64 v[44:45], v62 offset:15360
	ds_load_b64 v[46:47], v61 offset:16112
	s_wait_dscnt 0x0
	v_fmac_f64_e32 v[42:43], v[44:45], v[46:47]
	s_or_b32 exec_lo, exec_lo, s7
	s_and_saveexec_b32 s7, s2
	s_cbranch_execnz .LBB121_712
	s_branch .LBB121_713
.LBB121_1045:                           ;   in Loop: Header=BB121_3 Depth=1
	ds_load_b64 v[44:45], v54 offset:6720
	ds_load_b64 v[46:47], v53 offset:7784
	s_wait_dscnt 0x0
	v_fmac_f64_e32 v[42:43], v[44:45], v[46:47]
	s_or_b32 exec_lo, exec_lo, s7
	s_and_saveexec_b32 s7, s14
	s_cbranch_execz .LBB121_797
.LBB121_1046:                           ;   in Loop: Header=BB121_3 Depth=1
	ds_load_b64 v[44:45], v54 offset:7232
	ds_load_b64 v[46:47], v53 offset:7792
	s_wait_dscnt 0x0
	v_fmac_f64_e32 v[42:43], v[44:45], v[46:47]
	s_or_b32 exec_lo, exec_lo, s7
	s_and_saveexec_b32 s7, s1
	s_cbranch_execnz .LBB121_798
	s_branch .LBB121_799
.LBB121_1047:                           ;   in Loop: Header=BB121_3 Depth=1
	ds_load_b64 v[44:45], v58 offset:4608
	ds_load_b64 v[46:47], v57 offset:7752
	s_wait_dscnt 0x0
	v_fmac_f64_e32 v[42:43], v[44:45], v[46:47]
	s_or_b32 exec_lo, exec_lo, s7
	s_and_saveexec_b32 s7, s16
	s_cbranch_execz .LBB121_835
.LBB121_1048:                           ;   in Loop: Header=BB121_3 Depth=1
	ds_load_b64 v[44:45], v58 offset:5120
	ds_load_b64 v[46:47], v57 offset:7760
	s_wait_dscnt 0x0
	v_fmac_f64_e32 v[42:43], v[44:45], v[46:47]
	s_or_b32 exec_lo, exec_lo, s7
	s_and_saveexec_b32 s7, s17
	s_cbranch_execz .LBB121_836
.LBB121_1049:                           ;   in Loop: Header=BB121_3 Depth=1
	ds_load_b64 v[44:45], v58 offset:5632
	ds_load_b64 v[46:47], v57 offset:7768
	s_wait_dscnt 0x0
	v_fmac_f64_e32 v[42:43], v[44:45], v[46:47]
	s_or_b32 exec_lo, exec_lo, s7
	s_and_saveexec_b32 s7, s18
	s_cbranch_execz .LBB121_837
.LBB121_1050:                           ;   in Loop: Header=BB121_3 Depth=1
	ds_load_b64 v[44:45], v58 offset:6144
	ds_load_b64 v[46:47], v57 offset:7776
	s_wait_dscnt 0x0
	v_fmac_f64_e32 v[42:43], v[44:45], v[46:47]
	s_or_b32 exec_lo, exec_lo, s7
	s_and_saveexec_b32 s7, s19
	s_cbranch_execz .LBB121_838
.LBB121_1051:                           ;   in Loop: Header=BB121_3 Depth=1
	ds_load_b64 v[44:45], v58 offset:6656
	ds_load_b64 v[46:47], v57 offset:7784
	s_wait_dscnt 0x0
	v_fmac_f64_e32 v[42:43], v[44:45], v[46:47]
	s_or_b32 exec_lo, exec_lo, s7
	s_and_saveexec_b32 s7, s2
	s_cbranch_execz .LBB121_839
.LBB121_1052:                           ;   in Loop: Header=BB121_3 Depth=1
	ds_load_b64 v[44:45], v58 offset:7168
	ds_load_b64 v[46:47], v57 offset:7792
	s_wait_dscnt 0x0
	v_fmac_f64_e32 v[42:43], v[44:45], v[46:47]
	s_or_b32 exec_lo, exec_lo, s7
	s_and_saveexec_b32 s7, s14
	s_cbranch_execnz .LBB121_840
	s_branch .LBB121_841
.LBB121_1053:                           ;   in Loop: Header=BB121_3 Depth=1
	ds_load_b64 v[44:45], v54 offset:2560
	ds_load_b64 v[46:47], v53 offset:3624
	s_wait_dscnt 0x0
	v_fmac_f64_e32 v[42:43], v[44:45], v[46:47]
	s_or_b32 exec_lo, exec_lo, s7
	s_and_saveexec_b32 s7, s14
	s_cbranch_execz .LBB121_893
.LBB121_1054:                           ;   in Loop: Header=BB121_3 Depth=1
	ds_load_b64 v[44:45], v54 offset:3072
	ds_load_b64 v[46:47], v53 offset:3632
	s_wait_dscnt 0x0
	v_fmac_f64_e32 v[42:43], v[44:45], v[46:47]
	s_or_b32 exec_lo, exec_lo, s7
	s_and_saveexec_b32 s7, s1
	s_cbranch_execnz .LBB121_894
	s_branch .LBB121_895
.LBB121_1055:
	s_endpgm
	.section	.rodata,"a",@progbits
	.p2align	6, 0x0
	.amdhsa_kernel _ZL19rocblas_trsv_deviceILi64ELi16ELb0ELb0ELb0ELb1EdPKdPKS1_PKPdEviT7_lllT6_T8_lllPii
		.amdhsa_group_segment_fixed_size 41480
		.amdhsa_private_segment_fixed_size 0
		.amdhsa_kernarg_size 352
		.amdhsa_user_sgpr_count 2
		.amdhsa_user_sgpr_dispatch_ptr 0
		.amdhsa_user_sgpr_queue_ptr 0
		.amdhsa_user_sgpr_kernarg_segment_ptr 1
		.amdhsa_user_sgpr_dispatch_id 0
		.amdhsa_user_sgpr_kernarg_preload_length 0
		.amdhsa_user_sgpr_kernarg_preload_offset 0
		.amdhsa_user_sgpr_private_segment_size 0
		.amdhsa_wavefront_size32 1
		.amdhsa_uses_dynamic_stack 0
		.amdhsa_enable_private_segment 0
		.amdhsa_system_sgpr_workgroup_id_x 1
		.amdhsa_system_sgpr_workgroup_id_y 0
		.amdhsa_system_sgpr_workgroup_id_z 1
		.amdhsa_system_sgpr_workgroup_info 0
		.amdhsa_system_vgpr_workitem_id 1
		.amdhsa_next_free_vgpr 87
		.amdhsa_next_free_sgpr 105
		.amdhsa_named_barrier_count 0
		.amdhsa_reserve_vcc 1
		.amdhsa_float_round_mode_32 0
		.amdhsa_float_round_mode_16_64 0
		.amdhsa_float_denorm_mode_32 3
		.amdhsa_float_denorm_mode_16_64 3
		.amdhsa_fp16_overflow 0
		.amdhsa_memory_ordered 1
		.amdhsa_forward_progress 1
		.amdhsa_inst_pref_size 227
		.amdhsa_round_robin_scheduling 0
		.amdhsa_exception_fp_ieee_invalid_op 0
		.amdhsa_exception_fp_denorm_src 0
		.amdhsa_exception_fp_ieee_div_zero 0
		.amdhsa_exception_fp_ieee_overflow 0
		.amdhsa_exception_fp_ieee_underflow 0
		.amdhsa_exception_fp_ieee_inexact 0
		.amdhsa_exception_int_div_zero 0
	.end_amdhsa_kernel
	.section	.text._ZL19rocblas_trsv_deviceILi64ELi16ELb0ELb0ELb0ELb1EdPKdPKS1_PKPdEviT7_lllT6_T8_lllPii,"axG",@progbits,_ZL19rocblas_trsv_deviceILi64ELi16ELb0ELb0ELb0ELb1EdPKdPKS1_PKPdEviT7_lllT6_T8_lllPii,comdat
.Lfunc_end121:
	.size	_ZL19rocblas_trsv_deviceILi64ELi16ELb0ELb0ELb0ELb1EdPKdPKS1_PKPdEviT7_lllT6_T8_lllPii, .Lfunc_end121-_ZL19rocblas_trsv_deviceILi64ELi16ELb0ELb0ELb0ELb1EdPKdPKS1_PKPdEviT7_lllT6_T8_lllPii
                                        ; -- End function
	.set _ZL19rocblas_trsv_deviceILi64ELi16ELb0ELb0ELb0ELb1EdPKdPKS1_PKPdEviT7_lllT6_T8_lllPii.num_vgpr, 87
	.set _ZL19rocblas_trsv_deviceILi64ELi16ELb0ELb0ELb0ELb1EdPKdPKS1_PKPdEviT7_lllT6_T8_lllPii.num_agpr, 0
	.set _ZL19rocblas_trsv_deviceILi64ELi16ELb0ELb0ELb0ELb1EdPKdPKS1_PKPdEviT7_lllT6_T8_lllPii.numbered_sgpr, 105
	.set _ZL19rocblas_trsv_deviceILi64ELi16ELb0ELb0ELb0ELb1EdPKdPKS1_PKPdEviT7_lllT6_T8_lllPii.num_named_barrier, 0
	.set _ZL19rocblas_trsv_deviceILi64ELi16ELb0ELb0ELb0ELb1EdPKdPKS1_PKPdEviT7_lllT6_T8_lllPii.private_seg_size, 0
	.set _ZL19rocblas_trsv_deviceILi64ELi16ELb0ELb0ELb0ELb1EdPKdPKS1_PKPdEviT7_lllT6_T8_lllPii.uses_vcc, 1
	.set _ZL19rocblas_trsv_deviceILi64ELi16ELb0ELb0ELb0ELb1EdPKdPKS1_PKPdEviT7_lllT6_T8_lllPii.uses_flat_scratch, 0
	.set _ZL19rocblas_trsv_deviceILi64ELi16ELb0ELb0ELb0ELb1EdPKdPKS1_PKPdEviT7_lllT6_T8_lllPii.has_dyn_sized_stack, 0
	.set _ZL19rocblas_trsv_deviceILi64ELi16ELb0ELb0ELb0ELb1EdPKdPKS1_PKPdEviT7_lllT6_T8_lllPii.has_recursion, 0
	.set _ZL19rocblas_trsv_deviceILi64ELi16ELb0ELb0ELb0ELb1EdPKdPKS1_PKPdEviT7_lllT6_T8_lllPii.has_indirect_call, 0
	.section	.AMDGPU.csdata,"",@progbits
; Kernel info:
; codeLenInByte = 29052
; TotalNumSgprs: 107
; NumVgprs: 87
; ScratchSize: 0
; MemoryBound: 0
; FloatMode: 240
; IeeeMode: 1
; LDSByteSize: 41480 bytes/workgroup (compile time only)
; SGPRBlocks: 0
; VGPRBlocks: 5
; NumSGPRsForWavesPerEU: 107
; NumVGPRsForWavesPerEU: 87
; NamedBarCnt: 0
; Occupancy: 10
; WaveLimiterHint : 1
; COMPUTE_PGM_RSRC2:SCRATCH_EN: 0
; COMPUTE_PGM_RSRC2:USER_SGPR: 2
; COMPUTE_PGM_RSRC2:TRAP_HANDLER: 0
; COMPUTE_PGM_RSRC2:TGID_X_EN: 1
; COMPUTE_PGM_RSRC2:TGID_Y_EN: 0
; COMPUTE_PGM_RSRC2:TGID_Z_EN: 1
; COMPUTE_PGM_RSRC2:TIDIG_COMP_CNT: 1
	.section	.text._ZL19rocblas_trsv_deviceILi64ELi16ELb0ELb1ELb0ELb1EdPKdPKS1_PKPdEviT7_lllT6_T8_lllPii,"axG",@progbits,_ZL19rocblas_trsv_deviceILi64ELi16ELb0ELb1ELb0ELb1EdPKdPKS1_PKPdEviT7_lllT6_T8_lllPii,comdat
	.globl	_ZL19rocblas_trsv_deviceILi64ELi16ELb0ELb1ELb0ELb1EdPKdPKS1_PKPdEviT7_lllT6_T8_lllPii ; -- Begin function _ZL19rocblas_trsv_deviceILi64ELi16ELb0ELb1ELb0ELb1EdPKdPKS1_PKPdEviT7_lllT6_T8_lllPii
	.p2align	8
	.type	_ZL19rocblas_trsv_deviceILi64ELi16ELb0ELb1ELb0ELb1EdPKdPKS1_PKPdEviT7_lllT6_T8_lllPii,@function
_ZL19rocblas_trsv_deviceILi64ELi16ELb0ELb1ELb0ELb1EdPKdPKS1_PKPdEviT7_lllT6_T8_lllPii: ; @_ZL19rocblas_trsv_deviceILi64ELi16ELb0ELb1ELb0ELb1EdPKdPKS1_PKPdEviT7_lllT6_T8_lllPii
; %bb.0:
	s_load_b32 s6, s[0:1], 0x58
	s_bfe_u32 s2, ttmp6, 0x40014
	s_lshr_b32 s3, ttmp7, 16
	s_add_co_i32 s2, s2, 1
	s_bfe_u32 s5, ttmp6, 0x40008
	s_mul_i32 s4, s3, s2
	s_getreg_b32 s2, hwreg(HW_REG_IB_STS2, 6, 4)
	s_add_co_i32 s5, s5, s4
	s_cmp_eq_u32 s2, 0
	s_mov_b32 s63, 0
	s_cselect_b32 s62, s3, s5
                                        ; implicit-def: $vgpr108 : SGPR spill to VGPR lane
	s_wait_kmcnt 0x0
	s_cmp_ge_u32 s62, s6
	v_writelane_b32 v108, s6, 0
	s_cbranch_scc1 .LBB122_1117
; %bb.1:
	s_clause 0x3
	s_load_b32 s3, s[0:1], 0x6c
	s_load_b32 s83, s[0:1], 0x0
	s_load_b64 s[12:13], s[0:1], 0x18
	s_load_b256 s[64:71], s[0:1], 0x28
	s_bfe_u32 s5, ttmp6, 0x4000c
	s_and_b32 s4, ttmp6, 15
	s_add_co_i32 s5, s5, 1
	s_clause 0x1
	s_load_b64 s[76:77], s[0:1], 0x50
	s_load_b128 s[72:75], s[0:1], 0x8
	s_mul_i32 s5, ttmp9, s5
	v_and_b32_e32 v8, 0x3ff, v0
	s_add_co_i32 s4, s4, s5
	s_cmp_eq_u32 s2, 0
	v_bfe_u32 v4, v0, 10, 10
	s_cselect_b32 s84, ttmp9, s4
	v_dual_mov_b32 v7, 0 :: v_dual_lshlrev_b32 v1, 6, v8
	v_cmp_gt_u32_e64 s5, 2, v8
	s_delay_alu instid0(VALU_DEP_3)
	v_add_nc_u32_e32 v2, 16, v4
	v_lshl_add_u32 v31, v4, 6, v8
	s_wait_kmcnt 0x0
	s_and_b32 s0, s3, 0xffff
	s_add_co_i32 s1, s83, -1
	s_ashr_i32 s2, s83, 31
	s_ashr_i32 s3, s1, 31
	s_lshr_b32 s2, s2, 26
	s_lshr_b32 s3, s3, 26
	s_add_co_i32 s2, s83, s2
	s_add_co_i32 s1, s1, s3
	s_and_not1_b32 s2, s2, 63
	s_ashr_i32 s1, s1, 6
	s_sub_co_i32 s18, s83, s2
	s_cmp_eq_u32 s1, s84
	v_sub_co_u32 v9, s3, s84, 1
	s_cselect_b32 s1, -1, 0
	s_cmp_lg_u32 s18, 0
	v_mov_b32_e32 v11, v7
	s_cselect_b32 s2, -1, 0
	s_lshl_b32 s14, s84, 6
	s_and_b32 s11, s2, s1
	v_dual_add_nc_u32 v3, s14, v4 :: v_dual_add_nc_u32 v5, v4, v1
	v_dual_add_nc_u32 v16, s14, v8 :: v_dual_add_nc_u32 v6, v2, v1
	v_mad_u32_u24 v10, v4, s0, v8
	s_xor_b32 s0, s3, -1
	s_xor_b32 s86, s11, -1
	s_cmp_lt_i32 s84, 5
	v_subrev_nc_u32_e32 v12, 64, v3
	s_cselect_b32 vcc_lo, -1, 0
	v_dual_cndmask_b32 v28, v31, v5 :: v_dual_ashrrev_i32 v17, 31, v16
	v_lshl_add_u32 v18, v2, 6, v8
	v_lshrrev_b32_e32 v5, 1, v31
	s_or_b32 vcc_lo, vcc_lo, s11
	v_ashrrev_i32_e32 v13, 31, v12
	s_delay_alu instid0(VALU_DEP_3) | instskip(NEXT) | instid1(VALU_DEP_3)
	v_dual_cndmask_b32 v29, v18, v6, vcc_lo :: v_dual_bitop2_b32 v19, 1, v0 bitop3:0x40
	v_dual_lshrrev_b32 v6, 10, v0 :: v_dual_lshlrev_b32 v18, 9, v5
	s_add_nc_u64 s[2:3], s[12:13], 1
	s_delay_alu instid0(VALU_DEP_2) | instskip(SKIP_1) | instid1(VALU_DEP_2)
	v_lshlrev_b32_e32 v54, 3, v19
	s_ashr_i32 s15, s14, 31
	v_bitop3_b32 v44, v0, v6, 0x3ff bitop3:0xa8
	v_sub_nc_u32_e32 v53, 0, v18
	s_mul_u64 s[16:17], s[2:3], s[14:15]
	v_lshl_add_u32 v52, v5, 3, 0x8000
	v_cmp_gt_u32_e64 s1, 4, v31
	v_cmp_eq_u32_e64 s3, 1, v19
	v_dual_lshlrev_b32 v55, 3, v8 :: v_dual_lshrrev_b32 v5, 2, v31
	v_cmp_eq_u32_e64 s4, 0, v19
	v_dual_sub_nc_u32 v56, v54, v18 :: v_dual_bitop2_b32 v6, 3, v0 bitop3:0x40
	v_cmp_eq_u32_e64 s2, 0, v4
	s_and_b32 s88, s3, s1
	s_and_b32 s89, s4, s1
	v_dual_lshlrev_b32 v18, 9, v5 :: v_dual_lshlrev_b32 v60, 3, v6
	v_cmp_gt_u32_e64 s3, 16, v31
	v_cmp_eq_u32_e64 s4, 3, v6
	s_and_b32 s90, s2, s5
	v_lshl_add_u32 v58, v5, 3, 0x8000
	v_dual_sub_nc_u32 v59, 0, v18 :: v_dual_lshlrev_b32 v5, 6, v31
	v_cmp_ne_u32_e64 s5, 3, v6
	s_and_b32 s91, s4, s3
	v_cmp_eq_u32_e64 s4, 2, v6
	v_cmp_gt_u32_e64 s6, 2, v6
	v_sub_nc_u32_e32 v63, v60, v18
	s_and_b32 s92, s5, s3
	v_cmp_eq_u32_e64 s5, 0, v6
	s_and_b32 s93, s4, s3
	v_cmp_gt_u32_e64 s4, 4, v8
	v_and_b32_e32 v5, 0xfffffe00, v5
	v_and_b32_e32 v18, 7, v0
	s_and_b32 s94, s6, s3
	s_and_b32 s96, s5, s3
	;; [unrolled: 1-line block ×3, first 2 shown]
	v_cmp_gt_u32_e64 s4, 64, v31
	v_sub_nc_u32_e32 v67, 0, v5
	v_cmp_eq_u32_e64 s5, 7, v18
	v_cmp_ne_u32_e64 s6, 7, v18
	v_cmp_eq_u32_e64 s8, 1, v6
	v_dual_lshlrev_b32 v68, 3, v18 :: v_dual_bitop2_b32 v6, -8, v31 bitop3:0x40
	s_and_b32 s98, s5, s4
	s_and_b32 s99, s6, s4
	v_cmp_gt_u32_e64 s5, 6, v18
	v_cmp_eq_u32_e64 s6, 5, v18
	s_and_b32 s95, s8, s3
	v_cmp_eq_u32_e64 s8, 6, v18
	v_add_nc_u32_e32 v66, 0x8000, v6
	s_and_b32 s101, s5, s4
	s_and_b32 s102, s6, s4
	v_cmp_gt_u32_e64 s5, 4, v18
	v_cmp_eq_u32_e64 s6, 3, v18
	s_and_b32 s100, s8, s4
	v_cmp_gt_u32_e64 s8, 5, v18
	v_cmp_eq_u32_e64 s9, 4, v18
	s_and_b32 vcc_hi, s5, s4
	v_cmp_eq_u32_e64 s5, 2, v18
	s_and_b32 s31, s6, s4
	v_cmp_eq_u32_e64 s6, 1, v18
	v_lshrrev_b32_e32 v6, 4, v31
	s_and_b32 s103, s8, s4
	s_and_b32 s104, s9, s4
	v_cmp_gt_u32_e64 s8, 3, v18
	v_cmp_gt_u32_e64 s9, 2, v18
	s_and_b32 s34, s5, s4
	v_cmp_eq_u32_e64 s5, 0, v18
	s_and_b32 s36, s6, s4
	v_cmp_gt_u32_e64 s6, 8, v8
	v_dual_sub_nc_u32 v72, v68, v5 :: v_dual_lshlrev_b32 v5, 9, v6
	v_and_b32_e32 v18, 15, v0
	s_and_b32 s37, s5, s4
	s_and_b32 s38, s2, s6
	v_cmp_gt_u32_e64 s5, 0x100, v31
	v_sub_nc_u32_e32 v75, 0, v5
	v_cmp_eq_u32_e64 s6, 15, v18
	v_writelane_b32 v108, s0, 1
	s_and_b32 s33, s8, s4
	v_cmp_ne_u32_e64 s8, 15, v18
	s_and_b32 s35, s9, s4
	s_and_b32 s6, s6, s5
	v_cmp_eq_u32_e64 s9, 14, v18
	v_writelane_b32 v108, s6, 2
	s_and_b32 s6, s8, s5
	v_cmp_gt_u32_e64 s10, 14, v18
	v_lshl_add_u32 v74, v6, 3, 0x8000
	s_and_b32 s8, s9, s5
	v_writelane_b32 v108, s6, 3
	v_cmp_eq_u32_e64 s6, 13, v18
	v_cmp_eq_u32_e64 s9, 12, v18
	v_dual_lshlrev_b32 v76, 3, v18 :: v_dual_lshrrev_b32 v6, 5, v31
	v_writelane_b32 v108, s8, 4
	s_and_b32 s8, s10, s5
	s_and_b32 s6, s6, s5
	v_cmp_eq_u32_e64 s10, 11, v18
	s_and_b32 s45, s9, s5
	v_writelane_b32 v108, s8, 5
	v_cmp_gt_u32_e64 s8, 13, v18
	v_cmp_gt_u32_e64 s9, 10, v18
	s_and_b32 s47, s10, s5
	v_cmp_gt_u32_e64 s10, 9, v18
	v_writelane_b32 v108, s6, 6
	v_cmp_gt_u32_e64 s6, 12, v18
	s_and_b32 s44, s8, s5
	v_cmp_gt_u32_e64 s8, 11, v18
	s_and_b32 s50, s9, s5
	s_and_b32 s52, s10, s5
	;; [unrolled: 1-line block ×3, first 2 shown]
	v_cmp_eq_u32_e64 s6, 10, v18
	s_and_b32 s48, s8, s5
	v_cmp_eq_u32_e64 s8, 9, v18
	v_cmp_eq_u32_e64 s9, 7, v18
	;; [unrolled: 1-line block ×3, first 2 shown]
	s_and_b32 s49, s6, s5
	v_cmp_eq_u32_e64 s6, 8, v18
	s_and_b32 s51, s8, s5
	v_cmp_gt_u32_e64 s8, 8, v18
	v_dual_sub_nc_u32 v78, v76, v5 :: v_dual_bitop2_b32 v77, 31, v0 bitop3:0x40
	s_and_b32 s53, s6, s5
	v_cmp_gt_u32_e64 s6, 7, v18
	s_and_b32 s54, s8, s5
	v_cmp_gt_u32_e64 s8, 6, v18
	s_and_b32 s19, s9, s5
	s_and_b32 s23, s10, s5
	;; [unrolled: 1-line block ×3, first 2 shown]
	v_cmp_eq_u32_e64 s6, 5, v18
	s_and_b32 s25, s8, s5
	v_cmp_eq_u32_e64 s8, 4, v18
	v_cmp_gt_u32_e64 s9, 5, v18
	v_cmp_gt_u32_e64 s10, 4, v18
	s_and_b32 s27, s6, s5
	v_cmp_eq_u32_e64 s6, 3, v18
	s_and_b32 s57, s8, s5
	v_cmp_gt_u32_e64 s8, 3, v18
	v_dual_lshlrev_b32 v0, 9, v6 :: v_dual_lshlrev_b32 v79, 3, v77
	s_and_b32 s59, s6, s5
	v_cmp_gt_u32_e64 s6, 2, v18
	s_and_b32 s60, s8, s5
	v_cmp_eq_u32_e64 s8, 0, v18
	s_and_b32 s29, s9, s5
	s_and_b32 s58, s10, s5
	s_and_b32 s22, s6, s5
	v_cmp_gt_u32_e64 s6, 16, v8
	s_and_b32 s26, s8, s5
	v_cmp_le_i32_e64 s8, s18, v8
	v_cmp_eq_u32_e64 s9, 2, v18
	v_cmp_eq_u32_e64 s10, 1, v18
	s_and_b32 s28, s2, s6
	v_lshl_add_u32 v80, v6, 3, 0x8000
	v_dual_sub_nc_u32 v81, 0, v0 :: v_dual_sub_nc_u32 v82, v79, v0
	v_cmp_gt_u32_e64 s6, 32, v8
	v_subrev_nc_u32_e32 v5, 48, v3
	v_subrev_nc_u32_e32 v6, 32, v3
	v_dual_add_nc_u32 v3, -16, v3 :: v_dual_add_nc_u32 v0, 32, v4
	v_add_nc_u32_e32 v34, 48, v4
	s_and_b32 s85, s8, s11
	v_cmp_gt_i32_e64 s7, s18, v8
	s_and_b32 s20, s9, s5
	s_and_b32 s24, s10, s5
	s_xor_b32 s30, s85, -1
	v_cmp_gt_i32_e64 s9, s83, v5
	v_cmp_gt_i32_e64 s10, s83, v6
	;; [unrolled: 1-line block ×3, first 2 shown]
	v_add_nc_u32_e32 v3, v0, v1
	v_lshl_add_u32 v5, v0, 6, v8
	v_add_nc_u32_e32 v1, v34, v1
	v_lshl_add_u32 v6, v34, 6, v8
	s_and_b32 s6, s2, s6
	s_xor_b32 s87, vcc_lo, -1
	v_writelane_b32 v108, s6, 7
	s_and_b32 s82, s2, s30
	s_cmp_gt_i32 s84, 0
	v_cmp_gt_i32_e64 s0, s83, v16
	v_dual_cndmask_b32 v30, v5, v3, vcc_lo :: v_dual_cndmask_b32 v32, v6, v1, vcc_lo
	v_add_nc_u32_e32 v6, s14, v10
	s_cselect_b32 s39, -1, 0
	v_cmp_gt_i32_e32 vcc_lo, s83, v12
	s_and_b32 s7, s2, s7
	v_mov_b32_e32 v3, v7
	v_writelane_b32 v108, s7, 8
	v_dual_mov_b32 v1, v7 :: v_dual_mov_b32 v35, v7
	s_and_b32 s7, vcc_lo, s0
	v_dual_mov_b32 v5, v7 :: v_dual_lshlrev_b32 v83, 3, v28
	v_writelane_b32 v108, s7, 9
	s_and_b32 s7, s9, s0
	v_cmp_le_i32_e64 s6, s18, v4
	v_mul_u64_e32 v[14:15], s[12:13], v[16:17]
	v_add_nc_u64_e32 v[26:27], s[14:15], v[10:11]
	v_writelane_b32 v108, s7, 10
	s_and_b32 s7, s10, s0
	v_mul_u64_e32 v[18:19], s[12:13], v[2:3]
	v_mul_u64_e32 v[20:21], s[12:13], v[0:1]
	;; [unrolled: 1-line block ×3, first 2 shown]
	v_writelane_b32 v108, s7, 11
	v_mul_u64_e32 v[24:25], s[12:13], v[4:5]
	v_cmp_le_i32_e64 s12, s18, v2
	v_cmp_le_i32_e64 s13, s18, v0
	;; [unrolled: 1-line block ×3, first 2 shown]
	s_or_b32 s15, s6, s8
	v_cmp_ge_u32_e64 s6, v8, v4
	s_and_b32 s7, s11, s0
	s_or_b32 s12, s12, s8
	v_writelane_b32 v108, s7, 12
	s_or_b32 s13, s13, s8
	s_or_b32 s14, s14, s8
	v_cmp_ge_u32_e64 s7, v8, v2
	s_or_b32 s8, s15, s6
	v_cmp_gt_u32_e64 s30, 0xf0, v31
	v_writelane_b32 v108, s8, 13
	v_cmp_gt_u32_e64 s41, 0x3e0, v31
	s_or_b32 s8, s12, s7
                                        ; implicit-def: $vgpr99 : SGPR spill to VGPR lane
	v_mad_u32_u24 v57, 0x1f8, v8, v55
	v_mul_u64_e32 v[16:17], s[70:71], v[16:17]
	v_writelane_b32 v108, s8, 14
	v_cmp_ge_u32_e64 s8, v8, v0
	v_mul_u64_e32 v[26:27], s[70:71], v[26:27]
	v_mad_i32_i24 v61, 0xfffffe08, v8, v57
	v_dual_lshlrev_b32 v85, 3, v29 :: v_dual_lshlrev_b32 v86, 3, v30
	s_or_b32 s9, s13, s8
	v_mul_u64_e32 v[28:29], s[70:71], v[6:7]
	v_writelane_b32 v108, s9, 15
	v_cmp_ge_u32_e64 s9, v8, v34
	v_mad_u32_u24 v62, 0x1f8, v8, v61
	v_lshlrev_b32_e32 v1, 3, v4
	v_dual_lshlrev_b32 v30, 3, v8 :: v_dual_bitop2_b32 v2, v2, v8 bitop3:0x54
	s_or_b32 s10, s14, s9
	s_delay_alu instid0(VALU_DEP_3)
	v_mad_i32_i24 v64, 0xfffffe08, v8, v62
	v_writelane_b32 v108, s10, 16
	v_or_b32_e32 v89, 0xa000, v1
	v_or_b32_e32 v3, v0, v8
	;; [unrolled: 1-line block ×3, first 2 shown]
	v_mad_u32_u24 v65, 0x1f8, v8, v64
	v_writelane_b32 v108, s30, 17
	v_cmp_gt_u32_e64 s30, 0xe0, v31
	v_add_nc_u32_e32 v95, v89, v55
	v_mov_b64_e32 v[34:35], 1.0
	v_mad_i32_i24 v69, 0xfffffe08, v8, v65
	v_cmp_lt_u32_e32 vcc_lo, 0x3ff, v31
	v_writelane_b32 v108, s30, 18
	v_cmp_gt_u32_e64 s30, 0xd0, v31
	v_lshl_add_u32 v91, v10, 3, 0xa000
	v_mad_u32_u24 v70, 0x1f8, v8, v69
	v_lshl_add_u32 v92, v31, 3, 0x8000
	v_add_nc_u32_e32 v93, 0x8000, v55
	v_writelane_b32 v108, s30, 19
	v_cmp_gt_u32_e64 s30, 0xc0, v31
	v_mad_i32_i24 v71, 0xfffffe08, v8, v70
	v_or_b32_e32 v96, 0x3800, v79
	s_lshl_b64 s[78:79], s[16:17], 3
	v_subrev_nc_u32_e32 v98, 31, v77
	v_writelane_b32 v108, s30, 20
	v_cmp_gt_u32_e64 s30, 0xb0, v31
	v_mad_u32_u24 v73, 0x1f8, v8, v71
	v_cmp_eq_u32_e64 s10, 0, v44
	v_cmp_gt_u32_e64 s11, 2, v31
	v_cmp_gt_u32_e64 s12, 12, v31
	v_writelane_b32 v108, s30, 21
	v_cmp_gt_u32_e64 s30, 0xa0, v31
	v_mad_i32_i24 v5, 0xfffffe08, v8, v73
	v_cmp_gt_u32_e64 s13, 8, v31
	v_cmp_gt_u32_e64 s14, 56, v31
	;; [unrolled: 1-line block ×3, first 2 shown]
	v_writelane_b32 v108, s30, 22
	v_cmp_gt_u32_e64 s30, 0x90, v31
	v_mad_u32_u24 v11, 0x1f8, v8, v5
	v_lshl_add_u32 v94, v4, 9, v5
	v_cmp_gt_u32_e64 s16, 40, v31
	v_cmp_gt_u32_e64 s17, 32, v31
	v_writelane_b32 v108, s30, 23
	v_cmp_gt_u32_e64 s30, 0x80, v31
	v_mad_i32_i24 v84, 0xfffffe08, v8, v11
	v_cmp_gt_u32_e64 s18, 24, v31
	v_cmp_eq_u32_e64 s55, 0, v10
	v_cmp_gt_u32_e64 s56, 64, v10
	v_writelane_b32 v108, s30, 24
	v_cmp_gt_u32_e64 s30, 0x70, v31
	v_mad_u32_u24 v88, 0x1f8, v8, v84
	v_lshlrev_b32_e32 v87, 3, v32
	v_mov_b64_e32 v[32:33], 0
	s_xor_b32 s40, vcc_lo, -1
	v_writelane_b32 v108, s30, 25
	v_cmp_gt_u32_e64 s30, 0x60, v31
	v_add_nc_u32_e32 v90, v88, v1
	v_mul_i32_i24_e32 v1, 0xfffffe08, v8
	s_lshl_b64 s[74:75], s[74:75], 3
	s_lshl_b64 s[68:69], s[68:69], 3
	v_writelane_b32 v108, s30, 26
	v_cmp_gt_u32_e64 s30, 0x50, v31
	v_mad_u32_u24 v0, 0x1f8, v8, v1
	v_mov_b32_e32 v1, 0x3ff00000
                                        ; implicit-def: $vgpr36_vgpr37
                                        ; implicit-def: $vgpr38_vgpr39
                                        ; implicit-def: $vgpr40_vgpr41
                                        ; implicit-def: $vgpr42_vgpr43
	s_delay_alu instid0(VALU_DEP_3) | instskip(NEXT) | instid1(VALU_DEP_3)
	v_writelane_b32 v108, s30, 27
	v_mad_u32 v97, v0, 7, v55
	v_cmp_gt_u32_e64 s30, 0x400, v31
	v_writelane_b32 v108, s41, 28
	v_cmp_gt_u32_e64 s41, 0x3c0, v31
	s_delay_alu instid0(VALU_DEP_1) | instskip(SKIP_1) | instid1(VALU_DEP_1)
	v_writelane_b32 v108, s41, 29
	v_cmp_gt_u32_e64 s41, 0x3a0, v31
	v_writelane_b32 v108, s41, 30
	v_cmp_gt_u32_e64 s41, 0x380, v31
	s_delay_alu instid0(VALU_DEP_1) | instskip(SKIP_1) | instid1(VALU_DEP_1)
	v_writelane_b32 v108, s41, 31
	;; [unrolled: 5-line block ×13, first 2 shown]
	v_cmp_gt_u32_e64 s41, 64, v45
	v_writelane_b32 v99, s41, 22
	s_branch .LBB122_3
.LBB122_2:                              ;   in Loop: Header=BB122_3 Depth=1
	s_wait_xcnt 0x0
	s_or_b32 exec_lo, exec_lo, s41
	v_readlane_b32 s41, v108, 0
	s_add_co_i32 s62, s62, 0x10000
	global_wb scope:SCOPE_DEV
	s_wait_storecnt 0x0
	global_inv scope:SCOPE_DEV
	s_cmp_lt_u32 s62, s41
	s_cbranch_scc0 .LBB122_1117
.LBB122_3:                              ; =>This Loop Header: Depth=1
                                        ;     Child Loop BB122_537 Depth 2
                                        ;     Child Loop BB122_986 Depth 2
                                        ;       Child Loop BB122_988 Depth 3
                                        ;     Child Loop BB122_1023 Depth 2
	v_mov_b32_e32 v0, s62
	v_readlane_b32 s41, v108, 1
	s_clause 0x1
	global_load_b64 v[2:3], v0, s[72:73] scale_offset
	global_load_b64 v[48:49], v0, s[66:67] scale_offset
	global_load_b64 v[46:47], v7, s[64:65]
	s_and_not1_b32 vcc_lo, exec_lo, s41
	s_wait_loadcnt 0x2
	v_add_nc_u64_e32 v[2:3], s[74:75], v[2:3]
	s_delay_alu instid0(VALU_DEP_1)
	v_lshl_add_u64 v[44:45], v[14:15], 3, v[2:3]
	s_cbranch_vccnz .LBB122_13
; %bb.4:                                ;   in Loop: Header=BB122_3 Depth=1
	v_mov_b64_e32 v[38:39], 0
	v_mov_b64_e32 v[36:37], 0
	s_delay_alu instid0(VALU_DEP_3)
	v_lshl_add_u64 v[50:51], v[12:13], 3, v[44:45]
	s_wait_loadcnt 0x0
	s_barrier_signal -1
	s_barrier_wait -1
	s_wait_xcnt 0x0
	s_mov_b32 s41, exec_lo
	v_readlane_b32 s42, v108, 9
	s_and_b32 s42, s41, s42
	s_delay_alu instid0(SALU_CYCLE_1)
	s_mov_b32 exec_lo, s42
	s_cbranch_execz .LBB122_6
; %bb.5:                                ;   in Loop: Header=BB122_3 Depth=1
	flat_load_b64 v[36:37], v[50:51]
.LBB122_6:                              ;   in Loop: Header=BB122_3 Depth=1
	s_wait_xcnt 0x0
	s_or_b32 exec_lo, exec_lo, s41
	s_wait_loadcnt_dscnt 0x0
	s_barrier_signal -1
	s_barrier_wait -1
	s_mov_b32 s41, exec_lo
	v_readlane_b32 s42, v108, 10
	s_and_b32 s42, s41, s42
	s_delay_alu instid0(SALU_CYCLE_1)
	s_mov_b32 exec_lo, s42
	s_cbranch_execz .LBB122_8
; %bb.7:                                ;   in Loop: Header=BB122_3 Depth=1
	flat_load_b64 v[38:39], v[50:51] offset:128
.LBB122_8:                              ;   in Loop: Header=BB122_3 Depth=1
	s_wait_xcnt 0x0
	s_or_b32 exec_lo, exec_lo, s41
	v_mov_b64_e32 v[42:43], 0
	v_mov_b64_e32 v[40:41], 0
	s_wait_loadcnt_dscnt 0x0
	s_barrier_signal -1
	s_barrier_wait -1
	s_mov_b32 s41, exec_lo
	v_readlane_b32 s42, v108, 11
	s_and_b32 s42, s41, s42
	s_delay_alu instid0(SALU_CYCLE_1)
	s_mov_b32 exec_lo, s42
	s_cbranch_execz .LBB122_10
; %bb.9:                                ;   in Loop: Header=BB122_3 Depth=1
	flat_load_b64 v[40:41], v[50:51] offset:256
.LBB122_10:                             ;   in Loop: Header=BB122_3 Depth=1
	s_wait_xcnt 0x0
	s_or_b32 exec_lo, exec_lo, s41
	s_wait_loadcnt_dscnt 0x0
	s_barrier_signal -1
	s_barrier_wait -1
	s_mov_b32 s41, exec_lo
	v_readlane_b32 s42, v108, 12
	s_and_b32 s42, s41, s42
	s_delay_alu instid0(SALU_CYCLE_1)
	s_mov_b32 exec_lo, s42
	s_cbranch_execz .LBB122_12
; %bb.11:                               ;   in Loop: Header=BB122_3 Depth=1
	flat_load_b64 v[42:43], v[50:51] offset:384
.LBB122_12:                             ;   in Loop: Header=BB122_3 Depth=1
	s_wait_xcnt 0x0
	s_or_b32 exec_lo, exec_lo, s41
.LBB122_13:                             ;   in Loop: Header=BB122_3 Depth=1
	v_add_nc_u64_e32 v[2:3], s[78:79], v[2:3]
	v_mov_b32_e32 v31, v7
	s_and_not1_b32 vcc_lo, exec_lo, s86
	s_mov_b32 s41, -1
	s_delay_alu instid0(VALU_DEP_1)
	v_add_nc_u64_e32 v[2:3], v[2:3], v[30:31]
	s_cbranch_vccnz .LBB122_24
; %bb.14:                               ;   in Loop: Header=BB122_3 Depth=1
	s_wait_xcnt 0x0
	s_and_saveexec_b32 s41, s6
	s_delay_alu instid0(SALU_CYCLE_1)
	s_xor_b32 s41, exec_lo, s41
	s_cbranch_execnz .LBB122_1044
; %bb.15:                               ;   in Loop: Header=BB122_3 Depth=1
	s_and_not1_saveexec_b32 s41, s41
	s_cbranch_execnz .LBB122_1047
.LBB122_16:                             ;   in Loop: Header=BB122_3 Depth=1
	s_or_b32 exec_lo, exec_lo, s41
	s_and_saveexec_b32 s41, s7
	s_delay_alu instid0(SALU_CYCLE_1)
	s_xor_b32 s41, exec_lo, s41
	s_cbranch_execnz .LBB122_1048
.LBB122_17:                             ;   in Loop: Header=BB122_3 Depth=1
	s_and_not1_saveexec_b32 s41, s41
	s_cbranch_execnz .LBB122_1051
.LBB122_18:                             ;   in Loop: Header=BB122_3 Depth=1
	s_or_b32 exec_lo, exec_lo, s41
	s_and_saveexec_b32 s41, s8
	s_delay_alu instid0(SALU_CYCLE_1)
	s_xor_b32 s41, exec_lo, s41
	s_cbranch_execnz .LBB122_1052
.LBB122_19:                             ;   in Loop: Header=BB122_3 Depth=1
	s_and_not1_saveexec_b32 s41, s41
	s_cbranch_execnz .LBB122_1055
.LBB122_20:                             ;   in Loop: Header=BB122_3 Depth=1
	s_or_b32 exec_lo, exec_lo, s41
	s_and_saveexec_b32 s41, s9
	s_delay_alu instid0(SALU_CYCLE_1)
	s_xor_b32 s41, exec_lo, s41
	s_cbranch_execnz .LBB122_1056
.LBB122_21:                             ;   in Loop: Header=BB122_3 Depth=1
	s_and_not1_saveexec_b32 s41, s41
	s_cbranch_execz .LBB122_23
.LBB122_22:                             ;   in Loop: Header=BB122_3 Depth=1
	v_lshl_add_u64 v[50:51], v[22:23], 3, v[2:3]
	flat_load_b64 v[50:51], v[50:51]
	s_wait_loadcnt_dscnt 0x0
	v_xor_b32_e32 v51, 0x80000000, v51
	ds_store_b64 v87, v[50:51]
.LBB122_23:                             ;   in Loop: Header=BB122_3 Depth=1
	s_or_b32 exec_lo, exec_lo, s41
	s_mov_b32 s41, 0
.LBB122_24:                             ;   in Loop: Header=BB122_3 Depth=1
	s_delay_alu instid0(SALU_CYCLE_1)
	s_and_b32 vcc_lo, exec_lo, s41
	s_cbranch_vccz .LBB122_50
; %bb.25:                               ;   in Loop: Header=BB122_3 Depth=1
	s_wait_xcnt 0x0
	s_mov_b32 s41, exec_lo
	v_readlane_b32 s42, v108, 13
	s_and_b32 s42, s41, s42
	s_delay_alu instid0(SALU_CYCLE_1)
	s_xor_b32 s41, s42, s41
	s_mov_b32 exec_lo, s42
	s_cbranch_execz .LBB122_29
; %bb.26:                               ;   in Loop: Header=BB122_3 Depth=1
	s_mov_b32 s42, exec_lo
	v_readlane_b32 s43, v99, 19
	s_and_b32 s43, s42, s43
	s_delay_alu instid0(SALU_CYCLE_1)
	s_mov_b32 exec_lo, s43
; %bb.27:                               ;   in Loop: Header=BB122_3 Depth=1
	ds_store_b64 v90, v[32:33]
; %bb.28:                               ;   in Loop: Header=BB122_3 Depth=1
	s_or_b32 exec_lo, exec_lo, s42
.LBB122_29:                             ;   in Loop: Header=BB122_3 Depth=1
	s_and_not1_saveexec_b32 s41, s41
	s_cbranch_execz .LBB122_31
; %bb.30:                               ;   in Loop: Header=BB122_3 Depth=1
	v_lshl_add_u64 v[50:51], v[24:25], 3, v[2:3]
	flat_load_b64 v[50:51], v[50:51]
	s_wait_loadcnt_dscnt 0x0
	v_xor_b32_e32 v51, 0x80000000, v51
	ds_store_b64 v90, v[50:51]
.LBB122_31:                             ;   in Loop: Header=BB122_3 Depth=1
	s_or_b32 exec_lo, exec_lo, s41
	s_delay_alu instid0(SALU_CYCLE_1) | instskip(SKIP_2) | instid1(SALU_CYCLE_1)
	s_mov_b32 s41, exec_lo
	v_readlane_b32 s42, v108, 14
	s_and_b32 s42, s41, s42
	s_xor_b32 s41, s42, s41
	s_mov_b32 exec_lo, s42
	s_cbranch_execz .LBB122_35
; %bb.32:                               ;   in Loop: Header=BB122_3 Depth=1
	s_mov_b32 s42, exec_lo
	v_readlane_b32 s43, v99, 20
	s_and_b32 s43, s42, s43
	s_delay_alu instid0(SALU_CYCLE_1)
	s_mov_b32 exec_lo, s43
; %bb.33:                               ;   in Loop: Header=BB122_3 Depth=1
	ds_store_b64 v85, v[32:33]
; %bb.34:                               ;   in Loop: Header=BB122_3 Depth=1
	s_or_b32 exec_lo, exec_lo, s42
.LBB122_35:                             ;   in Loop: Header=BB122_3 Depth=1
	s_and_not1_saveexec_b32 s41, s41
	s_cbranch_execz .LBB122_37
; %bb.36:                               ;   in Loop: Header=BB122_3 Depth=1
	v_lshl_add_u64 v[50:51], v[18:19], 3, v[2:3]
	flat_load_b64 v[50:51], v[50:51]
	s_wait_loadcnt_dscnt 0x0
	v_xor_b32_e32 v51, 0x80000000, v51
	ds_store_b64 v85, v[50:51]
.LBB122_37:                             ;   in Loop: Header=BB122_3 Depth=1
	s_or_b32 exec_lo, exec_lo, s41
	s_delay_alu instid0(SALU_CYCLE_1) | instskip(SKIP_2) | instid1(SALU_CYCLE_1)
	s_mov_b32 s41, exec_lo
	v_readlane_b32 s42, v108, 15
	s_and_b32 s42, s41, s42
	s_xor_b32 s41, s42, s41
	s_mov_b32 exec_lo, s42
	s_cbranch_execz .LBB122_41
; %bb.38:                               ;   in Loop: Header=BB122_3 Depth=1
	s_mov_b32 s42, exec_lo
	v_readlane_b32 s43, v99, 21
	s_and_b32 s43, s42, s43
	s_delay_alu instid0(SALU_CYCLE_1)
	s_mov_b32 exec_lo, s43
; %bb.39:                               ;   in Loop: Header=BB122_3 Depth=1
	ds_store_b64 v86, v[32:33]
; %bb.40:                               ;   in Loop: Header=BB122_3 Depth=1
	s_or_b32 exec_lo, exec_lo, s42
.LBB122_41:                             ;   in Loop: Header=BB122_3 Depth=1
	s_and_not1_saveexec_b32 s41, s41
	s_cbranch_execz .LBB122_43
; %bb.42:                               ;   in Loop: Header=BB122_3 Depth=1
	v_lshl_add_u64 v[50:51], v[20:21], 3, v[2:3]
	flat_load_b64 v[50:51], v[50:51]
	s_wait_loadcnt_dscnt 0x0
	v_xor_b32_e32 v51, 0x80000000, v51
	ds_store_b64 v86, v[50:51]
.LBB122_43:                             ;   in Loop: Header=BB122_3 Depth=1
	s_or_b32 exec_lo, exec_lo, s41
	s_delay_alu instid0(SALU_CYCLE_1) | instskip(SKIP_2) | instid1(SALU_CYCLE_1)
	s_mov_b32 s41, exec_lo
	v_readlane_b32 s42, v108, 16
	s_and_b32 s42, s41, s42
	s_xor_b32 s41, s42, s41
	s_mov_b32 exec_lo, s42
	s_cbranch_execz .LBB122_47
; %bb.44:                               ;   in Loop: Header=BB122_3 Depth=1
	s_mov_b32 s42, exec_lo
	v_readlane_b32 s43, v99, 22
	s_and_b32 s43, s42, s43
	s_delay_alu instid0(SALU_CYCLE_1)
	s_mov_b32 exec_lo, s43
; %bb.45:                               ;   in Loop: Header=BB122_3 Depth=1
	ds_store_b64 v87, v[32:33]
; %bb.46:                               ;   in Loop: Header=BB122_3 Depth=1
	s_or_b32 exec_lo, exec_lo, s42
                                        ; implicit-def: $vgpr2_vgpr3
.LBB122_47:                             ;   in Loop: Header=BB122_3 Depth=1
	s_and_not1_saveexec_b32 s41, s41
	s_cbranch_execz .LBB122_49
; %bb.48:                               ;   in Loop: Header=BB122_3 Depth=1
	v_lshl_add_u64 v[2:3], v[22:23], 3, v[2:3]
	flat_load_b64 v[2:3], v[2:3]
	s_wait_loadcnt_dscnt 0x0
	v_xor_b32_e32 v3, 0x80000000, v3
	ds_store_b64 v87, v[2:3]
.LBB122_49:                             ;   in Loop: Header=BB122_3 Depth=1
	s_or_b32 exec_lo, exec_lo, s41
.LBB122_50:                             ;   in Loop: Header=BB122_3 Depth=1
	s_delay_alu instid0(SALU_CYCLE_1)
	s_and_not1_b32 vcc_lo, exec_lo, s87
	s_wait_loadcnt_dscnt 0x0
	s_barrier_signal -1
	s_barrier_wait -1
	s_cbranch_vccnz .LBB122_980
; %bb.51:                               ;   in Loop: Header=BB122_3 Depth=1
	s_wait_xcnt 0x0
	s_and_saveexec_b32 s41, s10
	s_cbranch_execz .LBB122_53
; %bb.52:                               ;   in Loop: Header=BB122_3 Depth=1
	ds_load_b64 v[2:3], v7 offset:32752
	v_mov_b32_e32 v0, v7
	ds_store_b64 v7, v[34:35] offset:32760
	s_wait_dscnt 0x1
	ds_store_b128 v7, v[0:3] offset:32240
.LBB122_53:                             ;   in Loop: Header=BB122_3 Depth=1
	s_or_b32 exec_lo, exec_lo, s41
	v_mov_b64_e32 v[2:3], 0
	s_wait_dscnt 0x0
	s_barrier_signal -1
	s_barrier_wait -1
	global_wb scope:SCOPE_DEV
	s_wait_storecnt 0x0
	global_inv scope:SCOPE_DEV
	s_and_saveexec_b32 s41, s1
	s_cbranch_execz .LBB122_57
; %bb.54:                               ;   in Loop: Header=BB122_3 Depth=1
	ds_load_b64 v[2:3], v54 offset:32224
	ds_load_b64 v[50:51], v53 offset:32752
	s_wait_dscnt 0x0
	v_fma_f64 v[2:3], v[2:3], v[50:51], 0
	s_and_saveexec_b32 s42, s11
	s_cbranch_execz .LBB122_56
; %bb.55:                               ;   in Loop: Header=BB122_3 Depth=1
	ds_load_b64 v[50:51], v55 offset:32736
	ds_load_b64 v[100:101], v7 offset:32760
	s_wait_dscnt 0x0
	v_fmac_f64_e32 v[2:3], v[50:51], v[100:101]
.LBB122_56:                             ;   in Loop: Header=BB122_3 Depth=1
	s_or_b32 exec_lo, exec_lo, s42
.LBB122_57:                             ;   in Loop: Header=BB122_3 Depth=1
	s_delay_alu instid0(SALU_CYCLE_1)
	s_or_b32 exec_lo, exec_lo, s41
	s_and_saveexec_b32 s41, s88
; %bb.58:                               ;   in Loop: Header=BB122_3 Depth=1
	s_delay_alu instid0(VALU_DEP_1) | instskip(NEXT) | instid1(VALU_DEP_2)
	v_xor_b32_e32 v51, 0x80000000, v3
	v_mov_b32_e32 v50, v2
	ds_store_b64 v52, v[50:51]
; %bb.59:                               ;   in Loop: Header=BB122_3 Depth=1
	s_or_b32 exec_lo, exec_lo, s41
	s_wait_loadcnt_dscnt 0x0
	s_barrier_signal -1
	s_barrier_wait -1
	s_and_saveexec_b32 s41, s89
	s_cbranch_execz .LBB122_61
; %bb.60:                               ;   in Loop: Header=BB122_3 Depth=1
	ds_load_b64 v[50:51], v7 offset:31712
	ds_load_b64 v[100:101], v52
	s_wait_dscnt 0x0
	v_fma_f64 v[2:3], -v[50:51], v[100:101], v[2:3]
.LBB122_61:                             ;   in Loop: Header=BB122_3 Depth=1
	s_or_b32 exec_lo, exec_lo, s41
	s_barrier_signal -1
	s_barrier_wait -1
	s_and_saveexec_b32 s41, s89
; %bb.62:                               ;   in Loop: Header=BB122_3 Depth=1
	s_delay_alu instid0(VALU_DEP_1) | instskip(NEXT) | instid1(VALU_DEP_2)
	v_xor_b32_e32 v51, 0x80000000, v3
	v_mov_b32_e32 v50, v2
	ds_store_b64 v52, v[50:51]
; %bb.63:                               ;   in Loop: Header=BB122_3 Depth=1
	s_or_b32 exec_lo, exec_lo, s41
	s_wait_dscnt 0x0
	s_barrier_signal -1
	s_barrier_wait -1
	s_barrier_signal -1
	s_barrier_wait -1
	s_and_saveexec_b32 s41, s1
; %bb.64:                               ;   in Loop: Header=BB122_3 Depth=1
	ds_store_b64 v56, v[2:3] offset:32736
; %bb.65:                               ;   in Loop: Header=BB122_3 Depth=1
	s_or_b32 exec_lo, exec_lo, s41
	s_wait_dscnt 0x0
	s_barrier_signal -1
	s_barrier_wait -1
	s_barrier_signal -1
	s_barrier_wait -1
	s_and_saveexec_b32 s41, s90
	s_cbranch_execz .LBB122_67
; %bb.66:                               ;   in Loop: Header=BB122_3 Depth=1
	ds_load_b64 v[2:3], v57 offset:32224
	s_wait_dscnt 0x0
	ds_store_b64 v55, v[2:3] offset:31216
	ds_load_b64 v[2:3], v57 offset:32232
	s_wait_dscnt 0x0
	ds_store_b64 v55, v[2:3] offset:31728
.LBB122_67:                             ;   in Loop: Header=BB122_3 Depth=1
	s_or_b32 exec_lo, exec_lo, s41
	s_wait_dscnt 0x0
	s_barrier_signal -1
	s_barrier_wait -1
	s_and_saveexec_b32 s41, s10
	s_cbranch_execz .LBB122_69
; %bb.68:                               ;   in Loop: Header=BB122_3 Depth=1
	ds_load_b64 v[2:3], v7 offset:31712
	v_mov_b32_e32 v0, v7
	ds_store_b64 v7, v[34:35] offset:31720
	s_wait_dscnt 0x1
	ds_store_b128 v7, v[0:3] offset:31200
.LBB122_69:                             ;   in Loop: Header=BB122_3 Depth=1
	s_or_b32 exec_lo, exec_lo, s41
	v_mov_b64_e32 v[2:3], 0
	s_wait_dscnt 0x0
	s_barrier_signal -1
	s_barrier_wait -1
	global_wb scope:SCOPE_DEV
	s_wait_storecnt 0x0
	global_inv scope:SCOPE_DEV
	s_and_saveexec_b32 s41, s3
	s_cbranch_execz .LBB122_75
; %bb.70:                               ;   in Loop: Header=BB122_3 Depth=1
	ds_load_b64 v[2:3], v60 offset:31168
	ds_load_b64 v[50:51], v59 offset:32736
	s_wait_dscnt 0x0
	v_fma_f64 v[2:3], v[2:3], v[50:51], 0
	s_and_saveexec_b32 s42, s12
	s_cbranch_execnz .LBB122_1067
; %bb.71:                               ;   in Loop: Header=BB122_3 Depth=1
	s_or_b32 exec_lo, exec_lo, s42
	s_and_saveexec_b32 s42, s13
	s_cbranch_execnz .LBB122_1068
.LBB122_72:                             ;   in Loop: Header=BB122_3 Depth=1
	s_or_b32 exec_lo, exec_lo, s42
	s_and_saveexec_b32 s42, s1
	s_cbranch_execz .LBB122_74
.LBB122_73:                             ;   in Loop: Header=BB122_3 Depth=1
	ds_load_b64 v[50:51], v61 offset:32704
	ds_load_b64 v[100:101], v7 offset:32760
	s_wait_dscnt 0x0
	v_fmac_f64_e32 v[2:3], v[50:51], v[100:101]
.LBB122_74:                             ;   in Loop: Header=BB122_3 Depth=1
	s_or_b32 exec_lo, exec_lo, s42
.LBB122_75:                             ;   in Loop: Header=BB122_3 Depth=1
	s_delay_alu instid0(SALU_CYCLE_1)
	s_or_b32 exec_lo, exec_lo, s41
	s_and_saveexec_b32 s41, s91
; %bb.76:                               ;   in Loop: Header=BB122_3 Depth=1
	s_delay_alu instid0(VALU_DEP_1) | instskip(NEXT) | instid1(VALU_DEP_2)
	v_xor_b32_e32 v51, 0x80000000, v3
	v_mov_b32_e32 v50, v2
	ds_store_b64 v58, v[50:51]
; %bb.77:                               ;   in Loop: Header=BB122_3 Depth=1
	s_or_b32 exec_lo, exec_lo, s41
	s_wait_loadcnt_dscnt 0x0
	s_barrier_signal -1
	s_barrier_wait -1
	s_and_saveexec_b32 s41, s92
	s_cbranch_execz .LBB122_79
; %bb.78:                               ;   in Loop: Header=BB122_3 Depth=1
	ds_load_b64 v[50:51], v60 offset:30656
	ds_load_b64 v[100:101], v58
	s_wait_dscnt 0x0
	v_fma_f64 v[2:3], -v[50:51], v[100:101], v[2:3]
.LBB122_79:                             ;   in Loop: Header=BB122_3 Depth=1
	s_or_b32 exec_lo, exec_lo, s41
	s_barrier_signal -1
	s_barrier_wait -1
	s_and_saveexec_b32 s41, s93
; %bb.80:                               ;   in Loop: Header=BB122_3 Depth=1
	s_delay_alu instid0(VALU_DEP_1) | instskip(NEXT) | instid1(VALU_DEP_2)
	v_xor_b32_e32 v51, 0x80000000, v3
	v_mov_b32_e32 v50, v2
	ds_store_b64 v58, v[50:51]
; %bb.81:                               ;   in Loop: Header=BB122_3 Depth=1
	s_or_b32 exec_lo, exec_lo, s41
	s_wait_dscnt 0x0
	s_barrier_signal -1
	s_barrier_wait -1
	s_and_saveexec_b32 s41, s94
	s_cbranch_execz .LBB122_83
; %bb.82:                               ;   in Loop: Header=BB122_3 Depth=1
	ds_load_b64 v[50:51], v60 offset:30144
	ds_load_b64 v[100:101], v58
	s_wait_dscnt 0x0
	v_fma_f64 v[2:3], -v[50:51], v[100:101], v[2:3]
.LBB122_83:                             ;   in Loop: Header=BB122_3 Depth=1
	s_or_b32 exec_lo, exec_lo, s41
	s_barrier_signal -1
	s_barrier_wait -1
	s_and_saveexec_b32 s41, s95
; %bb.84:                               ;   in Loop: Header=BB122_3 Depth=1
	s_delay_alu instid0(VALU_DEP_1) | instskip(NEXT) | instid1(VALU_DEP_2)
	v_xor_b32_e32 v51, 0x80000000, v3
	v_mov_b32_e32 v50, v2
	ds_store_b64 v58, v[50:51]
; %bb.85:                               ;   in Loop: Header=BB122_3 Depth=1
	s_or_b32 exec_lo, exec_lo, s41
	s_wait_dscnt 0x0
	;; [unrolled: 22-line block ×3, first 2 shown]
	s_barrier_signal -1
	s_barrier_wait -1
	s_barrier_signal -1
	s_barrier_wait -1
	s_and_saveexec_b32 s41, s3
; %bb.90:                               ;   in Loop: Header=BB122_3 Depth=1
	ds_store_b64 v63, v[2:3] offset:32704
; %bb.91:                               ;   in Loop: Header=BB122_3 Depth=1
	s_or_b32 exec_lo, exec_lo, s41
	s_wait_dscnt 0x0
	s_barrier_signal -1
	s_barrier_wait -1
	s_barrier_signal -1
	s_barrier_wait -1
	s_and_saveexec_b32 s41, s97
	s_cbranch_execz .LBB122_93
; %bb.92:                               ;   in Loop: Header=BB122_3 Depth=1
	ds_load_b64 v[2:3], v62 offset:31168
	s_wait_dscnt 0x0
	ds_store_b64 v64, v[2:3] offset:29152
	ds_load_b64 v[2:3], v62 offset:31176
	s_wait_dscnt 0x0
	ds_store_b64 v64, v[2:3] offset:29664
	ds_load_b64 v[2:3], v62 offset:31184
	s_wait_dscnt 0x0
	ds_store_b64 v64, v[2:3] offset:30176
	ds_load_b64 v[2:3], v62 offset:31192
	s_wait_dscnt 0x0
	ds_store_b64 v64, v[2:3] offset:30688
.LBB122_93:                             ;   in Loop: Header=BB122_3 Depth=1
	s_or_b32 exec_lo, exec_lo, s41
	s_wait_dscnt 0x0
	s_barrier_signal -1
	s_barrier_wait -1
	s_and_saveexec_b32 s41, s10
	s_cbranch_execz .LBB122_95
; %bb.94:                               ;   in Loop: Header=BB122_3 Depth=1
	ds_load_b64 v[2:3], v7 offset:30672
	v_mov_b32_e32 v0, v7
	ds_store_b64 v7, v[34:35] offset:30680
	s_wait_dscnt 0x1
	ds_store_b128 v7, v[0:3] offset:30160
.LBB122_95:                             ;   in Loop: Header=BB122_3 Depth=1
	s_or_b32 exec_lo, exec_lo, s41
	v_mov_b64_e32 v[2:3], 0
	s_wait_dscnt 0x0
	s_barrier_signal -1
	s_barrier_wait -1
	global_wb scope:SCOPE_DEV
	s_wait_storecnt 0x0
	global_inv scope:SCOPE_DEV
	s_and_saveexec_b32 s41, s1
	s_cbranch_execz .LBB122_99
; %bb.96:                               ;   in Loop: Header=BB122_3 Depth=1
	ds_load_b64 v[2:3], v54 offset:30144
	ds_load_b64 v[50:51], v53 offset:30672
	s_wait_dscnt 0x0
	v_fma_f64 v[2:3], v[2:3], v[50:51], 0
	s_and_saveexec_b32 s42, s11
	s_cbranch_execz .LBB122_98
; %bb.97:                               ;   in Loop: Header=BB122_3 Depth=1
	ds_load_b64 v[50:51], v64 offset:30656
	ds_load_b64 v[100:101], v7 offset:30680
	s_wait_dscnt 0x0
	v_fmac_f64_e32 v[2:3], v[50:51], v[100:101]
.LBB122_98:                             ;   in Loop: Header=BB122_3 Depth=1
	s_or_b32 exec_lo, exec_lo, s42
.LBB122_99:                             ;   in Loop: Header=BB122_3 Depth=1
	s_delay_alu instid0(SALU_CYCLE_1)
	s_or_b32 exec_lo, exec_lo, s41
	s_and_saveexec_b32 s41, s88
; %bb.100:                              ;   in Loop: Header=BB122_3 Depth=1
	s_delay_alu instid0(VALU_DEP_1) | instskip(NEXT) | instid1(VALU_DEP_2)
	v_xor_b32_e32 v51, 0x80000000, v3
	v_mov_b32_e32 v50, v2
	ds_store_b64 v52, v[50:51]
; %bb.101:                              ;   in Loop: Header=BB122_3 Depth=1
	s_or_b32 exec_lo, exec_lo, s41
	s_wait_loadcnt_dscnt 0x0
	s_barrier_signal -1
	s_barrier_wait -1
	s_and_saveexec_b32 s41, s89
	s_cbranch_execz .LBB122_103
; %bb.102:                              ;   in Loop: Header=BB122_3 Depth=1
	ds_load_b64 v[50:51], v7 offset:29632
	ds_load_b64 v[100:101], v52
	s_wait_dscnt 0x0
	v_fma_f64 v[2:3], -v[50:51], v[100:101], v[2:3]
.LBB122_103:                            ;   in Loop: Header=BB122_3 Depth=1
	s_or_b32 exec_lo, exec_lo, s41
	s_barrier_signal -1
	s_barrier_wait -1
	s_and_saveexec_b32 s41, s89
; %bb.104:                              ;   in Loop: Header=BB122_3 Depth=1
	s_delay_alu instid0(VALU_DEP_1) | instskip(NEXT) | instid1(VALU_DEP_2)
	v_xor_b32_e32 v51, 0x80000000, v3
	v_mov_b32_e32 v50, v2
	ds_store_b64 v52, v[50:51]
; %bb.105:                              ;   in Loop: Header=BB122_3 Depth=1
	s_or_b32 exec_lo, exec_lo, s41
	s_wait_dscnt 0x0
	s_barrier_signal -1
	s_barrier_wait -1
	s_barrier_signal -1
	s_barrier_wait -1
	s_and_saveexec_b32 s41, s1
; %bb.106:                              ;   in Loop: Header=BB122_3 Depth=1
	ds_store_b64 v56, v[2:3] offset:30656
; %bb.107:                              ;   in Loop: Header=BB122_3 Depth=1
	s_or_b32 exec_lo, exec_lo, s41
	s_wait_dscnt 0x0
	s_barrier_signal -1
	s_barrier_wait -1
	s_barrier_signal -1
	s_barrier_wait -1
	s_and_saveexec_b32 s41, s90
	s_cbranch_execz .LBB122_109
; %bb.108:                              ;   in Loop: Header=BB122_3 Depth=1
	ds_load_b64 v[2:3], v65 offset:30144
	s_wait_dscnt 0x0
	ds_store_b64 v64, v[2:3] offset:29136
	ds_load_b64 v[2:3], v65 offset:30152
	s_wait_dscnt 0x0
	ds_store_b64 v64, v[2:3] offset:29648
.LBB122_109:                            ;   in Loop: Header=BB122_3 Depth=1
	s_or_b32 exec_lo, exec_lo, s41
	s_wait_dscnt 0x0
	s_barrier_signal -1
	s_barrier_wait -1
	s_and_saveexec_b32 s41, s10
	s_cbranch_execz .LBB122_111
; %bb.110:                              ;   in Loop: Header=BB122_3 Depth=1
	ds_load_b64 v[2:3], v7 offset:29632
	v_mov_b32_e32 v0, v7
	ds_store_b64 v7, v[34:35] offset:29640
	s_wait_dscnt 0x1
	ds_store_b128 v7, v[0:3] offset:29120
.LBB122_111:                            ;   in Loop: Header=BB122_3 Depth=1
	s_or_b32 exec_lo, exec_lo, s41
	v_mov_b64_e32 v[2:3], 0
	s_wait_dscnt 0x0
	s_barrier_signal -1
	s_barrier_wait -1
	global_wb scope:SCOPE_DEV
	s_wait_storecnt 0x0
	global_inv scope:SCOPE_DEV
	s_and_saveexec_b32 s41, s4
	s_cbranch_execz .LBB122_121
; %bb.112:                              ;   in Loop: Header=BB122_3 Depth=1
	ds_load_b64 v[2:3], v68 offset:29056
	ds_load_b64 v[50:51], v67 offset:32704
	s_wait_dscnt 0x0
	v_fma_f64 v[2:3], v[2:3], v[50:51], 0
	s_and_saveexec_b32 s42, s14
	s_cbranch_execnz .LBB122_1069
; %bb.113:                              ;   in Loop: Header=BB122_3 Depth=1
	s_or_b32 exec_lo, exec_lo, s42
	s_and_saveexec_b32 s42, s15
	s_cbranch_execnz .LBB122_1070
.LBB122_114:                            ;   in Loop: Header=BB122_3 Depth=1
	s_or_b32 exec_lo, exec_lo, s42
	s_and_saveexec_b32 s42, s16
	s_cbranch_execnz .LBB122_1071
.LBB122_115:                            ;   in Loop: Header=BB122_3 Depth=1
	s_or_b32 exec_lo, exec_lo, s42
	s_and_saveexec_b32 s42, s17
	s_cbranch_execnz .LBB122_1072
.LBB122_116:                            ;   in Loop: Header=BB122_3 Depth=1
	s_or_b32 exec_lo, exec_lo, s42
	s_and_saveexec_b32 s42, s18
	s_cbranch_execnz .LBB122_1073
.LBB122_117:                            ;   in Loop: Header=BB122_3 Depth=1
	s_or_b32 exec_lo, exec_lo, s42
	s_and_saveexec_b32 s42, s3
	s_cbranch_execnz .LBB122_1074
.LBB122_118:                            ;   in Loop: Header=BB122_3 Depth=1
	s_or_b32 exec_lo, exec_lo, s42
	s_and_saveexec_b32 s42, s13
	s_cbranch_execz .LBB122_120
.LBB122_119:                            ;   in Loop: Header=BB122_3 Depth=1
	ds_load_b64 v[50:51], v69 offset:32640
	ds_load_b64 v[100:101], v7 offset:32760
	s_wait_dscnt 0x0
	v_fmac_f64_e32 v[2:3], v[50:51], v[100:101]
.LBB122_120:                            ;   in Loop: Header=BB122_3 Depth=1
	s_or_b32 exec_lo, exec_lo, s42
.LBB122_121:                            ;   in Loop: Header=BB122_3 Depth=1
	s_delay_alu instid0(SALU_CYCLE_1)
	s_or_b32 exec_lo, exec_lo, s41
	s_and_saveexec_b32 s41, s98
; %bb.122:                              ;   in Loop: Header=BB122_3 Depth=1
	s_delay_alu instid0(VALU_DEP_1) | instskip(NEXT) | instid1(VALU_DEP_2)
	v_xor_b32_e32 v51, 0x80000000, v3
	v_mov_b32_e32 v50, v2
	ds_store_b64 v66, v[50:51]
; %bb.123:                              ;   in Loop: Header=BB122_3 Depth=1
	s_or_b32 exec_lo, exec_lo, s41
	s_wait_loadcnt_dscnt 0x0
	s_barrier_signal -1
	s_barrier_wait -1
	s_and_saveexec_b32 s41, s99
	s_cbranch_execz .LBB122_125
; %bb.124:                              ;   in Loop: Header=BB122_3 Depth=1
	ds_load_b64 v[50:51], v68 offset:28544
	ds_load_b64 v[100:101], v66
	s_wait_dscnt 0x0
	v_fma_f64 v[2:3], -v[50:51], v[100:101], v[2:3]
.LBB122_125:                            ;   in Loop: Header=BB122_3 Depth=1
	s_or_b32 exec_lo, exec_lo, s41
	s_barrier_signal -1
	s_barrier_wait -1
	s_and_saveexec_b32 s41, s100
; %bb.126:                              ;   in Loop: Header=BB122_3 Depth=1
	s_delay_alu instid0(VALU_DEP_1) | instskip(NEXT) | instid1(VALU_DEP_2)
	v_xor_b32_e32 v51, 0x80000000, v3
	v_mov_b32_e32 v50, v2
	ds_store_b64 v66, v[50:51]
; %bb.127:                              ;   in Loop: Header=BB122_3 Depth=1
	s_or_b32 exec_lo, exec_lo, s41
	s_wait_dscnt 0x0
	s_barrier_signal -1
	s_barrier_wait -1
	s_and_saveexec_b32 s41, s101
	s_cbranch_execz .LBB122_129
; %bb.128:                              ;   in Loop: Header=BB122_3 Depth=1
	ds_load_b64 v[50:51], v68 offset:28032
	ds_load_b64 v[100:101], v66
	s_wait_dscnt 0x0
	v_fma_f64 v[2:3], -v[50:51], v[100:101], v[2:3]
.LBB122_129:                            ;   in Loop: Header=BB122_3 Depth=1
	s_or_b32 exec_lo, exec_lo, s41
	s_barrier_signal -1
	s_barrier_wait -1
	s_and_saveexec_b32 s41, s102
; %bb.130:                              ;   in Loop: Header=BB122_3 Depth=1
	s_delay_alu instid0(VALU_DEP_1) | instskip(NEXT) | instid1(VALU_DEP_2)
	v_xor_b32_e32 v51, 0x80000000, v3
	v_mov_b32_e32 v50, v2
	ds_store_b64 v66, v[50:51]
; %bb.131:                              ;   in Loop: Header=BB122_3 Depth=1
	s_or_b32 exec_lo, exec_lo, s41
	s_wait_dscnt 0x0
	;; [unrolled: 22-line block ×3, first 2 shown]
	s_barrier_signal -1
	s_barrier_wait -1
	s_and_saveexec_b32 s41, vcc_hi
	s_cbranch_execz .LBB122_137
; %bb.136:                              ;   in Loop: Header=BB122_3 Depth=1
	ds_load_b64 v[50:51], v68 offset:27008
	ds_load_b64 v[100:101], v66
	s_wait_dscnt 0x0
	v_fma_f64 v[2:3], -v[50:51], v[100:101], v[2:3]
.LBB122_137:                            ;   in Loop: Header=BB122_3 Depth=1
	s_or_b32 exec_lo, exec_lo, s41
	s_barrier_signal -1
	s_barrier_wait -1
	s_and_saveexec_b32 s41, s31
; %bb.138:                              ;   in Loop: Header=BB122_3 Depth=1
	s_delay_alu instid0(VALU_DEP_1) | instskip(NEXT) | instid1(VALU_DEP_2)
	v_xor_b32_e32 v51, 0x80000000, v3
	v_mov_b32_e32 v50, v2
	ds_store_b64 v66, v[50:51]
; %bb.139:                              ;   in Loop: Header=BB122_3 Depth=1
	s_or_b32 exec_lo, exec_lo, s41
	s_wait_dscnt 0x0
	s_barrier_signal -1
	s_barrier_wait -1
	s_and_saveexec_b32 s41, s33
	s_cbranch_execz .LBB122_141
; %bb.140:                              ;   in Loop: Header=BB122_3 Depth=1
	ds_load_b64 v[50:51], v68 offset:26496
	ds_load_b64 v[100:101], v66
	s_wait_dscnt 0x0
	v_fma_f64 v[2:3], -v[50:51], v[100:101], v[2:3]
.LBB122_141:                            ;   in Loop: Header=BB122_3 Depth=1
	s_or_b32 exec_lo, exec_lo, s41
	s_barrier_signal -1
	s_barrier_wait -1
	s_and_saveexec_b32 s41, s34
; %bb.142:                              ;   in Loop: Header=BB122_3 Depth=1
	s_delay_alu instid0(VALU_DEP_1) | instskip(NEXT) | instid1(VALU_DEP_2)
	v_xor_b32_e32 v51, 0x80000000, v3
	v_mov_b32_e32 v50, v2
	ds_store_b64 v66, v[50:51]
; %bb.143:                              ;   in Loop: Header=BB122_3 Depth=1
	s_or_b32 exec_lo, exec_lo, s41
	s_wait_dscnt 0x0
	s_barrier_signal -1
	s_barrier_wait -1
	s_and_saveexec_b32 s41, s35
	;; [unrolled: 22-line block ×3, first 2 shown]
	s_cbranch_execz .LBB122_149
; %bb.148:                              ;   in Loop: Header=BB122_3 Depth=1
	ds_load_b64 v[50:51], v7 offset:25472
	ds_load_b64 v[100:101], v66
	s_wait_dscnt 0x0
	v_fma_f64 v[2:3], -v[50:51], v[100:101], v[2:3]
.LBB122_149:                            ;   in Loop: Header=BB122_3 Depth=1
	s_or_b32 exec_lo, exec_lo, s41
	s_barrier_signal -1
	s_barrier_wait -1
	s_and_saveexec_b32 s41, s37
; %bb.150:                              ;   in Loop: Header=BB122_3 Depth=1
	s_delay_alu instid0(VALU_DEP_1) | instskip(NEXT) | instid1(VALU_DEP_2)
	v_xor_b32_e32 v51, 0x80000000, v3
	v_mov_b32_e32 v50, v2
	ds_store_b64 v66, v[50:51]
; %bb.151:                              ;   in Loop: Header=BB122_3 Depth=1
	s_or_b32 exec_lo, exec_lo, s41
	s_wait_dscnt 0x0
	s_barrier_signal -1
	s_barrier_wait -1
	s_barrier_signal -1
	s_barrier_wait -1
	s_and_saveexec_b32 s41, s4
; %bb.152:                              ;   in Loop: Header=BB122_3 Depth=1
	ds_store_b64 v72, v[2:3] offset:32640
; %bb.153:                              ;   in Loop: Header=BB122_3 Depth=1
	s_or_b32 exec_lo, exec_lo, s41
	s_wait_dscnt 0x0
	s_barrier_signal -1
	s_barrier_wait -1
	s_barrier_signal -1
	s_barrier_wait -1
	s_and_saveexec_b32 s41, s38
	s_cbranch_execz .LBB122_155
; %bb.154:                              ;   in Loop: Header=BB122_3 Depth=1
	ds_load_b64 v[2:3], v70 offset:29056
	s_wait_dscnt 0x0
	ds_store_b64 v71, v[2:3] offset:25024
	ds_load_b64 v[2:3], v70 offset:29064
	s_wait_dscnt 0x0
	ds_store_b64 v71, v[2:3] offset:25536
	;; [unrolled: 3-line block ×8, first 2 shown]
.LBB122_155:                            ;   in Loop: Header=BB122_3 Depth=1
	s_or_b32 exec_lo, exec_lo, s41
	s_wait_dscnt 0x0
	s_barrier_signal -1
	s_barrier_wait -1
	s_and_saveexec_b32 s41, s10
	s_cbranch_execz .LBB122_157
; %bb.156:                              ;   in Loop: Header=BB122_3 Depth=1
	ds_load_b64 v[2:3], v7 offset:28592
	v_mov_b32_e32 v0, v7
	ds_store_b64 v7, v[34:35] offset:28600
	s_wait_dscnt 0x1
	ds_store_b128 v7, v[0:3] offset:28080
.LBB122_157:                            ;   in Loop: Header=BB122_3 Depth=1
	s_or_b32 exec_lo, exec_lo, s41
	v_mov_b64_e32 v[2:3], 0
	s_wait_dscnt 0x0
	s_barrier_signal -1
	s_barrier_wait -1
	global_wb scope:SCOPE_DEV
	s_wait_storecnt 0x0
	global_inv scope:SCOPE_DEV
	s_and_saveexec_b32 s41, s1
	s_cbranch_execz .LBB122_161
; %bb.158:                              ;   in Loop: Header=BB122_3 Depth=1
	ds_load_b64 v[2:3], v54 offset:28064
	ds_load_b64 v[50:51], v53 offset:28592
	s_wait_dscnt 0x0
	v_fma_f64 v[2:3], v[2:3], v[50:51], 0
	s_and_saveexec_b32 s42, s11
	s_cbranch_execz .LBB122_160
; %bb.159:                              ;   in Loop: Header=BB122_3 Depth=1
	ds_load_b64 v[50:51], v71 offset:28576
	ds_load_b64 v[100:101], v7 offset:28600
	s_wait_dscnt 0x0
	v_fmac_f64_e32 v[2:3], v[50:51], v[100:101]
.LBB122_160:                            ;   in Loop: Header=BB122_3 Depth=1
	s_or_b32 exec_lo, exec_lo, s42
.LBB122_161:                            ;   in Loop: Header=BB122_3 Depth=1
	s_delay_alu instid0(SALU_CYCLE_1)
	s_or_b32 exec_lo, exec_lo, s41
	s_and_saveexec_b32 s41, s88
; %bb.162:                              ;   in Loop: Header=BB122_3 Depth=1
	s_delay_alu instid0(VALU_DEP_1) | instskip(NEXT) | instid1(VALU_DEP_2)
	v_xor_b32_e32 v51, 0x80000000, v3
	v_mov_b32_e32 v50, v2
	ds_store_b64 v52, v[50:51]
; %bb.163:                              ;   in Loop: Header=BB122_3 Depth=1
	s_or_b32 exec_lo, exec_lo, s41
	s_wait_loadcnt_dscnt 0x0
	s_barrier_signal -1
	s_barrier_wait -1
	s_and_saveexec_b32 s41, s89
	s_cbranch_execz .LBB122_165
; %bb.164:                              ;   in Loop: Header=BB122_3 Depth=1
	ds_load_b64 v[50:51], v7 offset:27552
	ds_load_b64 v[100:101], v52
	s_wait_dscnt 0x0
	v_fma_f64 v[2:3], -v[50:51], v[100:101], v[2:3]
.LBB122_165:                            ;   in Loop: Header=BB122_3 Depth=1
	s_or_b32 exec_lo, exec_lo, s41
	s_barrier_signal -1
	s_barrier_wait -1
	s_and_saveexec_b32 s41, s89
; %bb.166:                              ;   in Loop: Header=BB122_3 Depth=1
	s_delay_alu instid0(VALU_DEP_1) | instskip(NEXT) | instid1(VALU_DEP_2)
	v_xor_b32_e32 v51, 0x80000000, v3
	v_mov_b32_e32 v50, v2
	ds_store_b64 v52, v[50:51]
; %bb.167:                              ;   in Loop: Header=BB122_3 Depth=1
	s_or_b32 exec_lo, exec_lo, s41
	s_wait_dscnt 0x0
	s_barrier_signal -1
	s_barrier_wait -1
	s_barrier_signal -1
	s_barrier_wait -1
	s_and_saveexec_b32 s41, s1
; %bb.168:                              ;   in Loop: Header=BB122_3 Depth=1
	ds_store_b64 v56, v[2:3] offset:28576
; %bb.169:                              ;   in Loop: Header=BB122_3 Depth=1
	s_or_b32 exec_lo, exec_lo, s41
	s_wait_dscnt 0x0
	s_barrier_signal -1
	s_barrier_wait -1
	s_barrier_signal -1
	s_barrier_wait -1
	s_and_saveexec_b32 s41, s90
	s_cbranch_execz .LBB122_171
; %bb.170:                              ;   in Loop: Header=BB122_3 Depth=1
	ds_load_b64 v[2:3], v73 offset:28064
	s_wait_dscnt 0x0
	ds_store_b64 v71, v[2:3] offset:27056
	ds_load_b64 v[2:3], v73 offset:28072
	s_wait_dscnt 0x0
	ds_store_b64 v71, v[2:3] offset:27568
.LBB122_171:                            ;   in Loop: Header=BB122_3 Depth=1
	s_or_b32 exec_lo, exec_lo, s41
	s_wait_dscnt 0x0
	s_barrier_signal -1
	s_barrier_wait -1
	s_and_saveexec_b32 s41, s10
	s_cbranch_execz .LBB122_173
; %bb.172:                              ;   in Loop: Header=BB122_3 Depth=1
	ds_load_b64 v[2:3], v7 offset:27552
	v_mov_b32_e32 v0, v7
	ds_store_b64 v7, v[34:35] offset:27560
	s_wait_dscnt 0x1
	ds_store_b128 v7, v[0:3] offset:27040
.LBB122_173:                            ;   in Loop: Header=BB122_3 Depth=1
	s_or_b32 exec_lo, exec_lo, s41
	v_mov_b64_e32 v[2:3], 0
	s_wait_dscnt 0x0
	s_barrier_signal -1
	s_barrier_wait -1
	global_wb scope:SCOPE_DEV
	s_wait_storecnt 0x0
	global_inv scope:SCOPE_DEV
	s_and_saveexec_b32 s41, s3
	s_cbranch_execz .LBB122_179
; %bb.174:                              ;   in Loop: Header=BB122_3 Depth=1
	ds_load_b64 v[2:3], v60 offset:27008
	ds_load_b64 v[50:51], v59 offset:28576
	s_wait_dscnt 0x0
	v_fma_f64 v[2:3], v[2:3], v[50:51], 0
	s_and_saveexec_b32 s42, s12
	s_cbranch_execnz .LBB122_1075
; %bb.175:                              ;   in Loop: Header=BB122_3 Depth=1
	s_or_b32 exec_lo, exec_lo, s42
	s_and_saveexec_b32 s42, s13
	s_cbranch_execnz .LBB122_1076
.LBB122_176:                            ;   in Loop: Header=BB122_3 Depth=1
	s_or_b32 exec_lo, exec_lo, s42
	s_and_saveexec_b32 s42, s1
	s_cbranch_execz .LBB122_178
.LBB122_177:                            ;   in Loop: Header=BB122_3 Depth=1
	ds_load_b64 v[50:51], v5 offset:28544
	ds_load_b64 v[100:101], v7 offset:28600
	s_wait_dscnt 0x0
	v_fmac_f64_e32 v[2:3], v[50:51], v[100:101]
.LBB122_178:                            ;   in Loop: Header=BB122_3 Depth=1
	s_or_b32 exec_lo, exec_lo, s42
.LBB122_179:                            ;   in Loop: Header=BB122_3 Depth=1
	s_delay_alu instid0(SALU_CYCLE_1)
	s_or_b32 exec_lo, exec_lo, s41
	s_and_saveexec_b32 s41, s91
; %bb.180:                              ;   in Loop: Header=BB122_3 Depth=1
	s_delay_alu instid0(VALU_DEP_1) | instskip(NEXT) | instid1(VALU_DEP_2)
	v_xor_b32_e32 v51, 0x80000000, v3
	v_mov_b32_e32 v50, v2
	ds_store_b64 v58, v[50:51]
; %bb.181:                              ;   in Loop: Header=BB122_3 Depth=1
	s_or_b32 exec_lo, exec_lo, s41
	s_wait_loadcnt_dscnt 0x0
	s_barrier_signal -1
	s_barrier_wait -1
	s_and_saveexec_b32 s41, s92
	s_cbranch_execz .LBB122_183
; %bb.182:                              ;   in Loop: Header=BB122_3 Depth=1
	ds_load_b64 v[50:51], v60 offset:26496
	ds_load_b64 v[100:101], v58
	s_wait_dscnt 0x0
	v_fma_f64 v[2:3], -v[50:51], v[100:101], v[2:3]
.LBB122_183:                            ;   in Loop: Header=BB122_3 Depth=1
	s_or_b32 exec_lo, exec_lo, s41
	s_barrier_signal -1
	s_barrier_wait -1
	s_and_saveexec_b32 s41, s93
; %bb.184:                              ;   in Loop: Header=BB122_3 Depth=1
	s_delay_alu instid0(VALU_DEP_1) | instskip(NEXT) | instid1(VALU_DEP_2)
	v_xor_b32_e32 v51, 0x80000000, v3
	v_mov_b32_e32 v50, v2
	ds_store_b64 v58, v[50:51]
; %bb.185:                              ;   in Loop: Header=BB122_3 Depth=1
	s_or_b32 exec_lo, exec_lo, s41
	s_wait_dscnt 0x0
	s_barrier_signal -1
	s_barrier_wait -1
	s_and_saveexec_b32 s41, s94
	s_cbranch_execz .LBB122_187
; %bb.186:                              ;   in Loop: Header=BB122_3 Depth=1
	ds_load_b64 v[50:51], v60 offset:25984
	ds_load_b64 v[100:101], v58
	s_wait_dscnt 0x0
	v_fma_f64 v[2:3], -v[50:51], v[100:101], v[2:3]
.LBB122_187:                            ;   in Loop: Header=BB122_3 Depth=1
	s_or_b32 exec_lo, exec_lo, s41
	s_barrier_signal -1
	s_barrier_wait -1
	s_and_saveexec_b32 s41, s95
; %bb.188:                              ;   in Loop: Header=BB122_3 Depth=1
	s_delay_alu instid0(VALU_DEP_1) | instskip(NEXT) | instid1(VALU_DEP_2)
	v_xor_b32_e32 v51, 0x80000000, v3
	v_mov_b32_e32 v50, v2
	ds_store_b64 v58, v[50:51]
; %bb.189:                              ;   in Loop: Header=BB122_3 Depth=1
	s_or_b32 exec_lo, exec_lo, s41
	s_wait_dscnt 0x0
	;; [unrolled: 22-line block ×3, first 2 shown]
	s_barrier_signal -1
	s_barrier_wait -1
	s_barrier_signal -1
	s_barrier_wait -1
	s_and_saveexec_b32 s41, s3
; %bb.194:                              ;   in Loop: Header=BB122_3 Depth=1
	ds_store_b64 v63, v[2:3] offset:28544
; %bb.195:                              ;   in Loop: Header=BB122_3 Depth=1
	s_or_b32 exec_lo, exec_lo, s41
	s_wait_dscnt 0x0
	s_barrier_signal -1
	s_barrier_wait -1
	s_barrier_signal -1
	s_barrier_wait -1
	s_and_saveexec_b32 s41, s97
	s_cbranch_execz .LBB122_197
; %bb.196:                              ;   in Loop: Header=BB122_3 Depth=1
	ds_load_b64 v[2:3], v11 offset:27008
	s_wait_dscnt 0x0
	ds_store_b64 v84, v[2:3] offset:24992
	ds_load_b64 v[2:3], v11 offset:27016
	s_wait_dscnt 0x0
	ds_store_b64 v84, v[2:3] offset:25504
	;; [unrolled: 3-line block ×4, first 2 shown]
.LBB122_197:                            ;   in Loop: Header=BB122_3 Depth=1
	s_or_b32 exec_lo, exec_lo, s41
	s_wait_dscnt 0x0
	s_barrier_signal -1
	s_barrier_wait -1
	s_and_saveexec_b32 s41, s10
	s_cbranch_execz .LBB122_199
; %bb.198:                              ;   in Loop: Header=BB122_3 Depth=1
	ds_load_b64 v[2:3], v7 offset:26512
	v_mov_b32_e32 v0, v7
	ds_store_b64 v7, v[34:35] offset:26520
	s_wait_dscnt 0x1
	ds_store_b128 v7, v[0:3] offset:26000
.LBB122_199:                            ;   in Loop: Header=BB122_3 Depth=1
	s_or_b32 exec_lo, exec_lo, s41
	v_mov_b64_e32 v[2:3], 0
	s_wait_dscnt 0x0
	s_barrier_signal -1
	s_barrier_wait -1
	global_wb scope:SCOPE_DEV
	s_wait_storecnt 0x0
	global_inv scope:SCOPE_DEV
	s_and_saveexec_b32 s41, s1
	s_cbranch_execz .LBB122_203
; %bb.200:                              ;   in Loop: Header=BB122_3 Depth=1
	ds_load_b64 v[2:3], v54 offset:25984
	ds_load_b64 v[50:51], v53 offset:26512
	s_wait_dscnt 0x0
	v_fma_f64 v[2:3], v[2:3], v[50:51], 0
	s_and_saveexec_b32 s42, s11
	s_cbranch_execz .LBB122_202
; %bb.201:                              ;   in Loop: Header=BB122_3 Depth=1
	ds_load_b64 v[50:51], v84 offset:26496
	ds_load_b64 v[100:101], v7 offset:26520
	s_wait_dscnt 0x0
	v_fmac_f64_e32 v[2:3], v[50:51], v[100:101]
.LBB122_202:                            ;   in Loop: Header=BB122_3 Depth=1
	s_or_b32 exec_lo, exec_lo, s42
.LBB122_203:                            ;   in Loop: Header=BB122_3 Depth=1
	s_delay_alu instid0(SALU_CYCLE_1)
	s_or_b32 exec_lo, exec_lo, s41
	s_and_saveexec_b32 s41, s88
; %bb.204:                              ;   in Loop: Header=BB122_3 Depth=1
	s_delay_alu instid0(VALU_DEP_1) | instskip(NEXT) | instid1(VALU_DEP_2)
	v_xor_b32_e32 v51, 0x80000000, v3
	v_mov_b32_e32 v50, v2
	ds_store_b64 v52, v[50:51]
; %bb.205:                              ;   in Loop: Header=BB122_3 Depth=1
	s_or_b32 exec_lo, exec_lo, s41
	s_wait_loadcnt_dscnt 0x0
	s_barrier_signal -1
	s_barrier_wait -1
	s_and_saveexec_b32 s41, s89
	s_cbranch_execz .LBB122_207
; %bb.206:                              ;   in Loop: Header=BB122_3 Depth=1
	ds_load_b64 v[50:51], v7 offset:25472
	ds_load_b64 v[100:101], v52
	s_wait_dscnt 0x0
	v_fma_f64 v[2:3], -v[50:51], v[100:101], v[2:3]
.LBB122_207:                            ;   in Loop: Header=BB122_3 Depth=1
	s_or_b32 exec_lo, exec_lo, s41
	s_barrier_signal -1
	s_barrier_wait -1
	s_and_saveexec_b32 s41, s89
; %bb.208:                              ;   in Loop: Header=BB122_3 Depth=1
	s_delay_alu instid0(VALU_DEP_1) | instskip(NEXT) | instid1(VALU_DEP_2)
	v_xor_b32_e32 v51, 0x80000000, v3
	v_mov_b32_e32 v50, v2
	ds_store_b64 v52, v[50:51]
; %bb.209:                              ;   in Loop: Header=BB122_3 Depth=1
	s_or_b32 exec_lo, exec_lo, s41
	s_wait_dscnt 0x0
	s_barrier_signal -1
	s_barrier_wait -1
	s_barrier_signal -1
	s_barrier_wait -1
	s_and_saveexec_b32 s41, s1
; %bb.210:                              ;   in Loop: Header=BB122_3 Depth=1
	ds_store_b64 v56, v[2:3] offset:26496
; %bb.211:                              ;   in Loop: Header=BB122_3 Depth=1
	s_or_b32 exec_lo, exec_lo, s41
	s_wait_dscnt 0x0
	s_barrier_signal -1
	s_barrier_wait -1
	s_barrier_signal -1
	s_barrier_wait -1
	s_and_saveexec_b32 s41, s90
	s_cbranch_execz .LBB122_213
; %bb.212:                              ;   in Loop: Header=BB122_3 Depth=1
	ds_load_b64 v[2:3], v88 offset:25984
	s_wait_dscnt 0x0
	ds_store_b64 v84, v[2:3] offset:24976
	ds_load_b64 v[2:3], v88 offset:25992
	s_wait_dscnt 0x0
	ds_store_b64 v84, v[2:3] offset:25488
.LBB122_213:                            ;   in Loop: Header=BB122_3 Depth=1
	s_or_b32 exec_lo, exec_lo, s41
	s_wait_dscnt 0x0
	s_barrier_signal -1
	s_barrier_wait -1
	s_and_saveexec_b32 s41, s10
	s_cbranch_execz .LBB122_215
; %bb.214:                              ;   in Loop: Header=BB122_3 Depth=1
	ds_load_b64 v[2:3], v7 offset:25472
	v_mov_b32_e32 v0, v7
	ds_store_b64 v7, v[34:35] offset:25480
	s_wait_dscnt 0x1
	ds_store_b128 v7, v[0:3] offset:24960
.LBB122_215:                            ;   in Loop: Header=BB122_3 Depth=1
	s_or_b32 exec_lo, exec_lo, s41
	v_mov_b64_e32 v[2:3], 0
	s_wait_dscnt 0x0
	s_barrier_signal -1
	s_barrier_wait -1
	global_wb scope:SCOPE_DEV
	s_wait_storecnt 0x0
	global_inv scope:SCOPE_DEV
	s_and_saveexec_b32 s61, s5
	s_cbranch_execz .LBB122_243
; %bb.216:                              ;   in Loop: Header=BB122_3 Depth=1
	ds_load_b64 v[2:3], v76 offset:24832
	ds_load_b64 v[50:51], v75 offset:32640
	s_wait_dscnt 0x0
	v_fma_f64 v[2:3], v[2:3], v[50:51], 0
	s_mov_b32 s41, exec_lo
	v_readlane_b32 s42, v108, 17
	s_and_b32 s42, s41, s42
	s_delay_alu instid0(SALU_CYCLE_1)
	s_mov_b32 exec_lo, s42
	s_cbranch_execz .LBB122_218
; %bb.217:                              ;   in Loop: Header=BB122_3 Depth=1
	ds_load_b64 v[50:51], v76 offset:25344
	ds_load_b64 v[100:101], v75 offset:32648
	s_wait_dscnt 0x0
	v_fmac_f64_e32 v[2:3], v[50:51], v[100:101]
.LBB122_218:                            ;   in Loop: Header=BB122_3 Depth=1
	s_or_b32 exec_lo, exec_lo, s41
	s_delay_alu instid0(SALU_CYCLE_1) | instskip(SKIP_2) | instid1(SALU_CYCLE_1)
	s_mov_b32 s41, exec_lo
	v_readlane_b32 s42, v108, 18
	s_and_b32 s42, s41, s42
	s_mov_b32 exec_lo, s42
	s_cbranch_execz .LBB122_220
; %bb.219:                              ;   in Loop: Header=BB122_3 Depth=1
	ds_load_b64 v[50:51], v76 offset:25856
	ds_load_b64 v[100:101], v75 offset:32656
	s_wait_dscnt 0x0
	v_fmac_f64_e32 v[2:3], v[50:51], v[100:101]
.LBB122_220:                            ;   in Loop: Header=BB122_3 Depth=1
	s_or_b32 exec_lo, exec_lo, s41
	s_delay_alu instid0(SALU_CYCLE_1) | instskip(SKIP_2) | instid1(SALU_CYCLE_1)
	s_mov_b32 s41, exec_lo
	v_readlane_b32 s42, v108, 19
	s_and_b32 s42, s41, s42
	;; [unrolled: 13-line block ×10, first 2 shown]
	s_mov_b32 exec_lo, s42
	s_cbranch_execnz .LBB122_1077
; %bb.237:                              ;   in Loop: Header=BB122_3 Depth=1
	s_or_b32 exec_lo, exec_lo, s41
	s_and_saveexec_b32 s41, s4
	s_cbranch_execnz .LBB122_1078
.LBB122_238:                            ;   in Loop: Header=BB122_3 Depth=1
	s_or_b32 exec_lo, exec_lo, s41
	s_and_saveexec_b32 s41, s15
	s_cbranch_execnz .LBB122_1079
.LBB122_239:                            ;   in Loop: Header=BB122_3 Depth=1
	s_or_b32 exec_lo, exec_lo, s41
	s_and_saveexec_b32 s41, s17
	s_cbranch_execnz .LBB122_1080
.LBB122_240:                            ;   in Loop: Header=BB122_3 Depth=1
	s_or_b32 exec_lo, exec_lo, s41
	s_and_saveexec_b32 s41, s3
	s_cbranch_execz .LBB122_242
.LBB122_241:                            ;   in Loop: Header=BB122_3 Depth=1
	ds_load_b64 v[50:51], v55 offset:32512
	ds_load_b64 v[100:101], v7 offset:32760
	s_wait_dscnt 0x0
	v_fmac_f64_e32 v[2:3], v[50:51], v[100:101]
.LBB122_242:                            ;   in Loop: Header=BB122_3 Depth=1
	s_or_b32 exec_lo, exec_lo, s41
.LBB122_243:                            ;   in Loop: Header=BB122_3 Depth=1
	s_delay_alu instid0(SALU_CYCLE_1) | instskip(NEXT) | instid1(SALU_CYCLE_1)
	s_or_b32 exec_lo, exec_lo, s61
	s_mov_b32 s41, exec_lo
	v_readlane_b32 s42, v108, 2
	s_and_b32 s42, s41, s42
	s_delay_alu instid0(SALU_CYCLE_1)
	s_mov_b32 exec_lo, s42
; %bb.244:                              ;   in Loop: Header=BB122_3 Depth=1
	v_xor_b32_e32 v51, 0x80000000, v3
	v_mov_b32_e32 v50, v2
	ds_store_b64 v74, v[50:51]
; %bb.245:                              ;   in Loop: Header=BB122_3 Depth=1
	s_or_b32 exec_lo, exec_lo, s41
	s_wait_loadcnt_dscnt 0x0
	s_barrier_signal -1
	s_barrier_wait -1
	s_mov_b32 s41, exec_lo
	v_readlane_b32 s42, v108, 3
	s_and_b32 s42, s41, s42
	s_delay_alu instid0(SALU_CYCLE_1)
	s_mov_b32 exec_lo, s42
	s_cbranch_execz .LBB122_247
; %bb.246:                              ;   in Loop: Header=BB122_3 Depth=1
	ds_load_b64 v[50:51], v76 offset:24320
	ds_load_b64 v[100:101], v74
	s_wait_dscnt 0x0
	v_fma_f64 v[2:3], -v[50:51], v[100:101], v[2:3]
.LBB122_247:                            ;   in Loop: Header=BB122_3 Depth=1
	s_or_b32 exec_lo, exec_lo, s41
	s_barrier_signal -1
	s_barrier_wait -1
	s_mov_b32 s41, exec_lo
	v_readlane_b32 s42, v108, 4
	s_and_b32 s42, s41, s42
	s_delay_alu instid0(SALU_CYCLE_1)
	s_mov_b32 exec_lo, s42
; %bb.248:                              ;   in Loop: Header=BB122_3 Depth=1
	v_xor_b32_e32 v51, 0x80000000, v3
	v_mov_b32_e32 v50, v2
	ds_store_b64 v74, v[50:51]
; %bb.249:                              ;   in Loop: Header=BB122_3 Depth=1
	s_or_b32 exec_lo, exec_lo, s41
	s_wait_dscnt 0x0
	s_barrier_signal -1
	s_barrier_wait -1
	s_mov_b32 s41, exec_lo
	v_readlane_b32 s42, v108, 5
	s_and_b32 s42, s41, s42
	s_delay_alu instid0(SALU_CYCLE_1)
	s_mov_b32 exec_lo, s42
	s_cbranch_execz .LBB122_251
; %bb.250:                              ;   in Loop: Header=BB122_3 Depth=1
	ds_load_b64 v[50:51], v76 offset:23808
	ds_load_b64 v[100:101], v74
	s_wait_dscnt 0x0
	v_fma_f64 v[2:3], -v[50:51], v[100:101], v[2:3]
.LBB122_251:                            ;   in Loop: Header=BB122_3 Depth=1
	s_or_b32 exec_lo, exec_lo, s41
	s_barrier_signal -1
	s_barrier_wait -1
	s_mov_b32 s41, exec_lo
	v_readlane_b32 s42, v108, 6
	s_and_b32 s42, s41, s42
	s_delay_alu instid0(SALU_CYCLE_1)
	s_mov_b32 exec_lo, s42
; %bb.252:                              ;   in Loop: Header=BB122_3 Depth=1
	v_xor_b32_e32 v51, 0x80000000, v3
	v_mov_b32_e32 v50, v2
	ds_store_b64 v74, v[50:51]
; %bb.253:                              ;   in Loop: Header=BB122_3 Depth=1
	s_or_b32 exec_lo, exec_lo, s41
	s_wait_dscnt 0x0
	s_barrier_signal -1
	s_barrier_wait -1
	s_and_saveexec_b32 s41, s44
	s_cbranch_execz .LBB122_255
; %bb.254:                              ;   in Loop: Header=BB122_3 Depth=1
	ds_load_b64 v[50:51], v76 offset:23296
	ds_load_b64 v[100:101], v74
	s_wait_dscnt 0x0
	v_fma_f64 v[2:3], -v[50:51], v[100:101], v[2:3]
.LBB122_255:                            ;   in Loop: Header=BB122_3 Depth=1
	s_or_b32 exec_lo, exec_lo, s41
	s_barrier_signal -1
	s_barrier_wait -1
	s_and_saveexec_b32 s41, s45
; %bb.256:                              ;   in Loop: Header=BB122_3 Depth=1
	s_delay_alu instid0(VALU_DEP_1) | instskip(NEXT) | instid1(VALU_DEP_2)
	v_xor_b32_e32 v51, 0x80000000, v3
	v_mov_b32_e32 v50, v2
	ds_store_b64 v74, v[50:51]
; %bb.257:                              ;   in Loop: Header=BB122_3 Depth=1
	s_or_b32 exec_lo, exec_lo, s41
	s_wait_dscnt 0x0
	s_barrier_signal -1
	s_barrier_wait -1
	s_and_saveexec_b32 s41, s46
	s_cbranch_execz .LBB122_259
; %bb.258:                              ;   in Loop: Header=BB122_3 Depth=1
	ds_load_b64 v[50:51], v76 offset:22784
	ds_load_b64 v[100:101], v74
	s_wait_dscnt 0x0
	v_fma_f64 v[2:3], -v[50:51], v[100:101], v[2:3]
.LBB122_259:                            ;   in Loop: Header=BB122_3 Depth=1
	s_or_b32 exec_lo, exec_lo, s41
	s_barrier_signal -1
	s_barrier_wait -1
	s_and_saveexec_b32 s41, s47
; %bb.260:                              ;   in Loop: Header=BB122_3 Depth=1
	s_delay_alu instid0(VALU_DEP_1) | instskip(NEXT) | instid1(VALU_DEP_2)
	;; [unrolled: 22-line block ×13, first 2 shown]
	v_xor_b32_e32 v51, 0x80000000, v3
	v_mov_b32_e32 v50, v2
	ds_store_b64 v74, v[50:51]
; %bb.305:                              ;   in Loop: Header=BB122_3 Depth=1
	s_or_b32 exec_lo, exec_lo, s41
	s_wait_dscnt 0x0
	s_barrier_signal -1
	s_barrier_wait -1
	s_barrier_signal -1
	s_barrier_wait -1
	s_and_saveexec_b32 s41, s5
; %bb.306:                              ;   in Loop: Header=BB122_3 Depth=1
	ds_store_b64 v78, v[2:3] offset:32512
; %bb.307:                              ;   in Loop: Header=BB122_3 Depth=1
	s_or_b32 exec_lo, exec_lo, s41
	s_wait_dscnt 0x0
	s_barrier_signal -1
	s_barrier_wait -1
	s_barrier_signal -1
	s_barrier_wait -1
	s_and_saveexec_b32 s41, s28
	s_cbranch_execz .LBB122_309
; %bb.308:                              ;   in Loop: Header=BB122_3 Depth=1
	ds_load_b64 v[2:3], v57 offset:24832
	s_wait_dscnt 0x0
	ds_store_b64 v61, v[2:3] offset:16768
	ds_load_b64 v[2:3], v57 offset:24840
	s_wait_dscnt 0x0
	ds_store_b64 v61, v[2:3] offset:17280
	;; [unrolled: 3-line block ×16, first 2 shown]
.LBB122_309:                            ;   in Loop: Header=BB122_3 Depth=1
	s_or_b32 exec_lo, exec_lo, s41
	s_wait_dscnt 0x0
	s_barrier_signal -1
	s_barrier_wait -1
	s_and_saveexec_b32 s41, s10
	s_cbranch_execz .LBB122_311
; %bb.310:                              ;   in Loop: Header=BB122_3 Depth=1
	ds_load_b64 v[2:3], v7 offset:24432
	v_mov_b32_e32 v0, v7
	ds_store_b64 v7, v[34:35] offset:24440
	s_wait_dscnt 0x1
	ds_store_b128 v7, v[0:3] offset:23920
.LBB122_311:                            ;   in Loop: Header=BB122_3 Depth=1
	s_or_b32 exec_lo, exec_lo, s41
	v_mov_b64_e32 v[2:3], 0
	s_wait_dscnt 0x0
	s_barrier_signal -1
	s_barrier_wait -1
	global_wb scope:SCOPE_DEV
	s_wait_storecnt 0x0
	global_inv scope:SCOPE_DEV
	s_and_saveexec_b32 s41, s1
	s_cbranch_execz .LBB122_315
; %bb.312:                              ;   in Loop: Header=BB122_3 Depth=1
	ds_load_b64 v[2:3], v54 offset:23904
	ds_load_b64 v[50:51], v53 offset:24432
	s_wait_dscnt 0x0
	v_fma_f64 v[2:3], v[2:3], v[50:51], 0
	s_and_saveexec_b32 s42, s11
	s_cbranch_execz .LBB122_314
; %bb.313:                              ;   in Loop: Header=BB122_3 Depth=1
	ds_load_b64 v[50:51], v55 offset:24416
	ds_load_b64 v[100:101], v7 offset:24440
	s_wait_dscnt 0x0
	v_fmac_f64_e32 v[2:3], v[50:51], v[100:101]
.LBB122_314:                            ;   in Loop: Header=BB122_3 Depth=1
	s_or_b32 exec_lo, exec_lo, s42
.LBB122_315:                            ;   in Loop: Header=BB122_3 Depth=1
	s_delay_alu instid0(SALU_CYCLE_1)
	s_or_b32 exec_lo, exec_lo, s41
	s_and_saveexec_b32 s41, s88
; %bb.316:                              ;   in Loop: Header=BB122_3 Depth=1
	s_delay_alu instid0(VALU_DEP_1) | instskip(NEXT) | instid1(VALU_DEP_2)
	v_xor_b32_e32 v51, 0x80000000, v3
	v_mov_b32_e32 v50, v2
	ds_store_b64 v52, v[50:51]
; %bb.317:                              ;   in Loop: Header=BB122_3 Depth=1
	s_or_b32 exec_lo, exec_lo, s41
	s_wait_loadcnt_dscnt 0x0
	s_barrier_signal -1
	s_barrier_wait -1
	s_and_saveexec_b32 s41, s89
	s_cbranch_execz .LBB122_319
; %bb.318:                              ;   in Loop: Header=BB122_3 Depth=1
	ds_load_b64 v[50:51], v7 offset:23392
	ds_load_b64 v[100:101], v52
	s_wait_dscnt 0x0
	v_fma_f64 v[2:3], -v[50:51], v[100:101], v[2:3]
.LBB122_319:                            ;   in Loop: Header=BB122_3 Depth=1
	s_or_b32 exec_lo, exec_lo, s41
	s_barrier_signal -1
	s_barrier_wait -1
	s_and_saveexec_b32 s41, s89
; %bb.320:                              ;   in Loop: Header=BB122_3 Depth=1
	s_delay_alu instid0(VALU_DEP_1) | instskip(NEXT) | instid1(VALU_DEP_2)
	v_xor_b32_e32 v51, 0x80000000, v3
	v_mov_b32_e32 v50, v2
	ds_store_b64 v52, v[50:51]
; %bb.321:                              ;   in Loop: Header=BB122_3 Depth=1
	s_or_b32 exec_lo, exec_lo, s41
	s_wait_dscnt 0x0
	s_barrier_signal -1
	s_barrier_wait -1
	s_barrier_signal -1
	s_barrier_wait -1
	s_and_saveexec_b32 s41, s1
; %bb.322:                              ;   in Loop: Header=BB122_3 Depth=1
	ds_store_b64 v56, v[2:3] offset:24416
; %bb.323:                              ;   in Loop: Header=BB122_3 Depth=1
	s_or_b32 exec_lo, exec_lo, s41
	s_wait_dscnt 0x0
	s_barrier_signal -1
	s_barrier_wait -1
	s_barrier_signal -1
	s_barrier_wait -1
	s_and_saveexec_b32 s41, s90
	s_cbranch_execz .LBB122_325
; %bb.324:                              ;   in Loop: Header=BB122_3 Depth=1
	ds_load_b64 v[2:3], v57 offset:23904
	s_wait_dscnt 0x0
	ds_store_b64 v55, v[2:3] offset:22896
	ds_load_b64 v[2:3], v57 offset:23912
	s_wait_dscnt 0x0
	ds_store_b64 v55, v[2:3] offset:23408
.LBB122_325:                            ;   in Loop: Header=BB122_3 Depth=1
	s_or_b32 exec_lo, exec_lo, s41
	s_wait_dscnt 0x0
	s_barrier_signal -1
	s_barrier_wait -1
	s_and_saveexec_b32 s41, s10
	s_cbranch_execz .LBB122_327
; %bb.326:                              ;   in Loop: Header=BB122_3 Depth=1
	ds_load_b64 v[2:3], v7 offset:23392
	v_mov_b32_e32 v0, v7
	ds_store_b64 v7, v[34:35] offset:23400
	s_wait_dscnt 0x1
	ds_store_b128 v7, v[0:3] offset:22880
.LBB122_327:                            ;   in Loop: Header=BB122_3 Depth=1
	s_or_b32 exec_lo, exec_lo, s41
	v_mov_b64_e32 v[2:3], 0
	s_wait_dscnt 0x0
	s_barrier_signal -1
	s_barrier_wait -1
	global_wb scope:SCOPE_DEV
	s_wait_storecnt 0x0
	global_inv scope:SCOPE_DEV
	s_and_saveexec_b32 s41, s3
	s_cbranch_execz .LBB122_333
; %bb.328:                              ;   in Loop: Header=BB122_3 Depth=1
	ds_load_b64 v[2:3], v60 offset:22848
	ds_load_b64 v[50:51], v59 offset:24416
	s_wait_dscnt 0x0
	v_fma_f64 v[2:3], v[2:3], v[50:51], 0
	s_and_saveexec_b32 s42, s12
	s_cbranch_execnz .LBB122_1081
; %bb.329:                              ;   in Loop: Header=BB122_3 Depth=1
	s_or_b32 exec_lo, exec_lo, s42
	s_and_saveexec_b32 s42, s13
	s_cbranch_execnz .LBB122_1082
.LBB122_330:                            ;   in Loop: Header=BB122_3 Depth=1
	s_or_b32 exec_lo, exec_lo, s42
	s_and_saveexec_b32 s42, s1
	s_cbranch_execz .LBB122_332
.LBB122_331:                            ;   in Loop: Header=BB122_3 Depth=1
	ds_load_b64 v[50:51], v61 offset:24384
	ds_load_b64 v[100:101], v7 offset:24440
	s_wait_dscnt 0x0
	v_fmac_f64_e32 v[2:3], v[50:51], v[100:101]
.LBB122_332:                            ;   in Loop: Header=BB122_3 Depth=1
	s_or_b32 exec_lo, exec_lo, s42
.LBB122_333:                            ;   in Loop: Header=BB122_3 Depth=1
	s_delay_alu instid0(SALU_CYCLE_1)
	s_or_b32 exec_lo, exec_lo, s41
	s_and_saveexec_b32 s41, s91
; %bb.334:                              ;   in Loop: Header=BB122_3 Depth=1
	s_delay_alu instid0(VALU_DEP_1) | instskip(NEXT) | instid1(VALU_DEP_2)
	v_xor_b32_e32 v51, 0x80000000, v3
	v_mov_b32_e32 v50, v2
	ds_store_b64 v58, v[50:51]
; %bb.335:                              ;   in Loop: Header=BB122_3 Depth=1
	s_or_b32 exec_lo, exec_lo, s41
	s_wait_loadcnt_dscnt 0x0
	s_barrier_signal -1
	s_barrier_wait -1
	s_and_saveexec_b32 s41, s92
	s_cbranch_execz .LBB122_337
; %bb.336:                              ;   in Loop: Header=BB122_3 Depth=1
	ds_load_b64 v[50:51], v60 offset:22336
	ds_load_b64 v[100:101], v58
	s_wait_dscnt 0x0
	v_fma_f64 v[2:3], -v[50:51], v[100:101], v[2:3]
.LBB122_337:                            ;   in Loop: Header=BB122_3 Depth=1
	s_or_b32 exec_lo, exec_lo, s41
	s_barrier_signal -1
	s_barrier_wait -1
	s_and_saveexec_b32 s41, s93
; %bb.338:                              ;   in Loop: Header=BB122_3 Depth=1
	s_delay_alu instid0(VALU_DEP_1) | instskip(NEXT) | instid1(VALU_DEP_2)
	v_xor_b32_e32 v51, 0x80000000, v3
	v_mov_b32_e32 v50, v2
	ds_store_b64 v58, v[50:51]
; %bb.339:                              ;   in Loop: Header=BB122_3 Depth=1
	s_or_b32 exec_lo, exec_lo, s41
	s_wait_dscnt 0x0
	s_barrier_signal -1
	s_barrier_wait -1
	s_and_saveexec_b32 s41, s94
	s_cbranch_execz .LBB122_341
; %bb.340:                              ;   in Loop: Header=BB122_3 Depth=1
	ds_load_b64 v[50:51], v60 offset:21824
	ds_load_b64 v[100:101], v58
	s_wait_dscnt 0x0
	v_fma_f64 v[2:3], -v[50:51], v[100:101], v[2:3]
.LBB122_341:                            ;   in Loop: Header=BB122_3 Depth=1
	s_or_b32 exec_lo, exec_lo, s41
	s_barrier_signal -1
	s_barrier_wait -1
	s_and_saveexec_b32 s41, s95
; %bb.342:                              ;   in Loop: Header=BB122_3 Depth=1
	s_delay_alu instid0(VALU_DEP_1) | instskip(NEXT) | instid1(VALU_DEP_2)
	v_xor_b32_e32 v51, 0x80000000, v3
	v_mov_b32_e32 v50, v2
	ds_store_b64 v58, v[50:51]
; %bb.343:                              ;   in Loop: Header=BB122_3 Depth=1
	s_or_b32 exec_lo, exec_lo, s41
	s_wait_dscnt 0x0
	;; [unrolled: 22-line block ×3, first 2 shown]
	s_barrier_signal -1
	s_barrier_wait -1
	s_barrier_signal -1
	s_barrier_wait -1
	s_and_saveexec_b32 s41, s3
; %bb.348:                              ;   in Loop: Header=BB122_3 Depth=1
	ds_store_b64 v63, v[2:3] offset:24384
; %bb.349:                              ;   in Loop: Header=BB122_3 Depth=1
	s_or_b32 exec_lo, exec_lo, s41
	s_wait_dscnt 0x0
	s_barrier_signal -1
	s_barrier_wait -1
	s_barrier_signal -1
	s_barrier_wait -1
	s_and_saveexec_b32 s41, s97
	s_cbranch_execz .LBB122_351
; %bb.350:                              ;   in Loop: Header=BB122_3 Depth=1
	ds_load_b64 v[2:3], v62 offset:22848
	s_wait_dscnt 0x0
	ds_store_b64 v64, v[2:3] offset:20832
	ds_load_b64 v[2:3], v62 offset:22856
	s_wait_dscnt 0x0
	ds_store_b64 v64, v[2:3] offset:21344
	;; [unrolled: 3-line block ×4, first 2 shown]
.LBB122_351:                            ;   in Loop: Header=BB122_3 Depth=1
	s_or_b32 exec_lo, exec_lo, s41
	s_wait_dscnt 0x0
	s_barrier_signal -1
	s_barrier_wait -1
	s_and_saveexec_b32 s41, s10
	s_cbranch_execz .LBB122_353
; %bb.352:                              ;   in Loop: Header=BB122_3 Depth=1
	ds_load_b64 v[2:3], v7 offset:22352
	v_mov_b32_e32 v0, v7
	ds_store_b64 v7, v[34:35] offset:22360
	s_wait_dscnt 0x1
	ds_store_b128 v7, v[0:3] offset:21840
.LBB122_353:                            ;   in Loop: Header=BB122_3 Depth=1
	s_or_b32 exec_lo, exec_lo, s41
	v_mov_b64_e32 v[2:3], 0
	s_wait_dscnt 0x0
	s_barrier_signal -1
	s_barrier_wait -1
	global_wb scope:SCOPE_DEV
	s_wait_storecnt 0x0
	global_inv scope:SCOPE_DEV
	s_and_saveexec_b32 s41, s1
	s_cbranch_execz .LBB122_357
; %bb.354:                              ;   in Loop: Header=BB122_3 Depth=1
	ds_load_b64 v[2:3], v54 offset:21824
	ds_load_b64 v[50:51], v53 offset:22352
	s_wait_dscnt 0x0
	v_fma_f64 v[2:3], v[2:3], v[50:51], 0
	s_and_saveexec_b32 s42, s11
	s_cbranch_execz .LBB122_356
; %bb.355:                              ;   in Loop: Header=BB122_3 Depth=1
	ds_load_b64 v[50:51], v64 offset:22336
	ds_load_b64 v[100:101], v7 offset:22360
	s_wait_dscnt 0x0
	v_fmac_f64_e32 v[2:3], v[50:51], v[100:101]
.LBB122_356:                            ;   in Loop: Header=BB122_3 Depth=1
	s_or_b32 exec_lo, exec_lo, s42
.LBB122_357:                            ;   in Loop: Header=BB122_3 Depth=1
	s_delay_alu instid0(SALU_CYCLE_1)
	s_or_b32 exec_lo, exec_lo, s41
	s_and_saveexec_b32 s41, s88
; %bb.358:                              ;   in Loop: Header=BB122_3 Depth=1
	s_delay_alu instid0(VALU_DEP_1) | instskip(NEXT) | instid1(VALU_DEP_2)
	v_xor_b32_e32 v51, 0x80000000, v3
	v_mov_b32_e32 v50, v2
	ds_store_b64 v52, v[50:51]
; %bb.359:                              ;   in Loop: Header=BB122_3 Depth=1
	s_or_b32 exec_lo, exec_lo, s41
	s_wait_loadcnt_dscnt 0x0
	s_barrier_signal -1
	s_barrier_wait -1
	s_and_saveexec_b32 s41, s89
	s_cbranch_execz .LBB122_361
; %bb.360:                              ;   in Loop: Header=BB122_3 Depth=1
	ds_load_b64 v[50:51], v7 offset:21312
	ds_load_b64 v[100:101], v52
	s_wait_dscnt 0x0
	v_fma_f64 v[2:3], -v[50:51], v[100:101], v[2:3]
.LBB122_361:                            ;   in Loop: Header=BB122_3 Depth=1
	s_or_b32 exec_lo, exec_lo, s41
	s_barrier_signal -1
	s_barrier_wait -1
	s_and_saveexec_b32 s41, s89
; %bb.362:                              ;   in Loop: Header=BB122_3 Depth=1
	s_delay_alu instid0(VALU_DEP_1) | instskip(NEXT) | instid1(VALU_DEP_2)
	v_xor_b32_e32 v51, 0x80000000, v3
	v_mov_b32_e32 v50, v2
	ds_store_b64 v52, v[50:51]
; %bb.363:                              ;   in Loop: Header=BB122_3 Depth=1
	s_or_b32 exec_lo, exec_lo, s41
	s_wait_dscnt 0x0
	s_barrier_signal -1
	s_barrier_wait -1
	s_barrier_signal -1
	s_barrier_wait -1
	s_and_saveexec_b32 s41, s1
; %bb.364:                              ;   in Loop: Header=BB122_3 Depth=1
	ds_store_b64 v56, v[2:3] offset:22336
; %bb.365:                              ;   in Loop: Header=BB122_3 Depth=1
	s_or_b32 exec_lo, exec_lo, s41
	s_wait_dscnt 0x0
	s_barrier_signal -1
	s_barrier_wait -1
	s_barrier_signal -1
	s_barrier_wait -1
	s_and_saveexec_b32 s41, s90
	s_cbranch_execz .LBB122_367
; %bb.366:                              ;   in Loop: Header=BB122_3 Depth=1
	ds_load_b64 v[2:3], v65 offset:21824
	s_wait_dscnt 0x0
	ds_store_b64 v64, v[2:3] offset:20816
	ds_load_b64 v[2:3], v65 offset:21832
	s_wait_dscnt 0x0
	ds_store_b64 v64, v[2:3] offset:21328
.LBB122_367:                            ;   in Loop: Header=BB122_3 Depth=1
	s_or_b32 exec_lo, exec_lo, s41
	s_wait_dscnt 0x0
	s_barrier_signal -1
	s_barrier_wait -1
	s_and_saveexec_b32 s41, s10
	s_cbranch_execz .LBB122_369
; %bb.368:                              ;   in Loop: Header=BB122_3 Depth=1
	ds_load_b64 v[2:3], v7 offset:21312
	v_mov_b32_e32 v0, v7
	ds_store_b64 v7, v[34:35] offset:21320
	s_wait_dscnt 0x1
	ds_store_b128 v7, v[0:3] offset:20800
.LBB122_369:                            ;   in Loop: Header=BB122_3 Depth=1
	s_or_b32 exec_lo, exec_lo, s41
	v_mov_b64_e32 v[2:3], 0
	s_wait_dscnt 0x0
	s_barrier_signal -1
	s_barrier_wait -1
	global_wb scope:SCOPE_DEV
	s_wait_storecnt 0x0
	global_inv scope:SCOPE_DEV
	s_and_saveexec_b32 s41, s4
	s_cbranch_execz .LBB122_379
; %bb.370:                              ;   in Loop: Header=BB122_3 Depth=1
	ds_load_b64 v[2:3], v68 offset:20736
	ds_load_b64 v[50:51], v67 offset:24384
	s_wait_dscnt 0x0
	v_fma_f64 v[2:3], v[2:3], v[50:51], 0
	s_and_saveexec_b32 s42, s14
	s_cbranch_execnz .LBB122_1083
; %bb.371:                              ;   in Loop: Header=BB122_3 Depth=1
	s_or_b32 exec_lo, exec_lo, s42
	s_and_saveexec_b32 s42, s15
	s_cbranch_execnz .LBB122_1084
.LBB122_372:                            ;   in Loop: Header=BB122_3 Depth=1
	s_or_b32 exec_lo, exec_lo, s42
	s_and_saveexec_b32 s42, s16
	s_cbranch_execnz .LBB122_1085
.LBB122_373:                            ;   in Loop: Header=BB122_3 Depth=1
	s_or_b32 exec_lo, exec_lo, s42
	s_and_saveexec_b32 s42, s17
	s_cbranch_execnz .LBB122_1086
.LBB122_374:                            ;   in Loop: Header=BB122_3 Depth=1
	s_or_b32 exec_lo, exec_lo, s42
	s_and_saveexec_b32 s42, s18
	s_cbranch_execnz .LBB122_1087
.LBB122_375:                            ;   in Loop: Header=BB122_3 Depth=1
	s_or_b32 exec_lo, exec_lo, s42
	s_and_saveexec_b32 s42, s3
	s_cbranch_execnz .LBB122_1088
.LBB122_376:                            ;   in Loop: Header=BB122_3 Depth=1
	s_or_b32 exec_lo, exec_lo, s42
	s_and_saveexec_b32 s42, s13
	s_cbranch_execz .LBB122_378
.LBB122_377:                            ;   in Loop: Header=BB122_3 Depth=1
	ds_load_b64 v[50:51], v69 offset:24320
	ds_load_b64 v[100:101], v7 offset:24440
	s_wait_dscnt 0x0
	v_fmac_f64_e32 v[2:3], v[50:51], v[100:101]
.LBB122_378:                            ;   in Loop: Header=BB122_3 Depth=1
	s_or_b32 exec_lo, exec_lo, s42
.LBB122_379:                            ;   in Loop: Header=BB122_3 Depth=1
	s_delay_alu instid0(SALU_CYCLE_1)
	s_or_b32 exec_lo, exec_lo, s41
	s_and_saveexec_b32 s41, s98
; %bb.380:                              ;   in Loop: Header=BB122_3 Depth=1
	s_delay_alu instid0(VALU_DEP_1) | instskip(NEXT) | instid1(VALU_DEP_2)
	v_xor_b32_e32 v51, 0x80000000, v3
	v_mov_b32_e32 v50, v2
	ds_store_b64 v66, v[50:51]
; %bb.381:                              ;   in Loop: Header=BB122_3 Depth=1
	s_or_b32 exec_lo, exec_lo, s41
	s_wait_loadcnt_dscnt 0x0
	s_barrier_signal -1
	s_barrier_wait -1
	s_and_saveexec_b32 s41, s99
	s_cbranch_execz .LBB122_383
; %bb.382:                              ;   in Loop: Header=BB122_3 Depth=1
	ds_load_b64 v[50:51], v68 offset:20224
	ds_load_b64 v[100:101], v66
	s_wait_dscnt 0x0
	v_fma_f64 v[2:3], -v[50:51], v[100:101], v[2:3]
.LBB122_383:                            ;   in Loop: Header=BB122_3 Depth=1
	s_or_b32 exec_lo, exec_lo, s41
	s_barrier_signal -1
	s_barrier_wait -1
	s_and_saveexec_b32 s41, s100
; %bb.384:                              ;   in Loop: Header=BB122_3 Depth=1
	s_delay_alu instid0(VALU_DEP_1) | instskip(NEXT) | instid1(VALU_DEP_2)
	v_xor_b32_e32 v51, 0x80000000, v3
	v_mov_b32_e32 v50, v2
	ds_store_b64 v66, v[50:51]
; %bb.385:                              ;   in Loop: Header=BB122_3 Depth=1
	s_or_b32 exec_lo, exec_lo, s41
	s_wait_dscnt 0x0
	s_barrier_signal -1
	s_barrier_wait -1
	s_and_saveexec_b32 s41, s101
	s_cbranch_execz .LBB122_387
; %bb.386:                              ;   in Loop: Header=BB122_3 Depth=1
	ds_load_b64 v[50:51], v68 offset:19712
	ds_load_b64 v[100:101], v66
	s_wait_dscnt 0x0
	v_fma_f64 v[2:3], -v[50:51], v[100:101], v[2:3]
.LBB122_387:                            ;   in Loop: Header=BB122_3 Depth=1
	s_or_b32 exec_lo, exec_lo, s41
	s_barrier_signal -1
	s_barrier_wait -1
	s_and_saveexec_b32 s41, s102
; %bb.388:                              ;   in Loop: Header=BB122_3 Depth=1
	s_delay_alu instid0(VALU_DEP_1) | instskip(NEXT) | instid1(VALU_DEP_2)
	v_xor_b32_e32 v51, 0x80000000, v3
	v_mov_b32_e32 v50, v2
	ds_store_b64 v66, v[50:51]
; %bb.389:                              ;   in Loop: Header=BB122_3 Depth=1
	s_or_b32 exec_lo, exec_lo, s41
	s_wait_dscnt 0x0
	;; [unrolled: 22-line block ×3, first 2 shown]
	s_barrier_signal -1
	s_barrier_wait -1
	s_and_saveexec_b32 s41, vcc_hi
	s_cbranch_execz .LBB122_395
; %bb.394:                              ;   in Loop: Header=BB122_3 Depth=1
	ds_load_b64 v[50:51], v68 offset:18688
	ds_load_b64 v[100:101], v66
	s_wait_dscnt 0x0
	v_fma_f64 v[2:3], -v[50:51], v[100:101], v[2:3]
.LBB122_395:                            ;   in Loop: Header=BB122_3 Depth=1
	s_or_b32 exec_lo, exec_lo, s41
	s_barrier_signal -1
	s_barrier_wait -1
	s_and_saveexec_b32 s41, s31
; %bb.396:                              ;   in Loop: Header=BB122_3 Depth=1
	s_delay_alu instid0(VALU_DEP_1) | instskip(NEXT) | instid1(VALU_DEP_2)
	v_xor_b32_e32 v51, 0x80000000, v3
	v_mov_b32_e32 v50, v2
	ds_store_b64 v66, v[50:51]
; %bb.397:                              ;   in Loop: Header=BB122_3 Depth=1
	s_or_b32 exec_lo, exec_lo, s41
	s_wait_dscnt 0x0
	s_barrier_signal -1
	s_barrier_wait -1
	s_and_saveexec_b32 s41, s33
	s_cbranch_execz .LBB122_399
; %bb.398:                              ;   in Loop: Header=BB122_3 Depth=1
	ds_load_b64 v[50:51], v68 offset:18176
	ds_load_b64 v[100:101], v66
	s_wait_dscnt 0x0
	v_fma_f64 v[2:3], -v[50:51], v[100:101], v[2:3]
.LBB122_399:                            ;   in Loop: Header=BB122_3 Depth=1
	s_or_b32 exec_lo, exec_lo, s41
	s_barrier_signal -1
	s_barrier_wait -1
	s_and_saveexec_b32 s41, s34
; %bb.400:                              ;   in Loop: Header=BB122_3 Depth=1
	s_delay_alu instid0(VALU_DEP_1) | instskip(NEXT) | instid1(VALU_DEP_2)
	v_xor_b32_e32 v51, 0x80000000, v3
	v_mov_b32_e32 v50, v2
	ds_store_b64 v66, v[50:51]
; %bb.401:                              ;   in Loop: Header=BB122_3 Depth=1
	s_or_b32 exec_lo, exec_lo, s41
	s_wait_dscnt 0x0
	s_barrier_signal -1
	s_barrier_wait -1
	s_and_saveexec_b32 s41, s35
	;; [unrolled: 22-line block ×3, first 2 shown]
	s_cbranch_execz .LBB122_407
; %bb.406:                              ;   in Loop: Header=BB122_3 Depth=1
	ds_load_b64 v[50:51], v7 offset:17152
	ds_load_b64 v[100:101], v66
	s_wait_dscnt 0x0
	v_fma_f64 v[2:3], -v[50:51], v[100:101], v[2:3]
.LBB122_407:                            ;   in Loop: Header=BB122_3 Depth=1
	s_or_b32 exec_lo, exec_lo, s41
	s_barrier_signal -1
	s_barrier_wait -1
	s_and_saveexec_b32 s41, s37
; %bb.408:                              ;   in Loop: Header=BB122_3 Depth=1
	s_delay_alu instid0(VALU_DEP_1) | instskip(NEXT) | instid1(VALU_DEP_2)
	v_xor_b32_e32 v51, 0x80000000, v3
	v_mov_b32_e32 v50, v2
	ds_store_b64 v66, v[50:51]
; %bb.409:                              ;   in Loop: Header=BB122_3 Depth=1
	s_or_b32 exec_lo, exec_lo, s41
	s_wait_dscnt 0x0
	s_barrier_signal -1
	s_barrier_wait -1
	s_barrier_signal -1
	s_barrier_wait -1
	s_and_saveexec_b32 s41, s4
; %bb.410:                              ;   in Loop: Header=BB122_3 Depth=1
	ds_store_b64 v72, v[2:3] offset:24320
; %bb.411:                              ;   in Loop: Header=BB122_3 Depth=1
	s_or_b32 exec_lo, exec_lo, s41
	s_wait_dscnt 0x0
	s_barrier_signal -1
	s_barrier_wait -1
	s_barrier_signal -1
	s_barrier_wait -1
	s_and_saveexec_b32 s41, s38
	s_cbranch_execz .LBB122_413
; %bb.412:                              ;   in Loop: Header=BB122_3 Depth=1
	ds_load_b64 v[2:3], v70 offset:20736
	s_wait_dscnt 0x0
	ds_store_b64 v71, v[2:3] offset:16704
	ds_load_b64 v[2:3], v70 offset:20744
	s_wait_dscnt 0x0
	ds_store_b64 v71, v[2:3] offset:17216
	;; [unrolled: 3-line block ×8, first 2 shown]
.LBB122_413:                            ;   in Loop: Header=BB122_3 Depth=1
	s_or_b32 exec_lo, exec_lo, s41
	s_wait_dscnt 0x0
	s_barrier_signal -1
	s_barrier_wait -1
	s_and_saveexec_b32 s41, s10
	s_cbranch_execz .LBB122_415
; %bb.414:                              ;   in Loop: Header=BB122_3 Depth=1
	ds_load_b64 v[2:3], v7 offset:20272
	v_mov_b32_e32 v0, v7
	ds_store_b64 v7, v[34:35] offset:20280
	s_wait_dscnt 0x1
	ds_store_b128 v7, v[0:3] offset:19760
.LBB122_415:                            ;   in Loop: Header=BB122_3 Depth=1
	s_or_b32 exec_lo, exec_lo, s41
	v_mov_b64_e32 v[2:3], 0
	s_wait_dscnt 0x0
	s_barrier_signal -1
	s_barrier_wait -1
	global_wb scope:SCOPE_DEV
	s_wait_storecnt 0x0
	global_inv scope:SCOPE_DEV
	s_and_saveexec_b32 s41, s1
	s_cbranch_execz .LBB122_419
; %bb.416:                              ;   in Loop: Header=BB122_3 Depth=1
	ds_load_b64 v[2:3], v54 offset:19744
	ds_load_b64 v[50:51], v53 offset:20272
	s_wait_dscnt 0x0
	v_fma_f64 v[2:3], v[2:3], v[50:51], 0
	s_and_saveexec_b32 s42, s11
	s_cbranch_execz .LBB122_418
; %bb.417:                              ;   in Loop: Header=BB122_3 Depth=1
	ds_load_b64 v[50:51], v71 offset:20256
	ds_load_b64 v[100:101], v7 offset:20280
	s_wait_dscnt 0x0
	v_fmac_f64_e32 v[2:3], v[50:51], v[100:101]
.LBB122_418:                            ;   in Loop: Header=BB122_3 Depth=1
	s_or_b32 exec_lo, exec_lo, s42
.LBB122_419:                            ;   in Loop: Header=BB122_3 Depth=1
	s_delay_alu instid0(SALU_CYCLE_1)
	s_or_b32 exec_lo, exec_lo, s41
	s_and_saveexec_b32 s41, s88
; %bb.420:                              ;   in Loop: Header=BB122_3 Depth=1
	s_delay_alu instid0(VALU_DEP_1) | instskip(NEXT) | instid1(VALU_DEP_2)
	v_xor_b32_e32 v51, 0x80000000, v3
	v_mov_b32_e32 v50, v2
	ds_store_b64 v52, v[50:51]
; %bb.421:                              ;   in Loop: Header=BB122_3 Depth=1
	s_or_b32 exec_lo, exec_lo, s41
	s_wait_loadcnt_dscnt 0x0
	s_barrier_signal -1
	s_barrier_wait -1
	s_and_saveexec_b32 s41, s89
	s_cbranch_execz .LBB122_423
; %bb.422:                              ;   in Loop: Header=BB122_3 Depth=1
	ds_load_b64 v[50:51], v7 offset:19232
	ds_load_b64 v[100:101], v52
	s_wait_dscnt 0x0
	v_fma_f64 v[2:3], -v[50:51], v[100:101], v[2:3]
.LBB122_423:                            ;   in Loop: Header=BB122_3 Depth=1
	s_or_b32 exec_lo, exec_lo, s41
	s_barrier_signal -1
	s_barrier_wait -1
	s_and_saveexec_b32 s41, s89
; %bb.424:                              ;   in Loop: Header=BB122_3 Depth=1
	s_delay_alu instid0(VALU_DEP_1) | instskip(NEXT) | instid1(VALU_DEP_2)
	v_xor_b32_e32 v51, 0x80000000, v3
	v_mov_b32_e32 v50, v2
	ds_store_b64 v52, v[50:51]
; %bb.425:                              ;   in Loop: Header=BB122_3 Depth=1
	s_or_b32 exec_lo, exec_lo, s41
	s_wait_dscnt 0x0
	s_barrier_signal -1
	s_barrier_wait -1
	s_barrier_signal -1
	s_barrier_wait -1
	s_and_saveexec_b32 s41, s1
; %bb.426:                              ;   in Loop: Header=BB122_3 Depth=1
	ds_store_b64 v56, v[2:3] offset:20256
; %bb.427:                              ;   in Loop: Header=BB122_3 Depth=1
	s_or_b32 exec_lo, exec_lo, s41
	s_wait_dscnt 0x0
	s_barrier_signal -1
	s_barrier_wait -1
	s_barrier_signal -1
	s_barrier_wait -1
	s_and_saveexec_b32 s41, s90
	s_cbranch_execz .LBB122_429
; %bb.428:                              ;   in Loop: Header=BB122_3 Depth=1
	ds_load_b64 v[2:3], v73 offset:19744
	s_wait_dscnt 0x0
	ds_store_b64 v71, v[2:3] offset:18736
	ds_load_b64 v[2:3], v73 offset:19752
	s_wait_dscnt 0x0
	ds_store_b64 v71, v[2:3] offset:19248
.LBB122_429:                            ;   in Loop: Header=BB122_3 Depth=1
	s_or_b32 exec_lo, exec_lo, s41
	s_wait_dscnt 0x0
	s_barrier_signal -1
	s_barrier_wait -1
	s_and_saveexec_b32 s41, s10
	s_cbranch_execz .LBB122_431
; %bb.430:                              ;   in Loop: Header=BB122_3 Depth=1
	ds_load_b64 v[2:3], v7 offset:19232
	v_mov_b32_e32 v0, v7
	ds_store_b64 v7, v[34:35] offset:19240
	s_wait_dscnt 0x1
	ds_store_b128 v7, v[0:3] offset:18720
.LBB122_431:                            ;   in Loop: Header=BB122_3 Depth=1
	s_or_b32 exec_lo, exec_lo, s41
	v_mov_b64_e32 v[2:3], 0
	s_wait_dscnt 0x0
	s_barrier_signal -1
	s_barrier_wait -1
	global_wb scope:SCOPE_DEV
	s_wait_storecnt 0x0
	global_inv scope:SCOPE_DEV
	s_and_saveexec_b32 s41, s3
	s_cbranch_execz .LBB122_437
; %bb.432:                              ;   in Loop: Header=BB122_3 Depth=1
	ds_load_b64 v[2:3], v60 offset:18688
	ds_load_b64 v[50:51], v59 offset:20256
	s_wait_dscnt 0x0
	v_fma_f64 v[2:3], v[2:3], v[50:51], 0
	s_and_saveexec_b32 s42, s12
	s_cbranch_execnz .LBB122_1089
; %bb.433:                              ;   in Loop: Header=BB122_3 Depth=1
	s_or_b32 exec_lo, exec_lo, s42
	s_and_saveexec_b32 s42, s13
	s_cbranch_execnz .LBB122_1090
.LBB122_434:                            ;   in Loop: Header=BB122_3 Depth=1
	s_or_b32 exec_lo, exec_lo, s42
	s_and_saveexec_b32 s42, s1
	s_cbranch_execz .LBB122_436
.LBB122_435:                            ;   in Loop: Header=BB122_3 Depth=1
	ds_load_b64 v[50:51], v5 offset:20224
	ds_load_b64 v[100:101], v7 offset:20280
	s_wait_dscnt 0x0
	v_fmac_f64_e32 v[2:3], v[50:51], v[100:101]
.LBB122_436:                            ;   in Loop: Header=BB122_3 Depth=1
	s_or_b32 exec_lo, exec_lo, s42
.LBB122_437:                            ;   in Loop: Header=BB122_3 Depth=1
	s_delay_alu instid0(SALU_CYCLE_1)
	s_or_b32 exec_lo, exec_lo, s41
	s_and_saveexec_b32 s41, s91
; %bb.438:                              ;   in Loop: Header=BB122_3 Depth=1
	s_delay_alu instid0(VALU_DEP_1) | instskip(NEXT) | instid1(VALU_DEP_2)
	v_xor_b32_e32 v51, 0x80000000, v3
	v_mov_b32_e32 v50, v2
	ds_store_b64 v58, v[50:51]
; %bb.439:                              ;   in Loop: Header=BB122_3 Depth=1
	s_or_b32 exec_lo, exec_lo, s41
	s_wait_loadcnt_dscnt 0x0
	s_barrier_signal -1
	s_barrier_wait -1
	s_and_saveexec_b32 s41, s92
	s_cbranch_execz .LBB122_441
; %bb.440:                              ;   in Loop: Header=BB122_3 Depth=1
	ds_load_b64 v[50:51], v60 offset:18176
	ds_load_b64 v[100:101], v58
	s_wait_dscnt 0x0
	v_fma_f64 v[2:3], -v[50:51], v[100:101], v[2:3]
.LBB122_441:                            ;   in Loop: Header=BB122_3 Depth=1
	s_or_b32 exec_lo, exec_lo, s41
	s_barrier_signal -1
	s_barrier_wait -1
	s_and_saveexec_b32 s41, s93
; %bb.442:                              ;   in Loop: Header=BB122_3 Depth=1
	s_delay_alu instid0(VALU_DEP_1) | instskip(NEXT) | instid1(VALU_DEP_2)
	v_xor_b32_e32 v51, 0x80000000, v3
	v_mov_b32_e32 v50, v2
	ds_store_b64 v58, v[50:51]
; %bb.443:                              ;   in Loop: Header=BB122_3 Depth=1
	s_or_b32 exec_lo, exec_lo, s41
	s_wait_dscnt 0x0
	s_barrier_signal -1
	s_barrier_wait -1
	s_and_saveexec_b32 s41, s94
	s_cbranch_execz .LBB122_445
; %bb.444:                              ;   in Loop: Header=BB122_3 Depth=1
	ds_load_b64 v[50:51], v60 offset:17664
	ds_load_b64 v[100:101], v58
	s_wait_dscnt 0x0
	v_fma_f64 v[2:3], -v[50:51], v[100:101], v[2:3]
.LBB122_445:                            ;   in Loop: Header=BB122_3 Depth=1
	s_or_b32 exec_lo, exec_lo, s41
	s_barrier_signal -1
	s_barrier_wait -1
	s_and_saveexec_b32 s41, s95
; %bb.446:                              ;   in Loop: Header=BB122_3 Depth=1
	s_delay_alu instid0(VALU_DEP_1) | instskip(NEXT) | instid1(VALU_DEP_2)
	v_xor_b32_e32 v51, 0x80000000, v3
	v_mov_b32_e32 v50, v2
	ds_store_b64 v58, v[50:51]
; %bb.447:                              ;   in Loop: Header=BB122_3 Depth=1
	s_or_b32 exec_lo, exec_lo, s41
	s_wait_dscnt 0x0
	;; [unrolled: 22-line block ×3, first 2 shown]
	s_barrier_signal -1
	s_barrier_wait -1
	s_barrier_signal -1
	s_barrier_wait -1
	s_and_saveexec_b32 s41, s3
; %bb.452:                              ;   in Loop: Header=BB122_3 Depth=1
	ds_store_b64 v63, v[2:3] offset:20224
; %bb.453:                              ;   in Loop: Header=BB122_3 Depth=1
	s_or_b32 exec_lo, exec_lo, s41
	s_wait_dscnt 0x0
	s_barrier_signal -1
	s_barrier_wait -1
	s_barrier_signal -1
	s_barrier_wait -1
	s_and_saveexec_b32 s41, s97
	s_cbranch_execz .LBB122_455
; %bb.454:                              ;   in Loop: Header=BB122_3 Depth=1
	ds_load_b64 v[2:3], v11 offset:18688
	s_wait_dscnt 0x0
	ds_store_b64 v84, v[2:3] offset:16672
	ds_load_b64 v[2:3], v11 offset:18696
	s_wait_dscnt 0x0
	ds_store_b64 v84, v[2:3] offset:17184
	;; [unrolled: 3-line block ×4, first 2 shown]
.LBB122_455:                            ;   in Loop: Header=BB122_3 Depth=1
	s_or_b32 exec_lo, exec_lo, s41
	s_wait_dscnt 0x0
	s_barrier_signal -1
	s_barrier_wait -1
	s_and_saveexec_b32 s41, s10
	s_cbranch_execz .LBB122_457
; %bb.456:                              ;   in Loop: Header=BB122_3 Depth=1
	ds_load_b64 v[2:3], v7 offset:18192
	v_mov_b32_e32 v0, v7
	ds_store_b64 v7, v[34:35] offset:18200
	s_wait_dscnt 0x1
	ds_store_b128 v7, v[0:3] offset:17680
.LBB122_457:                            ;   in Loop: Header=BB122_3 Depth=1
	s_or_b32 exec_lo, exec_lo, s41
	v_mov_b64_e32 v[2:3], 0
	s_wait_dscnt 0x0
	s_barrier_signal -1
	s_barrier_wait -1
	global_wb scope:SCOPE_DEV
	s_wait_storecnt 0x0
	global_inv scope:SCOPE_DEV
	s_and_saveexec_b32 s41, s1
	s_cbranch_execz .LBB122_461
; %bb.458:                              ;   in Loop: Header=BB122_3 Depth=1
	ds_load_b64 v[2:3], v54 offset:17664
	ds_load_b64 v[50:51], v53 offset:18192
	s_wait_dscnt 0x0
	v_fma_f64 v[2:3], v[2:3], v[50:51], 0
	s_and_saveexec_b32 s42, s11
	s_cbranch_execz .LBB122_460
; %bb.459:                              ;   in Loop: Header=BB122_3 Depth=1
	ds_load_b64 v[50:51], v84 offset:18176
	ds_load_b64 v[100:101], v7 offset:18200
	s_wait_dscnt 0x0
	v_fmac_f64_e32 v[2:3], v[50:51], v[100:101]
.LBB122_460:                            ;   in Loop: Header=BB122_3 Depth=1
	s_or_b32 exec_lo, exec_lo, s42
.LBB122_461:                            ;   in Loop: Header=BB122_3 Depth=1
	s_delay_alu instid0(SALU_CYCLE_1)
	s_or_b32 exec_lo, exec_lo, s41
	s_and_saveexec_b32 s41, s88
; %bb.462:                              ;   in Loop: Header=BB122_3 Depth=1
	s_delay_alu instid0(VALU_DEP_1) | instskip(NEXT) | instid1(VALU_DEP_2)
	v_xor_b32_e32 v51, 0x80000000, v3
	v_mov_b32_e32 v50, v2
	ds_store_b64 v52, v[50:51]
; %bb.463:                              ;   in Loop: Header=BB122_3 Depth=1
	s_or_b32 exec_lo, exec_lo, s41
	s_wait_loadcnt_dscnt 0x0
	s_barrier_signal -1
	s_barrier_wait -1
	s_and_saveexec_b32 s41, s89
	s_cbranch_execz .LBB122_465
; %bb.464:                              ;   in Loop: Header=BB122_3 Depth=1
	ds_load_b64 v[50:51], v7 offset:17152
	ds_load_b64 v[100:101], v52
	s_wait_dscnt 0x0
	v_fma_f64 v[2:3], -v[50:51], v[100:101], v[2:3]
.LBB122_465:                            ;   in Loop: Header=BB122_3 Depth=1
	s_or_b32 exec_lo, exec_lo, s41
	s_barrier_signal -1
	s_barrier_wait -1
	s_and_saveexec_b32 s41, s89
; %bb.466:                              ;   in Loop: Header=BB122_3 Depth=1
	s_delay_alu instid0(VALU_DEP_1) | instskip(NEXT) | instid1(VALU_DEP_2)
	v_xor_b32_e32 v51, 0x80000000, v3
	v_mov_b32_e32 v50, v2
	ds_store_b64 v52, v[50:51]
; %bb.467:                              ;   in Loop: Header=BB122_3 Depth=1
	s_or_b32 exec_lo, exec_lo, s41
	s_wait_dscnt 0x0
	s_barrier_signal -1
	s_barrier_wait -1
	s_barrier_signal -1
	s_barrier_wait -1
	s_and_saveexec_b32 s41, s1
; %bb.468:                              ;   in Loop: Header=BB122_3 Depth=1
	ds_store_b64 v56, v[2:3] offset:18176
; %bb.469:                              ;   in Loop: Header=BB122_3 Depth=1
	s_or_b32 exec_lo, exec_lo, s41
	s_wait_dscnt 0x0
	s_barrier_signal -1
	s_barrier_wait -1
	s_barrier_signal -1
	s_barrier_wait -1
	s_and_saveexec_b32 s41, s90
	s_cbranch_execz .LBB122_471
; %bb.470:                              ;   in Loop: Header=BB122_3 Depth=1
	ds_load_b64 v[2:3], v88 offset:17664
	s_wait_dscnt 0x0
	ds_store_b64 v84, v[2:3] offset:16656
	ds_load_b64 v[2:3], v88 offset:17672
	s_wait_dscnt 0x0
	ds_store_b64 v84, v[2:3] offset:17168
.LBB122_471:                            ;   in Loop: Header=BB122_3 Depth=1
	s_or_b32 exec_lo, exec_lo, s41
	s_wait_dscnt 0x0
	s_barrier_signal -1
	s_barrier_wait -1
	s_and_saveexec_b32 s41, s10
	s_cbranch_execz .LBB122_473
; %bb.472:                              ;   in Loop: Header=BB122_3 Depth=1
	ds_load_b64 v[2:3], v7 offset:17152
	v_mov_b32_e32 v0, v7
	ds_store_b64 v7, v[34:35] offset:17160
	s_wait_dscnt 0x1
	ds_store_b128 v7, v[0:3] offset:16640
.LBB122_473:                            ;   in Loop: Header=BB122_3 Depth=1
	s_or_b32 exec_lo, exec_lo, s41
	v_mov_b64_e32 v[2:3], 0
	s_wait_dscnt 0x0
	s_barrier_signal -1
	s_barrier_wait -1
	global_wb scope:SCOPE_DEV
	s_wait_storecnt 0x0
	global_inv scope:SCOPE_DEV
	s_and_saveexec_b32 s61, s30
	s_cbranch_execz .LBB122_535
; %bb.474:                              ;   in Loop: Header=BB122_3 Depth=1
	ds_load_b64 v[2:3], v79 offset:16384
	ds_load_b64 v[50:51], v81 offset:32512
	s_wait_dscnt 0x0
	v_fma_f64 v[2:3], v[2:3], v[50:51], 0
	s_mov_b32 s41, exec_lo
	v_readlane_b32 s42, v108, 28
	s_and_b32 s42, s41, s42
	s_delay_alu instid0(SALU_CYCLE_1)
	s_mov_b32 exec_lo, s42
	s_cbranch_execz .LBB122_476
; %bb.475:                              ;   in Loop: Header=BB122_3 Depth=1
	ds_load_b64 v[50:51], v79 offset:16896
	ds_load_b64 v[100:101], v81 offset:32520
	s_wait_dscnt 0x0
	v_fmac_f64_e32 v[2:3], v[50:51], v[100:101]
.LBB122_476:                            ;   in Loop: Header=BB122_3 Depth=1
	s_or_b32 exec_lo, exec_lo, s41
	s_delay_alu instid0(SALU_CYCLE_1) | instskip(SKIP_2) | instid1(SALU_CYCLE_1)
	s_mov_b32 s41, exec_lo
	v_readlane_b32 s42, v108, 29
	s_and_b32 s42, s41, s42
	s_mov_b32 exec_lo, s42
	s_cbranch_execz .LBB122_478
; %bb.477:                              ;   in Loop: Header=BB122_3 Depth=1
	ds_load_b64 v[50:51], v79 offset:17408
	ds_load_b64 v[100:101], v81 offset:32528
	s_wait_dscnt 0x0
	v_fmac_f64_e32 v[2:3], v[50:51], v[100:101]
.LBB122_478:                            ;   in Loop: Header=BB122_3 Depth=1
	s_or_b32 exec_lo, exec_lo, s41
	s_delay_alu instid0(SALU_CYCLE_1) | instskip(SKIP_2) | instid1(SALU_CYCLE_1)
	s_mov_b32 s41, exec_lo
	v_readlane_b32 s42, v108, 30
	s_and_b32 s42, s41, s42
	;; [unrolled: 13-line block ×22, first 2 shown]
	s_mov_b32 exec_lo, s42
	s_cbranch_execz .LBB122_520
; %bb.519:                              ;   in Loop: Header=BB122_3 Depth=1
	ds_load_b64 v[50:51], v79 offset:28160
	ds_load_b64 v[100:101], v81 offset:32696
	s_wait_dscnt 0x0
	v_fmac_f64_e32 v[2:3], v[50:51], v[100:101]
.LBB122_520:                            ;   in Loop: Header=BB122_3 Depth=1
	s_or_b32 exec_lo, exec_lo, s41
	s_and_saveexec_b32 s41, s5
	s_cbranch_execz .LBB122_522
; %bb.521:                              ;   in Loop: Header=BB122_3 Depth=1
	ds_load_b64 v[50:51], v79 offset:28672
	ds_load_b64 v[100:101], v81 offset:32704
	s_wait_dscnt 0x0
	v_fmac_f64_e32 v[2:3], v[50:51], v[100:101]
.LBB122_522:                            ;   in Loop: Header=BB122_3 Depth=1
	s_or_b32 exec_lo, exec_lo, s41
	s_delay_alu instid0(SALU_CYCLE_1) | instskip(SKIP_2) | instid1(SALU_CYCLE_1)
	s_mov_b32 s41, exec_lo
	v_readlane_b32 s42, v108, 18
	s_and_b32 s42, s41, s42
	s_mov_b32 exec_lo, s42
	s_cbranch_execz .LBB122_524
; %bb.523:                              ;   in Loop: Header=BB122_3 Depth=1
	ds_load_b64 v[50:51], v79 offset:29184
	ds_load_b64 v[100:101], v81 offset:32712
	s_wait_dscnt 0x0
	v_fmac_f64_e32 v[2:3], v[50:51], v[100:101]
.LBB122_524:                            ;   in Loop: Header=BB122_3 Depth=1
	s_or_b32 exec_lo, exec_lo, s41
	s_delay_alu instid0(SALU_CYCLE_1) | instskip(SKIP_2) | instid1(SALU_CYCLE_1)
	s_mov_b32 s41, exec_lo
	v_readlane_b32 s42, v108, 20
	s_and_b32 s42, s41, s42
	s_mov_b32 exec_lo, s42
	;; [unrolled: 13-line block ×5, first 2 shown]
	s_cbranch_execnz .LBB122_1091
; %bb.531:                              ;   in Loop: Header=BB122_3 Depth=1
	s_or_b32 exec_lo, exec_lo, s41
	s_and_saveexec_b32 s41, s4
	s_cbranch_execnz .LBB122_1092
.LBB122_532:                            ;   in Loop: Header=BB122_3 Depth=1
	s_or_b32 exec_lo, exec_lo, s41
	s_and_saveexec_b32 s41, s17
	s_delay_alu instid0(SALU_CYCLE_1)
	s_xor_b32 s41, exec_lo, s41
	s_cbranch_execz .LBB122_534
.LBB122_533:                            ;   in Loop: Header=BB122_3 Depth=1
	ds_load_b64 v[50:51], v55 offset:32256
	ds_load_b64 v[100:101], v7 offset:32760
	s_wait_dscnt 0x0
	v_fmac_f64_e32 v[2:3], v[50:51], v[100:101]
.LBB122_534:                            ;   in Loop: Header=BB122_3 Depth=1
	s_or_b32 exec_lo, exec_lo, s41
.LBB122_535:                            ;   in Loop: Header=BB122_3 Depth=1
	s_delay_alu instid0(SALU_CYCLE_1)
	s_or_b32 exec_lo, exec_lo, s61
	v_dual_mov_b32 v0, v98 :: v_dual_mov_b32 v6, v96
	s_mov_b32 s41, 31
	s_branch .LBB122_537
.LBB122_536:                            ;   in Loop: Header=BB122_537 Depth=2
	s_or_b32 exec_lo, exec_lo, s42
	v_add_nc_u32_e32 v6, 0xfffff800, v6
	v_add_nc_u32_e32 v0, 4, v0
	s_add_co_i32 s41, s41, -4
	s_cmp_eq_u32 s61, 0
	s_barrier_signal -1
	s_barrier_wait -1
	s_cbranch_scc1 .LBB122_553
.LBB122_537:                            ;   Parent Loop BB122_3 Depth=1
                                        ; =>  This Inner Loop Header: Depth=2
	s_delay_alu instid0(VALU_DEP_1) | instskip(SKIP_1) | instid1(SALU_CYCLE_1)
	v_cmp_eq_u32_e32 vcc_lo, 0, v0
	s_and_b32 s43, s40, vcc_lo
	s_and_saveexec_b32 s42, s43
; %bb.538:                              ;   in Loop: Header=BB122_537 Depth=2
	s_delay_alu instid0(VALU_DEP_3) | instskip(NEXT) | instid1(VALU_DEP_4)
	v_xor_b32_e32 v51, 0x80000000, v3
	v_mov_b32_e32 v50, v2
	ds_store_b64 v80, v[50:51]
; %bb.539:                              ;   in Loop: Header=BB122_537 Depth=2
	s_or_b32 exec_lo, exec_lo, s42
	v_cmp_gt_u32_e32 vcc_lo, s41, v77
	s_wait_loadcnt_dscnt 0x0
	s_barrier_signal -1
	s_barrier_wait -1
	s_and_b32 s43, s40, vcc_lo
	s_delay_alu instid0(SALU_CYCLE_1)
	s_and_saveexec_b32 s42, s43
	s_cbranch_execz .LBB122_541
; %bb.540:                              ;   in Loop: Header=BB122_537 Depth=2
	ds_load_b64 v[50:51], v6 offset:1536
	ds_load_b64 v[100:101], v80
	s_wait_dscnt 0x0
	v_fma_f64 v[2:3], -v[50:51], v[100:101], v[2:3]
.LBB122_541:                            ;   in Loop: Header=BB122_537 Depth=2
	s_or_b32 exec_lo, exec_lo, s42
	s_add_co_i32 s42, s41, -1
	s_delay_alu instid0(SALU_CYCLE_1) | instskip(SKIP_3) | instid1(SALU_CYCLE_1)
	v_cmp_eq_u32_e32 vcc_lo, s42, v77
	s_barrier_signal -1
	s_barrier_wait -1
	s_and_b32 s61, s40, vcc_lo
	s_and_saveexec_b32 s43, s61
; %bb.542:                              ;   in Loop: Header=BB122_537 Depth=2
	s_delay_alu instid0(VALU_DEP_2) | instskip(NEXT) | instid1(VALU_DEP_3)
	v_xor_b32_e32 v51, 0x80000000, v3
	v_mov_b32_e32 v50, v2
	ds_store_b64 v80, v[50:51]
; %bb.543:                              ;   in Loop: Header=BB122_537 Depth=2
	s_or_b32 exec_lo, exec_lo, s43
	v_cmp_gt_u32_e32 vcc_lo, s42, v77
	s_wait_dscnt 0x0
	s_barrier_signal -1
	s_barrier_wait -1
	s_and_b32 s43, s40, vcc_lo
	s_delay_alu instid0(SALU_CYCLE_1)
	s_and_saveexec_b32 s42, s43
	s_cbranch_execz .LBB122_545
; %bb.544:                              ;   in Loop: Header=BB122_537 Depth=2
	ds_load_b64 v[50:51], v6 offset:1024
	ds_load_b64 v[100:101], v80
	s_wait_dscnt 0x0
	v_fma_f64 v[2:3], -v[50:51], v[100:101], v[2:3]
.LBB122_545:                            ;   in Loop: Header=BB122_537 Depth=2
	s_or_b32 exec_lo, exec_lo, s42
	s_add_co_i32 s42, s41, -2
	s_delay_alu instid0(SALU_CYCLE_1) | instskip(SKIP_3) | instid1(SALU_CYCLE_1)
	v_cmp_eq_u32_e32 vcc_lo, s42, v77
	s_barrier_signal -1
	s_barrier_wait -1
	s_and_b32 s61, s40, vcc_lo
	s_and_saveexec_b32 s43, s61
; %bb.546:                              ;   in Loop: Header=BB122_537 Depth=2
	s_delay_alu instid0(VALU_DEP_2) | instskip(NEXT) | instid1(VALU_DEP_3)
	v_xor_b32_e32 v51, 0x80000000, v3
	v_mov_b32_e32 v50, v2
	ds_store_b64 v80, v[50:51]
; %bb.547:                              ;   in Loop: Header=BB122_537 Depth=2
	s_or_b32 exec_lo, exec_lo, s43
	v_cmp_gt_u32_e32 vcc_lo, s42, v77
	s_wait_dscnt 0x0
	;; [unrolled: 29-line block ×3, first 2 shown]
	s_barrier_signal -1
	s_barrier_wait -1
	s_and_b32 s43, s40, vcc_lo
	s_delay_alu instid0(SALU_CYCLE_1)
	s_and_saveexec_b32 s42, s43
	s_cbranch_execz .LBB122_536
; %bb.552:                              ;   in Loop: Header=BB122_537 Depth=2
	ds_load_b64 v[50:51], v6
	ds_load_b64 v[100:101], v80
	s_wait_dscnt 0x0
	v_fma_f64 v[2:3], -v[50:51], v[100:101], v[2:3]
	s_branch .LBB122_536
.LBB122_553:                            ;   in Loop: Header=BB122_3 Depth=1
	s_and_saveexec_b32 s41, s30
; %bb.554:                              ;   in Loop: Header=BB122_3 Depth=1
	ds_store_b64 v82, v[2:3] offset:32256
; %bb.555:                              ;   in Loop: Header=BB122_3 Depth=1
	s_or_b32 exec_lo, exec_lo, s41
	s_wait_dscnt 0x0
	s_barrier_signal -1
	s_barrier_wait -1
	s_barrier_signal -1
	s_barrier_wait -1
	s_mov_b32 s41, exec_lo
	v_readlane_b32 s42, v108, 7
	s_and_b32 s42, s41, s42
	s_delay_alu instid0(SALU_CYCLE_1)
	s_mov_b32 exec_lo, s42
	s_cbranch_execz .LBB122_557
; %bb.556:                              ;   in Loop: Header=BB122_3 Depth=1
	ds_load_b64 v[2:3], v57 offset:16384
	s_wait_dscnt 0x0
	ds_store_b64 v61, v[2:3] offset:256
	ds_load_b64 v[2:3], v57 offset:16392
	s_wait_dscnt 0x0
	ds_store_b64 v61, v[2:3] offset:768
	;; [unrolled: 3-line block ×32, first 2 shown]
.LBB122_557:                            ;   in Loop: Header=BB122_3 Depth=1
	s_or_b32 exec_lo, exec_lo, s41
	s_wait_dscnt 0x0
	s_barrier_signal -1
	s_barrier_wait -1
	s_and_saveexec_b32 s41, s10
	s_cbranch_execz .LBB122_559
; %bb.558:                              ;   in Loop: Header=BB122_3 Depth=1
	ds_load_b64 v[2:3], v7 offset:16112
	v_mov_b32_e32 v0, v7
	ds_store_b64 v7, v[34:35] offset:16120
	s_wait_dscnt 0x1
	ds_store_b128 v7, v[0:3] offset:15600
.LBB122_559:                            ;   in Loop: Header=BB122_3 Depth=1
	s_or_b32 exec_lo, exec_lo, s41
	v_mov_b64_e32 v[2:3], 0
	s_wait_dscnt 0x0
	s_barrier_signal -1
	s_barrier_wait -1
	global_wb scope:SCOPE_DEV
	s_wait_storecnt 0x0
	global_inv scope:SCOPE_DEV
	s_and_saveexec_b32 s41, s1
	s_cbranch_execz .LBB122_563
; %bb.560:                              ;   in Loop: Header=BB122_3 Depth=1
	ds_load_b64 v[2:3], v54 offset:15584
	ds_load_b64 v[50:51], v53 offset:16112
	s_wait_dscnt 0x0
	v_fma_f64 v[2:3], v[2:3], v[50:51], 0
	s_and_saveexec_b32 s42, s11
	s_cbranch_execz .LBB122_562
; %bb.561:                              ;   in Loop: Header=BB122_3 Depth=1
	ds_load_b64 v[50:51], v55 offset:16096
	ds_load_b64 v[100:101], v7 offset:16120
	s_wait_dscnt 0x0
	v_fmac_f64_e32 v[2:3], v[50:51], v[100:101]
.LBB122_562:                            ;   in Loop: Header=BB122_3 Depth=1
	s_or_b32 exec_lo, exec_lo, s42
.LBB122_563:                            ;   in Loop: Header=BB122_3 Depth=1
	s_delay_alu instid0(SALU_CYCLE_1)
	s_or_b32 exec_lo, exec_lo, s41
	s_and_saveexec_b32 s41, s88
; %bb.564:                              ;   in Loop: Header=BB122_3 Depth=1
	s_delay_alu instid0(VALU_DEP_1) | instskip(NEXT) | instid1(VALU_DEP_2)
	v_xor_b32_e32 v51, 0x80000000, v3
	v_mov_b32_e32 v50, v2
	ds_store_b64 v52, v[50:51]
; %bb.565:                              ;   in Loop: Header=BB122_3 Depth=1
	s_or_b32 exec_lo, exec_lo, s41
	s_wait_loadcnt_dscnt 0x0
	s_barrier_signal -1
	s_barrier_wait -1
	s_and_saveexec_b32 s41, s89
	s_cbranch_execz .LBB122_567
; %bb.566:                              ;   in Loop: Header=BB122_3 Depth=1
	ds_load_b64 v[50:51], v7 offset:15072
	ds_load_b64 v[100:101], v52
	s_wait_dscnt 0x0
	v_fma_f64 v[2:3], -v[50:51], v[100:101], v[2:3]
.LBB122_567:                            ;   in Loop: Header=BB122_3 Depth=1
	s_or_b32 exec_lo, exec_lo, s41
	s_barrier_signal -1
	s_barrier_wait -1
	s_and_saveexec_b32 s41, s89
; %bb.568:                              ;   in Loop: Header=BB122_3 Depth=1
	s_delay_alu instid0(VALU_DEP_1) | instskip(NEXT) | instid1(VALU_DEP_2)
	v_xor_b32_e32 v51, 0x80000000, v3
	v_mov_b32_e32 v50, v2
	ds_store_b64 v52, v[50:51]
; %bb.569:                              ;   in Loop: Header=BB122_3 Depth=1
	s_or_b32 exec_lo, exec_lo, s41
	s_wait_dscnt 0x0
	s_barrier_signal -1
	s_barrier_wait -1
	s_barrier_signal -1
	s_barrier_wait -1
	s_and_saveexec_b32 s41, s1
; %bb.570:                              ;   in Loop: Header=BB122_3 Depth=1
	ds_store_b64 v56, v[2:3] offset:16096
; %bb.571:                              ;   in Loop: Header=BB122_3 Depth=1
	s_or_b32 exec_lo, exec_lo, s41
	s_wait_dscnt 0x0
	s_barrier_signal -1
	s_barrier_wait -1
	s_barrier_signal -1
	s_barrier_wait -1
	s_and_saveexec_b32 s41, s90
	s_cbranch_execz .LBB122_573
; %bb.572:                              ;   in Loop: Header=BB122_3 Depth=1
	ds_load_b64 v[2:3], v57 offset:15584
	s_wait_dscnt 0x0
	ds_store_b64 v55, v[2:3] offset:14576
	ds_load_b64 v[2:3], v57 offset:15592
	s_wait_dscnt 0x0
	ds_store_b64 v55, v[2:3] offset:15088
.LBB122_573:                            ;   in Loop: Header=BB122_3 Depth=1
	s_or_b32 exec_lo, exec_lo, s41
	s_wait_dscnt 0x0
	s_barrier_signal -1
	s_barrier_wait -1
	s_and_saveexec_b32 s41, s10
	s_cbranch_execz .LBB122_575
; %bb.574:                              ;   in Loop: Header=BB122_3 Depth=1
	ds_load_b64 v[2:3], v7 offset:15072
	v_mov_b32_e32 v0, v7
	ds_store_b64 v7, v[34:35] offset:15080
	s_wait_dscnt 0x1
	ds_store_b128 v7, v[0:3] offset:14560
.LBB122_575:                            ;   in Loop: Header=BB122_3 Depth=1
	s_or_b32 exec_lo, exec_lo, s41
	v_mov_b64_e32 v[2:3], 0
	s_wait_dscnt 0x0
	s_barrier_signal -1
	s_barrier_wait -1
	global_wb scope:SCOPE_DEV
	s_wait_storecnt 0x0
	global_inv scope:SCOPE_DEV
	s_and_saveexec_b32 s41, s3
	s_cbranch_execz .LBB122_581
; %bb.576:                              ;   in Loop: Header=BB122_3 Depth=1
	ds_load_b64 v[2:3], v60 offset:14528
	ds_load_b64 v[50:51], v59 offset:16096
	s_wait_dscnt 0x0
	v_fma_f64 v[2:3], v[2:3], v[50:51], 0
	s_and_saveexec_b32 s42, s12
	s_cbranch_execnz .LBB122_1093
; %bb.577:                              ;   in Loop: Header=BB122_3 Depth=1
	s_or_b32 exec_lo, exec_lo, s42
	s_and_saveexec_b32 s42, s13
	s_cbranch_execnz .LBB122_1094
.LBB122_578:                            ;   in Loop: Header=BB122_3 Depth=1
	s_or_b32 exec_lo, exec_lo, s42
	s_and_saveexec_b32 s42, s1
	s_cbranch_execz .LBB122_580
.LBB122_579:                            ;   in Loop: Header=BB122_3 Depth=1
	ds_load_b64 v[50:51], v61 offset:16064
	ds_load_b64 v[100:101], v7 offset:16120
	s_wait_dscnt 0x0
	v_fmac_f64_e32 v[2:3], v[50:51], v[100:101]
.LBB122_580:                            ;   in Loop: Header=BB122_3 Depth=1
	s_or_b32 exec_lo, exec_lo, s42
.LBB122_581:                            ;   in Loop: Header=BB122_3 Depth=1
	s_delay_alu instid0(SALU_CYCLE_1)
	s_or_b32 exec_lo, exec_lo, s41
	s_and_saveexec_b32 s41, s91
; %bb.582:                              ;   in Loop: Header=BB122_3 Depth=1
	s_delay_alu instid0(VALU_DEP_1) | instskip(NEXT) | instid1(VALU_DEP_2)
	v_xor_b32_e32 v51, 0x80000000, v3
	v_mov_b32_e32 v50, v2
	ds_store_b64 v58, v[50:51]
; %bb.583:                              ;   in Loop: Header=BB122_3 Depth=1
	s_or_b32 exec_lo, exec_lo, s41
	s_wait_loadcnt_dscnt 0x0
	s_barrier_signal -1
	s_barrier_wait -1
	s_and_saveexec_b32 s41, s92
	s_cbranch_execz .LBB122_585
; %bb.584:                              ;   in Loop: Header=BB122_3 Depth=1
	ds_load_b64 v[50:51], v60 offset:14016
	ds_load_b64 v[100:101], v58
	s_wait_dscnt 0x0
	v_fma_f64 v[2:3], -v[50:51], v[100:101], v[2:3]
.LBB122_585:                            ;   in Loop: Header=BB122_3 Depth=1
	s_or_b32 exec_lo, exec_lo, s41
	s_barrier_signal -1
	s_barrier_wait -1
	s_and_saveexec_b32 s41, s93
; %bb.586:                              ;   in Loop: Header=BB122_3 Depth=1
	s_delay_alu instid0(VALU_DEP_1) | instskip(NEXT) | instid1(VALU_DEP_2)
	v_xor_b32_e32 v51, 0x80000000, v3
	v_mov_b32_e32 v50, v2
	ds_store_b64 v58, v[50:51]
; %bb.587:                              ;   in Loop: Header=BB122_3 Depth=1
	s_or_b32 exec_lo, exec_lo, s41
	s_wait_dscnt 0x0
	s_barrier_signal -1
	s_barrier_wait -1
	s_and_saveexec_b32 s41, s94
	s_cbranch_execz .LBB122_589
; %bb.588:                              ;   in Loop: Header=BB122_3 Depth=1
	ds_load_b64 v[50:51], v60 offset:13504
	ds_load_b64 v[100:101], v58
	s_wait_dscnt 0x0
	v_fma_f64 v[2:3], -v[50:51], v[100:101], v[2:3]
.LBB122_589:                            ;   in Loop: Header=BB122_3 Depth=1
	s_or_b32 exec_lo, exec_lo, s41
	s_barrier_signal -1
	s_barrier_wait -1
	s_and_saveexec_b32 s41, s95
; %bb.590:                              ;   in Loop: Header=BB122_3 Depth=1
	s_delay_alu instid0(VALU_DEP_1) | instskip(NEXT) | instid1(VALU_DEP_2)
	v_xor_b32_e32 v51, 0x80000000, v3
	v_mov_b32_e32 v50, v2
	ds_store_b64 v58, v[50:51]
; %bb.591:                              ;   in Loop: Header=BB122_3 Depth=1
	s_or_b32 exec_lo, exec_lo, s41
	s_wait_dscnt 0x0
	;; [unrolled: 22-line block ×3, first 2 shown]
	s_barrier_signal -1
	s_barrier_wait -1
	s_barrier_signal -1
	s_barrier_wait -1
	s_and_saveexec_b32 s41, s3
; %bb.596:                              ;   in Loop: Header=BB122_3 Depth=1
	ds_store_b64 v63, v[2:3] offset:16064
; %bb.597:                              ;   in Loop: Header=BB122_3 Depth=1
	s_or_b32 exec_lo, exec_lo, s41
	s_wait_dscnt 0x0
	s_barrier_signal -1
	s_barrier_wait -1
	s_barrier_signal -1
	s_barrier_wait -1
	s_and_saveexec_b32 s41, s97
	s_cbranch_execz .LBB122_599
; %bb.598:                              ;   in Loop: Header=BB122_3 Depth=1
	ds_load_b64 v[2:3], v62 offset:14528
	s_wait_dscnt 0x0
	ds_store_b64 v64, v[2:3] offset:12512
	ds_load_b64 v[2:3], v62 offset:14536
	s_wait_dscnt 0x0
	ds_store_b64 v64, v[2:3] offset:13024
	;; [unrolled: 3-line block ×4, first 2 shown]
.LBB122_599:                            ;   in Loop: Header=BB122_3 Depth=1
	s_or_b32 exec_lo, exec_lo, s41
	s_wait_dscnt 0x0
	s_barrier_signal -1
	s_barrier_wait -1
	s_and_saveexec_b32 s41, s10
	s_cbranch_execz .LBB122_601
; %bb.600:                              ;   in Loop: Header=BB122_3 Depth=1
	ds_load_b64 v[2:3], v7 offset:14032
	v_mov_b32_e32 v0, v7
	ds_store_b64 v7, v[34:35] offset:14040
	s_wait_dscnt 0x1
	ds_store_b128 v7, v[0:3] offset:13520
.LBB122_601:                            ;   in Loop: Header=BB122_3 Depth=1
	s_or_b32 exec_lo, exec_lo, s41
	v_mov_b64_e32 v[2:3], 0
	s_wait_dscnt 0x0
	s_barrier_signal -1
	s_barrier_wait -1
	global_wb scope:SCOPE_DEV
	s_wait_storecnt 0x0
	global_inv scope:SCOPE_DEV
	s_and_saveexec_b32 s41, s1
	s_cbranch_execz .LBB122_605
; %bb.602:                              ;   in Loop: Header=BB122_3 Depth=1
	ds_load_b64 v[2:3], v54 offset:13504
	ds_load_b64 v[50:51], v53 offset:14032
	s_wait_dscnt 0x0
	v_fma_f64 v[2:3], v[2:3], v[50:51], 0
	s_and_saveexec_b32 s42, s11
	s_cbranch_execz .LBB122_604
; %bb.603:                              ;   in Loop: Header=BB122_3 Depth=1
	ds_load_b64 v[50:51], v64 offset:14016
	ds_load_b64 v[100:101], v7 offset:14040
	s_wait_dscnt 0x0
	v_fmac_f64_e32 v[2:3], v[50:51], v[100:101]
.LBB122_604:                            ;   in Loop: Header=BB122_3 Depth=1
	s_or_b32 exec_lo, exec_lo, s42
.LBB122_605:                            ;   in Loop: Header=BB122_3 Depth=1
	s_delay_alu instid0(SALU_CYCLE_1)
	s_or_b32 exec_lo, exec_lo, s41
	s_and_saveexec_b32 s41, s88
; %bb.606:                              ;   in Loop: Header=BB122_3 Depth=1
	s_delay_alu instid0(VALU_DEP_1) | instskip(NEXT) | instid1(VALU_DEP_2)
	v_xor_b32_e32 v51, 0x80000000, v3
	v_mov_b32_e32 v50, v2
	ds_store_b64 v52, v[50:51]
; %bb.607:                              ;   in Loop: Header=BB122_3 Depth=1
	s_or_b32 exec_lo, exec_lo, s41
	s_wait_loadcnt_dscnt 0x0
	s_barrier_signal -1
	s_barrier_wait -1
	s_and_saveexec_b32 s41, s89
	s_cbranch_execz .LBB122_609
; %bb.608:                              ;   in Loop: Header=BB122_3 Depth=1
	ds_load_b64 v[50:51], v7 offset:12992
	ds_load_b64 v[100:101], v52
	s_wait_dscnt 0x0
	v_fma_f64 v[2:3], -v[50:51], v[100:101], v[2:3]
.LBB122_609:                            ;   in Loop: Header=BB122_3 Depth=1
	s_or_b32 exec_lo, exec_lo, s41
	s_barrier_signal -1
	s_barrier_wait -1
	s_and_saveexec_b32 s41, s89
; %bb.610:                              ;   in Loop: Header=BB122_3 Depth=1
	s_delay_alu instid0(VALU_DEP_1) | instskip(NEXT) | instid1(VALU_DEP_2)
	v_xor_b32_e32 v51, 0x80000000, v3
	v_mov_b32_e32 v50, v2
	ds_store_b64 v52, v[50:51]
; %bb.611:                              ;   in Loop: Header=BB122_3 Depth=1
	s_or_b32 exec_lo, exec_lo, s41
	s_wait_dscnt 0x0
	s_barrier_signal -1
	s_barrier_wait -1
	s_barrier_signal -1
	s_barrier_wait -1
	s_and_saveexec_b32 s41, s1
; %bb.612:                              ;   in Loop: Header=BB122_3 Depth=1
	ds_store_b64 v56, v[2:3] offset:14016
; %bb.613:                              ;   in Loop: Header=BB122_3 Depth=1
	s_or_b32 exec_lo, exec_lo, s41
	s_wait_dscnt 0x0
	s_barrier_signal -1
	s_barrier_wait -1
	s_barrier_signal -1
	s_barrier_wait -1
	s_and_saveexec_b32 s41, s90
	s_cbranch_execz .LBB122_615
; %bb.614:                              ;   in Loop: Header=BB122_3 Depth=1
	ds_load_b64 v[2:3], v65 offset:13504
	s_wait_dscnt 0x0
	ds_store_b64 v64, v[2:3] offset:12496
	ds_load_b64 v[2:3], v65 offset:13512
	s_wait_dscnt 0x0
	ds_store_b64 v64, v[2:3] offset:13008
.LBB122_615:                            ;   in Loop: Header=BB122_3 Depth=1
	s_or_b32 exec_lo, exec_lo, s41
	s_wait_dscnt 0x0
	s_barrier_signal -1
	s_barrier_wait -1
	s_and_saveexec_b32 s41, s10
	s_cbranch_execz .LBB122_617
; %bb.616:                              ;   in Loop: Header=BB122_3 Depth=1
	ds_load_b64 v[2:3], v7 offset:12992
	v_mov_b32_e32 v0, v7
	ds_store_b64 v7, v[34:35] offset:13000
	s_wait_dscnt 0x1
	ds_store_b128 v7, v[0:3] offset:12480
.LBB122_617:                            ;   in Loop: Header=BB122_3 Depth=1
	s_or_b32 exec_lo, exec_lo, s41
	v_mov_b64_e32 v[2:3], 0
	s_wait_dscnt 0x0
	s_barrier_signal -1
	s_barrier_wait -1
	global_wb scope:SCOPE_DEV
	s_wait_storecnt 0x0
	global_inv scope:SCOPE_DEV
	s_and_saveexec_b32 s41, s4
	s_cbranch_execz .LBB122_627
; %bb.618:                              ;   in Loop: Header=BB122_3 Depth=1
	ds_load_b64 v[2:3], v68 offset:12416
	ds_load_b64 v[50:51], v67 offset:16064
	s_wait_dscnt 0x0
	v_fma_f64 v[2:3], v[2:3], v[50:51], 0
	s_and_saveexec_b32 s42, s14
	s_cbranch_execnz .LBB122_1095
; %bb.619:                              ;   in Loop: Header=BB122_3 Depth=1
	s_or_b32 exec_lo, exec_lo, s42
	s_and_saveexec_b32 s42, s15
	s_cbranch_execnz .LBB122_1096
.LBB122_620:                            ;   in Loop: Header=BB122_3 Depth=1
	s_or_b32 exec_lo, exec_lo, s42
	s_and_saveexec_b32 s42, s16
	s_cbranch_execnz .LBB122_1097
.LBB122_621:                            ;   in Loop: Header=BB122_3 Depth=1
	s_or_b32 exec_lo, exec_lo, s42
	s_and_saveexec_b32 s42, s17
	s_cbranch_execnz .LBB122_1098
.LBB122_622:                            ;   in Loop: Header=BB122_3 Depth=1
	s_or_b32 exec_lo, exec_lo, s42
	s_and_saveexec_b32 s42, s18
	s_cbranch_execnz .LBB122_1099
.LBB122_623:                            ;   in Loop: Header=BB122_3 Depth=1
	s_or_b32 exec_lo, exec_lo, s42
	s_and_saveexec_b32 s42, s3
	s_cbranch_execnz .LBB122_1100
.LBB122_624:                            ;   in Loop: Header=BB122_3 Depth=1
	s_or_b32 exec_lo, exec_lo, s42
	s_and_saveexec_b32 s42, s13
	s_cbranch_execz .LBB122_626
.LBB122_625:                            ;   in Loop: Header=BB122_3 Depth=1
	ds_load_b64 v[50:51], v69 offset:16000
	ds_load_b64 v[100:101], v7 offset:16120
	s_wait_dscnt 0x0
	v_fmac_f64_e32 v[2:3], v[50:51], v[100:101]
.LBB122_626:                            ;   in Loop: Header=BB122_3 Depth=1
	s_or_b32 exec_lo, exec_lo, s42
.LBB122_627:                            ;   in Loop: Header=BB122_3 Depth=1
	s_delay_alu instid0(SALU_CYCLE_1)
	s_or_b32 exec_lo, exec_lo, s41
	s_and_saveexec_b32 s41, s98
; %bb.628:                              ;   in Loop: Header=BB122_3 Depth=1
	s_delay_alu instid0(VALU_DEP_1) | instskip(NEXT) | instid1(VALU_DEP_2)
	v_xor_b32_e32 v51, 0x80000000, v3
	v_mov_b32_e32 v50, v2
	ds_store_b64 v66, v[50:51]
; %bb.629:                              ;   in Loop: Header=BB122_3 Depth=1
	s_or_b32 exec_lo, exec_lo, s41
	s_wait_loadcnt_dscnt 0x0
	s_barrier_signal -1
	s_barrier_wait -1
	s_and_saveexec_b32 s41, s99
	s_cbranch_execz .LBB122_631
; %bb.630:                              ;   in Loop: Header=BB122_3 Depth=1
	ds_load_b64 v[50:51], v68 offset:11904
	ds_load_b64 v[100:101], v66
	s_wait_dscnt 0x0
	v_fma_f64 v[2:3], -v[50:51], v[100:101], v[2:3]
.LBB122_631:                            ;   in Loop: Header=BB122_3 Depth=1
	s_or_b32 exec_lo, exec_lo, s41
	s_barrier_signal -1
	s_barrier_wait -1
	s_and_saveexec_b32 s41, s100
; %bb.632:                              ;   in Loop: Header=BB122_3 Depth=1
	s_delay_alu instid0(VALU_DEP_1) | instskip(NEXT) | instid1(VALU_DEP_2)
	v_xor_b32_e32 v51, 0x80000000, v3
	v_mov_b32_e32 v50, v2
	ds_store_b64 v66, v[50:51]
; %bb.633:                              ;   in Loop: Header=BB122_3 Depth=1
	s_or_b32 exec_lo, exec_lo, s41
	s_wait_dscnt 0x0
	s_barrier_signal -1
	s_barrier_wait -1
	s_and_saveexec_b32 s41, s101
	s_cbranch_execz .LBB122_635
; %bb.634:                              ;   in Loop: Header=BB122_3 Depth=1
	ds_load_b64 v[50:51], v68 offset:11392
	ds_load_b64 v[100:101], v66
	s_wait_dscnt 0x0
	v_fma_f64 v[2:3], -v[50:51], v[100:101], v[2:3]
.LBB122_635:                            ;   in Loop: Header=BB122_3 Depth=1
	s_or_b32 exec_lo, exec_lo, s41
	s_barrier_signal -1
	s_barrier_wait -1
	s_and_saveexec_b32 s41, s102
; %bb.636:                              ;   in Loop: Header=BB122_3 Depth=1
	s_delay_alu instid0(VALU_DEP_1) | instskip(NEXT) | instid1(VALU_DEP_2)
	v_xor_b32_e32 v51, 0x80000000, v3
	v_mov_b32_e32 v50, v2
	ds_store_b64 v66, v[50:51]
; %bb.637:                              ;   in Loop: Header=BB122_3 Depth=1
	s_or_b32 exec_lo, exec_lo, s41
	s_wait_dscnt 0x0
	;; [unrolled: 22-line block ×3, first 2 shown]
	s_barrier_signal -1
	s_barrier_wait -1
	s_and_saveexec_b32 s41, vcc_hi
	s_cbranch_execz .LBB122_643
; %bb.642:                              ;   in Loop: Header=BB122_3 Depth=1
	ds_load_b64 v[50:51], v68 offset:10368
	ds_load_b64 v[100:101], v66
	s_wait_dscnt 0x0
	v_fma_f64 v[2:3], -v[50:51], v[100:101], v[2:3]
.LBB122_643:                            ;   in Loop: Header=BB122_3 Depth=1
	s_or_b32 exec_lo, exec_lo, s41
	s_barrier_signal -1
	s_barrier_wait -1
	s_and_saveexec_b32 s41, s31
; %bb.644:                              ;   in Loop: Header=BB122_3 Depth=1
	s_delay_alu instid0(VALU_DEP_1) | instskip(NEXT) | instid1(VALU_DEP_2)
	v_xor_b32_e32 v51, 0x80000000, v3
	v_mov_b32_e32 v50, v2
	ds_store_b64 v66, v[50:51]
; %bb.645:                              ;   in Loop: Header=BB122_3 Depth=1
	s_or_b32 exec_lo, exec_lo, s41
	s_wait_dscnt 0x0
	s_barrier_signal -1
	s_barrier_wait -1
	s_and_saveexec_b32 s41, s33
	s_cbranch_execz .LBB122_647
; %bb.646:                              ;   in Loop: Header=BB122_3 Depth=1
	ds_load_b64 v[50:51], v68 offset:9856
	ds_load_b64 v[100:101], v66
	s_wait_dscnt 0x0
	v_fma_f64 v[2:3], -v[50:51], v[100:101], v[2:3]
.LBB122_647:                            ;   in Loop: Header=BB122_3 Depth=1
	s_or_b32 exec_lo, exec_lo, s41
	s_barrier_signal -1
	s_barrier_wait -1
	s_and_saveexec_b32 s41, s34
; %bb.648:                              ;   in Loop: Header=BB122_3 Depth=1
	s_delay_alu instid0(VALU_DEP_1) | instskip(NEXT) | instid1(VALU_DEP_2)
	v_xor_b32_e32 v51, 0x80000000, v3
	v_mov_b32_e32 v50, v2
	ds_store_b64 v66, v[50:51]
; %bb.649:                              ;   in Loop: Header=BB122_3 Depth=1
	s_or_b32 exec_lo, exec_lo, s41
	s_wait_dscnt 0x0
	s_barrier_signal -1
	s_barrier_wait -1
	s_and_saveexec_b32 s41, s35
	;; [unrolled: 22-line block ×3, first 2 shown]
	s_cbranch_execz .LBB122_655
; %bb.654:                              ;   in Loop: Header=BB122_3 Depth=1
	ds_load_b64 v[50:51], v7 offset:8832
	ds_load_b64 v[100:101], v66
	s_wait_dscnt 0x0
	v_fma_f64 v[2:3], -v[50:51], v[100:101], v[2:3]
.LBB122_655:                            ;   in Loop: Header=BB122_3 Depth=1
	s_or_b32 exec_lo, exec_lo, s41
	s_barrier_signal -1
	s_barrier_wait -1
	s_and_saveexec_b32 s41, s37
; %bb.656:                              ;   in Loop: Header=BB122_3 Depth=1
	s_delay_alu instid0(VALU_DEP_1) | instskip(NEXT) | instid1(VALU_DEP_2)
	v_xor_b32_e32 v51, 0x80000000, v3
	v_mov_b32_e32 v50, v2
	ds_store_b64 v66, v[50:51]
; %bb.657:                              ;   in Loop: Header=BB122_3 Depth=1
	s_or_b32 exec_lo, exec_lo, s41
	s_wait_dscnt 0x0
	s_barrier_signal -1
	s_barrier_wait -1
	s_barrier_signal -1
	s_barrier_wait -1
	s_and_saveexec_b32 s41, s4
; %bb.658:                              ;   in Loop: Header=BB122_3 Depth=1
	ds_store_b64 v72, v[2:3] offset:16000
; %bb.659:                              ;   in Loop: Header=BB122_3 Depth=1
	s_or_b32 exec_lo, exec_lo, s41
	s_wait_dscnt 0x0
	s_barrier_signal -1
	s_barrier_wait -1
	s_barrier_signal -1
	s_barrier_wait -1
	s_and_saveexec_b32 s41, s38
	s_cbranch_execz .LBB122_661
; %bb.660:                              ;   in Loop: Header=BB122_3 Depth=1
	ds_load_b64 v[2:3], v70 offset:12416
	s_wait_dscnt 0x0
	ds_store_b64 v71, v[2:3] offset:8384
	ds_load_b64 v[2:3], v70 offset:12424
	s_wait_dscnt 0x0
	ds_store_b64 v71, v[2:3] offset:8896
	;; [unrolled: 3-line block ×8, first 2 shown]
.LBB122_661:                            ;   in Loop: Header=BB122_3 Depth=1
	s_or_b32 exec_lo, exec_lo, s41
	s_wait_dscnt 0x0
	s_barrier_signal -1
	s_barrier_wait -1
	s_and_saveexec_b32 s41, s10
	s_cbranch_execz .LBB122_663
; %bb.662:                              ;   in Loop: Header=BB122_3 Depth=1
	ds_load_b64 v[2:3], v7 offset:11952
	v_mov_b32_e32 v0, v7
	ds_store_b64 v7, v[34:35] offset:11960
	s_wait_dscnt 0x1
	ds_store_b128 v7, v[0:3] offset:11440
.LBB122_663:                            ;   in Loop: Header=BB122_3 Depth=1
	s_or_b32 exec_lo, exec_lo, s41
	v_mov_b64_e32 v[2:3], 0
	s_wait_dscnt 0x0
	s_barrier_signal -1
	s_barrier_wait -1
	global_wb scope:SCOPE_DEV
	s_wait_storecnt 0x0
	global_inv scope:SCOPE_DEV
	s_and_saveexec_b32 s41, s1
	s_cbranch_execz .LBB122_667
; %bb.664:                              ;   in Loop: Header=BB122_3 Depth=1
	ds_load_b64 v[2:3], v54 offset:11424
	ds_load_b64 v[50:51], v53 offset:11952
	s_wait_dscnt 0x0
	v_fma_f64 v[2:3], v[2:3], v[50:51], 0
	s_and_saveexec_b32 s42, s11
	s_cbranch_execz .LBB122_666
; %bb.665:                              ;   in Loop: Header=BB122_3 Depth=1
	ds_load_b64 v[50:51], v71 offset:11936
	ds_load_b64 v[100:101], v7 offset:11960
	s_wait_dscnt 0x0
	v_fmac_f64_e32 v[2:3], v[50:51], v[100:101]
.LBB122_666:                            ;   in Loop: Header=BB122_3 Depth=1
	s_or_b32 exec_lo, exec_lo, s42
.LBB122_667:                            ;   in Loop: Header=BB122_3 Depth=1
	s_delay_alu instid0(SALU_CYCLE_1)
	s_or_b32 exec_lo, exec_lo, s41
	s_and_saveexec_b32 s41, s88
; %bb.668:                              ;   in Loop: Header=BB122_3 Depth=1
	s_delay_alu instid0(VALU_DEP_1) | instskip(NEXT) | instid1(VALU_DEP_2)
	v_xor_b32_e32 v51, 0x80000000, v3
	v_mov_b32_e32 v50, v2
	ds_store_b64 v52, v[50:51]
; %bb.669:                              ;   in Loop: Header=BB122_3 Depth=1
	s_or_b32 exec_lo, exec_lo, s41
	s_wait_loadcnt_dscnt 0x0
	s_barrier_signal -1
	s_barrier_wait -1
	s_and_saveexec_b32 s41, s89
	s_cbranch_execz .LBB122_671
; %bb.670:                              ;   in Loop: Header=BB122_3 Depth=1
	ds_load_b64 v[50:51], v7 offset:10912
	ds_load_b64 v[100:101], v52
	s_wait_dscnt 0x0
	v_fma_f64 v[2:3], -v[50:51], v[100:101], v[2:3]
.LBB122_671:                            ;   in Loop: Header=BB122_3 Depth=1
	s_or_b32 exec_lo, exec_lo, s41
	s_barrier_signal -1
	s_barrier_wait -1
	s_and_saveexec_b32 s41, s89
; %bb.672:                              ;   in Loop: Header=BB122_3 Depth=1
	s_delay_alu instid0(VALU_DEP_1) | instskip(NEXT) | instid1(VALU_DEP_2)
	v_xor_b32_e32 v51, 0x80000000, v3
	v_mov_b32_e32 v50, v2
	ds_store_b64 v52, v[50:51]
; %bb.673:                              ;   in Loop: Header=BB122_3 Depth=1
	s_or_b32 exec_lo, exec_lo, s41
	s_wait_dscnt 0x0
	s_barrier_signal -1
	s_barrier_wait -1
	s_barrier_signal -1
	s_barrier_wait -1
	s_and_saveexec_b32 s41, s1
; %bb.674:                              ;   in Loop: Header=BB122_3 Depth=1
	ds_store_b64 v56, v[2:3] offset:11936
; %bb.675:                              ;   in Loop: Header=BB122_3 Depth=1
	s_or_b32 exec_lo, exec_lo, s41
	s_wait_dscnt 0x0
	s_barrier_signal -1
	s_barrier_wait -1
	s_barrier_signal -1
	s_barrier_wait -1
	s_and_saveexec_b32 s41, s90
	s_cbranch_execz .LBB122_677
; %bb.676:                              ;   in Loop: Header=BB122_3 Depth=1
	ds_load_b64 v[2:3], v73 offset:11424
	s_wait_dscnt 0x0
	ds_store_b64 v71, v[2:3] offset:10416
	ds_load_b64 v[2:3], v73 offset:11432
	s_wait_dscnt 0x0
	ds_store_b64 v71, v[2:3] offset:10928
.LBB122_677:                            ;   in Loop: Header=BB122_3 Depth=1
	s_or_b32 exec_lo, exec_lo, s41
	s_wait_dscnt 0x0
	s_barrier_signal -1
	s_barrier_wait -1
	s_and_saveexec_b32 s41, s10
	s_cbranch_execz .LBB122_679
; %bb.678:                              ;   in Loop: Header=BB122_3 Depth=1
	ds_load_b64 v[2:3], v7 offset:10912
	v_mov_b32_e32 v0, v7
	ds_store_b64 v7, v[34:35] offset:10920
	s_wait_dscnt 0x1
	ds_store_b128 v7, v[0:3] offset:10400
.LBB122_679:                            ;   in Loop: Header=BB122_3 Depth=1
	s_or_b32 exec_lo, exec_lo, s41
	v_mov_b64_e32 v[2:3], 0
	s_wait_dscnt 0x0
	s_barrier_signal -1
	s_barrier_wait -1
	global_wb scope:SCOPE_DEV
	s_wait_storecnt 0x0
	global_inv scope:SCOPE_DEV
	s_and_saveexec_b32 s41, s3
	s_cbranch_execz .LBB122_685
; %bb.680:                              ;   in Loop: Header=BB122_3 Depth=1
	ds_load_b64 v[2:3], v60 offset:10368
	ds_load_b64 v[50:51], v59 offset:11936
	s_wait_dscnt 0x0
	v_fma_f64 v[2:3], v[2:3], v[50:51], 0
	s_and_saveexec_b32 s42, s12
	s_cbranch_execnz .LBB122_1101
; %bb.681:                              ;   in Loop: Header=BB122_3 Depth=1
	s_or_b32 exec_lo, exec_lo, s42
	s_and_saveexec_b32 s42, s13
	s_cbranch_execnz .LBB122_1102
.LBB122_682:                            ;   in Loop: Header=BB122_3 Depth=1
	s_or_b32 exec_lo, exec_lo, s42
	s_and_saveexec_b32 s42, s1
	s_cbranch_execz .LBB122_684
.LBB122_683:                            ;   in Loop: Header=BB122_3 Depth=1
	ds_load_b64 v[50:51], v5 offset:11904
	ds_load_b64 v[100:101], v7 offset:11960
	s_wait_dscnt 0x0
	v_fmac_f64_e32 v[2:3], v[50:51], v[100:101]
.LBB122_684:                            ;   in Loop: Header=BB122_3 Depth=1
	s_or_b32 exec_lo, exec_lo, s42
.LBB122_685:                            ;   in Loop: Header=BB122_3 Depth=1
	s_delay_alu instid0(SALU_CYCLE_1)
	s_or_b32 exec_lo, exec_lo, s41
	s_and_saveexec_b32 s41, s91
; %bb.686:                              ;   in Loop: Header=BB122_3 Depth=1
	s_delay_alu instid0(VALU_DEP_1) | instskip(NEXT) | instid1(VALU_DEP_2)
	v_xor_b32_e32 v51, 0x80000000, v3
	v_mov_b32_e32 v50, v2
	ds_store_b64 v58, v[50:51]
; %bb.687:                              ;   in Loop: Header=BB122_3 Depth=1
	s_or_b32 exec_lo, exec_lo, s41
	s_wait_loadcnt_dscnt 0x0
	s_barrier_signal -1
	s_barrier_wait -1
	s_and_saveexec_b32 s41, s92
	s_cbranch_execz .LBB122_689
; %bb.688:                              ;   in Loop: Header=BB122_3 Depth=1
	ds_load_b64 v[50:51], v60 offset:9856
	ds_load_b64 v[100:101], v58
	s_wait_dscnt 0x0
	v_fma_f64 v[2:3], -v[50:51], v[100:101], v[2:3]
.LBB122_689:                            ;   in Loop: Header=BB122_3 Depth=1
	s_or_b32 exec_lo, exec_lo, s41
	s_barrier_signal -1
	s_barrier_wait -1
	s_and_saveexec_b32 s41, s93
; %bb.690:                              ;   in Loop: Header=BB122_3 Depth=1
	s_delay_alu instid0(VALU_DEP_1) | instskip(NEXT) | instid1(VALU_DEP_2)
	v_xor_b32_e32 v51, 0x80000000, v3
	v_mov_b32_e32 v50, v2
	ds_store_b64 v58, v[50:51]
; %bb.691:                              ;   in Loop: Header=BB122_3 Depth=1
	s_or_b32 exec_lo, exec_lo, s41
	s_wait_dscnt 0x0
	s_barrier_signal -1
	s_barrier_wait -1
	s_and_saveexec_b32 s41, s94
	s_cbranch_execz .LBB122_693
; %bb.692:                              ;   in Loop: Header=BB122_3 Depth=1
	ds_load_b64 v[50:51], v60 offset:9344
	ds_load_b64 v[100:101], v58
	s_wait_dscnt 0x0
	v_fma_f64 v[2:3], -v[50:51], v[100:101], v[2:3]
.LBB122_693:                            ;   in Loop: Header=BB122_3 Depth=1
	s_or_b32 exec_lo, exec_lo, s41
	s_barrier_signal -1
	s_barrier_wait -1
	s_and_saveexec_b32 s41, s95
; %bb.694:                              ;   in Loop: Header=BB122_3 Depth=1
	s_delay_alu instid0(VALU_DEP_1) | instskip(NEXT) | instid1(VALU_DEP_2)
	v_xor_b32_e32 v51, 0x80000000, v3
	v_mov_b32_e32 v50, v2
	ds_store_b64 v58, v[50:51]
; %bb.695:                              ;   in Loop: Header=BB122_3 Depth=1
	s_or_b32 exec_lo, exec_lo, s41
	s_wait_dscnt 0x0
	;; [unrolled: 22-line block ×3, first 2 shown]
	s_barrier_signal -1
	s_barrier_wait -1
	s_barrier_signal -1
	s_barrier_wait -1
	s_and_saveexec_b32 s41, s3
; %bb.700:                              ;   in Loop: Header=BB122_3 Depth=1
	ds_store_b64 v63, v[2:3] offset:11904
; %bb.701:                              ;   in Loop: Header=BB122_3 Depth=1
	s_or_b32 exec_lo, exec_lo, s41
	s_wait_dscnt 0x0
	s_barrier_signal -1
	s_barrier_wait -1
	s_barrier_signal -1
	s_barrier_wait -1
	s_and_saveexec_b32 s41, s97
	s_cbranch_execz .LBB122_703
; %bb.702:                              ;   in Loop: Header=BB122_3 Depth=1
	ds_load_b64 v[2:3], v11 offset:10368
	s_wait_dscnt 0x0
	ds_store_b64 v84, v[2:3] offset:8352
	ds_load_b64 v[2:3], v11 offset:10376
	s_wait_dscnt 0x0
	ds_store_b64 v84, v[2:3] offset:8864
	;; [unrolled: 3-line block ×4, first 2 shown]
.LBB122_703:                            ;   in Loop: Header=BB122_3 Depth=1
	s_or_b32 exec_lo, exec_lo, s41
	s_wait_dscnt 0x0
	s_barrier_signal -1
	s_barrier_wait -1
	s_and_saveexec_b32 s41, s10
	s_cbranch_execz .LBB122_705
; %bb.704:                              ;   in Loop: Header=BB122_3 Depth=1
	ds_load_b64 v[2:3], v7 offset:9872
	v_mov_b32_e32 v0, v7
	ds_store_b64 v7, v[34:35] offset:9880
	s_wait_dscnt 0x1
	ds_store_b128 v7, v[0:3] offset:9360
.LBB122_705:                            ;   in Loop: Header=BB122_3 Depth=1
	s_or_b32 exec_lo, exec_lo, s41
	v_mov_b64_e32 v[2:3], 0
	s_wait_dscnt 0x0
	s_barrier_signal -1
	s_barrier_wait -1
	global_wb scope:SCOPE_DEV
	s_wait_storecnt 0x0
	global_inv scope:SCOPE_DEV
	s_and_saveexec_b32 s41, s1
	s_cbranch_execz .LBB122_709
; %bb.706:                              ;   in Loop: Header=BB122_3 Depth=1
	ds_load_b64 v[2:3], v54 offset:9344
	ds_load_b64 v[50:51], v53 offset:9872
	s_wait_dscnt 0x0
	v_fma_f64 v[2:3], v[2:3], v[50:51], 0
	s_and_saveexec_b32 s42, s11
	s_cbranch_execz .LBB122_708
; %bb.707:                              ;   in Loop: Header=BB122_3 Depth=1
	ds_load_b64 v[50:51], v84 offset:9856
	ds_load_b64 v[100:101], v7 offset:9880
	s_wait_dscnt 0x0
	v_fmac_f64_e32 v[2:3], v[50:51], v[100:101]
.LBB122_708:                            ;   in Loop: Header=BB122_3 Depth=1
	s_or_b32 exec_lo, exec_lo, s42
.LBB122_709:                            ;   in Loop: Header=BB122_3 Depth=1
	s_delay_alu instid0(SALU_CYCLE_1)
	s_or_b32 exec_lo, exec_lo, s41
	s_and_saveexec_b32 s41, s88
; %bb.710:                              ;   in Loop: Header=BB122_3 Depth=1
	s_delay_alu instid0(VALU_DEP_1) | instskip(NEXT) | instid1(VALU_DEP_2)
	v_xor_b32_e32 v51, 0x80000000, v3
	v_mov_b32_e32 v50, v2
	ds_store_b64 v52, v[50:51]
; %bb.711:                              ;   in Loop: Header=BB122_3 Depth=1
	s_or_b32 exec_lo, exec_lo, s41
	s_wait_loadcnt_dscnt 0x0
	s_barrier_signal -1
	s_barrier_wait -1
	s_and_saveexec_b32 s41, s89
	s_cbranch_execz .LBB122_713
; %bb.712:                              ;   in Loop: Header=BB122_3 Depth=1
	ds_load_b64 v[50:51], v7 offset:8832
	ds_load_b64 v[100:101], v52
	s_wait_dscnt 0x0
	v_fma_f64 v[2:3], -v[50:51], v[100:101], v[2:3]
.LBB122_713:                            ;   in Loop: Header=BB122_3 Depth=1
	s_or_b32 exec_lo, exec_lo, s41
	s_barrier_signal -1
	s_barrier_wait -1
	s_and_saveexec_b32 s41, s89
; %bb.714:                              ;   in Loop: Header=BB122_3 Depth=1
	s_delay_alu instid0(VALU_DEP_1) | instskip(NEXT) | instid1(VALU_DEP_2)
	v_xor_b32_e32 v51, 0x80000000, v3
	v_mov_b32_e32 v50, v2
	ds_store_b64 v52, v[50:51]
; %bb.715:                              ;   in Loop: Header=BB122_3 Depth=1
	s_or_b32 exec_lo, exec_lo, s41
	s_wait_dscnt 0x0
	s_barrier_signal -1
	s_barrier_wait -1
	s_barrier_signal -1
	s_barrier_wait -1
	s_and_saveexec_b32 s41, s1
; %bb.716:                              ;   in Loop: Header=BB122_3 Depth=1
	ds_store_b64 v56, v[2:3] offset:9856
; %bb.717:                              ;   in Loop: Header=BB122_3 Depth=1
	s_or_b32 exec_lo, exec_lo, s41
	s_wait_dscnt 0x0
	s_barrier_signal -1
	s_barrier_wait -1
	s_barrier_signal -1
	s_barrier_wait -1
	s_and_saveexec_b32 s41, s90
	s_cbranch_execz .LBB122_719
; %bb.718:                              ;   in Loop: Header=BB122_3 Depth=1
	ds_load_b64 v[2:3], v88 offset:9344
	s_wait_dscnt 0x0
	ds_store_b64 v84, v[2:3] offset:8336
	ds_load_b64 v[2:3], v88 offset:9352
	s_wait_dscnt 0x0
	ds_store_b64 v84, v[2:3] offset:8848
.LBB122_719:                            ;   in Loop: Header=BB122_3 Depth=1
	s_or_b32 exec_lo, exec_lo, s41
	s_wait_dscnt 0x0
	s_barrier_signal -1
	s_barrier_wait -1
	s_and_saveexec_b32 s41, s10
	s_cbranch_execz .LBB122_721
; %bb.720:                              ;   in Loop: Header=BB122_3 Depth=1
	ds_load_b64 v[2:3], v7 offset:8832
	v_mov_b32_e32 v0, v7
	ds_store_b64 v7, v[34:35] offset:8840
	s_wait_dscnt 0x1
	ds_store_b128 v7, v[0:3] offset:8320
.LBB122_721:                            ;   in Loop: Header=BB122_3 Depth=1
	s_or_b32 exec_lo, exec_lo, s41
	v_mov_b64_e32 v[2:3], 0
	s_wait_dscnt 0x0
	s_barrier_signal -1
	s_barrier_wait -1
	global_wb scope:SCOPE_DEV
	s_wait_storecnt 0x0
	global_inv scope:SCOPE_DEV
	s_and_saveexec_b32 s61, s5
	s_cbranch_execz .LBB122_749
; %bb.722:                              ;   in Loop: Header=BB122_3 Depth=1
	ds_load_b64 v[2:3], v76 offset:8192
	ds_load_b64 v[50:51], v75 offset:16000
	s_wait_dscnt 0x0
	v_fma_f64 v[2:3], v[2:3], v[50:51], 0
	s_mov_b32 s41, exec_lo
	v_readlane_b32 s42, v108, 17
	s_and_b32 s42, s41, s42
	s_delay_alu instid0(SALU_CYCLE_1)
	s_mov_b32 exec_lo, s42
	s_cbranch_execz .LBB122_724
; %bb.723:                              ;   in Loop: Header=BB122_3 Depth=1
	ds_load_b64 v[50:51], v76 offset:8704
	ds_load_b64 v[100:101], v75 offset:16008
	s_wait_dscnt 0x0
	v_fmac_f64_e32 v[2:3], v[50:51], v[100:101]
.LBB122_724:                            ;   in Loop: Header=BB122_3 Depth=1
	s_or_b32 exec_lo, exec_lo, s41
	s_delay_alu instid0(SALU_CYCLE_1) | instskip(SKIP_2) | instid1(SALU_CYCLE_1)
	s_mov_b32 s41, exec_lo
	v_readlane_b32 s42, v108, 18
	s_and_b32 s42, s41, s42
	s_mov_b32 exec_lo, s42
	s_cbranch_execz .LBB122_726
; %bb.725:                              ;   in Loop: Header=BB122_3 Depth=1
	ds_load_b64 v[50:51], v76 offset:9216
	ds_load_b64 v[100:101], v75 offset:16016
	s_wait_dscnt 0x0
	v_fmac_f64_e32 v[2:3], v[50:51], v[100:101]
.LBB122_726:                            ;   in Loop: Header=BB122_3 Depth=1
	s_or_b32 exec_lo, exec_lo, s41
	s_delay_alu instid0(SALU_CYCLE_1) | instskip(SKIP_2) | instid1(SALU_CYCLE_1)
	s_mov_b32 s41, exec_lo
	v_readlane_b32 s42, v108, 19
	s_and_b32 s42, s41, s42
	;; [unrolled: 13-line block ×10, first 2 shown]
	s_mov_b32 exec_lo, s42
	s_cbranch_execnz .LBB122_1103
; %bb.743:                              ;   in Loop: Header=BB122_3 Depth=1
	s_or_b32 exec_lo, exec_lo, s41
	s_and_saveexec_b32 s41, s4
	s_cbranch_execnz .LBB122_1104
.LBB122_744:                            ;   in Loop: Header=BB122_3 Depth=1
	s_or_b32 exec_lo, exec_lo, s41
	s_and_saveexec_b32 s41, s15
	s_cbranch_execnz .LBB122_1105
.LBB122_745:                            ;   in Loop: Header=BB122_3 Depth=1
	s_or_b32 exec_lo, exec_lo, s41
	s_and_saveexec_b32 s41, s17
	s_cbranch_execnz .LBB122_1106
.LBB122_746:                            ;   in Loop: Header=BB122_3 Depth=1
	s_or_b32 exec_lo, exec_lo, s41
	s_and_saveexec_b32 s41, s3
	s_cbranch_execz .LBB122_748
.LBB122_747:                            ;   in Loop: Header=BB122_3 Depth=1
	ds_load_b64 v[50:51], v55 offset:15872
	ds_load_b64 v[100:101], v7 offset:16120
	s_wait_dscnt 0x0
	v_fmac_f64_e32 v[2:3], v[50:51], v[100:101]
.LBB122_748:                            ;   in Loop: Header=BB122_3 Depth=1
	s_or_b32 exec_lo, exec_lo, s41
.LBB122_749:                            ;   in Loop: Header=BB122_3 Depth=1
	s_delay_alu instid0(SALU_CYCLE_1) | instskip(NEXT) | instid1(SALU_CYCLE_1)
	s_or_b32 exec_lo, exec_lo, s61
	s_mov_b32 s41, exec_lo
	v_readlane_b32 s42, v108, 2
	s_and_b32 s42, s41, s42
	s_delay_alu instid0(SALU_CYCLE_1)
	s_mov_b32 exec_lo, s42
; %bb.750:                              ;   in Loop: Header=BB122_3 Depth=1
	v_xor_b32_e32 v51, 0x80000000, v3
	v_mov_b32_e32 v50, v2
	ds_store_b64 v74, v[50:51]
; %bb.751:                              ;   in Loop: Header=BB122_3 Depth=1
	s_or_b32 exec_lo, exec_lo, s41
	s_wait_loadcnt_dscnt 0x0
	s_barrier_signal -1
	s_barrier_wait -1
	s_mov_b32 s41, exec_lo
	v_readlane_b32 s42, v108, 3
	s_and_b32 s42, s41, s42
	s_delay_alu instid0(SALU_CYCLE_1)
	s_mov_b32 exec_lo, s42
	s_cbranch_execz .LBB122_753
; %bb.752:                              ;   in Loop: Header=BB122_3 Depth=1
	ds_load_b64 v[50:51], v76 offset:7680
	ds_load_b64 v[100:101], v74
	s_wait_dscnt 0x0
	v_fma_f64 v[2:3], -v[50:51], v[100:101], v[2:3]
.LBB122_753:                            ;   in Loop: Header=BB122_3 Depth=1
	s_or_b32 exec_lo, exec_lo, s41
	s_barrier_signal -1
	s_barrier_wait -1
	s_mov_b32 s41, exec_lo
	v_readlane_b32 s42, v108, 4
	s_and_b32 s42, s41, s42
	s_delay_alu instid0(SALU_CYCLE_1)
	s_mov_b32 exec_lo, s42
; %bb.754:                              ;   in Loop: Header=BB122_3 Depth=1
	v_xor_b32_e32 v51, 0x80000000, v3
	v_mov_b32_e32 v50, v2
	ds_store_b64 v74, v[50:51]
; %bb.755:                              ;   in Loop: Header=BB122_3 Depth=1
	s_or_b32 exec_lo, exec_lo, s41
	s_wait_dscnt 0x0
	s_barrier_signal -1
	s_barrier_wait -1
	s_mov_b32 s41, exec_lo
	v_readlane_b32 s42, v108, 5
	s_and_b32 s42, s41, s42
	s_delay_alu instid0(SALU_CYCLE_1)
	s_mov_b32 exec_lo, s42
	s_cbranch_execz .LBB122_757
; %bb.756:                              ;   in Loop: Header=BB122_3 Depth=1
	ds_load_b64 v[50:51], v76 offset:7168
	ds_load_b64 v[100:101], v74
	s_wait_dscnt 0x0
	v_fma_f64 v[2:3], -v[50:51], v[100:101], v[2:3]
.LBB122_757:                            ;   in Loop: Header=BB122_3 Depth=1
	s_or_b32 exec_lo, exec_lo, s41
	s_barrier_signal -1
	s_barrier_wait -1
	s_mov_b32 s41, exec_lo
	v_readlane_b32 s42, v108, 6
	s_and_b32 s42, s41, s42
	s_delay_alu instid0(SALU_CYCLE_1)
	s_mov_b32 exec_lo, s42
; %bb.758:                              ;   in Loop: Header=BB122_3 Depth=1
	v_xor_b32_e32 v51, 0x80000000, v3
	v_mov_b32_e32 v50, v2
	ds_store_b64 v74, v[50:51]
; %bb.759:                              ;   in Loop: Header=BB122_3 Depth=1
	s_or_b32 exec_lo, exec_lo, s41
	s_wait_dscnt 0x0
	s_barrier_signal -1
	s_barrier_wait -1
	s_and_saveexec_b32 s41, s44
	s_cbranch_execz .LBB122_761
; %bb.760:                              ;   in Loop: Header=BB122_3 Depth=1
	ds_load_b64 v[50:51], v76 offset:6656
	ds_load_b64 v[100:101], v74
	s_wait_dscnt 0x0
	v_fma_f64 v[2:3], -v[50:51], v[100:101], v[2:3]
.LBB122_761:                            ;   in Loop: Header=BB122_3 Depth=1
	s_or_b32 exec_lo, exec_lo, s41
	s_barrier_signal -1
	s_barrier_wait -1
	s_and_saveexec_b32 s41, s45
; %bb.762:                              ;   in Loop: Header=BB122_3 Depth=1
	s_delay_alu instid0(VALU_DEP_1) | instskip(NEXT) | instid1(VALU_DEP_2)
	v_xor_b32_e32 v51, 0x80000000, v3
	v_mov_b32_e32 v50, v2
	ds_store_b64 v74, v[50:51]
; %bb.763:                              ;   in Loop: Header=BB122_3 Depth=1
	s_or_b32 exec_lo, exec_lo, s41
	s_wait_dscnt 0x0
	s_barrier_signal -1
	s_barrier_wait -1
	s_and_saveexec_b32 s41, s46
	s_cbranch_execz .LBB122_765
; %bb.764:                              ;   in Loop: Header=BB122_3 Depth=1
	ds_load_b64 v[50:51], v76 offset:6144
	ds_load_b64 v[100:101], v74
	s_wait_dscnt 0x0
	v_fma_f64 v[2:3], -v[50:51], v[100:101], v[2:3]
.LBB122_765:                            ;   in Loop: Header=BB122_3 Depth=1
	s_or_b32 exec_lo, exec_lo, s41
	s_barrier_signal -1
	s_barrier_wait -1
	s_and_saveexec_b32 s41, s47
; %bb.766:                              ;   in Loop: Header=BB122_3 Depth=1
	s_delay_alu instid0(VALU_DEP_1) | instskip(NEXT) | instid1(VALU_DEP_2)
	;; [unrolled: 22-line block ×13, first 2 shown]
	v_xor_b32_e32 v51, 0x80000000, v3
	v_mov_b32_e32 v50, v2
	ds_store_b64 v74, v[50:51]
; %bb.811:                              ;   in Loop: Header=BB122_3 Depth=1
	s_or_b32 exec_lo, exec_lo, s41
	s_wait_dscnt 0x0
	s_barrier_signal -1
	s_barrier_wait -1
	s_barrier_signal -1
	s_barrier_wait -1
	s_and_saveexec_b32 s41, s5
; %bb.812:                              ;   in Loop: Header=BB122_3 Depth=1
	ds_store_b64 v78, v[2:3] offset:15872
; %bb.813:                              ;   in Loop: Header=BB122_3 Depth=1
	s_or_b32 exec_lo, exec_lo, s41
	s_wait_dscnt 0x0
	s_barrier_signal -1
	s_barrier_wait -1
	s_barrier_signal -1
	s_barrier_wait -1
	s_and_saveexec_b32 s41, s28
	s_cbranch_execz .LBB122_815
; %bb.814:                              ;   in Loop: Header=BB122_3 Depth=1
	ds_load_b64 v[2:3], v57 offset:8192
	s_wait_dscnt 0x0
	ds_store_b64 v61, v[2:3] offset:128
	ds_load_b64 v[2:3], v57 offset:8200
	s_wait_dscnt 0x0
	ds_store_b64 v61, v[2:3] offset:640
	;; [unrolled: 3-line block ×16, first 2 shown]
.LBB122_815:                            ;   in Loop: Header=BB122_3 Depth=1
	s_or_b32 exec_lo, exec_lo, s41
	s_wait_dscnt 0x0
	s_barrier_signal -1
	s_barrier_wait -1
	s_and_saveexec_b32 s41, s10
	s_cbranch_execz .LBB122_817
; %bb.816:                              ;   in Loop: Header=BB122_3 Depth=1
	ds_load_b64 v[2:3], v7 offset:7792
	v_mov_b32_e32 v0, v7
	ds_store_b64 v7, v[34:35] offset:7800
	s_wait_dscnt 0x1
	ds_store_b128 v7, v[0:3] offset:7280
.LBB122_817:                            ;   in Loop: Header=BB122_3 Depth=1
	s_or_b32 exec_lo, exec_lo, s41
	v_mov_b64_e32 v[2:3], 0
	s_wait_dscnt 0x0
	s_barrier_signal -1
	s_barrier_wait -1
	global_wb scope:SCOPE_DEV
	s_wait_storecnt 0x0
	global_inv scope:SCOPE_DEV
	s_and_saveexec_b32 s41, s1
	s_cbranch_execz .LBB122_821
; %bb.818:                              ;   in Loop: Header=BB122_3 Depth=1
	ds_load_b64 v[2:3], v54 offset:7264
	ds_load_b64 v[50:51], v53 offset:7792
	s_wait_dscnt 0x0
	v_fma_f64 v[2:3], v[2:3], v[50:51], 0
	s_and_saveexec_b32 s42, s11
	s_cbranch_execz .LBB122_820
; %bb.819:                              ;   in Loop: Header=BB122_3 Depth=1
	ds_load_b64 v[50:51], v55 offset:7776
	ds_load_b64 v[100:101], v7 offset:7800
	s_wait_dscnt 0x0
	v_fmac_f64_e32 v[2:3], v[50:51], v[100:101]
.LBB122_820:                            ;   in Loop: Header=BB122_3 Depth=1
	s_or_b32 exec_lo, exec_lo, s42
.LBB122_821:                            ;   in Loop: Header=BB122_3 Depth=1
	s_delay_alu instid0(SALU_CYCLE_1)
	s_or_b32 exec_lo, exec_lo, s41
	s_and_saveexec_b32 s41, s88
; %bb.822:                              ;   in Loop: Header=BB122_3 Depth=1
	s_delay_alu instid0(VALU_DEP_1) | instskip(NEXT) | instid1(VALU_DEP_2)
	v_xor_b32_e32 v51, 0x80000000, v3
	v_mov_b32_e32 v50, v2
	ds_store_b64 v52, v[50:51]
; %bb.823:                              ;   in Loop: Header=BB122_3 Depth=1
	s_or_b32 exec_lo, exec_lo, s41
	s_wait_loadcnt_dscnt 0x0
	s_barrier_signal -1
	s_barrier_wait -1
	s_and_saveexec_b32 s41, s89
	s_cbranch_execz .LBB122_825
; %bb.824:                              ;   in Loop: Header=BB122_3 Depth=1
	ds_load_b64 v[50:51], v7 offset:6752
	ds_load_b64 v[100:101], v52
	s_wait_dscnt 0x0
	v_fma_f64 v[2:3], -v[50:51], v[100:101], v[2:3]
.LBB122_825:                            ;   in Loop: Header=BB122_3 Depth=1
	s_or_b32 exec_lo, exec_lo, s41
	s_barrier_signal -1
	s_barrier_wait -1
	s_and_saveexec_b32 s41, s89
; %bb.826:                              ;   in Loop: Header=BB122_3 Depth=1
	s_delay_alu instid0(VALU_DEP_1) | instskip(NEXT) | instid1(VALU_DEP_2)
	v_xor_b32_e32 v51, 0x80000000, v3
	v_mov_b32_e32 v50, v2
	ds_store_b64 v52, v[50:51]
; %bb.827:                              ;   in Loop: Header=BB122_3 Depth=1
	s_or_b32 exec_lo, exec_lo, s41
	s_wait_dscnt 0x0
	s_barrier_signal -1
	s_barrier_wait -1
	s_barrier_signal -1
	s_barrier_wait -1
	s_and_saveexec_b32 s41, s1
; %bb.828:                              ;   in Loop: Header=BB122_3 Depth=1
	ds_store_b64 v56, v[2:3] offset:7776
; %bb.829:                              ;   in Loop: Header=BB122_3 Depth=1
	s_or_b32 exec_lo, exec_lo, s41
	s_wait_dscnt 0x0
	s_barrier_signal -1
	s_barrier_wait -1
	s_barrier_signal -1
	s_barrier_wait -1
	s_and_saveexec_b32 s41, s90
	s_cbranch_execz .LBB122_831
; %bb.830:                              ;   in Loop: Header=BB122_3 Depth=1
	ds_load_b64 v[2:3], v57 offset:7264
	s_wait_dscnt 0x0
	ds_store_b64 v55, v[2:3] offset:6256
	ds_load_b64 v[2:3], v57 offset:7272
	s_wait_dscnt 0x0
	ds_store_b64 v55, v[2:3] offset:6768
.LBB122_831:                            ;   in Loop: Header=BB122_3 Depth=1
	s_or_b32 exec_lo, exec_lo, s41
	s_wait_dscnt 0x0
	s_barrier_signal -1
	s_barrier_wait -1
	s_and_saveexec_b32 s41, s10
	s_cbranch_execz .LBB122_833
; %bb.832:                              ;   in Loop: Header=BB122_3 Depth=1
	ds_load_b64 v[2:3], v7 offset:6752
	v_mov_b32_e32 v0, v7
	ds_store_b64 v7, v[34:35] offset:6760
	s_wait_dscnt 0x1
	ds_store_b128 v7, v[0:3] offset:6240
.LBB122_833:                            ;   in Loop: Header=BB122_3 Depth=1
	s_or_b32 exec_lo, exec_lo, s41
	v_mov_b64_e32 v[2:3], 0
	s_wait_dscnt 0x0
	s_barrier_signal -1
	s_barrier_wait -1
	global_wb scope:SCOPE_DEV
	s_wait_storecnt 0x0
	global_inv scope:SCOPE_DEV
	s_and_saveexec_b32 s41, s3
	s_cbranch_execz .LBB122_839
; %bb.834:                              ;   in Loop: Header=BB122_3 Depth=1
	ds_load_b64 v[2:3], v60 offset:6208
	ds_load_b64 v[50:51], v59 offset:7776
	s_wait_dscnt 0x0
	v_fma_f64 v[2:3], v[2:3], v[50:51], 0
	s_and_saveexec_b32 s42, s12
	s_cbranch_execnz .LBB122_1107
; %bb.835:                              ;   in Loop: Header=BB122_3 Depth=1
	s_or_b32 exec_lo, exec_lo, s42
	s_and_saveexec_b32 s42, s13
	s_cbranch_execnz .LBB122_1108
.LBB122_836:                            ;   in Loop: Header=BB122_3 Depth=1
	s_or_b32 exec_lo, exec_lo, s42
	s_and_saveexec_b32 s42, s1
	s_cbranch_execz .LBB122_838
.LBB122_837:                            ;   in Loop: Header=BB122_3 Depth=1
	ds_load_b64 v[50:51], v61 offset:7744
	ds_load_b64 v[100:101], v7 offset:7800
	s_wait_dscnt 0x0
	v_fmac_f64_e32 v[2:3], v[50:51], v[100:101]
.LBB122_838:                            ;   in Loop: Header=BB122_3 Depth=1
	s_or_b32 exec_lo, exec_lo, s42
.LBB122_839:                            ;   in Loop: Header=BB122_3 Depth=1
	s_delay_alu instid0(SALU_CYCLE_1)
	s_or_b32 exec_lo, exec_lo, s41
	s_and_saveexec_b32 s41, s91
; %bb.840:                              ;   in Loop: Header=BB122_3 Depth=1
	s_delay_alu instid0(VALU_DEP_1) | instskip(NEXT) | instid1(VALU_DEP_2)
	v_xor_b32_e32 v51, 0x80000000, v3
	v_mov_b32_e32 v50, v2
	ds_store_b64 v58, v[50:51]
; %bb.841:                              ;   in Loop: Header=BB122_3 Depth=1
	s_or_b32 exec_lo, exec_lo, s41
	s_wait_loadcnt_dscnt 0x0
	s_barrier_signal -1
	s_barrier_wait -1
	s_and_saveexec_b32 s41, s92
	s_cbranch_execz .LBB122_843
; %bb.842:                              ;   in Loop: Header=BB122_3 Depth=1
	ds_load_b64 v[50:51], v60 offset:5696
	ds_load_b64 v[100:101], v58
	s_wait_dscnt 0x0
	v_fma_f64 v[2:3], -v[50:51], v[100:101], v[2:3]
.LBB122_843:                            ;   in Loop: Header=BB122_3 Depth=1
	s_or_b32 exec_lo, exec_lo, s41
	s_barrier_signal -1
	s_barrier_wait -1
	s_and_saveexec_b32 s41, s93
; %bb.844:                              ;   in Loop: Header=BB122_3 Depth=1
	s_delay_alu instid0(VALU_DEP_1) | instskip(NEXT) | instid1(VALU_DEP_2)
	v_xor_b32_e32 v51, 0x80000000, v3
	v_mov_b32_e32 v50, v2
	ds_store_b64 v58, v[50:51]
; %bb.845:                              ;   in Loop: Header=BB122_3 Depth=1
	s_or_b32 exec_lo, exec_lo, s41
	s_wait_dscnt 0x0
	s_barrier_signal -1
	s_barrier_wait -1
	s_and_saveexec_b32 s41, s94
	s_cbranch_execz .LBB122_847
; %bb.846:                              ;   in Loop: Header=BB122_3 Depth=1
	ds_load_b64 v[50:51], v60 offset:5184
	ds_load_b64 v[100:101], v58
	s_wait_dscnt 0x0
	v_fma_f64 v[2:3], -v[50:51], v[100:101], v[2:3]
.LBB122_847:                            ;   in Loop: Header=BB122_3 Depth=1
	s_or_b32 exec_lo, exec_lo, s41
	s_barrier_signal -1
	s_barrier_wait -1
	s_and_saveexec_b32 s41, s95
; %bb.848:                              ;   in Loop: Header=BB122_3 Depth=1
	s_delay_alu instid0(VALU_DEP_1) | instskip(NEXT) | instid1(VALU_DEP_2)
	v_xor_b32_e32 v51, 0x80000000, v3
	v_mov_b32_e32 v50, v2
	ds_store_b64 v58, v[50:51]
; %bb.849:                              ;   in Loop: Header=BB122_3 Depth=1
	s_or_b32 exec_lo, exec_lo, s41
	s_wait_dscnt 0x0
	;; [unrolled: 22-line block ×3, first 2 shown]
	s_barrier_signal -1
	s_barrier_wait -1
	s_barrier_signal -1
	s_barrier_wait -1
	s_and_saveexec_b32 s41, s3
; %bb.854:                              ;   in Loop: Header=BB122_3 Depth=1
	ds_store_b64 v63, v[2:3] offset:7744
; %bb.855:                              ;   in Loop: Header=BB122_3 Depth=1
	s_or_b32 exec_lo, exec_lo, s41
	s_wait_dscnt 0x0
	s_barrier_signal -1
	s_barrier_wait -1
	s_barrier_signal -1
	s_barrier_wait -1
	s_and_saveexec_b32 s41, s97
	s_cbranch_execz .LBB122_857
; %bb.856:                              ;   in Loop: Header=BB122_3 Depth=1
	ds_load_b64 v[2:3], v62 offset:6208
	s_wait_dscnt 0x0
	ds_store_b64 v64, v[2:3] offset:4192
	ds_load_b64 v[2:3], v62 offset:6216
	s_wait_dscnt 0x0
	ds_store_b64 v64, v[2:3] offset:4704
	ds_load_b64 v[2:3], v62 offset:6224
	s_wait_dscnt 0x0
	ds_store_b64 v64, v[2:3] offset:5216
	ds_load_b64 v[2:3], v62 offset:6232
	s_wait_dscnt 0x0
	ds_store_b64 v64, v[2:3] offset:5728
.LBB122_857:                            ;   in Loop: Header=BB122_3 Depth=1
	s_or_b32 exec_lo, exec_lo, s41
	s_wait_dscnt 0x0
	s_barrier_signal -1
	s_barrier_wait -1
	s_and_saveexec_b32 s41, s10
	s_cbranch_execz .LBB122_859
; %bb.858:                              ;   in Loop: Header=BB122_3 Depth=1
	ds_load_b64 v[2:3], v7 offset:5712
	v_mov_b32_e32 v0, v7
	ds_store_b64 v7, v[34:35] offset:5720
	s_wait_dscnt 0x1
	ds_store_b128 v7, v[0:3] offset:5200
.LBB122_859:                            ;   in Loop: Header=BB122_3 Depth=1
	s_or_b32 exec_lo, exec_lo, s41
	v_mov_b64_e32 v[2:3], 0
	s_wait_dscnt 0x0
	s_barrier_signal -1
	s_barrier_wait -1
	global_wb scope:SCOPE_DEV
	s_wait_storecnt 0x0
	global_inv scope:SCOPE_DEV
	s_and_saveexec_b32 s41, s1
	s_cbranch_execz .LBB122_863
; %bb.860:                              ;   in Loop: Header=BB122_3 Depth=1
	ds_load_b64 v[2:3], v54 offset:5184
	ds_load_b64 v[50:51], v53 offset:5712
	s_wait_dscnt 0x0
	v_fma_f64 v[2:3], v[2:3], v[50:51], 0
	s_and_saveexec_b32 s42, s11
	s_cbranch_execz .LBB122_862
; %bb.861:                              ;   in Loop: Header=BB122_3 Depth=1
	ds_load_b64 v[50:51], v64 offset:5696
	ds_load_b64 v[100:101], v7 offset:5720
	s_wait_dscnt 0x0
	v_fmac_f64_e32 v[2:3], v[50:51], v[100:101]
.LBB122_862:                            ;   in Loop: Header=BB122_3 Depth=1
	s_or_b32 exec_lo, exec_lo, s42
.LBB122_863:                            ;   in Loop: Header=BB122_3 Depth=1
	s_delay_alu instid0(SALU_CYCLE_1)
	s_or_b32 exec_lo, exec_lo, s41
	s_and_saveexec_b32 s41, s88
; %bb.864:                              ;   in Loop: Header=BB122_3 Depth=1
	s_delay_alu instid0(VALU_DEP_1) | instskip(NEXT) | instid1(VALU_DEP_2)
	v_xor_b32_e32 v51, 0x80000000, v3
	v_mov_b32_e32 v50, v2
	ds_store_b64 v52, v[50:51]
; %bb.865:                              ;   in Loop: Header=BB122_3 Depth=1
	s_or_b32 exec_lo, exec_lo, s41
	s_wait_loadcnt_dscnt 0x0
	s_barrier_signal -1
	s_barrier_wait -1
	s_and_saveexec_b32 s41, s89
	s_cbranch_execz .LBB122_867
; %bb.866:                              ;   in Loop: Header=BB122_3 Depth=1
	ds_load_b64 v[50:51], v7 offset:4672
	ds_load_b64 v[100:101], v52
	s_wait_dscnt 0x0
	v_fma_f64 v[2:3], -v[50:51], v[100:101], v[2:3]
.LBB122_867:                            ;   in Loop: Header=BB122_3 Depth=1
	s_or_b32 exec_lo, exec_lo, s41
	s_barrier_signal -1
	s_barrier_wait -1
	s_and_saveexec_b32 s41, s89
; %bb.868:                              ;   in Loop: Header=BB122_3 Depth=1
	s_delay_alu instid0(VALU_DEP_1) | instskip(NEXT) | instid1(VALU_DEP_2)
	v_xor_b32_e32 v51, 0x80000000, v3
	v_mov_b32_e32 v50, v2
	ds_store_b64 v52, v[50:51]
; %bb.869:                              ;   in Loop: Header=BB122_3 Depth=1
	s_or_b32 exec_lo, exec_lo, s41
	s_wait_dscnt 0x0
	s_barrier_signal -1
	s_barrier_wait -1
	s_barrier_signal -1
	s_barrier_wait -1
	s_and_saveexec_b32 s41, s1
; %bb.870:                              ;   in Loop: Header=BB122_3 Depth=1
	ds_store_b64 v56, v[2:3] offset:5696
; %bb.871:                              ;   in Loop: Header=BB122_3 Depth=1
	s_or_b32 exec_lo, exec_lo, s41
	s_wait_dscnt 0x0
	s_barrier_signal -1
	s_barrier_wait -1
	s_barrier_signal -1
	s_barrier_wait -1
	s_and_saveexec_b32 s41, s90
	s_cbranch_execz .LBB122_873
; %bb.872:                              ;   in Loop: Header=BB122_3 Depth=1
	ds_load_b64 v[2:3], v65 offset:5184
	s_wait_dscnt 0x0
	ds_store_b64 v64, v[2:3] offset:4176
	ds_load_b64 v[2:3], v65 offset:5192
	s_wait_dscnt 0x0
	ds_store_b64 v64, v[2:3] offset:4688
.LBB122_873:                            ;   in Loop: Header=BB122_3 Depth=1
	s_or_b32 exec_lo, exec_lo, s41
	s_wait_dscnt 0x0
	s_barrier_signal -1
	s_barrier_wait -1
	s_and_saveexec_b32 s41, s10
	s_cbranch_execz .LBB122_875
; %bb.874:                              ;   in Loop: Header=BB122_3 Depth=1
	ds_load_b64 v[2:3], v7 offset:4672
	v_mov_b32_e32 v0, v7
	ds_store_b64 v7, v[34:35] offset:4680
	s_wait_dscnt 0x1
	ds_store_b128 v7, v[0:3] offset:4160
.LBB122_875:                            ;   in Loop: Header=BB122_3 Depth=1
	s_or_b32 exec_lo, exec_lo, s41
	v_mov_b64_e32 v[2:3], 0
	s_wait_dscnt 0x0
	s_barrier_signal -1
	s_barrier_wait -1
	global_wb scope:SCOPE_DEV
	s_wait_storecnt 0x0
	global_inv scope:SCOPE_DEV
	s_and_saveexec_b32 s41, s4
	s_cbranch_execz .LBB122_885
; %bb.876:                              ;   in Loop: Header=BB122_3 Depth=1
	ds_load_b64 v[2:3], v68 offset:4096
	ds_load_b64 v[50:51], v67 offset:7744
	s_wait_dscnt 0x0
	v_fma_f64 v[2:3], v[2:3], v[50:51], 0
	s_and_saveexec_b32 s42, s14
	s_cbranch_execnz .LBB122_1109
; %bb.877:                              ;   in Loop: Header=BB122_3 Depth=1
	s_or_b32 exec_lo, exec_lo, s42
	s_and_saveexec_b32 s42, s15
	s_cbranch_execnz .LBB122_1110
.LBB122_878:                            ;   in Loop: Header=BB122_3 Depth=1
	s_or_b32 exec_lo, exec_lo, s42
	s_and_saveexec_b32 s42, s16
	s_cbranch_execnz .LBB122_1111
.LBB122_879:                            ;   in Loop: Header=BB122_3 Depth=1
	s_or_b32 exec_lo, exec_lo, s42
	s_and_saveexec_b32 s42, s17
	s_cbranch_execnz .LBB122_1112
.LBB122_880:                            ;   in Loop: Header=BB122_3 Depth=1
	s_or_b32 exec_lo, exec_lo, s42
	s_and_saveexec_b32 s42, s18
	s_cbranch_execnz .LBB122_1113
.LBB122_881:                            ;   in Loop: Header=BB122_3 Depth=1
	s_or_b32 exec_lo, exec_lo, s42
	s_and_saveexec_b32 s42, s3
	s_cbranch_execnz .LBB122_1114
.LBB122_882:                            ;   in Loop: Header=BB122_3 Depth=1
	s_or_b32 exec_lo, exec_lo, s42
	s_and_saveexec_b32 s42, s13
	s_cbranch_execz .LBB122_884
.LBB122_883:                            ;   in Loop: Header=BB122_3 Depth=1
	ds_load_b64 v[50:51], v69 offset:7680
	ds_load_b64 v[100:101], v7 offset:7800
	s_wait_dscnt 0x0
	v_fmac_f64_e32 v[2:3], v[50:51], v[100:101]
.LBB122_884:                            ;   in Loop: Header=BB122_3 Depth=1
	s_or_b32 exec_lo, exec_lo, s42
.LBB122_885:                            ;   in Loop: Header=BB122_3 Depth=1
	s_delay_alu instid0(SALU_CYCLE_1)
	s_or_b32 exec_lo, exec_lo, s41
	s_and_saveexec_b32 s41, s98
; %bb.886:                              ;   in Loop: Header=BB122_3 Depth=1
	s_delay_alu instid0(VALU_DEP_1) | instskip(NEXT) | instid1(VALU_DEP_2)
	v_xor_b32_e32 v51, 0x80000000, v3
	v_mov_b32_e32 v50, v2
	ds_store_b64 v66, v[50:51]
; %bb.887:                              ;   in Loop: Header=BB122_3 Depth=1
	s_or_b32 exec_lo, exec_lo, s41
	s_wait_loadcnt_dscnt 0x0
	s_barrier_signal -1
	s_barrier_wait -1
	s_and_saveexec_b32 s41, s99
	s_cbranch_execz .LBB122_889
; %bb.888:                              ;   in Loop: Header=BB122_3 Depth=1
	ds_load_b64 v[50:51], v68 offset:3584
	ds_load_b64 v[100:101], v66
	s_wait_dscnt 0x0
	v_fma_f64 v[2:3], -v[50:51], v[100:101], v[2:3]
.LBB122_889:                            ;   in Loop: Header=BB122_3 Depth=1
	s_or_b32 exec_lo, exec_lo, s41
	s_barrier_signal -1
	s_barrier_wait -1
	s_and_saveexec_b32 s41, s100
; %bb.890:                              ;   in Loop: Header=BB122_3 Depth=1
	s_delay_alu instid0(VALU_DEP_1) | instskip(NEXT) | instid1(VALU_DEP_2)
	v_xor_b32_e32 v51, 0x80000000, v3
	v_mov_b32_e32 v50, v2
	ds_store_b64 v66, v[50:51]
; %bb.891:                              ;   in Loop: Header=BB122_3 Depth=1
	s_or_b32 exec_lo, exec_lo, s41
	s_wait_dscnt 0x0
	s_barrier_signal -1
	s_barrier_wait -1
	s_and_saveexec_b32 s41, s101
	s_cbranch_execz .LBB122_893
; %bb.892:                              ;   in Loop: Header=BB122_3 Depth=1
	ds_load_b64 v[50:51], v68 offset:3072
	ds_load_b64 v[100:101], v66
	s_wait_dscnt 0x0
	v_fma_f64 v[2:3], -v[50:51], v[100:101], v[2:3]
.LBB122_893:                            ;   in Loop: Header=BB122_3 Depth=1
	s_or_b32 exec_lo, exec_lo, s41
	s_barrier_signal -1
	s_barrier_wait -1
	s_and_saveexec_b32 s41, s102
; %bb.894:                              ;   in Loop: Header=BB122_3 Depth=1
	s_delay_alu instid0(VALU_DEP_1) | instskip(NEXT) | instid1(VALU_DEP_2)
	v_xor_b32_e32 v51, 0x80000000, v3
	v_mov_b32_e32 v50, v2
	ds_store_b64 v66, v[50:51]
; %bb.895:                              ;   in Loop: Header=BB122_3 Depth=1
	s_or_b32 exec_lo, exec_lo, s41
	s_wait_dscnt 0x0
	;; [unrolled: 22-line block ×3, first 2 shown]
	s_barrier_signal -1
	s_barrier_wait -1
	s_and_saveexec_b32 s41, vcc_hi
	s_cbranch_execz .LBB122_901
; %bb.900:                              ;   in Loop: Header=BB122_3 Depth=1
	ds_load_b64 v[50:51], v68 offset:2048
	ds_load_b64 v[100:101], v66
	s_wait_dscnt 0x0
	v_fma_f64 v[2:3], -v[50:51], v[100:101], v[2:3]
.LBB122_901:                            ;   in Loop: Header=BB122_3 Depth=1
	s_or_b32 exec_lo, exec_lo, s41
	s_barrier_signal -1
	s_barrier_wait -1
	s_and_saveexec_b32 s41, s31
; %bb.902:                              ;   in Loop: Header=BB122_3 Depth=1
	s_delay_alu instid0(VALU_DEP_1) | instskip(NEXT) | instid1(VALU_DEP_2)
	v_xor_b32_e32 v51, 0x80000000, v3
	v_mov_b32_e32 v50, v2
	ds_store_b64 v66, v[50:51]
; %bb.903:                              ;   in Loop: Header=BB122_3 Depth=1
	s_or_b32 exec_lo, exec_lo, s41
	s_wait_dscnt 0x0
	s_barrier_signal -1
	s_barrier_wait -1
	s_and_saveexec_b32 s41, s33
	s_cbranch_execz .LBB122_905
; %bb.904:                              ;   in Loop: Header=BB122_3 Depth=1
	ds_load_b64 v[50:51], v68 offset:1536
	ds_load_b64 v[100:101], v66
	s_wait_dscnt 0x0
	v_fma_f64 v[2:3], -v[50:51], v[100:101], v[2:3]
.LBB122_905:                            ;   in Loop: Header=BB122_3 Depth=1
	s_or_b32 exec_lo, exec_lo, s41
	s_barrier_signal -1
	s_barrier_wait -1
	s_and_saveexec_b32 s41, s34
; %bb.906:                              ;   in Loop: Header=BB122_3 Depth=1
	s_delay_alu instid0(VALU_DEP_1) | instskip(NEXT) | instid1(VALU_DEP_2)
	v_xor_b32_e32 v51, 0x80000000, v3
	v_mov_b32_e32 v50, v2
	ds_store_b64 v66, v[50:51]
; %bb.907:                              ;   in Loop: Header=BB122_3 Depth=1
	s_or_b32 exec_lo, exec_lo, s41
	s_wait_dscnt 0x0
	s_barrier_signal -1
	s_barrier_wait -1
	s_and_saveexec_b32 s41, s35
	;; [unrolled: 22-line block ×3, first 2 shown]
	s_cbranch_execz .LBB122_913
; %bb.912:                              ;   in Loop: Header=BB122_3 Depth=1
	ds_load_b64 v[50:51], v7 offset:512
	ds_load_b64 v[100:101], v66
	s_wait_dscnt 0x0
	v_fma_f64 v[2:3], -v[50:51], v[100:101], v[2:3]
.LBB122_913:                            ;   in Loop: Header=BB122_3 Depth=1
	s_or_b32 exec_lo, exec_lo, s41
	s_barrier_signal -1
	s_barrier_wait -1
	s_and_saveexec_b32 s41, s37
; %bb.914:                              ;   in Loop: Header=BB122_3 Depth=1
	s_delay_alu instid0(VALU_DEP_1) | instskip(NEXT) | instid1(VALU_DEP_2)
	v_xor_b32_e32 v51, 0x80000000, v3
	v_mov_b32_e32 v50, v2
	ds_store_b64 v66, v[50:51]
; %bb.915:                              ;   in Loop: Header=BB122_3 Depth=1
	s_or_b32 exec_lo, exec_lo, s41
	s_wait_dscnt 0x0
	s_barrier_signal -1
	s_barrier_wait -1
	s_barrier_signal -1
	s_barrier_wait -1
	s_and_saveexec_b32 s41, s4
; %bb.916:                              ;   in Loop: Header=BB122_3 Depth=1
	ds_store_b64 v72, v[2:3] offset:7680
; %bb.917:                              ;   in Loop: Header=BB122_3 Depth=1
	s_or_b32 exec_lo, exec_lo, s41
	s_wait_dscnt 0x0
	s_barrier_signal -1
	s_barrier_wait -1
	s_barrier_signal -1
	s_barrier_wait -1
	s_and_saveexec_b32 s41, s38
	s_cbranch_execz .LBB122_919
; %bb.918:                              ;   in Loop: Header=BB122_3 Depth=1
	ds_load_b64 v[2:3], v70 offset:4096
	s_wait_dscnt 0x0
	ds_store_b64 v71, v[2:3] offset:64
	ds_load_b64 v[2:3], v70 offset:4104
	s_wait_dscnt 0x0
	ds_store_b64 v71, v[2:3] offset:576
	;; [unrolled: 3-line block ×8, first 2 shown]
.LBB122_919:                            ;   in Loop: Header=BB122_3 Depth=1
	s_or_b32 exec_lo, exec_lo, s41
	s_wait_dscnt 0x0
	s_barrier_signal -1
	s_barrier_wait -1
	s_and_saveexec_b32 s41, s10
	s_cbranch_execz .LBB122_921
; %bb.920:                              ;   in Loop: Header=BB122_3 Depth=1
	ds_load_b64 v[2:3], v7 offset:3632
	v_mov_b32_e32 v0, v7
	ds_store_b64 v7, v[34:35] offset:3640
	s_wait_dscnt 0x1
	ds_store_b128 v7, v[0:3] offset:3120
.LBB122_921:                            ;   in Loop: Header=BB122_3 Depth=1
	s_or_b32 exec_lo, exec_lo, s41
	v_mov_b64_e32 v[2:3], 0
	s_wait_dscnt 0x0
	s_barrier_signal -1
	s_barrier_wait -1
	global_wb scope:SCOPE_DEV
	s_wait_storecnt 0x0
	global_inv scope:SCOPE_DEV
	s_and_saveexec_b32 s41, s1
	s_cbranch_execz .LBB122_925
; %bb.922:                              ;   in Loop: Header=BB122_3 Depth=1
	ds_load_b64 v[2:3], v54 offset:3104
	ds_load_b64 v[50:51], v53 offset:3632
	s_wait_dscnt 0x0
	v_fma_f64 v[2:3], v[2:3], v[50:51], 0
	s_and_saveexec_b32 s42, s11
	s_cbranch_execz .LBB122_924
; %bb.923:                              ;   in Loop: Header=BB122_3 Depth=1
	ds_load_b64 v[50:51], v71 offset:3616
	ds_load_b64 v[100:101], v7 offset:3640
	s_wait_dscnt 0x0
	v_fmac_f64_e32 v[2:3], v[50:51], v[100:101]
.LBB122_924:                            ;   in Loop: Header=BB122_3 Depth=1
	s_or_b32 exec_lo, exec_lo, s42
.LBB122_925:                            ;   in Loop: Header=BB122_3 Depth=1
	s_delay_alu instid0(SALU_CYCLE_1)
	s_or_b32 exec_lo, exec_lo, s41
	s_and_saveexec_b32 s41, s88
; %bb.926:                              ;   in Loop: Header=BB122_3 Depth=1
	s_delay_alu instid0(VALU_DEP_1) | instskip(NEXT) | instid1(VALU_DEP_2)
	v_xor_b32_e32 v51, 0x80000000, v3
	v_mov_b32_e32 v50, v2
	ds_store_b64 v52, v[50:51]
; %bb.927:                              ;   in Loop: Header=BB122_3 Depth=1
	s_or_b32 exec_lo, exec_lo, s41
	s_wait_loadcnt_dscnt 0x0
	s_barrier_signal -1
	s_barrier_wait -1
	s_and_saveexec_b32 s41, s89
	s_cbranch_execz .LBB122_929
; %bb.928:                              ;   in Loop: Header=BB122_3 Depth=1
	ds_load_b64 v[50:51], v7 offset:2592
	ds_load_b64 v[100:101], v52
	s_wait_dscnt 0x0
	v_fma_f64 v[2:3], -v[50:51], v[100:101], v[2:3]
.LBB122_929:                            ;   in Loop: Header=BB122_3 Depth=1
	s_or_b32 exec_lo, exec_lo, s41
	s_barrier_signal -1
	s_barrier_wait -1
	s_and_saveexec_b32 s41, s89
; %bb.930:                              ;   in Loop: Header=BB122_3 Depth=1
	s_delay_alu instid0(VALU_DEP_1) | instskip(NEXT) | instid1(VALU_DEP_2)
	v_xor_b32_e32 v51, 0x80000000, v3
	v_mov_b32_e32 v50, v2
	ds_store_b64 v52, v[50:51]
; %bb.931:                              ;   in Loop: Header=BB122_3 Depth=1
	s_or_b32 exec_lo, exec_lo, s41
	s_wait_dscnt 0x0
	s_barrier_signal -1
	s_barrier_wait -1
	s_barrier_signal -1
	s_barrier_wait -1
	s_and_saveexec_b32 s41, s1
; %bb.932:                              ;   in Loop: Header=BB122_3 Depth=1
	ds_store_b64 v56, v[2:3] offset:3616
; %bb.933:                              ;   in Loop: Header=BB122_3 Depth=1
	s_or_b32 exec_lo, exec_lo, s41
	s_wait_dscnt 0x0
	s_barrier_signal -1
	s_barrier_wait -1
	s_barrier_signal -1
	s_barrier_wait -1
	s_and_saveexec_b32 s41, s90
	s_cbranch_execz .LBB122_935
; %bb.934:                              ;   in Loop: Header=BB122_3 Depth=1
	ds_load_b64 v[2:3], v73 offset:3104
	s_wait_dscnt 0x0
	ds_store_b64 v71, v[2:3] offset:2096
	ds_load_b64 v[2:3], v73 offset:3112
	s_wait_dscnt 0x0
	ds_store_b64 v71, v[2:3] offset:2608
.LBB122_935:                            ;   in Loop: Header=BB122_3 Depth=1
	s_or_b32 exec_lo, exec_lo, s41
	s_wait_dscnt 0x0
	s_barrier_signal -1
	s_barrier_wait -1
	s_and_saveexec_b32 s41, s10
	s_cbranch_execz .LBB122_937
; %bb.936:                              ;   in Loop: Header=BB122_3 Depth=1
	ds_load_b64 v[2:3], v7 offset:2592
	v_mov_b32_e32 v0, v7
	ds_store_b64 v7, v[34:35] offset:2600
	s_wait_dscnt 0x1
	ds_store_b128 v7, v[0:3] offset:2080
.LBB122_937:                            ;   in Loop: Header=BB122_3 Depth=1
	s_or_b32 exec_lo, exec_lo, s41
	v_mov_b64_e32 v[2:3], 0
	s_wait_dscnt 0x0
	s_barrier_signal -1
	s_barrier_wait -1
	global_wb scope:SCOPE_DEV
	s_wait_storecnt 0x0
	global_inv scope:SCOPE_DEV
	s_and_saveexec_b32 s41, s3
	s_cbranch_execz .LBB122_943
; %bb.938:                              ;   in Loop: Header=BB122_3 Depth=1
	ds_load_b64 v[2:3], v60 offset:2048
	ds_load_b64 v[50:51], v59 offset:3616
	s_wait_dscnt 0x0
	v_fma_f64 v[2:3], v[2:3], v[50:51], 0
	s_and_saveexec_b32 s42, s12
	s_cbranch_execnz .LBB122_1115
; %bb.939:                              ;   in Loop: Header=BB122_3 Depth=1
	s_or_b32 exec_lo, exec_lo, s42
	s_and_saveexec_b32 s42, s13
	s_cbranch_execnz .LBB122_1116
.LBB122_940:                            ;   in Loop: Header=BB122_3 Depth=1
	s_or_b32 exec_lo, exec_lo, s42
	s_and_saveexec_b32 s42, s1
	s_cbranch_execz .LBB122_942
.LBB122_941:                            ;   in Loop: Header=BB122_3 Depth=1
	ds_load_b64 v[50:51], v5 offset:3584
	ds_load_b64 v[100:101], v7 offset:3640
	s_wait_dscnt 0x0
	v_fmac_f64_e32 v[2:3], v[50:51], v[100:101]
.LBB122_942:                            ;   in Loop: Header=BB122_3 Depth=1
	s_or_b32 exec_lo, exec_lo, s42
.LBB122_943:                            ;   in Loop: Header=BB122_3 Depth=1
	s_delay_alu instid0(SALU_CYCLE_1)
	s_or_b32 exec_lo, exec_lo, s41
	s_and_saveexec_b32 s41, s91
; %bb.944:                              ;   in Loop: Header=BB122_3 Depth=1
	s_delay_alu instid0(VALU_DEP_1) | instskip(NEXT) | instid1(VALU_DEP_2)
	v_xor_b32_e32 v51, 0x80000000, v3
	v_mov_b32_e32 v50, v2
	ds_store_b64 v58, v[50:51]
; %bb.945:                              ;   in Loop: Header=BB122_3 Depth=1
	s_or_b32 exec_lo, exec_lo, s41
	s_wait_loadcnt_dscnt 0x0
	s_barrier_signal -1
	s_barrier_wait -1
	s_and_saveexec_b32 s41, s92
	s_cbranch_execz .LBB122_947
; %bb.946:                              ;   in Loop: Header=BB122_3 Depth=1
	ds_load_b64 v[50:51], v60 offset:1536
	ds_load_b64 v[100:101], v58
	s_wait_dscnt 0x0
	v_fma_f64 v[2:3], -v[50:51], v[100:101], v[2:3]
.LBB122_947:                            ;   in Loop: Header=BB122_3 Depth=1
	s_or_b32 exec_lo, exec_lo, s41
	s_barrier_signal -1
	s_barrier_wait -1
	s_and_saveexec_b32 s41, s93
; %bb.948:                              ;   in Loop: Header=BB122_3 Depth=1
	s_delay_alu instid0(VALU_DEP_1) | instskip(NEXT) | instid1(VALU_DEP_2)
	v_xor_b32_e32 v51, 0x80000000, v3
	v_mov_b32_e32 v50, v2
	ds_store_b64 v58, v[50:51]
; %bb.949:                              ;   in Loop: Header=BB122_3 Depth=1
	s_or_b32 exec_lo, exec_lo, s41
	s_wait_dscnt 0x0
	s_barrier_signal -1
	s_barrier_wait -1
	s_and_saveexec_b32 s41, s94
	s_cbranch_execz .LBB122_951
; %bb.950:                              ;   in Loop: Header=BB122_3 Depth=1
	ds_load_b64 v[50:51], v60 offset:1024
	ds_load_b64 v[100:101], v58
	s_wait_dscnt 0x0
	v_fma_f64 v[2:3], -v[50:51], v[100:101], v[2:3]
.LBB122_951:                            ;   in Loop: Header=BB122_3 Depth=1
	s_or_b32 exec_lo, exec_lo, s41
	s_barrier_signal -1
	s_barrier_wait -1
	s_and_saveexec_b32 s41, s95
; %bb.952:                              ;   in Loop: Header=BB122_3 Depth=1
	s_delay_alu instid0(VALU_DEP_1) | instskip(NEXT) | instid1(VALU_DEP_2)
	v_xor_b32_e32 v51, 0x80000000, v3
	v_mov_b32_e32 v50, v2
	ds_store_b64 v58, v[50:51]
; %bb.953:                              ;   in Loop: Header=BB122_3 Depth=1
	s_or_b32 exec_lo, exec_lo, s41
	s_wait_dscnt 0x0
	;; [unrolled: 22-line block ×3, first 2 shown]
	s_barrier_signal -1
	s_barrier_wait -1
	s_barrier_signal -1
	s_barrier_wait -1
	s_and_saveexec_b32 s41, s3
; %bb.958:                              ;   in Loop: Header=BB122_3 Depth=1
	ds_store_b64 v63, v[2:3] offset:3584
; %bb.959:                              ;   in Loop: Header=BB122_3 Depth=1
	s_or_b32 exec_lo, exec_lo, s41
	s_wait_dscnt 0x0
	s_barrier_signal -1
	s_barrier_wait -1
	s_barrier_signal -1
	s_barrier_wait -1
	s_and_saveexec_b32 s41, s97
	s_cbranch_execz .LBB122_961
; %bb.960:                              ;   in Loop: Header=BB122_3 Depth=1
	ds_load_b64 v[2:3], v11 offset:2048
	s_wait_dscnt 0x0
	ds_store_b64 v84, v[2:3] offset:32
	ds_load_b64 v[2:3], v11 offset:2056
	s_wait_dscnt 0x0
	ds_store_b64 v84, v[2:3] offset:544
	;; [unrolled: 3-line block ×4, first 2 shown]
.LBB122_961:                            ;   in Loop: Header=BB122_3 Depth=1
	s_or_b32 exec_lo, exec_lo, s41
	s_wait_dscnt 0x0
	s_barrier_signal -1
	s_barrier_wait -1
	s_and_saveexec_b32 s41, s10
	s_cbranch_execz .LBB122_963
; %bb.962:                              ;   in Loop: Header=BB122_3 Depth=1
	ds_load_b64 v[2:3], v7 offset:1552
	v_mov_b32_e32 v0, v7
	ds_store_b64 v7, v[34:35] offset:1560
	s_wait_dscnt 0x1
	ds_store_b128 v7, v[0:3] offset:1040
.LBB122_963:                            ;   in Loop: Header=BB122_3 Depth=1
	s_or_b32 exec_lo, exec_lo, s41
	v_mov_b64_e32 v[2:3], 0
	s_wait_dscnt 0x0
	s_barrier_signal -1
	s_barrier_wait -1
	global_wb scope:SCOPE_DEV
	s_wait_storecnt 0x0
	global_inv scope:SCOPE_DEV
	s_and_saveexec_b32 s41, s1
	s_cbranch_execz .LBB122_967
; %bb.964:                              ;   in Loop: Header=BB122_3 Depth=1
	ds_load_b64 v[2:3], v54 offset:1024
	ds_load_b64 v[50:51], v53 offset:1552
	s_wait_dscnt 0x0
	v_fma_f64 v[2:3], v[2:3], v[50:51], 0
	s_and_saveexec_b32 s42, s11
	s_cbranch_execz .LBB122_966
; %bb.965:                              ;   in Loop: Header=BB122_3 Depth=1
	ds_load_b64 v[50:51], v84 offset:1536
	ds_load_b64 v[100:101], v7 offset:1560
	s_wait_dscnt 0x0
	v_fmac_f64_e32 v[2:3], v[50:51], v[100:101]
.LBB122_966:                            ;   in Loop: Header=BB122_3 Depth=1
	s_or_b32 exec_lo, exec_lo, s42
.LBB122_967:                            ;   in Loop: Header=BB122_3 Depth=1
	s_delay_alu instid0(SALU_CYCLE_1)
	s_or_b32 exec_lo, exec_lo, s41
	s_and_saveexec_b32 s41, s88
; %bb.968:                              ;   in Loop: Header=BB122_3 Depth=1
	s_delay_alu instid0(VALU_DEP_1) | instskip(NEXT) | instid1(VALU_DEP_2)
	v_xor_b32_e32 v51, 0x80000000, v3
	v_mov_b32_e32 v50, v2
	ds_store_b64 v52, v[50:51]
; %bb.969:                              ;   in Loop: Header=BB122_3 Depth=1
	s_or_b32 exec_lo, exec_lo, s41
	s_wait_loadcnt_dscnt 0x0
	s_barrier_signal -1
	s_barrier_wait -1
	s_and_saveexec_b32 s41, s89
	s_cbranch_execz .LBB122_971
; %bb.970:                              ;   in Loop: Header=BB122_3 Depth=1
	ds_load_b64 v[50:51], v7 offset:512
	ds_load_b64 v[100:101], v52
	s_wait_dscnt 0x0
	v_fma_f64 v[2:3], -v[50:51], v[100:101], v[2:3]
.LBB122_971:                            ;   in Loop: Header=BB122_3 Depth=1
	s_or_b32 exec_lo, exec_lo, s41
	s_barrier_signal -1
	s_barrier_wait -1
	s_and_saveexec_b32 s41, s89
; %bb.972:                              ;   in Loop: Header=BB122_3 Depth=1
	s_delay_alu instid0(VALU_DEP_1) | instskip(NEXT) | instid1(VALU_DEP_2)
	v_xor_b32_e32 v51, 0x80000000, v3
	v_mov_b32_e32 v50, v2
	ds_store_b64 v52, v[50:51]
; %bb.973:                              ;   in Loop: Header=BB122_3 Depth=1
	s_or_b32 exec_lo, exec_lo, s41
	s_wait_dscnt 0x0
	s_barrier_signal -1
	s_barrier_wait -1
	s_barrier_signal -1
	s_barrier_wait -1
	s_and_saveexec_b32 s41, s1
; %bb.974:                              ;   in Loop: Header=BB122_3 Depth=1
	ds_store_b64 v56, v[2:3] offset:1536
; %bb.975:                              ;   in Loop: Header=BB122_3 Depth=1
	s_or_b32 exec_lo, exec_lo, s41
	s_wait_dscnt 0x0
	s_barrier_signal -1
	s_barrier_wait -1
	s_barrier_signal -1
	s_barrier_wait -1
	s_and_saveexec_b32 s41, s90
	s_cbranch_execz .LBB122_977
; %bb.976:                              ;   in Loop: Header=BB122_3 Depth=1
	ds_load_b64 v[2:3], v88 offset:1024
	s_wait_dscnt 0x0
	ds_store_b64 v84, v[2:3] offset:16
	ds_load_b64 v[2:3], v88 offset:1032
	s_wait_dscnt 0x0
	ds_store_b64 v84, v[2:3] offset:528
.LBB122_977:                            ;   in Loop: Header=BB122_3 Depth=1
	s_or_b32 exec_lo, exec_lo, s41
	s_wait_dscnt 0x0
	s_barrier_signal -1
	s_barrier_wait -1
	s_and_saveexec_b32 s41, s10
	s_cbranch_execz .LBB122_979
; %bb.978:                              ;   in Loop: Header=BB122_3 Depth=1
	ds_load_b64 v[2:3], v7 offset:512
	v_mov_b32_e32 v0, v7
	ds_store_b64 v7, v[34:35] offset:520
	s_wait_dscnt 0x1
	ds_store_b128 v7, v[0:3]
.LBB122_979:                            ;   in Loop: Header=BB122_3 Depth=1
	s_or_b32 exec_lo, exec_lo, s41
.LBB122_980:                            ;   in Loop: Header=BB122_3 Depth=1
	v_add_nc_u64_e32 v[2:3], s[68:69], v[48:49]
	v_mov_b64_e32 v[48:49], 0
	s_wait_dscnt 0x0
	s_barrier_signal -1
	s_barrier_wait -1
	s_wait_xcnt 0x0
	s_and_saveexec_b32 s41, s82
	s_cbranch_execz .LBB122_982
; %bb.981:                              ;   in Loop: Header=BB122_3 Depth=1
	v_lshl_add_u64 v[48:49], v[16:17], 3, v[2:3]
	flat_load_b64 v[48:49], v[48:49]
	s_wait_loadcnt_dscnt 0x0
	v_mul_f64_e64 v[48:49], v[48:49], -v[46:47]
.LBB122_982:                            ;   in Loop: Header=BB122_3 Depth=1
	s_or_b32 exec_lo, exec_lo, s41
	s_delay_alu instid0(SALU_CYCLE_1)
	s_and_not1_b32 vcc_lo, exec_lo, s39
	s_cbranch_vccnz .LBB122_1008
; %bb.983:                              ;   in Loop: Header=BB122_3 Depth=1
	v_mov_b32_e32 v0, -1
	s_lshl_b64 s[42:43], s[62:63], 2
	s_mov_b32 s41, 0
	s_add_nc_u64 s[80:81], s[76:77], s[42:43]
	s_branch .LBB122_986
.LBB122_984:                            ;   in Loop: Header=BB122_986 Depth=2
	s_wait_xcnt 0x0
	ds_load_b64 v[46:47], v89 offset:384
	s_wait_loadcnt_dscnt 0x0
	v_fmac_f64_e32 v[48:49], v[50:51], v[46:47]
.LBB122_985:                            ;   in Loop: Header=BB122_986 Depth=2
	s_or_b32 exec_lo, exec_lo, s42
	s_add_co_i32 s41, s41, 1
	s_delay_alu instid0(SALU_CYCLE_1)
	s_cmp_eq_u32 s41, s84
	s_cbranch_scc1 .LBB122_1008
.LBB122_986:                            ;   Parent Loop BB122_3 Depth=1
                                        ; =>  This Loop Header: Depth=2
                                        ;       Child Loop BB122_988 Depth 3
	v_cmp_gt_i32_e32 vcc_lo, s41, v0
	s_and_b32 s43, s55, vcc_lo
	s_delay_alu instid0(SALU_CYCLE_1)
	s_and_saveexec_b32 s42, s43
	s_cbranch_execz .LBB122_989
; %bb.987:                              ;   in Loop: Header=BB122_986 Depth=2
	global_load_b32 v0, v7, s[80:81]
	s_wait_loadcnt 0x0
	v_cmp_le_i32_e32 vcc_lo, s41, v0
	s_cbranch_vccnz .LBB122_989
.LBB122_988:                            ;   Parent Loop BB122_3 Depth=1
                                        ;     Parent Loop BB122_986 Depth=2
                                        ; =>    This Inner Loop Header: Depth=3
	global_wb scope:SCOPE_DEV
	s_wait_storecnt 0x0
	global_inv scope:SCOPE_DEV
	global_load_b32 v0, v7, s[80:81]
	s_wait_loadcnt 0x0
	v_cmp_gt_i32_e32 vcc_lo, s41, v0
	s_cbranch_vccnz .LBB122_988
.LBB122_989:                            ;   in Loop: Header=BB122_986 Depth=2
	s_or_b32 exec_lo, exec_lo, s42
	s_lshl_b32 s61, s41, 6
	global_wb scope:SCOPE_DEV
	s_wait_storecnt 0x0
	global_inv scope:SCOPE_DEV
	s_wait_loadcnt 0x0
	s_barrier_signal -1
	s_barrier_wait -1
	s_and_saveexec_b32 s42, s56
	s_cbranch_execz .LBB122_993
; %bb.990:                              ;   in Loop: Header=BB122_986 Depth=2
	v_mov_b64_e32 v[46:47], 0
	v_or_b32_e32 v6, s61, v10
	s_mov_b32 s43, exec_lo
	s_delay_alu instid0(VALU_DEP_1)
	v_cmpx_gt_i32_e64 s83, v6
	s_cbranch_execz .LBB122_992
; %bb.991:                              ;   in Loop: Header=BB122_986 Depth=2
	v_mul_u64_e32 v[46:47], s[70:71], v[6:7]
	s_delay_alu instid0(VALU_DEP_1)
	v_lshl_add_u64 v[46:47], v[46:47], 3, v[2:3]
	flat_load_b64 v[46:47], v[46:47]
.LBB122_992:                            ;   in Loop: Header=BB122_986 Depth=2
	s_wait_xcnt 0x0
	s_or_b32 exec_lo, exec_lo, s43
	s_wait_loadcnt_dscnt 0x0
	ds_store_b64 v91, v[46:47]
.LBB122_993:                            ;   in Loop: Header=BB122_986 Depth=2
	s_or_b32 exec_lo, exec_lo, s42
	v_add_nc_u32_e32 v6, s61, v4
	v_cmp_ne_u32_e32 vcc_lo, s41, v9
	s_wait_dscnt 0x0
	s_barrier_signal -1
	s_barrier_wait -1
	v_cmp_gt_i32_e64 s61, s83, v6
	v_lshl_add_u64 v[46:47], v[6:7], 3, v[44:45]
	v_cndmask_b32_e64 v31, 0, 1, vcc_lo
	s_and_b32 s43, s61, s0
	s_delay_alu instid0(SALU_CYCLE_1)
	s_and_saveexec_b32 s42, s43
	s_cbranch_execz .LBB122_997
; %bb.994:                              ;   in Loop: Header=BB122_986 Depth=2
	v_mov_b64_e32 v[50:51], v[36:37]
	s_and_not1_b32 vcc_lo, exec_lo, vcc_lo
	s_cbranch_vccnz .LBB122_996
; %bb.995:                              ;   in Loop: Header=BB122_986 Depth=2
	flat_load_b64 v[50:51], v[46:47]
.LBB122_996:                            ;   in Loop: Header=BB122_986 Depth=2
	ds_load_b64 v[100:101], v89
	s_wait_loadcnt_dscnt 0x0
	v_fmac_f64_e32 v[48:49], v[50:51], v[100:101]
.LBB122_997:                            ;   in Loop: Header=BB122_986 Depth=2
	s_or_b32 exec_lo, exec_lo, s42
	v_add_nc_u32_e32 v50, 16, v6
	s_delay_alu instid0(VALU_DEP_1) | instskip(SKIP_1) | instid1(SALU_CYCLE_1)
	v_cmp_gt_i32_e32 vcc_lo, s83, v50
	s_and_b32 s43, vcc_lo, s0
	s_and_saveexec_b32 s42, s43
	s_cbranch_execz .LBB122_1001
; %bb.998:                              ;   in Loop: Header=BB122_986 Depth=2
	v_cmp_ne_u32_e32 vcc_lo, 1, v31
	v_mov_b64_e32 v[50:51], v[38:39]
	s_cbranch_vccnz .LBB122_1000
; %bb.999:                              ;   in Loop: Header=BB122_986 Depth=2
	flat_load_b64 v[50:51], v[46:47] offset:128
.LBB122_1000:                           ;   in Loop: Header=BB122_986 Depth=2
	ds_load_b64 v[100:101], v89 offset:128
	s_wait_loadcnt_dscnt 0x0
	v_fmac_f64_e32 v[48:49], v[50:51], v[100:101]
.LBB122_1001:                           ;   in Loop: Header=BB122_986 Depth=2
	s_or_b32 exec_lo, exec_lo, s42
	v_add_nc_u32_e32 v50, 32, v6
	s_delay_alu instid0(VALU_DEP_1) | instskip(SKIP_1) | instid1(SALU_CYCLE_1)
	v_cmp_gt_i32_e32 vcc_lo, s83, v50
	s_and_b32 s43, vcc_lo, s0
	s_and_saveexec_b32 s42, s43
	s_cbranch_execz .LBB122_1005
; %bb.1002:                             ;   in Loop: Header=BB122_986 Depth=2
	v_cmp_ne_u32_e32 vcc_lo, 1, v31
	v_mov_b64_e32 v[50:51], v[40:41]
	s_cbranch_vccnz .LBB122_1004
; %bb.1003:                             ;   in Loop: Header=BB122_986 Depth=2
	flat_load_b64 v[50:51], v[46:47] offset:256
.LBB122_1004:                           ;   in Loop: Header=BB122_986 Depth=2
	ds_load_b64 v[100:101], v89 offset:256
	s_wait_loadcnt_dscnt 0x0
	v_fmac_f64_e32 v[48:49], v[50:51], v[100:101]
.LBB122_1005:                           ;   in Loop: Header=BB122_986 Depth=2
	s_or_b32 exec_lo, exec_lo, s42
	v_add_nc_u32_e32 v6, 48, v6
	s_delay_alu instid0(VALU_DEP_1) | instskip(SKIP_1) | instid1(SALU_CYCLE_1)
	v_cmp_gt_i32_e32 vcc_lo, s83, v6
	s_and_b32 s43, vcc_lo, s0
	s_and_saveexec_b32 s42, s43
	s_cbranch_execz .LBB122_985
; %bb.1006:                             ;   in Loop: Header=BB122_986 Depth=2
	v_cmp_ne_u32_e32 vcc_lo, 1, v31
	v_mov_b64_e32 v[50:51], v[42:43]
	s_cbranch_vccnz .LBB122_984
; %bb.1007:                             ;   in Loop: Header=BB122_986 Depth=2
	flat_load_b64 v[50:51], v[46:47] offset:384
	s_branch .LBB122_984
.LBB122_1008:                           ;   in Loop: Header=BB122_3 Depth=1
	ds_store_b64 v92, v[48:49]
	s_wait_dscnt 0x0
	s_barrier_signal -1
	s_barrier_wait -1
	s_and_saveexec_b32 s41, s2
	s_cbranch_execz .LBB122_1010
; %bb.1009:                             ;   in Loop: Header=BB122_3 Depth=1
	ds_load_2addr_stride64_b64 v[44:47], v93 offset0:1 offset1:2
	ds_load_2addr_stride64_b64 v[100:103], v93 offset0:3 offset1:4
	s_wait_dscnt 0x1
	v_add_f64_e32 v[44:45], v[48:49], v[44:45]
	s_delay_alu instid0(VALU_DEP_1) | instskip(SKIP_1) | instid1(VALU_DEP_1)
	v_add_f64_e32 v[44:45], v[44:45], v[46:47]
	s_wait_dscnt 0x0
	v_add_f64_e32 v[44:45], v[44:45], v[100:101]
	s_delay_alu instid0(VALU_DEP_1) | instskip(SKIP_4) | instid1(VALU_DEP_1)
	v_add_f64_e32 v[100:101], v[44:45], v[102:103]
	ds_load_2addr_stride64_b64 v[44:47], v93 offset0:5 offset1:6
	ds_load_2addr_stride64_b64 v[48:51], v93 offset0:7 offset1:8
	s_wait_dscnt 0x1
	v_add_f64_e32 v[44:45], v[100:101], v[44:45]
	v_add_f64_e32 v[44:45], v[44:45], v[46:47]
	s_wait_dscnt 0x0
	s_delay_alu instid0(VALU_DEP_1) | instskip(NEXT) | instid1(VALU_DEP_1)
	v_add_f64_e32 v[44:45], v[44:45], v[48:49]
	v_add_f64_e32 v[100:101], v[44:45], v[50:51]
	ds_load_2addr_stride64_b64 v[44:47], v93 offset0:9 offset1:10
	ds_load_2addr_stride64_b64 v[48:51], v93 offset0:11 offset1:12
	s_wait_dscnt 0x1
	v_add_f64_e32 v[44:45], v[100:101], v[44:45]
	s_delay_alu instid0(VALU_DEP_1) | instskip(SKIP_1) | instid1(VALU_DEP_1)
	v_add_f64_e32 v[44:45], v[44:45], v[46:47]
	s_wait_dscnt 0x0
	v_add_f64_e32 v[44:45], v[44:45], v[48:49]
	s_delay_alu instid0(VALU_DEP_1) | instskip(SKIP_4) | instid1(VALU_DEP_1)
	v_add_f64_e32 v[48:49], v[44:45], v[50:51]
	ds_load_2addr_stride64_b64 v[44:47], v93 offset0:13 offset1:14
	ds_load_b64 v[50:51], v93 offset:7680
	s_wait_dscnt 0x1
	v_add_f64_e32 v[44:45], v[48:49], v[44:45]
	v_add_f64_e32 v[44:45], v[44:45], v[46:47]
	s_wait_dscnt 0x0
	s_delay_alu instid0(VALU_DEP_1) | instskip(NEXT) | instid1(VALU_DEP_1)
	v_add_f64_e32 v[44:45], v[44:45], v[50:51]
	v_xor_b32_e32 v0, 0x80000000, v45
	s_delay_alu instid0(VALU_DEP_2) | instskip(NEXT) | instid1(VALU_DEP_2)
	v_cndmask_b32_e64 v48, v44, 0, s85
	v_cndmask_b32_e64 v49, v0, 0, s85
.LBB122_1010:                           ;   in Loop: Header=BB122_3 Depth=1
	s_or_b32 exec_lo, exec_lo, s41
	s_delay_alu instid0(SALU_CYCLE_1)
	s_and_not1_b32 vcc_lo, exec_lo, s87
	s_cbranch_vccnz .LBB122_1020
; %bb.1011:                             ;   in Loop: Header=BB122_3 Depth=1
	s_and_saveexec_b32 s41, s2
; %bb.1012:                             ;   in Loop: Header=BB122_3 Depth=1
	ds_store_b64 v95, v[48:49]
; %bb.1013:                             ;   in Loop: Header=BB122_3 Depth=1
	s_or_b32 exec_lo, exec_lo, s41
	v_mov_b64_e32 v[44:45], 0
	s_wait_dscnt 0x0
	s_barrier_signal -1
	s_barrier_wait -1
	s_and_saveexec_b32 s41, s6
	s_cbranch_execnz .LBB122_1059
; %bb.1014:                             ;   in Loop: Header=BB122_3 Depth=1
	s_or_b32 exec_lo, exec_lo, s41
	s_and_saveexec_b32 s41, s7
	s_cbranch_execnz .LBB122_1060
.LBB122_1015:                           ;   in Loop: Header=BB122_3 Depth=1
	s_or_b32 exec_lo, exec_lo, s41
	s_and_saveexec_b32 s41, s8
	s_cbranch_execnz .LBB122_1061
.LBB122_1016:                           ;   in Loop: Header=BB122_3 Depth=1
	s_or_b32 exec_lo, exec_lo, s41
	s_and_saveexec_b32 s41, s9
	s_cbranch_execz .LBB122_1018
.LBB122_1017:                           ;   in Loop: Header=BB122_3 Depth=1
	ds_load_b64 v[46:47], v94 offset:24576
	ds_load_b64 v[50:51], v89 offset:384
	s_wait_dscnt 0x0
	v_fmac_f64_e32 v[44:45], v[46:47], v[50:51]
.LBB122_1018:                           ;   in Loop: Header=BB122_3 Depth=1
	s_or_b32 exec_lo, exec_lo, s41
	s_mov_b32 s41, 0
	s_mov_b32 s61, 0
	ds_store_b64 v92, v[44:45]
	s_wait_dscnt 0x0
	s_barrier_signal -1
	s_barrier_wait -1
                                        ; implicit-def: $vgpr46_vgpr47
	s_and_saveexec_b32 s80, s2
	s_cbranch_execz .LBB122_1062
; %bb.1019:                             ;   in Loop: Header=BB122_3 Depth=1
	ds_load_2addr_stride64_b64 v[100:103], v93 offset0:1 offset1:2
	ds_load_2addr_stride64_b64 v[104:107], v93 offset0:3 offset1:4
	s_mov_b32 s61, exec_lo
	s_wait_dscnt 0x1
	v_add_f64_e32 v[44:45], v[44:45], v[100:101]
	s_delay_alu instid0(VALU_DEP_1) | instskip(SKIP_1) | instid1(VALU_DEP_1)
	v_add_f64_e32 v[44:45], v[102:103], v[44:45]
	s_wait_dscnt 0x0
	v_add_f64_e32 v[44:45], v[104:105], v[44:45]
	s_delay_alu instid0(VALU_DEP_1) | instskip(SKIP_4) | instid1(VALU_DEP_1)
	v_add_f64_e32 v[50:51], v[106:107], v[44:45]
	ds_load_2addr_stride64_b64 v[44:47], v93 offset0:5 offset1:6
	ds_load_2addr_stride64_b64 v[100:103], v93 offset0:7 offset1:8
	s_wait_dscnt 0x1
	v_add_f64_e32 v[44:45], v[44:45], v[50:51]
	v_add_f64_e32 v[44:45], v[46:47], v[44:45]
	s_wait_dscnt 0x0
	s_delay_alu instid0(VALU_DEP_1) | instskip(NEXT) | instid1(VALU_DEP_1)
	v_add_f64_e32 v[44:45], v[100:101], v[44:45]
	v_add_f64_e32 v[50:51], v[102:103], v[44:45]
	ds_load_2addr_stride64_b64 v[44:47], v93 offset0:9 offset1:10
	ds_load_2addr_stride64_b64 v[100:103], v93 offset0:11 offset1:12
	s_wait_dscnt 0x1
	v_add_f64_e32 v[44:45], v[44:45], v[50:51]
	s_delay_alu instid0(VALU_DEP_1) | instskip(SKIP_1) | instid1(VALU_DEP_1)
	v_add_f64_e32 v[44:45], v[46:47], v[44:45]
	s_wait_dscnt 0x0
	v_add_f64_e32 v[44:45], v[100:101], v[44:45]
	s_delay_alu instid0(VALU_DEP_1) | instskip(SKIP_4) | instid1(VALU_DEP_1)
	v_add_f64_e32 v[50:51], v[102:103], v[44:45]
	ds_load_2addr_stride64_b64 v[44:47], v93 offset0:13 offset1:14
	ds_load_b64 v[100:101], v93 offset:7680
	s_wait_dscnt 0x1
	v_add_f64_e32 v[44:45], v[44:45], v[50:51]
	v_add_f64_e32 v[44:45], v[46:47], v[44:45]
	s_wait_dscnt 0x0
	s_delay_alu instid0(VALU_DEP_1) | instskip(SKIP_1) | instid1(SALU_CYCLE_1)
	v_add_f64_e32 v[46:47], v[100:101], v[44:45]
	s_or_b32 exec_lo, exec_lo, s80
	s_and_b32 vcc_lo, exec_lo, s41
	s_cbranch_vccnz .LBB122_1021
	s_branch .LBB122_1063
.LBB122_1020:                           ;   in Loop: Header=BB122_3 Depth=1
	s_mov_b32 s61, 0
                                        ; implicit-def: $vgpr46_vgpr47
	s_cbranch_execz .LBB122_1063
.LBB122_1021:                           ;   in Loop: Header=BB122_3 Depth=1
	v_dual_mov_b32 v0, v8 :: v_dual_mov_b32 v6, v97
	s_mov_b32 s41, 0
	s_branch .LBB122_1023
.LBB122_1022:                           ;   in Loop: Header=BB122_1023 Depth=2
	s_or_b32 exec_lo, exec_lo, s42
	v_add_nc_u32_e32 v6, 0x800, v6
	v_add_nc_u32_e32 v0, -4, v0
	s_add_co_i32 s41, s41, 4
	s_delay_alu instid0(SALU_CYCLE_1)
	s_cmp_lg_u32 s41, 64
	s_barrier_signal -1
	s_barrier_wait -1
	s_cbranch_scc0 .LBB122_1039
.LBB122_1023:                           ;   Parent Loop BB122_3 Depth=1
                                        ; =>  This Inner Loop Header: Depth=2
	s_delay_alu instid0(VALU_DEP_1) | instskip(SKIP_1) | instid1(SALU_CYCLE_1)
	v_cmp_eq_u32_e32 vcc_lo, 0, v0
	s_and_b32 s43, s2, vcc_lo
	s_and_saveexec_b32 s42, s43
; %bb.1024:                             ;   in Loop: Header=BB122_1023 Depth=2
	ds_store_b64 v7, v[48:49] offset:41472
; %bb.1025:                             ;   in Loop: Header=BB122_1023 Depth=2
	s_or_b32 exec_lo, exec_lo, s42
	v_cmp_lt_u32_e32 vcc_lo, s41, v8
	s_wait_dscnt 0x0
	s_barrier_signal -1
	s_barrier_wait -1
	s_and_b32 s43, s2, vcc_lo
	s_delay_alu instid0(SALU_CYCLE_1)
	s_and_saveexec_b32 s42, s43
	s_cbranch_execz .LBB122_1027
; %bb.1026:                             ;   in Loop: Header=BB122_1023 Depth=2
	ds_load_b64 v[44:45], v6
	ds_load_b64 v[46:47], v7 offset:41472
	s_wait_dscnt 0x0
	v_fmac_f64_e32 v[48:49], v[44:45], v[46:47]
.LBB122_1027:                           ;   in Loop: Header=BB122_1023 Depth=2
	s_or_b32 exec_lo, exec_lo, s42
	s_or_b32 s42, s41, 1
	s_delay_alu instid0(SALU_CYCLE_1) | instskip(SKIP_3) | instid1(SALU_CYCLE_1)
	v_cmp_eq_u32_e32 vcc_lo, s42, v8
	s_barrier_signal -1
	s_barrier_wait -1
	s_and_b32 s80, s2, vcc_lo
	s_and_saveexec_b32 s43, s80
; %bb.1028:                             ;   in Loop: Header=BB122_1023 Depth=2
	ds_store_b64 v7, v[48:49] offset:41472
; %bb.1029:                             ;   in Loop: Header=BB122_1023 Depth=2
	s_or_b32 exec_lo, exec_lo, s43
	v_cmp_lt_u32_e32 vcc_lo, s42, v8
	s_wait_dscnt 0x0
	s_barrier_signal -1
	s_barrier_wait -1
	s_and_b32 s43, s2, vcc_lo
	s_delay_alu instid0(SALU_CYCLE_1)
	s_and_saveexec_b32 s42, s43
	s_cbranch_execz .LBB122_1031
; %bb.1030:                             ;   in Loop: Header=BB122_1023 Depth=2
	ds_load_b64 v[44:45], v6 offset:512
	ds_load_b64 v[46:47], v7 offset:41472
	s_wait_dscnt 0x0
	v_fmac_f64_e32 v[48:49], v[44:45], v[46:47]
.LBB122_1031:                           ;   in Loop: Header=BB122_1023 Depth=2
	s_or_b32 exec_lo, exec_lo, s42
	s_or_b32 s42, s41, 2
	s_delay_alu instid0(SALU_CYCLE_1) | instskip(SKIP_3) | instid1(SALU_CYCLE_1)
	v_cmp_eq_u32_e32 vcc_lo, s42, v8
	s_barrier_signal -1
	s_barrier_wait -1
	s_and_b32 s80, s2, vcc_lo
	s_and_saveexec_b32 s43, s80
; %bb.1032:                             ;   in Loop: Header=BB122_1023 Depth=2
	ds_store_b64 v7, v[48:49] offset:41472
; %bb.1033:                             ;   in Loop: Header=BB122_1023 Depth=2
	s_or_b32 exec_lo, exec_lo, s43
	v_cmp_lt_u32_e32 vcc_lo, s42, v8
	s_wait_dscnt 0x0
	s_barrier_signal -1
	s_barrier_wait -1
	s_and_b32 s43, s2, vcc_lo
	s_delay_alu instid0(SALU_CYCLE_1)
	s_and_saveexec_b32 s42, s43
	s_cbranch_execz .LBB122_1035
; %bb.1034:                             ;   in Loop: Header=BB122_1023 Depth=2
	ds_load_b64 v[44:45], v6 offset:1024
	ds_load_b64 v[46:47], v7 offset:41472
	s_wait_dscnt 0x0
	v_fmac_f64_e32 v[48:49], v[44:45], v[46:47]
.LBB122_1035:                           ;   in Loop: Header=BB122_1023 Depth=2
	s_or_b32 exec_lo, exec_lo, s42
	s_or_b32 s42, s41, 3
	s_delay_alu instid0(SALU_CYCLE_1) | instskip(SKIP_3) | instid1(SALU_CYCLE_1)
	v_cmp_eq_u32_e32 vcc_lo, s42, v8
	s_barrier_signal -1
	s_barrier_wait -1
	s_and_b32 s80, s2, vcc_lo
	s_and_saveexec_b32 s43, s80
; %bb.1036:                             ;   in Loop: Header=BB122_1023 Depth=2
	ds_store_b64 v7, v[48:49] offset:41472
; %bb.1037:                             ;   in Loop: Header=BB122_1023 Depth=2
	s_or_b32 exec_lo, exec_lo, s43
	v_cmp_lt_u32_e32 vcc_lo, s42, v8
	s_wait_dscnt 0x0
	s_barrier_signal -1
	s_barrier_wait -1
	s_and_b32 s43, s2, vcc_lo
	s_delay_alu instid0(SALU_CYCLE_1)
	s_and_saveexec_b32 s42, s43
	s_cbranch_execz .LBB122_1022
; %bb.1038:                             ;   in Loop: Header=BB122_1023 Depth=2
	ds_load_b64 v[44:45], v6 offset:1536
	ds_load_b64 v[46:47], v7 offset:41472
	s_wait_dscnt 0x0
	v_fmac_f64_e32 v[48:49], v[44:45], v[46:47]
	s_branch .LBB122_1022
.LBB122_1039:                           ;   in Loop: Header=BB122_3 Depth=1
	s_and_b32 vcc_lo, exec_lo, s86
	s_mov_b32 s41, -1
	s_cbranch_vccz .LBB122_1041
; %bb.1040:                             ;   in Loop: Header=BB122_3 Depth=1
	s_and_not1_b32 s42, s61, exec_lo
	s_and_b32 s43, s2, exec_lo
	s_mov_b32 s41, 0
	s_or_b32 s61, s42, s43
.LBB122_1041:                           ;   in Loop: Header=BB122_3 Depth=1
	s_and_not1_b32 vcc_lo, exec_lo, s41
	s_cbranch_vccnz .LBB122_1043
; %bb.1042:                             ;   in Loop: Header=BB122_3 Depth=1
	v_readlane_b32 s42, v108, 8
	s_and_not1_b32 s41, s61, exec_lo
	s_and_b32 s42, s42, exec_lo
	s_delay_alu instid0(SALU_CYCLE_1)
	s_or_b32 s61, s41, s42
.LBB122_1043:                           ;   in Loop: Header=BB122_3 Depth=1
	v_mov_b64_e32 v[44:45], v[26:27]
	s_and_saveexec_b32 s41, s61
	s_cbranch_execnz .LBB122_1064
	s_branch .LBB122_1065
.LBB122_1044:                           ;   in Loop: Header=BB122_3 Depth=1
	s_mov_b32 s42, exec_lo
	v_readlane_b32 s43, v99, 19
	s_and_b32 s43, s42, s43
	s_delay_alu instid0(SALU_CYCLE_1)
	s_mov_b32 exec_lo, s43
; %bb.1045:                             ;   in Loop: Header=BB122_3 Depth=1
	ds_store_b64 v83, v[32:33]
; %bb.1046:                             ;   in Loop: Header=BB122_3 Depth=1
	s_or_b32 exec_lo, exec_lo, s42
	s_and_not1_saveexec_b32 s41, s41
	s_cbranch_execz .LBB122_16
.LBB122_1047:                           ;   in Loop: Header=BB122_3 Depth=1
	v_lshl_add_u64 v[50:51], v[24:25], 3, v[2:3]
	flat_load_b64 v[50:51], v[50:51]
	s_wait_loadcnt_dscnt 0x0
	v_xor_b32_e32 v51, 0x80000000, v51
	ds_store_b64 v83, v[50:51]
	s_or_b32 exec_lo, exec_lo, s41
	s_and_saveexec_b32 s41, s7
	s_delay_alu instid0(SALU_CYCLE_1)
	s_xor_b32 s41, exec_lo, s41
	s_cbranch_execz .LBB122_17
.LBB122_1048:                           ;   in Loop: Header=BB122_3 Depth=1
	s_mov_b32 s42, exec_lo
	v_readlane_b32 s43, v99, 20
	s_and_b32 s43, s42, s43
	s_delay_alu instid0(SALU_CYCLE_1)
	s_mov_b32 exec_lo, s43
; %bb.1049:                             ;   in Loop: Header=BB122_3 Depth=1
	ds_store_b64 v85, v[32:33]
; %bb.1050:                             ;   in Loop: Header=BB122_3 Depth=1
	s_or_b32 exec_lo, exec_lo, s42
	s_and_not1_saveexec_b32 s41, s41
	s_cbranch_execz .LBB122_18
.LBB122_1051:                           ;   in Loop: Header=BB122_3 Depth=1
	v_lshl_add_u64 v[50:51], v[18:19], 3, v[2:3]
	flat_load_b64 v[50:51], v[50:51]
	s_wait_loadcnt_dscnt 0x0
	v_xor_b32_e32 v51, 0x80000000, v51
	ds_store_b64 v85, v[50:51]
	s_or_b32 exec_lo, exec_lo, s41
	s_and_saveexec_b32 s41, s8
	s_delay_alu instid0(SALU_CYCLE_1)
	s_xor_b32 s41, exec_lo, s41
	s_cbranch_execz .LBB122_19
.LBB122_1052:                           ;   in Loop: Header=BB122_3 Depth=1
	s_mov_b32 s42, exec_lo
	v_readlane_b32 s43, v99, 21
	s_and_b32 s43, s42, s43
	s_delay_alu instid0(SALU_CYCLE_1)
	s_mov_b32 exec_lo, s43
; %bb.1053:                             ;   in Loop: Header=BB122_3 Depth=1
	ds_store_b64 v86, v[32:33]
; %bb.1054:                             ;   in Loop: Header=BB122_3 Depth=1
	s_or_b32 exec_lo, exec_lo, s42
	s_and_not1_saveexec_b32 s41, s41
	s_cbranch_execz .LBB122_20
.LBB122_1055:                           ;   in Loop: Header=BB122_3 Depth=1
	v_lshl_add_u64 v[50:51], v[20:21], 3, v[2:3]
	flat_load_b64 v[50:51], v[50:51]
	s_wait_loadcnt_dscnt 0x0
	v_xor_b32_e32 v51, 0x80000000, v51
	ds_store_b64 v86, v[50:51]
	s_or_b32 exec_lo, exec_lo, s41
	s_and_saveexec_b32 s41, s9
	s_delay_alu instid0(SALU_CYCLE_1)
	s_xor_b32 s41, exec_lo, s41
	s_cbranch_execz .LBB122_21
.LBB122_1056:                           ;   in Loop: Header=BB122_3 Depth=1
	s_mov_b32 s42, exec_lo
	v_readlane_b32 s43, v99, 22
	s_and_b32 s43, s42, s43
	s_delay_alu instid0(SALU_CYCLE_1)
	s_mov_b32 exec_lo, s43
; %bb.1057:                             ;   in Loop: Header=BB122_3 Depth=1
	ds_store_b64 v87, v[32:33]
; %bb.1058:                             ;   in Loop: Header=BB122_3 Depth=1
	s_or_b32 exec_lo, exec_lo, s42
	s_and_not1_saveexec_b32 s41, s41
	s_cbranch_execnz .LBB122_22
	s_branch .LBB122_23
.LBB122_1059:                           ;   in Loop: Header=BB122_3 Depth=1
	ds_load_b64 v[44:45], v94
	ds_load_b64 v[46:47], v89
	s_wait_dscnt 0x0
	v_fma_f64 v[44:45], v[44:45], v[46:47], 0
	s_or_b32 exec_lo, exec_lo, s41
	s_and_saveexec_b32 s41, s7
	s_cbranch_execz .LBB122_1015
.LBB122_1060:                           ;   in Loop: Header=BB122_3 Depth=1
	ds_load_b64 v[46:47], v94 offset:8192
	ds_load_b64 v[50:51], v89 offset:128
	s_wait_dscnt 0x0
	v_fmac_f64_e32 v[44:45], v[46:47], v[50:51]
	s_or_b32 exec_lo, exec_lo, s41
	s_and_saveexec_b32 s41, s8
	s_cbranch_execz .LBB122_1016
.LBB122_1061:                           ;   in Loop: Header=BB122_3 Depth=1
	ds_load_b64 v[46:47], v94 offset:16384
	ds_load_b64 v[50:51], v89 offset:256
	s_wait_dscnt 0x0
	v_fmac_f64_e32 v[44:45], v[46:47], v[50:51]
	s_or_b32 exec_lo, exec_lo, s41
	s_and_saveexec_b32 s41, s9
	s_cbranch_execnz .LBB122_1017
	s_branch .LBB122_1018
.LBB122_1062:                           ;   in Loop: Header=BB122_3 Depth=1
	s_or_b32 exec_lo, exec_lo, s80
	s_delay_alu instid0(SALU_CYCLE_1)
	s_and_b32 vcc_lo, exec_lo, s41
	s_cbranch_vccnz .LBB122_1021
.LBB122_1063:                           ;   in Loop: Header=BB122_3 Depth=1
	s_delay_alu instid0(VALU_DEP_1)
	v_mov_b64_e32 v[48:49], v[46:47]
	v_mov_b64_e32 v[44:45], v[28:29]
	s_and_saveexec_b32 s41, s61
	s_cbranch_execz .LBB122_1065
.LBB122_1064:                           ;   in Loop: Header=BB122_3 Depth=1
	s_delay_alu instid0(VALU_DEP_1)
	v_lshl_add_u64 v[2:3], v[44:45], 3, v[2:3]
	flat_store_b64 v[2:3], v[48:49]
.LBB122_1065:                           ;   in Loop: Header=BB122_3 Depth=1
	s_wait_xcnt 0x0
	s_or_b32 exec_lo, exec_lo, s41
	global_wb scope:SCOPE_DEV
	s_wait_storecnt_dscnt 0x0
	global_inv scope:SCOPE_DEV
	s_wait_loadcnt 0x0
	s_barrier_signal -1
	s_barrier_wait -1
	s_and_saveexec_b32 s41, s55
	s_cbranch_execz .LBB122_2
; %bb.1066:                             ;   in Loop: Header=BB122_3 Depth=1
	s_lshl_b64 s[42:43], s[62:63], 2
	s_delay_alu instid0(SALU_CYCLE_1)
	s_add_nc_u64 s[42:43], s[76:77], s[42:43]
	global_load_b32 v0, v7, s[42:43]
	s_wait_loadcnt 0x0
	v_add_nc_u32_e32 v0, 1, v0
	global_store_b32 v7, v0, s[42:43]
	s_branch .LBB122_2
.LBB122_1067:                           ;   in Loop: Header=BB122_3 Depth=1
	ds_load_b64 v[50:51], v60 offset:31680
	ds_load_b64 v[100:101], v59 offset:32744
	s_wait_dscnt 0x0
	v_fmac_f64_e32 v[2:3], v[50:51], v[100:101]
	s_or_b32 exec_lo, exec_lo, s42
	s_and_saveexec_b32 s42, s13
	s_cbranch_execz .LBB122_72
.LBB122_1068:                           ;   in Loop: Header=BB122_3 Depth=1
	ds_load_b64 v[50:51], v60 offset:32192
	ds_load_b64 v[100:101], v59 offset:32752
	s_wait_dscnt 0x0
	v_fmac_f64_e32 v[2:3], v[50:51], v[100:101]
	s_or_b32 exec_lo, exec_lo, s42
	s_and_saveexec_b32 s42, s1
	s_cbranch_execnz .LBB122_73
	s_branch .LBB122_74
.LBB122_1069:                           ;   in Loop: Header=BB122_3 Depth=1
	ds_load_b64 v[50:51], v68 offset:29568
	ds_load_b64 v[100:101], v67 offset:32712
	s_wait_dscnt 0x0
	v_fmac_f64_e32 v[2:3], v[50:51], v[100:101]
	s_or_b32 exec_lo, exec_lo, s42
	s_and_saveexec_b32 s42, s15
	s_cbranch_execz .LBB122_114
.LBB122_1070:                           ;   in Loop: Header=BB122_3 Depth=1
	ds_load_b64 v[50:51], v68 offset:30080
	ds_load_b64 v[100:101], v67 offset:32720
	s_wait_dscnt 0x0
	v_fmac_f64_e32 v[2:3], v[50:51], v[100:101]
	s_or_b32 exec_lo, exec_lo, s42
	s_and_saveexec_b32 s42, s16
	s_cbranch_execz .LBB122_115
.LBB122_1071:                           ;   in Loop: Header=BB122_3 Depth=1
	ds_load_b64 v[50:51], v68 offset:30592
	ds_load_b64 v[100:101], v67 offset:32728
	s_wait_dscnt 0x0
	v_fmac_f64_e32 v[2:3], v[50:51], v[100:101]
	s_or_b32 exec_lo, exec_lo, s42
	s_and_saveexec_b32 s42, s17
	s_cbranch_execz .LBB122_116
.LBB122_1072:                           ;   in Loop: Header=BB122_3 Depth=1
	ds_load_b64 v[50:51], v68 offset:31104
	ds_load_b64 v[100:101], v67 offset:32736
	s_wait_dscnt 0x0
	v_fmac_f64_e32 v[2:3], v[50:51], v[100:101]
	s_or_b32 exec_lo, exec_lo, s42
	s_and_saveexec_b32 s42, s18
	s_cbranch_execz .LBB122_117
.LBB122_1073:                           ;   in Loop: Header=BB122_3 Depth=1
	ds_load_b64 v[50:51], v68 offset:31616
	ds_load_b64 v[100:101], v67 offset:32744
	s_wait_dscnt 0x0
	v_fmac_f64_e32 v[2:3], v[50:51], v[100:101]
	s_or_b32 exec_lo, exec_lo, s42
	s_and_saveexec_b32 s42, s3
	s_cbranch_execz .LBB122_118
.LBB122_1074:                           ;   in Loop: Header=BB122_3 Depth=1
	ds_load_b64 v[50:51], v68 offset:32128
	ds_load_b64 v[100:101], v67 offset:32752
	s_wait_dscnt 0x0
	v_fmac_f64_e32 v[2:3], v[50:51], v[100:101]
	s_or_b32 exec_lo, exec_lo, s42
	s_and_saveexec_b32 s42, s13
	s_cbranch_execnz .LBB122_119
	s_branch .LBB122_120
.LBB122_1075:                           ;   in Loop: Header=BB122_3 Depth=1
	ds_load_b64 v[50:51], v60 offset:27520
	ds_load_b64 v[100:101], v59 offset:28584
	s_wait_dscnt 0x0
	v_fmac_f64_e32 v[2:3], v[50:51], v[100:101]
	s_or_b32 exec_lo, exec_lo, s42
	s_and_saveexec_b32 s42, s13
	s_cbranch_execz .LBB122_176
.LBB122_1076:                           ;   in Loop: Header=BB122_3 Depth=1
	ds_load_b64 v[50:51], v60 offset:28032
	ds_load_b64 v[100:101], v59 offset:28592
	s_wait_dscnt 0x0
	v_fmac_f64_e32 v[2:3], v[50:51], v[100:101]
	s_or_b32 exec_lo, exec_lo, s42
	s_and_saveexec_b32 s42, s1
	s_cbranch_execnz .LBB122_177
	s_branch .LBB122_178
.LBB122_1077:                           ;   in Loop: Header=BB122_3 Depth=1
	ds_load_b64 v[50:51], v76 offset:30464
	ds_load_b64 v[100:101], v75 offset:32728
	s_wait_dscnt 0x0
	v_fmac_f64_e32 v[2:3], v[50:51], v[100:101]
	s_or_b32 exec_lo, exec_lo, s41
	s_and_saveexec_b32 s41, s4
	s_cbranch_execz .LBB122_238
.LBB122_1078:                           ;   in Loop: Header=BB122_3 Depth=1
	ds_load_b64 v[50:51], v76 offset:30976
	ds_load_b64 v[100:101], v75 offset:32736
	s_wait_dscnt 0x0
	v_fmac_f64_e32 v[2:3], v[50:51], v[100:101]
	s_or_b32 exec_lo, exec_lo, s41
	s_and_saveexec_b32 s41, s15
	s_cbranch_execz .LBB122_239
.LBB122_1079:                           ;   in Loop: Header=BB122_3 Depth=1
	ds_load_b64 v[50:51], v76 offset:31488
	ds_load_b64 v[100:101], v75 offset:32744
	s_wait_dscnt 0x0
	v_fmac_f64_e32 v[2:3], v[50:51], v[100:101]
	s_or_b32 exec_lo, exec_lo, s41
	s_and_saveexec_b32 s41, s17
	s_cbranch_execz .LBB122_240
.LBB122_1080:                           ;   in Loop: Header=BB122_3 Depth=1
	ds_load_b64 v[50:51], v76 offset:32000
	ds_load_b64 v[100:101], v75 offset:32752
	s_wait_dscnt 0x0
	v_fmac_f64_e32 v[2:3], v[50:51], v[100:101]
	s_or_b32 exec_lo, exec_lo, s41
	s_and_saveexec_b32 s41, s3
	s_cbranch_execnz .LBB122_241
	s_branch .LBB122_242
.LBB122_1081:                           ;   in Loop: Header=BB122_3 Depth=1
	ds_load_b64 v[50:51], v60 offset:23360
	ds_load_b64 v[100:101], v59 offset:24424
	s_wait_dscnt 0x0
	v_fmac_f64_e32 v[2:3], v[50:51], v[100:101]
	s_or_b32 exec_lo, exec_lo, s42
	s_and_saveexec_b32 s42, s13
	s_cbranch_execz .LBB122_330
.LBB122_1082:                           ;   in Loop: Header=BB122_3 Depth=1
	ds_load_b64 v[50:51], v60 offset:23872
	ds_load_b64 v[100:101], v59 offset:24432
	s_wait_dscnt 0x0
	v_fmac_f64_e32 v[2:3], v[50:51], v[100:101]
	s_or_b32 exec_lo, exec_lo, s42
	s_and_saveexec_b32 s42, s1
	s_cbranch_execnz .LBB122_331
	s_branch .LBB122_332
.LBB122_1083:                           ;   in Loop: Header=BB122_3 Depth=1
	ds_load_b64 v[50:51], v68 offset:21248
	ds_load_b64 v[100:101], v67 offset:24392
	s_wait_dscnt 0x0
	v_fmac_f64_e32 v[2:3], v[50:51], v[100:101]
	s_or_b32 exec_lo, exec_lo, s42
	s_and_saveexec_b32 s42, s15
	s_cbranch_execz .LBB122_372
.LBB122_1084:                           ;   in Loop: Header=BB122_3 Depth=1
	ds_load_b64 v[50:51], v68 offset:21760
	ds_load_b64 v[100:101], v67 offset:24400
	s_wait_dscnt 0x0
	v_fmac_f64_e32 v[2:3], v[50:51], v[100:101]
	s_or_b32 exec_lo, exec_lo, s42
	s_and_saveexec_b32 s42, s16
	s_cbranch_execz .LBB122_373
.LBB122_1085:                           ;   in Loop: Header=BB122_3 Depth=1
	ds_load_b64 v[50:51], v68 offset:22272
	ds_load_b64 v[100:101], v67 offset:24408
	s_wait_dscnt 0x0
	v_fmac_f64_e32 v[2:3], v[50:51], v[100:101]
	s_or_b32 exec_lo, exec_lo, s42
	s_and_saveexec_b32 s42, s17
	s_cbranch_execz .LBB122_374
.LBB122_1086:                           ;   in Loop: Header=BB122_3 Depth=1
	ds_load_b64 v[50:51], v68 offset:22784
	ds_load_b64 v[100:101], v67 offset:24416
	s_wait_dscnt 0x0
	v_fmac_f64_e32 v[2:3], v[50:51], v[100:101]
	s_or_b32 exec_lo, exec_lo, s42
	s_and_saveexec_b32 s42, s18
	s_cbranch_execz .LBB122_375
.LBB122_1087:                           ;   in Loop: Header=BB122_3 Depth=1
	ds_load_b64 v[50:51], v68 offset:23296
	ds_load_b64 v[100:101], v67 offset:24424
	s_wait_dscnt 0x0
	v_fmac_f64_e32 v[2:3], v[50:51], v[100:101]
	s_or_b32 exec_lo, exec_lo, s42
	s_and_saveexec_b32 s42, s3
	s_cbranch_execz .LBB122_376
.LBB122_1088:                           ;   in Loop: Header=BB122_3 Depth=1
	ds_load_b64 v[50:51], v68 offset:23808
	ds_load_b64 v[100:101], v67 offset:24432
	s_wait_dscnt 0x0
	v_fmac_f64_e32 v[2:3], v[50:51], v[100:101]
	s_or_b32 exec_lo, exec_lo, s42
	s_and_saveexec_b32 s42, s13
	s_cbranch_execnz .LBB122_377
	s_branch .LBB122_378
.LBB122_1089:                           ;   in Loop: Header=BB122_3 Depth=1
	ds_load_b64 v[50:51], v60 offset:19200
	ds_load_b64 v[100:101], v59 offset:20264
	s_wait_dscnt 0x0
	v_fmac_f64_e32 v[2:3], v[50:51], v[100:101]
	s_or_b32 exec_lo, exec_lo, s42
	s_and_saveexec_b32 s42, s13
	s_cbranch_execz .LBB122_434
.LBB122_1090:                           ;   in Loop: Header=BB122_3 Depth=1
	ds_load_b64 v[50:51], v60 offset:19712
	ds_load_b64 v[100:101], v59 offset:20272
	s_wait_dscnt 0x0
	v_fmac_f64_e32 v[2:3], v[50:51], v[100:101]
	s_or_b32 exec_lo, exec_lo, s42
	s_and_saveexec_b32 s42, s1
	s_cbranch_execnz .LBB122_435
	s_branch .LBB122_436
.LBB122_1091:                           ;   in Loop: Header=BB122_3 Depth=1
	ds_load_b64 v[50:51], v79 offset:31232
	ds_load_b64 v[100:101], v81 offset:32744
	s_wait_dscnt 0x0
	v_fmac_f64_e32 v[2:3], v[50:51], v[100:101]
	s_or_b32 exec_lo, exec_lo, s41
	s_and_saveexec_b32 s41, s4
	s_cbranch_execz .LBB122_532
.LBB122_1092:                           ;   in Loop: Header=BB122_3 Depth=1
	ds_load_b64 v[50:51], v79 offset:31744
	ds_load_b64 v[100:101], v81 offset:32752
	s_wait_dscnt 0x0
	v_fmac_f64_e32 v[2:3], v[50:51], v[100:101]
	s_or_b32 exec_lo, exec_lo, s41
	s_and_saveexec_b32 s41, s17
	s_delay_alu instid0(SALU_CYCLE_1)
	s_xor_b32 s41, exec_lo, s41
	s_cbranch_execnz .LBB122_533
	s_branch .LBB122_534
.LBB122_1093:                           ;   in Loop: Header=BB122_3 Depth=1
	ds_load_b64 v[50:51], v60 offset:15040
	ds_load_b64 v[100:101], v59 offset:16104
	s_wait_dscnt 0x0
	v_fmac_f64_e32 v[2:3], v[50:51], v[100:101]
	s_or_b32 exec_lo, exec_lo, s42
	s_and_saveexec_b32 s42, s13
	s_cbranch_execz .LBB122_578
.LBB122_1094:                           ;   in Loop: Header=BB122_3 Depth=1
	ds_load_b64 v[50:51], v60 offset:15552
	ds_load_b64 v[100:101], v59 offset:16112
	s_wait_dscnt 0x0
	v_fmac_f64_e32 v[2:3], v[50:51], v[100:101]
	s_or_b32 exec_lo, exec_lo, s42
	s_and_saveexec_b32 s42, s1
	s_cbranch_execnz .LBB122_579
	s_branch .LBB122_580
.LBB122_1095:                           ;   in Loop: Header=BB122_3 Depth=1
	ds_load_b64 v[50:51], v68 offset:12928
	ds_load_b64 v[100:101], v67 offset:16072
	s_wait_dscnt 0x0
	v_fmac_f64_e32 v[2:3], v[50:51], v[100:101]
	s_or_b32 exec_lo, exec_lo, s42
	s_and_saveexec_b32 s42, s15
	s_cbranch_execz .LBB122_620
.LBB122_1096:                           ;   in Loop: Header=BB122_3 Depth=1
	ds_load_b64 v[50:51], v68 offset:13440
	ds_load_b64 v[100:101], v67 offset:16080
	s_wait_dscnt 0x0
	v_fmac_f64_e32 v[2:3], v[50:51], v[100:101]
	s_or_b32 exec_lo, exec_lo, s42
	s_and_saveexec_b32 s42, s16
	s_cbranch_execz .LBB122_621
.LBB122_1097:                           ;   in Loop: Header=BB122_3 Depth=1
	ds_load_b64 v[50:51], v68 offset:13952
	ds_load_b64 v[100:101], v67 offset:16088
	s_wait_dscnt 0x0
	v_fmac_f64_e32 v[2:3], v[50:51], v[100:101]
	s_or_b32 exec_lo, exec_lo, s42
	s_and_saveexec_b32 s42, s17
	s_cbranch_execz .LBB122_622
.LBB122_1098:                           ;   in Loop: Header=BB122_3 Depth=1
	ds_load_b64 v[50:51], v68 offset:14464
	ds_load_b64 v[100:101], v67 offset:16096
	s_wait_dscnt 0x0
	v_fmac_f64_e32 v[2:3], v[50:51], v[100:101]
	s_or_b32 exec_lo, exec_lo, s42
	s_and_saveexec_b32 s42, s18
	s_cbranch_execz .LBB122_623
.LBB122_1099:                           ;   in Loop: Header=BB122_3 Depth=1
	ds_load_b64 v[50:51], v68 offset:14976
	ds_load_b64 v[100:101], v67 offset:16104
	s_wait_dscnt 0x0
	v_fmac_f64_e32 v[2:3], v[50:51], v[100:101]
	s_or_b32 exec_lo, exec_lo, s42
	s_and_saveexec_b32 s42, s3
	s_cbranch_execz .LBB122_624
.LBB122_1100:                           ;   in Loop: Header=BB122_3 Depth=1
	ds_load_b64 v[50:51], v68 offset:15488
	ds_load_b64 v[100:101], v67 offset:16112
	s_wait_dscnt 0x0
	v_fmac_f64_e32 v[2:3], v[50:51], v[100:101]
	s_or_b32 exec_lo, exec_lo, s42
	s_and_saveexec_b32 s42, s13
	s_cbranch_execnz .LBB122_625
	s_branch .LBB122_626
.LBB122_1101:                           ;   in Loop: Header=BB122_3 Depth=1
	ds_load_b64 v[50:51], v60 offset:10880
	ds_load_b64 v[100:101], v59 offset:11944
	s_wait_dscnt 0x0
	v_fmac_f64_e32 v[2:3], v[50:51], v[100:101]
	s_or_b32 exec_lo, exec_lo, s42
	s_and_saveexec_b32 s42, s13
	s_cbranch_execz .LBB122_682
.LBB122_1102:                           ;   in Loop: Header=BB122_3 Depth=1
	ds_load_b64 v[50:51], v60 offset:11392
	ds_load_b64 v[100:101], v59 offset:11952
	s_wait_dscnt 0x0
	v_fmac_f64_e32 v[2:3], v[50:51], v[100:101]
	s_or_b32 exec_lo, exec_lo, s42
	s_and_saveexec_b32 s42, s1
	s_cbranch_execnz .LBB122_683
	s_branch .LBB122_684
.LBB122_1103:                           ;   in Loop: Header=BB122_3 Depth=1
	ds_load_b64 v[50:51], v76 offset:13824
	ds_load_b64 v[100:101], v75 offset:16088
	s_wait_dscnt 0x0
	v_fmac_f64_e32 v[2:3], v[50:51], v[100:101]
	s_or_b32 exec_lo, exec_lo, s41
	s_and_saveexec_b32 s41, s4
	s_cbranch_execz .LBB122_744
.LBB122_1104:                           ;   in Loop: Header=BB122_3 Depth=1
	ds_load_b64 v[50:51], v76 offset:14336
	ds_load_b64 v[100:101], v75 offset:16096
	s_wait_dscnt 0x0
	v_fmac_f64_e32 v[2:3], v[50:51], v[100:101]
	s_or_b32 exec_lo, exec_lo, s41
	s_and_saveexec_b32 s41, s15
	s_cbranch_execz .LBB122_745
.LBB122_1105:                           ;   in Loop: Header=BB122_3 Depth=1
	ds_load_b64 v[50:51], v76 offset:14848
	ds_load_b64 v[100:101], v75 offset:16104
	s_wait_dscnt 0x0
	v_fmac_f64_e32 v[2:3], v[50:51], v[100:101]
	s_or_b32 exec_lo, exec_lo, s41
	s_and_saveexec_b32 s41, s17
	s_cbranch_execz .LBB122_746
.LBB122_1106:                           ;   in Loop: Header=BB122_3 Depth=1
	ds_load_b64 v[50:51], v76 offset:15360
	ds_load_b64 v[100:101], v75 offset:16112
	s_wait_dscnt 0x0
	v_fmac_f64_e32 v[2:3], v[50:51], v[100:101]
	s_or_b32 exec_lo, exec_lo, s41
	s_and_saveexec_b32 s41, s3
	s_cbranch_execnz .LBB122_747
	s_branch .LBB122_748
.LBB122_1107:                           ;   in Loop: Header=BB122_3 Depth=1
	ds_load_b64 v[50:51], v60 offset:6720
	ds_load_b64 v[100:101], v59 offset:7784
	s_wait_dscnt 0x0
	v_fmac_f64_e32 v[2:3], v[50:51], v[100:101]
	s_or_b32 exec_lo, exec_lo, s42
	s_and_saveexec_b32 s42, s13
	s_cbranch_execz .LBB122_836
.LBB122_1108:                           ;   in Loop: Header=BB122_3 Depth=1
	ds_load_b64 v[50:51], v60 offset:7232
	ds_load_b64 v[100:101], v59 offset:7792
	s_wait_dscnt 0x0
	v_fmac_f64_e32 v[2:3], v[50:51], v[100:101]
	s_or_b32 exec_lo, exec_lo, s42
	s_and_saveexec_b32 s42, s1
	s_cbranch_execnz .LBB122_837
	s_branch .LBB122_838
.LBB122_1109:                           ;   in Loop: Header=BB122_3 Depth=1
	ds_load_b64 v[50:51], v68 offset:4608
	ds_load_b64 v[100:101], v67 offset:7752
	s_wait_dscnt 0x0
	v_fmac_f64_e32 v[2:3], v[50:51], v[100:101]
	s_or_b32 exec_lo, exec_lo, s42
	s_and_saveexec_b32 s42, s15
	s_cbranch_execz .LBB122_878
.LBB122_1110:                           ;   in Loop: Header=BB122_3 Depth=1
	ds_load_b64 v[50:51], v68 offset:5120
	ds_load_b64 v[100:101], v67 offset:7760
	s_wait_dscnt 0x0
	v_fmac_f64_e32 v[2:3], v[50:51], v[100:101]
	s_or_b32 exec_lo, exec_lo, s42
	s_and_saveexec_b32 s42, s16
	s_cbranch_execz .LBB122_879
.LBB122_1111:                           ;   in Loop: Header=BB122_3 Depth=1
	ds_load_b64 v[50:51], v68 offset:5632
	ds_load_b64 v[100:101], v67 offset:7768
	s_wait_dscnt 0x0
	v_fmac_f64_e32 v[2:3], v[50:51], v[100:101]
	s_or_b32 exec_lo, exec_lo, s42
	s_and_saveexec_b32 s42, s17
	s_cbranch_execz .LBB122_880
.LBB122_1112:                           ;   in Loop: Header=BB122_3 Depth=1
	ds_load_b64 v[50:51], v68 offset:6144
	ds_load_b64 v[100:101], v67 offset:7776
	s_wait_dscnt 0x0
	v_fmac_f64_e32 v[2:3], v[50:51], v[100:101]
	s_or_b32 exec_lo, exec_lo, s42
	s_and_saveexec_b32 s42, s18
	s_cbranch_execz .LBB122_881
.LBB122_1113:                           ;   in Loop: Header=BB122_3 Depth=1
	ds_load_b64 v[50:51], v68 offset:6656
	ds_load_b64 v[100:101], v67 offset:7784
	s_wait_dscnt 0x0
	v_fmac_f64_e32 v[2:3], v[50:51], v[100:101]
	s_or_b32 exec_lo, exec_lo, s42
	s_and_saveexec_b32 s42, s3
	s_cbranch_execz .LBB122_882
.LBB122_1114:                           ;   in Loop: Header=BB122_3 Depth=1
	ds_load_b64 v[50:51], v68 offset:7168
	ds_load_b64 v[100:101], v67 offset:7792
	s_wait_dscnt 0x0
	v_fmac_f64_e32 v[2:3], v[50:51], v[100:101]
	s_or_b32 exec_lo, exec_lo, s42
	s_and_saveexec_b32 s42, s13
	s_cbranch_execnz .LBB122_883
	s_branch .LBB122_884
.LBB122_1115:                           ;   in Loop: Header=BB122_3 Depth=1
	ds_load_b64 v[50:51], v60 offset:2560
	ds_load_b64 v[100:101], v59 offset:3624
	s_wait_dscnt 0x0
	v_fmac_f64_e32 v[2:3], v[50:51], v[100:101]
	s_or_b32 exec_lo, exec_lo, s42
	s_and_saveexec_b32 s42, s13
	s_cbranch_execz .LBB122_940
.LBB122_1116:                           ;   in Loop: Header=BB122_3 Depth=1
	ds_load_b64 v[50:51], v60 offset:3072
	ds_load_b64 v[100:101], v59 offset:3632
	s_wait_dscnt 0x0
	v_fmac_f64_e32 v[2:3], v[50:51], v[100:101]
	s_or_b32 exec_lo, exec_lo, s42
	s_and_saveexec_b32 s42, s1
	s_cbranch_execnz .LBB122_941
	s_branch .LBB122_942
.LBB122_1117:
	s_endpgm
	.section	.rodata,"a",@progbits
	.p2align	6, 0x0
	.amdhsa_kernel _ZL19rocblas_trsv_deviceILi64ELi16ELb0ELb1ELb0ELb1EdPKdPKS1_PKPdEviT7_lllT6_T8_lllPii
		.amdhsa_group_segment_fixed_size 41480
		.amdhsa_private_segment_fixed_size 0
		.amdhsa_kernarg_size 352
		.amdhsa_user_sgpr_count 2
		.amdhsa_user_sgpr_dispatch_ptr 0
		.amdhsa_user_sgpr_queue_ptr 0
		.amdhsa_user_sgpr_kernarg_segment_ptr 1
		.amdhsa_user_sgpr_dispatch_id 0
		.amdhsa_user_sgpr_kernarg_preload_length 0
		.amdhsa_user_sgpr_kernarg_preload_offset 0
		.amdhsa_user_sgpr_private_segment_size 0
		.amdhsa_wavefront_size32 1
		.amdhsa_uses_dynamic_stack 0
		.amdhsa_enable_private_segment 0
		.amdhsa_system_sgpr_workgroup_id_x 1
		.amdhsa_system_sgpr_workgroup_id_y 0
		.amdhsa_system_sgpr_workgroup_id_z 1
		.amdhsa_system_sgpr_workgroup_info 0
		.amdhsa_system_vgpr_workitem_id 1
		.amdhsa_next_free_vgpr 109
		.amdhsa_next_free_sgpr 105
		.amdhsa_named_barrier_count 0
		.amdhsa_reserve_vcc 1
		.amdhsa_float_round_mode_32 0
		.amdhsa_float_round_mode_16_64 0
		.amdhsa_float_denorm_mode_32 3
		.amdhsa_float_denorm_mode_16_64 3
		.amdhsa_fp16_overflow 0
		.amdhsa_memory_ordered 1
		.amdhsa_forward_progress 1
		.amdhsa_inst_pref_size 255
		.amdhsa_round_robin_scheduling 0
		.amdhsa_exception_fp_ieee_invalid_op 0
		.amdhsa_exception_fp_denorm_src 0
		.amdhsa_exception_fp_ieee_div_zero 0
		.amdhsa_exception_fp_ieee_overflow 0
		.amdhsa_exception_fp_ieee_underflow 0
		.amdhsa_exception_fp_ieee_inexact 0
		.amdhsa_exception_int_div_zero 0
	.end_amdhsa_kernel
	.section	.text._ZL19rocblas_trsv_deviceILi64ELi16ELb0ELb1ELb0ELb1EdPKdPKS1_PKPdEviT7_lllT6_T8_lllPii,"axG",@progbits,_ZL19rocblas_trsv_deviceILi64ELi16ELb0ELb1ELb0ELb1EdPKdPKS1_PKPdEviT7_lllT6_T8_lllPii,comdat
.Lfunc_end122:
	.size	_ZL19rocblas_trsv_deviceILi64ELi16ELb0ELb1ELb0ELb1EdPKdPKS1_PKPdEviT7_lllT6_T8_lllPii, .Lfunc_end122-_ZL19rocblas_trsv_deviceILi64ELi16ELb0ELb1ELb0ELb1EdPKdPKS1_PKPdEviT7_lllT6_T8_lllPii
                                        ; -- End function
	.set _ZL19rocblas_trsv_deviceILi64ELi16ELb0ELb1ELb0ELb1EdPKdPKS1_PKPdEviT7_lllT6_T8_lllPii.num_vgpr, 109
	.set _ZL19rocblas_trsv_deviceILi64ELi16ELb0ELb1ELb0ELb1EdPKdPKS1_PKPdEviT7_lllT6_T8_lllPii.num_agpr, 0
	.set _ZL19rocblas_trsv_deviceILi64ELi16ELb0ELb1ELb0ELb1EdPKdPKS1_PKPdEviT7_lllT6_T8_lllPii.numbered_sgpr, 105
	.set _ZL19rocblas_trsv_deviceILi64ELi16ELb0ELb1ELb0ELb1EdPKdPKS1_PKPdEviT7_lllT6_T8_lllPii.num_named_barrier, 0
	.set _ZL19rocblas_trsv_deviceILi64ELi16ELb0ELb1ELb0ELb1EdPKdPKS1_PKPdEviT7_lllT6_T8_lllPii.private_seg_size, 0
	.set _ZL19rocblas_trsv_deviceILi64ELi16ELb0ELb1ELb0ELb1EdPKdPKS1_PKPdEviT7_lllT6_T8_lllPii.uses_vcc, 1
	.set _ZL19rocblas_trsv_deviceILi64ELi16ELb0ELb1ELb0ELb1EdPKdPKS1_PKPdEviT7_lllT6_T8_lllPii.uses_flat_scratch, 0
	.set _ZL19rocblas_trsv_deviceILi64ELi16ELb0ELb1ELb0ELb1EdPKdPKS1_PKPdEviT7_lllT6_T8_lllPii.has_dyn_sized_stack, 0
	.set _ZL19rocblas_trsv_deviceILi64ELi16ELb0ELb1ELb0ELb1EdPKdPKS1_PKPdEviT7_lllT6_T8_lllPii.has_recursion, 0
	.set _ZL19rocblas_trsv_deviceILi64ELi16ELb0ELb1ELb0ELb1EdPKdPKS1_PKPdEviT7_lllT6_T8_lllPii.has_indirect_call, 0
	.section	.AMDGPU.csdata,"",@progbits
; Kernel info:
; codeLenInByte = 33432
; TotalNumSgprs: 107
; NumVgprs: 109
; ScratchSize: 0
; MemoryBound: 0
; FloatMode: 240
; IeeeMode: 1
; LDSByteSize: 41480 bytes/workgroup (compile time only)
; SGPRBlocks: 0
; VGPRBlocks: 6
; NumSGPRsForWavesPerEU: 107
; NumVGPRsForWavesPerEU: 109
; NamedBarCnt: 0
; Occupancy: 9
; WaveLimiterHint : 1
; COMPUTE_PGM_RSRC2:SCRATCH_EN: 0
; COMPUTE_PGM_RSRC2:USER_SGPR: 2
; COMPUTE_PGM_RSRC2:TRAP_HANDLER: 0
; COMPUTE_PGM_RSRC2:TGID_X_EN: 1
; COMPUTE_PGM_RSRC2:TGID_Y_EN: 0
; COMPUTE_PGM_RSRC2:TGID_Z_EN: 1
; COMPUTE_PGM_RSRC2:TIDIG_COMP_CNT: 1
	.section	.text._ZL19rocblas_trsv_deviceILi64ELi16ELb0ELb1ELb1ELb1EdPKdPKS1_PKPdEviT7_lllT6_T8_lllPii,"axG",@progbits,_ZL19rocblas_trsv_deviceILi64ELi16ELb0ELb1ELb1ELb1EdPKdPKS1_PKPdEviT7_lllT6_T8_lllPii,comdat
	.globl	_ZL19rocblas_trsv_deviceILi64ELi16ELb0ELb1ELb1ELb1EdPKdPKS1_PKPdEviT7_lllT6_T8_lllPii ; -- Begin function _ZL19rocblas_trsv_deviceILi64ELi16ELb0ELb1ELb1ELb1EdPKdPKS1_PKPdEviT7_lllT6_T8_lllPii
	.p2align	8
	.type	_ZL19rocblas_trsv_deviceILi64ELi16ELb0ELb1ELb1ELb1EdPKdPKS1_PKPdEviT7_lllT6_T8_lllPii,@function
_ZL19rocblas_trsv_deviceILi64ELi16ELb0ELb1ELb1ELb1EdPKdPKS1_PKPdEviT7_lllT6_T8_lllPii: ; @_ZL19rocblas_trsv_deviceILi64ELi16ELb0ELb1ELb1ELb1EdPKdPKS1_PKPdEviT7_lllT6_T8_lllPii
; %bb.0:
	s_load_b32 s6, s[0:1], 0x58
	s_bfe_u32 s2, ttmp6, 0x40014
	s_lshr_b32 s3, ttmp7, 16
	s_add_co_i32 s2, s2, 1
	s_bfe_u32 s5, ttmp6, 0x40008
	s_mul_i32 s4, s3, s2
	s_getreg_b32 s2, hwreg(HW_REG_IB_STS2, 6, 4)
	s_add_co_i32 s5, s5, s4
	s_cmp_eq_u32 s2, 0
	s_mov_b32 s63, 0
	s_cselect_b32 s62, s3, s5
                                        ; implicit-def: $vgpr108 : SGPR spill to VGPR lane
	s_wait_kmcnt 0x0
	s_cmp_ge_u32 s62, s6
	v_writelane_b32 v108, s6, 0
	s_cbranch_scc1 .LBB123_1117
; %bb.1:
	s_clause 0x3
	s_load_b32 s3, s[0:1], 0x6c
	s_load_b32 s83, s[0:1], 0x0
	s_load_b64 s[12:13], s[0:1], 0x18
	s_load_b256 s[64:71], s[0:1], 0x28
	s_bfe_u32 s5, ttmp6, 0x4000c
	s_and_b32 s4, ttmp6, 15
	s_add_co_i32 s5, s5, 1
	s_clause 0x1
	s_load_b64 s[76:77], s[0:1], 0x50
	s_load_b128 s[72:75], s[0:1], 0x8
	s_mul_i32 s5, ttmp9, s5
	v_and_b32_e32 v8, 0x3ff, v0
	s_add_co_i32 s4, s4, s5
	s_cmp_eq_u32 s2, 0
	v_bfe_u32 v4, v0, 10, 10
	s_cselect_b32 s84, ttmp9, s4
	v_dual_mov_b32 v7, 0 :: v_dual_lshlrev_b32 v1, 6, v8
	v_cmp_gt_u32_e64 s5, 2, v8
	s_delay_alu instid0(VALU_DEP_3)
	v_add_nc_u32_e32 v2, 16, v4
	v_lshl_add_u32 v31, v4, 6, v8
	s_wait_kmcnt 0x0
	s_and_b32 s0, s3, 0xffff
	s_add_co_i32 s1, s83, -1
	s_ashr_i32 s2, s83, 31
	s_ashr_i32 s3, s1, 31
	s_lshr_b32 s2, s2, 26
	s_lshr_b32 s3, s3, 26
	s_add_co_i32 s2, s83, s2
	s_add_co_i32 s1, s1, s3
	s_and_not1_b32 s2, s2, 63
	s_ashr_i32 s1, s1, 6
	s_sub_co_i32 s18, s83, s2
	s_cmp_eq_u32 s1, s84
	v_sub_co_u32 v9, s3, s84, 1
	s_cselect_b32 s1, -1, 0
	s_cmp_lg_u32 s18, 0
	v_mov_b32_e32 v11, v7
	s_cselect_b32 s2, -1, 0
	s_lshl_b32 s14, s84, 6
	s_and_b32 s11, s2, s1
	v_dual_add_nc_u32 v3, s14, v4 :: v_dual_add_nc_u32 v5, v4, v1
	v_dual_add_nc_u32 v16, s14, v8 :: v_dual_add_nc_u32 v6, v2, v1
	v_mad_u32_u24 v10, v4, s0, v8
	s_xor_b32 s0, s3, -1
	s_xor_b32 s86, s11, -1
	s_cmp_lt_i32 s84, 5
	v_subrev_nc_u32_e32 v12, 64, v3
	s_cselect_b32 vcc_lo, -1, 0
	v_dual_cndmask_b32 v28, v31, v5 :: v_dual_ashrrev_i32 v17, 31, v16
	v_lshl_add_u32 v18, v2, 6, v8
	v_lshrrev_b32_e32 v5, 1, v31
	s_or_b32 vcc_lo, vcc_lo, s11
	v_ashrrev_i32_e32 v13, 31, v12
	s_delay_alu instid0(VALU_DEP_3) | instskip(NEXT) | instid1(VALU_DEP_3)
	v_dual_cndmask_b32 v29, v18, v6, vcc_lo :: v_dual_bitop2_b32 v19, 1, v0 bitop3:0x40
	v_dual_lshrrev_b32 v6, 10, v0 :: v_dual_lshlrev_b32 v18, 9, v5
	s_add_nc_u64 s[2:3], s[12:13], 1
	s_delay_alu instid0(VALU_DEP_2) | instskip(SKIP_1) | instid1(VALU_DEP_2)
	v_lshlrev_b32_e32 v54, 3, v19
	s_ashr_i32 s15, s14, 31
	v_bitop3_b32 v44, v0, v6, 0x3ff bitop3:0xa8
	v_sub_nc_u32_e32 v53, 0, v18
	s_mul_u64 s[16:17], s[2:3], s[14:15]
	v_lshl_add_u32 v52, v5, 3, 0x8000
	v_cmp_gt_u32_e64 s1, 4, v31
	v_cmp_eq_u32_e64 s3, 1, v19
	v_dual_lshlrev_b32 v55, 3, v8 :: v_dual_lshrrev_b32 v5, 2, v31
	v_cmp_eq_u32_e64 s4, 0, v19
	v_dual_sub_nc_u32 v56, v54, v18 :: v_dual_bitop2_b32 v6, 3, v0 bitop3:0x40
	v_cmp_eq_u32_e64 s2, 0, v4
	s_and_b32 s88, s3, s1
	s_and_b32 s89, s4, s1
	v_dual_lshlrev_b32 v18, 9, v5 :: v_dual_lshlrev_b32 v60, 3, v6
	v_cmp_gt_u32_e64 s3, 16, v31
	v_cmp_eq_u32_e64 s4, 3, v6
	s_and_b32 s90, s2, s5
	v_lshl_add_u32 v58, v5, 3, 0x8000
	v_dual_sub_nc_u32 v59, 0, v18 :: v_dual_lshlrev_b32 v5, 6, v31
	v_cmp_ne_u32_e64 s5, 3, v6
	s_and_b32 s91, s4, s3
	v_cmp_eq_u32_e64 s4, 2, v6
	v_cmp_gt_u32_e64 s6, 2, v6
	v_sub_nc_u32_e32 v63, v60, v18
	s_and_b32 s92, s5, s3
	v_cmp_eq_u32_e64 s5, 0, v6
	s_and_b32 s93, s4, s3
	v_cmp_gt_u32_e64 s4, 4, v8
	v_and_b32_e32 v5, 0xfffffe00, v5
	v_and_b32_e32 v18, 7, v0
	s_and_b32 s94, s6, s3
	s_and_b32 s96, s5, s3
	;; [unrolled: 1-line block ×3, first 2 shown]
	v_cmp_gt_u32_e64 s4, 64, v31
	v_sub_nc_u32_e32 v67, 0, v5
	v_cmp_eq_u32_e64 s5, 7, v18
	v_cmp_ne_u32_e64 s6, 7, v18
	v_cmp_eq_u32_e64 s8, 1, v6
	v_dual_lshlrev_b32 v68, 3, v18 :: v_dual_bitop2_b32 v6, -8, v31 bitop3:0x40
	s_and_b32 s98, s5, s4
	s_and_b32 s99, s6, s4
	v_cmp_gt_u32_e64 s5, 6, v18
	v_cmp_eq_u32_e64 s6, 5, v18
	s_and_b32 s95, s8, s3
	v_cmp_eq_u32_e64 s8, 6, v18
	v_add_nc_u32_e32 v66, 0x8000, v6
	s_and_b32 s101, s5, s4
	s_and_b32 s102, s6, s4
	v_cmp_gt_u32_e64 s5, 4, v18
	v_cmp_eq_u32_e64 s6, 3, v18
	s_and_b32 s100, s8, s4
	v_cmp_gt_u32_e64 s8, 5, v18
	v_cmp_eq_u32_e64 s9, 4, v18
	s_and_b32 vcc_hi, s5, s4
	v_cmp_eq_u32_e64 s5, 2, v18
	s_and_b32 s31, s6, s4
	v_cmp_eq_u32_e64 s6, 1, v18
	v_lshrrev_b32_e32 v6, 4, v31
	s_and_b32 s103, s8, s4
	s_and_b32 s104, s9, s4
	v_cmp_gt_u32_e64 s8, 3, v18
	v_cmp_gt_u32_e64 s9, 2, v18
	s_and_b32 s34, s5, s4
	v_cmp_eq_u32_e64 s5, 0, v18
	s_and_b32 s36, s6, s4
	v_cmp_gt_u32_e64 s6, 8, v8
	v_dual_sub_nc_u32 v72, v68, v5 :: v_dual_lshlrev_b32 v5, 9, v6
	v_and_b32_e32 v18, 15, v0
	s_and_b32 s37, s5, s4
	s_and_b32 s38, s2, s6
	v_cmp_gt_u32_e64 s5, 0x100, v31
	v_sub_nc_u32_e32 v75, 0, v5
	v_cmp_eq_u32_e64 s6, 15, v18
	v_writelane_b32 v108, s0, 1
	s_and_b32 s33, s8, s4
	v_cmp_ne_u32_e64 s8, 15, v18
	s_and_b32 s35, s9, s4
	s_and_b32 s6, s6, s5
	v_cmp_eq_u32_e64 s9, 14, v18
	v_writelane_b32 v108, s6, 2
	s_and_b32 s6, s8, s5
	v_cmp_gt_u32_e64 s10, 14, v18
	v_lshl_add_u32 v74, v6, 3, 0x8000
	s_and_b32 s8, s9, s5
	v_writelane_b32 v108, s6, 3
	v_cmp_eq_u32_e64 s6, 13, v18
	v_cmp_eq_u32_e64 s9, 12, v18
	v_dual_lshlrev_b32 v76, 3, v18 :: v_dual_lshrrev_b32 v6, 5, v31
	v_writelane_b32 v108, s8, 4
	s_and_b32 s8, s10, s5
	s_and_b32 s6, s6, s5
	v_cmp_eq_u32_e64 s10, 11, v18
	s_and_b32 s45, s9, s5
	v_writelane_b32 v108, s8, 5
	v_cmp_gt_u32_e64 s8, 13, v18
	v_cmp_gt_u32_e64 s9, 10, v18
	s_and_b32 s47, s10, s5
	v_cmp_gt_u32_e64 s10, 9, v18
	v_writelane_b32 v108, s6, 6
	v_cmp_gt_u32_e64 s6, 12, v18
	s_and_b32 s44, s8, s5
	v_cmp_gt_u32_e64 s8, 11, v18
	s_and_b32 s50, s9, s5
	s_and_b32 s52, s10, s5
	;; [unrolled: 1-line block ×3, first 2 shown]
	v_cmp_eq_u32_e64 s6, 10, v18
	s_and_b32 s48, s8, s5
	v_cmp_eq_u32_e64 s8, 9, v18
	v_cmp_eq_u32_e64 s9, 7, v18
	;; [unrolled: 1-line block ×3, first 2 shown]
	s_and_b32 s49, s6, s5
	v_cmp_eq_u32_e64 s6, 8, v18
	s_and_b32 s51, s8, s5
	v_cmp_gt_u32_e64 s8, 8, v18
	v_dual_sub_nc_u32 v78, v76, v5 :: v_dual_bitop2_b32 v77, 31, v0 bitop3:0x40
	s_and_b32 s53, s6, s5
	v_cmp_gt_u32_e64 s6, 7, v18
	s_and_b32 s54, s8, s5
	v_cmp_gt_u32_e64 s8, 6, v18
	s_and_b32 s19, s9, s5
	s_and_b32 s23, s10, s5
	;; [unrolled: 1-line block ×3, first 2 shown]
	v_cmp_eq_u32_e64 s6, 5, v18
	s_and_b32 s25, s8, s5
	v_cmp_eq_u32_e64 s8, 4, v18
	v_cmp_gt_u32_e64 s9, 5, v18
	v_cmp_gt_u32_e64 s10, 4, v18
	s_and_b32 s27, s6, s5
	v_cmp_eq_u32_e64 s6, 3, v18
	s_and_b32 s57, s8, s5
	v_cmp_gt_u32_e64 s8, 3, v18
	v_dual_lshlrev_b32 v0, 9, v6 :: v_dual_lshlrev_b32 v79, 3, v77
	s_and_b32 s59, s6, s5
	v_cmp_gt_u32_e64 s6, 2, v18
	s_and_b32 s60, s8, s5
	v_cmp_eq_u32_e64 s8, 0, v18
	s_and_b32 s29, s9, s5
	s_and_b32 s58, s10, s5
	;; [unrolled: 1-line block ×3, first 2 shown]
	v_cmp_gt_u32_e64 s6, 16, v8
	s_and_b32 s26, s8, s5
	v_cmp_le_i32_e64 s8, s18, v8
	v_cmp_eq_u32_e64 s9, 2, v18
	v_cmp_eq_u32_e64 s10, 1, v18
	s_and_b32 s28, s2, s6
	v_lshl_add_u32 v80, v6, 3, 0x8000
	v_dual_sub_nc_u32 v81, 0, v0 :: v_dual_sub_nc_u32 v82, v79, v0
	v_cmp_gt_u32_e64 s6, 32, v8
	v_subrev_nc_u32_e32 v5, 48, v3
	v_subrev_nc_u32_e32 v6, 32, v3
	v_dual_add_nc_u32 v3, -16, v3 :: v_dual_add_nc_u32 v0, 32, v4
	v_add_nc_u32_e32 v34, 48, v4
	s_and_b32 s85, s8, s11
	v_cmp_gt_i32_e64 s7, s18, v8
	s_and_b32 s20, s9, s5
	s_and_b32 s24, s10, s5
	s_xor_b32 s30, s85, -1
	v_cmp_gt_i32_e64 s9, s83, v5
	v_cmp_gt_i32_e64 s10, s83, v6
	;; [unrolled: 1-line block ×3, first 2 shown]
	v_add_nc_u32_e32 v3, v0, v1
	v_lshl_add_u32 v5, v0, 6, v8
	v_add_nc_u32_e32 v1, v34, v1
	v_lshl_add_u32 v6, v34, 6, v8
	s_and_b32 s6, s2, s6
	s_xor_b32 s87, vcc_lo, -1
	v_writelane_b32 v108, s6, 7
	s_and_b32 s82, s2, s30
	s_cmp_gt_i32 s84, 0
	v_cmp_gt_i32_e64 s0, s83, v16
	v_dual_cndmask_b32 v30, v5, v3, vcc_lo :: v_dual_cndmask_b32 v32, v6, v1, vcc_lo
	v_add_nc_u32_e32 v6, s14, v10
	s_cselect_b32 s39, -1, 0
	v_cmp_gt_i32_e32 vcc_lo, s83, v12
	s_and_b32 s7, s2, s7
	v_mov_b32_e32 v3, v7
	v_writelane_b32 v108, s7, 8
	v_dual_mov_b32 v1, v7 :: v_dual_mov_b32 v35, v7
	s_and_b32 s7, vcc_lo, s0
	v_dual_mov_b32 v5, v7 :: v_dual_lshlrev_b32 v83, 3, v28
	v_writelane_b32 v108, s7, 9
	s_and_b32 s7, s9, s0
	v_cmp_le_i32_e64 s6, s18, v4
	v_mul_u64_e32 v[14:15], s[12:13], v[16:17]
	v_add_nc_u64_e32 v[26:27], s[14:15], v[10:11]
	v_writelane_b32 v108, s7, 10
	s_and_b32 s7, s10, s0
	v_mul_u64_e32 v[18:19], s[12:13], v[2:3]
	v_mul_u64_e32 v[20:21], s[12:13], v[0:1]
	;; [unrolled: 1-line block ×3, first 2 shown]
	v_writelane_b32 v108, s7, 11
	v_mul_u64_e32 v[24:25], s[12:13], v[4:5]
	v_cmp_le_i32_e64 s12, s18, v2
	v_cmp_le_i32_e64 s13, s18, v0
	;; [unrolled: 1-line block ×3, first 2 shown]
	s_or_b32 s15, s6, s8
	v_cmp_ge_u32_e64 s6, v8, v4
	s_and_b32 s7, s11, s0
	s_or_b32 s12, s12, s8
	v_writelane_b32 v108, s7, 12
	s_or_b32 s13, s13, s8
	s_or_b32 s14, s14, s8
	v_cmp_ge_u32_e64 s7, v8, v2
	s_or_b32 s8, s15, s6
	v_cmp_gt_u32_e64 s30, 0xf0, v31
	v_writelane_b32 v108, s8, 13
	v_cmp_gt_u32_e64 s41, 0x3e0, v31
	s_or_b32 s8, s12, s7
                                        ; implicit-def: $vgpr99 : SGPR spill to VGPR lane
	v_mad_u32_u24 v57, 0x1f8, v8, v55
	v_mul_u64_e32 v[16:17], s[70:71], v[16:17]
	v_writelane_b32 v108, s8, 14
	v_cmp_ge_u32_e64 s8, v8, v0
	v_mul_u64_e32 v[26:27], s[70:71], v[26:27]
	v_mad_i32_i24 v61, 0xfffffe08, v8, v57
	v_dual_lshlrev_b32 v85, 3, v29 :: v_dual_lshlrev_b32 v86, 3, v30
	s_or_b32 s9, s13, s8
	v_mul_u64_e32 v[28:29], s[70:71], v[6:7]
	v_writelane_b32 v108, s9, 15
	v_cmp_ge_u32_e64 s9, v8, v34
	v_mad_u32_u24 v62, 0x1f8, v8, v61
	v_lshlrev_b32_e32 v1, 3, v4
	v_dual_lshlrev_b32 v30, 3, v8 :: v_dual_bitop2_b32 v2, v2, v8 bitop3:0x54
	s_or_b32 s10, s14, s9
	s_delay_alu instid0(VALU_DEP_3)
	v_mad_i32_i24 v64, 0xfffffe08, v8, v62
	v_writelane_b32 v108, s10, 16
	v_or_b32_e32 v89, 0xa000, v1
	v_or_b32_e32 v3, v0, v8
	;; [unrolled: 1-line block ×3, first 2 shown]
	v_mad_u32_u24 v65, 0x1f8, v8, v64
	v_writelane_b32 v108, s30, 17
	v_cmp_gt_u32_e64 s30, 0xe0, v31
	v_add_nc_u32_e32 v95, v89, v55
	v_mov_b64_e32 v[34:35], 1.0
	v_mad_i32_i24 v69, 0xfffffe08, v8, v65
	v_cmp_lt_u32_e32 vcc_lo, 0x3ff, v31
	v_writelane_b32 v108, s30, 18
	v_cmp_gt_u32_e64 s30, 0xd0, v31
	v_lshl_add_u32 v91, v10, 3, 0xa000
	v_mad_u32_u24 v70, 0x1f8, v8, v69
	v_lshl_add_u32 v92, v31, 3, 0x8000
	v_add_nc_u32_e32 v93, 0x8000, v55
	v_writelane_b32 v108, s30, 19
	v_cmp_gt_u32_e64 s30, 0xc0, v31
	v_mad_i32_i24 v71, 0xfffffe08, v8, v70
	v_or_b32_e32 v96, 0x3800, v79
	s_lshl_b64 s[78:79], s[16:17], 3
	v_subrev_nc_u32_e32 v98, 31, v77
	v_writelane_b32 v108, s30, 20
	v_cmp_gt_u32_e64 s30, 0xb0, v31
	v_mad_u32_u24 v73, 0x1f8, v8, v71
	v_cmp_eq_u32_e64 s10, 0, v44
	v_cmp_gt_u32_e64 s11, 2, v31
	v_cmp_gt_u32_e64 s12, 12, v31
	v_writelane_b32 v108, s30, 21
	v_cmp_gt_u32_e64 s30, 0xa0, v31
	v_mad_i32_i24 v5, 0xfffffe08, v8, v73
	v_cmp_gt_u32_e64 s13, 8, v31
	v_cmp_gt_u32_e64 s14, 56, v31
	;; [unrolled: 1-line block ×3, first 2 shown]
	v_writelane_b32 v108, s30, 22
	v_cmp_gt_u32_e64 s30, 0x90, v31
	v_mad_u32_u24 v11, 0x1f8, v8, v5
	v_lshl_add_u32 v94, v4, 9, v5
	v_cmp_gt_u32_e64 s16, 40, v31
	v_cmp_gt_u32_e64 s17, 32, v31
	v_writelane_b32 v108, s30, 23
	v_cmp_gt_u32_e64 s30, 0x80, v31
	v_mad_i32_i24 v84, 0xfffffe08, v8, v11
	v_cmp_gt_u32_e64 s18, 24, v31
	v_cmp_eq_u32_e64 s55, 0, v10
	v_cmp_gt_u32_e64 s56, 64, v10
	v_writelane_b32 v108, s30, 24
	v_cmp_gt_u32_e64 s30, 0x70, v31
	v_mad_u32_u24 v88, 0x1f8, v8, v84
	v_lshlrev_b32_e32 v87, 3, v32
	v_mov_b64_e32 v[32:33], 0
	s_xor_b32 s40, vcc_lo, -1
	v_writelane_b32 v108, s30, 25
	v_cmp_gt_u32_e64 s30, 0x60, v31
	v_add_nc_u32_e32 v90, v88, v1
	v_mul_i32_i24_e32 v1, 0xfffffe08, v8
	s_lshl_b64 s[74:75], s[74:75], 3
	s_lshl_b64 s[68:69], s[68:69], 3
	v_writelane_b32 v108, s30, 26
	v_cmp_gt_u32_e64 s30, 0x50, v31
	v_mad_u32_u24 v0, 0x1f8, v8, v1
	v_mov_b32_e32 v1, 0x3ff00000
                                        ; implicit-def: $vgpr36_vgpr37
                                        ; implicit-def: $vgpr38_vgpr39
                                        ; implicit-def: $vgpr40_vgpr41
                                        ; implicit-def: $vgpr42_vgpr43
	s_delay_alu instid0(VALU_DEP_3) | instskip(NEXT) | instid1(VALU_DEP_3)
	v_writelane_b32 v108, s30, 27
	v_mad_u32 v97, v0, 7, v55
	v_cmp_gt_u32_e64 s30, 0x400, v31
	v_writelane_b32 v108, s41, 28
	v_cmp_gt_u32_e64 s41, 0x3c0, v31
	s_delay_alu instid0(VALU_DEP_1) | instskip(SKIP_1) | instid1(VALU_DEP_1)
	v_writelane_b32 v108, s41, 29
	v_cmp_gt_u32_e64 s41, 0x3a0, v31
	v_writelane_b32 v108, s41, 30
	v_cmp_gt_u32_e64 s41, 0x380, v31
	s_delay_alu instid0(VALU_DEP_1) | instskip(SKIP_1) | instid1(VALU_DEP_1)
	v_writelane_b32 v108, s41, 31
	;; [unrolled: 5-line block ×13, first 2 shown]
	v_cmp_gt_u32_e64 s41, 64, v45
	v_writelane_b32 v99, s41, 22
	s_branch .LBB123_3
.LBB123_2:                              ;   in Loop: Header=BB123_3 Depth=1
	s_wait_xcnt 0x0
	s_or_b32 exec_lo, exec_lo, s41
	v_readlane_b32 s41, v108, 0
	s_add_co_i32 s62, s62, 0x10000
	global_wb scope:SCOPE_DEV
	s_wait_storecnt 0x0
	global_inv scope:SCOPE_DEV
	s_cmp_lt_u32 s62, s41
	s_cbranch_scc0 .LBB123_1117
.LBB123_3:                              ; =>This Loop Header: Depth=1
                                        ;     Child Loop BB123_537 Depth 2
                                        ;     Child Loop BB123_986 Depth 2
                                        ;       Child Loop BB123_988 Depth 3
                                        ;     Child Loop BB123_1023 Depth 2
	v_mov_b32_e32 v0, s62
	v_readlane_b32 s41, v108, 1
	s_clause 0x1
	global_load_b64 v[2:3], v0, s[72:73] scale_offset
	global_load_b64 v[48:49], v0, s[66:67] scale_offset
	global_load_b64 v[46:47], v7, s[64:65]
	s_and_not1_b32 vcc_lo, exec_lo, s41
	s_wait_loadcnt 0x2
	v_add_nc_u64_e32 v[2:3], s[74:75], v[2:3]
	s_delay_alu instid0(VALU_DEP_1)
	v_lshl_add_u64 v[44:45], v[14:15], 3, v[2:3]
	s_cbranch_vccnz .LBB123_13
; %bb.4:                                ;   in Loop: Header=BB123_3 Depth=1
	v_mov_b64_e32 v[38:39], 0
	v_mov_b64_e32 v[36:37], 0
	s_delay_alu instid0(VALU_DEP_3)
	v_lshl_add_u64 v[50:51], v[12:13], 3, v[44:45]
	s_wait_loadcnt 0x0
	s_barrier_signal -1
	s_barrier_wait -1
	s_wait_xcnt 0x0
	s_mov_b32 s41, exec_lo
	v_readlane_b32 s42, v108, 9
	s_and_b32 s42, s41, s42
	s_delay_alu instid0(SALU_CYCLE_1)
	s_mov_b32 exec_lo, s42
	s_cbranch_execz .LBB123_6
; %bb.5:                                ;   in Loop: Header=BB123_3 Depth=1
	flat_load_b64 v[36:37], v[50:51]
.LBB123_6:                              ;   in Loop: Header=BB123_3 Depth=1
	s_wait_xcnt 0x0
	s_or_b32 exec_lo, exec_lo, s41
	s_wait_loadcnt_dscnt 0x0
	s_barrier_signal -1
	s_barrier_wait -1
	s_mov_b32 s41, exec_lo
	v_readlane_b32 s42, v108, 10
	s_and_b32 s42, s41, s42
	s_delay_alu instid0(SALU_CYCLE_1)
	s_mov_b32 exec_lo, s42
	s_cbranch_execz .LBB123_8
; %bb.7:                                ;   in Loop: Header=BB123_3 Depth=1
	flat_load_b64 v[38:39], v[50:51] offset:128
.LBB123_8:                              ;   in Loop: Header=BB123_3 Depth=1
	s_wait_xcnt 0x0
	s_or_b32 exec_lo, exec_lo, s41
	v_mov_b64_e32 v[42:43], 0
	v_mov_b64_e32 v[40:41], 0
	s_wait_loadcnt_dscnt 0x0
	s_barrier_signal -1
	s_barrier_wait -1
	s_mov_b32 s41, exec_lo
	v_readlane_b32 s42, v108, 11
	s_and_b32 s42, s41, s42
	s_delay_alu instid0(SALU_CYCLE_1)
	s_mov_b32 exec_lo, s42
	s_cbranch_execz .LBB123_10
; %bb.9:                                ;   in Loop: Header=BB123_3 Depth=1
	flat_load_b64 v[40:41], v[50:51] offset:256
.LBB123_10:                             ;   in Loop: Header=BB123_3 Depth=1
	s_wait_xcnt 0x0
	s_or_b32 exec_lo, exec_lo, s41
	s_wait_loadcnt_dscnt 0x0
	s_barrier_signal -1
	s_barrier_wait -1
	s_mov_b32 s41, exec_lo
	v_readlane_b32 s42, v108, 12
	s_and_b32 s42, s41, s42
	s_delay_alu instid0(SALU_CYCLE_1)
	s_mov_b32 exec_lo, s42
	s_cbranch_execz .LBB123_12
; %bb.11:                               ;   in Loop: Header=BB123_3 Depth=1
	flat_load_b64 v[42:43], v[50:51] offset:384
.LBB123_12:                             ;   in Loop: Header=BB123_3 Depth=1
	s_wait_xcnt 0x0
	s_or_b32 exec_lo, exec_lo, s41
.LBB123_13:                             ;   in Loop: Header=BB123_3 Depth=1
	v_add_nc_u64_e32 v[2:3], s[78:79], v[2:3]
	v_mov_b32_e32 v31, v7
	s_and_not1_b32 vcc_lo, exec_lo, s86
	s_mov_b32 s41, -1
	s_delay_alu instid0(VALU_DEP_1)
	v_add_nc_u64_e32 v[2:3], v[2:3], v[30:31]
	s_cbranch_vccnz .LBB123_24
; %bb.14:                               ;   in Loop: Header=BB123_3 Depth=1
	s_wait_xcnt 0x0
	s_and_saveexec_b32 s41, s6
	s_delay_alu instid0(SALU_CYCLE_1)
	s_xor_b32 s41, exec_lo, s41
	s_cbranch_execnz .LBB123_1044
; %bb.15:                               ;   in Loop: Header=BB123_3 Depth=1
	s_and_not1_saveexec_b32 s41, s41
	s_cbranch_execnz .LBB123_1047
.LBB123_16:                             ;   in Loop: Header=BB123_3 Depth=1
	s_or_b32 exec_lo, exec_lo, s41
	s_and_saveexec_b32 s41, s7
	s_delay_alu instid0(SALU_CYCLE_1)
	s_xor_b32 s41, exec_lo, s41
	s_cbranch_execnz .LBB123_1048
.LBB123_17:                             ;   in Loop: Header=BB123_3 Depth=1
	s_and_not1_saveexec_b32 s41, s41
	s_cbranch_execnz .LBB123_1051
.LBB123_18:                             ;   in Loop: Header=BB123_3 Depth=1
	s_or_b32 exec_lo, exec_lo, s41
	s_and_saveexec_b32 s41, s8
	s_delay_alu instid0(SALU_CYCLE_1)
	s_xor_b32 s41, exec_lo, s41
	s_cbranch_execnz .LBB123_1052
.LBB123_19:                             ;   in Loop: Header=BB123_3 Depth=1
	s_and_not1_saveexec_b32 s41, s41
	s_cbranch_execnz .LBB123_1055
.LBB123_20:                             ;   in Loop: Header=BB123_3 Depth=1
	s_or_b32 exec_lo, exec_lo, s41
	s_and_saveexec_b32 s41, s9
	s_delay_alu instid0(SALU_CYCLE_1)
	s_xor_b32 s41, exec_lo, s41
	s_cbranch_execnz .LBB123_1056
.LBB123_21:                             ;   in Loop: Header=BB123_3 Depth=1
	s_and_not1_saveexec_b32 s41, s41
	s_cbranch_execz .LBB123_23
.LBB123_22:                             ;   in Loop: Header=BB123_3 Depth=1
	v_lshl_add_u64 v[50:51], v[22:23], 3, v[2:3]
	flat_load_b64 v[50:51], v[50:51]
	s_wait_loadcnt_dscnt 0x0
	v_xor_b32_e32 v51, 0x80000000, v51
	ds_store_b64 v87, v[50:51]
.LBB123_23:                             ;   in Loop: Header=BB123_3 Depth=1
	s_or_b32 exec_lo, exec_lo, s41
	s_mov_b32 s41, 0
.LBB123_24:                             ;   in Loop: Header=BB123_3 Depth=1
	s_delay_alu instid0(SALU_CYCLE_1)
	s_and_b32 vcc_lo, exec_lo, s41
	s_cbranch_vccz .LBB123_50
; %bb.25:                               ;   in Loop: Header=BB123_3 Depth=1
	s_wait_xcnt 0x0
	s_mov_b32 s41, exec_lo
	v_readlane_b32 s42, v108, 13
	s_and_b32 s42, s41, s42
	s_delay_alu instid0(SALU_CYCLE_1)
	s_xor_b32 s41, s42, s41
	s_mov_b32 exec_lo, s42
	s_cbranch_execz .LBB123_29
; %bb.26:                               ;   in Loop: Header=BB123_3 Depth=1
	s_mov_b32 s42, exec_lo
	v_readlane_b32 s43, v99, 19
	s_and_b32 s43, s42, s43
	s_delay_alu instid0(SALU_CYCLE_1)
	s_mov_b32 exec_lo, s43
; %bb.27:                               ;   in Loop: Header=BB123_3 Depth=1
	ds_store_b64 v90, v[32:33]
; %bb.28:                               ;   in Loop: Header=BB123_3 Depth=1
	s_or_b32 exec_lo, exec_lo, s42
.LBB123_29:                             ;   in Loop: Header=BB123_3 Depth=1
	s_and_not1_saveexec_b32 s41, s41
	s_cbranch_execz .LBB123_31
; %bb.30:                               ;   in Loop: Header=BB123_3 Depth=1
	v_lshl_add_u64 v[50:51], v[24:25], 3, v[2:3]
	flat_load_b64 v[50:51], v[50:51]
	s_wait_loadcnt_dscnt 0x0
	v_xor_b32_e32 v51, 0x80000000, v51
	ds_store_b64 v90, v[50:51]
.LBB123_31:                             ;   in Loop: Header=BB123_3 Depth=1
	s_or_b32 exec_lo, exec_lo, s41
	s_delay_alu instid0(SALU_CYCLE_1) | instskip(SKIP_2) | instid1(SALU_CYCLE_1)
	s_mov_b32 s41, exec_lo
	v_readlane_b32 s42, v108, 14
	s_and_b32 s42, s41, s42
	s_xor_b32 s41, s42, s41
	s_mov_b32 exec_lo, s42
	s_cbranch_execz .LBB123_35
; %bb.32:                               ;   in Loop: Header=BB123_3 Depth=1
	s_mov_b32 s42, exec_lo
	v_readlane_b32 s43, v99, 20
	s_and_b32 s43, s42, s43
	s_delay_alu instid0(SALU_CYCLE_1)
	s_mov_b32 exec_lo, s43
; %bb.33:                               ;   in Loop: Header=BB123_3 Depth=1
	ds_store_b64 v85, v[32:33]
; %bb.34:                               ;   in Loop: Header=BB123_3 Depth=1
	s_or_b32 exec_lo, exec_lo, s42
.LBB123_35:                             ;   in Loop: Header=BB123_3 Depth=1
	s_and_not1_saveexec_b32 s41, s41
	s_cbranch_execz .LBB123_37
; %bb.36:                               ;   in Loop: Header=BB123_3 Depth=1
	v_lshl_add_u64 v[50:51], v[18:19], 3, v[2:3]
	flat_load_b64 v[50:51], v[50:51]
	s_wait_loadcnt_dscnt 0x0
	v_xor_b32_e32 v51, 0x80000000, v51
	ds_store_b64 v85, v[50:51]
.LBB123_37:                             ;   in Loop: Header=BB123_3 Depth=1
	s_or_b32 exec_lo, exec_lo, s41
	s_delay_alu instid0(SALU_CYCLE_1) | instskip(SKIP_2) | instid1(SALU_CYCLE_1)
	s_mov_b32 s41, exec_lo
	v_readlane_b32 s42, v108, 15
	s_and_b32 s42, s41, s42
	;; [unrolled: 28-line block ×3, first 2 shown]
	s_xor_b32 s41, s42, s41
	s_mov_b32 exec_lo, s42
	s_cbranch_execz .LBB123_47
; %bb.44:                               ;   in Loop: Header=BB123_3 Depth=1
	s_mov_b32 s42, exec_lo
	v_readlane_b32 s43, v99, 22
	s_and_b32 s43, s42, s43
	s_delay_alu instid0(SALU_CYCLE_1)
	s_mov_b32 exec_lo, s43
; %bb.45:                               ;   in Loop: Header=BB123_3 Depth=1
	ds_store_b64 v87, v[32:33]
; %bb.46:                               ;   in Loop: Header=BB123_3 Depth=1
	s_or_b32 exec_lo, exec_lo, s42
                                        ; implicit-def: $vgpr2_vgpr3
.LBB123_47:                             ;   in Loop: Header=BB123_3 Depth=1
	s_and_not1_saveexec_b32 s41, s41
	s_cbranch_execz .LBB123_49
; %bb.48:                               ;   in Loop: Header=BB123_3 Depth=1
	v_lshl_add_u64 v[2:3], v[22:23], 3, v[2:3]
	flat_load_b64 v[2:3], v[2:3]
	s_wait_loadcnt_dscnt 0x0
	v_xor_b32_e32 v3, 0x80000000, v3
	ds_store_b64 v87, v[2:3]
.LBB123_49:                             ;   in Loop: Header=BB123_3 Depth=1
	s_or_b32 exec_lo, exec_lo, s41
.LBB123_50:                             ;   in Loop: Header=BB123_3 Depth=1
	s_delay_alu instid0(SALU_CYCLE_1)
	s_and_not1_b32 vcc_lo, exec_lo, s87
	s_wait_loadcnt_dscnt 0x0
	s_barrier_signal -1
	s_barrier_wait -1
	s_cbranch_vccnz .LBB123_980
; %bb.51:                               ;   in Loop: Header=BB123_3 Depth=1
	s_wait_xcnt 0x0
	s_and_saveexec_b32 s41, s10
	s_cbranch_execz .LBB123_53
; %bb.52:                               ;   in Loop: Header=BB123_3 Depth=1
	ds_load_b64 v[2:3], v7 offset:32752
	v_mov_b32_e32 v0, v7
	ds_store_b64 v7, v[34:35] offset:32760
	s_wait_dscnt 0x1
	ds_store_b128 v7, v[0:3] offset:32240
.LBB123_53:                             ;   in Loop: Header=BB123_3 Depth=1
	s_or_b32 exec_lo, exec_lo, s41
	v_mov_b64_e32 v[2:3], 0
	s_wait_dscnt 0x0
	s_barrier_signal -1
	s_barrier_wait -1
	global_wb scope:SCOPE_DEV
	s_wait_storecnt 0x0
	global_inv scope:SCOPE_DEV
	s_and_saveexec_b32 s41, s1
	s_cbranch_execz .LBB123_57
; %bb.54:                               ;   in Loop: Header=BB123_3 Depth=1
	ds_load_b64 v[2:3], v54 offset:32224
	ds_load_b64 v[50:51], v53 offset:32752
	s_wait_dscnt 0x0
	v_fma_f64 v[2:3], v[2:3], v[50:51], 0
	s_and_saveexec_b32 s42, s11
	s_cbranch_execz .LBB123_56
; %bb.55:                               ;   in Loop: Header=BB123_3 Depth=1
	ds_load_b64 v[50:51], v55 offset:32736
	ds_load_b64 v[100:101], v7 offset:32760
	s_wait_dscnt 0x0
	v_fmac_f64_e32 v[2:3], v[50:51], v[100:101]
.LBB123_56:                             ;   in Loop: Header=BB123_3 Depth=1
	s_or_b32 exec_lo, exec_lo, s42
.LBB123_57:                             ;   in Loop: Header=BB123_3 Depth=1
	s_delay_alu instid0(SALU_CYCLE_1)
	s_or_b32 exec_lo, exec_lo, s41
	s_and_saveexec_b32 s41, s88
; %bb.58:                               ;   in Loop: Header=BB123_3 Depth=1
	s_delay_alu instid0(VALU_DEP_1) | instskip(NEXT) | instid1(VALU_DEP_2)
	v_xor_b32_e32 v51, 0x80000000, v3
	v_mov_b32_e32 v50, v2
	ds_store_b64 v52, v[50:51]
; %bb.59:                               ;   in Loop: Header=BB123_3 Depth=1
	s_or_b32 exec_lo, exec_lo, s41
	s_wait_loadcnt_dscnt 0x0
	s_barrier_signal -1
	s_barrier_wait -1
	s_and_saveexec_b32 s41, s89
	s_cbranch_execz .LBB123_61
; %bb.60:                               ;   in Loop: Header=BB123_3 Depth=1
	ds_load_b64 v[50:51], v7 offset:31712
	ds_load_b64 v[100:101], v52
	s_wait_dscnt 0x0
	v_fma_f64 v[2:3], -v[50:51], v[100:101], v[2:3]
.LBB123_61:                             ;   in Loop: Header=BB123_3 Depth=1
	s_or_b32 exec_lo, exec_lo, s41
	s_barrier_signal -1
	s_barrier_wait -1
	s_and_saveexec_b32 s41, s89
; %bb.62:                               ;   in Loop: Header=BB123_3 Depth=1
	s_delay_alu instid0(VALU_DEP_1) | instskip(NEXT) | instid1(VALU_DEP_2)
	v_xor_b32_e32 v51, 0x80000000, v3
	v_mov_b32_e32 v50, v2
	ds_store_b64 v52, v[50:51]
; %bb.63:                               ;   in Loop: Header=BB123_3 Depth=1
	s_or_b32 exec_lo, exec_lo, s41
	s_wait_dscnt 0x0
	s_barrier_signal -1
	s_barrier_wait -1
	s_barrier_signal -1
	s_barrier_wait -1
	s_and_saveexec_b32 s41, s1
; %bb.64:                               ;   in Loop: Header=BB123_3 Depth=1
	ds_store_b64 v56, v[2:3] offset:32736
; %bb.65:                               ;   in Loop: Header=BB123_3 Depth=1
	s_or_b32 exec_lo, exec_lo, s41
	s_wait_dscnt 0x0
	s_barrier_signal -1
	s_barrier_wait -1
	s_barrier_signal -1
	s_barrier_wait -1
	s_and_saveexec_b32 s41, s90
	s_cbranch_execz .LBB123_67
; %bb.66:                               ;   in Loop: Header=BB123_3 Depth=1
	ds_load_b64 v[2:3], v57 offset:32224
	s_wait_dscnt 0x0
	ds_store_b64 v55, v[2:3] offset:31216
	ds_load_b64 v[2:3], v57 offset:32232
	s_wait_dscnt 0x0
	ds_store_b64 v55, v[2:3] offset:31728
.LBB123_67:                             ;   in Loop: Header=BB123_3 Depth=1
	s_or_b32 exec_lo, exec_lo, s41
	s_wait_dscnt 0x0
	s_barrier_signal -1
	s_barrier_wait -1
	s_and_saveexec_b32 s41, s10
	s_cbranch_execz .LBB123_69
; %bb.68:                               ;   in Loop: Header=BB123_3 Depth=1
	ds_load_b64 v[2:3], v7 offset:31712
	v_mov_b32_e32 v0, v7
	ds_store_b64 v7, v[34:35] offset:31720
	s_wait_dscnt 0x1
	ds_store_b128 v7, v[0:3] offset:31200
.LBB123_69:                             ;   in Loop: Header=BB123_3 Depth=1
	s_or_b32 exec_lo, exec_lo, s41
	v_mov_b64_e32 v[2:3], 0
	s_wait_dscnt 0x0
	s_barrier_signal -1
	s_barrier_wait -1
	global_wb scope:SCOPE_DEV
	s_wait_storecnt 0x0
	global_inv scope:SCOPE_DEV
	s_and_saveexec_b32 s41, s3
	s_cbranch_execz .LBB123_75
; %bb.70:                               ;   in Loop: Header=BB123_3 Depth=1
	ds_load_b64 v[2:3], v60 offset:31168
	ds_load_b64 v[50:51], v59 offset:32736
	s_wait_dscnt 0x0
	v_fma_f64 v[2:3], v[2:3], v[50:51], 0
	s_and_saveexec_b32 s42, s12
	s_cbranch_execnz .LBB123_1067
; %bb.71:                               ;   in Loop: Header=BB123_3 Depth=1
	s_or_b32 exec_lo, exec_lo, s42
	s_and_saveexec_b32 s42, s13
	s_cbranch_execnz .LBB123_1068
.LBB123_72:                             ;   in Loop: Header=BB123_3 Depth=1
	s_or_b32 exec_lo, exec_lo, s42
	s_and_saveexec_b32 s42, s1
	s_cbranch_execz .LBB123_74
.LBB123_73:                             ;   in Loop: Header=BB123_3 Depth=1
	ds_load_b64 v[50:51], v61 offset:32704
	ds_load_b64 v[100:101], v7 offset:32760
	s_wait_dscnt 0x0
	v_fmac_f64_e32 v[2:3], v[50:51], v[100:101]
.LBB123_74:                             ;   in Loop: Header=BB123_3 Depth=1
	s_or_b32 exec_lo, exec_lo, s42
.LBB123_75:                             ;   in Loop: Header=BB123_3 Depth=1
	s_delay_alu instid0(SALU_CYCLE_1)
	s_or_b32 exec_lo, exec_lo, s41
	s_and_saveexec_b32 s41, s91
; %bb.76:                               ;   in Loop: Header=BB123_3 Depth=1
	s_delay_alu instid0(VALU_DEP_1) | instskip(NEXT) | instid1(VALU_DEP_2)
	v_xor_b32_e32 v51, 0x80000000, v3
	v_mov_b32_e32 v50, v2
	ds_store_b64 v58, v[50:51]
; %bb.77:                               ;   in Loop: Header=BB123_3 Depth=1
	s_or_b32 exec_lo, exec_lo, s41
	s_wait_loadcnt_dscnt 0x0
	s_barrier_signal -1
	s_barrier_wait -1
	s_and_saveexec_b32 s41, s92
	s_cbranch_execz .LBB123_79
; %bb.78:                               ;   in Loop: Header=BB123_3 Depth=1
	ds_load_b64 v[50:51], v60 offset:30656
	ds_load_b64 v[100:101], v58
	s_wait_dscnt 0x0
	v_fma_f64 v[2:3], -v[50:51], v[100:101], v[2:3]
.LBB123_79:                             ;   in Loop: Header=BB123_3 Depth=1
	s_or_b32 exec_lo, exec_lo, s41
	s_barrier_signal -1
	s_barrier_wait -1
	s_and_saveexec_b32 s41, s93
; %bb.80:                               ;   in Loop: Header=BB123_3 Depth=1
	s_delay_alu instid0(VALU_DEP_1) | instskip(NEXT) | instid1(VALU_DEP_2)
	v_xor_b32_e32 v51, 0x80000000, v3
	v_mov_b32_e32 v50, v2
	ds_store_b64 v58, v[50:51]
; %bb.81:                               ;   in Loop: Header=BB123_3 Depth=1
	s_or_b32 exec_lo, exec_lo, s41
	s_wait_dscnt 0x0
	s_barrier_signal -1
	s_barrier_wait -1
	s_and_saveexec_b32 s41, s94
	s_cbranch_execz .LBB123_83
; %bb.82:                               ;   in Loop: Header=BB123_3 Depth=1
	ds_load_b64 v[50:51], v60 offset:30144
	ds_load_b64 v[100:101], v58
	s_wait_dscnt 0x0
	v_fma_f64 v[2:3], -v[50:51], v[100:101], v[2:3]
.LBB123_83:                             ;   in Loop: Header=BB123_3 Depth=1
	s_or_b32 exec_lo, exec_lo, s41
	s_barrier_signal -1
	s_barrier_wait -1
	s_and_saveexec_b32 s41, s95
; %bb.84:                               ;   in Loop: Header=BB123_3 Depth=1
	s_delay_alu instid0(VALU_DEP_1) | instskip(NEXT) | instid1(VALU_DEP_2)
	v_xor_b32_e32 v51, 0x80000000, v3
	v_mov_b32_e32 v50, v2
	ds_store_b64 v58, v[50:51]
; %bb.85:                               ;   in Loop: Header=BB123_3 Depth=1
	s_or_b32 exec_lo, exec_lo, s41
	s_wait_dscnt 0x0
	;; [unrolled: 22-line block ×3, first 2 shown]
	s_barrier_signal -1
	s_barrier_wait -1
	s_barrier_signal -1
	s_barrier_wait -1
	s_and_saveexec_b32 s41, s3
; %bb.90:                               ;   in Loop: Header=BB123_3 Depth=1
	ds_store_b64 v63, v[2:3] offset:32704
; %bb.91:                               ;   in Loop: Header=BB123_3 Depth=1
	s_or_b32 exec_lo, exec_lo, s41
	s_wait_dscnt 0x0
	s_barrier_signal -1
	s_barrier_wait -1
	s_barrier_signal -1
	s_barrier_wait -1
	s_and_saveexec_b32 s41, s97
	s_cbranch_execz .LBB123_93
; %bb.92:                               ;   in Loop: Header=BB123_3 Depth=1
	ds_load_b64 v[2:3], v62 offset:31168
	s_wait_dscnt 0x0
	ds_store_b64 v64, v[2:3] offset:29152
	ds_load_b64 v[2:3], v62 offset:31176
	s_wait_dscnt 0x0
	ds_store_b64 v64, v[2:3] offset:29664
	;; [unrolled: 3-line block ×4, first 2 shown]
.LBB123_93:                             ;   in Loop: Header=BB123_3 Depth=1
	s_or_b32 exec_lo, exec_lo, s41
	s_wait_dscnt 0x0
	s_barrier_signal -1
	s_barrier_wait -1
	s_and_saveexec_b32 s41, s10
	s_cbranch_execz .LBB123_95
; %bb.94:                               ;   in Loop: Header=BB123_3 Depth=1
	ds_load_b64 v[2:3], v7 offset:30672
	v_mov_b32_e32 v0, v7
	ds_store_b64 v7, v[34:35] offset:30680
	s_wait_dscnt 0x1
	ds_store_b128 v7, v[0:3] offset:30160
.LBB123_95:                             ;   in Loop: Header=BB123_3 Depth=1
	s_or_b32 exec_lo, exec_lo, s41
	v_mov_b64_e32 v[2:3], 0
	s_wait_dscnt 0x0
	s_barrier_signal -1
	s_barrier_wait -1
	global_wb scope:SCOPE_DEV
	s_wait_storecnt 0x0
	global_inv scope:SCOPE_DEV
	s_and_saveexec_b32 s41, s1
	s_cbranch_execz .LBB123_99
; %bb.96:                               ;   in Loop: Header=BB123_3 Depth=1
	ds_load_b64 v[2:3], v54 offset:30144
	ds_load_b64 v[50:51], v53 offset:30672
	s_wait_dscnt 0x0
	v_fma_f64 v[2:3], v[2:3], v[50:51], 0
	s_and_saveexec_b32 s42, s11
	s_cbranch_execz .LBB123_98
; %bb.97:                               ;   in Loop: Header=BB123_3 Depth=1
	ds_load_b64 v[50:51], v64 offset:30656
	ds_load_b64 v[100:101], v7 offset:30680
	s_wait_dscnt 0x0
	v_fmac_f64_e32 v[2:3], v[50:51], v[100:101]
.LBB123_98:                             ;   in Loop: Header=BB123_3 Depth=1
	s_or_b32 exec_lo, exec_lo, s42
.LBB123_99:                             ;   in Loop: Header=BB123_3 Depth=1
	s_delay_alu instid0(SALU_CYCLE_1)
	s_or_b32 exec_lo, exec_lo, s41
	s_and_saveexec_b32 s41, s88
; %bb.100:                              ;   in Loop: Header=BB123_3 Depth=1
	s_delay_alu instid0(VALU_DEP_1) | instskip(NEXT) | instid1(VALU_DEP_2)
	v_xor_b32_e32 v51, 0x80000000, v3
	v_mov_b32_e32 v50, v2
	ds_store_b64 v52, v[50:51]
; %bb.101:                              ;   in Loop: Header=BB123_3 Depth=1
	s_or_b32 exec_lo, exec_lo, s41
	s_wait_loadcnt_dscnt 0x0
	s_barrier_signal -1
	s_barrier_wait -1
	s_and_saveexec_b32 s41, s89
	s_cbranch_execz .LBB123_103
; %bb.102:                              ;   in Loop: Header=BB123_3 Depth=1
	ds_load_b64 v[50:51], v7 offset:29632
	ds_load_b64 v[100:101], v52
	s_wait_dscnt 0x0
	v_fma_f64 v[2:3], -v[50:51], v[100:101], v[2:3]
.LBB123_103:                            ;   in Loop: Header=BB123_3 Depth=1
	s_or_b32 exec_lo, exec_lo, s41
	s_barrier_signal -1
	s_barrier_wait -1
	s_and_saveexec_b32 s41, s89
; %bb.104:                              ;   in Loop: Header=BB123_3 Depth=1
	s_delay_alu instid0(VALU_DEP_1) | instskip(NEXT) | instid1(VALU_DEP_2)
	v_xor_b32_e32 v51, 0x80000000, v3
	v_mov_b32_e32 v50, v2
	ds_store_b64 v52, v[50:51]
; %bb.105:                              ;   in Loop: Header=BB123_3 Depth=1
	s_or_b32 exec_lo, exec_lo, s41
	s_wait_dscnt 0x0
	s_barrier_signal -1
	s_barrier_wait -1
	s_barrier_signal -1
	s_barrier_wait -1
	s_and_saveexec_b32 s41, s1
; %bb.106:                              ;   in Loop: Header=BB123_3 Depth=1
	ds_store_b64 v56, v[2:3] offset:30656
; %bb.107:                              ;   in Loop: Header=BB123_3 Depth=1
	s_or_b32 exec_lo, exec_lo, s41
	s_wait_dscnt 0x0
	s_barrier_signal -1
	s_barrier_wait -1
	s_barrier_signal -1
	s_barrier_wait -1
	s_and_saveexec_b32 s41, s90
	s_cbranch_execz .LBB123_109
; %bb.108:                              ;   in Loop: Header=BB123_3 Depth=1
	ds_load_b64 v[2:3], v65 offset:30144
	s_wait_dscnt 0x0
	ds_store_b64 v64, v[2:3] offset:29136
	ds_load_b64 v[2:3], v65 offset:30152
	s_wait_dscnt 0x0
	ds_store_b64 v64, v[2:3] offset:29648
.LBB123_109:                            ;   in Loop: Header=BB123_3 Depth=1
	s_or_b32 exec_lo, exec_lo, s41
	s_wait_dscnt 0x0
	s_barrier_signal -1
	s_barrier_wait -1
	s_and_saveexec_b32 s41, s10
	s_cbranch_execz .LBB123_111
; %bb.110:                              ;   in Loop: Header=BB123_3 Depth=1
	ds_load_b64 v[2:3], v7 offset:29632
	v_mov_b32_e32 v0, v7
	ds_store_b64 v7, v[34:35] offset:29640
	s_wait_dscnt 0x1
	ds_store_b128 v7, v[0:3] offset:29120
.LBB123_111:                            ;   in Loop: Header=BB123_3 Depth=1
	s_or_b32 exec_lo, exec_lo, s41
	v_mov_b64_e32 v[2:3], 0
	s_wait_dscnt 0x0
	s_barrier_signal -1
	s_barrier_wait -1
	global_wb scope:SCOPE_DEV
	s_wait_storecnt 0x0
	global_inv scope:SCOPE_DEV
	s_and_saveexec_b32 s41, s4
	s_cbranch_execz .LBB123_121
; %bb.112:                              ;   in Loop: Header=BB123_3 Depth=1
	ds_load_b64 v[2:3], v68 offset:29056
	ds_load_b64 v[50:51], v67 offset:32704
	s_wait_dscnt 0x0
	v_fma_f64 v[2:3], v[2:3], v[50:51], 0
	s_and_saveexec_b32 s42, s14
	s_cbranch_execnz .LBB123_1069
; %bb.113:                              ;   in Loop: Header=BB123_3 Depth=1
	s_or_b32 exec_lo, exec_lo, s42
	s_and_saveexec_b32 s42, s15
	s_cbranch_execnz .LBB123_1070
.LBB123_114:                            ;   in Loop: Header=BB123_3 Depth=1
	s_or_b32 exec_lo, exec_lo, s42
	s_and_saveexec_b32 s42, s16
	s_cbranch_execnz .LBB123_1071
.LBB123_115:                            ;   in Loop: Header=BB123_3 Depth=1
	s_or_b32 exec_lo, exec_lo, s42
	s_and_saveexec_b32 s42, s17
	s_cbranch_execnz .LBB123_1072
.LBB123_116:                            ;   in Loop: Header=BB123_3 Depth=1
	s_or_b32 exec_lo, exec_lo, s42
	s_and_saveexec_b32 s42, s18
	s_cbranch_execnz .LBB123_1073
.LBB123_117:                            ;   in Loop: Header=BB123_3 Depth=1
	s_or_b32 exec_lo, exec_lo, s42
	s_and_saveexec_b32 s42, s3
	s_cbranch_execnz .LBB123_1074
.LBB123_118:                            ;   in Loop: Header=BB123_3 Depth=1
	s_or_b32 exec_lo, exec_lo, s42
	s_and_saveexec_b32 s42, s13
	s_cbranch_execz .LBB123_120
.LBB123_119:                            ;   in Loop: Header=BB123_3 Depth=1
	ds_load_b64 v[50:51], v69 offset:32640
	ds_load_b64 v[100:101], v7 offset:32760
	s_wait_dscnt 0x0
	v_fmac_f64_e32 v[2:3], v[50:51], v[100:101]
.LBB123_120:                            ;   in Loop: Header=BB123_3 Depth=1
	s_or_b32 exec_lo, exec_lo, s42
.LBB123_121:                            ;   in Loop: Header=BB123_3 Depth=1
	s_delay_alu instid0(SALU_CYCLE_1)
	s_or_b32 exec_lo, exec_lo, s41
	s_and_saveexec_b32 s41, s98
; %bb.122:                              ;   in Loop: Header=BB123_3 Depth=1
	s_delay_alu instid0(VALU_DEP_1) | instskip(NEXT) | instid1(VALU_DEP_2)
	v_xor_b32_e32 v51, 0x80000000, v3
	v_mov_b32_e32 v50, v2
	ds_store_b64 v66, v[50:51]
; %bb.123:                              ;   in Loop: Header=BB123_3 Depth=1
	s_or_b32 exec_lo, exec_lo, s41
	s_wait_loadcnt_dscnt 0x0
	s_barrier_signal -1
	s_barrier_wait -1
	s_and_saveexec_b32 s41, s99
	s_cbranch_execz .LBB123_125
; %bb.124:                              ;   in Loop: Header=BB123_3 Depth=1
	ds_load_b64 v[50:51], v68 offset:28544
	ds_load_b64 v[100:101], v66
	s_wait_dscnt 0x0
	v_fma_f64 v[2:3], -v[50:51], v[100:101], v[2:3]
.LBB123_125:                            ;   in Loop: Header=BB123_3 Depth=1
	s_or_b32 exec_lo, exec_lo, s41
	s_barrier_signal -1
	s_barrier_wait -1
	s_and_saveexec_b32 s41, s100
; %bb.126:                              ;   in Loop: Header=BB123_3 Depth=1
	s_delay_alu instid0(VALU_DEP_1) | instskip(NEXT) | instid1(VALU_DEP_2)
	v_xor_b32_e32 v51, 0x80000000, v3
	v_mov_b32_e32 v50, v2
	ds_store_b64 v66, v[50:51]
; %bb.127:                              ;   in Loop: Header=BB123_3 Depth=1
	s_or_b32 exec_lo, exec_lo, s41
	s_wait_dscnt 0x0
	s_barrier_signal -1
	s_barrier_wait -1
	s_and_saveexec_b32 s41, s101
	s_cbranch_execz .LBB123_129
; %bb.128:                              ;   in Loop: Header=BB123_3 Depth=1
	ds_load_b64 v[50:51], v68 offset:28032
	ds_load_b64 v[100:101], v66
	s_wait_dscnt 0x0
	v_fma_f64 v[2:3], -v[50:51], v[100:101], v[2:3]
.LBB123_129:                            ;   in Loop: Header=BB123_3 Depth=1
	s_or_b32 exec_lo, exec_lo, s41
	s_barrier_signal -1
	s_barrier_wait -1
	s_and_saveexec_b32 s41, s102
; %bb.130:                              ;   in Loop: Header=BB123_3 Depth=1
	s_delay_alu instid0(VALU_DEP_1) | instskip(NEXT) | instid1(VALU_DEP_2)
	v_xor_b32_e32 v51, 0x80000000, v3
	v_mov_b32_e32 v50, v2
	ds_store_b64 v66, v[50:51]
; %bb.131:                              ;   in Loop: Header=BB123_3 Depth=1
	s_or_b32 exec_lo, exec_lo, s41
	s_wait_dscnt 0x0
	;; [unrolled: 22-line block ×3, first 2 shown]
	s_barrier_signal -1
	s_barrier_wait -1
	s_and_saveexec_b32 s41, vcc_hi
	s_cbranch_execz .LBB123_137
; %bb.136:                              ;   in Loop: Header=BB123_3 Depth=1
	ds_load_b64 v[50:51], v68 offset:27008
	ds_load_b64 v[100:101], v66
	s_wait_dscnt 0x0
	v_fma_f64 v[2:3], -v[50:51], v[100:101], v[2:3]
.LBB123_137:                            ;   in Loop: Header=BB123_3 Depth=1
	s_or_b32 exec_lo, exec_lo, s41
	s_barrier_signal -1
	s_barrier_wait -1
	s_and_saveexec_b32 s41, s31
; %bb.138:                              ;   in Loop: Header=BB123_3 Depth=1
	s_delay_alu instid0(VALU_DEP_1) | instskip(NEXT) | instid1(VALU_DEP_2)
	v_xor_b32_e32 v51, 0x80000000, v3
	v_mov_b32_e32 v50, v2
	ds_store_b64 v66, v[50:51]
; %bb.139:                              ;   in Loop: Header=BB123_3 Depth=1
	s_or_b32 exec_lo, exec_lo, s41
	s_wait_dscnt 0x0
	s_barrier_signal -1
	s_barrier_wait -1
	s_and_saveexec_b32 s41, s33
	s_cbranch_execz .LBB123_141
; %bb.140:                              ;   in Loop: Header=BB123_3 Depth=1
	ds_load_b64 v[50:51], v68 offset:26496
	ds_load_b64 v[100:101], v66
	s_wait_dscnt 0x0
	v_fma_f64 v[2:3], -v[50:51], v[100:101], v[2:3]
.LBB123_141:                            ;   in Loop: Header=BB123_3 Depth=1
	s_or_b32 exec_lo, exec_lo, s41
	s_barrier_signal -1
	s_barrier_wait -1
	s_and_saveexec_b32 s41, s34
; %bb.142:                              ;   in Loop: Header=BB123_3 Depth=1
	s_delay_alu instid0(VALU_DEP_1) | instskip(NEXT) | instid1(VALU_DEP_2)
	v_xor_b32_e32 v51, 0x80000000, v3
	v_mov_b32_e32 v50, v2
	ds_store_b64 v66, v[50:51]
; %bb.143:                              ;   in Loop: Header=BB123_3 Depth=1
	s_or_b32 exec_lo, exec_lo, s41
	s_wait_dscnt 0x0
	s_barrier_signal -1
	s_barrier_wait -1
	s_and_saveexec_b32 s41, s35
	;; [unrolled: 22-line block ×3, first 2 shown]
	s_cbranch_execz .LBB123_149
; %bb.148:                              ;   in Loop: Header=BB123_3 Depth=1
	ds_load_b64 v[50:51], v7 offset:25472
	ds_load_b64 v[100:101], v66
	s_wait_dscnt 0x0
	v_fma_f64 v[2:3], -v[50:51], v[100:101], v[2:3]
.LBB123_149:                            ;   in Loop: Header=BB123_3 Depth=1
	s_or_b32 exec_lo, exec_lo, s41
	s_barrier_signal -1
	s_barrier_wait -1
	s_and_saveexec_b32 s41, s37
; %bb.150:                              ;   in Loop: Header=BB123_3 Depth=1
	s_delay_alu instid0(VALU_DEP_1) | instskip(NEXT) | instid1(VALU_DEP_2)
	v_xor_b32_e32 v51, 0x80000000, v3
	v_mov_b32_e32 v50, v2
	ds_store_b64 v66, v[50:51]
; %bb.151:                              ;   in Loop: Header=BB123_3 Depth=1
	s_or_b32 exec_lo, exec_lo, s41
	s_wait_dscnt 0x0
	s_barrier_signal -1
	s_barrier_wait -1
	s_barrier_signal -1
	s_barrier_wait -1
	s_and_saveexec_b32 s41, s4
; %bb.152:                              ;   in Loop: Header=BB123_3 Depth=1
	ds_store_b64 v72, v[2:3] offset:32640
; %bb.153:                              ;   in Loop: Header=BB123_3 Depth=1
	s_or_b32 exec_lo, exec_lo, s41
	s_wait_dscnt 0x0
	s_barrier_signal -1
	s_barrier_wait -1
	s_barrier_signal -1
	s_barrier_wait -1
	s_and_saveexec_b32 s41, s38
	s_cbranch_execz .LBB123_155
; %bb.154:                              ;   in Loop: Header=BB123_3 Depth=1
	ds_load_b64 v[2:3], v70 offset:29056
	s_wait_dscnt 0x0
	ds_store_b64 v71, v[2:3] offset:25024
	ds_load_b64 v[2:3], v70 offset:29064
	s_wait_dscnt 0x0
	ds_store_b64 v71, v[2:3] offset:25536
	;; [unrolled: 3-line block ×8, first 2 shown]
.LBB123_155:                            ;   in Loop: Header=BB123_3 Depth=1
	s_or_b32 exec_lo, exec_lo, s41
	s_wait_dscnt 0x0
	s_barrier_signal -1
	s_barrier_wait -1
	s_and_saveexec_b32 s41, s10
	s_cbranch_execz .LBB123_157
; %bb.156:                              ;   in Loop: Header=BB123_3 Depth=1
	ds_load_b64 v[2:3], v7 offset:28592
	v_mov_b32_e32 v0, v7
	ds_store_b64 v7, v[34:35] offset:28600
	s_wait_dscnt 0x1
	ds_store_b128 v7, v[0:3] offset:28080
.LBB123_157:                            ;   in Loop: Header=BB123_3 Depth=1
	s_or_b32 exec_lo, exec_lo, s41
	v_mov_b64_e32 v[2:3], 0
	s_wait_dscnt 0x0
	s_barrier_signal -1
	s_barrier_wait -1
	global_wb scope:SCOPE_DEV
	s_wait_storecnt 0x0
	global_inv scope:SCOPE_DEV
	s_and_saveexec_b32 s41, s1
	s_cbranch_execz .LBB123_161
; %bb.158:                              ;   in Loop: Header=BB123_3 Depth=1
	ds_load_b64 v[2:3], v54 offset:28064
	ds_load_b64 v[50:51], v53 offset:28592
	s_wait_dscnt 0x0
	v_fma_f64 v[2:3], v[2:3], v[50:51], 0
	s_and_saveexec_b32 s42, s11
	s_cbranch_execz .LBB123_160
; %bb.159:                              ;   in Loop: Header=BB123_3 Depth=1
	ds_load_b64 v[50:51], v71 offset:28576
	ds_load_b64 v[100:101], v7 offset:28600
	s_wait_dscnt 0x0
	v_fmac_f64_e32 v[2:3], v[50:51], v[100:101]
.LBB123_160:                            ;   in Loop: Header=BB123_3 Depth=1
	s_or_b32 exec_lo, exec_lo, s42
.LBB123_161:                            ;   in Loop: Header=BB123_3 Depth=1
	s_delay_alu instid0(SALU_CYCLE_1)
	s_or_b32 exec_lo, exec_lo, s41
	s_and_saveexec_b32 s41, s88
; %bb.162:                              ;   in Loop: Header=BB123_3 Depth=1
	s_delay_alu instid0(VALU_DEP_1) | instskip(NEXT) | instid1(VALU_DEP_2)
	v_xor_b32_e32 v51, 0x80000000, v3
	v_mov_b32_e32 v50, v2
	ds_store_b64 v52, v[50:51]
; %bb.163:                              ;   in Loop: Header=BB123_3 Depth=1
	s_or_b32 exec_lo, exec_lo, s41
	s_wait_loadcnt_dscnt 0x0
	s_barrier_signal -1
	s_barrier_wait -1
	s_and_saveexec_b32 s41, s89
	s_cbranch_execz .LBB123_165
; %bb.164:                              ;   in Loop: Header=BB123_3 Depth=1
	ds_load_b64 v[50:51], v7 offset:27552
	ds_load_b64 v[100:101], v52
	s_wait_dscnt 0x0
	v_fma_f64 v[2:3], -v[50:51], v[100:101], v[2:3]
.LBB123_165:                            ;   in Loop: Header=BB123_3 Depth=1
	s_or_b32 exec_lo, exec_lo, s41
	s_barrier_signal -1
	s_barrier_wait -1
	s_and_saveexec_b32 s41, s89
; %bb.166:                              ;   in Loop: Header=BB123_3 Depth=1
	s_delay_alu instid0(VALU_DEP_1) | instskip(NEXT) | instid1(VALU_DEP_2)
	v_xor_b32_e32 v51, 0x80000000, v3
	v_mov_b32_e32 v50, v2
	ds_store_b64 v52, v[50:51]
; %bb.167:                              ;   in Loop: Header=BB123_3 Depth=1
	s_or_b32 exec_lo, exec_lo, s41
	s_wait_dscnt 0x0
	s_barrier_signal -1
	s_barrier_wait -1
	s_barrier_signal -1
	s_barrier_wait -1
	s_and_saveexec_b32 s41, s1
; %bb.168:                              ;   in Loop: Header=BB123_3 Depth=1
	ds_store_b64 v56, v[2:3] offset:28576
; %bb.169:                              ;   in Loop: Header=BB123_3 Depth=1
	s_or_b32 exec_lo, exec_lo, s41
	s_wait_dscnt 0x0
	s_barrier_signal -1
	s_barrier_wait -1
	s_barrier_signal -1
	s_barrier_wait -1
	s_and_saveexec_b32 s41, s90
	s_cbranch_execz .LBB123_171
; %bb.170:                              ;   in Loop: Header=BB123_3 Depth=1
	ds_load_b64 v[2:3], v73 offset:28064
	s_wait_dscnt 0x0
	ds_store_b64 v71, v[2:3] offset:27056
	ds_load_b64 v[2:3], v73 offset:28072
	s_wait_dscnt 0x0
	ds_store_b64 v71, v[2:3] offset:27568
.LBB123_171:                            ;   in Loop: Header=BB123_3 Depth=1
	s_or_b32 exec_lo, exec_lo, s41
	s_wait_dscnt 0x0
	s_barrier_signal -1
	s_barrier_wait -1
	s_and_saveexec_b32 s41, s10
	s_cbranch_execz .LBB123_173
; %bb.172:                              ;   in Loop: Header=BB123_3 Depth=1
	ds_load_b64 v[2:3], v7 offset:27552
	v_mov_b32_e32 v0, v7
	ds_store_b64 v7, v[34:35] offset:27560
	s_wait_dscnt 0x1
	ds_store_b128 v7, v[0:3] offset:27040
.LBB123_173:                            ;   in Loop: Header=BB123_3 Depth=1
	s_or_b32 exec_lo, exec_lo, s41
	v_mov_b64_e32 v[2:3], 0
	s_wait_dscnt 0x0
	s_barrier_signal -1
	s_barrier_wait -1
	global_wb scope:SCOPE_DEV
	s_wait_storecnt 0x0
	global_inv scope:SCOPE_DEV
	s_and_saveexec_b32 s41, s3
	s_cbranch_execz .LBB123_179
; %bb.174:                              ;   in Loop: Header=BB123_3 Depth=1
	ds_load_b64 v[2:3], v60 offset:27008
	ds_load_b64 v[50:51], v59 offset:28576
	s_wait_dscnt 0x0
	v_fma_f64 v[2:3], v[2:3], v[50:51], 0
	s_and_saveexec_b32 s42, s12
	s_cbranch_execnz .LBB123_1075
; %bb.175:                              ;   in Loop: Header=BB123_3 Depth=1
	s_or_b32 exec_lo, exec_lo, s42
	s_and_saveexec_b32 s42, s13
	s_cbranch_execnz .LBB123_1076
.LBB123_176:                            ;   in Loop: Header=BB123_3 Depth=1
	s_or_b32 exec_lo, exec_lo, s42
	s_and_saveexec_b32 s42, s1
	s_cbranch_execz .LBB123_178
.LBB123_177:                            ;   in Loop: Header=BB123_3 Depth=1
	ds_load_b64 v[50:51], v5 offset:28544
	ds_load_b64 v[100:101], v7 offset:28600
	s_wait_dscnt 0x0
	v_fmac_f64_e32 v[2:3], v[50:51], v[100:101]
.LBB123_178:                            ;   in Loop: Header=BB123_3 Depth=1
	s_or_b32 exec_lo, exec_lo, s42
.LBB123_179:                            ;   in Loop: Header=BB123_3 Depth=1
	s_delay_alu instid0(SALU_CYCLE_1)
	s_or_b32 exec_lo, exec_lo, s41
	s_and_saveexec_b32 s41, s91
; %bb.180:                              ;   in Loop: Header=BB123_3 Depth=1
	s_delay_alu instid0(VALU_DEP_1) | instskip(NEXT) | instid1(VALU_DEP_2)
	v_xor_b32_e32 v51, 0x80000000, v3
	v_mov_b32_e32 v50, v2
	ds_store_b64 v58, v[50:51]
; %bb.181:                              ;   in Loop: Header=BB123_3 Depth=1
	s_or_b32 exec_lo, exec_lo, s41
	s_wait_loadcnt_dscnt 0x0
	s_barrier_signal -1
	s_barrier_wait -1
	s_and_saveexec_b32 s41, s92
	s_cbranch_execz .LBB123_183
; %bb.182:                              ;   in Loop: Header=BB123_3 Depth=1
	ds_load_b64 v[50:51], v60 offset:26496
	ds_load_b64 v[100:101], v58
	s_wait_dscnt 0x0
	v_fma_f64 v[2:3], -v[50:51], v[100:101], v[2:3]
.LBB123_183:                            ;   in Loop: Header=BB123_3 Depth=1
	s_or_b32 exec_lo, exec_lo, s41
	s_barrier_signal -1
	s_barrier_wait -1
	s_and_saveexec_b32 s41, s93
; %bb.184:                              ;   in Loop: Header=BB123_3 Depth=1
	s_delay_alu instid0(VALU_DEP_1) | instskip(NEXT) | instid1(VALU_DEP_2)
	v_xor_b32_e32 v51, 0x80000000, v3
	v_mov_b32_e32 v50, v2
	ds_store_b64 v58, v[50:51]
; %bb.185:                              ;   in Loop: Header=BB123_3 Depth=1
	s_or_b32 exec_lo, exec_lo, s41
	s_wait_dscnt 0x0
	s_barrier_signal -1
	s_barrier_wait -1
	s_and_saveexec_b32 s41, s94
	s_cbranch_execz .LBB123_187
; %bb.186:                              ;   in Loop: Header=BB123_3 Depth=1
	ds_load_b64 v[50:51], v60 offset:25984
	ds_load_b64 v[100:101], v58
	s_wait_dscnt 0x0
	v_fma_f64 v[2:3], -v[50:51], v[100:101], v[2:3]
.LBB123_187:                            ;   in Loop: Header=BB123_3 Depth=1
	s_or_b32 exec_lo, exec_lo, s41
	s_barrier_signal -1
	s_barrier_wait -1
	s_and_saveexec_b32 s41, s95
; %bb.188:                              ;   in Loop: Header=BB123_3 Depth=1
	s_delay_alu instid0(VALU_DEP_1) | instskip(NEXT) | instid1(VALU_DEP_2)
	v_xor_b32_e32 v51, 0x80000000, v3
	v_mov_b32_e32 v50, v2
	ds_store_b64 v58, v[50:51]
; %bb.189:                              ;   in Loop: Header=BB123_3 Depth=1
	s_or_b32 exec_lo, exec_lo, s41
	s_wait_dscnt 0x0
	;; [unrolled: 22-line block ×3, first 2 shown]
	s_barrier_signal -1
	s_barrier_wait -1
	s_barrier_signal -1
	s_barrier_wait -1
	s_and_saveexec_b32 s41, s3
; %bb.194:                              ;   in Loop: Header=BB123_3 Depth=1
	ds_store_b64 v63, v[2:3] offset:28544
; %bb.195:                              ;   in Loop: Header=BB123_3 Depth=1
	s_or_b32 exec_lo, exec_lo, s41
	s_wait_dscnt 0x0
	s_barrier_signal -1
	s_barrier_wait -1
	s_barrier_signal -1
	s_barrier_wait -1
	s_and_saveexec_b32 s41, s97
	s_cbranch_execz .LBB123_197
; %bb.196:                              ;   in Loop: Header=BB123_3 Depth=1
	ds_load_b64 v[2:3], v11 offset:27008
	s_wait_dscnt 0x0
	ds_store_b64 v84, v[2:3] offset:24992
	ds_load_b64 v[2:3], v11 offset:27016
	s_wait_dscnt 0x0
	ds_store_b64 v84, v[2:3] offset:25504
	;; [unrolled: 3-line block ×4, first 2 shown]
.LBB123_197:                            ;   in Loop: Header=BB123_3 Depth=1
	s_or_b32 exec_lo, exec_lo, s41
	s_wait_dscnt 0x0
	s_barrier_signal -1
	s_barrier_wait -1
	s_and_saveexec_b32 s41, s10
	s_cbranch_execz .LBB123_199
; %bb.198:                              ;   in Loop: Header=BB123_3 Depth=1
	ds_load_b64 v[2:3], v7 offset:26512
	v_mov_b32_e32 v0, v7
	ds_store_b64 v7, v[34:35] offset:26520
	s_wait_dscnt 0x1
	ds_store_b128 v7, v[0:3] offset:26000
.LBB123_199:                            ;   in Loop: Header=BB123_3 Depth=1
	s_or_b32 exec_lo, exec_lo, s41
	v_mov_b64_e32 v[2:3], 0
	s_wait_dscnt 0x0
	s_barrier_signal -1
	s_barrier_wait -1
	global_wb scope:SCOPE_DEV
	s_wait_storecnt 0x0
	global_inv scope:SCOPE_DEV
	s_and_saveexec_b32 s41, s1
	s_cbranch_execz .LBB123_203
; %bb.200:                              ;   in Loop: Header=BB123_3 Depth=1
	ds_load_b64 v[2:3], v54 offset:25984
	ds_load_b64 v[50:51], v53 offset:26512
	s_wait_dscnt 0x0
	v_fma_f64 v[2:3], v[2:3], v[50:51], 0
	s_and_saveexec_b32 s42, s11
	s_cbranch_execz .LBB123_202
; %bb.201:                              ;   in Loop: Header=BB123_3 Depth=1
	ds_load_b64 v[50:51], v84 offset:26496
	ds_load_b64 v[100:101], v7 offset:26520
	s_wait_dscnt 0x0
	v_fmac_f64_e32 v[2:3], v[50:51], v[100:101]
.LBB123_202:                            ;   in Loop: Header=BB123_3 Depth=1
	s_or_b32 exec_lo, exec_lo, s42
.LBB123_203:                            ;   in Loop: Header=BB123_3 Depth=1
	s_delay_alu instid0(SALU_CYCLE_1)
	s_or_b32 exec_lo, exec_lo, s41
	s_and_saveexec_b32 s41, s88
; %bb.204:                              ;   in Loop: Header=BB123_3 Depth=1
	s_delay_alu instid0(VALU_DEP_1) | instskip(NEXT) | instid1(VALU_DEP_2)
	v_xor_b32_e32 v51, 0x80000000, v3
	v_mov_b32_e32 v50, v2
	ds_store_b64 v52, v[50:51]
; %bb.205:                              ;   in Loop: Header=BB123_3 Depth=1
	s_or_b32 exec_lo, exec_lo, s41
	s_wait_loadcnt_dscnt 0x0
	s_barrier_signal -1
	s_barrier_wait -1
	s_and_saveexec_b32 s41, s89
	s_cbranch_execz .LBB123_207
; %bb.206:                              ;   in Loop: Header=BB123_3 Depth=1
	ds_load_b64 v[50:51], v7 offset:25472
	ds_load_b64 v[100:101], v52
	s_wait_dscnt 0x0
	v_fma_f64 v[2:3], -v[50:51], v[100:101], v[2:3]
.LBB123_207:                            ;   in Loop: Header=BB123_3 Depth=1
	s_or_b32 exec_lo, exec_lo, s41
	s_barrier_signal -1
	s_barrier_wait -1
	s_and_saveexec_b32 s41, s89
; %bb.208:                              ;   in Loop: Header=BB123_3 Depth=1
	s_delay_alu instid0(VALU_DEP_1) | instskip(NEXT) | instid1(VALU_DEP_2)
	v_xor_b32_e32 v51, 0x80000000, v3
	v_mov_b32_e32 v50, v2
	ds_store_b64 v52, v[50:51]
; %bb.209:                              ;   in Loop: Header=BB123_3 Depth=1
	s_or_b32 exec_lo, exec_lo, s41
	s_wait_dscnt 0x0
	s_barrier_signal -1
	s_barrier_wait -1
	s_barrier_signal -1
	s_barrier_wait -1
	s_and_saveexec_b32 s41, s1
; %bb.210:                              ;   in Loop: Header=BB123_3 Depth=1
	ds_store_b64 v56, v[2:3] offset:26496
; %bb.211:                              ;   in Loop: Header=BB123_3 Depth=1
	s_or_b32 exec_lo, exec_lo, s41
	s_wait_dscnt 0x0
	s_barrier_signal -1
	s_barrier_wait -1
	s_barrier_signal -1
	s_barrier_wait -1
	s_and_saveexec_b32 s41, s90
	s_cbranch_execz .LBB123_213
; %bb.212:                              ;   in Loop: Header=BB123_3 Depth=1
	ds_load_b64 v[2:3], v88 offset:25984
	s_wait_dscnt 0x0
	ds_store_b64 v84, v[2:3] offset:24976
	ds_load_b64 v[2:3], v88 offset:25992
	s_wait_dscnt 0x0
	ds_store_b64 v84, v[2:3] offset:25488
.LBB123_213:                            ;   in Loop: Header=BB123_3 Depth=1
	s_or_b32 exec_lo, exec_lo, s41
	s_wait_dscnt 0x0
	s_barrier_signal -1
	s_barrier_wait -1
	s_and_saveexec_b32 s41, s10
	s_cbranch_execz .LBB123_215
; %bb.214:                              ;   in Loop: Header=BB123_3 Depth=1
	ds_load_b64 v[2:3], v7 offset:25472
	v_mov_b32_e32 v0, v7
	ds_store_b64 v7, v[34:35] offset:25480
	s_wait_dscnt 0x1
	ds_store_b128 v7, v[0:3] offset:24960
.LBB123_215:                            ;   in Loop: Header=BB123_3 Depth=1
	s_or_b32 exec_lo, exec_lo, s41
	v_mov_b64_e32 v[2:3], 0
	s_wait_dscnt 0x0
	s_barrier_signal -1
	s_barrier_wait -1
	global_wb scope:SCOPE_DEV
	s_wait_storecnt 0x0
	global_inv scope:SCOPE_DEV
	s_and_saveexec_b32 s61, s5
	s_cbranch_execz .LBB123_243
; %bb.216:                              ;   in Loop: Header=BB123_3 Depth=1
	ds_load_b64 v[2:3], v76 offset:24832
	ds_load_b64 v[50:51], v75 offset:32640
	s_wait_dscnt 0x0
	v_fma_f64 v[2:3], v[2:3], v[50:51], 0
	s_mov_b32 s41, exec_lo
	v_readlane_b32 s42, v108, 17
	s_and_b32 s42, s41, s42
	s_delay_alu instid0(SALU_CYCLE_1)
	s_mov_b32 exec_lo, s42
	s_cbranch_execz .LBB123_218
; %bb.217:                              ;   in Loop: Header=BB123_3 Depth=1
	ds_load_b64 v[50:51], v76 offset:25344
	ds_load_b64 v[100:101], v75 offset:32648
	s_wait_dscnt 0x0
	v_fmac_f64_e32 v[2:3], v[50:51], v[100:101]
.LBB123_218:                            ;   in Loop: Header=BB123_3 Depth=1
	s_or_b32 exec_lo, exec_lo, s41
	s_delay_alu instid0(SALU_CYCLE_1) | instskip(SKIP_2) | instid1(SALU_CYCLE_1)
	s_mov_b32 s41, exec_lo
	v_readlane_b32 s42, v108, 18
	s_and_b32 s42, s41, s42
	s_mov_b32 exec_lo, s42
	s_cbranch_execz .LBB123_220
; %bb.219:                              ;   in Loop: Header=BB123_3 Depth=1
	ds_load_b64 v[50:51], v76 offset:25856
	ds_load_b64 v[100:101], v75 offset:32656
	s_wait_dscnt 0x0
	v_fmac_f64_e32 v[2:3], v[50:51], v[100:101]
.LBB123_220:                            ;   in Loop: Header=BB123_3 Depth=1
	s_or_b32 exec_lo, exec_lo, s41
	s_delay_alu instid0(SALU_CYCLE_1) | instskip(SKIP_2) | instid1(SALU_CYCLE_1)
	s_mov_b32 s41, exec_lo
	v_readlane_b32 s42, v108, 19
	s_and_b32 s42, s41, s42
	;; [unrolled: 13-line block ×10, first 2 shown]
	s_mov_b32 exec_lo, s42
	s_cbranch_execnz .LBB123_1077
; %bb.237:                              ;   in Loop: Header=BB123_3 Depth=1
	s_or_b32 exec_lo, exec_lo, s41
	s_and_saveexec_b32 s41, s4
	s_cbranch_execnz .LBB123_1078
.LBB123_238:                            ;   in Loop: Header=BB123_3 Depth=1
	s_or_b32 exec_lo, exec_lo, s41
	s_and_saveexec_b32 s41, s15
	s_cbranch_execnz .LBB123_1079
.LBB123_239:                            ;   in Loop: Header=BB123_3 Depth=1
	s_or_b32 exec_lo, exec_lo, s41
	s_and_saveexec_b32 s41, s17
	s_cbranch_execnz .LBB123_1080
.LBB123_240:                            ;   in Loop: Header=BB123_3 Depth=1
	s_or_b32 exec_lo, exec_lo, s41
	s_and_saveexec_b32 s41, s3
	s_cbranch_execz .LBB123_242
.LBB123_241:                            ;   in Loop: Header=BB123_3 Depth=1
	ds_load_b64 v[50:51], v55 offset:32512
	ds_load_b64 v[100:101], v7 offset:32760
	s_wait_dscnt 0x0
	v_fmac_f64_e32 v[2:3], v[50:51], v[100:101]
.LBB123_242:                            ;   in Loop: Header=BB123_3 Depth=1
	s_or_b32 exec_lo, exec_lo, s41
.LBB123_243:                            ;   in Loop: Header=BB123_3 Depth=1
	s_delay_alu instid0(SALU_CYCLE_1) | instskip(NEXT) | instid1(SALU_CYCLE_1)
	s_or_b32 exec_lo, exec_lo, s61
	s_mov_b32 s41, exec_lo
	v_readlane_b32 s42, v108, 2
	s_and_b32 s42, s41, s42
	s_delay_alu instid0(SALU_CYCLE_1)
	s_mov_b32 exec_lo, s42
; %bb.244:                              ;   in Loop: Header=BB123_3 Depth=1
	v_xor_b32_e32 v51, 0x80000000, v3
	v_mov_b32_e32 v50, v2
	ds_store_b64 v74, v[50:51]
; %bb.245:                              ;   in Loop: Header=BB123_3 Depth=1
	s_or_b32 exec_lo, exec_lo, s41
	s_wait_loadcnt_dscnt 0x0
	s_barrier_signal -1
	s_barrier_wait -1
	s_mov_b32 s41, exec_lo
	v_readlane_b32 s42, v108, 3
	s_and_b32 s42, s41, s42
	s_delay_alu instid0(SALU_CYCLE_1)
	s_mov_b32 exec_lo, s42
	s_cbranch_execz .LBB123_247
; %bb.246:                              ;   in Loop: Header=BB123_3 Depth=1
	ds_load_b64 v[50:51], v76 offset:24320
	ds_load_b64 v[100:101], v74
	s_wait_dscnt 0x0
	v_fma_f64 v[2:3], -v[50:51], v[100:101], v[2:3]
.LBB123_247:                            ;   in Loop: Header=BB123_3 Depth=1
	s_or_b32 exec_lo, exec_lo, s41
	s_barrier_signal -1
	s_barrier_wait -1
	s_mov_b32 s41, exec_lo
	v_readlane_b32 s42, v108, 4
	s_and_b32 s42, s41, s42
	s_delay_alu instid0(SALU_CYCLE_1)
	s_mov_b32 exec_lo, s42
; %bb.248:                              ;   in Loop: Header=BB123_3 Depth=1
	v_xor_b32_e32 v51, 0x80000000, v3
	v_mov_b32_e32 v50, v2
	ds_store_b64 v74, v[50:51]
; %bb.249:                              ;   in Loop: Header=BB123_3 Depth=1
	s_or_b32 exec_lo, exec_lo, s41
	s_wait_dscnt 0x0
	s_barrier_signal -1
	s_barrier_wait -1
	s_mov_b32 s41, exec_lo
	v_readlane_b32 s42, v108, 5
	s_and_b32 s42, s41, s42
	s_delay_alu instid0(SALU_CYCLE_1)
	s_mov_b32 exec_lo, s42
	s_cbranch_execz .LBB123_251
; %bb.250:                              ;   in Loop: Header=BB123_3 Depth=1
	ds_load_b64 v[50:51], v76 offset:23808
	ds_load_b64 v[100:101], v74
	s_wait_dscnt 0x0
	v_fma_f64 v[2:3], -v[50:51], v[100:101], v[2:3]
.LBB123_251:                            ;   in Loop: Header=BB123_3 Depth=1
	s_or_b32 exec_lo, exec_lo, s41
	s_barrier_signal -1
	s_barrier_wait -1
	s_mov_b32 s41, exec_lo
	v_readlane_b32 s42, v108, 6
	s_and_b32 s42, s41, s42
	s_delay_alu instid0(SALU_CYCLE_1)
	s_mov_b32 exec_lo, s42
; %bb.252:                              ;   in Loop: Header=BB123_3 Depth=1
	v_xor_b32_e32 v51, 0x80000000, v3
	v_mov_b32_e32 v50, v2
	ds_store_b64 v74, v[50:51]
; %bb.253:                              ;   in Loop: Header=BB123_3 Depth=1
	s_or_b32 exec_lo, exec_lo, s41
	s_wait_dscnt 0x0
	s_barrier_signal -1
	s_barrier_wait -1
	s_and_saveexec_b32 s41, s44
	s_cbranch_execz .LBB123_255
; %bb.254:                              ;   in Loop: Header=BB123_3 Depth=1
	ds_load_b64 v[50:51], v76 offset:23296
	ds_load_b64 v[100:101], v74
	s_wait_dscnt 0x0
	v_fma_f64 v[2:3], -v[50:51], v[100:101], v[2:3]
.LBB123_255:                            ;   in Loop: Header=BB123_3 Depth=1
	s_or_b32 exec_lo, exec_lo, s41
	s_barrier_signal -1
	s_barrier_wait -1
	s_and_saveexec_b32 s41, s45
; %bb.256:                              ;   in Loop: Header=BB123_3 Depth=1
	s_delay_alu instid0(VALU_DEP_1) | instskip(NEXT) | instid1(VALU_DEP_2)
	v_xor_b32_e32 v51, 0x80000000, v3
	v_mov_b32_e32 v50, v2
	ds_store_b64 v74, v[50:51]
; %bb.257:                              ;   in Loop: Header=BB123_3 Depth=1
	s_or_b32 exec_lo, exec_lo, s41
	s_wait_dscnt 0x0
	s_barrier_signal -1
	s_barrier_wait -1
	s_and_saveexec_b32 s41, s46
	s_cbranch_execz .LBB123_259
; %bb.258:                              ;   in Loop: Header=BB123_3 Depth=1
	ds_load_b64 v[50:51], v76 offset:22784
	ds_load_b64 v[100:101], v74
	s_wait_dscnt 0x0
	v_fma_f64 v[2:3], -v[50:51], v[100:101], v[2:3]
.LBB123_259:                            ;   in Loop: Header=BB123_3 Depth=1
	s_or_b32 exec_lo, exec_lo, s41
	s_barrier_signal -1
	s_barrier_wait -1
	s_and_saveexec_b32 s41, s47
; %bb.260:                              ;   in Loop: Header=BB123_3 Depth=1
	s_delay_alu instid0(VALU_DEP_1) | instskip(NEXT) | instid1(VALU_DEP_2)
	v_xor_b32_e32 v51, 0x80000000, v3
	v_mov_b32_e32 v50, v2
	ds_store_b64 v74, v[50:51]
; %bb.261:                              ;   in Loop: Header=BB123_3 Depth=1
	s_or_b32 exec_lo, exec_lo, s41
	s_wait_dscnt 0x0
	s_barrier_signal -1
	s_barrier_wait -1
	s_and_saveexec_b32 s41, s48
	s_cbranch_execz .LBB123_263
; %bb.262:                              ;   in Loop: Header=BB123_3 Depth=1
	ds_load_b64 v[50:51], v76 offset:22272
	ds_load_b64 v[100:101], v74
	s_wait_dscnt 0x0
	v_fma_f64 v[2:3], -v[50:51], v[100:101], v[2:3]
.LBB123_263:                            ;   in Loop: Header=BB123_3 Depth=1
	s_or_b32 exec_lo, exec_lo, s41
	s_barrier_signal -1
	s_barrier_wait -1
	s_and_saveexec_b32 s41, s49
; %bb.264:                              ;   in Loop: Header=BB123_3 Depth=1
	s_delay_alu instid0(VALU_DEP_1) | instskip(NEXT) | instid1(VALU_DEP_2)
	v_xor_b32_e32 v51, 0x80000000, v3
	v_mov_b32_e32 v50, v2
	ds_store_b64 v74, v[50:51]
; %bb.265:                              ;   in Loop: Header=BB123_3 Depth=1
	s_or_b32 exec_lo, exec_lo, s41
	s_wait_dscnt 0x0
	s_barrier_signal -1
	s_barrier_wait -1
	s_and_saveexec_b32 s41, s50
	s_cbranch_execz .LBB123_267
; %bb.266:                              ;   in Loop: Header=BB123_3 Depth=1
	ds_load_b64 v[50:51], v76 offset:21760
	ds_load_b64 v[100:101], v74
	s_wait_dscnt 0x0
	v_fma_f64 v[2:3], -v[50:51], v[100:101], v[2:3]
.LBB123_267:                            ;   in Loop: Header=BB123_3 Depth=1
	s_or_b32 exec_lo, exec_lo, s41
	s_barrier_signal -1
	s_barrier_wait -1
	s_and_saveexec_b32 s41, s51
; %bb.268:                              ;   in Loop: Header=BB123_3 Depth=1
	s_delay_alu instid0(VALU_DEP_1) | instskip(NEXT) | instid1(VALU_DEP_2)
	v_xor_b32_e32 v51, 0x80000000, v3
	v_mov_b32_e32 v50, v2
	ds_store_b64 v74, v[50:51]
; %bb.269:                              ;   in Loop: Header=BB123_3 Depth=1
	s_or_b32 exec_lo, exec_lo, s41
	s_wait_dscnt 0x0
	s_barrier_signal -1
	s_barrier_wait -1
	s_and_saveexec_b32 s41, s52
	s_cbranch_execz .LBB123_271
; %bb.270:                              ;   in Loop: Header=BB123_3 Depth=1
	ds_load_b64 v[50:51], v76 offset:21248
	ds_load_b64 v[100:101], v74
	s_wait_dscnt 0x0
	v_fma_f64 v[2:3], -v[50:51], v[100:101], v[2:3]
.LBB123_271:                            ;   in Loop: Header=BB123_3 Depth=1
	s_or_b32 exec_lo, exec_lo, s41
	s_barrier_signal -1
	s_barrier_wait -1
	s_and_saveexec_b32 s41, s53
; %bb.272:                              ;   in Loop: Header=BB123_3 Depth=1
	s_delay_alu instid0(VALU_DEP_1) | instskip(NEXT) | instid1(VALU_DEP_2)
	v_xor_b32_e32 v51, 0x80000000, v3
	v_mov_b32_e32 v50, v2
	ds_store_b64 v74, v[50:51]
; %bb.273:                              ;   in Loop: Header=BB123_3 Depth=1
	s_or_b32 exec_lo, exec_lo, s41
	s_wait_dscnt 0x0
	s_barrier_signal -1
	s_barrier_wait -1
	s_and_saveexec_b32 s41, s54
	s_cbranch_execz .LBB123_275
; %bb.274:                              ;   in Loop: Header=BB123_3 Depth=1
	ds_load_b64 v[50:51], v76 offset:20736
	ds_load_b64 v[100:101], v74
	s_wait_dscnt 0x0
	v_fma_f64 v[2:3], -v[50:51], v[100:101], v[2:3]
.LBB123_275:                            ;   in Loop: Header=BB123_3 Depth=1
	s_or_b32 exec_lo, exec_lo, s41
	s_barrier_signal -1
	s_barrier_wait -1
	s_and_saveexec_b32 s41, s19
; %bb.276:                              ;   in Loop: Header=BB123_3 Depth=1
	s_delay_alu instid0(VALU_DEP_1) | instskip(NEXT) | instid1(VALU_DEP_2)
	v_xor_b32_e32 v51, 0x80000000, v3
	v_mov_b32_e32 v50, v2
	ds_store_b64 v74, v[50:51]
; %bb.277:                              ;   in Loop: Header=BB123_3 Depth=1
	s_or_b32 exec_lo, exec_lo, s41
	s_wait_dscnt 0x0
	s_barrier_signal -1
	s_barrier_wait -1
	s_and_saveexec_b32 s41, s21
	s_cbranch_execz .LBB123_279
; %bb.278:                              ;   in Loop: Header=BB123_3 Depth=1
	ds_load_b64 v[50:51], v76 offset:20224
	ds_load_b64 v[100:101], v74
	s_wait_dscnt 0x0
	v_fma_f64 v[2:3], -v[50:51], v[100:101], v[2:3]
.LBB123_279:                            ;   in Loop: Header=BB123_3 Depth=1
	s_or_b32 exec_lo, exec_lo, s41
	s_barrier_signal -1
	s_barrier_wait -1
	s_and_saveexec_b32 s41, s23
; %bb.280:                              ;   in Loop: Header=BB123_3 Depth=1
	s_delay_alu instid0(VALU_DEP_1) | instskip(NEXT) | instid1(VALU_DEP_2)
	v_xor_b32_e32 v51, 0x80000000, v3
	v_mov_b32_e32 v50, v2
	ds_store_b64 v74, v[50:51]
; %bb.281:                              ;   in Loop: Header=BB123_3 Depth=1
	s_or_b32 exec_lo, exec_lo, s41
	s_wait_dscnt 0x0
	s_barrier_signal -1
	s_barrier_wait -1
	s_and_saveexec_b32 s41, s25
	s_cbranch_execz .LBB123_283
; %bb.282:                              ;   in Loop: Header=BB123_3 Depth=1
	ds_load_b64 v[50:51], v76 offset:19712
	ds_load_b64 v[100:101], v74
	s_wait_dscnt 0x0
	v_fma_f64 v[2:3], -v[50:51], v[100:101], v[2:3]
.LBB123_283:                            ;   in Loop: Header=BB123_3 Depth=1
	s_or_b32 exec_lo, exec_lo, s41
	s_barrier_signal -1
	s_barrier_wait -1
	s_and_saveexec_b32 s41, s27
; %bb.284:                              ;   in Loop: Header=BB123_3 Depth=1
	s_delay_alu instid0(VALU_DEP_1) | instskip(NEXT) | instid1(VALU_DEP_2)
	v_xor_b32_e32 v51, 0x80000000, v3
	v_mov_b32_e32 v50, v2
	ds_store_b64 v74, v[50:51]
; %bb.285:                              ;   in Loop: Header=BB123_3 Depth=1
	s_or_b32 exec_lo, exec_lo, s41
	s_wait_dscnt 0x0
	s_barrier_signal -1
	s_barrier_wait -1
	s_and_saveexec_b32 s41, s29
	s_cbranch_execz .LBB123_287
; %bb.286:                              ;   in Loop: Header=BB123_3 Depth=1
	ds_load_b64 v[50:51], v76 offset:19200
	ds_load_b64 v[100:101], v74
	s_wait_dscnt 0x0
	v_fma_f64 v[2:3], -v[50:51], v[100:101], v[2:3]
.LBB123_287:                            ;   in Loop: Header=BB123_3 Depth=1
	s_or_b32 exec_lo, exec_lo, s41
	s_barrier_signal -1
	s_barrier_wait -1
	s_and_saveexec_b32 s41, s57
; %bb.288:                              ;   in Loop: Header=BB123_3 Depth=1
	s_delay_alu instid0(VALU_DEP_1) | instskip(NEXT) | instid1(VALU_DEP_2)
	v_xor_b32_e32 v51, 0x80000000, v3
	v_mov_b32_e32 v50, v2
	ds_store_b64 v74, v[50:51]
; %bb.289:                              ;   in Loop: Header=BB123_3 Depth=1
	s_or_b32 exec_lo, exec_lo, s41
	s_wait_dscnt 0x0
	s_barrier_signal -1
	s_barrier_wait -1
	s_and_saveexec_b32 s41, s58
	s_cbranch_execz .LBB123_291
; %bb.290:                              ;   in Loop: Header=BB123_3 Depth=1
	ds_load_b64 v[50:51], v76 offset:18688
	ds_load_b64 v[100:101], v74
	s_wait_dscnt 0x0
	v_fma_f64 v[2:3], -v[50:51], v[100:101], v[2:3]
.LBB123_291:                            ;   in Loop: Header=BB123_3 Depth=1
	s_or_b32 exec_lo, exec_lo, s41
	s_barrier_signal -1
	s_barrier_wait -1
	s_and_saveexec_b32 s41, s59
; %bb.292:                              ;   in Loop: Header=BB123_3 Depth=1
	s_delay_alu instid0(VALU_DEP_1) | instskip(NEXT) | instid1(VALU_DEP_2)
	v_xor_b32_e32 v51, 0x80000000, v3
	v_mov_b32_e32 v50, v2
	ds_store_b64 v74, v[50:51]
; %bb.293:                              ;   in Loop: Header=BB123_3 Depth=1
	s_or_b32 exec_lo, exec_lo, s41
	s_wait_dscnt 0x0
	s_barrier_signal -1
	s_barrier_wait -1
	s_and_saveexec_b32 s41, s60
	s_cbranch_execz .LBB123_295
; %bb.294:                              ;   in Loop: Header=BB123_3 Depth=1
	ds_load_b64 v[50:51], v76 offset:18176
	ds_load_b64 v[100:101], v74
	s_wait_dscnt 0x0
	v_fma_f64 v[2:3], -v[50:51], v[100:101], v[2:3]
.LBB123_295:                            ;   in Loop: Header=BB123_3 Depth=1
	s_or_b32 exec_lo, exec_lo, s41
	s_barrier_signal -1
	s_barrier_wait -1
	s_and_saveexec_b32 s41, s20
; %bb.296:                              ;   in Loop: Header=BB123_3 Depth=1
	s_delay_alu instid0(VALU_DEP_1) | instskip(NEXT) | instid1(VALU_DEP_2)
	v_xor_b32_e32 v51, 0x80000000, v3
	v_mov_b32_e32 v50, v2
	ds_store_b64 v74, v[50:51]
; %bb.297:                              ;   in Loop: Header=BB123_3 Depth=1
	s_or_b32 exec_lo, exec_lo, s41
	s_wait_dscnt 0x0
	s_barrier_signal -1
	s_barrier_wait -1
	s_and_saveexec_b32 s41, s22
	s_cbranch_execz .LBB123_299
; %bb.298:                              ;   in Loop: Header=BB123_3 Depth=1
	ds_load_b64 v[50:51], v76 offset:17664
	ds_load_b64 v[100:101], v74
	s_wait_dscnt 0x0
	v_fma_f64 v[2:3], -v[50:51], v[100:101], v[2:3]
.LBB123_299:                            ;   in Loop: Header=BB123_3 Depth=1
	s_or_b32 exec_lo, exec_lo, s41
	s_barrier_signal -1
	s_barrier_wait -1
	s_and_saveexec_b32 s41, s24
; %bb.300:                              ;   in Loop: Header=BB123_3 Depth=1
	s_delay_alu instid0(VALU_DEP_1) | instskip(NEXT) | instid1(VALU_DEP_2)
	v_xor_b32_e32 v51, 0x80000000, v3
	v_mov_b32_e32 v50, v2
	ds_store_b64 v74, v[50:51]
; %bb.301:                              ;   in Loop: Header=BB123_3 Depth=1
	s_or_b32 exec_lo, exec_lo, s41
	s_wait_dscnt 0x0
	s_barrier_signal -1
	s_barrier_wait -1
	s_and_saveexec_b32 s41, s26
	s_cbranch_execz .LBB123_303
; %bb.302:                              ;   in Loop: Header=BB123_3 Depth=1
	ds_load_b64 v[50:51], v7 offset:17152
	ds_load_b64 v[100:101], v74
	s_wait_dscnt 0x0
	v_fma_f64 v[2:3], -v[50:51], v[100:101], v[2:3]
.LBB123_303:                            ;   in Loop: Header=BB123_3 Depth=1
	s_or_b32 exec_lo, exec_lo, s41
	s_barrier_signal -1
	s_barrier_wait -1
	s_and_saveexec_b32 s41, s26
; %bb.304:                              ;   in Loop: Header=BB123_3 Depth=1
	s_delay_alu instid0(VALU_DEP_1) | instskip(NEXT) | instid1(VALU_DEP_2)
	v_xor_b32_e32 v51, 0x80000000, v3
	v_mov_b32_e32 v50, v2
	ds_store_b64 v74, v[50:51]
; %bb.305:                              ;   in Loop: Header=BB123_3 Depth=1
	s_or_b32 exec_lo, exec_lo, s41
	s_wait_dscnt 0x0
	s_barrier_signal -1
	s_barrier_wait -1
	s_barrier_signal -1
	s_barrier_wait -1
	s_and_saveexec_b32 s41, s5
; %bb.306:                              ;   in Loop: Header=BB123_3 Depth=1
	ds_store_b64 v78, v[2:3] offset:32512
; %bb.307:                              ;   in Loop: Header=BB123_3 Depth=1
	s_or_b32 exec_lo, exec_lo, s41
	s_wait_dscnt 0x0
	s_barrier_signal -1
	s_barrier_wait -1
	s_barrier_signal -1
	s_barrier_wait -1
	s_and_saveexec_b32 s41, s28
	s_cbranch_execz .LBB123_309
; %bb.308:                              ;   in Loop: Header=BB123_3 Depth=1
	ds_load_b64 v[2:3], v57 offset:24832
	s_wait_dscnt 0x0
	ds_store_b64 v61, v[2:3] offset:16768
	ds_load_b64 v[2:3], v57 offset:24840
	s_wait_dscnt 0x0
	ds_store_b64 v61, v[2:3] offset:17280
	;; [unrolled: 3-line block ×16, first 2 shown]
.LBB123_309:                            ;   in Loop: Header=BB123_3 Depth=1
	s_or_b32 exec_lo, exec_lo, s41
	s_wait_dscnt 0x0
	s_barrier_signal -1
	s_barrier_wait -1
	s_and_saveexec_b32 s41, s10
	s_cbranch_execz .LBB123_311
; %bb.310:                              ;   in Loop: Header=BB123_3 Depth=1
	ds_load_b64 v[2:3], v7 offset:24432
	v_mov_b32_e32 v0, v7
	ds_store_b64 v7, v[34:35] offset:24440
	s_wait_dscnt 0x1
	ds_store_b128 v7, v[0:3] offset:23920
.LBB123_311:                            ;   in Loop: Header=BB123_3 Depth=1
	s_or_b32 exec_lo, exec_lo, s41
	v_mov_b64_e32 v[2:3], 0
	s_wait_dscnt 0x0
	s_barrier_signal -1
	s_barrier_wait -1
	global_wb scope:SCOPE_DEV
	s_wait_storecnt 0x0
	global_inv scope:SCOPE_DEV
	s_and_saveexec_b32 s41, s1
	s_cbranch_execz .LBB123_315
; %bb.312:                              ;   in Loop: Header=BB123_3 Depth=1
	ds_load_b64 v[2:3], v54 offset:23904
	ds_load_b64 v[50:51], v53 offset:24432
	s_wait_dscnt 0x0
	v_fma_f64 v[2:3], v[2:3], v[50:51], 0
	s_and_saveexec_b32 s42, s11
	s_cbranch_execz .LBB123_314
; %bb.313:                              ;   in Loop: Header=BB123_3 Depth=1
	ds_load_b64 v[50:51], v55 offset:24416
	ds_load_b64 v[100:101], v7 offset:24440
	s_wait_dscnt 0x0
	v_fmac_f64_e32 v[2:3], v[50:51], v[100:101]
.LBB123_314:                            ;   in Loop: Header=BB123_3 Depth=1
	s_or_b32 exec_lo, exec_lo, s42
.LBB123_315:                            ;   in Loop: Header=BB123_3 Depth=1
	s_delay_alu instid0(SALU_CYCLE_1)
	s_or_b32 exec_lo, exec_lo, s41
	s_and_saveexec_b32 s41, s88
; %bb.316:                              ;   in Loop: Header=BB123_3 Depth=1
	s_delay_alu instid0(VALU_DEP_1) | instskip(NEXT) | instid1(VALU_DEP_2)
	v_xor_b32_e32 v51, 0x80000000, v3
	v_mov_b32_e32 v50, v2
	ds_store_b64 v52, v[50:51]
; %bb.317:                              ;   in Loop: Header=BB123_3 Depth=1
	s_or_b32 exec_lo, exec_lo, s41
	s_wait_loadcnt_dscnt 0x0
	s_barrier_signal -1
	s_barrier_wait -1
	s_and_saveexec_b32 s41, s89
	s_cbranch_execz .LBB123_319
; %bb.318:                              ;   in Loop: Header=BB123_3 Depth=1
	ds_load_b64 v[50:51], v7 offset:23392
	ds_load_b64 v[100:101], v52
	s_wait_dscnt 0x0
	v_fma_f64 v[2:3], -v[50:51], v[100:101], v[2:3]
.LBB123_319:                            ;   in Loop: Header=BB123_3 Depth=1
	s_or_b32 exec_lo, exec_lo, s41
	s_barrier_signal -1
	s_barrier_wait -1
	s_and_saveexec_b32 s41, s89
; %bb.320:                              ;   in Loop: Header=BB123_3 Depth=1
	s_delay_alu instid0(VALU_DEP_1) | instskip(NEXT) | instid1(VALU_DEP_2)
	v_xor_b32_e32 v51, 0x80000000, v3
	v_mov_b32_e32 v50, v2
	ds_store_b64 v52, v[50:51]
; %bb.321:                              ;   in Loop: Header=BB123_3 Depth=1
	s_or_b32 exec_lo, exec_lo, s41
	s_wait_dscnt 0x0
	s_barrier_signal -1
	s_barrier_wait -1
	s_barrier_signal -1
	s_barrier_wait -1
	s_and_saveexec_b32 s41, s1
; %bb.322:                              ;   in Loop: Header=BB123_3 Depth=1
	ds_store_b64 v56, v[2:3] offset:24416
; %bb.323:                              ;   in Loop: Header=BB123_3 Depth=1
	s_or_b32 exec_lo, exec_lo, s41
	s_wait_dscnt 0x0
	s_barrier_signal -1
	s_barrier_wait -1
	s_barrier_signal -1
	s_barrier_wait -1
	s_and_saveexec_b32 s41, s90
	s_cbranch_execz .LBB123_325
; %bb.324:                              ;   in Loop: Header=BB123_3 Depth=1
	ds_load_b64 v[2:3], v57 offset:23904
	s_wait_dscnt 0x0
	ds_store_b64 v55, v[2:3] offset:22896
	ds_load_b64 v[2:3], v57 offset:23912
	s_wait_dscnt 0x0
	ds_store_b64 v55, v[2:3] offset:23408
.LBB123_325:                            ;   in Loop: Header=BB123_3 Depth=1
	s_or_b32 exec_lo, exec_lo, s41
	s_wait_dscnt 0x0
	s_barrier_signal -1
	s_barrier_wait -1
	s_and_saveexec_b32 s41, s10
	s_cbranch_execz .LBB123_327
; %bb.326:                              ;   in Loop: Header=BB123_3 Depth=1
	ds_load_b64 v[2:3], v7 offset:23392
	v_mov_b32_e32 v0, v7
	ds_store_b64 v7, v[34:35] offset:23400
	s_wait_dscnt 0x1
	ds_store_b128 v7, v[0:3] offset:22880
.LBB123_327:                            ;   in Loop: Header=BB123_3 Depth=1
	s_or_b32 exec_lo, exec_lo, s41
	v_mov_b64_e32 v[2:3], 0
	s_wait_dscnt 0x0
	s_barrier_signal -1
	s_barrier_wait -1
	global_wb scope:SCOPE_DEV
	s_wait_storecnt 0x0
	global_inv scope:SCOPE_DEV
	s_and_saveexec_b32 s41, s3
	s_cbranch_execz .LBB123_333
; %bb.328:                              ;   in Loop: Header=BB123_3 Depth=1
	ds_load_b64 v[2:3], v60 offset:22848
	ds_load_b64 v[50:51], v59 offset:24416
	s_wait_dscnt 0x0
	v_fma_f64 v[2:3], v[2:3], v[50:51], 0
	s_and_saveexec_b32 s42, s12
	s_cbranch_execnz .LBB123_1081
; %bb.329:                              ;   in Loop: Header=BB123_3 Depth=1
	s_or_b32 exec_lo, exec_lo, s42
	s_and_saveexec_b32 s42, s13
	s_cbranch_execnz .LBB123_1082
.LBB123_330:                            ;   in Loop: Header=BB123_3 Depth=1
	s_or_b32 exec_lo, exec_lo, s42
	s_and_saveexec_b32 s42, s1
	s_cbranch_execz .LBB123_332
.LBB123_331:                            ;   in Loop: Header=BB123_3 Depth=1
	ds_load_b64 v[50:51], v61 offset:24384
	ds_load_b64 v[100:101], v7 offset:24440
	s_wait_dscnt 0x0
	v_fmac_f64_e32 v[2:3], v[50:51], v[100:101]
.LBB123_332:                            ;   in Loop: Header=BB123_3 Depth=1
	s_or_b32 exec_lo, exec_lo, s42
.LBB123_333:                            ;   in Loop: Header=BB123_3 Depth=1
	s_delay_alu instid0(SALU_CYCLE_1)
	s_or_b32 exec_lo, exec_lo, s41
	s_and_saveexec_b32 s41, s91
; %bb.334:                              ;   in Loop: Header=BB123_3 Depth=1
	s_delay_alu instid0(VALU_DEP_1) | instskip(NEXT) | instid1(VALU_DEP_2)
	v_xor_b32_e32 v51, 0x80000000, v3
	v_mov_b32_e32 v50, v2
	ds_store_b64 v58, v[50:51]
; %bb.335:                              ;   in Loop: Header=BB123_3 Depth=1
	s_or_b32 exec_lo, exec_lo, s41
	s_wait_loadcnt_dscnt 0x0
	s_barrier_signal -1
	s_barrier_wait -1
	s_and_saveexec_b32 s41, s92
	s_cbranch_execz .LBB123_337
; %bb.336:                              ;   in Loop: Header=BB123_3 Depth=1
	ds_load_b64 v[50:51], v60 offset:22336
	ds_load_b64 v[100:101], v58
	s_wait_dscnt 0x0
	v_fma_f64 v[2:3], -v[50:51], v[100:101], v[2:3]
.LBB123_337:                            ;   in Loop: Header=BB123_3 Depth=1
	s_or_b32 exec_lo, exec_lo, s41
	s_barrier_signal -1
	s_barrier_wait -1
	s_and_saveexec_b32 s41, s93
; %bb.338:                              ;   in Loop: Header=BB123_3 Depth=1
	s_delay_alu instid0(VALU_DEP_1) | instskip(NEXT) | instid1(VALU_DEP_2)
	v_xor_b32_e32 v51, 0x80000000, v3
	v_mov_b32_e32 v50, v2
	ds_store_b64 v58, v[50:51]
; %bb.339:                              ;   in Loop: Header=BB123_3 Depth=1
	s_or_b32 exec_lo, exec_lo, s41
	s_wait_dscnt 0x0
	s_barrier_signal -1
	s_barrier_wait -1
	s_and_saveexec_b32 s41, s94
	s_cbranch_execz .LBB123_341
; %bb.340:                              ;   in Loop: Header=BB123_3 Depth=1
	ds_load_b64 v[50:51], v60 offset:21824
	ds_load_b64 v[100:101], v58
	s_wait_dscnt 0x0
	v_fma_f64 v[2:3], -v[50:51], v[100:101], v[2:3]
.LBB123_341:                            ;   in Loop: Header=BB123_3 Depth=1
	s_or_b32 exec_lo, exec_lo, s41
	s_barrier_signal -1
	s_barrier_wait -1
	s_and_saveexec_b32 s41, s95
; %bb.342:                              ;   in Loop: Header=BB123_3 Depth=1
	s_delay_alu instid0(VALU_DEP_1) | instskip(NEXT) | instid1(VALU_DEP_2)
	v_xor_b32_e32 v51, 0x80000000, v3
	v_mov_b32_e32 v50, v2
	ds_store_b64 v58, v[50:51]
; %bb.343:                              ;   in Loop: Header=BB123_3 Depth=1
	s_or_b32 exec_lo, exec_lo, s41
	s_wait_dscnt 0x0
	;; [unrolled: 22-line block ×3, first 2 shown]
	s_barrier_signal -1
	s_barrier_wait -1
	s_barrier_signal -1
	s_barrier_wait -1
	s_and_saveexec_b32 s41, s3
; %bb.348:                              ;   in Loop: Header=BB123_3 Depth=1
	ds_store_b64 v63, v[2:3] offset:24384
; %bb.349:                              ;   in Loop: Header=BB123_3 Depth=1
	s_or_b32 exec_lo, exec_lo, s41
	s_wait_dscnt 0x0
	s_barrier_signal -1
	s_barrier_wait -1
	s_barrier_signal -1
	s_barrier_wait -1
	s_and_saveexec_b32 s41, s97
	s_cbranch_execz .LBB123_351
; %bb.350:                              ;   in Loop: Header=BB123_3 Depth=1
	ds_load_b64 v[2:3], v62 offset:22848
	s_wait_dscnt 0x0
	ds_store_b64 v64, v[2:3] offset:20832
	ds_load_b64 v[2:3], v62 offset:22856
	s_wait_dscnt 0x0
	ds_store_b64 v64, v[2:3] offset:21344
	;; [unrolled: 3-line block ×4, first 2 shown]
.LBB123_351:                            ;   in Loop: Header=BB123_3 Depth=1
	s_or_b32 exec_lo, exec_lo, s41
	s_wait_dscnt 0x0
	s_barrier_signal -1
	s_barrier_wait -1
	s_and_saveexec_b32 s41, s10
	s_cbranch_execz .LBB123_353
; %bb.352:                              ;   in Loop: Header=BB123_3 Depth=1
	ds_load_b64 v[2:3], v7 offset:22352
	v_mov_b32_e32 v0, v7
	ds_store_b64 v7, v[34:35] offset:22360
	s_wait_dscnt 0x1
	ds_store_b128 v7, v[0:3] offset:21840
.LBB123_353:                            ;   in Loop: Header=BB123_3 Depth=1
	s_or_b32 exec_lo, exec_lo, s41
	v_mov_b64_e32 v[2:3], 0
	s_wait_dscnt 0x0
	s_barrier_signal -1
	s_barrier_wait -1
	global_wb scope:SCOPE_DEV
	s_wait_storecnt 0x0
	global_inv scope:SCOPE_DEV
	s_and_saveexec_b32 s41, s1
	s_cbranch_execz .LBB123_357
; %bb.354:                              ;   in Loop: Header=BB123_3 Depth=1
	ds_load_b64 v[2:3], v54 offset:21824
	ds_load_b64 v[50:51], v53 offset:22352
	s_wait_dscnt 0x0
	v_fma_f64 v[2:3], v[2:3], v[50:51], 0
	s_and_saveexec_b32 s42, s11
	s_cbranch_execz .LBB123_356
; %bb.355:                              ;   in Loop: Header=BB123_3 Depth=1
	ds_load_b64 v[50:51], v64 offset:22336
	ds_load_b64 v[100:101], v7 offset:22360
	s_wait_dscnt 0x0
	v_fmac_f64_e32 v[2:3], v[50:51], v[100:101]
.LBB123_356:                            ;   in Loop: Header=BB123_3 Depth=1
	s_or_b32 exec_lo, exec_lo, s42
.LBB123_357:                            ;   in Loop: Header=BB123_3 Depth=1
	s_delay_alu instid0(SALU_CYCLE_1)
	s_or_b32 exec_lo, exec_lo, s41
	s_and_saveexec_b32 s41, s88
; %bb.358:                              ;   in Loop: Header=BB123_3 Depth=1
	s_delay_alu instid0(VALU_DEP_1) | instskip(NEXT) | instid1(VALU_DEP_2)
	v_xor_b32_e32 v51, 0x80000000, v3
	v_mov_b32_e32 v50, v2
	ds_store_b64 v52, v[50:51]
; %bb.359:                              ;   in Loop: Header=BB123_3 Depth=1
	s_or_b32 exec_lo, exec_lo, s41
	s_wait_loadcnt_dscnt 0x0
	s_barrier_signal -1
	s_barrier_wait -1
	s_and_saveexec_b32 s41, s89
	s_cbranch_execz .LBB123_361
; %bb.360:                              ;   in Loop: Header=BB123_3 Depth=1
	ds_load_b64 v[50:51], v7 offset:21312
	ds_load_b64 v[100:101], v52
	s_wait_dscnt 0x0
	v_fma_f64 v[2:3], -v[50:51], v[100:101], v[2:3]
.LBB123_361:                            ;   in Loop: Header=BB123_3 Depth=1
	s_or_b32 exec_lo, exec_lo, s41
	s_barrier_signal -1
	s_barrier_wait -1
	s_and_saveexec_b32 s41, s89
; %bb.362:                              ;   in Loop: Header=BB123_3 Depth=1
	s_delay_alu instid0(VALU_DEP_1) | instskip(NEXT) | instid1(VALU_DEP_2)
	v_xor_b32_e32 v51, 0x80000000, v3
	v_mov_b32_e32 v50, v2
	ds_store_b64 v52, v[50:51]
; %bb.363:                              ;   in Loop: Header=BB123_3 Depth=1
	s_or_b32 exec_lo, exec_lo, s41
	s_wait_dscnt 0x0
	s_barrier_signal -1
	s_barrier_wait -1
	s_barrier_signal -1
	s_barrier_wait -1
	s_and_saveexec_b32 s41, s1
; %bb.364:                              ;   in Loop: Header=BB123_3 Depth=1
	ds_store_b64 v56, v[2:3] offset:22336
; %bb.365:                              ;   in Loop: Header=BB123_3 Depth=1
	s_or_b32 exec_lo, exec_lo, s41
	s_wait_dscnt 0x0
	s_barrier_signal -1
	s_barrier_wait -1
	s_barrier_signal -1
	s_barrier_wait -1
	s_and_saveexec_b32 s41, s90
	s_cbranch_execz .LBB123_367
; %bb.366:                              ;   in Loop: Header=BB123_3 Depth=1
	ds_load_b64 v[2:3], v65 offset:21824
	s_wait_dscnt 0x0
	ds_store_b64 v64, v[2:3] offset:20816
	ds_load_b64 v[2:3], v65 offset:21832
	s_wait_dscnt 0x0
	ds_store_b64 v64, v[2:3] offset:21328
.LBB123_367:                            ;   in Loop: Header=BB123_3 Depth=1
	s_or_b32 exec_lo, exec_lo, s41
	s_wait_dscnt 0x0
	s_barrier_signal -1
	s_barrier_wait -1
	s_and_saveexec_b32 s41, s10
	s_cbranch_execz .LBB123_369
; %bb.368:                              ;   in Loop: Header=BB123_3 Depth=1
	ds_load_b64 v[2:3], v7 offset:21312
	v_mov_b32_e32 v0, v7
	ds_store_b64 v7, v[34:35] offset:21320
	s_wait_dscnt 0x1
	ds_store_b128 v7, v[0:3] offset:20800
.LBB123_369:                            ;   in Loop: Header=BB123_3 Depth=1
	s_or_b32 exec_lo, exec_lo, s41
	v_mov_b64_e32 v[2:3], 0
	s_wait_dscnt 0x0
	s_barrier_signal -1
	s_barrier_wait -1
	global_wb scope:SCOPE_DEV
	s_wait_storecnt 0x0
	global_inv scope:SCOPE_DEV
	s_and_saveexec_b32 s41, s4
	s_cbranch_execz .LBB123_379
; %bb.370:                              ;   in Loop: Header=BB123_3 Depth=1
	ds_load_b64 v[2:3], v68 offset:20736
	ds_load_b64 v[50:51], v67 offset:24384
	s_wait_dscnt 0x0
	v_fma_f64 v[2:3], v[2:3], v[50:51], 0
	s_and_saveexec_b32 s42, s14
	s_cbranch_execnz .LBB123_1083
; %bb.371:                              ;   in Loop: Header=BB123_3 Depth=1
	s_or_b32 exec_lo, exec_lo, s42
	s_and_saveexec_b32 s42, s15
	s_cbranch_execnz .LBB123_1084
.LBB123_372:                            ;   in Loop: Header=BB123_3 Depth=1
	s_or_b32 exec_lo, exec_lo, s42
	s_and_saveexec_b32 s42, s16
	s_cbranch_execnz .LBB123_1085
.LBB123_373:                            ;   in Loop: Header=BB123_3 Depth=1
	s_or_b32 exec_lo, exec_lo, s42
	s_and_saveexec_b32 s42, s17
	s_cbranch_execnz .LBB123_1086
.LBB123_374:                            ;   in Loop: Header=BB123_3 Depth=1
	s_or_b32 exec_lo, exec_lo, s42
	s_and_saveexec_b32 s42, s18
	s_cbranch_execnz .LBB123_1087
.LBB123_375:                            ;   in Loop: Header=BB123_3 Depth=1
	s_or_b32 exec_lo, exec_lo, s42
	s_and_saveexec_b32 s42, s3
	s_cbranch_execnz .LBB123_1088
.LBB123_376:                            ;   in Loop: Header=BB123_3 Depth=1
	s_or_b32 exec_lo, exec_lo, s42
	s_and_saveexec_b32 s42, s13
	s_cbranch_execz .LBB123_378
.LBB123_377:                            ;   in Loop: Header=BB123_3 Depth=1
	ds_load_b64 v[50:51], v69 offset:24320
	ds_load_b64 v[100:101], v7 offset:24440
	s_wait_dscnt 0x0
	v_fmac_f64_e32 v[2:3], v[50:51], v[100:101]
.LBB123_378:                            ;   in Loop: Header=BB123_3 Depth=1
	s_or_b32 exec_lo, exec_lo, s42
.LBB123_379:                            ;   in Loop: Header=BB123_3 Depth=1
	s_delay_alu instid0(SALU_CYCLE_1)
	s_or_b32 exec_lo, exec_lo, s41
	s_and_saveexec_b32 s41, s98
; %bb.380:                              ;   in Loop: Header=BB123_3 Depth=1
	s_delay_alu instid0(VALU_DEP_1) | instskip(NEXT) | instid1(VALU_DEP_2)
	v_xor_b32_e32 v51, 0x80000000, v3
	v_mov_b32_e32 v50, v2
	ds_store_b64 v66, v[50:51]
; %bb.381:                              ;   in Loop: Header=BB123_3 Depth=1
	s_or_b32 exec_lo, exec_lo, s41
	s_wait_loadcnt_dscnt 0x0
	s_barrier_signal -1
	s_barrier_wait -1
	s_and_saveexec_b32 s41, s99
	s_cbranch_execz .LBB123_383
; %bb.382:                              ;   in Loop: Header=BB123_3 Depth=1
	ds_load_b64 v[50:51], v68 offset:20224
	ds_load_b64 v[100:101], v66
	s_wait_dscnt 0x0
	v_fma_f64 v[2:3], -v[50:51], v[100:101], v[2:3]
.LBB123_383:                            ;   in Loop: Header=BB123_3 Depth=1
	s_or_b32 exec_lo, exec_lo, s41
	s_barrier_signal -1
	s_barrier_wait -1
	s_and_saveexec_b32 s41, s100
; %bb.384:                              ;   in Loop: Header=BB123_3 Depth=1
	s_delay_alu instid0(VALU_DEP_1) | instskip(NEXT) | instid1(VALU_DEP_2)
	v_xor_b32_e32 v51, 0x80000000, v3
	v_mov_b32_e32 v50, v2
	ds_store_b64 v66, v[50:51]
; %bb.385:                              ;   in Loop: Header=BB123_3 Depth=1
	s_or_b32 exec_lo, exec_lo, s41
	s_wait_dscnt 0x0
	s_barrier_signal -1
	s_barrier_wait -1
	s_and_saveexec_b32 s41, s101
	s_cbranch_execz .LBB123_387
; %bb.386:                              ;   in Loop: Header=BB123_3 Depth=1
	ds_load_b64 v[50:51], v68 offset:19712
	ds_load_b64 v[100:101], v66
	s_wait_dscnt 0x0
	v_fma_f64 v[2:3], -v[50:51], v[100:101], v[2:3]
.LBB123_387:                            ;   in Loop: Header=BB123_3 Depth=1
	s_or_b32 exec_lo, exec_lo, s41
	s_barrier_signal -1
	s_barrier_wait -1
	s_and_saveexec_b32 s41, s102
; %bb.388:                              ;   in Loop: Header=BB123_3 Depth=1
	s_delay_alu instid0(VALU_DEP_1) | instskip(NEXT) | instid1(VALU_DEP_2)
	v_xor_b32_e32 v51, 0x80000000, v3
	v_mov_b32_e32 v50, v2
	ds_store_b64 v66, v[50:51]
; %bb.389:                              ;   in Loop: Header=BB123_3 Depth=1
	s_or_b32 exec_lo, exec_lo, s41
	s_wait_dscnt 0x0
	s_barrier_signal -1
	s_barrier_wait -1
	s_and_saveexec_b32 s41, s103
	s_cbranch_execz .LBB123_391
; %bb.390:                              ;   in Loop: Header=BB123_3 Depth=1
	ds_load_b64 v[50:51], v68 offset:19200
	ds_load_b64 v[100:101], v66
	s_wait_dscnt 0x0
	v_fma_f64 v[2:3], -v[50:51], v[100:101], v[2:3]
.LBB123_391:                            ;   in Loop: Header=BB123_3 Depth=1
	s_or_b32 exec_lo, exec_lo, s41
	s_barrier_signal -1
	s_barrier_wait -1
	s_and_saveexec_b32 s41, s104
; %bb.392:                              ;   in Loop: Header=BB123_3 Depth=1
	s_delay_alu instid0(VALU_DEP_1) | instskip(NEXT) | instid1(VALU_DEP_2)
	v_xor_b32_e32 v51, 0x80000000, v3
	v_mov_b32_e32 v50, v2
	ds_store_b64 v66, v[50:51]
; %bb.393:                              ;   in Loop: Header=BB123_3 Depth=1
	s_or_b32 exec_lo, exec_lo, s41
	s_wait_dscnt 0x0
	s_barrier_signal -1
	s_barrier_wait -1
	s_and_saveexec_b32 s41, vcc_hi
	s_cbranch_execz .LBB123_395
; %bb.394:                              ;   in Loop: Header=BB123_3 Depth=1
	ds_load_b64 v[50:51], v68 offset:18688
	ds_load_b64 v[100:101], v66
	s_wait_dscnt 0x0
	v_fma_f64 v[2:3], -v[50:51], v[100:101], v[2:3]
.LBB123_395:                            ;   in Loop: Header=BB123_3 Depth=1
	s_or_b32 exec_lo, exec_lo, s41
	s_barrier_signal -1
	s_barrier_wait -1
	s_and_saveexec_b32 s41, s31
; %bb.396:                              ;   in Loop: Header=BB123_3 Depth=1
	s_delay_alu instid0(VALU_DEP_1) | instskip(NEXT) | instid1(VALU_DEP_2)
	v_xor_b32_e32 v51, 0x80000000, v3
	v_mov_b32_e32 v50, v2
	ds_store_b64 v66, v[50:51]
; %bb.397:                              ;   in Loop: Header=BB123_3 Depth=1
	s_or_b32 exec_lo, exec_lo, s41
	s_wait_dscnt 0x0
	s_barrier_signal -1
	s_barrier_wait -1
	s_and_saveexec_b32 s41, s33
	s_cbranch_execz .LBB123_399
; %bb.398:                              ;   in Loop: Header=BB123_3 Depth=1
	ds_load_b64 v[50:51], v68 offset:18176
	ds_load_b64 v[100:101], v66
	s_wait_dscnt 0x0
	v_fma_f64 v[2:3], -v[50:51], v[100:101], v[2:3]
.LBB123_399:                            ;   in Loop: Header=BB123_3 Depth=1
	s_or_b32 exec_lo, exec_lo, s41
	s_barrier_signal -1
	s_barrier_wait -1
	s_and_saveexec_b32 s41, s34
; %bb.400:                              ;   in Loop: Header=BB123_3 Depth=1
	s_delay_alu instid0(VALU_DEP_1) | instskip(NEXT) | instid1(VALU_DEP_2)
	v_xor_b32_e32 v51, 0x80000000, v3
	v_mov_b32_e32 v50, v2
	ds_store_b64 v66, v[50:51]
; %bb.401:                              ;   in Loop: Header=BB123_3 Depth=1
	s_or_b32 exec_lo, exec_lo, s41
	s_wait_dscnt 0x0
	s_barrier_signal -1
	s_barrier_wait -1
	s_and_saveexec_b32 s41, s35
	;; [unrolled: 22-line block ×3, first 2 shown]
	s_cbranch_execz .LBB123_407
; %bb.406:                              ;   in Loop: Header=BB123_3 Depth=1
	ds_load_b64 v[50:51], v7 offset:17152
	ds_load_b64 v[100:101], v66
	s_wait_dscnt 0x0
	v_fma_f64 v[2:3], -v[50:51], v[100:101], v[2:3]
.LBB123_407:                            ;   in Loop: Header=BB123_3 Depth=1
	s_or_b32 exec_lo, exec_lo, s41
	s_barrier_signal -1
	s_barrier_wait -1
	s_and_saveexec_b32 s41, s37
; %bb.408:                              ;   in Loop: Header=BB123_3 Depth=1
	s_delay_alu instid0(VALU_DEP_1) | instskip(NEXT) | instid1(VALU_DEP_2)
	v_xor_b32_e32 v51, 0x80000000, v3
	v_mov_b32_e32 v50, v2
	ds_store_b64 v66, v[50:51]
; %bb.409:                              ;   in Loop: Header=BB123_3 Depth=1
	s_or_b32 exec_lo, exec_lo, s41
	s_wait_dscnt 0x0
	s_barrier_signal -1
	s_barrier_wait -1
	s_barrier_signal -1
	s_barrier_wait -1
	s_and_saveexec_b32 s41, s4
; %bb.410:                              ;   in Loop: Header=BB123_3 Depth=1
	ds_store_b64 v72, v[2:3] offset:24320
; %bb.411:                              ;   in Loop: Header=BB123_3 Depth=1
	s_or_b32 exec_lo, exec_lo, s41
	s_wait_dscnt 0x0
	s_barrier_signal -1
	s_barrier_wait -1
	s_barrier_signal -1
	s_barrier_wait -1
	s_and_saveexec_b32 s41, s38
	s_cbranch_execz .LBB123_413
; %bb.412:                              ;   in Loop: Header=BB123_3 Depth=1
	ds_load_b64 v[2:3], v70 offset:20736
	s_wait_dscnt 0x0
	ds_store_b64 v71, v[2:3] offset:16704
	ds_load_b64 v[2:3], v70 offset:20744
	s_wait_dscnt 0x0
	ds_store_b64 v71, v[2:3] offset:17216
	;; [unrolled: 3-line block ×8, first 2 shown]
.LBB123_413:                            ;   in Loop: Header=BB123_3 Depth=1
	s_or_b32 exec_lo, exec_lo, s41
	s_wait_dscnt 0x0
	s_barrier_signal -1
	s_barrier_wait -1
	s_and_saveexec_b32 s41, s10
	s_cbranch_execz .LBB123_415
; %bb.414:                              ;   in Loop: Header=BB123_3 Depth=1
	ds_load_b64 v[2:3], v7 offset:20272
	v_mov_b32_e32 v0, v7
	ds_store_b64 v7, v[34:35] offset:20280
	s_wait_dscnt 0x1
	ds_store_b128 v7, v[0:3] offset:19760
.LBB123_415:                            ;   in Loop: Header=BB123_3 Depth=1
	s_or_b32 exec_lo, exec_lo, s41
	v_mov_b64_e32 v[2:3], 0
	s_wait_dscnt 0x0
	s_barrier_signal -1
	s_barrier_wait -1
	global_wb scope:SCOPE_DEV
	s_wait_storecnt 0x0
	global_inv scope:SCOPE_DEV
	s_and_saveexec_b32 s41, s1
	s_cbranch_execz .LBB123_419
; %bb.416:                              ;   in Loop: Header=BB123_3 Depth=1
	ds_load_b64 v[2:3], v54 offset:19744
	ds_load_b64 v[50:51], v53 offset:20272
	s_wait_dscnt 0x0
	v_fma_f64 v[2:3], v[2:3], v[50:51], 0
	s_and_saveexec_b32 s42, s11
	s_cbranch_execz .LBB123_418
; %bb.417:                              ;   in Loop: Header=BB123_3 Depth=1
	ds_load_b64 v[50:51], v71 offset:20256
	ds_load_b64 v[100:101], v7 offset:20280
	s_wait_dscnt 0x0
	v_fmac_f64_e32 v[2:3], v[50:51], v[100:101]
.LBB123_418:                            ;   in Loop: Header=BB123_3 Depth=1
	s_or_b32 exec_lo, exec_lo, s42
.LBB123_419:                            ;   in Loop: Header=BB123_3 Depth=1
	s_delay_alu instid0(SALU_CYCLE_1)
	s_or_b32 exec_lo, exec_lo, s41
	s_and_saveexec_b32 s41, s88
; %bb.420:                              ;   in Loop: Header=BB123_3 Depth=1
	s_delay_alu instid0(VALU_DEP_1) | instskip(NEXT) | instid1(VALU_DEP_2)
	v_xor_b32_e32 v51, 0x80000000, v3
	v_mov_b32_e32 v50, v2
	ds_store_b64 v52, v[50:51]
; %bb.421:                              ;   in Loop: Header=BB123_3 Depth=1
	s_or_b32 exec_lo, exec_lo, s41
	s_wait_loadcnt_dscnt 0x0
	s_barrier_signal -1
	s_barrier_wait -1
	s_and_saveexec_b32 s41, s89
	s_cbranch_execz .LBB123_423
; %bb.422:                              ;   in Loop: Header=BB123_3 Depth=1
	ds_load_b64 v[50:51], v7 offset:19232
	ds_load_b64 v[100:101], v52
	s_wait_dscnt 0x0
	v_fma_f64 v[2:3], -v[50:51], v[100:101], v[2:3]
.LBB123_423:                            ;   in Loop: Header=BB123_3 Depth=1
	s_or_b32 exec_lo, exec_lo, s41
	s_barrier_signal -1
	s_barrier_wait -1
	s_and_saveexec_b32 s41, s89
; %bb.424:                              ;   in Loop: Header=BB123_3 Depth=1
	s_delay_alu instid0(VALU_DEP_1) | instskip(NEXT) | instid1(VALU_DEP_2)
	v_xor_b32_e32 v51, 0x80000000, v3
	v_mov_b32_e32 v50, v2
	ds_store_b64 v52, v[50:51]
; %bb.425:                              ;   in Loop: Header=BB123_3 Depth=1
	s_or_b32 exec_lo, exec_lo, s41
	s_wait_dscnt 0x0
	s_barrier_signal -1
	s_barrier_wait -1
	s_barrier_signal -1
	s_barrier_wait -1
	s_and_saveexec_b32 s41, s1
; %bb.426:                              ;   in Loop: Header=BB123_3 Depth=1
	ds_store_b64 v56, v[2:3] offset:20256
; %bb.427:                              ;   in Loop: Header=BB123_3 Depth=1
	s_or_b32 exec_lo, exec_lo, s41
	s_wait_dscnt 0x0
	s_barrier_signal -1
	s_barrier_wait -1
	s_barrier_signal -1
	s_barrier_wait -1
	s_and_saveexec_b32 s41, s90
	s_cbranch_execz .LBB123_429
; %bb.428:                              ;   in Loop: Header=BB123_3 Depth=1
	ds_load_b64 v[2:3], v73 offset:19744
	s_wait_dscnt 0x0
	ds_store_b64 v71, v[2:3] offset:18736
	ds_load_b64 v[2:3], v73 offset:19752
	s_wait_dscnt 0x0
	ds_store_b64 v71, v[2:3] offset:19248
.LBB123_429:                            ;   in Loop: Header=BB123_3 Depth=1
	s_or_b32 exec_lo, exec_lo, s41
	s_wait_dscnt 0x0
	s_barrier_signal -1
	s_barrier_wait -1
	s_and_saveexec_b32 s41, s10
	s_cbranch_execz .LBB123_431
; %bb.430:                              ;   in Loop: Header=BB123_3 Depth=1
	ds_load_b64 v[2:3], v7 offset:19232
	v_mov_b32_e32 v0, v7
	ds_store_b64 v7, v[34:35] offset:19240
	s_wait_dscnt 0x1
	ds_store_b128 v7, v[0:3] offset:18720
.LBB123_431:                            ;   in Loop: Header=BB123_3 Depth=1
	s_or_b32 exec_lo, exec_lo, s41
	v_mov_b64_e32 v[2:3], 0
	s_wait_dscnt 0x0
	s_barrier_signal -1
	s_barrier_wait -1
	global_wb scope:SCOPE_DEV
	s_wait_storecnt 0x0
	global_inv scope:SCOPE_DEV
	s_and_saveexec_b32 s41, s3
	s_cbranch_execz .LBB123_437
; %bb.432:                              ;   in Loop: Header=BB123_3 Depth=1
	ds_load_b64 v[2:3], v60 offset:18688
	ds_load_b64 v[50:51], v59 offset:20256
	s_wait_dscnt 0x0
	v_fma_f64 v[2:3], v[2:3], v[50:51], 0
	s_and_saveexec_b32 s42, s12
	s_cbranch_execnz .LBB123_1089
; %bb.433:                              ;   in Loop: Header=BB123_3 Depth=1
	s_or_b32 exec_lo, exec_lo, s42
	s_and_saveexec_b32 s42, s13
	s_cbranch_execnz .LBB123_1090
.LBB123_434:                            ;   in Loop: Header=BB123_3 Depth=1
	s_or_b32 exec_lo, exec_lo, s42
	s_and_saveexec_b32 s42, s1
	s_cbranch_execz .LBB123_436
.LBB123_435:                            ;   in Loop: Header=BB123_3 Depth=1
	ds_load_b64 v[50:51], v5 offset:20224
	ds_load_b64 v[100:101], v7 offset:20280
	s_wait_dscnt 0x0
	v_fmac_f64_e32 v[2:3], v[50:51], v[100:101]
.LBB123_436:                            ;   in Loop: Header=BB123_3 Depth=1
	s_or_b32 exec_lo, exec_lo, s42
.LBB123_437:                            ;   in Loop: Header=BB123_3 Depth=1
	s_delay_alu instid0(SALU_CYCLE_1)
	s_or_b32 exec_lo, exec_lo, s41
	s_and_saveexec_b32 s41, s91
; %bb.438:                              ;   in Loop: Header=BB123_3 Depth=1
	s_delay_alu instid0(VALU_DEP_1) | instskip(NEXT) | instid1(VALU_DEP_2)
	v_xor_b32_e32 v51, 0x80000000, v3
	v_mov_b32_e32 v50, v2
	ds_store_b64 v58, v[50:51]
; %bb.439:                              ;   in Loop: Header=BB123_3 Depth=1
	s_or_b32 exec_lo, exec_lo, s41
	s_wait_loadcnt_dscnt 0x0
	s_barrier_signal -1
	s_barrier_wait -1
	s_and_saveexec_b32 s41, s92
	s_cbranch_execz .LBB123_441
; %bb.440:                              ;   in Loop: Header=BB123_3 Depth=1
	ds_load_b64 v[50:51], v60 offset:18176
	ds_load_b64 v[100:101], v58
	s_wait_dscnt 0x0
	v_fma_f64 v[2:3], -v[50:51], v[100:101], v[2:3]
.LBB123_441:                            ;   in Loop: Header=BB123_3 Depth=1
	s_or_b32 exec_lo, exec_lo, s41
	s_barrier_signal -1
	s_barrier_wait -1
	s_and_saveexec_b32 s41, s93
; %bb.442:                              ;   in Loop: Header=BB123_3 Depth=1
	s_delay_alu instid0(VALU_DEP_1) | instskip(NEXT) | instid1(VALU_DEP_2)
	v_xor_b32_e32 v51, 0x80000000, v3
	v_mov_b32_e32 v50, v2
	ds_store_b64 v58, v[50:51]
; %bb.443:                              ;   in Loop: Header=BB123_3 Depth=1
	s_or_b32 exec_lo, exec_lo, s41
	s_wait_dscnt 0x0
	s_barrier_signal -1
	s_barrier_wait -1
	s_and_saveexec_b32 s41, s94
	s_cbranch_execz .LBB123_445
; %bb.444:                              ;   in Loop: Header=BB123_3 Depth=1
	ds_load_b64 v[50:51], v60 offset:17664
	ds_load_b64 v[100:101], v58
	s_wait_dscnt 0x0
	v_fma_f64 v[2:3], -v[50:51], v[100:101], v[2:3]
.LBB123_445:                            ;   in Loop: Header=BB123_3 Depth=1
	s_or_b32 exec_lo, exec_lo, s41
	s_barrier_signal -1
	s_barrier_wait -1
	s_and_saveexec_b32 s41, s95
; %bb.446:                              ;   in Loop: Header=BB123_3 Depth=1
	s_delay_alu instid0(VALU_DEP_1) | instskip(NEXT) | instid1(VALU_DEP_2)
	v_xor_b32_e32 v51, 0x80000000, v3
	v_mov_b32_e32 v50, v2
	ds_store_b64 v58, v[50:51]
; %bb.447:                              ;   in Loop: Header=BB123_3 Depth=1
	s_or_b32 exec_lo, exec_lo, s41
	s_wait_dscnt 0x0
	;; [unrolled: 22-line block ×3, first 2 shown]
	s_barrier_signal -1
	s_barrier_wait -1
	s_barrier_signal -1
	s_barrier_wait -1
	s_and_saveexec_b32 s41, s3
; %bb.452:                              ;   in Loop: Header=BB123_3 Depth=1
	ds_store_b64 v63, v[2:3] offset:20224
; %bb.453:                              ;   in Loop: Header=BB123_3 Depth=1
	s_or_b32 exec_lo, exec_lo, s41
	s_wait_dscnt 0x0
	s_barrier_signal -1
	s_barrier_wait -1
	s_barrier_signal -1
	s_barrier_wait -1
	s_and_saveexec_b32 s41, s97
	s_cbranch_execz .LBB123_455
; %bb.454:                              ;   in Loop: Header=BB123_3 Depth=1
	ds_load_b64 v[2:3], v11 offset:18688
	s_wait_dscnt 0x0
	ds_store_b64 v84, v[2:3] offset:16672
	ds_load_b64 v[2:3], v11 offset:18696
	s_wait_dscnt 0x0
	ds_store_b64 v84, v[2:3] offset:17184
	;; [unrolled: 3-line block ×4, first 2 shown]
.LBB123_455:                            ;   in Loop: Header=BB123_3 Depth=1
	s_or_b32 exec_lo, exec_lo, s41
	s_wait_dscnt 0x0
	s_barrier_signal -1
	s_barrier_wait -1
	s_and_saveexec_b32 s41, s10
	s_cbranch_execz .LBB123_457
; %bb.456:                              ;   in Loop: Header=BB123_3 Depth=1
	ds_load_b64 v[2:3], v7 offset:18192
	v_mov_b32_e32 v0, v7
	ds_store_b64 v7, v[34:35] offset:18200
	s_wait_dscnt 0x1
	ds_store_b128 v7, v[0:3] offset:17680
.LBB123_457:                            ;   in Loop: Header=BB123_3 Depth=1
	s_or_b32 exec_lo, exec_lo, s41
	v_mov_b64_e32 v[2:3], 0
	s_wait_dscnt 0x0
	s_barrier_signal -1
	s_barrier_wait -1
	global_wb scope:SCOPE_DEV
	s_wait_storecnt 0x0
	global_inv scope:SCOPE_DEV
	s_and_saveexec_b32 s41, s1
	s_cbranch_execz .LBB123_461
; %bb.458:                              ;   in Loop: Header=BB123_3 Depth=1
	ds_load_b64 v[2:3], v54 offset:17664
	ds_load_b64 v[50:51], v53 offset:18192
	s_wait_dscnt 0x0
	v_fma_f64 v[2:3], v[2:3], v[50:51], 0
	s_and_saveexec_b32 s42, s11
	s_cbranch_execz .LBB123_460
; %bb.459:                              ;   in Loop: Header=BB123_3 Depth=1
	ds_load_b64 v[50:51], v84 offset:18176
	ds_load_b64 v[100:101], v7 offset:18200
	s_wait_dscnt 0x0
	v_fmac_f64_e32 v[2:3], v[50:51], v[100:101]
.LBB123_460:                            ;   in Loop: Header=BB123_3 Depth=1
	s_or_b32 exec_lo, exec_lo, s42
.LBB123_461:                            ;   in Loop: Header=BB123_3 Depth=1
	s_delay_alu instid0(SALU_CYCLE_1)
	s_or_b32 exec_lo, exec_lo, s41
	s_and_saveexec_b32 s41, s88
; %bb.462:                              ;   in Loop: Header=BB123_3 Depth=1
	s_delay_alu instid0(VALU_DEP_1) | instskip(NEXT) | instid1(VALU_DEP_2)
	v_xor_b32_e32 v51, 0x80000000, v3
	v_mov_b32_e32 v50, v2
	ds_store_b64 v52, v[50:51]
; %bb.463:                              ;   in Loop: Header=BB123_3 Depth=1
	s_or_b32 exec_lo, exec_lo, s41
	s_wait_loadcnt_dscnt 0x0
	s_barrier_signal -1
	s_barrier_wait -1
	s_and_saveexec_b32 s41, s89
	s_cbranch_execz .LBB123_465
; %bb.464:                              ;   in Loop: Header=BB123_3 Depth=1
	ds_load_b64 v[50:51], v7 offset:17152
	ds_load_b64 v[100:101], v52
	s_wait_dscnt 0x0
	v_fma_f64 v[2:3], -v[50:51], v[100:101], v[2:3]
.LBB123_465:                            ;   in Loop: Header=BB123_3 Depth=1
	s_or_b32 exec_lo, exec_lo, s41
	s_barrier_signal -1
	s_barrier_wait -1
	s_and_saveexec_b32 s41, s89
; %bb.466:                              ;   in Loop: Header=BB123_3 Depth=1
	s_delay_alu instid0(VALU_DEP_1) | instskip(NEXT) | instid1(VALU_DEP_2)
	v_xor_b32_e32 v51, 0x80000000, v3
	v_mov_b32_e32 v50, v2
	ds_store_b64 v52, v[50:51]
; %bb.467:                              ;   in Loop: Header=BB123_3 Depth=1
	s_or_b32 exec_lo, exec_lo, s41
	s_wait_dscnt 0x0
	s_barrier_signal -1
	s_barrier_wait -1
	s_barrier_signal -1
	s_barrier_wait -1
	s_and_saveexec_b32 s41, s1
; %bb.468:                              ;   in Loop: Header=BB123_3 Depth=1
	ds_store_b64 v56, v[2:3] offset:18176
; %bb.469:                              ;   in Loop: Header=BB123_3 Depth=1
	s_or_b32 exec_lo, exec_lo, s41
	s_wait_dscnt 0x0
	s_barrier_signal -1
	s_barrier_wait -1
	s_barrier_signal -1
	s_barrier_wait -1
	s_and_saveexec_b32 s41, s90
	s_cbranch_execz .LBB123_471
; %bb.470:                              ;   in Loop: Header=BB123_3 Depth=1
	ds_load_b64 v[2:3], v88 offset:17664
	s_wait_dscnt 0x0
	ds_store_b64 v84, v[2:3] offset:16656
	ds_load_b64 v[2:3], v88 offset:17672
	s_wait_dscnt 0x0
	ds_store_b64 v84, v[2:3] offset:17168
.LBB123_471:                            ;   in Loop: Header=BB123_3 Depth=1
	s_or_b32 exec_lo, exec_lo, s41
	s_wait_dscnt 0x0
	s_barrier_signal -1
	s_barrier_wait -1
	s_and_saveexec_b32 s41, s10
	s_cbranch_execz .LBB123_473
; %bb.472:                              ;   in Loop: Header=BB123_3 Depth=1
	ds_load_b64 v[2:3], v7 offset:17152
	v_mov_b32_e32 v0, v7
	ds_store_b64 v7, v[34:35] offset:17160
	s_wait_dscnt 0x1
	ds_store_b128 v7, v[0:3] offset:16640
.LBB123_473:                            ;   in Loop: Header=BB123_3 Depth=1
	s_or_b32 exec_lo, exec_lo, s41
	v_mov_b64_e32 v[2:3], 0
	s_wait_dscnt 0x0
	s_barrier_signal -1
	s_barrier_wait -1
	global_wb scope:SCOPE_DEV
	s_wait_storecnt 0x0
	global_inv scope:SCOPE_DEV
	s_and_saveexec_b32 s61, s30
	s_cbranch_execz .LBB123_535
; %bb.474:                              ;   in Loop: Header=BB123_3 Depth=1
	ds_load_b64 v[2:3], v79 offset:16384
	ds_load_b64 v[50:51], v81 offset:32512
	s_wait_dscnt 0x0
	v_fma_f64 v[2:3], v[2:3], v[50:51], 0
	s_mov_b32 s41, exec_lo
	v_readlane_b32 s42, v108, 28
	s_and_b32 s42, s41, s42
	s_delay_alu instid0(SALU_CYCLE_1)
	s_mov_b32 exec_lo, s42
	s_cbranch_execz .LBB123_476
; %bb.475:                              ;   in Loop: Header=BB123_3 Depth=1
	ds_load_b64 v[50:51], v79 offset:16896
	ds_load_b64 v[100:101], v81 offset:32520
	s_wait_dscnt 0x0
	v_fmac_f64_e32 v[2:3], v[50:51], v[100:101]
.LBB123_476:                            ;   in Loop: Header=BB123_3 Depth=1
	s_or_b32 exec_lo, exec_lo, s41
	s_delay_alu instid0(SALU_CYCLE_1) | instskip(SKIP_2) | instid1(SALU_CYCLE_1)
	s_mov_b32 s41, exec_lo
	v_readlane_b32 s42, v108, 29
	s_and_b32 s42, s41, s42
	s_mov_b32 exec_lo, s42
	s_cbranch_execz .LBB123_478
; %bb.477:                              ;   in Loop: Header=BB123_3 Depth=1
	ds_load_b64 v[50:51], v79 offset:17408
	ds_load_b64 v[100:101], v81 offset:32528
	s_wait_dscnt 0x0
	v_fmac_f64_e32 v[2:3], v[50:51], v[100:101]
.LBB123_478:                            ;   in Loop: Header=BB123_3 Depth=1
	s_or_b32 exec_lo, exec_lo, s41
	s_delay_alu instid0(SALU_CYCLE_1) | instskip(SKIP_2) | instid1(SALU_CYCLE_1)
	s_mov_b32 s41, exec_lo
	v_readlane_b32 s42, v108, 30
	s_and_b32 s42, s41, s42
	;; [unrolled: 13-line block ×22, first 2 shown]
	s_mov_b32 exec_lo, s42
	s_cbranch_execz .LBB123_520
; %bb.519:                              ;   in Loop: Header=BB123_3 Depth=1
	ds_load_b64 v[50:51], v79 offset:28160
	ds_load_b64 v[100:101], v81 offset:32696
	s_wait_dscnt 0x0
	v_fmac_f64_e32 v[2:3], v[50:51], v[100:101]
.LBB123_520:                            ;   in Loop: Header=BB123_3 Depth=1
	s_or_b32 exec_lo, exec_lo, s41
	s_and_saveexec_b32 s41, s5
	s_cbranch_execz .LBB123_522
; %bb.521:                              ;   in Loop: Header=BB123_3 Depth=1
	ds_load_b64 v[50:51], v79 offset:28672
	ds_load_b64 v[100:101], v81 offset:32704
	s_wait_dscnt 0x0
	v_fmac_f64_e32 v[2:3], v[50:51], v[100:101]
.LBB123_522:                            ;   in Loop: Header=BB123_3 Depth=1
	s_or_b32 exec_lo, exec_lo, s41
	s_delay_alu instid0(SALU_CYCLE_1) | instskip(SKIP_2) | instid1(SALU_CYCLE_1)
	s_mov_b32 s41, exec_lo
	v_readlane_b32 s42, v108, 18
	s_and_b32 s42, s41, s42
	s_mov_b32 exec_lo, s42
	s_cbranch_execz .LBB123_524
; %bb.523:                              ;   in Loop: Header=BB123_3 Depth=1
	ds_load_b64 v[50:51], v79 offset:29184
	ds_load_b64 v[100:101], v81 offset:32712
	s_wait_dscnt 0x0
	v_fmac_f64_e32 v[2:3], v[50:51], v[100:101]
.LBB123_524:                            ;   in Loop: Header=BB123_3 Depth=1
	s_or_b32 exec_lo, exec_lo, s41
	s_delay_alu instid0(SALU_CYCLE_1) | instskip(SKIP_2) | instid1(SALU_CYCLE_1)
	s_mov_b32 s41, exec_lo
	v_readlane_b32 s42, v108, 20
	s_and_b32 s42, s41, s42
	s_mov_b32 exec_lo, s42
	;; [unrolled: 13-line block ×5, first 2 shown]
	s_cbranch_execnz .LBB123_1091
; %bb.531:                              ;   in Loop: Header=BB123_3 Depth=1
	s_or_b32 exec_lo, exec_lo, s41
	s_and_saveexec_b32 s41, s4
	s_cbranch_execnz .LBB123_1092
.LBB123_532:                            ;   in Loop: Header=BB123_3 Depth=1
	s_or_b32 exec_lo, exec_lo, s41
	s_and_saveexec_b32 s41, s17
	s_delay_alu instid0(SALU_CYCLE_1)
	s_xor_b32 s41, exec_lo, s41
	s_cbranch_execz .LBB123_534
.LBB123_533:                            ;   in Loop: Header=BB123_3 Depth=1
	ds_load_b64 v[50:51], v55 offset:32256
	ds_load_b64 v[100:101], v7 offset:32760
	s_wait_dscnt 0x0
	v_fmac_f64_e32 v[2:3], v[50:51], v[100:101]
.LBB123_534:                            ;   in Loop: Header=BB123_3 Depth=1
	s_or_b32 exec_lo, exec_lo, s41
.LBB123_535:                            ;   in Loop: Header=BB123_3 Depth=1
	s_delay_alu instid0(SALU_CYCLE_1)
	s_or_b32 exec_lo, exec_lo, s61
	v_dual_mov_b32 v0, v98 :: v_dual_mov_b32 v6, v96
	s_mov_b32 s41, 31
	s_branch .LBB123_537
.LBB123_536:                            ;   in Loop: Header=BB123_537 Depth=2
	s_or_b32 exec_lo, exec_lo, s42
	v_add_nc_u32_e32 v6, 0xfffff800, v6
	v_add_nc_u32_e32 v0, 4, v0
	s_add_co_i32 s41, s41, -4
	s_cmp_eq_u32 s61, 0
	s_barrier_signal -1
	s_barrier_wait -1
	s_cbranch_scc1 .LBB123_553
.LBB123_537:                            ;   Parent Loop BB123_3 Depth=1
                                        ; =>  This Inner Loop Header: Depth=2
	s_delay_alu instid0(VALU_DEP_1) | instskip(SKIP_1) | instid1(SALU_CYCLE_1)
	v_cmp_eq_u32_e32 vcc_lo, 0, v0
	s_and_b32 s43, s40, vcc_lo
	s_and_saveexec_b32 s42, s43
; %bb.538:                              ;   in Loop: Header=BB123_537 Depth=2
	s_delay_alu instid0(VALU_DEP_3) | instskip(NEXT) | instid1(VALU_DEP_4)
	v_xor_b32_e32 v51, 0x80000000, v3
	v_mov_b32_e32 v50, v2
	ds_store_b64 v80, v[50:51]
; %bb.539:                              ;   in Loop: Header=BB123_537 Depth=2
	s_or_b32 exec_lo, exec_lo, s42
	v_cmp_gt_u32_e32 vcc_lo, s41, v77
	s_wait_loadcnt_dscnt 0x0
	s_barrier_signal -1
	s_barrier_wait -1
	s_and_b32 s43, s40, vcc_lo
	s_delay_alu instid0(SALU_CYCLE_1)
	s_and_saveexec_b32 s42, s43
	s_cbranch_execz .LBB123_541
; %bb.540:                              ;   in Loop: Header=BB123_537 Depth=2
	ds_load_b64 v[50:51], v6 offset:1536
	ds_load_b64 v[100:101], v80
	s_wait_dscnt 0x0
	v_fma_f64 v[2:3], -v[50:51], v[100:101], v[2:3]
.LBB123_541:                            ;   in Loop: Header=BB123_537 Depth=2
	s_or_b32 exec_lo, exec_lo, s42
	s_add_co_i32 s42, s41, -1
	s_delay_alu instid0(SALU_CYCLE_1) | instskip(SKIP_3) | instid1(SALU_CYCLE_1)
	v_cmp_eq_u32_e32 vcc_lo, s42, v77
	s_barrier_signal -1
	s_barrier_wait -1
	s_and_b32 s61, s40, vcc_lo
	s_and_saveexec_b32 s43, s61
; %bb.542:                              ;   in Loop: Header=BB123_537 Depth=2
	s_delay_alu instid0(VALU_DEP_2) | instskip(NEXT) | instid1(VALU_DEP_3)
	v_xor_b32_e32 v51, 0x80000000, v3
	v_mov_b32_e32 v50, v2
	ds_store_b64 v80, v[50:51]
; %bb.543:                              ;   in Loop: Header=BB123_537 Depth=2
	s_or_b32 exec_lo, exec_lo, s43
	v_cmp_gt_u32_e32 vcc_lo, s42, v77
	s_wait_dscnt 0x0
	s_barrier_signal -1
	s_barrier_wait -1
	s_and_b32 s43, s40, vcc_lo
	s_delay_alu instid0(SALU_CYCLE_1)
	s_and_saveexec_b32 s42, s43
	s_cbranch_execz .LBB123_545
; %bb.544:                              ;   in Loop: Header=BB123_537 Depth=2
	ds_load_b64 v[50:51], v6 offset:1024
	ds_load_b64 v[100:101], v80
	s_wait_dscnt 0x0
	v_fma_f64 v[2:3], -v[50:51], v[100:101], v[2:3]
.LBB123_545:                            ;   in Loop: Header=BB123_537 Depth=2
	s_or_b32 exec_lo, exec_lo, s42
	s_add_co_i32 s42, s41, -2
	s_delay_alu instid0(SALU_CYCLE_1) | instskip(SKIP_3) | instid1(SALU_CYCLE_1)
	v_cmp_eq_u32_e32 vcc_lo, s42, v77
	s_barrier_signal -1
	s_barrier_wait -1
	s_and_b32 s61, s40, vcc_lo
	s_and_saveexec_b32 s43, s61
; %bb.546:                              ;   in Loop: Header=BB123_537 Depth=2
	s_delay_alu instid0(VALU_DEP_2) | instskip(NEXT) | instid1(VALU_DEP_3)
	v_xor_b32_e32 v51, 0x80000000, v3
	v_mov_b32_e32 v50, v2
	ds_store_b64 v80, v[50:51]
; %bb.547:                              ;   in Loop: Header=BB123_537 Depth=2
	s_or_b32 exec_lo, exec_lo, s43
	v_cmp_gt_u32_e32 vcc_lo, s42, v77
	s_wait_dscnt 0x0
	;; [unrolled: 29-line block ×3, first 2 shown]
	s_barrier_signal -1
	s_barrier_wait -1
	s_and_b32 s43, s40, vcc_lo
	s_delay_alu instid0(SALU_CYCLE_1)
	s_and_saveexec_b32 s42, s43
	s_cbranch_execz .LBB123_536
; %bb.552:                              ;   in Loop: Header=BB123_537 Depth=2
	ds_load_b64 v[50:51], v6
	ds_load_b64 v[100:101], v80
	s_wait_dscnt 0x0
	v_fma_f64 v[2:3], -v[50:51], v[100:101], v[2:3]
	s_branch .LBB123_536
.LBB123_553:                            ;   in Loop: Header=BB123_3 Depth=1
	s_and_saveexec_b32 s41, s30
; %bb.554:                              ;   in Loop: Header=BB123_3 Depth=1
	ds_store_b64 v82, v[2:3] offset:32256
; %bb.555:                              ;   in Loop: Header=BB123_3 Depth=1
	s_or_b32 exec_lo, exec_lo, s41
	s_wait_dscnt 0x0
	s_barrier_signal -1
	s_barrier_wait -1
	s_barrier_signal -1
	s_barrier_wait -1
	s_mov_b32 s41, exec_lo
	v_readlane_b32 s42, v108, 7
	s_and_b32 s42, s41, s42
	s_delay_alu instid0(SALU_CYCLE_1)
	s_mov_b32 exec_lo, s42
	s_cbranch_execz .LBB123_557
; %bb.556:                              ;   in Loop: Header=BB123_3 Depth=1
	ds_load_b64 v[2:3], v57 offset:16384
	s_wait_dscnt 0x0
	ds_store_b64 v61, v[2:3] offset:256
	ds_load_b64 v[2:3], v57 offset:16392
	s_wait_dscnt 0x0
	ds_store_b64 v61, v[2:3] offset:768
	;; [unrolled: 3-line block ×32, first 2 shown]
.LBB123_557:                            ;   in Loop: Header=BB123_3 Depth=1
	s_or_b32 exec_lo, exec_lo, s41
	s_wait_dscnt 0x0
	s_barrier_signal -1
	s_barrier_wait -1
	s_and_saveexec_b32 s41, s10
	s_cbranch_execz .LBB123_559
; %bb.558:                              ;   in Loop: Header=BB123_3 Depth=1
	ds_load_b64 v[2:3], v7 offset:16112
	v_mov_b32_e32 v0, v7
	ds_store_b64 v7, v[34:35] offset:16120
	s_wait_dscnt 0x1
	ds_store_b128 v7, v[0:3] offset:15600
.LBB123_559:                            ;   in Loop: Header=BB123_3 Depth=1
	s_or_b32 exec_lo, exec_lo, s41
	v_mov_b64_e32 v[2:3], 0
	s_wait_dscnt 0x0
	s_barrier_signal -1
	s_barrier_wait -1
	global_wb scope:SCOPE_DEV
	s_wait_storecnt 0x0
	global_inv scope:SCOPE_DEV
	s_and_saveexec_b32 s41, s1
	s_cbranch_execz .LBB123_563
; %bb.560:                              ;   in Loop: Header=BB123_3 Depth=1
	ds_load_b64 v[2:3], v54 offset:15584
	ds_load_b64 v[50:51], v53 offset:16112
	s_wait_dscnt 0x0
	v_fma_f64 v[2:3], v[2:3], v[50:51], 0
	s_and_saveexec_b32 s42, s11
	s_cbranch_execz .LBB123_562
; %bb.561:                              ;   in Loop: Header=BB123_3 Depth=1
	ds_load_b64 v[50:51], v55 offset:16096
	ds_load_b64 v[100:101], v7 offset:16120
	s_wait_dscnt 0x0
	v_fmac_f64_e32 v[2:3], v[50:51], v[100:101]
.LBB123_562:                            ;   in Loop: Header=BB123_3 Depth=1
	s_or_b32 exec_lo, exec_lo, s42
.LBB123_563:                            ;   in Loop: Header=BB123_3 Depth=1
	s_delay_alu instid0(SALU_CYCLE_1)
	s_or_b32 exec_lo, exec_lo, s41
	s_and_saveexec_b32 s41, s88
; %bb.564:                              ;   in Loop: Header=BB123_3 Depth=1
	s_delay_alu instid0(VALU_DEP_1) | instskip(NEXT) | instid1(VALU_DEP_2)
	v_xor_b32_e32 v51, 0x80000000, v3
	v_mov_b32_e32 v50, v2
	ds_store_b64 v52, v[50:51]
; %bb.565:                              ;   in Loop: Header=BB123_3 Depth=1
	s_or_b32 exec_lo, exec_lo, s41
	s_wait_loadcnt_dscnt 0x0
	s_barrier_signal -1
	s_barrier_wait -1
	s_and_saveexec_b32 s41, s89
	s_cbranch_execz .LBB123_567
; %bb.566:                              ;   in Loop: Header=BB123_3 Depth=1
	ds_load_b64 v[50:51], v7 offset:15072
	ds_load_b64 v[100:101], v52
	s_wait_dscnt 0x0
	v_fma_f64 v[2:3], -v[50:51], v[100:101], v[2:3]
.LBB123_567:                            ;   in Loop: Header=BB123_3 Depth=1
	s_or_b32 exec_lo, exec_lo, s41
	s_barrier_signal -1
	s_barrier_wait -1
	s_and_saveexec_b32 s41, s89
; %bb.568:                              ;   in Loop: Header=BB123_3 Depth=1
	s_delay_alu instid0(VALU_DEP_1) | instskip(NEXT) | instid1(VALU_DEP_2)
	v_xor_b32_e32 v51, 0x80000000, v3
	v_mov_b32_e32 v50, v2
	ds_store_b64 v52, v[50:51]
; %bb.569:                              ;   in Loop: Header=BB123_3 Depth=1
	s_or_b32 exec_lo, exec_lo, s41
	s_wait_dscnt 0x0
	s_barrier_signal -1
	s_barrier_wait -1
	s_barrier_signal -1
	s_barrier_wait -1
	s_and_saveexec_b32 s41, s1
; %bb.570:                              ;   in Loop: Header=BB123_3 Depth=1
	ds_store_b64 v56, v[2:3] offset:16096
; %bb.571:                              ;   in Loop: Header=BB123_3 Depth=1
	s_or_b32 exec_lo, exec_lo, s41
	s_wait_dscnt 0x0
	s_barrier_signal -1
	s_barrier_wait -1
	s_barrier_signal -1
	s_barrier_wait -1
	s_and_saveexec_b32 s41, s90
	s_cbranch_execz .LBB123_573
; %bb.572:                              ;   in Loop: Header=BB123_3 Depth=1
	ds_load_b64 v[2:3], v57 offset:15584
	s_wait_dscnt 0x0
	ds_store_b64 v55, v[2:3] offset:14576
	ds_load_b64 v[2:3], v57 offset:15592
	s_wait_dscnt 0x0
	ds_store_b64 v55, v[2:3] offset:15088
.LBB123_573:                            ;   in Loop: Header=BB123_3 Depth=1
	s_or_b32 exec_lo, exec_lo, s41
	s_wait_dscnt 0x0
	s_barrier_signal -1
	s_barrier_wait -1
	s_and_saveexec_b32 s41, s10
	s_cbranch_execz .LBB123_575
; %bb.574:                              ;   in Loop: Header=BB123_3 Depth=1
	ds_load_b64 v[2:3], v7 offset:15072
	v_mov_b32_e32 v0, v7
	ds_store_b64 v7, v[34:35] offset:15080
	s_wait_dscnt 0x1
	ds_store_b128 v7, v[0:3] offset:14560
.LBB123_575:                            ;   in Loop: Header=BB123_3 Depth=1
	s_or_b32 exec_lo, exec_lo, s41
	v_mov_b64_e32 v[2:3], 0
	s_wait_dscnt 0x0
	s_barrier_signal -1
	s_barrier_wait -1
	global_wb scope:SCOPE_DEV
	s_wait_storecnt 0x0
	global_inv scope:SCOPE_DEV
	s_and_saveexec_b32 s41, s3
	s_cbranch_execz .LBB123_581
; %bb.576:                              ;   in Loop: Header=BB123_3 Depth=1
	ds_load_b64 v[2:3], v60 offset:14528
	ds_load_b64 v[50:51], v59 offset:16096
	s_wait_dscnt 0x0
	v_fma_f64 v[2:3], v[2:3], v[50:51], 0
	s_and_saveexec_b32 s42, s12
	s_cbranch_execnz .LBB123_1093
; %bb.577:                              ;   in Loop: Header=BB123_3 Depth=1
	s_or_b32 exec_lo, exec_lo, s42
	s_and_saveexec_b32 s42, s13
	s_cbranch_execnz .LBB123_1094
.LBB123_578:                            ;   in Loop: Header=BB123_3 Depth=1
	s_or_b32 exec_lo, exec_lo, s42
	s_and_saveexec_b32 s42, s1
	s_cbranch_execz .LBB123_580
.LBB123_579:                            ;   in Loop: Header=BB123_3 Depth=1
	ds_load_b64 v[50:51], v61 offset:16064
	ds_load_b64 v[100:101], v7 offset:16120
	s_wait_dscnt 0x0
	v_fmac_f64_e32 v[2:3], v[50:51], v[100:101]
.LBB123_580:                            ;   in Loop: Header=BB123_3 Depth=1
	s_or_b32 exec_lo, exec_lo, s42
.LBB123_581:                            ;   in Loop: Header=BB123_3 Depth=1
	s_delay_alu instid0(SALU_CYCLE_1)
	s_or_b32 exec_lo, exec_lo, s41
	s_and_saveexec_b32 s41, s91
; %bb.582:                              ;   in Loop: Header=BB123_3 Depth=1
	s_delay_alu instid0(VALU_DEP_1) | instskip(NEXT) | instid1(VALU_DEP_2)
	v_xor_b32_e32 v51, 0x80000000, v3
	v_mov_b32_e32 v50, v2
	ds_store_b64 v58, v[50:51]
; %bb.583:                              ;   in Loop: Header=BB123_3 Depth=1
	s_or_b32 exec_lo, exec_lo, s41
	s_wait_loadcnt_dscnt 0x0
	s_barrier_signal -1
	s_barrier_wait -1
	s_and_saveexec_b32 s41, s92
	s_cbranch_execz .LBB123_585
; %bb.584:                              ;   in Loop: Header=BB123_3 Depth=1
	ds_load_b64 v[50:51], v60 offset:14016
	ds_load_b64 v[100:101], v58
	s_wait_dscnt 0x0
	v_fma_f64 v[2:3], -v[50:51], v[100:101], v[2:3]
.LBB123_585:                            ;   in Loop: Header=BB123_3 Depth=1
	s_or_b32 exec_lo, exec_lo, s41
	s_barrier_signal -1
	s_barrier_wait -1
	s_and_saveexec_b32 s41, s93
; %bb.586:                              ;   in Loop: Header=BB123_3 Depth=1
	s_delay_alu instid0(VALU_DEP_1) | instskip(NEXT) | instid1(VALU_DEP_2)
	v_xor_b32_e32 v51, 0x80000000, v3
	v_mov_b32_e32 v50, v2
	ds_store_b64 v58, v[50:51]
; %bb.587:                              ;   in Loop: Header=BB123_3 Depth=1
	s_or_b32 exec_lo, exec_lo, s41
	s_wait_dscnt 0x0
	s_barrier_signal -1
	s_barrier_wait -1
	s_and_saveexec_b32 s41, s94
	s_cbranch_execz .LBB123_589
; %bb.588:                              ;   in Loop: Header=BB123_3 Depth=1
	ds_load_b64 v[50:51], v60 offset:13504
	ds_load_b64 v[100:101], v58
	s_wait_dscnt 0x0
	v_fma_f64 v[2:3], -v[50:51], v[100:101], v[2:3]
.LBB123_589:                            ;   in Loop: Header=BB123_3 Depth=1
	s_or_b32 exec_lo, exec_lo, s41
	s_barrier_signal -1
	s_barrier_wait -1
	s_and_saveexec_b32 s41, s95
; %bb.590:                              ;   in Loop: Header=BB123_3 Depth=1
	s_delay_alu instid0(VALU_DEP_1) | instskip(NEXT) | instid1(VALU_DEP_2)
	v_xor_b32_e32 v51, 0x80000000, v3
	v_mov_b32_e32 v50, v2
	ds_store_b64 v58, v[50:51]
; %bb.591:                              ;   in Loop: Header=BB123_3 Depth=1
	s_or_b32 exec_lo, exec_lo, s41
	s_wait_dscnt 0x0
	;; [unrolled: 22-line block ×3, first 2 shown]
	s_barrier_signal -1
	s_barrier_wait -1
	s_barrier_signal -1
	s_barrier_wait -1
	s_and_saveexec_b32 s41, s3
; %bb.596:                              ;   in Loop: Header=BB123_3 Depth=1
	ds_store_b64 v63, v[2:3] offset:16064
; %bb.597:                              ;   in Loop: Header=BB123_3 Depth=1
	s_or_b32 exec_lo, exec_lo, s41
	s_wait_dscnt 0x0
	s_barrier_signal -1
	s_barrier_wait -1
	s_barrier_signal -1
	s_barrier_wait -1
	s_and_saveexec_b32 s41, s97
	s_cbranch_execz .LBB123_599
; %bb.598:                              ;   in Loop: Header=BB123_3 Depth=1
	ds_load_b64 v[2:3], v62 offset:14528
	s_wait_dscnt 0x0
	ds_store_b64 v64, v[2:3] offset:12512
	ds_load_b64 v[2:3], v62 offset:14536
	s_wait_dscnt 0x0
	ds_store_b64 v64, v[2:3] offset:13024
	;; [unrolled: 3-line block ×4, first 2 shown]
.LBB123_599:                            ;   in Loop: Header=BB123_3 Depth=1
	s_or_b32 exec_lo, exec_lo, s41
	s_wait_dscnt 0x0
	s_barrier_signal -1
	s_barrier_wait -1
	s_and_saveexec_b32 s41, s10
	s_cbranch_execz .LBB123_601
; %bb.600:                              ;   in Loop: Header=BB123_3 Depth=1
	ds_load_b64 v[2:3], v7 offset:14032
	v_mov_b32_e32 v0, v7
	ds_store_b64 v7, v[34:35] offset:14040
	s_wait_dscnt 0x1
	ds_store_b128 v7, v[0:3] offset:13520
.LBB123_601:                            ;   in Loop: Header=BB123_3 Depth=1
	s_or_b32 exec_lo, exec_lo, s41
	v_mov_b64_e32 v[2:3], 0
	s_wait_dscnt 0x0
	s_barrier_signal -1
	s_barrier_wait -1
	global_wb scope:SCOPE_DEV
	s_wait_storecnt 0x0
	global_inv scope:SCOPE_DEV
	s_and_saveexec_b32 s41, s1
	s_cbranch_execz .LBB123_605
; %bb.602:                              ;   in Loop: Header=BB123_3 Depth=1
	ds_load_b64 v[2:3], v54 offset:13504
	ds_load_b64 v[50:51], v53 offset:14032
	s_wait_dscnt 0x0
	v_fma_f64 v[2:3], v[2:3], v[50:51], 0
	s_and_saveexec_b32 s42, s11
	s_cbranch_execz .LBB123_604
; %bb.603:                              ;   in Loop: Header=BB123_3 Depth=1
	ds_load_b64 v[50:51], v64 offset:14016
	ds_load_b64 v[100:101], v7 offset:14040
	s_wait_dscnt 0x0
	v_fmac_f64_e32 v[2:3], v[50:51], v[100:101]
.LBB123_604:                            ;   in Loop: Header=BB123_3 Depth=1
	s_or_b32 exec_lo, exec_lo, s42
.LBB123_605:                            ;   in Loop: Header=BB123_3 Depth=1
	s_delay_alu instid0(SALU_CYCLE_1)
	s_or_b32 exec_lo, exec_lo, s41
	s_and_saveexec_b32 s41, s88
; %bb.606:                              ;   in Loop: Header=BB123_3 Depth=1
	s_delay_alu instid0(VALU_DEP_1) | instskip(NEXT) | instid1(VALU_DEP_2)
	v_xor_b32_e32 v51, 0x80000000, v3
	v_mov_b32_e32 v50, v2
	ds_store_b64 v52, v[50:51]
; %bb.607:                              ;   in Loop: Header=BB123_3 Depth=1
	s_or_b32 exec_lo, exec_lo, s41
	s_wait_loadcnt_dscnt 0x0
	s_barrier_signal -1
	s_barrier_wait -1
	s_and_saveexec_b32 s41, s89
	s_cbranch_execz .LBB123_609
; %bb.608:                              ;   in Loop: Header=BB123_3 Depth=1
	ds_load_b64 v[50:51], v7 offset:12992
	ds_load_b64 v[100:101], v52
	s_wait_dscnt 0x0
	v_fma_f64 v[2:3], -v[50:51], v[100:101], v[2:3]
.LBB123_609:                            ;   in Loop: Header=BB123_3 Depth=1
	s_or_b32 exec_lo, exec_lo, s41
	s_barrier_signal -1
	s_barrier_wait -1
	s_and_saveexec_b32 s41, s89
; %bb.610:                              ;   in Loop: Header=BB123_3 Depth=1
	s_delay_alu instid0(VALU_DEP_1) | instskip(NEXT) | instid1(VALU_DEP_2)
	v_xor_b32_e32 v51, 0x80000000, v3
	v_mov_b32_e32 v50, v2
	ds_store_b64 v52, v[50:51]
; %bb.611:                              ;   in Loop: Header=BB123_3 Depth=1
	s_or_b32 exec_lo, exec_lo, s41
	s_wait_dscnt 0x0
	s_barrier_signal -1
	s_barrier_wait -1
	s_barrier_signal -1
	s_barrier_wait -1
	s_and_saveexec_b32 s41, s1
; %bb.612:                              ;   in Loop: Header=BB123_3 Depth=1
	ds_store_b64 v56, v[2:3] offset:14016
; %bb.613:                              ;   in Loop: Header=BB123_3 Depth=1
	s_or_b32 exec_lo, exec_lo, s41
	s_wait_dscnt 0x0
	s_barrier_signal -1
	s_barrier_wait -1
	s_barrier_signal -1
	s_barrier_wait -1
	s_and_saveexec_b32 s41, s90
	s_cbranch_execz .LBB123_615
; %bb.614:                              ;   in Loop: Header=BB123_3 Depth=1
	ds_load_b64 v[2:3], v65 offset:13504
	s_wait_dscnt 0x0
	ds_store_b64 v64, v[2:3] offset:12496
	ds_load_b64 v[2:3], v65 offset:13512
	s_wait_dscnt 0x0
	ds_store_b64 v64, v[2:3] offset:13008
.LBB123_615:                            ;   in Loop: Header=BB123_3 Depth=1
	s_or_b32 exec_lo, exec_lo, s41
	s_wait_dscnt 0x0
	s_barrier_signal -1
	s_barrier_wait -1
	s_and_saveexec_b32 s41, s10
	s_cbranch_execz .LBB123_617
; %bb.616:                              ;   in Loop: Header=BB123_3 Depth=1
	ds_load_b64 v[2:3], v7 offset:12992
	v_mov_b32_e32 v0, v7
	ds_store_b64 v7, v[34:35] offset:13000
	s_wait_dscnt 0x1
	ds_store_b128 v7, v[0:3] offset:12480
.LBB123_617:                            ;   in Loop: Header=BB123_3 Depth=1
	s_or_b32 exec_lo, exec_lo, s41
	v_mov_b64_e32 v[2:3], 0
	s_wait_dscnt 0x0
	s_barrier_signal -1
	s_barrier_wait -1
	global_wb scope:SCOPE_DEV
	s_wait_storecnt 0x0
	global_inv scope:SCOPE_DEV
	s_and_saveexec_b32 s41, s4
	s_cbranch_execz .LBB123_627
; %bb.618:                              ;   in Loop: Header=BB123_3 Depth=1
	ds_load_b64 v[2:3], v68 offset:12416
	ds_load_b64 v[50:51], v67 offset:16064
	s_wait_dscnt 0x0
	v_fma_f64 v[2:3], v[2:3], v[50:51], 0
	s_and_saveexec_b32 s42, s14
	s_cbranch_execnz .LBB123_1095
; %bb.619:                              ;   in Loop: Header=BB123_3 Depth=1
	s_or_b32 exec_lo, exec_lo, s42
	s_and_saveexec_b32 s42, s15
	s_cbranch_execnz .LBB123_1096
.LBB123_620:                            ;   in Loop: Header=BB123_3 Depth=1
	s_or_b32 exec_lo, exec_lo, s42
	s_and_saveexec_b32 s42, s16
	s_cbranch_execnz .LBB123_1097
.LBB123_621:                            ;   in Loop: Header=BB123_3 Depth=1
	s_or_b32 exec_lo, exec_lo, s42
	s_and_saveexec_b32 s42, s17
	s_cbranch_execnz .LBB123_1098
.LBB123_622:                            ;   in Loop: Header=BB123_3 Depth=1
	s_or_b32 exec_lo, exec_lo, s42
	s_and_saveexec_b32 s42, s18
	s_cbranch_execnz .LBB123_1099
.LBB123_623:                            ;   in Loop: Header=BB123_3 Depth=1
	s_or_b32 exec_lo, exec_lo, s42
	s_and_saveexec_b32 s42, s3
	s_cbranch_execnz .LBB123_1100
.LBB123_624:                            ;   in Loop: Header=BB123_3 Depth=1
	s_or_b32 exec_lo, exec_lo, s42
	s_and_saveexec_b32 s42, s13
	s_cbranch_execz .LBB123_626
.LBB123_625:                            ;   in Loop: Header=BB123_3 Depth=1
	ds_load_b64 v[50:51], v69 offset:16000
	ds_load_b64 v[100:101], v7 offset:16120
	s_wait_dscnt 0x0
	v_fmac_f64_e32 v[2:3], v[50:51], v[100:101]
.LBB123_626:                            ;   in Loop: Header=BB123_3 Depth=1
	s_or_b32 exec_lo, exec_lo, s42
.LBB123_627:                            ;   in Loop: Header=BB123_3 Depth=1
	s_delay_alu instid0(SALU_CYCLE_1)
	s_or_b32 exec_lo, exec_lo, s41
	s_and_saveexec_b32 s41, s98
; %bb.628:                              ;   in Loop: Header=BB123_3 Depth=1
	s_delay_alu instid0(VALU_DEP_1) | instskip(NEXT) | instid1(VALU_DEP_2)
	v_xor_b32_e32 v51, 0x80000000, v3
	v_mov_b32_e32 v50, v2
	ds_store_b64 v66, v[50:51]
; %bb.629:                              ;   in Loop: Header=BB123_3 Depth=1
	s_or_b32 exec_lo, exec_lo, s41
	s_wait_loadcnt_dscnt 0x0
	s_barrier_signal -1
	s_barrier_wait -1
	s_and_saveexec_b32 s41, s99
	s_cbranch_execz .LBB123_631
; %bb.630:                              ;   in Loop: Header=BB123_3 Depth=1
	ds_load_b64 v[50:51], v68 offset:11904
	ds_load_b64 v[100:101], v66
	s_wait_dscnt 0x0
	v_fma_f64 v[2:3], -v[50:51], v[100:101], v[2:3]
.LBB123_631:                            ;   in Loop: Header=BB123_3 Depth=1
	s_or_b32 exec_lo, exec_lo, s41
	s_barrier_signal -1
	s_barrier_wait -1
	s_and_saveexec_b32 s41, s100
; %bb.632:                              ;   in Loop: Header=BB123_3 Depth=1
	s_delay_alu instid0(VALU_DEP_1) | instskip(NEXT) | instid1(VALU_DEP_2)
	v_xor_b32_e32 v51, 0x80000000, v3
	v_mov_b32_e32 v50, v2
	ds_store_b64 v66, v[50:51]
; %bb.633:                              ;   in Loop: Header=BB123_3 Depth=1
	s_or_b32 exec_lo, exec_lo, s41
	s_wait_dscnt 0x0
	s_barrier_signal -1
	s_barrier_wait -1
	s_and_saveexec_b32 s41, s101
	s_cbranch_execz .LBB123_635
; %bb.634:                              ;   in Loop: Header=BB123_3 Depth=1
	ds_load_b64 v[50:51], v68 offset:11392
	ds_load_b64 v[100:101], v66
	s_wait_dscnt 0x0
	v_fma_f64 v[2:3], -v[50:51], v[100:101], v[2:3]
.LBB123_635:                            ;   in Loop: Header=BB123_3 Depth=1
	s_or_b32 exec_lo, exec_lo, s41
	s_barrier_signal -1
	s_barrier_wait -1
	s_and_saveexec_b32 s41, s102
; %bb.636:                              ;   in Loop: Header=BB123_3 Depth=1
	s_delay_alu instid0(VALU_DEP_1) | instskip(NEXT) | instid1(VALU_DEP_2)
	v_xor_b32_e32 v51, 0x80000000, v3
	v_mov_b32_e32 v50, v2
	ds_store_b64 v66, v[50:51]
; %bb.637:                              ;   in Loop: Header=BB123_3 Depth=1
	s_or_b32 exec_lo, exec_lo, s41
	s_wait_dscnt 0x0
	;; [unrolled: 22-line block ×3, first 2 shown]
	s_barrier_signal -1
	s_barrier_wait -1
	s_and_saveexec_b32 s41, vcc_hi
	s_cbranch_execz .LBB123_643
; %bb.642:                              ;   in Loop: Header=BB123_3 Depth=1
	ds_load_b64 v[50:51], v68 offset:10368
	ds_load_b64 v[100:101], v66
	s_wait_dscnt 0x0
	v_fma_f64 v[2:3], -v[50:51], v[100:101], v[2:3]
.LBB123_643:                            ;   in Loop: Header=BB123_3 Depth=1
	s_or_b32 exec_lo, exec_lo, s41
	s_barrier_signal -1
	s_barrier_wait -1
	s_and_saveexec_b32 s41, s31
; %bb.644:                              ;   in Loop: Header=BB123_3 Depth=1
	s_delay_alu instid0(VALU_DEP_1) | instskip(NEXT) | instid1(VALU_DEP_2)
	v_xor_b32_e32 v51, 0x80000000, v3
	v_mov_b32_e32 v50, v2
	ds_store_b64 v66, v[50:51]
; %bb.645:                              ;   in Loop: Header=BB123_3 Depth=1
	s_or_b32 exec_lo, exec_lo, s41
	s_wait_dscnt 0x0
	s_barrier_signal -1
	s_barrier_wait -1
	s_and_saveexec_b32 s41, s33
	s_cbranch_execz .LBB123_647
; %bb.646:                              ;   in Loop: Header=BB123_3 Depth=1
	ds_load_b64 v[50:51], v68 offset:9856
	ds_load_b64 v[100:101], v66
	s_wait_dscnt 0x0
	v_fma_f64 v[2:3], -v[50:51], v[100:101], v[2:3]
.LBB123_647:                            ;   in Loop: Header=BB123_3 Depth=1
	s_or_b32 exec_lo, exec_lo, s41
	s_barrier_signal -1
	s_barrier_wait -1
	s_and_saveexec_b32 s41, s34
; %bb.648:                              ;   in Loop: Header=BB123_3 Depth=1
	s_delay_alu instid0(VALU_DEP_1) | instskip(NEXT) | instid1(VALU_DEP_2)
	v_xor_b32_e32 v51, 0x80000000, v3
	v_mov_b32_e32 v50, v2
	ds_store_b64 v66, v[50:51]
; %bb.649:                              ;   in Loop: Header=BB123_3 Depth=1
	s_or_b32 exec_lo, exec_lo, s41
	s_wait_dscnt 0x0
	s_barrier_signal -1
	s_barrier_wait -1
	s_and_saveexec_b32 s41, s35
	;; [unrolled: 22-line block ×3, first 2 shown]
	s_cbranch_execz .LBB123_655
; %bb.654:                              ;   in Loop: Header=BB123_3 Depth=1
	ds_load_b64 v[50:51], v7 offset:8832
	ds_load_b64 v[100:101], v66
	s_wait_dscnt 0x0
	v_fma_f64 v[2:3], -v[50:51], v[100:101], v[2:3]
.LBB123_655:                            ;   in Loop: Header=BB123_3 Depth=1
	s_or_b32 exec_lo, exec_lo, s41
	s_barrier_signal -1
	s_barrier_wait -1
	s_and_saveexec_b32 s41, s37
; %bb.656:                              ;   in Loop: Header=BB123_3 Depth=1
	s_delay_alu instid0(VALU_DEP_1) | instskip(NEXT) | instid1(VALU_DEP_2)
	v_xor_b32_e32 v51, 0x80000000, v3
	v_mov_b32_e32 v50, v2
	ds_store_b64 v66, v[50:51]
; %bb.657:                              ;   in Loop: Header=BB123_3 Depth=1
	s_or_b32 exec_lo, exec_lo, s41
	s_wait_dscnt 0x0
	s_barrier_signal -1
	s_barrier_wait -1
	s_barrier_signal -1
	s_barrier_wait -1
	s_and_saveexec_b32 s41, s4
; %bb.658:                              ;   in Loop: Header=BB123_3 Depth=1
	ds_store_b64 v72, v[2:3] offset:16000
; %bb.659:                              ;   in Loop: Header=BB123_3 Depth=1
	s_or_b32 exec_lo, exec_lo, s41
	s_wait_dscnt 0x0
	s_barrier_signal -1
	s_barrier_wait -1
	s_barrier_signal -1
	s_barrier_wait -1
	s_and_saveexec_b32 s41, s38
	s_cbranch_execz .LBB123_661
; %bb.660:                              ;   in Loop: Header=BB123_3 Depth=1
	ds_load_b64 v[2:3], v70 offset:12416
	s_wait_dscnt 0x0
	ds_store_b64 v71, v[2:3] offset:8384
	ds_load_b64 v[2:3], v70 offset:12424
	s_wait_dscnt 0x0
	ds_store_b64 v71, v[2:3] offset:8896
	;; [unrolled: 3-line block ×8, first 2 shown]
.LBB123_661:                            ;   in Loop: Header=BB123_3 Depth=1
	s_or_b32 exec_lo, exec_lo, s41
	s_wait_dscnt 0x0
	s_barrier_signal -1
	s_barrier_wait -1
	s_and_saveexec_b32 s41, s10
	s_cbranch_execz .LBB123_663
; %bb.662:                              ;   in Loop: Header=BB123_3 Depth=1
	ds_load_b64 v[2:3], v7 offset:11952
	v_mov_b32_e32 v0, v7
	ds_store_b64 v7, v[34:35] offset:11960
	s_wait_dscnt 0x1
	ds_store_b128 v7, v[0:3] offset:11440
.LBB123_663:                            ;   in Loop: Header=BB123_3 Depth=1
	s_or_b32 exec_lo, exec_lo, s41
	v_mov_b64_e32 v[2:3], 0
	s_wait_dscnt 0x0
	s_barrier_signal -1
	s_barrier_wait -1
	global_wb scope:SCOPE_DEV
	s_wait_storecnt 0x0
	global_inv scope:SCOPE_DEV
	s_and_saveexec_b32 s41, s1
	s_cbranch_execz .LBB123_667
; %bb.664:                              ;   in Loop: Header=BB123_3 Depth=1
	ds_load_b64 v[2:3], v54 offset:11424
	ds_load_b64 v[50:51], v53 offset:11952
	s_wait_dscnt 0x0
	v_fma_f64 v[2:3], v[2:3], v[50:51], 0
	s_and_saveexec_b32 s42, s11
	s_cbranch_execz .LBB123_666
; %bb.665:                              ;   in Loop: Header=BB123_3 Depth=1
	ds_load_b64 v[50:51], v71 offset:11936
	ds_load_b64 v[100:101], v7 offset:11960
	s_wait_dscnt 0x0
	v_fmac_f64_e32 v[2:3], v[50:51], v[100:101]
.LBB123_666:                            ;   in Loop: Header=BB123_3 Depth=1
	s_or_b32 exec_lo, exec_lo, s42
.LBB123_667:                            ;   in Loop: Header=BB123_3 Depth=1
	s_delay_alu instid0(SALU_CYCLE_1)
	s_or_b32 exec_lo, exec_lo, s41
	s_and_saveexec_b32 s41, s88
; %bb.668:                              ;   in Loop: Header=BB123_3 Depth=1
	s_delay_alu instid0(VALU_DEP_1) | instskip(NEXT) | instid1(VALU_DEP_2)
	v_xor_b32_e32 v51, 0x80000000, v3
	v_mov_b32_e32 v50, v2
	ds_store_b64 v52, v[50:51]
; %bb.669:                              ;   in Loop: Header=BB123_3 Depth=1
	s_or_b32 exec_lo, exec_lo, s41
	s_wait_loadcnt_dscnt 0x0
	s_barrier_signal -1
	s_barrier_wait -1
	s_and_saveexec_b32 s41, s89
	s_cbranch_execz .LBB123_671
; %bb.670:                              ;   in Loop: Header=BB123_3 Depth=1
	ds_load_b64 v[50:51], v7 offset:10912
	ds_load_b64 v[100:101], v52
	s_wait_dscnt 0x0
	v_fma_f64 v[2:3], -v[50:51], v[100:101], v[2:3]
.LBB123_671:                            ;   in Loop: Header=BB123_3 Depth=1
	s_or_b32 exec_lo, exec_lo, s41
	s_barrier_signal -1
	s_barrier_wait -1
	s_and_saveexec_b32 s41, s89
; %bb.672:                              ;   in Loop: Header=BB123_3 Depth=1
	s_delay_alu instid0(VALU_DEP_1) | instskip(NEXT) | instid1(VALU_DEP_2)
	v_xor_b32_e32 v51, 0x80000000, v3
	v_mov_b32_e32 v50, v2
	ds_store_b64 v52, v[50:51]
; %bb.673:                              ;   in Loop: Header=BB123_3 Depth=1
	s_or_b32 exec_lo, exec_lo, s41
	s_wait_dscnt 0x0
	s_barrier_signal -1
	s_barrier_wait -1
	s_barrier_signal -1
	s_barrier_wait -1
	s_and_saveexec_b32 s41, s1
; %bb.674:                              ;   in Loop: Header=BB123_3 Depth=1
	ds_store_b64 v56, v[2:3] offset:11936
; %bb.675:                              ;   in Loop: Header=BB123_3 Depth=1
	s_or_b32 exec_lo, exec_lo, s41
	s_wait_dscnt 0x0
	s_barrier_signal -1
	s_barrier_wait -1
	s_barrier_signal -1
	s_barrier_wait -1
	s_and_saveexec_b32 s41, s90
	s_cbranch_execz .LBB123_677
; %bb.676:                              ;   in Loop: Header=BB123_3 Depth=1
	ds_load_b64 v[2:3], v73 offset:11424
	s_wait_dscnt 0x0
	ds_store_b64 v71, v[2:3] offset:10416
	ds_load_b64 v[2:3], v73 offset:11432
	s_wait_dscnt 0x0
	ds_store_b64 v71, v[2:3] offset:10928
.LBB123_677:                            ;   in Loop: Header=BB123_3 Depth=1
	s_or_b32 exec_lo, exec_lo, s41
	s_wait_dscnt 0x0
	s_barrier_signal -1
	s_barrier_wait -1
	s_and_saveexec_b32 s41, s10
	s_cbranch_execz .LBB123_679
; %bb.678:                              ;   in Loop: Header=BB123_3 Depth=1
	ds_load_b64 v[2:3], v7 offset:10912
	v_mov_b32_e32 v0, v7
	ds_store_b64 v7, v[34:35] offset:10920
	s_wait_dscnt 0x1
	ds_store_b128 v7, v[0:3] offset:10400
.LBB123_679:                            ;   in Loop: Header=BB123_3 Depth=1
	s_or_b32 exec_lo, exec_lo, s41
	v_mov_b64_e32 v[2:3], 0
	s_wait_dscnt 0x0
	s_barrier_signal -1
	s_barrier_wait -1
	global_wb scope:SCOPE_DEV
	s_wait_storecnt 0x0
	global_inv scope:SCOPE_DEV
	s_and_saveexec_b32 s41, s3
	s_cbranch_execz .LBB123_685
; %bb.680:                              ;   in Loop: Header=BB123_3 Depth=1
	ds_load_b64 v[2:3], v60 offset:10368
	ds_load_b64 v[50:51], v59 offset:11936
	s_wait_dscnt 0x0
	v_fma_f64 v[2:3], v[2:3], v[50:51], 0
	s_and_saveexec_b32 s42, s12
	s_cbranch_execnz .LBB123_1101
; %bb.681:                              ;   in Loop: Header=BB123_3 Depth=1
	s_or_b32 exec_lo, exec_lo, s42
	s_and_saveexec_b32 s42, s13
	s_cbranch_execnz .LBB123_1102
.LBB123_682:                            ;   in Loop: Header=BB123_3 Depth=1
	s_or_b32 exec_lo, exec_lo, s42
	s_and_saveexec_b32 s42, s1
	s_cbranch_execz .LBB123_684
.LBB123_683:                            ;   in Loop: Header=BB123_3 Depth=1
	ds_load_b64 v[50:51], v5 offset:11904
	ds_load_b64 v[100:101], v7 offset:11960
	s_wait_dscnt 0x0
	v_fmac_f64_e32 v[2:3], v[50:51], v[100:101]
.LBB123_684:                            ;   in Loop: Header=BB123_3 Depth=1
	s_or_b32 exec_lo, exec_lo, s42
.LBB123_685:                            ;   in Loop: Header=BB123_3 Depth=1
	s_delay_alu instid0(SALU_CYCLE_1)
	s_or_b32 exec_lo, exec_lo, s41
	s_and_saveexec_b32 s41, s91
; %bb.686:                              ;   in Loop: Header=BB123_3 Depth=1
	s_delay_alu instid0(VALU_DEP_1) | instskip(NEXT) | instid1(VALU_DEP_2)
	v_xor_b32_e32 v51, 0x80000000, v3
	v_mov_b32_e32 v50, v2
	ds_store_b64 v58, v[50:51]
; %bb.687:                              ;   in Loop: Header=BB123_3 Depth=1
	s_or_b32 exec_lo, exec_lo, s41
	s_wait_loadcnt_dscnt 0x0
	s_barrier_signal -1
	s_barrier_wait -1
	s_and_saveexec_b32 s41, s92
	s_cbranch_execz .LBB123_689
; %bb.688:                              ;   in Loop: Header=BB123_3 Depth=1
	ds_load_b64 v[50:51], v60 offset:9856
	ds_load_b64 v[100:101], v58
	s_wait_dscnt 0x0
	v_fma_f64 v[2:3], -v[50:51], v[100:101], v[2:3]
.LBB123_689:                            ;   in Loop: Header=BB123_3 Depth=1
	s_or_b32 exec_lo, exec_lo, s41
	s_barrier_signal -1
	s_barrier_wait -1
	s_and_saveexec_b32 s41, s93
; %bb.690:                              ;   in Loop: Header=BB123_3 Depth=1
	s_delay_alu instid0(VALU_DEP_1) | instskip(NEXT) | instid1(VALU_DEP_2)
	v_xor_b32_e32 v51, 0x80000000, v3
	v_mov_b32_e32 v50, v2
	ds_store_b64 v58, v[50:51]
; %bb.691:                              ;   in Loop: Header=BB123_3 Depth=1
	s_or_b32 exec_lo, exec_lo, s41
	s_wait_dscnt 0x0
	s_barrier_signal -1
	s_barrier_wait -1
	s_and_saveexec_b32 s41, s94
	s_cbranch_execz .LBB123_693
; %bb.692:                              ;   in Loop: Header=BB123_3 Depth=1
	ds_load_b64 v[50:51], v60 offset:9344
	ds_load_b64 v[100:101], v58
	s_wait_dscnt 0x0
	v_fma_f64 v[2:3], -v[50:51], v[100:101], v[2:3]
.LBB123_693:                            ;   in Loop: Header=BB123_3 Depth=1
	s_or_b32 exec_lo, exec_lo, s41
	s_barrier_signal -1
	s_barrier_wait -1
	s_and_saveexec_b32 s41, s95
; %bb.694:                              ;   in Loop: Header=BB123_3 Depth=1
	s_delay_alu instid0(VALU_DEP_1) | instskip(NEXT) | instid1(VALU_DEP_2)
	v_xor_b32_e32 v51, 0x80000000, v3
	v_mov_b32_e32 v50, v2
	ds_store_b64 v58, v[50:51]
; %bb.695:                              ;   in Loop: Header=BB123_3 Depth=1
	s_or_b32 exec_lo, exec_lo, s41
	s_wait_dscnt 0x0
	;; [unrolled: 22-line block ×3, first 2 shown]
	s_barrier_signal -1
	s_barrier_wait -1
	s_barrier_signal -1
	s_barrier_wait -1
	s_and_saveexec_b32 s41, s3
; %bb.700:                              ;   in Loop: Header=BB123_3 Depth=1
	ds_store_b64 v63, v[2:3] offset:11904
; %bb.701:                              ;   in Loop: Header=BB123_3 Depth=1
	s_or_b32 exec_lo, exec_lo, s41
	s_wait_dscnt 0x0
	s_barrier_signal -1
	s_barrier_wait -1
	s_barrier_signal -1
	s_barrier_wait -1
	s_and_saveexec_b32 s41, s97
	s_cbranch_execz .LBB123_703
; %bb.702:                              ;   in Loop: Header=BB123_3 Depth=1
	ds_load_b64 v[2:3], v11 offset:10368
	s_wait_dscnt 0x0
	ds_store_b64 v84, v[2:3] offset:8352
	ds_load_b64 v[2:3], v11 offset:10376
	s_wait_dscnt 0x0
	ds_store_b64 v84, v[2:3] offset:8864
	;; [unrolled: 3-line block ×4, first 2 shown]
.LBB123_703:                            ;   in Loop: Header=BB123_3 Depth=1
	s_or_b32 exec_lo, exec_lo, s41
	s_wait_dscnt 0x0
	s_barrier_signal -1
	s_barrier_wait -1
	s_and_saveexec_b32 s41, s10
	s_cbranch_execz .LBB123_705
; %bb.704:                              ;   in Loop: Header=BB123_3 Depth=1
	ds_load_b64 v[2:3], v7 offset:9872
	v_mov_b32_e32 v0, v7
	ds_store_b64 v7, v[34:35] offset:9880
	s_wait_dscnt 0x1
	ds_store_b128 v7, v[0:3] offset:9360
.LBB123_705:                            ;   in Loop: Header=BB123_3 Depth=1
	s_or_b32 exec_lo, exec_lo, s41
	v_mov_b64_e32 v[2:3], 0
	s_wait_dscnt 0x0
	s_barrier_signal -1
	s_barrier_wait -1
	global_wb scope:SCOPE_DEV
	s_wait_storecnt 0x0
	global_inv scope:SCOPE_DEV
	s_and_saveexec_b32 s41, s1
	s_cbranch_execz .LBB123_709
; %bb.706:                              ;   in Loop: Header=BB123_3 Depth=1
	ds_load_b64 v[2:3], v54 offset:9344
	ds_load_b64 v[50:51], v53 offset:9872
	s_wait_dscnt 0x0
	v_fma_f64 v[2:3], v[2:3], v[50:51], 0
	s_and_saveexec_b32 s42, s11
	s_cbranch_execz .LBB123_708
; %bb.707:                              ;   in Loop: Header=BB123_3 Depth=1
	ds_load_b64 v[50:51], v84 offset:9856
	ds_load_b64 v[100:101], v7 offset:9880
	s_wait_dscnt 0x0
	v_fmac_f64_e32 v[2:3], v[50:51], v[100:101]
.LBB123_708:                            ;   in Loop: Header=BB123_3 Depth=1
	s_or_b32 exec_lo, exec_lo, s42
.LBB123_709:                            ;   in Loop: Header=BB123_3 Depth=1
	s_delay_alu instid0(SALU_CYCLE_1)
	s_or_b32 exec_lo, exec_lo, s41
	s_and_saveexec_b32 s41, s88
; %bb.710:                              ;   in Loop: Header=BB123_3 Depth=1
	s_delay_alu instid0(VALU_DEP_1) | instskip(NEXT) | instid1(VALU_DEP_2)
	v_xor_b32_e32 v51, 0x80000000, v3
	v_mov_b32_e32 v50, v2
	ds_store_b64 v52, v[50:51]
; %bb.711:                              ;   in Loop: Header=BB123_3 Depth=1
	s_or_b32 exec_lo, exec_lo, s41
	s_wait_loadcnt_dscnt 0x0
	s_barrier_signal -1
	s_barrier_wait -1
	s_and_saveexec_b32 s41, s89
	s_cbranch_execz .LBB123_713
; %bb.712:                              ;   in Loop: Header=BB123_3 Depth=1
	ds_load_b64 v[50:51], v7 offset:8832
	ds_load_b64 v[100:101], v52
	s_wait_dscnt 0x0
	v_fma_f64 v[2:3], -v[50:51], v[100:101], v[2:3]
.LBB123_713:                            ;   in Loop: Header=BB123_3 Depth=1
	s_or_b32 exec_lo, exec_lo, s41
	s_barrier_signal -1
	s_barrier_wait -1
	s_and_saveexec_b32 s41, s89
; %bb.714:                              ;   in Loop: Header=BB123_3 Depth=1
	s_delay_alu instid0(VALU_DEP_1) | instskip(NEXT) | instid1(VALU_DEP_2)
	v_xor_b32_e32 v51, 0x80000000, v3
	v_mov_b32_e32 v50, v2
	ds_store_b64 v52, v[50:51]
; %bb.715:                              ;   in Loop: Header=BB123_3 Depth=1
	s_or_b32 exec_lo, exec_lo, s41
	s_wait_dscnt 0x0
	s_barrier_signal -1
	s_barrier_wait -1
	s_barrier_signal -1
	s_barrier_wait -1
	s_and_saveexec_b32 s41, s1
; %bb.716:                              ;   in Loop: Header=BB123_3 Depth=1
	ds_store_b64 v56, v[2:3] offset:9856
; %bb.717:                              ;   in Loop: Header=BB123_3 Depth=1
	s_or_b32 exec_lo, exec_lo, s41
	s_wait_dscnt 0x0
	s_barrier_signal -1
	s_barrier_wait -1
	s_barrier_signal -1
	s_barrier_wait -1
	s_and_saveexec_b32 s41, s90
	s_cbranch_execz .LBB123_719
; %bb.718:                              ;   in Loop: Header=BB123_3 Depth=1
	ds_load_b64 v[2:3], v88 offset:9344
	s_wait_dscnt 0x0
	ds_store_b64 v84, v[2:3] offset:8336
	ds_load_b64 v[2:3], v88 offset:9352
	s_wait_dscnt 0x0
	ds_store_b64 v84, v[2:3] offset:8848
.LBB123_719:                            ;   in Loop: Header=BB123_3 Depth=1
	s_or_b32 exec_lo, exec_lo, s41
	s_wait_dscnt 0x0
	s_barrier_signal -1
	s_barrier_wait -1
	s_and_saveexec_b32 s41, s10
	s_cbranch_execz .LBB123_721
; %bb.720:                              ;   in Loop: Header=BB123_3 Depth=1
	ds_load_b64 v[2:3], v7 offset:8832
	v_mov_b32_e32 v0, v7
	ds_store_b64 v7, v[34:35] offset:8840
	s_wait_dscnt 0x1
	ds_store_b128 v7, v[0:3] offset:8320
.LBB123_721:                            ;   in Loop: Header=BB123_3 Depth=1
	s_or_b32 exec_lo, exec_lo, s41
	v_mov_b64_e32 v[2:3], 0
	s_wait_dscnt 0x0
	s_barrier_signal -1
	s_barrier_wait -1
	global_wb scope:SCOPE_DEV
	s_wait_storecnt 0x0
	global_inv scope:SCOPE_DEV
	s_and_saveexec_b32 s61, s5
	s_cbranch_execz .LBB123_749
; %bb.722:                              ;   in Loop: Header=BB123_3 Depth=1
	ds_load_b64 v[2:3], v76 offset:8192
	ds_load_b64 v[50:51], v75 offset:16000
	s_wait_dscnt 0x0
	v_fma_f64 v[2:3], v[2:3], v[50:51], 0
	s_mov_b32 s41, exec_lo
	v_readlane_b32 s42, v108, 17
	s_and_b32 s42, s41, s42
	s_delay_alu instid0(SALU_CYCLE_1)
	s_mov_b32 exec_lo, s42
	s_cbranch_execz .LBB123_724
; %bb.723:                              ;   in Loop: Header=BB123_3 Depth=1
	ds_load_b64 v[50:51], v76 offset:8704
	ds_load_b64 v[100:101], v75 offset:16008
	s_wait_dscnt 0x0
	v_fmac_f64_e32 v[2:3], v[50:51], v[100:101]
.LBB123_724:                            ;   in Loop: Header=BB123_3 Depth=1
	s_or_b32 exec_lo, exec_lo, s41
	s_delay_alu instid0(SALU_CYCLE_1) | instskip(SKIP_2) | instid1(SALU_CYCLE_1)
	s_mov_b32 s41, exec_lo
	v_readlane_b32 s42, v108, 18
	s_and_b32 s42, s41, s42
	s_mov_b32 exec_lo, s42
	s_cbranch_execz .LBB123_726
; %bb.725:                              ;   in Loop: Header=BB123_3 Depth=1
	ds_load_b64 v[50:51], v76 offset:9216
	ds_load_b64 v[100:101], v75 offset:16016
	s_wait_dscnt 0x0
	v_fmac_f64_e32 v[2:3], v[50:51], v[100:101]
.LBB123_726:                            ;   in Loop: Header=BB123_3 Depth=1
	s_or_b32 exec_lo, exec_lo, s41
	s_delay_alu instid0(SALU_CYCLE_1) | instskip(SKIP_2) | instid1(SALU_CYCLE_1)
	s_mov_b32 s41, exec_lo
	v_readlane_b32 s42, v108, 19
	s_and_b32 s42, s41, s42
	;; [unrolled: 13-line block ×10, first 2 shown]
	s_mov_b32 exec_lo, s42
	s_cbranch_execnz .LBB123_1103
; %bb.743:                              ;   in Loop: Header=BB123_3 Depth=1
	s_or_b32 exec_lo, exec_lo, s41
	s_and_saveexec_b32 s41, s4
	s_cbranch_execnz .LBB123_1104
.LBB123_744:                            ;   in Loop: Header=BB123_3 Depth=1
	s_or_b32 exec_lo, exec_lo, s41
	s_and_saveexec_b32 s41, s15
	s_cbranch_execnz .LBB123_1105
.LBB123_745:                            ;   in Loop: Header=BB123_3 Depth=1
	s_or_b32 exec_lo, exec_lo, s41
	s_and_saveexec_b32 s41, s17
	s_cbranch_execnz .LBB123_1106
.LBB123_746:                            ;   in Loop: Header=BB123_3 Depth=1
	s_or_b32 exec_lo, exec_lo, s41
	s_and_saveexec_b32 s41, s3
	s_cbranch_execz .LBB123_748
.LBB123_747:                            ;   in Loop: Header=BB123_3 Depth=1
	ds_load_b64 v[50:51], v55 offset:15872
	ds_load_b64 v[100:101], v7 offset:16120
	s_wait_dscnt 0x0
	v_fmac_f64_e32 v[2:3], v[50:51], v[100:101]
.LBB123_748:                            ;   in Loop: Header=BB123_3 Depth=1
	s_or_b32 exec_lo, exec_lo, s41
.LBB123_749:                            ;   in Loop: Header=BB123_3 Depth=1
	s_delay_alu instid0(SALU_CYCLE_1) | instskip(NEXT) | instid1(SALU_CYCLE_1)
	s_or_b32 exec_lo, exec_lo, s61
	s_mov_b32 s41, exec_lo
	v_readlane_b32 s42, v108, 2
	s_and_b32 s42, s41, s42
	s_delay_alu instid0(SALU_CYCLE_1)
	s_mov_b32 exec_lo, s42
; %bb.750:                              ;   in Loop: Header=BB123_3 Depth=1
	v_xor_b32_e32 v51, 0x80000000, v3
	v_mov_b32_e32 v50, v2
	ds_store_b64 v74, v[50:51]
; %bb.751:                              ;   in Loop: Header=BB123_3 Depth=1
	s_or_b32 exec_lo, exec_lo, s41
	s_wait_loadcnt_dscnt 0x0
	s_barrier_signal -1
	s_barrier_wait -1
	s_mov_b32 s41, exec_lo
	v_readlane_b32 s42, v108, 3
	s_and_b32 s42, s41, s42
	s_delay_alu instid0(SALU_CYCLE_1)
	s_mov_b32 exec_lo, s42
	s_cbranch_execz .LBB123_753
; %bb.752:                              ;   in Loop: Header=BB123_3 Depth=1
	ds_load_b64 v[50:51], v76 offset:7680
	ds_load_b64 v[100:101], v74
	s_wait_dscnt 0x0
	v_fma_f64 v[2:3], -v[50:51], v[100:101], v[2:3]
.LBB123_753:                            ;   in Loop: Header=BB123_3 Depth=1
	s_or_b32 exec_lo, exec_lo, s41
	s_barrier_signal -1
	s_barrier_wait -1
	s_mov_b32 s41, exec_lo
	v_readlane_b32 s42, v108, 4
	s_and_b32 s42, s41, s42
	s_delay_alu instid0(SALU_CYCLE_1)
	s_mov_b32 exec_lo, s42
; %bb.754:                              ;   in Loop: Header=BB123_3 Depth=1
	v_xor_b32_e32 v51, 0x80000000, v3
	v_mov_b32_e32 v50, v2
	ds_store_b64 v74, v[50:51]
; %bb.755:                              ;   in Loop: Header=BB123_3 Depth=1
	s_or_b32 exec_lo, exec_lo, s41
	s_wait_dscnt 0x0
	s_barrier_signal -1
	s_barrier_wait -1
	s_mov_b32 s41, exec_lo
	v_readlane_b32 s42, v108, 5
	s_and_b32 s42, s41, s42
	s_delay_alu instid0(SALU_CYCLE_1)
	s_mov_b32 exec_lo, s42
	s_cbranch_execz .LBB123_757
; %bb.756:                              ;   in Loop: Header=BB123_3 Depth=1
	ds_load_b64 v[50:51], v76 offset:7168
	ds_load_b64 v[100:101], v74
	s_wait_dscnt 0x0
	v_fma_f64 v[2:3], -v[50:51], v[100:101], v[2:3]
.LBB123_757:                            ;   in Loop: Header=BB123_3 Depth=1
	s_or_b32 exec_lo, exec_lo, s41
	s_barrier_signal -1
	s_barrier_wait -1
	s_mov_b32 s41, exec_lo
	v_readlane_b32 s42, v108, 6
	s_and_b32 s42, s41, s42
	s_delay_alu instid0(SALU_CYCLE_1)
	s_mov_b32 exec_lo, s42
; %bb.758:                              ;   in Loop: Header=BB123_3 Depth=1
	v_xor_b32_e32 v51, 0x80000000, v3
	v_mov_b32_e32 v50, v2
	ds_store_b64 v74, v[50:51]
; %bb.759:                              ;   in Loop: Header=BB123_3 Depth=1
	s_or_b32 exec_lo, exec_lo, s41
	s_wait_dscnt 0x0
	s_barrier_signal -1
	s_barrier_wait -1
	s_and_saveexec_b32 s41, s44
	s_cbranch_execz .LBB123_761
; %bb.760:                              ;   in Loop: Header=BB123_3 Depth=1
	ds_load_b64 v[50:51], v76 offset:6656
	ds_load_b64 v[100:101], v74
	s_wait_dscnt 0x0
	v_fma_f64 v[2:3], -v[50:51], v[100:101], v[2:3]
.LBB123_761:                            ;   in Loop: Header=BB123_3 Depth=1
	s_or_b32 exec_lo, exec_lo, s41
	s_barrier_signal -1
	s_barrier_wait -1
	s_and_saveexec_b32 s41, s45
; %bb.762:                              ;   in Loop: Header=BB123_3 Depth=1
	s_delay_alu instid0(VALU_DEP_1) | instskip(NEXT) | instid1(VALU_DEP_2)
	v_xor_b32_e32 v51, 0x80000000, v3
	v_mov_b32_e32 v50, v2
	ds_store_b64 v74, v[50:51]
; %bb.763:                              ;   in Loop: Header=BB123_3 Depth=1
	s_or_b32 exec_lo, exec_lo, s41
	s_wait_dscnt 0x0
	s_barrier_signal -1
	s_barrier_wait -1
	s_and_saveexec_b32 s41, s46
	s_cbranch_execz .LBB123_765
; %bb.764:                              ;   in Loop: Header=BB123_3 Depth=1
	ds_load_b64 v[50:51], v76 offset:6144
	ds_load_b64 v[100:101], v74
	s_wait_dscnt 0x0
	v_fma_f64 v[2:3], -v[50:51], v[100:101], v[2:3]
.LBB123_765:                            ;   in Loop: Header=BB123_3 Depth=1
	s_or_b32 exec_lo, exec_lo, s41
	s_barrier_signal -1
	s_barrier_wait -1
	s_and_saveexec_b32 s41, s47
; %bb.766:                              ;   in Loop: Header=BB123_3 Depth=1
	s_delay_alu instid0(VALU_DEP_1) | instskip(NEXT) | instid1(VALU_DEP_2)
	;; [unrolled: 22-line block ×13, first 2 shown]
	v_xor_b32_e32 v51, 0x80000000, v3
	v_mov_b32_e32 v50, v2
	ds_store_b64 v74, v[50:51]
; %bb.811:                              ;   in Loop: Header=BB123_3 Depth=1
	s_or_b32 exec_lo, exec_lo, s41
	s_wait_dscnt 0x0
	s_barrier_signal -1
	s_barrier_wait -1
	s_barrier_signal -1
	s_barrier_wait -1
	s_and_saveexec_b32 s41, s5
; %bb.812:                              ;   in Loop: Header=BB123_3 Depth=1
	ds_store_b64 v78, v[2:3] offset:15872
; %bb.813:                              ;   in Loop: Header=BB123_3 Depth=1
	s_or_b32 exec_lo, exec_lo, s41
	s_wait_dscnt 0x0
	s_barrier_signal -1
	s_barrier_wait -1
	s_barrier_signal -1
	s_barrier_wait -1
	s_and_saveexec_b32 s41, s28
	s_cbranch_execz .LBB123_815
; %bb.814:                              ;   in Loop: Header=BB123_3 Depth=1
	ds_load_b64 v[2:3], v57 offset:8192
	s_wait_dscnt 0x0
	ds_store_b64 v61, v[2:3] offset:128
	ds_load_b64 v[2:3], v57 offset:8200
	s_wait_dscnt 0x0
	ds_store_b64 v61, v[2:3] offset:640
	;; [unrolled: 3-line block ×16, first 2 shown]
.LBB123_815:                            ;   in Loop: Header=BB123_3 Depth=1
	s_or_b32 exec_lo, exec_lo, s41
	s_wait_dscnt 0x0
	s_barrier_signal -1
	s_barrier_wait -1
	s_and_saveexec_b32 s41, s10
	s_cbranch_execz .LBB123_817
; %bb.816:                              ;   in Loop: Header=BB123_3 Depth=1
	ds_load_b64 v[2:3], v7 offset:7792
	v_mov_b32_e32 v0, v7
	ds_store_b64 v7, v[34:35] offset:7800
	s_wait_dscnt 0x1
	ds_store_b128 v7, v[0:3] offset:7280
.LBB123_817:                            ;   in Loop: Header=BB123_3 Depth=1
	s_or_b32 exec_lo, exec_lo, s41
	v_mov_b64_e32 v[2:3], 0
	s_wait_dscnt 0x0
	s_barrier_signal -1
	s_barrier_wait -1
	global_wb scope:SCOPE_DEV
	s_wait_storecnt 0x0
	global_inv scope:SCOPE_DEV
	s_and_saveexec_b32 s41, s1
	s_cbranch_execz .LBB123_821
; %bb.818:                              ;   in Loop: Header=BB123_3 Depth=1
	ds_load_b64 v[2:3], v54 offset:7264
	ds_load_b64 v[50:51], v53 offset:7792
	s_wait_dscnt 0x0
	v_fma_f64 v[2:3], v[2:3], v[50:51], 0
	s_and_saveexec_b32 s42, s11
	s_cbranch_execz .LBB123_820
; %bb.819:                              ;   in Loop: Header=BB123_3 Depth=1
	ds_load_b64 v[50:51], v55 offset:7776
	ds_load_b64 v[100:101], v7 offset:7800
	s_wait_dscnt 0x0
	v_fmac_f64_e32 v[2:3], v[50:51], v[100:101]
.LBB123_820:                            ;   in Loop: Header=BB123_3 Depth=1
	s_or_b32 exec_lo, exec_lo, s42
.LBB123_821:                            ;   in Loop: Header=BB123_3 Depth=1
	s_delay_alu instid0(SALU_CYCLE_1)
	s_or_b32 exec_lo, exec_lo, s41
	s_and_saveexec_b32 s41, s88
; %bb.822:                              ;   in Loop: Header=BB123_3 Depth=1
	s_delay_alu instid0(VALU_DEP_1) | instskip(NEXT) | instid1(VALU_DEP_2)
	v_xor_b32_e32 v51, 0x80000000, v3
	v_mov_b32_e32 v50, v2
	ds_store_b64 v52, v[50:51]
; %bb.823:                              ;   in Loop: Header=BB123_3 Depth=1
	s_or_b32 exec_lo, exec_lo, s41
	s_wait_loadcnt_dscnt 0x0
	s_barrier_signal -1
	s_barrier_wait -1
	s_and_saveexec_b32 s41, s89
	s_cbranch_execz .LBB123_825
; %bb.824:                              ;   in Loop: Header=BB123_3 Depth=1
	ds_load_b64 v[50:51], v7 offset:6752
	ds_load_b64 v[100:101], v52
	s_wait_dscnt 0x0
	v_fma_f64 v[2:3], -v[50:51], v[100:101], v[2:3]
.LBB123_825:                            ;   in Loop: Header=BB123_3 Depth=1
	s_or_b32 exec_lo, exec_lo, s41
	s_barrier_signal -1
	s_barrier_wait -1
	s_and_saveexec_b32 s41, s89
; %bb.826:                              ;   in Loop: Header=BB123_3 Depth=1
	s_delay_alu instid0(VALU_DEP_1) | instskip(NEXT) | instid1(VALU_DEP_2)
	v_xor_b32_e32 v51, 0x80000000, v3
	v_mov_b32_e32 v50, v2
	ds_store_b64 v52, v[50:51]
; %bb.827:                              ;   in Loop: Header=BB123_3 Depth=1
	s_or_b32 exec_lo, exec_lo, s41
	s_wait_dscnt 0x0
	s_barrier_signal -1
	s_barrier_wait -1
	s_barrier_signal -1
	s_barrier_wait -1
	s_and_saveexec_b32 s41, s1
; %bb.828:                              ;   in Loop: Header=BB123_3 Depth=1
	ds_store_b64 v56, v[2:3] offset:7776
; %bb.829:                              ;   in Loop: Header=BB123_3 Depth=1
	s_or_b32 exec_lo, exec_lo, s41
	s_wait_dscnt 0x0
	s_barrier_signal -1
	s_barrier_wait -1
	s_barrier_signal -1
	s_barrier_wait -1
	s_and_saveexec_b32 s41, s90
	s_cbranch_execz .LBB123_831
; %bb.830:                              ;   in Loop: Header=BB123_3 Depth=1
	ds_load_b64 v[2:3], v57 offset:7264
	s_wait_dscnt 0x0
	ds_store_b64 v55, v[2:3] offset:6256
	ds_load_b64 v[2:3], v57 offset:7272
	s_wait_dscnt 0x0
	ds_store_b64 v55, v[2:3] offset:6768
.LBB123_831:                            ;   in Loop: Header=BB123_3 Depth=1
	s_or_b32 exec_lo, exec_lo, s41
	s_wait_dscnt 0x0
	s_barrier_signal -1
	s_barrier_wait -1
	s_and_saveexec_b32 s41, s10
	s_cbranch_execz .LBB123_833
; %bb.832:                              ;   in Loop: Header=BB123_3 Depth=1
	ds_load_b64 v[2:3], v7 offset:6752
	v_mov_b32_e32 v0, v7
	ds_store_b64 v7, v[34:35] offset:6760
	s_wait_dscnt 0x1
	ds_store_b128 v7, v[0:3] offset:6240
.LBB123_833:                            ;   in Loop: Header=BB123_3 Depth=1
	s_or_b32 exec_lo, exec_lo, s41
	v_mov_b64_e32 v[2:3], 0
	s_wait_dscnt 0x0
	s_barrier_signal -1
	s_barrier_wait -1
	global_wb scope:SCOPE_DEV
	s_wait_storecnt 0x0
	global_inv scope:SCOPE_DEV
	s_and_saveexec_b32 s41, s3
	s_cbranch_execz .LBB123_839
; %bb.834:                              ;   in Loop: Header=BB123_3 Depth=1
	ds_load_b64 v[2:3], v60 offset:6208
	ds_load_b64 v[50:51], v59 offset:7776
	s_wait_dscnt 0x0
	v_fma_f64 v[2:3], v[2:3], v[50:51], 0
	s_and_saveexec_b32 s42, s12
	s_cbranch_execnz .LBB123_1107
; %bb.835:                              ;   in Loop: Header=BB123_3 Depth=1
	s_or_b32 exec_lo, exec_lo, s42
	s_and_saveexec_b32 s42, s13
	s_cbranch_execnz .LBB123_1108
.LBB123_836:                            ;   in Loop: Header=BB123_3 Depth=1
	s_or_b32 exec_lo, exec_lo, s42
	s_and_saveexec_b32 s42, s1
	s_cbranch_execz .LBB123_838
.LBB123_837:                            ;   in Loop: Header=BB123_3 Depth=1
	ds_load_b64 v[50:51], v61 offset:7744
	ds_load_b64 v[100:101], v7 offset:7800
	s_wait_dscnt 0x0
	v_fmac_f64_e32 v[2:3], v[50:51], v[100:101]
.LBB123_838:                            ;   in Loop: Header=BB123_3 Depth=1
	s_or_b32 exec_lo, exec_lo, s42
.LBB123_839:                            ;   in Loop: Header=BB123_3 Depth=1
	s_delay_alu instid0(SALU_CYCLE_1)
	s_or_b32 exec_lo, exec_lo, s41
	s_and_saveexec_b32 s41, s91
; %bb.840:                              ;   in Loop: Header=BB123_3 Depth=1
	s_delay_alu instid0(VALU_DEP_1) | instskip(NEXT) | instid1(VALU_DEP_2)
	v_xor_b32_e32 v51, 0x80000000, v3
	v_mov_b32_e32 v50, v2
	ds_store_b64 v58, v[50:51]
; %bb.841:                              ;   in Loop: Header=BB123_3 Depth=1
	s_or_b32 exec_lo, exec_lo, s41
	s_wait_loadcnt_dscnt 0x0
	s_barrier_signal -1
	s_barrier_wait -1
	s_and_saveexec_b32 s41, s92
	s_cbranch_execz .LBB123_843
; %bb.842:                              ;   in Loop: Header=BB123_3 Depth=1
	ds_load_b64 v[50:51], v60 offset:5696
	ds_load_b64 v[100:101], v58
	s_wait_dscnt 0x0
	v_fma_f64 v[2:3], -v[50:51], v[100:101], v[2:3]
.LBB123_843:                            ;   in Loop: Header=BB123_3 Depth=1
	s_or_b32 exec_lo, exec_lo, s41
	s_barrier_signal -1
	s_barrier_wait -1
	s_and_saveexec_b32 s41, s93
; %bb.844:                              ;   in Loop: Header=BB123_3 Depth=1
	s_delay_alu instid0(VALU_DEP_1) | instskip(NEXT) | instid1(VALU_DEP_2)
	v_xor_b32_e32 v51, 0x80000000, v3
	v_mov_b32_e32 v50, v2
	ds_store_b64 v58, v[50:51]
; %bb.845:                              ;   in Loop: Header=BB123_3 Depth=1
	s_or_b32 exec_lo, exec_lo, s41
	s_wait_dscnt 0x0
	s_barrier_signal -1
	s_barrier_wait -1
	s_and_saveexec_b32 s41, s94
	s_cbranch_execz .LBB123_847
; %bb.846:                              ;   in Loop: Header=BB123_3 Depth=1
	ds_load_b64 v[50:51], v60 offset:5184
	ds_load_b64 v[100:101], v58
	s_wait_dscnt 0x0
	v_fma_f64 v[2:3], -v[50:51], v[100:101], v[2:3]
.LBB123_847:                            ;   in Loop: Header=BB123_3 Depth=1
	s_or_b32 exec_lo, exec_lo, s41
	s_barrier_signal -1
	s_barrier_wait -1
	s_and_saveexec_b32 s41, s95
; %bb.848:                              ;   in Loop: Header=BB123_3 Depth=1
	s_delay_alu instid0(VALU_DEP_1) | instskip(NEXT) | instid1(VALU_DEP_2)
	v_xor_b32_e32 v51, 0x80000000, v3
	v_mov_b32_e32 v50, v2
	ds_store_b64 v58, v[50:51]
; %bb.849:                              ;   in Loop: Header=BB123_3 Depth=1
	s_or_b32 exec_lo, exec_lo, s41
	s_wait_dscnt 0x0
	;; [unrolled: 22-line block ×3, first 2 shown]
	s_barrier_signal -1
	s_barrier_wait -1
	s_barrier_signal -1
	s_barrier_wait -1
	s_and_saveexec_b32 s41, s3
; %bb.854:                              ;   in Loop: Header=BB123_3 Depth=1
	ds_store_b64 v63, v[2:3] offset:7744
; %bb.855:                              ;   in Loop: Header=BB123_3 Depth=1
	s_or_b32 exec_lo, exec_lo, s41
	s_wait_dscnt 0x0
	s_barrier_signal -1
	s_barrier_wait -1
	s_barrier_signal -1
	s_barrier_wait -1
	s_and_saveexec_b32 s41, s97
	s_cbranch_execz .LBB123_857
; %bb.856:                              ;   in Loop: Header=BB123_3 Depth=1
	ds_load_b64 v[2:3], v62 offset:6208
	s_wait_dscnt 0x0
	ds_store_b64 v64, v[2:3] offset:4192
	ds_load_b64 v[2:3], v62 offset:6216
	s_wait_dscnt 0x0
	ds_store_b64 v64, v[2:3] offset:4704
	;; [unrolled: 3-line block ×4, first 2 shown]
.LBB123_857:                            ;   in Loop: Header=BB123_3 Depth=1
	s_or_b32 exec_lo, exec_lo, s41
	s_wait_dscnt 0x0
	s_barrier_signal -1
	s_barrier_wait -1
	s_and_saveexec_b32 s41, s10
	s_cbranch_execz .LBB123_859
; %bb.858:                              ;   in Loop: Header=BB123_3 Depth=1
	ds_load_b64 v[2:3], v7 offset:5712
	v_mov_b32_e32 v0, v7
	ds_store_b64 v7, v[34:35] offset:5720
	s_wait_dscnt 0x1
	ds_store_b128 v7, v[0:3] offset:5200
.LBB123_859:                            ;   in Loop: Header=BB123_3 Depth=1
	s_or_b32 exec_lo, exec_lo, s41
	v_mov_b64_e32 v[2:3], 0
	s_wait_dscnt 0x0
	s_barrier_signal -1
	s_barrier_wait -1
	global_wb scope:SCOPE_DEV
	s_wait_storecnt 0x0
	global_inv scope:SCOPE_DEV
	s_and_saveexec_b32 s41, s1
	s_cbranch_execz .LBB123_863
; %bb.860:                              ;   in Loop: Header=BB123_3 Depth=1
	ds_load_b64 v[2:3], v54 offset:5184
	ds_load_b64 v[50:51], v53 offset:5712
	s_wait_dscnt 0x0
	v_fma_f64 v[2:3], v[2:3], v[50:51], 0
	s_and_saveexec_b32 s42, s11
	s_cbranch_execz .LBB123_862
; %bb.861:                              ;   in Loop: Header=BB123_3 Depth=1
	ds_load_b64 v[50:51], v64 offset:5696
	ds_load_b64 v[100:101], v7 offset:5720
	s_wait_dscnt 0x0
	v_fmac_f64_e32 v[2:3], v[50:51], v[100:101]
.LBB123_862:                            ;   in Loop: Header=BB123_3 Depth=1
	s_or_b32 exec_lo, exec_lo, s42
.LBB123_863:                            ;   in Loop: Header=BB123_3 Depth=1
	s_delay_alu instid0(SALU_CYCLE_1)
	s_or_b32 exec_lo, exec_lo, s41
	s_and_saveexec_b32 s41, s88
; %bb.864:                              ;   in Loop: Header=BB123_3 Depth=1
	s_delay_alu instid0(VALU_DEP_1) | instskip(NEXT) | instid1(VALU_DEP_2)
	v_xor_b32_e32 v51, 0x80000000, v3
	v_mov_b32_e32 v50, v2
	ds_store_b64 v52, v[50:51]
; %bb.865:                              ;   in Loop: Header=BB123_3 Depth=1
	s_or_b32 exec_lo, exec_lo, s41
	s_wait_loadcnt_dscnt 0x0
	s_barrier_signal -1
	s_barrier_wait -1
	s_and_saveexec_b32 s41, s89
	s_cbranch_execz .LBB123_867
; %bb.866:                              ;   in Loop: Header=BB123_3 Depth=1
	ds_load_b64 v[50:51], v7 offset:4672
	ds_load_b64 v[100:101], v52
	s_wait_dscnt 0x0
	v_fma_f64 v[2:3], -v[50:51], v[100:101], v[2:3]
.LBB123_867:                            ;   in Loop: Header=BB123_3 Depth=1
	s_or_b32 exec_lo, exec_lo, s41
	s_barrier_signal -1
	s_barrier_wait -1
	s_and_saveexec_b32 s41, s89
; %bb.868:                              ;   in Loop: Header=BB123_3 Depth=1
	s_delay_alu instid0(VALU_DEP_1) | instskip(NEXT) | instid1(VALU_DEP_2)
	v_xor_b32_e32 v51, 0x80000000, v3
	v_mov_b32_e32 v50, v2
	ds_store_b64 v52, v[50:51]
; %bb.869:                              ;   in Loop: Header=BB123_3 Depth=1
	s_or_b32 exec_lo, exec_lo, s41
	s_wait_dscnt 0x0
	s_barrier_signal -1
	s_barrier_wait -1
	s_barrier_signal -1
	s_barrier_wait -1
	s_and_saveexec_b32 s41, s1
; %bb.870:                              ;   in Loop: Header=BB123_3 Depth=1
	ds_store_b64 v56, v[2:3] offset:5696
; %bb.871:                              ;   in Loop: Header=BB123_3 Depth=1
	s_or_b32 exec_lo, exec_lo, s41
	s_wait_dscnt 0x0
	s_barrier_signal -1
	s_barrier_wait -1
	s_barrier_signal -1
	s_barrier_wait -1
	s_and_saveexec_b32 s41, s90
	s_cbranch_execz .LBB123_873
; %bb.872:                              ;   in Loop: Header=BB123_3 Depth=1
	ds_load_b64 v[2:3], v65 offset:5184
	s_wait_dscnt 0x0
	ds_store_b64 v64, v[2:3] offset:4176
	ds_load_b64 v[2:3], v65 offset:5192
	s_wait_dscnt 0x0
	ds_store_b64 v64, v[2:3] offset:4688
.LBB123_873:                            ;   in Loop: Header=BB123_3 Depth=1
	s_or_b32 exec_lo, exec_lo, s41
	s_wait_dscnt 0x0
	s_barrier_signal -1
	s_barrier_wait -1
	s_and_saveexec_b32 s41, s10
	s_cbranch_execz .LBB123_875
; %bb.874:                              ;   in Loop: Header=BB123_3 Depth=1
	ds_load_b64 v[2:3], v7 offset:4672
	v_mov_b32_e32 v0, v7
	ds_store_b64 v7, v[34:35] offset:4680
	s_wait_dscnt 0x1
	ds_store_b128 v7, v[0:3] offset:4160
.LBB123_875:                            ;   in Loop: Header=BB123_3 Depth=1
	s_or_b32 exec_lo, exec_lo, s41
	v_mov_b64_e32 v[2:3], 0
	s_wait_dscnt 0x0
	s_barrier_signal -1
	s_barrier_wait -1
	global_wb scope:SCOPE_DEV
	s_wait_storecnt 0x0
	global_inv scope:SCOPE_DEV
	s_and_saveexec_b32 s41, s4
	s_cbranch_execz .LBB123_885
; %bb.876:                              ;   in Loop: Header=BB123_3 Depth=1
	ds_load_b64 v[2:3], v68 offset:4096
	ds_load_b64 v[50:51], v67 offset:7744
	s_wait_dscnt 0x0
	v_fma_f64 v[2:3], v[2:3], v[50:51], 0
	s_and_saveexec_b32 s42, s14
	s_cbranch_execnz .LBB123_1109
; %bb.877:                              ;   in Loop: Header=BB123_3 Depth=1
	s_or_b32 exec_lo, exec_lo, s42
	s_and_saveexec_b32 s42, s15
	s_cbranch_execnz .LBB123_1110
.LBB123_878:                            ;   in Loop: Header=BB123_3 Depth=1
	s_or_b32 exec_lo, exec_lo, s42
	s_and_saveexec_b32 s42, s16
	s_cbranch_execnz .LBB123_1111
.LBB123_879:                            ;   in Loop: Header=BB123_3 Depth=1
	s_or_b32 exec_lo, exec_lo, s42
	s_and_saveexec_b32 s42, s17
	s_cbranch_execnz .LBB123_1112
.LBB123_880:                            ;   in Loop: Header=BB123_3 Depth=1
	s_or_b32 exec_lo, exec_lo, s42
	s_and_saveexec_b32 s42, s18
	s_cbranch_execnz .LBB123_1113
.LBB123_881:                            ;   in Loop: Header=BB123_3 Depth=1
	s_or_b32 exec_lo, exec_lo, s42
	s_and_saveexec_b32 s42, s3
	s_cbranch_execnz .LBB123_1114
.LBB123_882:                            ;   in Loop: Header=BB123_3 Depth=1
	s_or_b32 exec_lo, exec_lo, s42
	s_and_saveexec_b32 s42, s13
	s_cbranch_execz .LBB123_884
.LBB123_883:                            ;   in Loop: Header=BB123_3 Depth=1
	ds_load_b64 v[50:51], v69 offset:7680
	ds_load_b64 v[100:101], v7 offset:7800
	s_wait_dscnt 0x0
	v_fmac_f64_e32 v[2:3], v[50:51], v[100:101]
.LBB123_884:                            ;   in Loop: Header=BB123_3 Depth=1
	s_or_b32 exec_lo, exec_lo, s42
.LBB123_885:                            ;   in Loop: Header=BB123_3 Depth=1
	s_delay_alu instid0(SALU_CYCLE_1)
	s_or_b32 exec_lo, exec_lo, s41
	s_and_saveexec_b32 s41, s98
; %bb.886:                              ;   in Loop: Header=BB123_3 Depth=1
	s_delay_alu instid0(VALU_DEP_1) | instskip(NEXT) | instid1(VALU_DEP_2)
	v_xor_b32_e32 v51, 0x80000000, v3
	v_mov_b32_e32 v50, v2
	ds_store_b64 v66, v[50:51]
; %bb.887:                              ;   in Loop: Header=BB123_3 Depth=1
	s_or_b32 exec_lo, exec_lo, s41
	s_wait_loadcnt_dscnt 0x0
	s_barrier_signal -1
	s_barrier_wait -1
	s_and_saveexec_b32 s41, s99
	s_cbranch_execz .LBB123_889
; %bb.888:                              ;   in Loop: Header=BB123_3 Depth=1
	ds_load_b64 v[50:51], v68 offset:3584
	ds_load_b64 v[100:101], v66
	s_wait_dscnt 0x0
	v_fma_f64 v[2:3], -v[50:51], v[100:101], v[2:3]
.LBB123_889:                            ;   in Loop: Header=BB123_3 Depth=1
	s_or_b32 exec_lo, exec_lo, s41
	s_barrier_signal -1
	s_barrier_wait -1
	s_and_saveexec_b32 s41, s100
; %bb.890:                              ;   in Loop: Header=BB123_3 Depth=1
	s_delay_alu instid0(VALU_DEP_1) | instskip(NEXT) | instid1(VALU_DEP_2)
	v_xor_b32_e32 v51, 0x80000000, v3
	v_mov_b32_e32 v50, v2
	ds_store_b64 v66, v[50:51]
; %bb.891:                              ;   in Loop: Header=BB123_3 Depth=1
	s_or_b32 exec_lo, exec_lo, s41
	s_wait_dscnt 0x0
	s_barrier_signal -1
	s_barrier_wait -1
	s_and_saveexec_b32 s41, s101
	s_cbranch_execz .LBB123_893
; %bb.892:                              ;   in Loop: Header=BB123_3 Depth=1
	ds_load_b64 v[50:51], v68 offset:3072
	ds_load_b64 v[100:101], v66
	s_wait_dscnt 0x0
	v_fma_f64 v[2:3], -v[50:51], v[100:101], v[2:3]
.LBB123_893:                            ;   in Loop: Header=BB123_3 Depth=1
	s_or_b32 exec_lo, exec_lo, s41
	s_barrier_signal -1
	s_barrier_wait -1
	s_and_saveexec_b32 s41, s102
; %bb.894:                              ;   in Loop: Header=BB123_3 Depth=1
	s_delay_alu instid0(VALU_DEP_1) | instskip(NEXT) | instid1(VALU_DEP_2)
	v_xor_b32_e32 v51, 0x80000000, v3
	v_mov_b32_e32 v50, v2
	ds_store_b64 v66, v[50:51]
; %bb.895:                              ;   in Loop: Header=BB123_3 Depth=1
	s_or_b32 exec_lo, exec_lo, s41
	s_wait_dscnt 0x0
	;; [unrolled: 22-line block ×3, first 2 shown]
	s_barrier_signal -1
	s_barrier_wait -1
	s_and_saveexec_b32 s41, vcc_hi
	s_cbranch_execz .LBB123_901
; %bb.900:                              ;   in Loop: Header=BB123_3 Depth=1
	ds_load_b64 v[50:51], v68 offset:2048
	ds_load_b64 v[100:101], v66
	s_wait_dscnt 0x0
	v_fma_f64 v[2:3], -v[50:51], v[100:101], v[2:3]
.LBB123_901:                            ;   in Loop: Header=BB123_3 Depth=1
	s_or_b32 exec_lo, exec_lo, s41
	s_barrier_signal -1
	s_barrier_wait -1
	s_and_saveexec_b32 s41, s31
; %bb.902:                              ;   in Loop: Header=BB123_3 Depth=1
	s_delay_alu instid0(VALU_DEP_1) | instskip(NEXT) | instid1(VALU_DEP_2)
	v_xor_b32_e32 v51, 0x80000000, v3
	v_mov_b32_e32 v50, v2
	ds_store_b64 v66, v[50:51]
; %bb.903:                              ;   in Loop: Header=BB123_3 Depth=1
	s_or_b32 exec_lo, exec_lo, s41
	s_wait_dscnt 0x0
	s_barrier_signal -1
	s_barrier_wait -1
	s_and_saveexec_b32 s41, s33
	s_cbranch_execz .LBB123_905
; %bb.904:                              ;   in Loop: Header=BB123_3 Depth=1
	ds_load_b64 v[50:51], v68 offset:1536
	ds_load_b64 v[100:101], v66
	s_wait_dscnt 0x0
	v_fma_f64 v[2:3], -v[50:51], v[100:101], v[2:3]
.LBB123_905:                            ;   in Loop: Header=BB123_3 Depth=1
	s_or_b32 exec_lo, exec_lo, s41
	s_barrier_signal -1
	s_barrier_wait -1
	s_and_saveexec_b32 s41, s34
; %bb.906:                              ;   in Loop: Header=BB123_3 Depth=1
	s_delay_alu instid0(VALU_DEP_1) | instskip(NEXT) | instid1(VALU_DEP_2)
	v_xor_b32_e32 v51, 0x80000000, v3
	v_mov_b32_e32 v50, v2
	ds_store_b64 v66, v[50:51]
; %bb.907:                              ;   in Loop: Header=BB123_3 Depth=1
	s_or_b32 exec_lo, exec_lo, s41
	s_wait_dscnt 0x0
	s_barrier_signal -1
	s_barrier_wait -1
	s_and_saveexec_b32 s41, s35
	;; [unrolled: 22-line block ×3, first 2 shown]
	s_cbranch_execz .LBB123_913
; %bb.912:                              ;   in Loop: Header=BB123_3 Depth=1
	ds_load_b64 v[50:51], v7 offset:512
	ds_load_b64 v[100:101], v66
	s_wait_dscnt 0x0
	v_fma_f64 v[2:3], -v[50:51], v[100:101], v[2:3]
.LBB123_913:                            ;   in Loop: Header=BB123_3 Depth=1
	s_or_b32 exec_lo, exec_lo, s41
	s_barrier_signal -1
	s_barrier_wait -1
	s_and_saveexec_b32 s41, s37
; %bb.914:                              ;   in Loop: Header=BB123_3 Depth=1
	s_delay_alu instid0(VALU_DEP_1) | instskip(NEXT) | instid1(VALU_DEP_2)
	v_xor_b32_e32 v51, 0x80000000, v3
	v_mov_b32_e32 v50, v2
	ds_store_b64 v66, v[50:51]
; %bb.915:                              ;   in Loop: Header=BB123_3 Depth=1
	s_or_b32 exec_lo, exec_lo, s41
	s_wait_dscnt 0x0
	s_barrier_signal -1
	s_barrier_wait -1
	s_barrier_signal -1
	s_barrier_wait -1
	s_and_saveexec_b32 s41, s4
; %bb.916:                              ;   in Loop: Header=BB123_3 Depth=1
	ds_store_b64 v72, v[2:3] offset:7680
; %bb.917:                              ;   in Loop: Header=BB123_3 Depth=1
	s_or_b32 exec_lo, exec_lo, s41
	s_wait_dscnt 0x0
	s_barrier_signal -1
	s_barrier_wait -1
	s_barrier_signal -1
	s_barrier_wait -1
	s_and_saveexec_b32 s41, s38
	s_cbranch_execz .LBB123_919
; %bb.918:                              ;   in Loop: Header=BB123_3 Depth=1
	ds_load_b64 v[2:3], v70 offset:4096
	s_wait_dscnt 0x0
	ds_store_b64 v71, v[2:3] offset:64
	ds_load_b64 v[2:3], v70 offset:4104
	s_wait_dscnt 0x0
	ds_store_b64 v71, v[2:3] offset:576
	ds_load_b64 v[2:3], v70 offset:4112
	s_wait_dscnt 0x0
	ds_store_b64 v71, v[2:3] offset:1088
	ds_load_b64 v[2:3], v70 offset:4120
	s_wait_dscnt 0x0
	ds_store_b64 v71, v[2:3] offset:1600
	ds_load_b64 v[2:3], v70 offset:4128
	s_wait_dscnt 0x0
	ds_store_b64 v71, v[2:3] offset:2112
	ds_load_b64 v[2:3], v70 offset:4136
	s_wait_dscnt 0x0
	ds_store_b64 v71, v[2:3] offset:2624
	ds_load_b64 v[2:3], v70 offset:4144
	s_wait_dscnt 0x0
	ds_store_b64 v71, v[2:3] offset:3136
	ds_load_b64 v[2:3], v70 offset:4152
	s_wait_dscnt 0x0
	ds_store_b64 v71, v[2:3] offset:3648
.LBB123_919:                            ;   in Loop: Header=BB123_3 Depth=1
	s_or_b32 exec_lo, exec_lo, s41
	s_wait_dscnt 0x0
	s_barrier_signal -1
	s_barrier_wait -1
	s_and_saveexec_b32 s41, s10
	s_cbranch_execz .LBB123_921
; %bb.920:                              ;   in Loop: Header=BB123_3 Depth=1
	ds_load_b64 v[2:3], v7 offset:3632
	v_mov_b32_e32 v0, v7
	ds_store_b64 v7, v[34:35] offset:3640
	s_wait_dscnt 0x1
	ds_store_b128 v7, v[0:3] offset:3120
.LBB123_921:                            ;   in Loop: Header=BB123_3 Depth=1
	s_or_b32 exec_lo, exec_lo, s41
	v_mov_b64_e32 v[2:3], 0
	s_wait_dscnt 0x0
	s_barrier_signal -1
	s_barrier_wait -1
	global_wb scope:SCOPE_DEV
	s_wait_storecnt 0x0
	global_inv scope:SCOPE_DEV
	s_and_saveexec_b32 s41, s1
	s_cbranch_execz .LBB123_925
; %bb.922:                              ;   in Loop: Header=BB123_3 Depth=1
	ds_load_b64 v[2:3], v54 offset:3104
	ds_load_b64 v[50:51], v53 offset:3632
	s_wait_dscnt 0x0
	v_fma_f64 v[2:3], v[2:3], v[50:51], 0
	s_and_saveexec_b32 s42, s11
	s_cbranch_execz .LBB123_924
; %bb.923:                              ;   in Loop: Header=BB123_3 Depth=1
	ds_load_b64 v[50:51], v71 offset:3616
	ds_load_b64 v[100:101], v7 offset:3640
	s_wait_dscnt 0x0
	v_fmac_f64_e32 v[2:3], v[50:51], v[100:101]
.LBB123_924:                            ;   in Loop: Header=BB123_3 Depth=1
	s_or_b32 exec_lo, exec_lo, s42
.LBB123_925:                            ;   in Loop: Header=BB123_3 Depth=1
	s_delay_alu instid0(SALU_CYCLE_1)
	s_or_b32 exec_lo, exec_lo, s41
	s_and_saveexec_b32 s41, s88
; %bb.926:                              ;   in Loop: Header=BB123_3 Depth=1
	s_delay_alu instid0(VALU_DEP_1) | instskip(NEXT) | instid1(VALU_DEP_2)
	v_xor_b32_e32 v51, 0x80000000, v3
	v_mov_b32_e32 v50, v2
	ds_store_b64 v52, v[50:51]
; %bb.927:                              ;   in Loop: Header=BB123_3 Depth=1
	s_or_b32 exec_lo, exec_lo, s41
	s_wait_loadcnt_dscnt 0x0
	s_barrier_signal -1
	s_barrier_wait -1
	s_and_saveexec_b32 s41, s89
	s_cbranch_execz .LBB123_929
; %bb.928:                              ;   in Loop: Header=BB123_3 Depth=1
	ds_load_b64 v[50:51], v7 offset:2592
	ds_load_b64 v[100:101], v52
	s_wait_dscnt 0x0
	v_fma_f64 v[2:3], -v[50:51], v[100:101], v[2:3]
.LBB123_929:                            ;   in Loop: Header=BB123_3 Depth=1
	s_or_b32 exec_lo, exec_lo, s41
	s_barrier_signal -1
	s_barrier_wait -1
	s_and_saveexec_b32 s41, s89
; %bb.930:                              ;   in Loop: Header=BB123_3 Depth=1
	s_delay_alu instid0(VALU_DEP_1) | instskip(NEXT) | instid1(VALU_DEP_2)
	v_xor_b32_e32 v51, 0x80000000, v3
	v_mov_b32_e32 v50, v2
	ds_store_b64 v52, v[50:51]
; %bb.931:                              ;   in Loop: Header=BB123_3 Depth=1
	s_or_b32 exec_lo, exec_lo, s41
	s_wait_dscnt 0x0
	s_barrier_signal -1
	s_barrier_wait -1
	s_barrier_signal -1
	s_barrier_wait -1
	s_and_saveexec_b32 s41, s1
; %bb.932:                              ;   in Loop: Header=BB123_3 Depth=1
	ds_store_b64 v56, v[2:3] offset:3616
; %bb.933:                              ;   in Loop: Header=BB123_3 Depth=1
	s_or_b32 exec_lo, exec_lo, s41
	s_wait_dscnt 0x0
	s_barrier_signal -1
	s_barrier_wait -1
	s_barrier_signal -1
	s_barrier_wait -1
	s_and_saveexec_b32 s41, s90
	s_cbranch_execz .LBB123_935
; %bb.934:                              ;   in Loop: Header=BB123_3 Depth=1
	ds_load_b64 v[2:3], v73 offset:3104
	s_wait_dscnt 0x0
	ds_store_b64 v71, v[2:3] offset:2096
	ds_load_b64 v[2:3], v73 offset:3112
	s_wait_dscnt 0x0
	ds_store_b64 v71, v[2:3] offset:2608
.LBB123_935:                            ;   in Loop: Header=BB123_3 Depth=1
	s_or_b32 exec_lo, exec_lo, s41
	s_wait_dscnt 0x0
	s_barrier_signal -1
	s_barrier_wait -1
	s_and_saveexec_b32 s41, s10
	s_cbranch_execz .LBB123_937
; %bb.936:                              ;   in Loop: Header=BB123_3 Depth=1
	ds_load_b64 v[2:3], v7 offset:2592
	v_mov_b32_e32 v0, v7
	ds_store_b64 v7, v[34:35] offset:2600
	s_wait_dscnt 0x1
	ds_store_b128 v7, v[0:3] offset:2080
.LBB123_937:                            ;   in Loop: Header=BB123_3 Depth=1
	s_or_b32 exec_lo, exec_lo, s41
	v_mov_b64_e32 v[2:3], 0
	s_wait_dscnt 0x0
	s_barrier_signal -1
	s_barrier_wait -1
	global_wb scope:SCOPE_DEV
	s_wait_storecnt 0x0
	global_inv scope:SCOPE_DEV
	s_and_saveexec_b32 s41, s3
	s_cbranch_execz .LBB123_943
; %bb.938:                              ;   in Loop: Header=BB123_3 Depth=1
	ds_load_b64 v[2:3], v60 offset:2048
	ds_load_b64 v[50:51], v59 offset:3616
	s_wait_dscnt 0x0
	v_fma_f64 v[2:3], v[2:3], v[50:51], 0
	s_and_saveexec_b32 s42, s12
	s_cbranch_execnz .LBB123_1115
; %bb.939:                              ;   in Loop: Header=BB123_3 Depth=1
	s_or_b32 exec_lo, exec_lo, s42
	s_and_saveexec_b32 s42, s13
	s_cbranch_execnz .LBB123_1116
.LBB123_940:                            ;   in Loop: Header=BB123_3 Depth=1
	s_or_b32 exec_lo, exec_lo, s42
	s_and_saveexec_b32 s42, s1
	s_cbranch_execz .LBB123_942
.LBB123_941:                            ;   in Loop: Header=BB123_3 Depth=1
	ds_load_b64 v[50:51], v5 offset:3584
	ds_load_b64 v[100:101], v7 offset:3640
	s_wait_dscnt 0x0
	v_fmac_f64_e32 v[2:3], v[50:51], v[100:101]
.LBB123_942:                            ;   in Loop: Header=BB123_3 Depth=1
	s_or_b32 exec_lo, exec_lo, s42
.LBB123_943:                            ;   in Loop: Header=BB123_3 Depth=1
	s_delay_alu instid0(SALU_CYCLE_1)
	s_or_b32 exec_lo, exec_lo, s41
	s_and_saveexec_b32 s41, s91
; %bb.944:                              ;   in Loop: Header=BB123_3 Depth=1
	s_delay_alu instid0(VALU_DEP_1) | instskip(NEXT) | instid1(VALU_DEP_2)
	v_xor_b32_e32 v51, 0x80000000, v3
	v_mov_b32_e32 v50, v2
	ds_store_b64 v58, v[50:51]
; %bb.945:                              ;   in Loop: Header=BB123_3 Depth=1
	s_or_b32 exec_lo, exec_lo, s41
	s_wait_loadcnt_dscnt 0x0
	s_barrier_signal -1
	s_barrier_wait -1
	s_and_saveexec_b32 s41, s92
	s_cbranch_execz .LBB123_947
; %bb.946:                              ;   in Loop: Header=BB123_3 Depth=1
	ds_load_b64 v[50:51], v60 offset:1536
	ds_load_b64 v[100:101], v58
	s_wait_dscnt 0x0
	v_fma_f64 v[2:3], -v[50:51], v[100:101], v[2:3]
.LBB123_947:                            ;   in Loop: Header=BB123_3 Depth=1
	s_or_b32 exec_lo, exec_lo, s41
	s_barrier_signal -1
	s_barrier_wait -1
	s_and_saveexec_b32 s41, s93
; %bb.948:                              ;   in Loop: Header=BB123_3 Depth=1
	s_delay_alu instid0(VALU_DEP_1) | instskip(NEXT) | instid1(VALU_DEP_2)
	v_xor_b32_e32 v51, 0x80000000, v3
	v_mov_b32_e32 v50, v2
	ds_store_b64 v58, v[50:51]
; %bb.949:                              ;   in Loop: Header=BB123_3 Depth=1
	s_or_b32 exec_lo, exec_lo, s41
	s_wait_dscnt 0x0
	s_barrier_signal -1
	s_barrier_wait -1
	s_and_saveexec_b32 s41, s94
	s_cbranch_execz .LBB123_951
; %bb.950:                              ;   in Loop: Header=BB123_3 Depth=1
	ds_load_b64 v[50:51], v60 offset:1024
	ds_load_b64 v[100:101], v58
	s_wait_dscnt 0x0
	v_fma_f64 v[2:3], -v[50:51], v[100:101], v[2:3]
.LBB123_951:                            ;   in Loop: Header=BB123_3 Depth=1
	s_or_b32 exec_lo, exec_lo, s41
	s_barrier_signal -1
	s_barrier_wait -1
	s_and_saveexec_b32 s41, s95
; %bb.952:                              ;   in Loop: Header=BB123_3 Depth=1
	s_delay_alu instid0(VALU_DEP_1) | instskip(NEXT) | instid1(VALU_DEP_2)
	v_xor_b32_e32 v51, 0x80000000, v3
	v_mov_b32_e32 v50, v2
	ds_store_b64 v58, v[50:51]
; %bb.953:                              ;   in Loop: Header=BB123_3 Depth=1
	s_or_b32 exec_lo, exec_lo, s41
	s_wait_dscnt 0x0
	;; [unrolled: 22-line block ×3, first 2 shown]
	s_barrier_signal -1
	s_barrier_wait -1
	s_barrier_signal -1
	s_barrier_wait -1
	s_and_saveexec_b32 s41, s3
; %bb.958:                              ;   in Loop: Header=BB123_3 Depth=1
	ds_store_b64 v63, v[2:3] offset:3584
; %bb.959:                              ;   in Loop: Header=BB123_3 Depth=1
	s_or_b32 exec_lo, exec_lo, s41
	s_wait_dscnt 0x0
	s_barrier_signal -1
	s_barrier_wait -1
	s_barrier_signal -1
	s_barrier_wait -1
	s_and_saveexec_b32 s41, s97
	s_cbranch_execz .LBB123_961
; %bb.960:                              ;   in Loop: Header=BB123_3 Depth=1
	ds_load_b64 v[2:3], v11 offset:2048
	s_wait_dscnt 0x0
	ds_store_b64 v84, v[2:3] offset:32
	ds_load_b64 v[2:3], v11 offset:2056
	s_wait_dscnt 0x0
	ds_store_b64 v84, v[2:3] offset:544
	;; [unrolled: 3-line block ×4, first 2 shown]
.LBB123_961:                            ;   in Loop: Header=BB123_3 Depth=1
	s_or_b32 exec_lo, exec_lo, s41
	s_wait_dscnt 0x0
	s_barrier_signal -1
	s_barrier_wait -1
	s_and_saveexec_b32 s41, s10
	s_cbranch_execz .LBB123_963
; %bb.962:                              ;   in Loop: Header=BB123_3 Depth=1
	ds_load_b64 v[2:3], v7 offset:1552
	v_mov_b32_e32 v0, v7
	ds_store_b64 v7, v[34:35] offset:1560
	s_wait_dscnt 0x1
	ds_store_b128 v7, v[0:3] offset:1040
.LBB123_963:                            ;   in Loop: Header=BB123_3 Depth=1
	s_or_b32 exec_lo, exec_lo, s41
	v_mov_b64_e32 v[2:3], 0
	s_wait_dscnt 0x0
	s_barrier_signal -1
	s_barrier_wait -1
	global_wb scope:SCOPE_DEV
	s_wait_storecnt 0x0
	global_inv scope:SCOPE_DEV
	s_and_saveexec_b32 s41, s1
	s_cbranch_execz .LBB123_967
; %bb.964:                              ;   in Loop: Header=BB123_3 Depth=1
	ds_load_b64 v[2:3], v54 offset:1024
	ds_load_b64 v[50:51], v53 offset:1552
	s_wait_dscnt 0x0
	v_fma_f64 v[2:3], v[2:3], v[50:51], 0
	s_and_saveexec_b32 s42, s11
	s_cbranch_execz .LBB123_966
; %bb.965:                              ;   in Loop: Header=BB123_3 Depth=1
	ds_load_b64 v[50:51], v84 offset:1536
	ds_load_b64 v[100:101], v7 offset:1560
	s_wait_dscnt 0x0
	v_fmac_f64_e32 v[2:3], v[50:51], v[100:101]
.LBB123_966:                            ;   in Loop: Header=BB123_3 Depth=1
	s_or_b32 exec_lo, exec_lo, s42
.LBB123_967:                            ;   in Loop: Header=BB123_3 Depth=1
	s_delay_alu instid0(SALU_CYCLE_1)
	s_or_b32 exec_lo, exec_lo, s41
	s_and_saveexec_b32 s41, s88
; %bb.968:                              ;   in Loop: Header=BB123_3 Depth=1
	s_delay_alu instid0(VALU_DEP_1) | instskip(NEXT) | instid1(VALU_DEP_2)
	v_xor_b32_e32 v51, 0x80000000, v3
	v_mov_b32_e32 v50, v2
	ds_store_b64 v52, v[50:51]
; %bb.969:                              ;   in Loop: Header=BB123_3 Depth=1
	s_or_b32 exec_lo, exec_lo, s41
	s_wait_loadcnt_dscnt 0x0
	s_barrier_signal -1
	s_barrier_wait -1
	s_and_saveexec_b32 s41, s89
	s_cbranch_execz .LBB123_971
; %bb.970:                              ;   in Loop: Header=BB123_3 Depth=1
	ds_load_b64 v[50:51], v7 offset:512
	ds_load_b64 v[100:101], v52
	s_wait_dscnt 0x0
	v_fma_f64 v[2:3], -v[50:51], v[100:101], v[2:3]
.LBB123_971:                            ;   in Loop: Header=BB123_3 Depth=1
	s_or_b32 exec_lo, exec_lo, s41
	s_barrier_signal -1
	s_barrier_wait -1
	s_and_saveexec_b32 s41, s89
; %bb.972:                              ;   in Loop: Header=BB123_3 Depth=1
	s_delay_alu instid0(VALU_DEP_1) | instskip(NEXT) | instid1(VALU_DEP_2)
	v_xor_b32_e32 v51, 0x80000000, v3
	v_mov_b32_e32 v50, v2
	ds_store_b64 v52, v[50:51]
; %bb.973:                              ;   in Loop: Header=BB123_3 Depth=1
	s_or_b32 exec_lo, exec_lo, s41
	s_wait_dscnt 0x0
	s_barrier_signal -1
	s_barrier_wait -1
	s_barrier_signal -1
	s_barrier_wait -1
	s_and_saveexec_b32 s41, s1
; %bb.974:                              ;   in Loop: Header=BB123_3 Depth=1
	ds_store_b64 v56, v[2:3] offset:1536
; %bb.975:                              ;   in Loop: Header=BB123_3 Depth=1
	s_or_b32 exec_lo, exec_lo, s41
	s_wait_dscnt 0x0
	s_barrier_signal -1
	s_barrier_wait -1
	s_barrier_signal -1
	s_barrier_wait -1
	s_and_saveexec_b32 s41, s90
	s_cbranch_execz .LBB123_977
; %bb.976:                              ;   in Loop: Header=BB123_3 Depth=1
	ds_load_b64 v[2:3], v88 offset:1024
	s_wait_dscnt 0x0
	ds_store_b64 v84, v[2:3] offset:16
	ds_load_b64 v[2:3], v88 offset:1032
	s_wait_dscnt 0x0
	ds_store_b64 v84, v[2:3] offset:528
.LBB123_977:                            ;   in Loop: Header=BB123_3 Depth=1
	s_or_b32 exec_lo, exec_lo, s41
	s_wait_dscnt 0x0
	s_barrier_signal -1
	s_barrier_wait -1
	s_and_saveexec_b32 s41, s10
	s_cbranch_execz .LBB123_979
; %bb.978:                              ;   in Loop: Header=BB123_3 Depth=1
	ds_load_b64 v[2:3], v7 offset:512
	v_mov_b32_e32 v0, v7
	ds_store_b64 v7, v[34:35] offset:520
	s_wait_dscnt 0x1
	ds_store_b128 v7, v[0:3]
.LBB123_979:                            ;   in Loop: Header=BB123_3 Depth=1
	s_or_b32 exec_lo, exec_lo, s41
.LBB123_980:                            ;   in Loop: Header=BB123_3 Depth=1
	v_add_nc_u64_e32 v[2:3], s[68:69], v[48:49]
	v_mov_b64_e32 v[48:49], 0
	s_wait_dscnt 0x0
	s_barrier_signal -1
	s_barrier_wait -1
	s_wait_xcnt 0x0
	s_and_saveexec_b32 s41, s82
	s_cbranch_execz .LBB123_982
; %bb.981:                              ;   in Loop: Header=BB123_3 Depth=1
	v_lshl_add_u64 v[48:49], v[16:17], 3, v[2:3]
	flat_load_b64 v[48:49], v[48:49]
	s_wait_loadcnt_dscnt 0x0
	v_mul_f64_e64 v[48:49], v[48:49], -v[46:47]
.LBB123_982:                            ;   in Loop: Header=BB123_3 Depth=1
	s_or_b32 exec_lo, exec_lo, s41
	s_delay_alu instid0(SALU_CYCLE_1)
	s_and_not1_b32 vcc_lo, exec_lo, s39
	s_cbranch_vccnz .LBB123_1008
; %bb.983:                              ;   in Loop: Header=BB123_3 Depth=1
	v_mov_b32_e32 v0, -1
	s_lshl_b64 s[42:43], s[62:63], 2
	s_mov_b32 s41, 0
	s_add_nc_u64 s[80:81], s[76:77], s[42:43]
	s_branch .LBB123_986
.LBB123_984:                            ;   in Loop: Header=BB123_986 Depth=2
	s_wait_xcnt 0x0
	ds_load_b64 v[46:47], v89 offset:384
	s_wait_loadcnt_dscnt 0x0
	v_fmac_f64_e32 v[48:49], v[50:51], v[46:47]
.LBB123_985:                            ;   in Loop: Header=BB123_986 Depth=2
	s_or_b32 exec_lo, exec_lo, s42
	s_add_co_i32 s41, s41, 1
	s_delay_alu instid0(SALU_CYCLE_1)
	s_cmp_eq_u32 s41, s84
	s_cbranch_scc1 .LBB123_1008
.LBB123_986:                            ;   Parent Loop BB123_3 Depth=1
                                        ; =>  This Loop Header: Depth=2
                                        ;       Child Loop BB123_988 Depth 3
	v_cmp_gt_i32_e32 vcc_lo, s41, v0
	s_and_b32 s43, s55, vcc_lo
	s_delay_alu instid0(SALU_CYCLE_1)
	s_and_saveexec_b32 s42, s43
	s_cbranch_execz .LBB123_989
; %bb.987:                              ;   in Loop: Header=BB123_986 Depth=2
	global_load_b32 v0, v7, s[80:81]
	s_wait_loadcnt 0x0
	v_cmp_le_i32_e32 vcc_lo, s41, v0
	s_cbranch_vccnz .LBB123_989
.LBB123_988:                            ;   Parent Loop BB123_3 Depth=1
                                        ;     Parent Loop BB123_986 Depth=2
                                        ; =>    This Inner Loop Header: Depth=3
	global_wb scope:SCOPE_DEV
	s_wait_storecnt 0x0
	global_inv scope:SCOPE_DEV
	global_load_b32 v0, v7, s[80:81]
	s_wait_loadcnt 0x0
	v_cmp_gt_i32_e32 vcc_lo, s41, v0
	s_cbranch_vccnz .LBB123_988
.LBB123_989:                            ;   in Loop: Header=BB123_986 Depth=2
	s_or_b32 exec_lo, exec_lo, s42
	s_lshl_b32 s61, s41, 6
	global_wb scope:SCOPE_DEV
	s_wait_storecnt 0x0
	global_inv scope:SCOPE_DEV
	s_wait_loadcnt 0x0
	s_barrier_signal -1
	s_barrier_wait -1
	s_and_saveexec_b32 s42, s56
	s_cbranch_execz .LBB123_993
; %bb.990:                              ;   in Loop: Header=BB123_986 Depth=2
	v_mov_b64_e32 v[46:47], 0
	v_or_b32_e32 v6, s61, v10
	s_mov_b32 s43, exec_lo
	s_delay_alu instid0(VALU_DEP_1)
	v_cmpx_gt_i32_e64 s83, v6
	s_cbranch_execz .LBB123_992
; %bb.991:                              ;   in Loop: Header=BB123_986 Depth=2
	v_mul_u64_e32 v[46:47], s[70:71], v[6:7]
	s_delay_alu instid0(VALU_DEP_1)
	v_lshl_add_u64 v[46:47], v[46:47], 3, v[2:3]
	flat_load_b64 v[46:47], v[46:47]
.LBB123_992:                            ;   in Loop: Header=BB123_986 Depth=2
	s_wait_xcnt 0x0
	s_or_b32 exec_lo, exec_lo, s43
	s_wait_loadcnt_dscnt 0x0
	ds_store_b64 v91, v[46:47]
.LBB123_993:                            ;   in Loop: Header=BB123_986 Depth=2
	s_or_b32 exec_lo, exec_lo, s42
	v_add_nc_u32_e32 v6, s61, v4
	v_cmp_ne_u32_e32 vcc_lo, s41, v9
	s_wait_dscnt 0x0
	s_barrier_signal -1
	s_barrier_wait -1
	v_cmp_gt_i32_e64 s61, s83, v6
	v_lshl_add_u64 v[46:47], v[6:7], 3, v[44:45]
	v_cndmask_b32_e64 v31, 0, 1, vcc_lo
	s_and_b32 s43, s61, s0
	s_delay_alu instid0(SALU_CYCLE_1)
	s_and_saveexec_b32 s42, s43
	s_cbranch_execz .LBB123_997
; %bb.994:                              ;   in Loop: Header=BB123_986 Depth=2
	v_mov_b64_e32 v[50:51], v[36:37]
	s_and_not1_b32 vcc_lo, exec_lo, vcc_lo
	s_cbranch_vccnz .LBB123_996
; %bb.995:                              ;   in Loop: Header=BB123_986 Depth=2
	flat_load_b64 v[50:51], v[46:47]
.LBB123_996:                            ;   in Loop: Header=BB123_986 Depth=2
	ds_load_b64 v[100:101], v89
	s_wait_loadcnt_dscnt 0x0
	v_fmac_f64_e32 v[48:49], v[50:51], v[100:101]
.LBB123_997:                            ;   in Loop: Header=BB123_986 Depth=2
	s_or_b32 exec_lo, exec_lo, s42
	v_add_nc_u32_e32 v50, 16, v6
	s_delay_alu instid0(VALU_DEP_1) | instskip(SKIP_1) | instid1(SALU_CYCLE_1)
	v_cmp_gt_i32_e32 vcc_lo, s83, v50
	s_and_b32 s43, vcc_lo, s0
	s_and_saveexec_b32 s42, s43
	s_cbranch_execz .LBB123_1001
; %bb.998:                              ;   in Loop: Header=BB123_986 Depth=2
	v_cmp_ne_u32_e32 vcc_lo, 1, v31
	v_mov_b64_e32 v[50:51], v[38:39]
	s_cbranch_vccnz .LBB123_1000
; %bb.999:                              ;   in Loop: Header=BB123_986 Depth=2
	flat_load_b64 v[50:51], v[46:47] offset:128
.LBB123_1000:                           ;   in Loop: Header=BB123_986 Depth=2
	ds_load_b64 v[100:101], v89 offset:128
	s_wait_loadcnt_dscnt 0x0
	v_fmac_f64_e32 v[48:49], v[50:51], v[100:101]
.LBB123_1001:                           ;   in Loop: Header=BB123_986 Depth=2
	s_or_b32 exec_lo, exec_lo, s42
	v_add_nc_u32_e32 v50, 32, v6
	s_delay_alu instid0(VALU_DEP_1) | instskip(SKIP_1) | instid1(SALU_CYCLE_1)
	v_cmp_gt_i32_e32 vcc_lo, s83, v50
	s_and_b32 s43, vcc_lo, s0
	s_and_saveexec_b32 s42, s43
	s_cbranch_execz .LBB123_1005
; %bb.1002:                             ;   in Loop: Header=BB123_986 Depth=2
	v_cmp_ne_u32_e32 vcc_lo, 1, v31
	v_mov_b64_e32 v[50:51], v[40:41]
	s_cbranch_vccnz .LBB123_1004
; %bb.1003:                             ;   in Loop: Header=BB123_986 Depth=2
	flat_load_b64 v[50:51], v[46:47] offset:256
.LBB123_1004:                           ;   in Loop: Header=BB123_986 Depth=2
	ds_load_b64 v[100:101], v89 offset:256
	s_wait_loadcnt_dscnt 0x0
	v_fmac_f64_e32 v[48:49], v[50:51], v[100:101]
.LBB123_1005:                           ;   in Loop: Header=BB123_986 Depth=2
	s_or_b32 exec_lo, exec_lo, s42
	v_add_nc_u32_e32 v6, 48, v6
	s_delay_alu instid0(VALU_DEP_1) | instskip(SKIP_1) | instid1(SALU_CYCLE_1)
	v_cmp_gt_i32_e32 vcc_lo, s83, v6
	s_and_b32 s43, vcc_lo, s0
	s_and_saveexec_b32 s42, s43
	s_cbranch_execz .LBB123_985
; %bb.1006:                             ;   in Loop: Header=BB123_986 Depth=2
	v_cmp_ne_u32_e32 vcc_lo, 1, v31
	v_mov_b64_e32 v[50:51], v[42:43]
	s_cbranch_vccnz .LBB123_984
; %bb.1007:                             ;   in Loop: Header=BB123_986 Depth=2
	flat_load_b64 v[50:51], v[46:47] offset:384
	s_branch .LBB123_984
.LBB123_1008:                           ;   in Loop: Header=BB123_3 Depth=1
	ds_store_b64 v92, v[48:49]
	s_wait_dscnt 0x0
	s_barrier_signal -1
	s_barrier_wait -1
	s_and_saveexec_b32 s41, s2
	s_cbranch_execz .LBB123_1010
; %bb.1009:                             ;   in Loop: Header=BB123_3 Depth=1
	ds_load_2addr_stride64_b64 v[44:47], v93 offset0:1 offset1:2
	ds_load_2addr_stride64_b64 v[100:103], v93 offset0:3 offset1:4
	s_wait_dscnt 0x1
	v_add_f64_e32 v[44:45], v[48:49], v[44:45]
	s_delay_alu instid0(VALU_DEP_1) | instskip(SKIP_1) | instid1(VALU_DEP_1)
	v_add_f64_e32 v[44:45], v[44:45], v[46:47]
	s_wait_dscnt 0x0
	v_add_f64_e32 v[44:45], v[44:45], v[100:101]
	s_delay_alu instid0(VALU_DEP_1) | instskip(SKIP_4) | instid1(VALU_DEP_1)
	v_add_f64_e32 v[100:101], v[44:45], v[102:103]
	ds_load_2addr_stride64_b64 v[44:47], v93 offset0:5 offset1:6
	ds_load_2addr_stride64_b64 v[48:51], v93 offset0:7 offset1:8
	s_wait_dscnt 0x1
	v_add_f64_e32 v[44:45], v[100:101], v[44:45]
	v_add_f64_e32 v[44:45], v[44:45], v[46:47]
	s_wait_dscnt 0x0
	s_delay_alu instid0(VALU_DEP_1) | instskip(NEXT) | instid1(VALU_DEP_1)
	v_add_f64_e32 v[44:45], v[44:45], v[48:49]
	v_add_f64_e32 v[100:101], v[44:45], v[50:51]
	ds_load_2addr_stride64_b64 v[44:47], v93 offset0:9 offset1:10
	ds_load_2addr_stride64_b64 v[48:51], v93 offset0:11 offset1:12
	s_wait_dscnt 0x1
	v_add_f64_e32 v[44:45], v[100:101], v[44:45]
	s_delay_alu instid0(VALU_DEP_1) | instskip(SKIP_1) | instid1(VALU_DEP_1)
	v_add_f64_e32 v[44:45], v[44:45], v[46:47]
	s_wait_dscnt 0x0
	v_add_f64_e32 v[44:45], v[44:45], v[48:49]
	s_delay_alu instid0(VALU_DEP_1) | instskip(SKIP_4) | instid1(VALU_DEP_1)
	v_add_f64_e32 v[48:49], v[44:45], v[50:51]
	ds_load_2addr_stride64_b64 v[44:47], v93 offset0:13 offset1:14
	ds_load_b64 v[50:51], v93 offset:7680
	s_wait_dscnt 0x1
	v_add_f64_e32 v[44:45], v[48:49], v[44:45]
	v_add_f64_e32 v[44:45], v[44:45], v[46:47]
	s_wait_dscnt 0x0
	s_delay_alu instid0(VALU_DEP_1) | instskip(NEXT) | instid1(VALU_DEP_1)
	v_add_f64_e32 v[44:45], v[44:45], v[50:51]
	v_xor_b32_e32 v0, 0x80000000, v45
	s_delay_alu instid0(VALU_DEP_2) | instskip(NEXT) | instid1(VALU_DEP_2)
	v_cndmask_b32_e64 v48, v44, 0, s85
	v_cndmask_b32_e64 v49, v0, 0, s85
.LBB123_1010:                           ;   in Loop: Header=BB123_3 Depth=1
	s_or_b32 exec_lo, exec_lo, s41
	s_delay_alu instid0(SALU_CYCLE_1)
	s_and_not1_b32 vcc_lo, exec_lo, s87
	s_cbranch_vccnz .LBB123_1020
; %bb.1011:                             ;   in Loop: Header=BB123_3 Depth=1
	s_and_saveexec_b32 s41, s2
; %bb.1012:                             ;   in Loop: Header=BB123_3 Depth=1
	ds_store_b64 v95, v[48:49]
; %bb.1013:                             ;   in Loop: Header=BB123_3 Depth=1
	s_or_b32 exec_lo, exec_lo, s41
	v_mov_b64_e32 v[44:45], 0
	s_wait_dscnt 0x0
	s_barrier_signal -1
	s_barrier_wait -1
	s_and_saveexec_b32 s41, s6
	s_cbranch_execnz .LBB123_1059
; %bb.1014:                             ;   in Loop: Header=BB123_3 Depth=1
	s_or_b32 exec_lo, exec_lo, s41
	s_and_saveexec_b32 s41, s7
	s_cbranch_execnz .LBB123_1060
.LBB123_1015:                           ;   in Loop: Header=BB123_3 Depth=1
	s_or_b32 exec_lo, exec_lo, s41
	s_and_saveexec_b32 s41, s8
	s_cbranch_execnz .LBB123_1061
.LBB123_1016:                           ;   in Loop: Header=BB123_3 Depth=1
	s_or_b32 exec_lo, exec_lo, s41
	s_and_saveexec_b32 s41, s9
	s_cbranch_execz .LBB123_1018
.LBB123_1017:                           ;   in Loop: Header=BB123_3 Depth=1
	ds_load_b64 v[46:47], v94 offset:24576
	ds_load_b64 v[50:51], v89 offset:384
	s_wait_dscnt 0x0
	v_fmac_f64_e32 v[44:45], v[46:47], v[50:51]
.LBB123_1018:                           ;   in Loop: Header=BB123_3 Depth=1
	s_or_b32 exec_lo, exec_lo, s41
	s_mov_b32 s41, 0
	s_mov_b32 s61, 0
	ds_store_b64 v92, v[44:45]
	s_wait_dscnt 0x0
	s_barrier_signal -1
	s_barrier_wait -1
                                        ; implicit-def: $vgpr46_vgpr47
	s_and_saveexec_b32 s80, s2
	s_cbranch_execz .LBB123_1062
; %bb.1019:                             ;   in Loop: Header=BB123_3 Depth=1
	ds_load_2addr_stride64_b64 v[100:103], v93 offset0:1 offset1:2
	ds_load_2addr_stride64_b64 v[104:107], v93 offset0:3 offset1:4
	s_mov_b32 s61, exec_lo
	s_wait_dscnt 0x1
	v_add_f64_e32 v[44:45], v[44:45], v[100:101]
	s_delay_alu instid0(VALU_DEP_1) | instskip(SKIP_1) | instid1(VALU_DEP_1)
	v_add_f64_e32 v[44:45], v[102:103], v[44:45]
	s_wait_dscnt 0x0
	v_add_f64_e32 v[44:45], v[104:105], v[44:45]
	s_delay_alu instid0(VALU_DEP_1) | instskip(SKIP_4) | instid1(VALU_DEP_1)
	v_add_f64_e32 v[50:51], v[106:107], v[44:45]
	ds_load_2addr_stride64_b64 v[44:47], v93 offset0:5 offset1:6
	ds_load_2addr_stride64_b64 v[100:103], v93 offset0:7 offset1:8
	s_wait_dscnt 0x1
	v_add_f64_e32 v[44:45], v[44:45], v[50:51]
	v_add_f64_e32 v[44:45], v[46:47], v[44:45]
	s_wait_dscnt 0x0
	s_delay_alu instid0(VALU_DEP_1) | instskip(NEXT) | instid1(VALU_DEP_1)
	v_add_f64_e32 v[44:45], v[100:101], v[44:45]
	v_add_f64_e32 v[50:51], v[102:103], v[44:45]
	ds_load_2addr_stride64_b64 v[44:47], v93 offset0:9 offset1:10
	ds_load_2addr_stride64_b64 v[100:103], v93 offset0:11 offset1:12
	s_wait_dscnt 0x1
	v_add_f64_e32 v[44:45], v[44:45], v[50:51]
	s_delay_alu instid0(VALU_DEP_1) | instskip(SKIP_1) | instid1(VALU_DEP_1)
	v_add_f64_e32 v[44:45], v[46:47], v[44:45]
	s_wait_dscnt 0x0
	v_add_f64_e32 v[44:45], v[100:101], v[44:45]
	s_delay_alu instid0(VALU_DEP_1) | instskip(SKIP_4) | instid1(VALU_DEP_1)
	v_add_f64_e32 v[50:51], v[102:103], v[44:45]
	ds_load_2addr_stride64_b64 v[44:47], v93 offset0:13 offset1:14
	ds_load_b64 v[100:101], v93 offset:7680
	s_wait_dscnt 0x1
	v_add_f64_e32 v[44:45], v[44:45], v[50:51]
	v_add_f64_e32 v[44:45], v[46:47], v[44:45]
	s_wait_dscnt 0x0
	s_delay_alu instid0(VALU_DEP_1) | instskip(SKIP_1) | instid1(SALU_CYCLE_1)
	v_add_f64_e32 v[46:47], v[100:101], v[44:45]
	s_or_b32 exec_lo, exec_lo, s80
	s_and_b32 vcc_lo, exec_lo, s41
	s_cbranch_vccnz .LBB123_1021
	s_branch .LBB123_1063
.LBB123_1020:                           ;   in Loop: Header=BB123_3 Depth=1
	s_mov_b32 s61, 0
                                        ; implicit-def: $vgpr46_vgpr47
	s_cbranch_execz .LBB123_1063
.LBB123_1021:                           ;   in Loop: Header=BB123_3 Depth=1
	v_dual_mov_b32 v0, v8 :: v_dual_mov_b32 v6, v97
	s_mov_b32 s41, 0
	s_branch .LBB123_1023
.LBB123_1022:                           ;   in Loop: Header=BB123_1023 Depth=2
	s_or_b32 exec_lo, exec_lo, s42
	v_add_nc_u32_e32 v6, 0x800, v6
	v_add_nc_u32_e32 v0, -4, v0
	s_add_co_i32 s41, s41, 4
	s_delay_alu instid0(SALU_CYCLE_1)
	s_cmp_lg_u32 s41, 64
	s_barrier_signal -1
	s_barrier_wait -1
	s_cbranch_scc0 .LBB123_1039
.LBB123_1023:                           ;   Parent Loop BB123_3 Depth=1
                                        ; =>  This Inner Loop Header: Depth=2
	s_delay_alu instid0(VALU_DEP_1) | instskip(SKIP_1) | instid1(SALU_CYCLE_1)
	v_cmp_eq_u32_e32 vcc_lo, 0, v0
	s_and_b32 s43, s2, vcc_lo
	s_and_saveexec_b32 s42, s43
; %bb.1024:                             ;   in Loop: Header=BB123_1023 Depth=2
	ds_store_b64 v7, v[48:49] offset:41472
; %bb.1025:                             ;   in Loop: Header=BB123_1023 Depth=2
	s_or_b32 exec_lo, exec_lo, s42
	v_cmp_lt_u32_e32 vcc_lo, s41, v8
	s_wait_dscnt 0x0
	s_barrier_signal -1
	s_barrier_wait -1
	s_and_b32 s43, s2, vcc_lo
	s_delay_alu instid0(SALU_CYCLE_1)
	s_and_saveexec_b32 s42, s43
	s_cbranch_execz .LBB123_1027
; %bb.1026:                             ;   in Loop: Header=BB123_1023 Depth=2
	ds_load_b64 v[44:45], v6
	ds_load_b64 v[46:47], v7 offset:41472
	s_wait_dscnt 0x0
	v_fmac_f64_e32 v[48:49], v[44:45], v[46:47]
.LBB123_1027:                           ;   in Loop: Header=BB123_1023 Depth=2
	s_or_b32 exec_lo, exec_lo, s42
	s_or_b32 s42, s41, 1
	s_delay_alu instid0(SALU_CYCLE_1) | instskip(SKIP_3) | instid1(SALU_CYCLE_1)
	v_cmp_eq_u32_e32 vcc_lo, s42, v8
	s_barrier_signal -1
	s_barrier_wait -1
	s_and_b32 s80, s2, vcc_lo
	s_and_saveexec_b32 s43, s80
; %bb.1028:                             ;   in Loop: Header=BB123_1023 Depth=2
	ds_store_b64 v7, v[48:49] offset:41472
; %bb.1029:                             ;   in Loop: Header=BB123_1023 Depth=2
	s_or_b32 exec_lo, exec_lo, s43
	v_cmp_lt_u32_e32 vcc_lo, s42, v8
	s_wait_dscnt 0x0
	s_barrier_signal -1
	s_barrier_wait -1
	s_and_b32 s43, s2, vcc_lo
	s_delay_alu instid0(SALU_CYCLE_1)
	s_and_saveexec_b32 s42, s43
	s_cbranch_execz .LBB123_1031
; %bb.1030:                             ;   in Loop: Header=BB123_1023 Depth=2
	ds_load_b64 v[44:45], v6 offset:512
	ds_load_b64 v[46:47], v7 offset:41472
	s_wait_dscnt 0x0
	v_fmac_f64_e32 v[48:49], v[44:45], v[46:47]
.LBB123_1031:                           ;   in Loop: Header=BB123_1023 Depth=2
	s_or_b32 exec_lo, exec_lo, s42
	s_or_b32 s42, s41, 2
	s_delay_alu instid0(SALU_CYCLE_1) | instskip(SKIP_3) | instid1(SALU_CYCLE_1)
	v_cmp_eq_u32_e32 vcc_lo, s42, v8
	s_barrier_signal -1
	s_barrier_wait -1
	s_and_b32 s80, s2, vcc_lo
	s_and_saveexec_b32 s43, s80
; %bb.1032:                             ;   in Loop: Header=BB123_1023 Depth=2
	ds_store_b64 v7, v[48:49] offset:41472
; %bb.1033:                             ;   in Loop: Header=BB123_1023 Depth=2
	s_or_b32 exec_lo, exec_lo, s43
	v_cmp_lt_u32_e32 vcc_lo, s42, v8
	s_wait_dscnt 0x0
	s_barrier_signal -1
	s_barrier_wait -1
	s_and_b32 s43, s2, vcc_lo
	s_delay_alu instid0(SALU_CYCLE_1)
	s_and_saveexec_b32 s42, s43
	s_cbranch_execz .LBB123_1035
; %bb.1034:                             ;   in Loop: Header=BB123_1023 Depth=2
	ds_load_b64 v[44:45], v6 offset:1024
	ds_load_b64 v[46:47], v7 offset:41472
	s_wait_dscnt 0x0
	v_fmac_f64_e32 v[48:49], v[44:45], v[46:47]
.LBB123_1035:                           ;   in Loop: Header=BB123_1023 Depth=2
	s_or_b32 exec_lo, exec_lo, s42
	s_or_b32 s42, s41, 3
	s_delay_alu instid0(SALU_CYCLE_1) | instskip(SKIP_3) | instid1(SALU_CYCLE_1)
	v_cmp_eq_u32_e32 vcc_lo, s42, v8
	s_barrier_signal -1
	s_barrier_wait -1
	s_and_b32 s80, s2, vcc_lo
	s_and_saveexec_b32 s43, s80
; %bb.1036:                             ;   in Loop: Header=BB123_1023 Depth=2
	ds_store_b64 v7, v[48:49] offset:41472
; %bb.1037:                             ;   in Loop: Header=BB123_1023 Depth=2
	s_or_b32 exec_lo, exec_lo, s43
	v_cmp_lt_u32_e32 vcc_lo, s42, v8
	s_wait_dscnt 0x0
	s_barrier_signal -1
	s_barrier_wait -1
	s_and_b32 s43, s2, vcc_lo
	s_delay_alu instid0(SALU_CYCLE_1)
	s_and_saveexec_b32 s42, s43
	s_cbranch_execz .LBB123_1022
; %bb.1038:                             ;   in Loop: Header=BB123_1023 Depth=2
	ds_load_b64 v[44:45], v6 offset:1536
	ds_load_b64 v[46:47], v7 offset:41472
	s_wait_dscnt 0x0
	v_fmac_f64_e32 v[48:49], v[44:45], v[46:47]
	s_branch .LBB123_1022
.LBB123_1039:                           ;   in Loop: Header=BB123_3 Depth=1
	s_and_b32 vcc_lo, exec_lo, s86
	s_mov_b32 s41, -1
	s_cbranch_vccz .LBB123_1041
; %bb.1040:                             ;   in Loop: Header=BB123_3 Depth=1
	s_and_not1_b32 s42, s61, exec_lo
	s_and_b32 s43, s2, exec_lo
	s_mov_b32 s41, 0
	s_or_b32 s61, s42, s43
.LBB123_1041:                           ;   in Loop: Header=BB123_3 Depth=1
	s_and_not1_b32 vcc_lo, exec_lo, s41
	s_cbranch_vccnz .LBB123_1043
; %bb.1042:                             ;   in Loop: Header=BB123_3 Depth=1
	v_readlane_b32 s42, v108, 8
	s_and_not1_b32 s41, s61, exec_lo
	s_and_b32 s42, s42, exec_lo
	s_delay_alu instid0(SALU_CYCLE_1)
	s_or_b32 s61, s41, s42
.LBB123_1043:                           ;   in Loop: Header=BB123_3 Depth=1
	v_mov_b64_e32 v[44:45], v[26:27]
	s_and_saveexec_b32 s41, s61
	s_cbranch_execnz .LBB123_1064
	s_branch .LBB123_1065
.LBB123_1044:                           ;   in Loop: Header=BB123_3 Depth=1
	s_mov_b32 s42, exec_lo
	v_readlane_b32 s43, v99, 19
	s_and_b32 s43, s42, s43
	s_delay_alu instid0(SALU_CYCLE_1)
	s_mov_b32 exec_lo, s43
; %bb.1045:                             ;   in Loop: Header=BB123_3 Depth=1
	ds_store_b64 v83, v[32:33]
; %bb.1046:                             ;   in Loop: Header=BB123_3 Depth=1
	s_or_b32 exec_lo, exec_lo, s42
	s_and_not1_saveexec_b32 s41, s41
	s_cbranch_execz .LBB123_16
.LBB123_1047:                           ;   in Loop: Header=BB123_3 Depth=1
	v_lshl_add_u64 v[50:51], v[24:25], 3, v[2:3]
	flat_load_b64 v[50:51], v[50:51]
	s_wait_loadcnt_dscnt 0x0
	v_xor_b32_e32 v51, 0x80000000, v51
	ds_store_b64 v83, v[50:51]
	s_or_b32 exec_lo, exec_lo, s41
	s_and_saveexec_b32 s41, s7
	s_delay_alu instid0(SALU_CYCLE_1)
	s_xor_b32 s41, exec_lo, s41
	s_cbranch_execz .LBB123_17
.LBB123_1048:                           ;   in Loop: Header=BB123_3 Depth=1
	s_mov_b32 s42, exec_lo
	v_readlane_b32 s43, v99, 20
	s_and_b32 s43, s42, s43
	s_delay_alu instid0(SALU_CYCLE_1)
	s_mov_b32 exec_lo, s43
; %bb.1049:                             ;   in Loop: Header=BB123_3 Depth=1
	ds_store_b64 v85, v[32:33]
; %bb.1050:                             ;   in Loop: Header=BB123_3 Depth=1
	s_or_b32 exec_lo, exec_lo, s42
	s_and_not1_saveexec_b32 s41, s41
	s_cbranch_execz .LBB123_18
.LBB123_1051:                           ;   in Loop: Header=BB123_3 Depth=1
	v_lshl_add_u64 v[50:51], v[18:19], 3, v[2:3]
	flat_load_b64 v[50:51], v[50:51]
	s_wait_loadcnt_dscnt 0x0
	v_xor_b32_e32 v51, 0x80000000, v51
	ds_store_b64 v85, v[50:51]
	s_or_b32 exec_lo, exec_lo, s41
	s_and_saveexec_b32 s41, s8
	s_delay_alu instid0(SALU_CYCLE_1)
	s_xor_b32 s41, exec_lo, s41
	s_cbranch_execz .LBB123_19
.LBB123_1052:                           ;   in Loop: Header=BB123_3 Depth=1
	s_mov_b32 s42, exec_lo
	v_readlane_b32 s43, v99, 21
	s_and_b32 s43, s42, s43
	s_delay_alu instid0(SALU_CYCLE_1)
	s_mov_b32 exec_lo, s43
; %bb.1053:                             ;   in Loop: Header=BB123_3 Depth=1
	ds_store_b64 v86, v[32:33]
; %bb.1054:                             ;   in Loop: Header=BB123_3 Depth=1
	s_or_b32 exec_lo, exec_lo, s42
	s_and_not1_saveexec_b32 s41, s41
	s_cbranch_execz .LBB123_20
.LBB123_1055:                           ;   in Loop: Header=BB123_3 Depth=1
	v_lshl_add_u64 v[50:51], v[20:21], 3, v[2:3]
	flat_load_b64 v[50:51], v[50:51]
	s_wait_loadcnt_dscnt 0x0
	v_xor_b32_e32 v51, 0x80000000, v51
	ds_store_b64 v86, v[50:51]
	s_or_b32 exec_lo, exec_lo, s41
	s_and_saveexec_b32 s41, s9
	s_delay_alu instid0(SALU_CYCLE_1)
	s_xor_b32 s41, exec_lo, s41
	s_cbranch_execz .LBB123_21
.LBB123_1056:                           ;   in Loop: Header=BB123_3 Depth=1
	s_mov_b32 s42, exec_lo
	v_readlane_b32 s43, v99, 22
	s_and_b32 s43, s42, s43
	s_delay_alu instid0(SALU_CYCLE_1)
	s_mov_b32 exec_lo, s43
; %bb.1057:                             ;   in Loop: Header=BB123_3 Depth=1
	ds_store_b64 v87, v[32:33]
; %bb.1058:                             ;   in Loop: Header=BB123_3 Depth=1
	s_or_b32 exec_lo, exec_lo, s42
	s_and_not1_saveexec_b32 s41, s41
	s_cbranch_execnz .LBB123_22
	s_branch .LBB123_23
.LBB123_1059:                           ;   in Loop: Header=BB123_3 Depth=1
	ds_load_b64 v[44:45], v94
	ds_load_b64 v[46:47], v89
	s_wait_dscnt 0x0
	v_fma_f64 v[44:45], v[44:45], v[46:47], 0
	s_or_b32 exec_lo, exec_lo, s41
	s_and_saveexec_b32 s41, s7
	s_cbranch_execz .LBB123_1015
.LBB123_1060:                           ;   in Loop: Header=BB123_3 Depth=1
	ds_load_b64 v[46:47], v94 offset:8192
	ds_load_b64 v[50:51], v89 offset:128
	s_wait_dscnt 0x0
	v_fmac_f64_e32 v[44:45], v[46:47], v[50:51]
	s_or_b32 exec_lo, exec_lo, s41
	s_and_saveexec_b32 s41, s8
	s_cbranch_execz .LBB123_1016
.LBB123_1061:                           ;   in Loop: Header=BB123_3 Depth=1
	ds_load_b64 v[46:47], v94 offset:16384
	ds_load_b64 v[50:51], v89 offset:256
	s_wait_dscnt 0x0
	v_fmac_f64_e32 v[44:45], v[46:47], v[50:51]
	s_or_b32 exec_lo, exec_lo, s41
	s_and_saveexec_b32 s41, s9
	s_cbranch_execnz .LBB123_1017
	s_branch .LBB123_1018
.LBB123_1062:                           ;   in Loop: Header=BB123_3 Depth=1
	s_or_b32 exec_lo, exec_lo, s80
	s_delay_alu instid0(SALU_CYCLE_1)
	s_and_b32 vcc_lo, exec_lo, s41
	s_cbranch_vccnz .LBB123_1021
.LBB123_1063:                           ;   in Loop: Header=BB123_3 Depth=1
	s_delay_alu instid0(VALU_DEP_1)
	v_mov_b64_e32 v[48:49], v[46:47]
	v_mov_b64_e32 v[44:45], v[28:29]
	s_and_saveexec_b32 s41, s61
	s_cbranch_execz .LBB123_1065
.LBB123_1064:                           ;   in Loop: Header=BB123_3 Depth=1
	s_delay_alu instid0(VALU_DEP_1)
	v_lshl_add_u64 v[2:3], v[44:45], 3, v[2:3]
	flat_store_b64 v[2:3], v[48:49]
.LBB123_1065:                           ;   in Loop: Header=BB123_3 Depth=1
	s_wait_xcnt 0x0
	s_or_b32 exec_lo, exec_lo, s41
	global_wb scope:SCOPE_DEV
	s_wait_storecnt_dscnt 0x0
	global_inv scope:SCOPE_DEV
	s_wait_loadcnt 0x0
	s_barrier_signal -1
	s_barrier_wait -1
	s_and_saveexec_b32 s41, s55
	s_cbranch_execz .LBB123_2
; %bb.1066:                             ;   in Loop: Header=BB123_3 Depth=1
	s_lshl_b64 s[42:43], s[62:63], 2
	s_delay_alu instid0(SALU_CYCLE_1)
	s_add_nc_u64 s[42:43], s[76:77], s[42:43]
	global_load_b32 v0, v7, s[42:43]
	s_wait_loadcnt 0x0
	v_add_nc_u32_e32 v0, 1, v0
	global_store_b32 v7, v0, s[42:43]
	s_branch .LBB123_2
.LBB123_1067:                           ;   in Loop: Header=BB123_3 Depth=1
	ds_load_b64 v[50:51], v60 offset:31680
	ds_load_b64 v[100:101], v59 offset:32744
	s_wait_dscnt 0x0
	v_fmac_f64_e32 v[2:3], v[50:51], v[100:101]
	s_or_b32 exec_lo, exec_lo, s42
	s_and_saveexec_b32 s42, s13
	s_cbranch_execz .LBB123_72
.LBB123_1068:                           ;   in Loop: Header=BB123_3 Depth=1
	ds_load_b64 v[50:51], v60 offset:32192
	ds_load_b64 v[100:101], v59 offset:32752
	s_wait_dscnt 0x0
	v_fmac_f64_e32 v[2:3], v[50:51], v[100:101]
	s_or_b32 exec_lo, exec_lo, s42
	s_and_saveexec_b32 s42, s1
	s_cbranch_execnz .LBB123_73
	s_branch .LBB123_74
.LBB123_1069:                           ;   in Loop: Header=BB123_3 Depth=1
	ds_load_b64 v[50:51], v68 offset:29568
	ds_load_b64 v[100:101], v67 offset:32712
	s_wait_dscnt 0x0
	v_fmac_f64_e32 v[2:3], v[50:51], v[100:101]
	s_or_b32 exec_lo, exec_lo, s42
	s_and_saveexec_b32 s42, s15
	s_cbranch_execz .LBB123_114
.LBB123_1070:                           ;   in Loop: Header=BB123_3 Depth=1
	ds_load_b64 v[50:51], v68 offset:30080
	ds_load_b64 v[100:101], v67 offset:32720
	s_wait_dscnt 0x0
	v_fmac_f64_e32 v[2:3], v[50:51], v[100:101]
	s_or_b32 exec_lo, exec_lo, s42
	s_and_saveexec_b32 s42, s16
	s_cbranch_execz .LBB123_115
.LBB123_1071:                           ;   in Loop: Header=BB123_3 Depth=1
	ds_load_b64 v[50:51], v68 offset:30592
	ds_load_b64 v[100:101], v67 offset:32728
	s_wait_dscnt 0x0
	v_fmac_f64_e32 v[2:3], v[50:51], v[100:101]
	s_or_b32 exec_lo, exec_lo, s42
	s_and_saveexec_b32 s42, s17
	s_cbranch_execz .LBB123_116
.LBB123_1072:                           ;   in Loop: Header=BB123_3 Depth=1
	ds_load_b64 v[50:51], v68 offset:31104
	ds_load_b64 v[100:101], v67 offset:32736
	s_wait_dscnt 0x0
	v_fmac_f64_e32 v[2:3], v[50:51], v[100:101]
	s_or_b32 exec_lo, exec_lo, s42
	s_and_saveexec_b32 s42, s18
	s_cbranch_execz .LBB123_117
.LBB123_1073:                           ;   in Loop: Header=BB123_3 Depth=1
	ds_load_b64 v[50:51], v68 offset:31616
	ds_load_b64 v[100:101], v67 offset:32744
	s_wait_dscnt 0x0
	v_fmac_f64_e32 v[2:3], v[50:51], v[100:101]
	s_or_b32 exec_lo, exec_lo, s42
	s_and_saveexec_b32 s42, s3
	s_cbranch_execz .LBB123_118
.LBB123_1074:                           ;   in Loop: Header=BB123_3 Depth=1
	ds_load_b64 v[50:51], v68 offset:32128
	ds_load_b64 v[100:101], v67 offset:32752
	s_wait_dscnt 0x0
	v_fmac_f64_e32 v[2:3], v[50:51], v[100:101]
	s_or_b32 exec_lo, exec_lo, s42
	s_and_saveexec_b32 s42, s13
	s_cbranch_execnz .LBB123_119
	s_branch .LBB123_120
.LBB123_1075:                           ;   in Loop: Header=BB123_3 Depth=1
	ds_load_b64 v[50:51], v60 offset:27520
	ds_load_b64 v[100:101], v59 offset:28584
	s_wait_dscnt 0x0
	v_fmac_f64_e32 v[2:3], v[50:51], v[100:101]
	s_or_b32 exec_lo, exec_lo, s42
	s_and_saveexec_b32 s42, s13
	s_cbranch_execz .LBB123_176
.LBB123_1076:                           ;   in Loop: Header=BB123_3 Depth=1
	ds_load_b64 v[50:51], v60 offset:28032
	ds_load_b64 v[100:101], v59 offset:28592
	s_wait_dscnt 0x0
	v_fmac_f64_e32 v[2:3], v[50:51], v[100:101]
	s_or_b32 exec_lo, exec_lo, s42
	s_and_saveexec_b32 s42, s1
	s_cbranch_execnz .LBB123_177
	s_branch .LBB123_178
.LBB123_1077:                           ;   in Loop: Header=BB123_3 Depth=1
	ds_load_b64 v[50:51], v76 offset:30464
	ds_load_b64 v[100:101], v75 offset:32728
	s_wait_dscnt 0x0
	v_fmac_f64_e32 v[2:3], v[50:51], v[100:101]
	s_or_b32 exec_lo, exec_lo, s41
	s_and_saveexec_b32 s41, s4
	s_cbranch_execz .LBB123_238
.LBB123_1078:                           ;   in Loop: Header=BB123_3 Depth=1
	ds_load_b64 v[50:51], v76 offset:30976
	ds_load_b64 v[100:101], v75 offset:32736
	s_wait_dscnt 0x0
	v_fmac_f64_e32 v[2:3], v[50:51], v[100:101]
	s_or_b32 exec_lo, exec_lo, s41
	s_and_saveexec_b32 s41, s15
	s_cbranch_execz .LBB123_239
.LBB123_1079:                           ;   in Loop: Header=BB123_3 Depth=1
	ds_load_b64 v[50:51], v76 offset:31488
	ds_load_b64 v[100:101], v75 offset:32744
	s_wait_dscnt 0x0
	v_fmac_f64_e32 v[2:3], v[50:51], v[100:101]
	s_or_b32 exec_lo, exec_lo, s41
	s_and_saveexec_b32 s41, s17
	s_cbranch_execz .LBB123_240
.LBB123_1080:                           ;   in Loop: Header=BB123_3 Depth=1
	ds_load_b64 v[50:51], v76 offset:32000
	ds_load_b64 v[100:101], v75 offset:32752
	s_wait_dscnt 0x0
	v_fmac_f64_e32 v[2:3], v[50:51], v[100:101]
	s_or_b32 exec_lo, exec_lo, s41
	s_and_saveexec_b32 s41, s3
	s_cbranch_execnz .LBB123_241
	s_branch .LBB123_242
.LBB123_1081:                           ;   in Loop: Header=BB123_3 Depth=1
	ds_load_b64 v[50:51], v60 offset:23360
	ds_load_b64 v[100:101], v59 offset:24424
	s_wait_dscnt 0x0
	v_fmac_f64_e32 v[2:3], v[50:51], v[100:101]
	s_or_b32 exec_lo, exec_lo, s42
	s_and_saveexec_b32 s42, s13
	s_cbranch_execz .LBB123_330
.LBB123_1082:                           ;   in Loop: Header=BB123_3 Depth=1
	ds_load_b64 v[50:51], v60 offset:23872
	ds_load_b64 v[100:101], v59 offset:24432
	s_wait_dscnt 0x0
	v_fmac_f64_e32 v[2:3], v[50:51], v[100:101]
	s_or_b32 exec_lo, exec_lo, s42
	s_and_saveexec_b32 s42, s1
	s_cbranch_execnz .LBB123_331
	s_branch .LBB123_332
.LBB123_1083:                           ;   in Loop: Header=BB123_3 Depth=1
	ds_load_b64 v[50:51], v68 offset:21248
	ds_load_b64 v[100:101], v67 offset:24392
	s_wait_dscnt 0x0
	v_fmac_f64_e32 v[2:3], v[50:51], v[100:101]
	s_or_b32 exec_lo, exec_lo, s42
	s_and_saveexec_b32 s42, s15
	s_cbranch_execz .LBB123_372
.LBB123_1084:                           ;   in Loop: Header=BB123_3 Depth=1
	ds_load_b64 v[50:51], v68 offset:21760
	ds_load_b64 v[100:101], v67 offset:24400
	s_wait_dscnt 0x0
	v_fmac_f64_e32 v[2:3], v[50:51], v[100:101]
	s_or_b32 exec_lo, exec_lo, s42
	s_and_saveexec_b32 s42, s16
	s_cbranch_execz .LBB123_373
.LBB123_1085:                           ;   in Loop: Header=BB123_3 Depth=1
	ds_load_b64 v[50:51], v68 offset:22272
	ds_load_b64 v[100:101], v67 offset:24408
	s_wait_dscnt 0x0
	v_fmac_f64_e32 v[2:3], v[50:51], v[100:101]
	s_or_b32 exec_lo, exec_lo, s42
	s_and_saveexec_b32 s42, s17
	s_cbranch_execz .LBB123_374
.LBB123_1086:                           ;   in Loop: Header=BB123_3 Depth=1
	ds_load_b64 v[50:51], v68 offset:22784
	ds_load_b64 v[100:101], v67 offset:24416
	s_wait_dscnt 0x0
	v_fmac_f64_e32 v[2:3], v[50:51], v[100:101]
	s_or_b32 exec_lo, exec_lo, s42
	s_and_saveexec_b32 s42, s18
	s_cbranch_execz .LBB123_375
.LBB123_1087:                           ;   in Loop: Header=BB123_3 Depth=1
	ds_load_b64 v[50:51], v68 offset:23296
	ds_load_b64 v[100:101], v67 offset:24424
	s_wait_dscnt 0x0
	v_fmac_f64_e32 v[2:3], v[50:51], v[100:101]
	s_or_b32 exec_lo, exec_lo, s42
	s_and_saveexec_b32 s42, s3
	s_cbranch_execz .LBB123_376
.LBB123_1088:                           ;   in Loop: Header=BB123_3 Depth=1
	ds_load_b64 v[50:51], v68 offset:23808
	ds_load_b64 v[100:101], v67 offset:24432
	s_wait_dscnt 0x0
	v_fmac_f64_e32 v[2:3], v[50:51], v[100:101]
	s_or_b32 exec_lo, exec_lo, s42
	s_and_saveexec_b32 s42, s13
	s_cbranch_execnz .LBB123_377
	s_branch .LBB123_378
.LBB123_1089:                           ;   in Loop: Header=BB123_3 Depth=1
	ds_load_b64 v[50:51], v60 offset:19200
	ds_load_b64 v[100:101], v59 offset:20264
	s_wait_dscnt 0x0
	v_fmac_f64_e32 v[2:3], v[50:51], v[100:101]
	s_or_b32 exec_lo, exec_lo, s42
	s_and_saveexec_b32 s42, s13
	s_cbranch_execz .LBB123_434
.LBB123_1090:                           ;   in Loop: Header=BB123_3 Depth=1
	ds_load_b64 v[50:51], v60 offset:19712
	ds_load_b64 v[100:101], v59 offset:20272
	s_wait_dscnt 0x0
	v_fmac_f64_e32 v[2:3], v[50:51], v[100:101]
	s_or_b32 exec_lo, exec_lo, s42
	s_and_saveexec_b32 s42, s1
	s_cbranch_execnz .LBB123_435
	s_branch .LBB123_436
.LBB123_1091:                           ;   in Loop: Header=BB123_3 Depth=1
	ds_load_b64 v[50:51], v79 offset:31232
	ds_load_b64 v[100:101], v81 offset:32744
	s_wait_dscnt 0x0
	v_fmac_f64_e32 v[2:3], v[50:51], v[100:101]
	s_or_b32 exec_lo, exec_lo, s41
	s_and_saveexec_b32 s41, s4
	s_cbranch_execz .LBB123_532
.LBB123_1092:                           ;   in Loop: Header=BB123_3 Depth=1
	ds_load_b64 v[50:51], v79 offset:31744
	ds_load_b64 v[100:101], v81 offset:32752
	s_wait_dscnt 0x0
	v_fmac_f64_e32 v[2:3], v[50:51], v[100:101]
	s_or_b32 exec_lo, exec_lo, s41
	s_and_saveexec_b32 s41, s17
	s_delay_alu instid0(SALU_CYCLE_1)
	s_xor_b32 s41, exec_lo, s41
	s_cbranch_execnz .LBB123_533
	s_branch .LBB123_534
.LBB123_1093:                           ;   in Loop: Header=BB123_3 Depth=1
	ds_load_b64 v[50:51], v60 offset:15040
	ds_load_b64 v[100:101], v59 offset:16104
	s_wait_dscnt 0x0
	v_fmac_f64_e32 v[2:3], v[50:51], v[100:101]
	s_or_b32 exec_lo, exec_lo, s42
	s_and_saveexec_b32 s42, s13
	s_cbranch_execz .LBB123_578
.LBB123_1094:                           ;   in Loop: Header=BB123_3 Depth=1
	ds_load_b64 v[50:51], v60 offset:15552
	ds_load_b64 v[100:101], v59 offset:16112
	s_wait_dscnt 0x0
	v_fmac_f64_e32 v[2:3], v[50:51], v[100:101]
	s_or_b32 exec_lo, exec_lo, s42
	s_and_saveexec_b32 s42, s1
	s_cbranch_execnz .LBB123_579
	s_branch .LBB123_580
.LBB123_1095:                           ;   in Loop: Header=BB123_3 Depth=1
	ds_load_b64 v[50:51], v68 offset:12928
	ds_load_b64 v[100:101], v67 offset:16072
	s_wait_dscnt 0x0
	v_fmac_f64_e32 v[2:3], v[50:51], v[100:101]
	s_or_b32 exec_lo, exec_lo, s42
	s_and_saveexec_b32 s42, s15
	s_cbranch_execz .LBB123_620
.LBB123_1096:                           ;   in Loop: Header=BB123_3 Depth=1
	ds_load_b64 v[50:51], v68 offset:13440
	ds_load_b64 v[100:101], v67 offset:16080
	s_wait_dscnt 0x0
	v_fmac_f64_e32 v[2:3], v[50:51], v[100:101]
	s_or_b32 exec_lo, exec_lo, s42
	s_and_saveexec_b32 s42, s16
	s_cbranch_execz .LBB123_621
.LBB123_1097:                           ;   in Loop: Header=BB123_3 Depth=1
	ds_load_b64 v[50:51], v68 offset:13952
	ds_load_b64 v[100:101], v67 offset:16088
	s_wait_dscnt 0x0
	v_fmac_f64_e32 v[2:3], v[50:51], v[100:101]
	s_or_b32 exec_lo, exec_lo, s42
	s_and_saveexec_b32 s42, s17
	s_cbranch_execz .LBB123_622
.LBB123_1098:                           ;   in Loop: Header=BB123_3 Depth=1
	ds_load_b64 v[50:51], v68 offset:14464
	ds_load_b64 v[100:101], v67 offset:16096
	s_wait_dscnt 0x0
	v_fmac_f64_e32 v[2:3], v[50:51], v[100:101]
	s_or_b32 exec_lo, exec_lo, s42
	s_and_saveexec_b32 s42, s18
	s_cbranch_execz .LBB123_623
.LBB123_1099:                           ;   in Loop: Header=BB123_3 Depth=1
	ds_load_b64 v[50:51], v68 offset:14976
	ds_load_b64 v[100:101], v67 offset:16104
	s_wait_dscnt 0x0
	v_fmac_f64_e32 v[2:3], v[50:51], v[100:101]
	s_or_b32 exec_lo, exec_lo, s42
	s_and_saveexec_b32 s42, s3
	s_cbranch_execz .LBB123_624
.LBB123_1100:                           ;   in Loop: Header=BB123_3 Depth=1
	ds_load_b64 v[50:51], v68 offset:15488
	ds_load_b64 v[100:101], v67 offset:16112
	s_wait_dscnt 0x0
	v_fmac_f64_e32 v[2:3], v[50:51], v[100:101]
	s_or_b32 exec_lo, exec_lo, s42
	s_and_saveexec_b32 s42, s13
	s_cbranch_execnz .LBB123_625
	s_branch .LBB123_626
.LBB123_1101:                           ;   in Loop: Header=BB123_3 Depth=1
	ds_load_b64 v[50:51], v60 offset:10880
	ds_load_b64 v[100:101], v59 offset:11944
	s_wait_dscnt 0x0
	v_fmac_f64_e32 v[2:3], v[50:51], v[100:101]
	s_or_b32 exec_lo, exec_lo, s42
	s_and_saveexec_b32 s42, s13
	s_cbranch_execz .LBB123_682
.LBB123_1102:                           ;   in Loop: Header=BB123_3 Depth=1
	ds_load_b64 v[50:51], v60 offset:11392
	ds_load_b64 v[100:101], v59 offset:11952
	s_wait_dscnt 0x0
	v_fmac_f64_e32 v[2:3], v[50:51], v[100:101]
	s_or_b32 exec_lo, exec_lo, s42
	s_and_saveexec_b32 s42, s1
	s_cbranch_execnz .LBB123_683
	s_branch .LBB123_684
.LBB123_1103:                           ;   in Loop: Header=BB123_3 Depth=1
	ds_load_b64 v[50:51], v76 offset:13824
	ds_load_b64 v[100:101], v75 offset:16088
	s_wait_dscnt 0x0
	v_fmac_f64_e32 v[2:3], v[50:51], v[100:101]
	s_or_b32 exec_lo, exec_lo, s41
	s_and_saveexec_b32 s41, s4
	s_cbranch_execz .LBB123_744
.LBB123_1104:                           ;   in Loop: Header=BB123_3 Depth=1
	ds_load_b64 v[50:51], v76 offset:14336
	ds_load_b64 v[100:101], v75 offset:16096
	s_wait_dscnt 0x0
	v_fmac_f64_e32 v[2:3], v[50:51], v[100:101]
	s_or_b32 exec_lo, exec_lo, s41
	s_and_saveexec_b32 s41, s15
	s_cbranch_execz .LBB123_745
.LBB123_1105:                           ;   in Loop: Header=BB123_3 Depth=1
	ds_load_b64 v[50:51], v76 offset:14848
	ds_load_b64 v[100:101], v75 offset:16104
	s_wait_dscnt 0x0
	v_fmac_f64_e32 v[2:3], v[50:51], v[100:101]
	s_or_b32 exec_lo, exec_lo, s41
	s_and_saveexec_b32 s41, s17
	s_cbranch_execz .LBB123_746
.LBB123_1106:                           ;   in Loop: Header=BB123_3 Depth=1
	ds_load_b64 v[50:51], v76 offset:15360
	ds_load_b64 v[100:101], v75 offset:16112
	s_wait_dscnt 0x0
	v_fmac_f64_e32 v[2:3], v[50:51], v[100:101]
	s_or_b32 exec_lo, exec_lo, s41
	s_and_saveexec_b32 s41, s3
	s_cbranch_execnz .LBB123_747
	s_branch .LBB123_748
.LBB123_1107:                           ;   in Loop: Header=BB123_3 Depth=1
	ds_load_b64 v[50:51], v60 offset:6720
	ds_load_b64 v[100:101], v59 offset:7784
	s_wait_dscnt 0x0
	v_fmac_f64_e32 v[2:3], v[50:51], v[100:101]
	s_or_b32 exec_lo, exec_lo, s42
	s_and_saveexec_b32 s42, s13
	s_cbranch_execz .LBB123_836
.LBB123_1108:                           ;   in Loop: Header=BB123_3 Depth=1
	ds_load_b64 v[50:51], v60 offset:7232
	ds_load_b64 v[100:101], v59 offset:7792
	s_wait_dscnt 0x0
	v_fmac_f64_e32 v[2:3], v[50:51], v[100:101]
	s_or_b32 exec_lo, exec_lo, s42
	s_and_saveexec_b32 s42, s1
	s_cbranch_execnz .LBB123_837
	s_branch .LBB123_838
.LBB123_1109:                           ;   in Loop: Header=BB123_3 Depth=1
	ds_load_b64 v[50:51], v68 offset:4608
	ds_load_b64 v[100:101], v67 offset:7752
	s_wait_dscnt 0x0
	v_fmac_f64_e32 v[2:3], v[50:51], v[100:101]
	s_or_b32 exec_lo, exec_lo, s42
	s_and_saveexec_b32 s42, s15
	s_cbranch_execz .LBB123_878
.LBB123_1110:                           ;   in Loop: Header=BB123_3 Depth=1
	ds_load_b64 v[50:51], v68 offset:5120
	ds_load_b64 v[100:101], v67 offset:7760
	s_wait_dscnt 0x0
	v_fmac_f64_e32 v[2:3], v[50:51], v[100:101]
	s_or_b32 exec_lo, exec_lo, s42
	s_and_saveexec_b32 s42, s16
	s_cbranch_execz .LBB123_879
.LBB123_1111:                           ;   in Loop: Header=BB123_3 Depth=1
	ds_load_b64 v[50:51], v68 offset:5632
	ds_load_b64 v[100:101], v67 offset:7768
	s_wait_dscnt 0x0
	v_fmac_f64_e32 v[2:3], v[50:51], v[100:101]
	s_or_b32 exec_lo, exec_lo, s42
	s_and_saveexec_b32 s42, s17
	s_cbranch_execz .LBB123_880
.LBB123_1112:                           ;   in Loop: Header=BB123_3 Depth=1
	ds_load_b64 v[50:51], v68 offset:6144
	ds_load_b64 v[100:101], v67 offset:7776
	s_wait_dscnt 0x0
	v_fmac_f64_e32 v[2:3], v[50:51], v[100:101]
	s_or_b32 exec_lo, exec_lo, s42
	s_and_saveexec_b32 s42, s18
	s_cbranch_execz .LBB123_881
.LBB123_1113:                           ;   in Loop: Header=BB123_3 Depth=1
	ds_load_b64 v[50:51], v68 offset:6656
	ds_load_b64 v[100:101], v67 offset:7784
	s_wait_dscnt 0x0
	v_fmac_f64_e32 v[2:3], v[50:51], v[100:101]
	s_or_b32 exec_lo, exec_lo, s42
	s_and_saveexec_b32 s42, s3
	s_cbranch_execz .LBB123_882
.LBB123_1114:                           ;   in Loop: Header=BB123_3 Depth=1
	ds_load_b64 v[50:51], v68 offset:7168
	ds_load_b64 v[100:101], v67 offset:7792
	s_wait_dscnt 0x0
	v_fmac_f64_e32 v[2:3], v[50:51], v[100:101]
	s_or_b32 exec_lo, exec_lo, s42
	s_and_saveexec_b32 s42, s13
	s_cbranch_execnz .LBB123_883
	s_branch .LBB123_884
.LBB123_1115:                           ;   in Loop: Header=BB123_3 Depth=1
	ds_load_b64 v[50:51], v60 offset:2560
	ds_load_b64 v[100:101], v59 offset:3624
	s_wait_dscnt 0x0
	v_fmac_f64_e32 v[2:3], v[50:51], v[100:101]
	s_or_b32 exec_lo, exec_lo, s42
	s_and_saveexec_b32 s42, s13
	s_cbranch_execz .LBB123_940
.LBB123_1116:                           ;   in Loop: Header=BB123_3 Depth=1
	ds_load_b64 v[50:51], v60 offset:3072
	ds_load_b64 v[100:101], v59 offset:3632
	s_wait_dscnt 0x0
	v_fmac_f64_e32 v[2:3], v[50:51], v[100:101]
	s_or_b32 exec_lo, exec_lo, s42
	s_and_saveexec_b32 s42, s1
	s_cbranch_execnz .LBB123_941
	s_branch .LBB123_942
.LBB123_1117:
	s_endpgm
	.section	.rodata,"a",@progbits
	.p2align	6, 0x0
	.amdhsa_kernel _ZL19rocblas_trsv_deviceILi64ELi16ELb0ELb1ELb1ELb1EdPKdPKS1_PKPdEviT7_lllT6_T8_lllPii
		.amdhsa_group_segment_fixed_size 41480
		.amdhsa_private_segment_fixed_size 0
		.amdhsa_kernarg_size 352
		.amdhsa_user_sgpr_count 2
		.amdhsa_user_sgpr_dispatch_ptr 0
		.amdhsa_user_sgpr_queue_ptr 0
		.amdhsa_user_sgpr_kernarg_segment_ptr 1
		.amdhsa_user_sgpr_dispatch_id 0
		.amdhsa_user_sgpr_kernarg_preload_length 0
		.amdhsa_user_sgpr_kernarg_preload_offset 0
		.amdhsa_user_sgpr_private_segment_size 0
		.amdhsa_wavefront_size32 1
		.amdhsa_uses_dynamic_stack 0
		.amdhsa_enable_private_segment 0
		.amdhsa_system_sgpr_workgroup_id_x 1
		.amdhsa_system_sgpr_workgroup_id_y 0
		.amdhsa_system_sgpr_workgroup_id_z 1
		.amdhsa_system_sgpr_workgroup_info 0
		.amdhsa_system_vgpr_workitem_id 1
		.amdhsa_next_free_vgpr 109
		.amdhsa_next_free_sgpr 105
		.amdhsa_named_barrier_count 0
		.amdhsa_reserve_vcc 1
		.amdhsa_float_round_mode_32 0
		.amdhsa_float_round_mode_16_64 0
		.amdhsa_float_denorm_mode_32 3
		.amdhsa_float_denorm_mode_16_64 3
		.amdhsa_fp16_overflow 0
		.amdhsa_memory_ordered 1
		.amdhsa_forward_progress 1
		.amdhsa_inst_pref_size 255
		.amdhsa_round_robin_scheduling 0
		.amdhsa_exception_fp_ieee_invalid_op 0
		.amdhsa_exception_fp_denorm_src 0
		.amdhsa_exception_fp_ieee_div_zero 0
		.amdhsa_exception_fp_ieee_overflow 0
		.amdhsa_exception_fp_ieee_underflow 0
		.amdhsa_exception_fp_ieee_inexact 0
		.amdhsa_exception_int_div_zero 0
	.end_amdhsa_kernel
	.section	.text._ZL19rocblas_trsv_deviceILi64ELi16ELb0ELb1ELb1ELb1EdPKdPKS1_PKPdEviT7_lllT6_T8_lllPii,"axG",@progbits,_ZL19rocblas_trsv_deviceILi64ELi16ELb0ELb1ELb1ELb1EdPKdPKS1_PKPdEviT7_lllT6_T8_lllPii,comdat
.Lfunc_end123:
	.size	_ZL19rocblas_trsv_deviceILi64ELi16ELb0ELb1ELb1ELb1EdPKdPKS1_PKPdEviT7_lllT6_T8_lllPii, .Lfunc_end123-_ZL19rocblas_trsv_deviceILi64ELi16ELb0ELb1ELb1ELb1EdPKdPKS1_PKPdEviT7_lllT6_T8_lllPii
                                        ; -- End function
	.set _ZL19rocblas_trsv_deviceILi64ELi16ELb0ELb1ELb1ELb1EdPKdPKS1_PKPdEviT7_lllT6_T8_lllPii.num_vgpr, 109
	.set _ZL19rocblas_trsv_deviceILi64ELi16ELb0ELb1ELb1ELb1EdPKdPKS1_PKPdEviT7_lllT6_T8_lllPii.num_agpr, 0
	.set _ZL19rocblas_trsv_deviceILi64ELi16ELb0ELb1ELb1ELb1EdPKdPKS1_PKPdEviT7_lllT6_T8_lllPii.numbered_sgpr, 105
	.set _ZL19rocblas_trsv_deviceILi64ELi16ELb0ELb1ELb1ELb1EdPKdPKS1_PKPdEviT7_lllT6_T8_lllPii.num_named_barrier, 0
	.set _ZL19rocblas_trsv_deviceILi64ELi16ELb0ELb1ELb1ELb1EdPKdPKS1_PKPdEviT7_lllT6_T8_lllPii.private_seg_size, 0
	.set _ZL19rocblas_trsv_deviceILi64ELi16ELb0ELb1ELb1ELb1EdPKdPKS1_PKPdEviT7_lllT6_T8_lllPii.uses_vcc, 1
	.set _ZL19rocblas_trsv_deviceILi64ELi16ELb0ELb1ELb1ELb1EdPKdPKS1_PKPdEviT7_lllT6_T8_lllPii.uses_flat_scratch, 0
	.set _ZL19rocblas_trsv_deviceILi64ELi16ELb0ELb1ELb1ELb1EdPKdPKS1_PKPdEviT7_lllT6_T8_lllPii.has_dyn_sized_stack, 0
	.set _ZL19rocblas_trsv_deviceILi64ELi16ELb0ELb1ELb1ELb1EdPKdPKS1_PKPdEviT7_lllT6_T8_lllPii.has_recursion, 0
	.set _ZL19rocblas_trsv_deviceILi64ELi16ELb0ELb1ELb1ELb1EdPKdPKS1_PKPdEviT7_lllT6_T8_lllPii.has_indirect_call, 0
	.section	.AMDGPU.csdata,"",@progbits
; Kernel info:
; codeLenInByte = 33432
; TotalNumSgprs: 107
; NumVgprs: 109
; ScratchSize: 0
; MemoryBound: 0
; FloatMode: 240
; IeeeMode: 1
; LDSByteSize: 41480 bytes/workgroup (compile time only)
; SGPRBlocks: 0
; VGPRBlocks: 6
; NumSGPRsForWavesPerEU: 107
; NumVGPRsForWavesPerEU: 109
; NamedBarCnt: 0
; Occupancy: 9
; WaveLimiterHint : 1
; COMPUTE_PGM_RSRC2:SCRATCH_EN: 0
; COMPUTE_PGM_RSRC2:USER_SGPR: 2
; COMPUTE_PGM_RSRC2:TRAP_HANDLER: 0
; COMPUTE_PGM_RSRC2:TGID_X_EN: 1
; COMPUTE_PGM_RSRC2:TGID_Y_EN: 0
; COMPUTE_PGM_RSRC2:TGID_Z_EN: 1
; COMPUTE_PGM_RSRC2:TIDIG_COMP_CNT: 1
	.section	.text._ZL19rocblas_trsv_deviceILi64ELi16ELb0ELb0ELb0ELb0EdPKdPKS1_PKPdEviT7_lllT6_T8_lllPii,"axG",@progbits,_ZL19rocblas_trsv_deviceILi64ELi16ELb0ELb0ELb0ELb0EdPKdPKS1_PKPdEviT7_lllT6_T8_lllPii,comdat
	.globl	_ZL19rocblas_trsv_deviceILi64ELi16ELb0ELb0ELb0ELb0EdPKdPKS1_PKPdEviT7_lllT6_T8_lllPii ; -- Begin function _ZL19rocblas_trsv_deviceILi64ELi16ELb0ELb0ELb0ELb0EdPKdPKS1_PKPdEviT7_lllT6_T8_lllPii
	.p2align	8
	.type	_ZL19rocblas_trsv_deviceILi64ELi16ELb0ELb0ELb0ELb0EdPKdPKS1_PKPdEviT7_lllT6_T8_lllPii,@function
_ZL19rocblas_trsv_deviceILi64ELi16ELb0ELb0ELb0ELb0EdPKdPKS1_PKPdEviT7_lllT6_T8_lllPii: ; @_ZL19rocblas_trsv_deviceILi64ELi16ELb0ELb0ELb0ELb0EdPKdPKS1_PKPdEviT7_lllT6_T8_lllPii
; %bb.0:
	s_load_b32 s69, s[0:1], 0x58
	s_bfe_u32 s2, ttmp6, 0x40014
	s_lshr_b32 s3, ttmp7, 16
	s_add_co_i32 s2, s2, 1
	s_bfe_u32 s5, ttmp6, 0x40008
	s_mul_i32 s4, s3, s2
	s_getreg_b32 s2, hwreg(HW_REG_IB_STS2, 6, 4)
	s_add_co_i32 s5, s5, s4
	s_cmp_eq_u32 s2, 0
	s_mov_b32 s71, 0
	s_cselect_b32 s70, s3, s5
	s_wait_kmcnt 0x0
	s_cmp_ge_u32 s70, s69
	s_cbranch_scc1 .LBB124_1087
; %bb.1:
	s_clause 0x2
	s_load_b32 s3, s[0:1], 0x6c
	s_load_b32 s99, s[0:1], 0x60
	;; [unrolled: 1-line block ×3, first 2 shown]
	s_bfe_u32 s5, ttmp6, 0x4000c
	s_and_b32 s4, ttmp6, 15
	s_add_co_i32 s5, s5, 1
	s_clause 0x1
	s_load_b64 s[86:87], s[0:1], 0x18
	s_load_b128 s[80:83], s[0:1], 0x8
	s_mul_i32 s5, ttmp9, s5
	s_load_b256 s[72:79], s[0:1], 0x28
	s_add_co_i32 s4, s4, s5
	s_cmp_eq_u32 s2, 0
	s_load_b64 s[88:89], s[0:1], 0x50
	s_cselect_b32 s98, ttmp9, s4
	v_bfe_u32 v42, v0, 10, 10
	v_and_b32_e32 v2, 0x3ff, v0
	v_dual_mov_b32 v5, 0 :: v_dual_lshrrev_b32 v32, 10, v0
                                        ; implicit-def: $vgpr86 : SGPR spill to VGPR lane
                                        ; implicit-def: $vgpr85 : SGPR spill to VGPR lane
                                        ; implicit-def: $vgpr84 : SGPR spill to VGPR lane
	v_mov_b64_e32 v[22:23], 0
	s_delay_alu instid0(VALU_DEP_4)
	v_lshl_add_u32 v67, v42, 3, 0xa000
	s_wait_kmcnt 0x0
	s_and_b32 s2, s3, 0xffff
	s_add_co_i32 s99, s99, -1
	s_add_co_i32 s0, s84, -1
	s_ashr_i32 s85, s84, 31
	s_ashr_i32 s1, s0, 31
	s_lshr_b32 s3, s85, 26
	s_lshr_b32 s1, s1, 26
	s_add_co_i32 s3, s84, s3
	s_add_co_i32 s0, s0, s1
	s_and_not1_b32 s3, s3, 63
	s_sub_co_i32 s68, s99, s98
	s_ashr_i32 s0, s0, 6
	s_sub_co_i32 s15, s84, s3
	s_cmp_eq_u32 s0, s68
	v_lshl_add_u32 v1, v42, 6, v2
	s_cselect_b32 s0, -1, 0
	s_cmp_lg_u32 s15, 0
	v_mov_b32_e32 v3, v5
	s_cselect_b32 s1, -1, 0
	v_lshrrev_b32_e32 v10, 1, v1
	s_and_b32 s16, s1, s0
	v_mad_u32_u24 v4, v42, s2, v2
	s_xor_b32 s100, s16, -1
	s_cmp_lg_u32 s98, 0
	v_lshlrev_b32_e32 v45, 3, v2
	s_cselect_b32 s0, -1, 0
	s_lshl_b32 s10, s68, 6
	v_writelane_b32 v86, s0, 0
	s_add_nc_u64 s[0:1], s[86:87], 1
	v_dual_add_nc_u32 v12, s10, v42 :: v_dual_bitop2_b32 v13, 1, v0 bitop3:0x40
	v_mad_nc_u64_u32 v[18:19], s0, s10, v[2:3]
	v_lshlrev_b32_e32 v11, 9, v10
	s_ashr_i32 s11, s10, 31
	s_delay_alu instid0(VALU_DEP_3)
	v_dual_add_nc_u32 v14, 64, v12 :: v_dual_add_nc_u32 v6, s10, v2
	s_cmp_gt_i32 s98, 4
	s_mul_i32 s1, s1, s10
	s_mul_i32 s2, s0, s11
	s_cselect_b32 s3, -1, 0
	v_dual_ashrrev_i32 v15, 31, v14 :: v_dual_lshlrev_b32 v44, 3, v13
	s_delay_alu instid0(VALU_DEP_4)
	v_add3_u32 v19, s2, s1, v19
	s_and_b32 s102, s3, s100
	v_lshl_add_u32 v3, v10, 3, 0x8000
	v_cmp_gt_u32_e64 s1, 4, v1
	v_dual_sub_nc_u32 v43, 0, v11 :: v_dual_ashrrev_i32 v7, 31, v6
	v_lshrrev_b32_e32 v10, 2, v1
	v_cmp_eq_u32_e64 s2, 1, v13
	v_cmp_eq_u32_e64 s3, 0, v13
	v_and_b32_e32 v13, 3, v0
	v_mul_u64_e32 v[8:9], s[86:87], v[14:15]
	v_dual_lshlrev_b32 v15, 9, v10 :: v_dual_sub_nc_u32 v46, v44, v11
	s_and_b32 s103, s2, s1
	s_and_b32 s104, s3, s1
	v_cmp_gt_u32_e64 s2, 16, v1
	v_cmp_eq_u32_e64 s3, 3, v13
	v_cmp_ne_u32_e64 s4, 3, v13
	v_cmp_eq_u32_e64 s5, 2, v13
	v_lshl_add_u32 v47, v10, 3, 0x8000
	v_dual_sub_nc_u32 v48, 0, v15 :: v_dual_lshlrev_b32 v49, 3, v13
	s_and_b32 vcc_hi, s3, s2
	v_cmp_gt_u32_e64 s3, 2, v13
	s_and_b32 s36, s4, s2
	v_cmp_eq_u32_e64 s4, 1, v13
	s_and_b32 s37, s5, s2
	v_cmp_eq_u32_e64 s5, 0, v13
	v_dual_lshlrev_b32 v10, 6, v1 :: v_dual_bitop2_b32 v13, 7, v0 bitop3:0x40
	s_and_b32 s38, s3, s2
	s_and_b32 s39, s4, s2
	v_cmp_gt_u32_e64 s3, 64, v1
	s_and_b32 s40, s5, s2
	v_cmp_eq_u32_e64 s4, 7, v13
	v_cmp_ne_u32_e64 s5, 7, v13
	v_cmp_eq_u32_e64 s6, 6, v13
	v_cmp_eq_u32_e64 s7, 5, v13
	v_lshlrev_b32_e32 v53, 3, v13
	s_and_b32 s41, s4, s3
	v_cmp_gt_u32_e64 s4, 6, v13
	s_and_b32 s42, s5, s3
	v_cmp_gt_u32_e64 s5, 5, v13
	;; [unrolled: 2-line block ×3, first 2 shown]
	s_and_b32 s44, s4, s3
	v_cmp_eq_u32_e64 s4, 4, v13
	s_and_b32 s46, s5, s3
	v_cmp_eq_u32_e64 s5, 3, v13
	s_and_b32 s45, s7, s3
	v_cmp_gt_u32_e64 s7, 3, v13
	s_and_b32 s47, s4, s3
	v_cmp_eq_u32_e64 s4, 2, v13
	s_and_b32 s48, s6, s3
	s_and_b32 s49, s5, s3
	v_cmp_gt_u32_e64 s5, 2, v13
	v_cmp_eq_u32_e64 s6, 1, v13
	s_and_b32 s51, s4, s3
	v_cmp_eq_u32_e64 s4, 0, v13
	v_and_b32_e32 v13, 15, v0
	s_and_b32 s52, s5, s3
	s_and_b32 s53, s6, s3
	;; [unrolled: 1-line block ×4, first 2 shown]
	v_cmp_gt_u32_e64 s4, 0x100, v1
	v_cmp_eq_u32_e64 s5, 15, v13
	v_cmp_ne_u32_e64 s6, 15, v13
	v_cmp_gt_u32_e64 s7, 14, v13
	v_cmp_eq_u32_e64 s8, 13, v13
	v_cmp_gt_u32_e64 s9, 13, v13
	s_and_b32 s5, s5, s4
	s_and_b32 s6, s6, s4
	v_writelane_b32 v86, s5, 1
	v_cmp_eq_u32_e64 s5, 14, v13
	v_and_b32_e32 v11, 0x1fff8, v1
	v_and_b32_e32 v10, 0xfffffe00, v10
	v_cmp_le_i32_e64 s14, s15, v2
	v_writelane_b32 v86, s6, 2
	s_and_b32 s5, s5, s4
	v_cmp_gt_u32_e64 s6, 12, v13
	v_add_nc_u32_e32 v51, 0x8000, v11
	v_dual_lshrrev_b32 v11, 4, v1 :: v_dual_sub_nc_u32 v54, v53, v10
	v_writelane_b32 v86, s5, 3
	s_and_b32 s5, s7, s4
	v_cmp_eq_u32_e64 s7, 11, v13
	v_dual_sub_nc_u32 v50, v49, v15 :: v_dual_sub_nc_u32 v52, 0, v10
	v_writelane_b32 v86, s5, 4
	s_and_b32 s5, s8, s4
	v_cmp_gt_u32_e64 s8, 11, v13
	s_and_b32 s12, s7, s4
	v_cmp_gt_u32_e64 s7, 9, v13
	v_writelane_b32 v86, s5, 5
	s_and_b32 s5, s9, s4
	v_cmp_eq_u32_e64 s9, 10, v13
	s_and_b32 s13, s8, s4
	v_cmp_eq_u32_e64 s8, 8, v13
	v_writelane_b32 v86, s5, 6
	v_cmp_eq_u32_e64 s5, 12, v13
	s_and_b32 s23, s9, s4
	v_cmp_gt_u32_e64 s9, 8, v13
	s_and_b32 s29, s7, s4
	s_and_b32 s31, s8, s4
	;; [unrolled: 1-line block ×3, first 2 shown]
	v_cmp_eq_u32_e64 s7, 6, v13
	v_writelane_b32 v86, s5, 7
	s_and_b32 s5, s6, s4
	v_cmp_eq_u32_e64 s6, 9, v13
	v_cmp_gt_u32_e64 s8, 6, v13
	s_and_b32 s34, s9, s4
	v_writelane_b32 v86, s5, 8
	v_cmp_gt_u32_e64 s5, 10, v13
	s_and_b32 s27, s6, s4
	v_cmp_gt_u32_e64 s6, 7, v13
	v_cmp_eq_u32_e64 s9, 5, v13
	s_and_b32 s63, s7, s4
	s_and_b32 s25, s5, s4
	v_cmp_eq_u32_e64 s5, 7, v13
	s_and_b32 s62, s6, s4
	v_cmp_eq_u32_e64 s6, 4, v13
	s_and_b32 s64, s8, s4
	v_cmp_gt_u32_e64 s7, 4, v13
	s_and_b32 s61, s5, s4
	v_cmp_gt_u32_e64 s5, 5, v13
	v_cmp_eq_u32_e64 s8, 3, v13
	v_dual_lshlrev_b32 v15, 9, v11 :: v_dual_lshlrev_b32 v57, 3, v13
	s_and_b32 s28, s6, s4
	s_and_b32 s26, s5, s4
	v_cmp_eq_u32_e64 s5, 2, v13
	v_cmp_gt_u32_e64 s6, 2, v13
	s_and_b32 s24, s9, s4
	v_cmp_gt_u32_e64 s9, 3, v13
	s_and_b32 s30, s7, s4
	s_and_b32 s33, s8, s4
	v_cmp_eq_u32_e64 s7, 1, v13
	v_cmp_eq_u32_e64 s8, 0, v13
	s_and_b32 s55, s5, s4
	v_cmp_eq_u32_e64 s5, 0, v42
	s_and_b32 s65, s14, s16
	v_cmp_gt_i32_e32 vcc_lo, s15, v2
	v_dual_sub_nc_u32 v56, 0, v15 :: v_dual_lshrrev_b32 v10, 5, v1
	s_and_b32 s56, s6, s4
	s_xor_b32 s6, s65, -1
	s_and_b32 s101, s9, s4
	s_and_b32 s57, s7, s4
	;; [unrolled: 1-line block ×4, first 2 shown]
	s_cmp_gt_i32 s98, 0
	v_cmp_gt_i32_e64 s0, s84, v6
	v_lshl_add_u32 v55, v11, 3, 0x8000
	v_dual_lshlrev_b32 v11, 9, v10 :: v_dual_bitop2_b32 v58, 31, v0 bitop3:0x40
	v_sub_nc_u32_e32 v59, v57, v15
	s_cselect_b32 s67, -1, 0
	s_and_b32 s6, s5, vcc_lo
	v_add_nc_u32_e32 v15, 0x50, v12
	v_cmp_gt_i32_e32 vcc_lo, s84, v14
	v_writelane_b32 v86, s6, 9
	v_add_nc_u32_e32 v16, 0x60, v12
	v_add_nc_u32_e32 v17, 0x70, v12
	v_cmp_gt_i32_e64 s6, s84, v15
	s_and_b32 s9, s0, vcc_lo
	v_cmp_le_i32_e32 vcc_lo, s15, v42
	v_writelane_b32 v86, s9, 10
	v_cmp_gt_i32_e64 s7, s84, v16
	s_and_b32 s6, s0, s6
	v_cmp_gt_i32_e64 s8, s84, v17
	v_lshl_add_u32 v60, v10, 3, 0x8000
	v_writelane_b32 v86, s6, 11
	s_and_b32 s6, s0, s7
	v_dual_sub_nc_u32 v61, 0, v11 :: v_dual_lshlrev_b32 v10, 9, v58
	v_lshlrev_b32_e32 v62, 3, v58
	v_writelane_b32 v86, s6, 12
	s_and_b32 s6, s0, s8
	v_cmp_le_u32_e64 s8, v42, v2
	v_dual_add_nc_u32 v71, v67, v45 :: v_dual_add_nc_u32 v33, 16, v42
	v_writelane_b32 v86, s6, 13
	s_movk_i32 s6, 0x3800
	v_dual_sub_nc_u32 v64, 0, v10 :: v_dual_sub_nc_u32 v65, v62, v11
	v_mad_u32_u24 v75, 0x208, v58, s6
	v_writelane_b32 v86, s8, 14
	s_or_b32 s6, vcc_lo, s14
	v_add_nc_u64_e32 v[10:11], s[10:11], v[4:5]
	s_or_b32 s6, s6, s8
	v_cmp_le_u32_e64 s11, v33, v2
	v_writelane_b32 v86, s6, 15
	v_cmp_le_i32_e64 s9, s15, v33
	v_dual_add_nc_u32 v34, 32, v42 :: v_dual_add_nc_u32 v35, 48, v42
	v_mul_u64_e32 v[10:11], s[78:79], v[10:11]
	v_writelane_b32 v86, s11, 16
	s_or_b32 s7, s9, s14
	s_delay_alu instid0(VALU_DEP_3)
	v_cmp_le_u32_e64 s16, v34, v2
	s_or_b32 s6, s7, s11
	v_cmp_le_i32_e32 vcc_lo, s15, v34
	v_writelane_b32 v86, s6, 17
	v_cmp_le_u32_e64 s8, v35, v2
	v_cmp_le_i32_e64 s10, s15, v35
	v_cmp_ne_u32_e64 s9, v2, v35
	s_or_b32 s6, vcc_lo, s14
	v_writelane_b32 v86, s16, 18
	s_or_b32 s6, s6, s16
	s_or_b32 s7, s10, s14
	v_mul_u64_e32 v[20:21], s[78:79], v[6:7]
	v_bitop3_b32 v0, v0, v32, 0x3ff bitop3:0xa8
	v_writelane_b32 v86, s6, 19
	s_or_b32 s6, s7, s8
	v_cmp_ne_u32_e64 s7, v2, v33
	v_mad_nc_u64_u32 v[12:13], s86, v42, v[18:19]
	v_mad_nc_u64_u32 v[14:15], s86, v33, v[18:19]
	v_writelane_b32 v86, s8, 20
	v_cmp_ne_u32_e64 s8, v2, v34
	v_mad_nc_u64_u32 v[16:17], s86, v34, v[18:19]
	v_mad_nc_u64_u32 v[18:19], s86, v35, v[18:19]
	v_or_b32_e32 v36, v33, v2
	v_writelane_b32 v86, s6, 21
	v_cmp_ne_u32_e64 s6, v2, v42
	v_or_b32_e32 v37, v34, v2
	v_or_b32_e32 v38, v35, v2
	v_mad_u32 v13, s87, v42, v13
	v_mad_u32 v15, s87, v33, v15
	v_writelane_b32 v86, s6, 22
	s_or_b32 s6, s14, s6
	v_mad_u32 v17, s87, v34, v17
	v_mad_u32 v19, s87, v35, v19
	v_cmp_lt_u32_e32 vcc_lo, 0x3ff, v1
	v_writelane_b32 v86, s6, 23
	s_or_b32 s6, s14, s7
	v_mul_u32_u24_e32 v63, 0x208, v58
	v_lshl_add_u32 v66, v4, 3, 0xa000
	v_lshl_add_u32 v68, v1, 3, 0x8000
	v_writelane_b32 v86, s7, 24
	v_add_nc_u32_e32 v69, 0x8000, v45
	v_lshl_add_u32 v70, v42, 9, v45
	v_lshl_add_u32 v72, v2, 9, v45
	v_lshl_add_u32 v73, v33, 9, v45
	v_writelane_b32 v86, s6, 25
	s_or_b32 s6, s14, s8
	v_lshl_add_u32 v74, v34, 9, v45
	v_lshl_add_u32 v76, v35, 9, v45
	v_add_nc_u32_e32 v77, 0x7800, v45
	v_writelane_b32 v86, s8, 26
	v_subrev_nc_u32_e32 v78, 63, v2
	v_cmp_gt_u32_e64 s15, 2, v1
	v_cmp_gt_u32_e64 s16, 12, v1
	;; [unrolled: 1-line block ×3, first 2 shown]
	v_writelane_b32 v86, s6, 27
	s_or_b32 s6, s14, s9
	v_cmp_eq_u32_e64 s14, 0, v0
	v_cmp_gt_u32_e64 s18, 56, v1
	v_cmp_gt_u32_e64 s19, 48, v1
	v_writelane_b32 v86, s9, 28
	v_cmp_gt_u32_e64 s20, 40, v1
	v_cmp_gt_u32_e64 s21, 32, v1
	;; [unrolled: 1-line block ×4, first 2 shown]
	v_writelane_b32 v86, s6, 29
	v_cmp_gt_u32_e64 s6, 0xf0, v1
	v_cmp_eq_u32_e64 s59, 0, v4
	v_cmp_gt_u32_e64 s60, 64, v4
	s_add_co_i32 s68, s68, 1
	s_xor_b32 s9, vcc_lo, -1
	v_writelane_b32 v86, s6, 30
	v_cmp_gt_u32_e64 s6, 0xe0, v1
	s_lshl_b64 s[90:91], s[86:87], 7
	s_lshl_b64 s[92:93], s[86:87], 8
	s_mul_u64 s[94:95], s[86:87], 0x180
	s_lshl_b64 s[82:83], s[82:83], 3
	v_writelane_b32 v86, s6, 31
	v_cmp_gt_u32_e64 s6, 0xd0, v1
	s_lshl_b64 s[76:77], s[76:77], 3
                                        ; implicit-def: $vgpr24_vgpr25
                                        ; implicit-def: $vgpr26_vgpr27
                                        ; implicit-def: $vgpr28_vgpr29
                                        ; implicit-def: $vgpr30_vgpr31
	v_writelane_b32 v85, s6, 0
	v_cmp_gt_u32_e64 s6, 0xc0, v1
	s_delay_alu instid0(VALU_DEP_1) | instskip(SKIP_1) | instid1(VALU_DEP_1)
	v_writelane_b32 v85, s6, 1
	v_cmp_gt_u32_e64 s6, 0xb0, v1
	v_writelane_b32 v85, s6, 2
	v_cmp_gt_u32_e64 s6, 0xa0, v1
	s_delay_alu instid0(VALU_DEP_1) | instskip(SKIP_1) | instid1(VALU_DEP_1)
	v_writelane_b32 v85, s6, 3
	v_cmp_gt_u32_e64 s6, 0x90, v1
	;; [unrolled: 5-line block ×15, first 2 shown]
	v_writelane_b32 v85, s6, 30
	v_cmp_gt_u32_e64 s6, 0x120, v1
	s_delay_alu instid0(VALU_DEP_1) | instskip(SKIP_1) | instid1(VALU_DEP_1)
	v_writelane_b32 v85, s6, 31
	v_cmp_le_u32_e64 s6, v2, v42
	v_writelane_b32 v84, s6, 0
	v_cmp_le_u32_e64 s6, v2, v33
	s_delay_alu instid0(VALU_DEP_1) | instskip(SKIP_1) | instid1(VALU_DEP_1)
	v_writelane_b32 v84, s6, 1
	v_cmp_le_u32_e64 s6, v2, v34
	v_writelane_b32 v84, s6, 2
	v_cmp_le_u32_e64 s6, v2, v35
	s_delay_alu instid0(VALU_DEP_1) | instskip(SKIP_1) | instid1(VALU_DEP_1)
	v_writelane_b32 v84, s6, 3
	v_cmp_gt_u32_e64 s6, 64, v0
	v_writelane_b32 v84, s6, 4
	v_cmp_gt_u32_e64 s6, 64, v36
	s_delay_alu instid0(VALU_DEP_1) | instskip(SKIP_1) | instid1(VALU_DEP_1)
	v_writelane_b32 v84, s6, 5
	v_cmp_gt_u32_e64 s6, 64, v37
	v_writelane_b32 v84, s6, 6
	v_cmp_gt_u32_e64 s6, 64, v38
	s_delay_alu instid0(VALU_DEP_1)
	v_writelane_b32 v84, s6, 7
	s_branch .LBB124_3
.LBB124_2:                              ;   in Loop: Header=BB124_3 Depth=1
	s_wait_xcnt 0x0
	s_or_b32 exec_lo, exec_lo, s6
	s_add_co_i32 s70, s70, 0x10000
	global_wb scope:SCOPE_DEV
	s_wait_storecnt 0x0
	global_inv scope:SCOPE_DEV
	s_cmp_lt_u32 s70, s69
	s_cbranch_scc0 .LBB124_1087
.LBB124_3:                              ; =>This Loop Header: Depth=1
                                        ;     Child Loop BB124_542 Depth 2
                                        ;     Child Loop BB124_959 Depth 2
                                        ;       Child Loop BB124_961 Depth 3
                                        ;     Child Loop BB124_999 Depth 2
	v_mov_b32_e32 v32, s70
	v_readlane_b32 s6, v86, 0
	s_clause 0x1
	global_load_b64 v[0:1], v32, s[80:81] scale_offset
	global_load_b64 v[34:35], v32, s[74:75] scale_offset
	global_load_b64 v[32:33], v5, s[72:73]
	s_and_not1_b32 vcc_lo, exec_lo, s6
	s_wait_loadcnt 0x2
	v_add_nc_u64_e32 v[0:1], s[82:83], v[0:1]
	s_cbranch_vccnz .LBB124_13
; %bb.4:                                ;   in Loop: Header=BB124_3 Depth=1
	s_delay_alu instid0(VALU_DEP_1)
	v_lshl_add_u64 v[28:29], v[8:9], 3, v[0:1]
	v_mov_b64_e32 v[26:27], 0
	v_mov_b64_e32 v[24:25], 0
	s_wait_loadcnt 0x0
	s_barrier_signal -1
	v_lshl_add_u64 v[36:37], v[6:7], 3, v[28:29]
	s_barrier_wait -1
	s_wait_xcnt 0x0
	s_mov_b32 s6, exec_lo
	v_readlane_b32 s7, v86, 10
	s_and_b32 s7, s6, s7
	s_delay_alu instid0(SALU_CYCLE_1)
	s_mov_b32 exec_lo, s7
	s_cbranch_execz .LBB124_6
; %bb.5:                                ;   in Loop: Header=BB124_3 Depth=1
	flat_load_b64 v[24:25], v[36:37]
.LBB124_6:                              ;   in Loop: Header=BB124_3 Depth=1
	s_wait_xcnt 0x0
	s_or_b32 exec_lo, exec_lo, s6
	s_wait_loadcnt_dscnt 0x0
	s_barrier_signal -1
	s_barrier_wait -1
	s_mov_b32 s6, exec_lo
	v_readlane_b32 s7, v86, 11
	s_and_b32 s7, s6, s7
	s_delay_alu instid0(SALU_CYCLE_1)
	s_mov_b32 exec_lo, s7
	s_cbranch_execz .LBB124_8
; %bb.7:                                ;   in Loop: Header=BB124_3 Depth=1
	v_add_nc_u64_e32 v[26:27], s[90:91], v[36:37]
	flat_load_b64 v[26:27], v[26:27]
.LBB124_8:                              ;   in Loop: Header=BB124_3 Depth=1
	s_wait_xcnt 0x0
	s_or_b32 exec_lo, exec_lo, s6
	v_mov_b64_e32 v[30:31], 0
	v_mov_b64_e32 v[28:29], 0
	s_wait_loadcnt_dscnt 0x0
	s_barrier_signal -1
	s_barrier_wait -1
	s_mov_b32 s6, exec_lo
	v_readlane_b32 s7, v86, 12
	s_and_b32 s7, s6, s7
	s_delay_alu instid0(SALU_CYCLE_1)
	s_mov_b32 exec_lo, s7
	s_cbranch_execz .LBB124_10
; %bb.9:                                ;   in Loop: Header=BB124_3 Depth=1
	v_add_nc_u64_e32 v[28:29], s[92:93], v[36:37]
	flat_load_b64 v[28:29], v[28:29]
.LBB124_10:                             ;   in Loop: Header=BB124_3 Depth=1
	s_wait_xcnt 0x0
	s_or_b32 exec_lo, exec_lo, s6
	s_wait_loadcnt_dscnt 0x0
	s_barrier_signal -1
	s_barrier_wait -1
	s_mov_b32 s6, exec_lo
	v_readlane_b32 s7, v86, 13
	s_and_b32 s7, s6, s7
	s_delay_alu instid0(SALU_CYCLE_1)
	s_mov_b32 exec_lo, s7
	s_cbranch_execz .LBB124_12
; %bb.11:                               ;   in Loop: Header=BB124_3 Depth=1
	v_add_nc_u64_e32 v[30:31], s[94:95], v[36:37]
	flat_load_b64 v[30:31], v[30:31]
.LBB124_12:                             ;   in Loop: Header=BB124_3 Depth=1
	s_wait_xcnt 0x0
	s_or_b32 exec_lo, exec_lo, s6
.LBB124_13:                             ;   in Loop: Header=BB124_3 Depth=1
	s_delay_alu instid0(SALU_CYCLE_1)
	s_and_not1_b32 vcc_lo, exec_lo, s100
	s_mov_b32 s6, -1
	s_cbranch_vccnz .LBB124_49
; %bb.14:                               ;   in Loop: Header=BB124_3 Depth=1
	s_mov_b32 s6, 0
                                        ; implicit-def: $vgpr36_vgpr37
	s_wait_xcnt 0x0
	s_mov_b32 s7, exec_lo
	v_readlane_b32 s8, v86, 14
	s_and_b32 s8, s7, s8
	s_delay_alu instid0(SALU_CYCLE_1)
	s_xor_b32 s10, s8, s7
	s_mov_b32 exec_lo, s8
	s_cbranch_execnz .LBB124_1021
; %bb.15:                               ;   in Loop: Header=BB124_3 Depth=1
	s_and_not1_saveexec_b32 s7, s10
	s_cbranch_execnz .LBB124_1026
.LBB124_16:                             ;   in Loop: Header=BB124_3 Depth=1
	s_or_b32 exec_lo, exec_lo, s7
	s_and_saveexec_b32 s7, s6
.LBB124_17:                             ;   in Loop: Header=BB124_3 Depth=1
	ds_store_b64 v70, v[36:37]
.LBB124_18:                             ;   in Loop: Header=BB124_3 Depth=1
	s_or_b32 exec_lo, exec_lo, s7
	s_delay_alu instid0(SALU_CYCLE_1) | instskip(SKIP_2) | instid1(SALU_CYCLE_1)
	s_mov_b32 s6, exec_lo
	v_readlane_b32 s7, v86, 16
	s_and_b32 s7, s6, s7
	s_xor_b32 s10, s7, s6
	s_mov_b32 exec_lo, s7
	s_cbranch_execz .LBB124_26
; %bb.19:                               ;   in Loop: Header=BB124_3 Depth=1
	s_mov_b32 s6, exec_lo
	v_readlane_b32 s7, v86, 24
	s_and_b32 s7, s6, s7
	s_delay_alu instid0(SALU_CYCLE_1)
	s_xor_b32 s6, s7, s6
	s_mov_b32 exec_lo, s7
	s_cbranch_execz .LBB124_23
; %bb.20:                               ;   in Loop: Header=BB124_3 Depth=1
	s_mov_b32 s7, exec_lo
	v_readlane_b32 s8, v84, 5
	s_and_b32 s8, s7, s8
	s_delay_alu instid0(SALU_CYCLE_1)
	s_mov_b32 exec_lo, s8
; %bb.21:                               ;   in Loop: Header=BB124_3 Depth=1
	ds_store_b64 v73, v[22:23]
; %bb.22:                               ;   in Loop: Header=BB124_3 Depth=1
	s_or_b32 exec_lo, exec_lo, s7
.LBB124_23:                             ;   in Loop: Header=BB124_3 Depth=1
	s_and_not1_saveexec_b32 s6, s6
	s_cbranch_execz .LBB124_25
; %bb.24:                               ;   in Loop: Header=BB124_3 Depth=1
	v_lshl_add_u64 v[36:37], v[14:15], 3, v[0:1]
	flat_load_b64 v[36:37], v[36:37]
	s_wait_loadcnt_dscnt 0x0
	v_div_scale_f64 v[38:39], null, v[36:37], v[36:37], 1.0
	s_delay_alu instid0(VALU_DEP_1) | instskip(SKIP_1) | instid1(TRANS32_DEP_1)
	v_rcp_f64_e32 v[40:41], v[38:39]
	v_nop
	v_fma_f64 v[80:81], -v[38:39], v[40:41], 1.0
	s_delay_alu instid0(VALU_DEP_1) | instskip(NEXT) | instid1(VALU_DEP_1)
	v_fmac_f64_e32 v[40:41], v[40:41], v[80:81]
	v_fma_f64 v[80:81], -v[38:39], v[40:41], 1.0
	s_delay_alu instid0(VALU_DEP_1) | instskip(SKIP_1) | instid1(VALU_DEP_1)
	v_fmac_f64_e32 v[40:41], v[40:41], v[80:81]
	v_div_scale_f64 v[80:81], vcc_lo, 1.0, v[36:37], 1.0
	v_mul_f64_e32 v[82:83], v[80:81], v[40:41]
	s_delay_alu instid0(VALU_DEP_1) | instskip(NEXT) | instid1(VALU_DEP_1)
	v_fma_f64 v[38:39], -v[38:39], v[82:83], v[80:81]
	v_div_fmas_f64 v[38:39], v[38:39], v[40:41], v[82:83]
	s_delay_alu instid0(VALU_DEP_1)
	v_div_fixup_f64 v[36:37], v[38:39], v[36:37], 1.0
	ds_store_b64 v73, v[36:37]
.LBB124_25:                             ;   in Loop: Header=BB124_3 Depth=1
	s_or_b32 exec_lo, exec_lo, s6
.LBB124_26:                             ;   in Loop: Header=BB124_3 Depth=1
	s_and_not1_saveexec_b32 s6, s10
	s_cbranch_execz .LBB124_28
; %bb.27:                               ;   in Loop: Header=BB124_3 Depth=1
	v_lshl_add_u64 v[36:37], v[14:15], 3, v[0:1]
	flat_load_b64 v[36:37], v[36:37]
	s_wait_loadcnt_dscnt 0x0
	v_xor_b32_e32 v37, 0x80000000, v37
	ds_store_b64 v73, v[36:37]
.LBB124_28:                             ;   in Loop: Header=BB124_3 Depth=1
	s_or_b32 exec_lo, exec_lo, s6
	s_delay_alu instid0(SALU_CYCLE_1) | instskip(SKIP_2) | instid1(SALU_CYCLE_1)
	s_mov_b32 s6, exec_lo
	v_readlane_b32 s7, v86, 18
	s_and_b32 s7, s6, s7
	s_xor_b32 s10, s7, s6
	s_mov_b32 exec_lo, s7
	s_cbranch_execz .LBB124_36
; %bb.29:                               ;   in Loop: Header=BB124_3 Depth=1
	s_mov_b32 s6, exec_lo
	v_readlane_b32 s7, v86, 26
	s_and_b32 s7, s6, s7
	s_delay_alu instid0(SALU_CYCLE_1)
	s_xor_b32 s6, s7, s6
	s_mov_b32 exec_lo, s7
	s_cbranch_execz .LBB124_33
; %bb.30:                               ;   in Loop: Header=BB124_3 Depth=1
	s_mov_b32 s7, exec_lo
	v_readlane_b32 s8, v84, 6
	s_and_b32 s8, s7, s8
	s_delay_alu instid0(SALU_CYCLE_1)
	s_mov_b32 exec_lo, s8
; %bb.31:                               ;   in Loop: Header=BB124_3 Depth=1
	ds_store_b64 v74, v[22:23]
; %bb.32:                               ;   in Loop: Header=BB124_3 Depth=1
	s_or_b32 exec_lo, exec_lo, s7
.LBB124_33:                             ;   in Loop: Header=BB124_3 Depth=1
	s_and_not1_saveexec_b32 s6, s6
	s_cbranch_execz .LBB124_35
; %bb.34:                               ;   in Loop: Header=BB124_3 Depth=1
	v_lshl_add_u64 v[36:37], v[16:17], 3, v[0:1]
	flat_load_b64 v[36:37], v[36:37]
	s_wait_loadcnt_dscnt 0x0
	v_div_scale_f64 v[38:39], null, v[36:37], v[36:37], 1.0
	s_delay_alu instid0(VALU_DEP_1) | instskip(SKIP_1) | instid1(TRANS32_DEP_1)
	v_rcp_f64_e32 v[40:41], v[38:39]
	v_nop
	v_fma_f64 v[80:81], -v[38:39], v[40:41], 1.0
	s_delay_alu instid0(VALU_DEP_1) | instskip(NEXT) | instid1(VALU_DEP_1)
	v_fmac_f64_e32 v[40:41], v[40:41], v[80:81]
	v_fma_f64 v[80:81], -v[38:39], v[40:41], 1.0
	s_delay_alu instid0(VALU_DEP_1) | instskip(SKIP_1) | instid1(VALU_DEP_1)
	v_fmac_f64_e32 v[40:41], v[40:41], v[80:81]
	v_div_scale_f64 v[80:81], vcc_lo, 1.0, v[36:37], 1.0
	v_mul_f64_e32 v[82:83], v[80:81], v[40:41]
	s_delay_alu instid0(VALU_DEP_1) | instskip(NEXT) | instid1(VALU_DEP_1)
	v_fma_f64 v[38:39], -v[38:39], v[82:83], v[80:81]
	v_div_fmas_f64 v[38:39], v[38:39], v[40:41], v[82:83]
	s_delay_alu instid0(VALU_DEP_1)
	v_div_fixup_f64 v[36:37], v[38:39], v[36:37], 1.0
	ds_store_b64 v74, v[36:37]
.LBB124_35:                             ;   in Loop: Header=BB124_3 Depth=1
	s_or_b32 exec_lo, exec_lo, s6
.LBB124_36:                             ;   in Loop: Header=BB124_3 Depth=1
	s_and_not1_saveexec_b32 s6, s10
	s_cbranch_execz .LBB124_38
; %bb.37:                               ;   in Loop: Header=BB124_3 Depth=1
	v_lshl_add_u64 v[36:37], v[16:17], 3, v[0:1]
	flat_load_b64 v[36:37], v[36:37]
	s_wait_loadcnt_dscnt 0x0
	v_xor_b32_e32 v37, 0x80000000, v37
	ds_store_b64 v74, v[36:37]
.LBB124_38:                             ;   in Loop: Header=BB124_3 Depth=1
	;; [unrolled: 63-line block ×3, first 2 shown]
	s_or_b32 exec_lo, exec_lo, s6
	s_mov_b32 s6, 0
.LBB124_49:                             ;   in Loop: Header=BB124_3 Depth=1
	s_delay_alu instid0(SALU_CYCLE_1)
	s_and_b32 vcc_lo, exec_lo, s6
	s_cbranch_vccz .LBB124_85
; %bb.50:                               ;   in Loop: Header=BB124_3 Depth=1
	s_mov_b32 s6, 0
                                        ; implicit-def: $vgpr36_vgpr37
	s_wait_xcnt 0x0
	s_mov_b32 s7, exec_lo
	v_readlane_b32 s8, v86, 15
	s_and_b32 s8, s7, s8
	s_delay_alu instid0(SALU_CYCLE_1)
	s_xor_b32 s10, s8, s7
	s_mov_b32 exec_lo, s8
	s_cbranch_execnz .LBB124_1027
; %bb.51:                               ;   in Loop: Header=BB124_3 Depth=1
	s_and_not1_saveexec_b32 s7, s10
	s_cbranch_execnz .LBB124_1032
.LBB124_52:                             ;   in Loop: Header=BB124_3 Depth=1
	s_or_b32 exec_lo, exec_lo, s7
	s_and_saveexec_b32 s7, s6
.LBB124_53:                             ;   in Loop: Header=BB124_3 Depth=1
	ds_store_b64 v70, v[36:37]
.LBB124_54:                             ;   in Loop: Header=BB124_3 Depth=1
	s_or_b32 exec_lo, exec_lo, s7
	s_delay_alu instid0(SALU_CYCLE_1) | instskip(SKIP_2) | instid1(SALU_CYCLE_1)
	s_mov_b32 s6, exec_lo
	v_readlane_b32 s7, v86, 17
	s_and_b32 s7, s6, s7
	s_xor_b32 s10, s7, s6
	s_mov_b32 exec_lo, s7
	s_cbranch_execz .LBB124_62
; %bb.55:                               ;   in Loop: Header=BB124_3 Depth=1
	s_mov_b32 s6, exec_lo
	v_readlane_b32 s7, v86, 25
	s_and_b32 s7, s6, s7
	s_delay_alu instid0(SALU_CYCLE_1)
	s_xor_b32 s6, s7, s6
	s_mov_b32 exec_lo, s7
	s_cbranch_execz .LBB124_59
; %bb.56:                               ;   in Loop: Header=BB124_3 Depth=1
	s_mov_b32 s7, exec_lo
	v_readlane_b32 s8, v84, 5
	s_and_b32 s8, s7, s8
	s_delay_alu instid0(SALU_CYCLE_1)
	s_mov_b32 exec_lo, s8
; %bb.57:                               ;   in Loop: Header=BB124_3 Depth=1
	ds_store_b64 v73, v[22:23]
; %bb.58:                               ;   in Loop: Header=BB124_3 Depth=1
	s_or_b32 exec_lo, exec_lo, s7
.LBB124_59:                             ;   in Loop: Header=BB124_3 Depth=1
	s_and_not1_saveexec_b32 s6, s6
	s_cbranch_execz .LBB124_61
; %bb.60:                               ;   in Loop: Header=BB124_3 Depth=1
	v_lshl_add_u64 v[36:37], v[14:15], 3, v[0:1]
	flat_load_b64 v[36:37], v[36:37]
	s_wait_loadcnt_dscnt 0x0
	v_div_scale_f64 v[38:39], null, v[36:37], v[36:37], 1.0
	s_delay_alu instid0(VALU_DEP_1) | instskip(SKIP_1) | instid1(TRANS32_DEP_1)
	v_rcp_f64_e32 v[40:41], v[38:39]
	v_nop
	v_fma_f64 v[80:81], -v[38:39], v[40:41], 1.0
	s_delay_alu instid0(VALU_DEP_1) | instskip(NEXT) | instid1(VALU_DEP_1)
	v_fmac_f64_e32 v[40:41], v[40:41], v[80:81]
	v_fma_f64 v[80:81], -v[38:39], v[40:41], 1.0
	s_delay_alu instid0(VALU_DEP_1) | instskip(SKIP_1) | instid1(VALU_DEP_1)
	v_fmac_f64_e32 v[40:41], v[40:41], v[80:81]
	v_div_scale_f64 v[80:81], vcc_lo, 1.0, v[36:37], 1.0
	v_mul_f64_e32 v[82:83], v[80:81], v[40:41]
	s_delay_alu instid0(VALU_DEP_1) | instskip(NEXT) | instid1(VALU_DEP_1)
	v_fma_f64 v[38:39], -v[38:39], v[82:83], v[80:81]
	v_div_fmas_f64 v[38:39], v[38:39], v[40:41], v[82:83]
	s_delay_alu instid0(VALU_DEP_1)
	v_div_fixup_f64 v[36:37], v[38:39], v[36:37], 1.0
	ds_store_b64 v73, v[36:37]
.LBB124_61:                             ;   in Loop: Header=BB124_3 Depth=1
	s_or_b32 exec_lo, exec_lo, s6
.LBB124_62:                             ;   in Loop: Header=BB124_3 Depth=1
	s_and_not1_saveexec_b32 s6, s10
	s_cbranch_execz .LBB124_64
; %bb.63:                               ;   in Loop: Header=BB124_3 Depth=1
	v_lshl_add_u64 v[36:37], v[14:15], 3, v[0:1]
	flat_load_b64 v[36:37], v[36:37]
	s_wait_loadcnt_dscnt 0x0
	v_xor_b32_e32 v37, 0x80000000, v37
	ds_store_b64 v73, v[36:37]
.LBB124_64:                             ;   in Loop: Header=BB124_3 Depth=1
	s_or_b32 exec_lo, exec_lo, s6
	s_delay_alu instid0(SALU_CYCLE_1) | instskip(SKIP_2) | instid1(SALU_CYCLE_1)
	s_mov_b32 s6, exec_lo
	v_readlane_b32 s7, v86, 19
	s_and_b32 s7, s6, s7
	s_xor_b32 s10, s7, s6
	s_mov_b32 exec_lo, s7
	s_cbranch_execz .LBB124_72
; %bb.65:                               ;   in Loop: Header=BB124_3 Depth=1
	s_mov_b32 s6, exec_lo
	v_readlane_b32 s7, v86, 27
	s_and_b32 s7, s6, s7
	s_delay_alu instid0(SALU_CYCLE_1)
	s_xor_b32 s6, s7, s6
	s_mov_b32 exec_lo, s7
	s_cbranch_execz .LBB124_69
; %bb.66:                               ;   in Loop: Header=BB124_3 Depth=1
	s_mov_b32 s7, exec_lo
	v_readlane_b32 s8, v84, 6
	s_and_b32 s8, s7, s8
	s_delay_alu instid0(SALU_CYCLE_1)
	s_mov_b32 exec_lo, s8
; %bb.67:                               ;   in Loop: Header=BB124_3 Depth=1
	ds_store_b64 v74, v[22:23]
; %bb.68:                               ;   in Loop: Header=BB124_3 Depth=1
	s_or_b32 exec_lo, exec_lo, s7
.LBB124_69:                             ;   in Loop: Header=BB124_3 Depth=1
	s_and_not1_saveexec_b32 s6, s6
	s_cbranch_execz .LBB124_71
; %bb.70:                               ;   in Loop: Header=BB124_3 Depth=1
	v_lshl_add_u64 v[36:37], v[16:17], 3, v[0:1]
	flat_load_b64 v[36:37], v[36:37]
	s_wait_loadcnt_dscnt 0x0
	v_div_scale_f64 v[38:39], null, v[36:37], v[36:37], 1.0
	s_delay_alu instid0(VALU_DEP_1) | instskip(SKIP_1) | instid1(TRANS32_DEP_1)
	v_rcp_f64_e32 v[40:41], v[38:39]
	v_nop
	v_fma_f64 v[80:81], -v[38:39], v[40:41], 1.0
	s_delay_alu instid0(VALU_DEP_1) | instskip(NEXT) | instid1(VALU_DEP_1)
	v_fmac_f64_e32 v[40:41], v[40:41], v[80:81]
	v_fma_f64 v[80:81], -v[38:39], v[40:41], 1.0
	s_delay_alu instid0(VALU_DEP_1) | instskip(SKIP_1) | instid1(VALU_DEP_1)
	v_fmac_f64_e32 v[40:41], v[40:41], v[80:81]
	v_div_scale_f64 v[80:81], vcc_lo, 1.0, v[36:37], 1.0
	v_mul_f64_e32 v[82:83], v[80:81], v[40:41]
	s_delay_alu instid0(VALU_DEP_1) | instskip(NEXT) | instid1(VALU_DEP_1)
	v_fma_f64 v[38:39], -v[38:39], v[82:83], v[80:81]
	v_div_fmas_f64 v[38:39], v[38:39], v[40:41], v[82:83]
	s_delay_alu instid0(VALU_DEP_1)
	v_div_fixup_f64 v[36:37], v[38:39], v[36:37], 1.0
	ds_store_b64 v74, v[36:37]
.LBB124_71:                             ;   in Loop: Header=BB124_3 Depth=1
	s_or_b32 exec_lo, exec_lo, s6
.LBB124_72:                             ;   in Loop: Header=BB124_3 Depth=1
	s_and_not1_saveexec_b32 s6, s10
	s_cbranch_execz .LBB124_74
; %bb.73:                               ;   in Loop: Header=BB124_3 Depth=1
	v_lshl_add_u64 v[36:37], v[16:17], 3, v[0:1]
	flat_load_b64 v[36:37], v[36:37]
	s_wait_loadcnt_dscnt 0x0
	v_xor_b32_e32 v37, 0x80000000, v37
	ds_store_b64 v74, v[36:37]
.LBB124_74:                             ;   in Loop: Header=BB124_3 Depth=1
	;; [unrolled: 63-line block ×3, first 2 shown]
	s_or_b32 exec_lo, exec_lo, s6
.LBB124_85:                             ;   in Loop: Header=BB124_3 Depth=1
	s_delay_alu instid0(SALU_CYCLE_1)
	s_and_not1_b32 vcc_lo, exec_lo, s102
	s_wait_loadcnt_dscnt 0x0
	s_barrier_signal -1
	s_barrier_wait -1
	s_cbranch_vccnz .LBB124_953
; %bb.86:                               ;   in Loop: Header=BB124_3 Depth=1
	s_and_saveexec_b32 s6, s14
	s_cbranch_execz .LBB124_88
; %bb.87:                               ;   in Loop: Header=BB124_3 Depth=1
	ds_load_b128 v[36:39], v5 offset:32752
	ds_load_b64 v[40:41], v5 offset:32240
	s_wait_dscnt 0x0
	v_mul_f64_e32 v[38:39], v[40:41], v[38:39]
	s_delay_alu instid0(VALU_DEP_1)
	v_mul_f64_e32 v[36:37], v[36:37], v[38:39]
	ds_store_b64 v5, v[36:37] offset:32752
.LBB124_88:                             ;   in Loop: Header=BB124_3 Depth=1
	s_or_b32 exec_lo, exec_lo, s6
	v_mov_b64_e32 v[36:37], 0
	s_wait_dscnt 0x0
	s_barrier_signal -1
	s_barrier_wait -1
	global_wb scope:SCOPE_DEV
	s_wait_storecnt 0x0
	global_inv scope:SCOPE_DEV
	s_and_saveexec_b32 s6, s1
	s_cbranch_execz .LBB124_92
; %bb.89:                               ;   in Loop: Header=BB124_3 Depth=1
	ds_load_b64 v[36:37], v44 offset:32224
	ds_load_b64 v[38:39], v43 offset:32752
	s_wait_dscnt 0x0
	v_fma_f64 v[36:37], v[36:37], v[38:39], 0
	s_and_saveexec_b32 s7, s15
	s_cbranch_execz .LBB124_91
; %bb.90:                               ;   in Loop: Header=BB124_3 Depth=1
	ds_load_b64 v[38:39], v45 offset:32736
	ds_load_b64 v[40:41], v5 offset:32760
	s_wait_dscnt 0x0
	v_fmac_f64_e32 v[36:37], v[38:39], v[40:41]
.LBB124_91:                             ;   in Loop: Header=BB124_3 Depth=1
	s_or_b32 exec_lo, exec_lo, s7
.LBB124_92:                             ;   in Loop: Header=BB124_3 Depth=1
	s_delay_alu instid0(SALU_CYCLE_1)
	s_or_b32 exec_lo, exec_lo, s6
	s_and_saveexec_b32 s6, s103
	s_cbranch_execz .LBB124_94
; %bb.93:                               ;   in Loop: Header=BB124_3 Depth=1
	ds_load_b64 v[38:39], v5 offset:31720
	s_wait_dscnt 0x0
	v_mul_f64_e32 v[36:37], v[36:37], v[38:39]
	s_delay_alu instid0(VALU_DEP_1) | instskip(NEXT) | instid1(VALU_DEP_2)
	v_xor_b32_e32 v39, 0x80000000, v37
	v_mov_b32_e32 v38, v36
	ds_store_b64 v3, v[38:39]
.LBB124_94:                             ;   in Loop: Header=BB124_3 Depth=1
	s_or_b32 exec_lo, exec_lo, s6
	s_wait_loadcnt_dscnt 0x0
	s_barrier_signal -1
	s_barrier_wait -1
	s_and_saveexec_b32 s6, s104
	s_cbranch_execz .LBB124_96
; %bb.95:                               ;   in Loop: Header=BB124_3 Depth=1
	ds_load_b64 v[38:39], v5 offset:31712
	ds_load_b64 v[40:41], v3
	s_wait_dscnt 0x0
	v_fma_f64 v[36:37], -v[38:39], v[40:41], v[36:37]
.LBB124_96:                             ;   in Loop: Header=BB124_3 Depth=1
	s_or_b32 exec_lo, exec_lo, s6
	s_barrier_signal -1
	s_barrier_wait -1
	s_and_saveexec_b32 s6, s104
	s_cbranch_execz .LBB124_98
; %bb.97:                               ;   in Loop: Header=BB124_3 Depth=1
	ds_load_b64 v[38:39], v5 offset:31200
	s_wait_dscnt 0x0
	v_mul_f64_e32 v[36:37], v[36:37], v[38:39]
	s_delay_alu instid0(VALU_DEP_1) | instskip(NEXT) | instid1(VALU_DEP_2)
	v_xor_b32_e32 v39, 0x80000000, v37
	v_mov_b32_e32 v38, v36
	ds_store_b64 v3, v[38:39]
.LBB124_98:                             ;   in Loop: Header=BB124_3 Depth=1
	s_or_b32 exec_lo, exec_lo, s6
	s_wait_dscnt 0x0
	s_barrier_signal -1
	s_barrier_wait -1
	s_barrier_signal -1
	s_barrier_wait -1
	s_and_saveexec_b32 s6, s1
; %bb.99:                               ;   in Loop: Header=BB124_3 Depth=1
	ds_store_b64 v46, v[36:37] offset:32736
; %bb.100:                              ;   in Loop: Header=BB124_3 Depth=1
	s_or_b32 exec_lo, exec_lo, s6
	s_wait_dscnt 0x0
	s_barrier_signal -1
	s_barrier_wait -1
	s_barrier_signal -1
	s_barrier_wait -1
	s_and_saveexec_b32 s6, s14
	s_cbranch_execz .LBB124_102
; %bb.101:                              ;   in Loop: Header=BB124_3 Depth=1
	ds_load_b128 v[36:39], v5 offset:31712
	ds_load_b64 v[40:41], v5 offset:31200
	s_wait_dscnt 0x0
	v_mul_f64_e32 v[38:39], v[40:41], v[38:39]
	s_delay_alu instid0(VALU_DEP_1)
	v_mul_f64_e32 v[36:37], v[36:37], v[38:39]
	ds_store_b64 v5, v[36:37] offset:31712
.LBB124_102:                            ;   in Loop: Header=BB124_3 Depth=1
	s_or_b32 exec_lo, exec_lo, s6
	v_mov_b64_e32 v[36:37], 0
	s_wait_dscnt 0x0
	s_barrier_signal -1
	s_barrier_wait -1
	global_wb scope:SCOPE_DEV
	s_wait_storecnt 0x0
	global_inv scope:SCOPE_DEV
	s_and_saveexec_b32 s10, s2
	s_cbranch_execz .LBB124_108
; %bb.103:                              ;   in Loop: Header=BB124_3 Depth=1
	ds_load_b64 v[36:37], v49 offset:31168
	ds_load_b64 v[38:39], v48 offset:32736
	s_wait_dscnt 0x0
	v_fma_f64 v[36:37], v[36:37], v[38:39], 0
	s_and_saveexec_b32 s6, s16
	s_cbranch_execnz .LBB124_1037
; %bb.104:                              ;   in Loop: Header=BB124_3 Depth=1
	s_or_b32 exec_lo, exec_lo, s6
	s_and_saveexec_b32 s6, s17
	s_cbranch_execnz .LBB124_1038
.LBB124_105:                            ;   in Loop: Header=BB124_3 Depth=1
	s_or_b32 exec_lo, exec_lo, s6
	s_and_saveexec_b32 s6, s1
	s_cbranch_execz .LBB124_107
.LBB124_106:                            ;   in Loop: Header=BB124_3 Depth=1
	ds_load_b64 v[38:39], v45 offset:32704
	ds_load_b64 v[40:41], v5 offset:32760
	s_wait_dscnt 0x0
	v_fmac_f64_e32 v[36:37], v[38:39], v[40:41]
.LBB124_107:                            ;   in Loop: Header=BB124_3 Depth=1
	s_or_b32 exec_lo, exec_lo, s6
.LBB124_108:                            ;   in Loop: Header=BB124_3 Depth=1
	s_delay_alu instid0(SALU_CYCLE_1)
	s_or_b32 exec_lo, exec_lo, s10
	s_and_saveexec_b32 s6, vcc_hi
	s_cbranch_execz .LBB124_110
; %bb.109:                              ;   in Loop: Header=BB124_3 Depth=1
	ds_load_b64 v[38:39], v5 offset:30680
	s_wait_dscnt 0x0
	v_mul_f64_e32 v[36:37], v[36:37], v[38:39]
	s_delay_alu instid0(VALU_DEP_1) | instskip(NEXT) | instid1(VALU_DEP_2)
	v_xor_b32_e32 v39, 0x80000000, v37
	v_mov_b32_e32 v38, v36
	ds_store_b64 v47, v[38:39]
.LBB124_110:                            ;   in Loop: Header=BB124_3 Depth=1
	s_or_b32 exec_lo, exec_lo, s6
	s_wait_loadcnt_dscnt 0x0
	s_barrier_signal -1
	s_barrier_wait -1
	s_and_saveexec_b32 s6, s36
	s_cbranch_execz .LBB124_112
; %bb.111:                              ;   in Loop: Header=BB124_3 Depth=1
	ds_load_b64 v[38:39], v49 offset:30656
	ds_load_b64 v[40:41], v47
	s_wait_dscnt 0x0
	v_fma_f64 v[36:37], -v[38:39], v[40:41], v[36:37]
.LBB124_112:                            ;   in Loop: Header=BB124_3 Depth=1
	s_or_b32 exec_lo, exec_lo, s6
	s_barrier_signal -1
	s_barrier_wait -1
	s_and_saveexec_b32 s6, s37
	s_cbranch_execz .LBB124_114
; %bb.113:                              ;   in Loop: Header=BB124_3 Depth=1
	ds_load_b64 v[38:39], v5 offset:30160
	s_wait_dscnt 0x0
	v_mul_f64_e32 v[36:37], v[36:37], v[38:39]
	s_delay_alu instid0(VALU_DEP_1) | instskip(NEXT) | instid1(VALU_DEP_2)
	v_xor_b32_e32 v39, 0x80000000, v37
	v_mov_b32_e32 v38, v36
	ds_store_b64 v47, v[38:39]
.LBB124_114:                            ;   in Loop: Header=BB124_3 Depth=1
	s_or_b32 exec_lo, exec_lo, s6
	s_wait_dscnt 0x0
	s_barrier_signal -1
	s_barrier_wait -1
	s_and_saveexec_b32 s6, s38
	s_cbranch_execz .LBB124_116
; %bb.115:                              ;   in Loop: Header=BB124_3 Depth=1
	ds_load_b64 v[38:39], v49 offset:30144
	ds_load_b64 v[40:41], v47
	s_wait_dscnt 0x0
	v_fma_f64 v[36:37], -v[38:39], v[40:41], v[36:37]
.LBB124_116:                            ;   in Loop: Header=BB124_3 Depth=1
	s_or_b32 exec_lo, exec_lo, s6
	s_barrier_signal -1
	s_barrier_wait -1
	s_and_saveexec_b32 s6, s39
	s_cbranch_execz .LBB124_118
; %bb.117:                              ;   in Loop: Header=BB124_3 Depth=1
	ds_load_b64 v[38:39], v5 offset:29640
	s_wait_dscnt 0x0
	v_mul_f64_e32 v[36:37], v[36:37], v[38:39]
	s_delay_alu instid0(VALU_DEP_1) | instskip(NEXT) | instid1(VALU_DEP_2)
	v_xor_b32_e32 v39, 0x80000000, v37
	v_mov_b32_e32 v38, v36
	ds_store_b64 v47, v[38:39]
.LBB124_118:                            ;   in Loop: Header=BB124_3 Depth=1
	s_or_b32 exec_lo, exec_lo, s6
	s_wait_dscnt 0x0
	;; [unrolled: 26-line block ×3, first 2 shown]
	s_barrier_signal -1
	s_barrier_wait -1
	s_barrier_signal -1
	s_barrier_wait -1
	s_and_saveexec_b32 s6, s2
; %bb.123:                              ;   in Loop: Header=BB124_3 Depth=1
	ds_store_b64 v50, v[36:37] offset:32704
; %bb.124:                              ;   in Loop: Header=BB124_3 Depth=1
	s_or_b32 exec_lo, exec_lo, s6
	s_wait_dscnt 0x0
	s_barrier_signal -1
	s_barrier_wait -1
	s_barrier_signal -1
	s_barrier_wait -1
	s_and_saveexec_b32 s6, s14
	s_cbranch_execz .LBB124_126
; %bb.125:                              ;   in Loop: Header=BB124_3 Depth=1
	ds_load_b128 v[36:39], v5 offset:30672
	ds_load_b64 v[40:41], v5 offset:30160
	s_wait_dscnt 0x0
	v_mul_f64_e32 v[38:39], v[40:41], v[38:39]
	s_delay_alu instid0(VALU_DEP_1)
	v_mul_f64_e32 v[36:37], v[36:37], v[38:39]
	ds_store_b64 v5, v[36:37] offset:30672
.LBB124_126:                            ;   in Loop: Header=BB124_3 Depth=1
	s_or_b32 exec_lo, exec_lo, s6
	v_mov_b64_e32 v[36:37], 0
	s_wait_dscnt 0x0
	s_barrier_signal -1
	s_barrier_wait -1
	global_wb scope:SCOPE_DEV
	s_wait_storecnt 0x0
	global_inv scope:SCOPE_DEV
	s_and_saveexec_b32 s6, s1
	s_cbranch_execz .LBB124_130
; %bb.127:                              ;   in Loop: Header=BB124_3 Depth=1
	ds_load_b64 v[36:37], v44 offset:30144
	ds_load_b64 v[38:39], v43 offset:30672
	s_wait_dscnt 0x0
	v_fma_f64 v[36:37], v[36:37], v[38:39], 0
	s_and_saveexec_b32 s7, s15
	s_cbranch_execz .LBB124_129
; %bb.128:                              ;   in Loop: Header=BB124_3 Depth=1
	ds_load_b64 v[38:39], v45 offset:30656
	ds_load_b64 v[40:41], v5 offset:30680
	s_wait_dscnt 0x0
	v_fmac_f64_e32 v[36:37], v[38:39], v[40:41]
.LBB124_129:                            ;   in Loop: Header=BB124_3 Depth=1
	s_or_b32 exec_lo, exec_lo, s7
.LBB124_130:                            ;   in Loop: Header=BB124_3 Depth=1
	s_delay_alu instid0(SALU_CYCLE_1)
	s_or_b32 exec_lo, exec_lo, s6
	s_and_saveexec_b32 s6, s103
	s_cbranch_execz .LBB124_132
; %bb.131:                              ;   in Loop: Header=BB124_3 Depth=1
	ds_load_b64 v[38:39], v5 offset:29640
	s_wait_dscnt 0x0
	v_mul_f64_e32 v[36:37], v[36:37], v[38:39]
	s_delay_alu instid0(VALU_DEP_1) | instskip(NEXT) | instid1(VALU_DEP_2)
	v_xor_b32_e32 v39, 0x80000000, v37
	v_mov_b32_e32 v38, v36
	ds_store_b64 v3, v[38:39]
.LBB124_132:                            ;   in Loop: Header=BB124_3 Depth=1
	s_or_b32 exec_lo, exec_lo, s6
	s_wait_loadcnt_dscnt 0x0
	s_barrier_signal -1
	s_barrier_wait -1
	s_and_saveexec_b32 s6, s104
	s_cbranch_execz .LBB124_134
; %bb.133:                              ;   in Loop: Header=BB124_3 Depth=1
	ds_load_b64 v[38:39], v5 offset:29632
	ds_load_b64 v[40:41], v3
	s_wait_dscnt 0x0
	v_fma_f64 v[36:37], -v[38:39], v[40:41], v[36:37]
.LBB124_134:                            ;   in Loop: Header=BB124_3 Depth=1
	s_or_b32 exec_lo, exec_lo, s6
	s_barrier_signal -1
	s_barrier_wait -1
	s_and_saveexec_b32 s6, s104
	s_cbranch_execz .LBB124_136
; %bb.135:                              ;   in Loop: Header=BB124_3 Depth=1
	ds_load_b64 v[38:39], v5 offset:29120
	s_wait_dscnt 0x0
	v_mul_f64_e32 v[36:37], v[36:37], v[38:39]
	s_delay_alu instid0(VALU_DEP_1) | instskip(NEXT) | instid1(VALU_DEP_2)
	v_xor_b32_e32 v39, 0x80000000, v37
	v_mov_b32_e32 v38, v36
	ds_store_b64 v3, v[38:39]
.LBB124_136:                            ;   in Loop: Header=BB124_3 Depth=1
	s_or_b32 exec_lo, exec_lo, s6
	s_wait_dscnt 0x0
	s_barrier_signal -1
	s_barrier_wait -1
	s_barrier_signal -1
	s_barrier_wait -1
	s_and_saveexec_b32 s6, s1
; %bb.137:                              ;   in Loop: Header=BB124_3 Depth=1
	ds_store_b64 v46, v[36:37] offset:30656
; %bb.138:                              ;   in Loop: Header=BB124_3 Depth=1
	s_or_b32 exec_lo, exec_lo, s6
	s_wait_dscnt 0x0
	s_barrier_signal -1
	s_barrier_wait -1
	s_barrier_signal -1
	s_barrier_wait -1
	s_and_saveexec_b32 s6, s14
	s_cbranch_execz .LBB124_140
; %bb.139:                              ;   in Loop: Header=BB124_3 Depth=1
	ds_load_b128 v[36:39], v5 offset:29632
	ds_load_b64 v[40:41], v5 offset:29120
	s_wait_dscnt 0x0
	v_mul_f64_e32 v[38:39], v[40:41], v[38:39]
	s_delay_alu instid0(VALU_DEP_1)
	v_mul_f64_e32 v[36:37], v[36:37], v[38:39]
	ds_store_b64 v5, v[36:37] offset:29632
.LBB124_140:                            ;   in Loop: Header=BB124_3 Depth=1
	s_or_b32 exec_lo, exec_lo, s6
	v_mov_b64_e32 v[36:37], 0
	s_wait_dscnt 0x0
	s_barrier_signal -1
	s_barrier_wait -1
	global_wb scope:SCOPE_DEV
	s_wait_storecnt 0x0
	global_inv scope:SCOPE_DEV
	s_and_saveexec_b32 s10, s3
	s_cbranch_execz .LBB124_150
; %bb.141:                              ;   in Loop: Header=BB124_3 Depth=1
	ds_load_b64 v[36:37], v53 offset:29056
	ds_load_b64 v[38:39], v52 offset:32704
	s_wait_dscnt 0x0
	v_fma_f64 v[36:37], v[36:37], v[38:39], 0
	s_and_saveexec_b32 s6, s18
	s_cbranch_execnz .LBB124_1039
; %bb.142:                              ;   in Loop: Header=BB124_3 Depth=1
	s_or_b32 exec_lo, exec_lo, s6
	s_and_saveexec_b32 s6, s19
	s_cbranch_execnz .LBB124_1040
.LBB124_143:                            ;   in Loop: Header=BB124_3 Depth=1
	s_or_b32 exec_lo, exec_lo, s6
	s_and_saveexec_b32 s6, s20
	s_cbranch_execnz .LBB124_1041
.LBB124_144:                            ;   in Loop: Header=BB124_3 Depth=1
	s_or_b32 exec_lo, exec_lo, s6
	s_and_saveexec_b32 s6, s21
	s_cbranch_execnz .LBB124_1042
.LBB124_145:                            ;   in Loop: Header=BB124_3 Depth=1
	s_or_b32 exec_lo, exec_lo, s6
	s_and_saveexec_b32 s6, s22
	s_cbranch_execnz .LBB124_1043
.LBB124_146:                            ;   in Loop: Header=BB124_3 Depth=1
	s_or_b32 exec_lo, exec_lo, s6
	s_and_saveexec_b32 s6, s2
	s_cbranch_execnz .LBB124_1044
.LBB124_147:                            ;   in Loop: Header=BB124_3 Depth=1
	s_or_b32 exec_lo, exec_lo, s6
	s_and_saveexec_b32 s6, s17
	s_cbranch_execz .LBB124_149
.LBB124_148:                            ;   in Loop: Header=BB124_3 Depth=1
	ds_load_b64 v[38:39], v45 offset:32640
	ds_load_b64 v[40:41], v5 offset:32760
	s_wait_dscnt 0x0
	v_fmac_f64_e32 v[36:37], v[38:39], v[40:41]
.LBB124_149:                            ;   in Loop: Header=BB124_3 Depth=1
	s_or_b32 exec_lo, exec_lo, s6
.LBB124_150:                            ;   in Loop: Header=BB124_3 Depth=1
	s_delay_alu instid0(SALU_CYCLE_1)
	s_or_b32 exec_lo, exec_lo, s10
	s_and_saveexec_b32 s6, s41
	s_cbranch_execz .LBB124_152
; %bb.151:                              ;   in Loop: Header=BB124_3 Depth=1
	ds_load_b64 v[38:39], v5 offset:28600
	s_wait_dscnt 0x0
	v_mul_f64_e32 v[36:37], v[36:37], v[38:39]
	s_delay_alu instid0(VALU_DEP_1) | instskip(NEXT) | instid1(VALU_DEP_2)
	v_xor_b32_e32 v39, 0x80000000, v37
	v_mov_b32_e32 v38, v36
	ds_store_b64 v51, v[38:39]
.LBB124_152:                            ;   in Loop: Header=BB124_3 Depth=1
	s_or_b32 exec_lo, exec_lo, s6
	s_wait_loadcnt_dscnt 0x0
	s_barrier_signal -1
	s_barrier_wait -1
	s_and_saveexec_b32 s6, s42
	s_cbranch_execz .LBB124_154
; %bb.153:                              ;   in Loop: Header=BB124_3 Depth=1
	ds_load_b64 v[38:39], v53 offset:28544
	ds_load_b64 v[40:41], v51
	s_wait_dscnt 0x0
	v_fma_f64 v[36:37], -v[38:39], v[40:41], v[36:37]
.LBB124_154:                            ;   in Loop: Header=BB124_3 Depth=1
	s_or_b32 exec_lo, exec_lo, s6
	s_barrier_signal -1
	s_barrier_wait -1
	s_and_saveexec_b32 s6, s43
	s_cbranch_execz .LBB124_156
; %bb.155:                              ;   in Loop: Header=BB124_3 Depth=1
	ds_load_b64 v[38:39], v5 offset:28080
	s_wait_dscnt 0x0
	v_mul_f64_e32 v[36:37], v[36:37], v[38:39]
	s_delay_alu instid0(VALU_DEP_1) | instskip(NEXT) | instid1(VALU_DEP_2)
	v_xor_b32_e32 v39, 0x80000000, v37
	v_mov_b32_e32 v38, v36
	ds_store_b64 v51, v[38:39]
.LBB124_156:                            ;   in Loop: Header=BB124_3 Depth=1
	s_or_b32 exec_lo, exec_lo, s6
	s_wait_dscnt 0x0
	s_barrier_signal -1
	s_barrier_wait -1
	s_and_saveexec_b32 s6, s44
	s_cbranch_execz .LBB124_158
; %bb.157:                              ;   in Loop: Header=BB124_3 Depth=1
	ds_load_b64 v[38:39], v53 offset:28032
	ds_load_b64 v[40:41], v51
	s_wait_dscnt 0x0
	v_fma_f64 v[36:37], -v[38:39], v[40:41], v[36:37]
.LBB124_158:                            ;   in Loop: Header=BB124_3 Depth=1
	s_or_b32 exec_lo, exec_lo, s6
	s_barrier_signal -1
	s_barrier_wait -1
	s_and_saveexec_b32 s6, s45
	s_cbranch_execz .LBB124_160
; %bb.159:                              ;   in Loop: Header=BB124_3 Depth=1
	ds_load_b64 v[38:39], v5 offset:27560
	s_wait_dscnt 0x0
	v_mul_f64_e32 v[36:37], v[36:37], v[38:39]
	s_delay_alu instid0(VALU_DEP_1) | instskip(NEXT) | instid1(VALU_DEP_2)
	v_xor_b32_e32 v39, 0x80000000, v37
	v_mov_b32_e32 v38, v36
	ds_store_b64 v51, v[38:39]
.LBB124_160:                            ;   in Loop: Header=BB124_3 Depth=1
	s_or_b32 exec_lo, exec_lo, s6
	s_wait_dscnt 0x0
	;; [unrolled: 26-line block ×7, first 2 shown]
	s_barrier_signal -1
	s_barrier_wait -1
	s_barrier_signal -1
	s_barrier_wait -1
	s_and_saveexec_b32 s6, s3
; %bb.181:                              ;   in Loop: Header=BB124_3 Depth=1
	ds_store_b64 v54, v[36:37] offset:32640
; %bb.182:                              ;   in Loop: Header=BB124_3 Depth=1
	s_or_b32 exec_lo, exec_lo, s6
	s_wait_dscnt 0x0
	s_barrier_signal -1
	s_barrier_wait -1
	s_barrier_signal -1
	s_barrier_wait -1
	s_and_saveexec_b32 s6, s14
	s_cbranch_execz .LBB124_184
; %bb.183:                              ;   in Loop: Header=BB124_3 Depth=1
	ds_load_b128 v[36:39], v5 offset:28592
	ds_load_b64 v[40:41], v5 offset:28080
	s_wait_dscnt 0x0
	v_mul_f64_e32 v[38:39], v[40:41], v[38:39]
	s_delay_alu instid0(VALU_DEP_1)
	v_mul_f64_e32 v[36:37], v[36:37], v[38:39]
	ds_store_b64 v5, v[36:37] offset:28592
.LBB124_184:                            ;   in Loop: Header=BB124_3 Depth=1
	s_or_b32 exec_lo, exec_lo, s6
	v_mov_b64_e32 v[36:37], 0
	s_wait_dscnt 0x0
	s_barrier_signal -1
	s_barrier_wait -1
	global_wb scope:SCOPE_DEV
	s_wait_storecnt 0x0
	global_inv scope:SCOPE_DEV
	s_and_saveexec_b32 s6, s1
	s_cbranch_execz .LBB124_188
; %bb.185:                              ;   in Loop: Header=BB124_3 Depth=1
	ds_load_b64 v[36:37], v44 offset:28064
	ds_load_b64 v[38:39], v43 offset:28592
	s_wait_dscnt 0x0
	v_fma_f64 v[36:37], v[36:37], v[38:39], 0
	s_and_saveexec_b32 s7, s15
	s_cbranch_execz .LBB124_187
; %bb.186:                              ;   in Loop: Header=BB124_3 Depth=1
	ds_load_b64 v[38:39], v45 offset:28576
	ds_load_b64 v[40:41], v5 offset:28600
	s_wait_dscnt 0x0
	v_fmac_f64_e32 v[36:37], v[38:39], v[40:41]
.LBB124_187:                            ;   in Loop: Header=BB124_3 Depth=1
	s_or_b32 exec_lo, exec_lo, s7
.LBB124_188:                            ;   in Loop: Header=BB124_3 Depth=1
	s_delay_alu instid0(SALU_CYCLE_1)
	s_or_b32 exec_lo, exec_lo, s6
	s_and_saveexec_b32 s6, s103
	s_cbranch_execz .LBB124_190
; %bb.189:                              ;   in Loop: Header=BB124_3 Depth=1
	ds_load_b64 v[38:39], v5 offset:27560
	s_wait_dscnt 0x0
	v_mul_f64_e32 v[36:37], v[36:37], v[38:39]
	s_delay_alu instid0(VALU_DEP_1) | instskip(NEXT) | instid1(VALU_DEP_2)
	v_xor_b32_e32 v39, 0x80000000, v37
	v_mov_b32_e32 v38, v36
	ds_store_b64 v3, v[38:39]
.LBB124_190:                            ;   in Loop: Header=BB124_3 Depth=1
	s_or_b32 exec_lo, exec_lo, s6
	s_wait_loadcnt_dscnt 0x0
	s_barrier_signal -1
	s_barrier_wait -1
	s_and_saveexec_b32 s6, s104
	s_cbranch_execz .LBB124_192
; %bb.191:                              ;   in Loop: Header=BB124_3 Depth=1
	ds_load_b64 v[38:39], v5 offset:27552
	ds_load_b64 v[40:41], v3
	s_wait_dscnt 0x0
	v_fma_f64 v[36:37], -v[38:39], v[40:41], v[36:37]
.LBB124_192:                            ;   in Loop: Header=BB124_3 Depth=1
	s_or_b32 exec_lo, exec_lo, s6
	s_barrier_signal -1
	s_barrier_wait -1
	s_and_saveexec_b32 s6, s104
	s_cbranch_execz .LBB124_194
; %bb.193:                              ;   in Loop: Header=BB124_3 Depth=1
	ds_load_b64 v[38:39], v5 offset:27040
	s_wait_dscnt 0x0
	v_mul_f64_e32 v[36:37], v[36:37], v[38:39]
	s_delay_alu instid0(VALU_DEP_1) | instskip(NEXT) | instid1(VALU_DEP_2)
	v_xor_b32_e32 v39, 0x80000000, v37
	v_mov_b32_e32 v38, v36
	ds_store_b64 v3, v[38:39]
.LBB124_194:                            ;   in Loop: Header=BB124_3 Depth=1
	s_or_b32 exec_lo, exec_lo, s6
	s_wait_dscnt 0x0
	s_barrier_signal -1
	s_barrier_wait -1
	s_barrier_signal -1
	s_barrier_wait -1
	s_and_saveexec_b32 s6, s1
; %bb.195:                              ;   in Loop: Header=BB124_3 Depth=1
	ds_store_b64 v46, v[36:37] offset:28576
; %bb.196:                              ;   in Loop: Header=BB124_3 Depth=1
	s_or_b32 exec_lo, exec_lo, s6
	s_wait_dscnt 0x0
	s_barrier_signal -1
	s_barrier_wait -1
	s_barrier_signal -1
	s_barrier_wait -1
	s_and_saveexec_b32 s6, s14
	s_cbranch_execz .LBB124_198
; %bb.197:                              ;   in Loop: Header=BB124_3 Depth=1
	ds_load_b128 v[36:39], v5 offset:27552
	ds_load_b64 v[40:41], v5 offset:27040
	s_wait_dscnt 0x0
	v_mul_f64_e32 v[38:39], v[40:41], v[38:39]
	s_delay_alu instid0(VALU_DEP_1)
	v_mul_f64_e32 v[36:37], v[36:37], v[38:39]
	ds_store_b64 v5, v[36:37] offset:27552
.LBB124_198:                            ;   in Loop: Header=BB124_3 Depth=1
	s_or_b32 exec_lo, exec_lo, s6
	v_mov_b64_e32 v[36:37], 0
	s_wait_dscnt 0x0
	s_barrier_signal -1
	s_barrier_wait -1
	global_wb scope:SCOPE_DEV
	s_wait_storecnt 0x0
	global_inv scope:SCOPE_DEV
	s_and_saveexec_b32 s10, s2
	s_cbranch_execz .LBB124_204
; %bb.199:                              ;   in Loop: Header=BB124_3 Depth=1
	ds_load_b64 v[36:37], v49 offset:27008
	ds_load_b64 v[38:39], v48 offset:28576
	s_wait_dscnt 0x0
	v_fma_f64 v[36:37], v[36:37], v[38:39], 0
	s_and_saveexec_b32 s6, s16
	s_cbranch_execnz .LBB124_1045
; %bb.200:                              ;   in Loop: Header=BB124_3 Depth=1
	s_or_b32 exec_lo, exec_lo, s6
	s_and_saveexec_b32 s6, s17
	s_cbranch_execnz .LBB124_1046
.LBB124_201:                            ;   in Loop: Header=BB124_3 Depth=1
	s_or_b32 exec_lo, exec_lo, s6
	s_and_saveexec_b32 s6, s1
	s_cbranch_execz .LBB124_203
.LBB124_202:                            ;   in Loop: Header=BB124_3 Depth=1
	ds_load_b64 v[38:39], v45 offset:28544
	ds_load_b64 v[40:41], v5 offset:28600
	s_wait_dscnt 0x0
	v_fmac_f64_e32 v[36:37], v[38:39], v[40:41]
.LBB124_203:                            ;   in Loop: Header=BB124_3 Depth=1
	s_or_b32 exec_lo, exec_lo, s6
.LBB124_204:                            ;   in Loop: Header=BB124_3 Depth=1
	s_delay_alu instid0(SALU_CYCLE_1)
	s_or_b32 exec_lo, exec_lo, s10
	s_and_saveexec_b32 s6, vcc_hi
	s_cbranch_execz .LBB124_206
; %bb.205:                              ;   in Loop: Header=BB124_3 Depth=1
	ds_load_b64 v[38:39], v5 offset:26520
	s_wait_dscnt 0x0
	v_mul_f64_e32 v[36:37], v[36:37], v[38:39]
	s_delay_alu instid0(VALU_DEP_1) | instskip(NEXT) | instid1(VALU_DEP_2)
	v_xor_b32_e32 v39, 0x80000000, v37
	v_mov_b32_e32 v38, v36
	ds_store_b64 v47, v[38:39]
.LBB124_206:                            ;   in Loop: Header=BB124_3 Depth=1
	s_or_b32 exec_lo, exec_lo, s6
	s_wait_loadcnt_dscnt 0x0
	s_barrier_signal -1
	s_barrier_wait -1
	s_and_saveexec_b32 s6, s36
	s_cbranch_execz .LBB124_208
; %bb.207:                              ;   in Loop: Header=BB124_3 Depth=1
	ds_load_b64 v[38:39], v49 offset:26496
	ds_load_b64 v[40:41], v47
	s_wait_dscnt 0x0
	v_fma_f64 v[36:37], -v[38:39], v[40:41], v[36:37]
.LBB124_208:                            ;   in Loop: Header=BB124_3 Depth=1
	s_or_b32 exec_lo, exec_lo, s6
	s_barrier_signal -1
	s_barrier_wait -1
	s_and_saveexec_b32 s6, s37
	s_cbranch_execz .LBB124_210
; %bb.209:                              ;   in Loop: Header=BB124_3 Depth=1
	ds_load_b64 v[38:39], v5 offset:26000
	s_wait_dscnt 0x0
	v_mul_f64_e32 v[36:37], v[36:37], v[38:39]
	s_delay_alu instid0(VALU_DEP_1) | instskip(NEXT) | instid1(VALU_DEP_2)
	v_xor_b32_e32 v39, 0x80000000, v37
	v_mov_b32_e32 v38, v36
	ds_store_b64 v47, v[38:39]
.LBB124_210:                            ;   in Loop: Header=BB124_3 Depth=1
	s_or_b32 exec_lo, exec_lo, s6
	s_wait_dscnt 0x0
	s_barrier_signal -1
	s_barrier_wait -1
	s_and_saveexec_b32 s6, s38
	s_cbranch_execz .LBB124_212
; %bb.211:                              ;   in Loop: Header=BB124_3 Depth=1
	ds_load_b64 v[38:39], v49 offset:25984
	ds_load_b64 v[40:41], v47
	s_wait_dscnt 0x0
	v_fma_f64 v[36:37], -v[38:39], v[40:41], v[36:37]
.LBB124_212:                            ;   in Loop: Header=BB124_3 Depth=1
	s_or_b32 exec_lo, exec_lo, s6
	s_barrier_signal -1
	s_barrier_wait -1
	s_and_saveexec_b32 s6, s39
	s_cbranch_execz .LBB124_214
; %bb.213:                              ;   in Loop: Header=BB124_3 Depth=1
	ds_load_b64 v[38:39], v5 offset:25480
	s_wait_dscnt 0x0
	v_mul_f64_e32 v[36:37], v[36:37], v[38:39]
	s_delay_alu instid0(VALU_DEP_1) | instskip(NEXT) | instid1(VALU_DEP_2)
	v_xor_b32_e32 v39, 0x80000000, v37
	v_mov_b32_e32 v38, v36
	ds_store_b64 v47, v[38:39]
.LBB124_214:                            ;   in Loop: Header=BB124_3 Depth=1
	s_or_b32 exec_lo, exec_lo, s6
	s_wait_dscnt 0x0
	;; [unrolled: 26-line block ×3, first 2 shown]
	s_barrier_signal -1
	s_barrier_wait -1
	s_barrier_signal -1
	s_barrier_wait -1
	s_and_saveexec_b32 s6, s2
; %bb.219:                              ;   in Loop: Header=BB124_3 Depth=1
	ds_store_b64 v50, v[36:37] offset:28544
; %bb.220:                              ;   in Loop: Header=BB124_3 Depth=1
	s_or_b32 exec_lo, exec_lo, s6
	s_wait_dscnt 0x0
	s_barrier_signal -1
	s_barrier_wait -1
	s_barrier_signal -1
	s_barrier_wait -1
	s_and_saveexec_b32 s6, s14
	s_cbranch_execz .LBB124_222
; %bb.221:                              ;   in Loop: Header=BB124_3 Depth=1
	ds_load_b128 v[36:39], v5 offset:26512
	ds_load_b64 v[40:41], v5 offset:26000
	s_wait_dscnt 0x0
	v_mul_f64_e32 v[38:39], v[40:41], v[38:39]
	s_delay_alu instid0(VALU_DEP_1)
	v_mul_f64_e32 v[36:37], v[36:37], v[38:39]
	ds_store_b64 v5, v[36:37] offset:26512
.LBB124_222:                            ;   in Loop: Header=BB124_3 Depth=1
	s_or_b32 exec_lo, exec_lo, s6
	v_mov_b64_e32 v[36:37], 0
	s_wait_dscnt 0x0
	s_barrier_signal -1
	s_barrier_wait -1
	global_wb scope:SCOPE_DEV
	s_wait_storecnt 0x0
	global_inv scope:SCOPE_DEV
	s_and_saveexec_b32 s6, s1
	s_cbranch_execz .LBB124_226
; %bb.223:                              ;   in Loop: Header=BB124_3 Depth=1
	ds_load_b64 v[36:37], v44 offset:25984
	ds_load_b64 v[38:39], v43 offset:26512
	s_wait_dscnt 0x0
	v_fma_f64 v[36:37], v[36:37], v[38:39], 0
	s_and_saveexec_b32 s7, s15
	s_cbranch_execz .LBB124_225
; %bb.224:                              ;   in Loop: Header=BB124_3 Depth=1
	ds_load_b64 v[38:39], v45 offset:26496
	ds_load_b64 v[40:41], v5 offset:26520
	s_wait_dscnt 0x0
	v_fmac_f64_e32 v[36:37], v[38:39], v[40:41]
.LBB124_225:                            ;   in Loop: Header=BB124_3 Depth=1
	s_or_b32 exec_lo, exec_lo, s7
.LBB124_226:                            ;   in Loop: Header=BB124_3 Depth=1
	s_delay_alu instid0(SALU_CYCLE_1)
	s_or_b32 exec_lo, exec_lo, s6
	s_and_saveexec_b32 s6, s103
	s_cbranch_execz .LBB124_228
; %bb.227:                              ;   in Loop: Header=BB124_3 Depth=1
	ds_load_b64 v[38:39], v5 offset:25480
	s_wait_dscnt 0x0
	v_mul_f64_e32 v[36:37], v[36:37], v[38:39]
	s_delay_alu instid0(VALU_DEP_1) | instskip(NEXT) | instid1(VALU_DEP_2)
	v_xor_b32_e32 v39, 0x80000000, v37
	v_mov_b32_e32 v38, v36
	ds_store_b64 v3, v[38:39]
.LBB124_228:                            ;   in Loop: Header=BB124_3 Depth=1
	s_or_b32 exec_lo, exec_lo, s6
	s_wait_loadcnt_dscnt 0x0
	s_barrier_signal -1
	s_barrier_wait -1
	s_and_saveexec_b32 s6, s104
	s_cbranch_execz .LBB124_230
; %bb.229:                              ;   in Loop: Header=BB124_3 Depth=1
	ds_load_b64 v[38:39], v5 offset:25472
	ds_load_b64 v[40:41], v3
	s_wait_dscnt 0x0
	v_fma_f64 v[36:37], -v[38:39], v[40:41], v[36:37]
.LBB124_230:                            ;   in Loop: Header=BB124_3 Depth=1
	s_or_b32 exec_lo, exec_lo, s6
	s_barrier_signal -1
	s_barrier_wait -1
	s_and_saveexec_b32 s6, s104
	s_cbranch_execz .LBB124_232
; %bb.231:                              ;   in Loop: Header=BB124_3 Depth=1
	ds_load_b64 v[38:39], v5 offset:24960
	s_wait_dscnt 0x0
	v_mul_f64_e32 v[36:37], v[36:37], v[38:39]
	s_delay_alu instid0(VALU_DEP_1) | instskip(NEXT) | instid1(VALU_DEP_2)
	v_xor_b32_e32 v39, 0x80000000, v37
	v_mov_b32_e32 v38, v36
	ds_store_b64 v3, v[38:39]
.LBB124_232:                            ;   in Loop: Header=BB124_3 Depth=1
	s_or_b32 exec_lo, exec_lo, s6
	s_wait_dscnt 0x0
	s_barrier_signal -1
	s_barrier_wait -1
	s_barrier_signal -1
	s_barrier_wait -1
	s_and_saveexec_b32 s6, s1
; %bb.233:                              ;   in Loop: Header=BB124_3 Depth=1
	ds_store_b64 v46, v[36:37] offset:26496
; %bb.234:                              ;   in Loop: Header=BB124_3 Depth=1
	s_or_b32 exec_lo, exec_lo, s6
	s_wait_dscnt 0x0
	s_barrier_signal -1
	s_barrier_wait -1
	s_barrier_signal -1
	s_barrier_wait -1
	s_and_saveexec_b32 s6, s14
	s_cbranch_execz .LBB124_236
; %bb.235:                              ;   in Loop: Header=BB124_3 Depth=1
	ds_load_b128 v[36:39], v5 offset:25472
	ds_load_b64 v[40:41], v5 offset:24960
	s_wait_dscnt 0x0
	v_mul_f64_e32 v[38:39], v[40:41], v[38:39]
	s_delay_alu instid0(VALU_DEP_1)
	v_mul_f64_e32 v[36:37], v[36:37], v[38:39]
	ds_store_b64 v5, v[36:37] offset:25472
.LBB124_236:                            ;   in Loop: Header=BB124_3 Depth=1
	s_or_b32 exec_lo, exec_lo, s6
	v_mov_b64_e32 v[36:37], 0
	s_wait_dscnt 0x0
	s_barrier_signal -1
	s_barrier_wait -1
	global_wb scope:SCOPE_DEV
	s_wait_storecnt 0x0
	global_inv scope:SCOPE_DEV
	s_and_saveexec_b32 s10, s4
	s_cbranch_execz .LBB124_264
; %bb.237:                              ;   in Loop: Header=BB124_3 Depth=1
	ds_load_b64 v[36:37], v57 offset:24832
	ds_load_b64 v[38:39], v56 offset:32640
	s_wait_dscnt 0x0
	v_fma_f64 v[36:37], v[36:37], v[38:39], 0
	s_mov_b32 s6, exec_lo
	v_readlane_b32 s7, v86, 30
	s_and_b32 s7, s6, s7
	s_delay_alu instid0(SALU_CYCLE_1)
	s_mov_b32 exec_lo, s7
	s_cbranch_execz .LBB124_239
; %bb.238:                              ;   in Loop: Header=BB124_3 Depth=1
	ds_load_b64 v[38:39], v57 offset:25344
	ds_load_b64 v[40:41], v56 offset:32648
	s_wait_dscnt 0x0
	v_fmac_f64_e32 v[36:37], v[38:39], v[40:41]
.LBB124_239:                            ;   in Loop: Header=BB124_3 Depth=1
	s_or_b32 exec_lo, exec_lo, s6
	s_delay_alu instid0(SALU_CYCLE_1) | instskip(SKIP_2) | instid1(SALU_CYCLE_1)
	s_mov_b32 s6, exec_lo
	v_readlane_b32 s7, v86, 31
	s_and_b32 s7, s6, s7
	s_mov_b32 exec_lo, s7
	s_cbranch_execz .LBB124_241
; %bb.240:                              ;   in Loop: Header=BB124_3 Depth=1
	ds_load_b64 v[38:39], v57 offset:25856
	ds_load_b64 v[40:41], v56 offset:32656
	s_wait_dscnt 0x0
	v_fmac_f64_e32 v[36:37], v[38:39], v[40:41]
.LBB124_241:                            ;   in Loop: Header=BB124_3 Depth=1
	s_or_b32 exec_lo, exec_lo, s6
	s_delay_alu instid0(SALU_CYCLE_1) | instskip(SKIP_2) | instid1(SALU_CYCLE_1)
	s_mov_b32 s6, exec_lo
	v_readlane_b32 s7, v85, 0
	s_and_b32 s7, s6, s7
	;; [unrolled: 13-line block ×10, first 2 shown]
	s_mov_b32 exec_lo, s7
	s_cbranch_execnz .LBB124_1047
; %bb.258:                              ;   in Loop: Header=BB124_3 Depth=1
	s_or_b32 exec_lo, exec_lo, s6
	s_and_saveexec_b32 s6, s3
	s_cbranch_execnz .LBB124_1048
.LBB124_259:                            ;   in Loop: Header=BB124_3 Depth=1
	s_or_b32 exec_lo, exec_lo, s6
	s_and_saveexec_b32 s6, s19
	s_cbranch_execnz .LBB124_1049
.LBB124_260:                            ;   in Loop: Header=BB124_3 Depth=1
	s_or_b32 exec_lo, exec_lo, s6
	s_and_saveexec_b32 s6, s21
	s_cbranch_execnz .LBB124_1050
.LBB124_261:                            ;   in Loop: Header=BB124_3 Depth=1
	s_or_b32 exec_lo, exec_lo, s6
	s_and_saveexec_b32 s6, s2
	s_cbranch_execz .LBB124_263
.LBB124_262:                            ;   in Loop: Header=BB124_3 Depth=1
	ds_load_b64 v[38:39], v45 offset:32512
	ds_load_b64 v[40:41], v5 offset:32760
	s_wait_dscnt 0x0
	v_fmac_f64_e32 v[36:37], v[38:39], v[40:41]
.LBB124_263:                            ;   in Loop: Header=BB124_3 Depth=1
	s_or_b32 exec_lo, exec_lo, s6
.LBB124_264:                            ;   in Loop: Header=BB124_3 Depth=1
	s_delay_alu instid0(SALU_CYCLE_1) | instskip(NEXT) | instid1(SALU_CYCLE_1)
	s_or_b32 exec_lo, exec_lo, s10
	s_mov_b32 s6, exec_lo
	v_readlane_b32 s7, v86, 1
	s_and_b32 s7, s6, s7
	s_delay_alu instid0(SALU_CYCLE_1)
	s_mov_b32 exec_lo, s7
	s_cbranch_execz .LBB124_266
; %bb.265:                              ;   in Loop: Header=BB124_3 Depth=1
	ds_load_b64 v[38:39], v5 offset:24440
	s_wait_dscnt 0x0
	v_mul_f64_e32 v[36:37], v[36:37], v[38:39]
	s_delay_alu instid0(VALU_DEP_1) | instskip(NEXT) | instid1(VALU_DEP_2)
	v_xor_b32_e32 v39, 0x80000000, v37
	v_mov_b32_e32 v38, v36
	ds_store_b64 v55, v[38:39]
.LBB124_266:                            ;   in Loop: Header=BB124_3 Depth=1
	s_or_b32 exec_lo, exec_lo, s6
	s_wait_loadcnt_dscnt 0x0
	s_barrier_signal -1
	s_barrier_wait -1
	s_mov_b32 s6, exec_lo
	v_readlane_b32 s7, v86, 2
	s_and_b32 s7, s6, s7
	s_delay_alu instid0(SALU_CYCLE_1)
	s_mov_b32 exec_lo, s7
	s_cbranch_execz .LBB124_268
; %bb.267:                              ;   in Loop: Header=BB124_3 Depth=1
	ds_load_b64 v[38:39], v57 offset:24320
	ds_load_b64 v[40:41], v55
	s_wait_dscnt 0x0
	v_fma_f64 v[36:37], -v[38:39], v[40:41], v[36:37]
.LBB124_268:                            ;   in Loop: Header=BB124_3 Depth=1
	s_or_b32 exec_lo, exec_lo, s6
	s_barrier_signal -1
	s_barrier_wait -1
	s_mov_b32 s6, exec_lo
	v_readlane_b32 s7, v86, 3
	s_and_b32 s7, s6, s7
	s_delay_alu instid0(SALU_CYCLE_1)
	s_mov_b32 exec_lo, s7
	s_cbranch_execz .LBB124_270
; %bb.269:                              ;   in Loop: Header=BB124_3 Depth=1
	ds_load_b64 v[38:39], v5 offset:23920
	s_wait_dscnt 0x0
	v_mul_f64_e32 v[36:37], v[36:37], v[38:39]
	s_delay_alu instid0(VALU_DEP_1) | instskip(NEXT) | instid1(VALU_DEP_2)
	v_xor_b32_e32 v39, 0x80000000, v37
	v_mov_b32_e32 v38, v36
	ds_store_b64 v55, v[38:39]
.LBB124_270:                            ;   in Loop: Header=BB124_3 Depth=1
	s_or_b32 exec_lo, exec_lo, s6
	s_wait_dscnt 0x0
	s_barrier_signal -1
	s_barrier_wait -1
	s_mov_b32 s6, exec_lo
	v_readlane_b32 s7, v86, 4
	s_and_b32 s7, s6, s7
	s_delay_alu instid0(SALU_CYCLE_1)
	s_mov_b32 exec_lo, s7
	s_cbranch_execz .LBB124_272
; %bb.271:                              ;   in Loop: Header=BB124_3 Depth=1
	ds_load_b64 v[38:39], v57 offset:23808
	ds_load_b64 v[40:41], v55
	s_wait_dscnt 0x0
	v_fma_f64 v[36:37], -v[38:39], v[40:41], v[36:37]
.LBB124_272:                            ;   in Loop: Header=BB124_3 Depth=1
	s_or_b32 exec_lo, exec_lo, s6
	s_barrier_signal -1
	s_barrier_wait -1
	s_mov_b32 s6, exec_lo
	v_readlane_b32 s7, v86, 5
	s_and_b32 s7, s6, s7
	s_delay_alu instid0(SALU_CYCLE_1)
	s_mov_b32 exec_lo, s7
	s_cbranch_execz .LBB124_274
; %bb.273:                              ;   in Loop: Header=BB124_3 Depth=1
	ds_load_b64 v[38:39], v5 offset:23400
	s_wait_dscnt 0x0
	v_mul_f64_e32 v[36:37], v[36:37], v[38:39]
	s_delay_alu instid0(VALU_DEP_1) | instskip(NEXT) | instid1(VALU_DEP_2)
	v_xor_b32_e32 v39, 0x80000000, v37
	v_mov_b32_e32 v38, v36
	ds_store_b64 v55, v[38:39]
.LBB124_274:                            ;   in Loop: Header=BB124_3 Depth=1
	s_or_b32 exec_lo, exec_lo, s6
	s_wait_dscnt 0x0
	;; [unrolled: 34-line block ×3, first 2 shown]
	s_barrier_signal -1
	s_barrier_wait -1
	s_mov_b32 s6, exec_lo
	v_readlane_b32 s7, v86, 8
	s_and_b32 s7, s6, s7
	s_delay_alu instid0(SALU_CYCLE_1)
	s_mov_b32 exec_lo, s7
	s_cbranch_execz .LBB124_280
; %bb.279:                              ;   in Loop: Header=BB124_3 Depth=1
	ds_load_b64 v[38:39], v57 offset:22784
	ds_load_b64 v[40:41], v55
	s_wait_dscnt 0x0
	v_fma_f64 v[36:37], -v[38:39], v[40:41], v[36:37]
.LBB124_280:                            ;   in Loop: Header=BB124_3 Depth=1
	s_or_b32 exec_lo, exec_lo, s6
	s_barrier_signal -1
	s_barrier_wait -1
	s_and_saveexec_b32 s6, s12
	s_cbranch_execz .LBB124_282
; %bb.281:                              ;   in Loop: Header=BB124_3 Depth=1
	ds_load_b64 v[38:39], v5 offset:22360
	s_wait_dscnt 0x0
	v_mul_f64_e32 v[36:37], v[36:37], v[38:39]
	s_delay_alu instid0(VALU_DEP_1) | instskip(NEXT) | instid1(VALU_DEP_2)
	v_xor_b32_e32 v39, 0x80000000, v37
	v_mov_b32_e32 v38, v36
	ds_store_b64 v55, v[38:39]
.LBB124_282:                            ;   in Loop: Header=BB124_3 Depth=1
	s_or_b32 exec_lo, exec_lo, s6
	s_wait_dscnt 0x0
	s_barrier_signal -1
	s_barrier_wait -1
	s_and_saveexec_b32 s6, s13
	s_cbranch_execz .LBB124_284
; %bb.283:                              ;   in Loop: Header=BB124_3 Depth=1
	ds_load_b64 v[38:39], v57 offset:22272
	ds_load_b64 v[40:41], v55
	s_wait_dscnt 0x0
	v_fma_f64 v[36:37], -v[38:39], v[40:41], v[36:37]
.LBB124_284:                            ;   in Loop: Header=BB124_3 Depth=1
	s_or_b32 exec_lo, exec_lo, s6
	s_barrier_signal -1
	s_barrier_wait -1
	s_and_saveexec_b32 s6, s23
	s_cbranch_execz .LBB124_286
; %bb.285:                              ;   in Loop: Header=BB124_3 Depth=1
	ds_load_b64 v[38:39], v5 offset:21840
	s_wait_dscnt 0x0
	v_mul_f64_e32 v[36:37], v[36:37], v[38:39]
	s_delay_alu instid0(VALU_DEP_1) | instskip(NEXT) | instid1(VALU_DEP_2)
	v_xor_b32_e32 v39, 0x80000000, v37
	v_mov_b32_e32 v38, v36
	ds_store_b64 v55, v[38:39]
.LBB124_286:                            ;   in Loop: Header=BB124_3 Depth=1
	s_or_b32 exec_lo, exec_lo, s6
	s_wait_dscnt 0x0
	s_barrier_signal -1
	s_barrier_wait -1
	s_and_saveexec_b32 s6, s25
	;; [unrolled: 26-line block ×11, first 2 shown]
	s_cbranch_execz .LBB124_324
; %bb.323:                              ;   in Loop: Header=BB124_3 Depth=1
	ds_load_b64 v[38:39], v5 offset:17152
	ds_load_b64 v[40:41], v55
	s_wait_dscnt 0x0
	v_fma_f64 v[36:37], -v[38:39], v[40:41], v[36:37]
.LBB124_324:                            ;   in Loop: Header=BB124_3 Depth=1
	s_or_b32 exec_lo, exec_lo, s6
	s_barrier_signal -1
	s_barrier_wait -1
	s_and_saveexec_b32 s6, s58
	s_cbranch_execz .LBB124_326
; %bb.325:                              ;   in Loop: Header=BB124_3 Depth=1
	ds_load_b64 v[38:39], v5 offset:16640
	s_wait_dscnt 0x0
	v_mul_f64_e32 v[36:37], v[36:37], v[38:39]
	s_delay_alu instid0(VALU_DEP_1) | instskip(NEXT) | instid1(VALU_DEP_2)
	v_xor_b32_e32 v39, 0x80000000, v37
	v_mov_b32_e32 v38, v36
	ds_store_b64 v55, v[38:39]
.LBB124_326:                            ;   in Loop: Header=BB124_3 Depth=1
	s_or_b32 exec_lo, exec_lo, s6
	s_wait_dscnt 0x0
	s_barrier_signal -1
	s_barrier_wait -1
	s_barrier_signal -1
	s_barrier_wait -1
	s_and_saveexec_b32 s6, s4
; %bb.327:                              ;   in Loop: Header=BB124_3 Depth=1
	ds_store_b64 v59, v[36:37] offset:32512
; %bb.328:                              ;   in Loop: Header=BB124_3 Depth=1
	s_or_b32 exec_lo, exec_lo, s6
	s_wait_dscnt 0x0
	s_barrier_signal -1
	s_barrier_wait -1
	s_barrier_signal -1
	s_barrier_wait -1
	s_and_saveexec_b32 s6, s14
	s_cbranch_execz .LBB124_330
; %bb.329:                              ;   in Loop: Header=BB124_3 Depth=1
	ds_load_b128 v[36:39], v5 offset:24432
	ds_load_b64 v[40:41], v5 offset:23920
	s_wait_dscnt 0x0
	v_mul_f64_e32 v[38:39], v[40:41], v[38:39]
	s_delay_alu instid0(VALU_DEP_1)
	v_mul_f64_e32 v[36:37], v[36:37], v[38:39]
	ds_store_b64 v5, v[36:37] offset:24432
.LBB124_330:                            ;   in Loop: Header=BB124_3 Depth=1
	s_or_b32 exec_lo, exec_lo, s6
	v_mov_b64_e32 v[36:37], 0
	s_wait_dscnt 0x0
	s_barrier_signal -1
	s_barrier_wait -1
	global_wb scope:SCOPE_DEV
	s_wait_storecnt 0x0
	global_inv scope:SCOPE_DEV
	s_and_saveexec_b32 s6, s1
	s_cbranch_execz .LBB124_334
; %bb.331:                              ;   in Loop: Header=BB124_3 Depth=1
	ds_load_b64 v[36:37], v44 offset:23904
	ds_load_b64 v[38:39], v43 offset:24432
	s_wait_dscnt 0x0
	v_fma_f64 v[36:37], v[36:37], v[38:39], 0
	s_and_saveexec_b32 s7, s15
	s_cbranch_execz .LBB124_333
; %bb.332:                              ;   in Loop: Header=BB124_3 Depth=1
	ds_load_b64 v[38:39], v45 offset:24416
	ds_load_b64 v[40:41], v5 offset:24440
	s_wait_dscnt 0x0
	v_fmac_f64_e32 v[36:37], v[38:39], v[40:41]
.LBB124_333:                            ;   in Loop: Header=BB124_3 Depth=1
	s_or_b32 exec_lo, exec_lo, s7
.LBB124_334:                            ;   in Loop: Header=BB124_3 Depth=1
	s_delay_alu instid0(SALU_CYCLE_1)
	s_or_b32 exec_lo, exec_lo, s6
	s_and_saveexec_b32 s6, s103
	s_cbranch_execz .LBB124_336
; %bb.335:                              ;   in Loop: Header=BB124_3 Depth=1
	ds_load_b64 v[38:39], v5 offset:23400
	s_wait_dscnt 0x0
	v_mul_f64_e32 v[36:37], v[36:37], v[38:39]
	s_delay_alu instid0(VALU_DEP_1) | instskip(NEXT) | instid1(VALU_DEP_2)
	v_xor_b32_e32 v39, 0x80000000, v37
	v_mov_b32_e32 v38, v36
	ds_store_b64 v3, v[38:39]
.LBB124_336:                            ;   in Loop: Header=BB124_3 Depth=1
	s_or_b32 exec_lo, exec_lo, s6
	s_wait_loadcnt_dscnt 0x0
	s_barrier_signal -1
	s_barrier_wait -1
	s_and_saveexec_b32 s6, s104
	s_cbranch_execz .LBB124_338
; %bb.337:                              ;   in Loop: Header=BB124_3 Depth=1
	ds_load_b64 v[38:39], v5 offset:23392
	ds_load_b64 v[40:41], v3
	s_wait_dscnt 0x0
	v_fma_f64 v[36:37], -v[38:39], v[40:41], v[36:37]
.LBB124_338:                            ;   in Loop: Header=BB124_3 Depth=1
	s_or_b32 exec_lo, exec_lo, s6
	s_barrier_signal -1
	s_barrier_wait -1
	s_and_saveexec_b32 s6, s104
	s_cbranch_execz .LBB124_340
; %bb.339:                              ;   in Loop: Header=BB124_3 Depth=1
	ds_load_b64 v[38:39], v5 offset:22880
	s_wait_dscnt 0x0
	v_mul_f64_e32 v[36:37], v[36:37], v[38:39]
	s_delay_alu instid0(VALU_DEP_1) | instskip(NEXT) | instid1(VALU_DEP_2)
	v_xor_b32_e32 v39, 0x80000000, v37
	v_mov_b32_e32 v38, v36
	ds_store_b64 v3, v[38:39]
.LBB124_340:                            ;   in Loop: Header=BB124_3 Depth=1
	s_or_b32 exec_lo, exec_lo, s6
	s_wait_dscnt 0x0
	s_barrier_signal -1
	s_barrier_wait -1
	s_barrier_signal -1
	s_barrier_wait -1
	s_and_saveexec_b32 s6, s1
; %bb.341:                              ;   in Loop: Header=BB124_3 Depth=1
	ds_store_b64 v46, v[36:37] offset:24416
; %bb.342:                              ;   in Loop: Header=BB124_3 Depth=1
	s_or_b32 exec_lo, exec_lo, s6
	s_wait_dscnt 0x0
	s_barrier_signal -1
	s_barrier_wait -1
	s_barrier_signal -1
	s_barrier_wait -1
	s_and_saveexec_b32 s6, s14
	s_cbranch_execz .LBB124_344
; %bb.343:                              ;   in Loop: Header=BB124_3 Depth=1
	ds_load_b128 v[36:39], v5 offset:23392
	ds_load_b64 v[40:41], v5 offset:22880
	s_wait_dscnt 0x0
	v_mul_f64_e32 v[38:39], v[40:41], v[38:39]
	s_delay_alu instid0(VALU_DEP_1)
	v_mul_f64_e32 v[36:37], v[36:37], v[38:39]
	ds_store_b64 v5, v[36:37] offset:23392
.LBB124_344:                            ;   in Loop: Header=BB124_3 Depth=1
	s_or_b32 exec_lo, exec_lo, s6
	v_mov_b64_e32 v[36:37], 0
	s_wait_dscnt 0x0
	s_barrier_signal -1
	s_barrier_wait -1
	global_wb scope:SCOPE_DEV
	s_wait_storecnt 0x0
	global_inv scope:SCOPE_DEV
	s_and_saveexec_b32 s10, s2
	s_cbranch_execz .LBB124_350
; %bb.345:                              ;   in Loop: Header=BB124_3 Depth=1
	ds_load_b64 v[36:37], v49 offset:22848
	ds_load_b64 v[38:39], v48 offset:24416
	s_wait_dscnt 0x0
	v_fma_f64 v[36:37], v[36:37], v[38:39], 0
	s_and_saveexec_b32 s6, s16
	s_cbranch_execnz .LBB124_1051
; %bb.346:                              ;   in Loop: Header=BB124_3 Depth=1
	s_or_b32 exec_lo, exec_lo, s6
	s_and_saveexec_b32 s6, s17
	s_cbranch_execnz .LBB124_1052
.LBB124_347:                            ;   in Loop: Header=BB124_3 Depth=1
	s_or_b32 exec_lo, exec_lo, s6
	s_and_saveexec_b32 s6, s1
	s_cbranch_execz .LBB124_349
.LBB124_348:                            ;   in Loop: Header=BB124_3 Depth=1
	ds_load_b64 v[38:39], v45 offset:24384
	ds_load_b64 v[40:41], v5 offset:24440
	s_wait_dscnt 0x0
	v_fmac_f64_e32 v[36:37], v[38:39], v[40:41]
.LBB124_349:                            ;   in Loop: Header=BB124_3 Depth=1
	s_or_b32 exec_lo, exec_lo, s6
.LBB124_350:                            ;   in Loop: Header=BB124_3 Depth=1
	s_delay_alu instid0(SALU_CYCLE_1)
	s_or_b32 exec_lo, exec_lo, s10
	s_and_saveexec_b32 s6, vcc_hi
	s_cbranch_execz .LBB124_352
; %bb.351:                              ;   in Loop: Header=BB124_3 Depth=1
	ds_load_b64 v[38:39], v5 offset:22360
	s_wait_dscnt 0x0
	v_mul_f64_e32 v[36:37], v[36:37], v[38:39]
	s_delay_alu instid0(VALU_DEP_1) | instskip(NEXT) | instid1(VALU_DEP_2)
	v_xor_b32_e32 v39, 0x80000000, v37
	v_mov_b32_e32 v38, v36
	ds_store_b64 v47, v[38:39]
.LBB124_352:                            ;   in Loop: Header=BB124_3 Depth=1
	s_or_b32 exec_lo, exec_lo, s6
	s_wait_loadcnt_dscnt 0x0
	s_barrier_signal -1
	s_barrier_wait -1
	s_and_saveexec_b32 s6, s36
	s_cbranch_execz .LBB124_354
; %bb.353:                              ;   in Loop: Header=BB124_3 Depth=1
	ds_load_b64 v[38:39], v49 offset:22336
	ds_load_b64 v[40:41], v47
	s_wait_dscnt 0x0
	v_fma_f64 v[36:37], -v[38:39], v[40:41], v[36:37]
.LBB124_354:                            ;   in Loop: Header=BB124_3 Depth=1
	s_or_b32 exec_lo, exec_lo, s6
	s_barrier_signal -1
	s_barrier_wait -1
	s_and_saveexec_b32 s6, s37
	s_cbranch_execz .LBB124_356
; %bb.355:                              ;   in Loop: Header=BB124_3 Depth=1
	ds_load_b64 v[38:39], v5 offset:21840
	s_wait_dscnt 0x0
	v_mul_f64_e32 v[36:37], v[36:37], v[38:39]
	s_delay_alu instid0(VALU_DEP_1) | instskip(NEXT) | instid1(VALU_DEP_2)
	v_xor_b32_e32 v39, 0x80000000, v37
	v_mov_b32_e32 v38, v36
	ds_store_b64 v47, v[38:39]
.LBB124_356:                            ;   in Loop: Header=BB124_3 Depth=1
	s_or_b32 exec_lo, exec_lo, s6
	s_wait_dscnt 0x0
	s_barrier_signal -1
	s_barrier_wait -1
	s_and_saveexec_b32 s6, s38
	s_cbranch_execz .LBB124_358
; %bb.357:                              ;   in Loop: Header=BB124_3 Depth=1
	ds_load_b64 v[38:39], v49 offset:21824
	ds_load_b64 v[40:41], v47
	s_wait_dscnt 0x0
	v_fma_f64 v[36:37], -v[38:39], v[40:41], v[36:37]
.LBB124_358:                            ;   in Loop: Header=BB124_3 Depth=1
	s_or_b32 exec_lo, exec_lo, s6
	s_barrier_signal -1
	s_barrier_wait -1
	s_and_saveexec_b32 s6, s39
	s_cbranch_execz .LBB124_360
; %bb.359:                              ;   in Loop: Header=BB124_3 Depth=1
	ds_load_b64 v[38:39], v5 offset:21320
	s_wait_dscnt 0x0
	v_mul_f64_e32 v[36:37], v[36:37], v[38:39]
	s_delay_alu instid0(VALU_DEP_1) | instskip(NEXT) | instid1(VALU_DEP_2)
	v_xor_b32_e32 v39, 0x80000000, v37
	v_mov_b32_e32 v38, v36
	ds_store_b64 v47, v[38:39]
.LBB124_360:                            ;   in Loop: Header=BB124_3 Depth=1
	s_or_b32 exec_lo, exec_lo, s6
	s_wait_dscnt 0x0
	;; [unrolled: 26-line block ×3, first 2 shown]
	s_barrier_signal -1
	s_barrier_wait -1
	s_barrier_signal -1
	s_barrier_wait -1
	s_and_saveexec_b32 s6, s2
; %bb.365:                              ;   in Loop: Header=BB124_3 Depth=1
	ds_store_b64 v50, v[36:37] offset:24384
; %bb.366:                              ;   in Loop: Header=BB124_3 Depth=1
	s_or_b32 exec_lo, exec_lo, s6
	s_wait_dscnt 0x0
	s_barrier_signal -1
	s_barrier_wait -1
	s_barrier_signal -1
	s_barrier_wait -1
	s_and_saveexec_b32 s6, s14
	s_cbranch_execz .LBB124_368
; %bb.367:                              ;   in Loop: Header=BB124_3 Depth=1
	ds_load_b128 v[36:39], v5 offset:22352
	ds_load_b64 v[40:41], v5 offset:21840
	s_wait_dscnt 0x0
	v_mul_f64_e32 v[38:39], v[40:41], v[38:39]
	s_delay_alu instid0(VALU_DEP_1)
	v_mul_f64_e32 v[36:37], v[36:37], v[38:39]
	ds_store_b64 v5, v[36:37] offset:22352
.LBB124_368:                            ;   in Loop: Header=BB124_3 Depth=1
	s_or_b32 exec_lo, exec_lo, s6
	v_mov_b64_e32 v[36:37], 0
	s_wait_dscnt 0x0
	s_barrier_signal -1
	s_barrier_wait -1
	global_wb scope:SCOPE_DEV
	s_wait_storecnt 0x0
	global_inv scope:SCOPE_DEV
	s_and_saveexec_b32 s6, s1
	s_cbranch_execz .LBB124_372
; %bb.369:                              ;   in Loop: Header=BB124_3 Depth=1
	ds_load_b64 v[36:37], v44 offset:21824
	ds_load_b64 v[38:39], v43 offset:22352
	s_wait_dscnt 0x0
	v_fma_f64 v[36:37], v[36:37], v[38:39], 0
	s_and_saveexec_b32 s7, s15
	s_cbranch_execz .LBB124_371
; %bb.370:                              ;   in Loop: Header=BB124_3 Depth=1
	ds_load_b64 v[38:39], v45 offset:22336
	ds_load_b64 v[40:41], v5 offset:22360
	s_wait_dscnt 0x0
	v_fmac_f64_e32 v[36:37], v[38:39], v[40:41]
.LBB124_371:                            ;   in Loop: Header=BB124_3 Depth=1
	s_or_b32 exec_lo, exec_lo, s7
.LBB124_372:                            ;   in Loop: Header=BB124_3 Depth=1
	s_delay_alu instid0(SALU_CYCLE_1)
	s_or_b32 exec_lo, exec_lo, s6
	s_and_saveexec_b32 s6, s103
	s_cbranch_execz .LBB124_374
; %bb.373:                              ;   in Loop: Header=BB124_3 Depth=1
	ds_load_b64 v[38:39], v5 offset:21320
	s_wait_dscnt 0x0
	v_mul_f64_e32 v[36:37], v[36:37], v[38:39]
	s_delay_alu instid0(VALU_DEP_1) | instskip(NEXT) | instid1(VALU_DEP_2)
	v_xor_b32_e32 v39, 0x80000000, v37
	v_mov_b32_e32 v38, v36
	ds_store_b64 v3, v[38:39]
.LBB124_374:                            ;   in Loop: Header=BB124_3 Depth=1
	s_or_b32 exec_lo, exec_lo, s6
	s_wait_loadcnt_dscnt 0x0
	s_barrier_signal -1
	s_barrier_wait -1
	s_and_saveexec_b32 s6, s104
	s_cbranch_execz .LBB124_376
; %bb.375:                              ;   in Loop: Header=BB124_3 Depth=1
	ds_load_b64 v[38:39], v5 offset:21312
	ds_load_b64 v[40:41], v3
	s_wait_dscnt 0x0
	v_fma_f64 v[36:37], -v[38:39], v[40:41], v[36:37]
.LBB124_376:                            ;   in Loop: Header=BB124_3 Depth=1
	s_or_b32 exec_lo, exec_lo, s6
	s_barrier_signal -1
	s_barrier_wait -1
	s_and_saveexec_b32 s6, s104
	s_cbranch_execz .LBB124_378
; %bb.377:                              ;   in Loop: Header=BB124_3 Depth=1
	ds_load_b64 v[38:39], v5 offset:20800
	s_wait_dscnt 0x0
	v_mul_f64_e32 v[36:37], v[36:37], v[38:39]
	s_delay_alu instid0(VALU_DEP_1) | instskip(NEXT) | instid1(VALU_DEP_2)
	v_xor_b32_e32 v39, 0x80000000, v37
	v_mov_b32_e32 v38, v36
	ds_store_b64 v3, v[38:39]
.LBB124_378:                            ;   in Loop: Header=BB124_3 Depth=1
	s_or_b32 exec_lo, exec_lo, s6
	s_wait_dscnt 0x0
	s_barrier_signal -1
	s_barrier_wait -1
	s_barrier_signal -1
	s_barrier_wait -1
	s_and_saveexec_b32 s6, s1
; %bb.379:                              ;   in Loop: Header=BB124_3 Depth=1
	ds_store_b64 v46, v[36:37] offset:22336
; %bb.380:                              ;   in Loop: Header=BB124_3 Depth=1
	s_or_b32 exec_lo, exec_lo, s6
	s_wait_dscnt 0x0
	s_barrier_signal -1
	s_barrier_wait -1
	s_barrier_signal -1
	s_barrier_wait -1
	s_and_saveexec_b32 s6, s14
	s_cbranch_execz .LBB124_382
; %bb.381:                              ;   in Loop: Header=BB124_3 Depth=1
	ds_load_b128 v[36:39], v5 offset:21312
	ds_load_b64 v[40:41], v5 offset:20800
	s_wait_dscnt 0x0
	v_mul_f64_e32 v[38:39], v[40:41], v[38:39]
	s_delay_alu instid0(VALU_DEP_1)
	v_mul_f64_e32 v[36:37], v[36:37], v[38:39]
	ds_store_b64 v5, v[36:37] offset:21312
.LBB124_382:                            ;   in Loop: Header=BB124_3 Depth=1
	s_or_b32 exec_lo, exec_lo, s6
	v_mov_b64_e32 v[36:37], 0
	s_wait_dscnt 0x0
	s_barrier_signal -1
	s_barrier_wait -1
	global_wb scope:SCOPE_DEV
	s_wait_storecnt 0x0
	global_inv scope:SCOPE_DEV
	s_and_saveexec_b32 s10, s3
	s_cbranch_execz .LBB124_392
; %bb.383:                              ;   in Loop: Header=BB124_3 Depth=1
	ds_load_b64 v[36:37], v53 offset:20736
	ds_load_b64 v[38:39], v52 offset:24384
	s_wait_dscnt 0x0
	v_fma_f64 v[36:37], v[36:37], v[38:39], 0
	s_and_saveexec_b32 s6, s18
	s_cbranch_execnz .LBB124_1053
; %bb.384:                              ;   in Loop: Header=BB124_3 Depth=1
	s_or_b32 exec_lo, exec_lo, s6
	s_and_saveexec_b32 s6, s19
	s_cbranch_execnz .LBB124_1054
.LBB124_385:                            ;   in Loop: Header=BB124_3 Depth=1
	s_or_b32 exec_lo, exec_lo, s6
	s_and_saveexec_b32 s6, s20
	s_cbranch_execnz .LBB124_1055
.LBB124_386:                            ;   in Loop: Header=BB124_3 Depth=1
	s_or_b32 exec_lo, exec_lo, s6
	s_and_saveexec_b32 s6, s21
	s_cbranch_execnz .LBB124_1056
.LBB124_387:                            ;   in Loop: Header=BB124_3 Depth=1
	s_or_b32 exec_lo, exec_lo, s6
	s_and_saveexec_b32 s6, s22
	s_cbranch_execnz .LBB124_1057
.LBB124_388:                            ;   in Loop: Header=BB124_3 Depth=1
	s_or_b32 exec_lo, exec_lo, s6
	s_and_saveexec_b32 s6, s2
	s_cbranch_execnz .LBB124_1058
.LBB124_389:                            ;   in Loop: Header=BB124_3 Depth=1
	s_or_b32 exec_lo, exec_lo, s6
	s_and_saveexec_b32 s6, s17
	s_cbranch_execz .LBB124_391
.LBB124_390:                            ;   in Loop: Header=BB124_3 Depth=1
	ds_load_b64 v[38:39], v45 offset:24320
	ds_load_b64 v[40:41], v5 offset:24440
	s_wait_dscnt 0x0
	v_fmac_f64_e32 v[36:37], v[38:39], v[40:41]
.LBB124_391:                            ;   in Loop: Header=BB124_3 Depth=1
	s_or_b32 exec_lo, exec_lo, s6
.LBB124_392:                            ;   in Loop: Header=BB124_3 Depth=1
	s_delay_alu instid0(SALU_CYCLE_1)
	s_or_b32 exec_lo, exec_lo, s10
	s_and_saveexec_b32 s6, s41
	s_cbranch_execz .LBB124_394
; %bb.393:                              ;   in Loop: Header=BB124_3 Depth=1
	ds_load_b64 v[38:39], v5 offset:20280
	s_wait_dscnt 0x0
	v_mul_f64_e32 v[36:37], v[36:37], v[38:39]
	s_delay_alu instid0(VALU_DEP_1) | instskip(NEXT) | instid1(VALU_DEP_2)
	v_xor_b32_e32 v39, 0x80000000, v37
	v_mov_b32_e32 v38, v36
	ds_store_b64 v51, v[38:39]
.LBB124_394:                            ;   in Loop: Header=BB124_3 Depth=1
	s_or_b32 exec_lo, exec_lo, s6
	s_wait_loadcnt_dscnt 0x0
	s_barrier_signal -1
	s_barrier_wait -1
	s_and_saveexec_b32 s6, s42
	s_cbranch_execz .LBB124_396
; %bb.395:                              ;   in Loop: Header=BB124_3 Depth=1
	ds_load_b64 v[38:39], v53 offset:20224
	ds_load_b64 v[40:41], v51
	s_wait_dscnt 0x0
	v_fma_f64 v[36:37], -v[38:39], v[40:41], v[36:37]
.LBB124_396:                            ;   in Loop: Header=BB124_3 Depth=1
	s_or_b32 exec_lo, exec_lo, s6
	s_barrier_signal -1
	s_barrier_wait -1
	s_and_saveexec_b32 s6, s43
	s_cbranch_execz .LBB124_398
; %bb.397:                              ;   in Loop: Header=BB124_3 Depth=1
	ds_load_b64 v[38:39], v5 offset:19760
	s_wait_dscnt 0x0
	v_mul_f64_e32 v[36:37], v[36:37], v[38:39]
	s_delay_alu instid0(VALU_DEP_1) | instskip(NEXT) | instid1(VALU_DEP_2)
	v_xor_b32_e32 v39, 0x80000000, v37
	v_mov_b32_e32 v38, v36
	ds_store_b64 v51, v[38:39]
.LBB124_398:                            ;   in Loop: Header=BB124_3 Depth=1
	s_or_b32 exec_lo, exec_lo, s6
	s_wait_dscnt 0x0
	s_barrier_signal -1
	s_barrier_wait -1
	s_and_saveexec_b32 s6, s44
	s_cbranch_execz .LBB124_400
; %bb.399:                              ;   in Loop: Header=BB124_3 Depth=1
	ds_load_b64 v[38:39], v53 offset:19712
	ds_load_b64 v[40:41], v51
	s_wait_dscnt 0x0
	v_fma_f64 v[36:37], -v[38:39], v[40:41], v[36:37]
.LBB124_400:                            ;   in Loop: Header=BB124_3 Depth=1
	s_or_b32 exec_lo, exec_lo, s6
	s_barrier_signal -1
	s_barrier_wait -1
	s_and_saveexec_b32 s6, s45
	s_cbranch_execz .LBB124_402
; %bb.401:                              ;   in Loop: Header=BB124_3 Depth=1
	ds_load_b64 v[38:39], v5 offset:19240
	s_wait_dscnt 0x0
	v_mul_f64_e32 v[36:37], v[36:37], v[38:39]
	s_delay_alu instid0(VALU_DEP_1) | instskip(NEXT) | instid1(VALU_DEP_2)
	v_xor_b32_e32 v39, 0x80000000, v37
	v_mov_b32_e32 v38, v36
	ds_store_b64 v51, v[38:39]
.LBB124_402:                            ;   in Loop: Header=BB124_3 Depth=1
	s_or_b32 exec_lo, exec_lo, s6
	s_wait_dscnt 0x0
	;; [unrolled: 26-line block ×7, first 2 shown]
	s_barrier_signal -1
	s_barrier_wait -1
	s_barrier_signal -1
	s_barrier_wait -1
	s_and_saveexec_b32 s6, s3
; %bb.423:                              ;   in Loop: Header=BB124_3 Depth=1
	ds_store_b64 v54, v[36:37] offset:24320
; %bb.424:                              ;   in Loop: Header=BB124_3 Depth=1
	s_or_b32 exec_lo, exec_lo, s6
	s_wait_dscnt 0x0
	s_barrier_signal -1
	s_barrier_wait -1
	s_barrier_signal -1
	s_barrier_wait -1
	s_and_saveexec_b32 s6, s14
	s_cbranch_execz .LBB124_426
; %bb.425:                              ;   in Loop: Header=BB124_3 Depth=1
	ds_load_b128 v[36:39], v5 offset:20272
	ds_load_b64 v[40:41], v5 offset:19760
	s_wait_dscnt 0x0
	v_mul_f64_e32 v[38:39], v[40:41], v[38:39]
	s_delay_alu instid0(VALU_DEP_1)
	v_mul_f64_e32 v[36:37], v[36:37], v[38:39]
	ds_store_b64 v5, v[36:37] offset:20272
.LBB124_426:                            ;   in Loop: Header=BB124_3 Depth=1
	s_or_b32 exec_lo, exec_lo, s6
	v_mov_b64_e32 v[36:37], 0
	s_wait_dscnt 0x0
	s_barrier_signal -1
	s_barrier_wait -1
	global_wb scope:SCOPE_DEV
	s_wait_storecnt 0x0
	global_inv scope:SCOPE_DEV
	s_and_saveexec_b32 s6, s1
	s_cbranch_execz .LBB124_430
; %bb.427:                              ;   in Loop: Header=BB124_3 Depth=1
	ds_load_b64 v[36:37], v44 offset:19744
	ds_load_b64 v[38:39], v43 offset:20272
	s_wait_dscnt 0x0
	v_fma_f64 v[36:37], v[36:37], v[38:39], 0
	s_and_saveexec_b32 s7, s15
	s_cbranch_execz .LBB124_429
; %bb.428:                              ;   in Loop: Header=BB124_3 Depth=1
	ds_load_b64 v[38:39], v45 offset:20256
	ds_load_b64 v[40:41], v5 offset:20280
	s_wait_dscnt 0x0
	v_fmac_f64_e32 v[36:37], v[38:39], v[40:41]
.LBB124_429:                            ;   in Loop: Header=BB124_3 Depth=1
	s_or_b32 exec_lo, exec_lo, s7
.LBB124_430:                            ;   in Loop: Header=BB124_3 Depth=1
	s_delay_alu instid0(SALU_CYCLE_1)
	s_or_b32 exec_lo, exec_lo, s6
	s_and_saveexec_b32 s6, s103
	s_cbranch_execz .LBB124_432
; %bb.431:                              ;   in Loop: Header=BB124_3 Depth=1
	ds_load_b64 v[38:39], v5 offset:19240
	s_wait_dscnt 0x0
	v_mul_f64_e32 v[36:37], v[36:37], v[38:39]
	s_delay_alu instid0(VALU_DEP_1) | instskip(NEXT) | instid1(VALU_DEP_2)
	v_xor_b32_e32 v39, 0x80000000, v37
	v_mov_b32_e32 v38, v36
	ds_store_b64 v3, v[38:39]
.LBB124_432:                            ;   in Loop: Header=BB124_3 Depth=1
	s_or_b32 exec_lo, exec_lo, s6
	s_wait_loadcnt_dscnt 0x0
	s_barrier_signal -1
	s_barrier_wait -1
	s_and_saveexec_b32 s6, s104
	s_cbranch_execz .LBB124_434
; %bb.433:                              ;   in Loop: Header=BB124_3 Depth=1
	ds_load_b64 v[38:39], v5 offset:19232
	ds_load_b64 v[40:41], v3
	s_wait_dscnt 0x0
	v_fma_f64 v[36:37], -v[38:39], v[40:41], v[36:37]
.LBB124_434:                            ;   in Loop: Header=BB124_3 Depth=1
	s_or_b32 exec_lo, exec_lo, s6
	s_barrier_signal -1
	s_barrier_wait -1
	s_and_saveexec_b32 s6, s104
	s_cbranch_execz .LBB124_436
; %bb.435:                              ;   in Loop: Header=BB124_3 Depth=1
	ds_load_b64 v[38:39], v5 offset:18720
	s_wait_dscnt 0x0
	v_mul_f64_e32 v[36:37], v[36:37], v[38:39]
	s_delay_alu instid0(VALU_DEP_1) | instskip(NEXT) | instid1(VALU_DEP_2)
	v_xor_b32_e32 v39, 0x80000000, v37
	v_mov_b32_e32 v38, v36
	ds_store_b64 v3, v[38:39]
.LBB124_436:                            ;   in Loop: Header=BB124_3 Depth=1
	s_or_b32 exec_lo, exec_lo, s6
	s_wait_dscnt 0x0
	s_barrier_signal -1
	s_barrier_wait -1
	s_barrier_signal -1
	s_barrier_wait -1
	s_and_saveexec_b32 s6, s1
; %bb.437:                              ;   in Loop: Header=BB124_3 Depth=1
	ds_store_b64 v46, v[36:37] offset:20256
; %bb.438:                              ;   in Loop: Header=BB124_3 Depth=1
	s_or_b32 exec_lo, exec_lo, s6
	s_wait_dscnt 0x0
	s_barrier_signal -1
	s_barrier_wait -1
	s_barrier_signal -1
	s_barrier_wait -1
	s_and_saveexec_b32 s6, s14
	s_cbranch_execz .LBB124_440
; %bb.439:                              ;   in Loop: Header=BB124_3 Depth=1
	ds_load_b128 v[36:39], v5 offset:19232
	ds_load_b64 v[40:41], v5 offset:18720
	s_wait_dscnt 0x0
	v_mul_f64_e32 v[38:39], v[40:41], v[38:39]
	s_delay_alu instid0(VALU_DEP_1)
	v_mul_f64_e32 v[36:37], v[36:37], v[38:39]
	ds_store_b64 v5, v[36:37] offset:19232
.LBB124_440:                            ;   in Loop: Header=BB124_3 Depth=1
	s_or_b32 exec_lo, exec_lo, s6
	v_mov_b64_e32 v[36:37], 0
	s_wait_dscnt 0x0
	s_barrier_signal -1
	s_barrier_wait -1
	global_wb scope:SCOPE_DEV
	s_wait_storecnt 0x0
	global_inv scope:SCOPE_DEV
	s_and_saveexec_b32 s10, s2
	s_cbranch_execz .LBB124_446
; %bb.441:                              ;   in Loop: Header=BB124_3 Depth=1
	ds_load_b64 v[36:37], v49 offset:18688
	ds_load_b64 v[38:39], v48 offset:20256
	s_wait_dscnt 0x0
	v_fma_f64 v[36:37], v[36:37], v[38:39], 0
	s_and_saveexec_b32 s6, s16
	s_cbranch_execnz .LBB124_1059
; %bb.442:                              ;   in Loop: Header=BB124_3 Depth=1
	s_or_b32 exec_lo, exec_lo, s6
	s_and_saveexec_b32 s6, s17
	s_cbranch_execnz .LBB124_1060
.LBB124_443:                            ;   in Loop: Header=BB124_3 Depth=1
	s_or_b32 exec_lo, exec_lo, s6
	s_and_saveexec_b32 s6, s1
	s_cbranch_execz .LBB124_445
.LBB124_444:                            ;   in Loop: Header=BB124_3 Depth=1
	ds_load_b64 v[38:39], v45 offset:20224
	ds_load_b64 v[40:41], v5 offset:20280
	s_wait_dscnt 0x0
	v_fmac_f64_e32 v[36:37], v[38:39], v[40:41]
.LBB124_445:                            ;   in Loop: Header=BB124_3 Depth=1
	s_or_b32 exec_lo, exec_lo, s6
.LBB124_446:                            ;   in Loop: Header=BB124_3 Depth=1
	s_delay_alu instid0(SALU_CYCLE_1)
	s_or_b32 exec_lo, exec_lo, s10
	s_and_saveexec_b32 s6, vcc_hi
	s_cbranch_execz .LBB124_448
; %bb.447:                              ;   in Loop: Header=BB124_3 Depth=1
	ds_load_b64 v[38:39], v5 offset:18200
	s_wait_dscnt 0x0
	v_mul_f64_e32 v[36:37], v[36:37], v[38:39]
	s_delay_alu instid0(VALU_DEP_1) | instskip(NEXT) | instid1(VALU_DEP_2)
	v_xor_b32_e32 v39, 0x80000000, v37
	v_mov_b32_e32 v38, v36
	ds_store_b64 v47, v[38:39]
.LBB124_448:                            ;   in Loop: Header=BB124_3 Depth=1
	s_or_b32 exec_lo, exec_lo, s6
	s_wait_loadcnt_dscnt 0x0
	s_barrier_signal -1
	s_barrier_wait -1
	s_and_saveexec_b32 s6, s36
	s_cbranch_execz .LBB124_450
; %bb.449:                              ;   in Loop: Header=BB124_3 Depth=1
	ds_load_b64 v[38:39], v49 offset:18176
	ds_load_b64 v[40:41], v47
	s_wait_dscnt 0x0
	v_fma_f64 v[36:37], -v[38:39], v[40:41], v[36:37]
.LBB124_450:                            ;   in Loop: Header=BB124_3 Depth=1
	s_or_b32 exec_lo, exec_lo, s6
	s_barrier_signal -1
	s_barrier_wait -1
	s_and_saveexec_b32 s6, s37
	s_cbranch_execz .LBB124_452
; %bb.451:                              ;   in Loop: Header=BB124_3 Depth=1
	ds_load_b64 v[38:39], v5 offset:17680
	s_wait_dscnt 0x0
	v_mul_f64_e32 v[36:37], v[36:37], v[38:39]
	s_delay_alu instid0(VALU_DEP_1) | instskip(NEXT) | instid1(VALU_DEP_2)
	v_xor_b32_e32 v39, 0x80000000, v37
	v_mov_b32_e32 v38, v36
	ds_store_b64 v47, v[38:39]
.LBB124_452:                            ;   in Loop: Header=BB124_3 Depth=1
	s_or_b32 exec_lo, exec_lo, s6
	s_wait_dscnt 0x0
	s_barrier_signal -1
	s_barrier_wait -1
	s_and_saveexec_b32 s6, s38
	s_cbranch_execz .LBB124_454
; %bb.453:                              ;   in Loop: Header=BB124_3 Depth=1
	ds_load_b64 v[38:39], v49 offset:17664
	ds_load_b64 v[40:41], v47
	s_wait_dscnt 0x0
	v_fma_f64 v[36:37], -v[38:39], v[40:41], v[36:37]
.LBB124_454:                            ;   in Loop: Header=BB124_3 Depth=1
	s_or_b32 exec_lo, exec_lo, s6
	s_barrier_signal -1
	s_barrier_wait -1
	s_and_saveexec_b32 s6, s39
	s_cbranch_execz .LBB124_456
; %bb.455:                              ;   in Loop: Header=BB124_3 Depth=1
	ds_load_b64 v[38:39], v5 offset:17160
	s_wait_dscnt 0x0
	v_mul_f64_e32 v[36:37], v[36:37], v[38:39]
	s_delay_alu instid0(VALU_DEP_1) | instskip(NEXT) | instid1(VALU_DEP_2)
	v_xor_b32_e32 v39, 0x80000000, v37
	v_mov_b32_e32 v38, v36
	ds_store_b64 v47, v[38:39]
.LBB124_456:                            ;   in Loop: Header=BB124_3 Depth=1
	s_or_b32 exec_lo, exec_lo, s6
	s_wait_dscnt 0x0
	;; [unrolled: 26-line block ×3, first 2 shown]
	s_barrier_signal -1
	s_barrier_wait -1
	s_barrier_signal -1
	s_barrier_wait -1
	s_and_saveexec_b32 s6, s2
; %bb.461:                              ;   in Loop: Header=BB124_3 Depth=1
	ds_store_b64 v50, v[36:37] offset:20224
; %bb.462:                              ;   in Loop: Header=BB124_3 Depth=1
	s_or_b32 exec_lo, exec_lo, s6
	s_wait_dscnt 0x0
	s_barrier_signal -1
	s_barrier_wait -1
	s_barrier_signal -1
	s_barrier_wait -1
	s_and_saveexec_b32 s6, s14
	s_cbranch_execz .LBB124_464
; %bb.463:                              ;   in Loop: Header=BB124_3 Depth=1
	ds_load_b128 v[36:39], v5 offset:18192
	ds_load_b64 v[40:41], v5 offset:17680
	s_wait_dscnt 0x0
	v_mul_f64_e32 v[38:39], v[40:41], v[38:39]
	s_delay_alu instid0(VALU_DEP_1)
	v_mul_f64_e32 v[36:37], v[36:37], v[38:39]
	ds_store_b64 v5, v[36:37] offset:18192
.LBB124_464:                            ;   in Loop: Header=BB124_3 Depth=1
	s_or_b32 exec_lo, exec_lo, s6
	v_mov_b64_e32 v[36:37], 0
	s_wait_dscnt 0x0
	s_barrier_signal -1
	s_barrier_wait -1
	global_wb scope:SCOPE_DEV
	s_wait_storecnt 0x0
	global_inv scope:SCOPE_DEV
	s_and_saveexec_b32 s6, s1
	s_cbranch_execz .LBB124_468
; %bb.465:                              ;   in Loop: Header=BB124_3 Depth=1
	ds_load_b64 v[36:37], v44 offset:17664
	ds_load_b64 v[38:39], v43 offset:18192
	s_wait_dscnt 0x0
	v_fma_f64 v[36:37], v[36:37], v[38:39], 0
	s_and_saveexec_b32 s7, s15
	s_cbranch_execz .LBB124_467
; %bb.466:                              ;   in Loop: Header=BB124_3 Depth=1
	ds_load_b64 v[38:39], v45 offset:18176
	ds_load_b64 v[40:41], v5 offset:18200
	s_wait_dscnt 0x0
	v_fmac_f64_e32 v[36:37], v[38:39], v[40:41]
.LBB124_467:                            ;   in Loop: Header=BB124_3 Depth=1
	s_or_b32 exec_lo, exec_lo, s7
.LBB124_468:                            ;   in Loop: Header=BB124_3 Depth=1
	s_delay_alu instid0(SALU_CYCLE_1)
	s_or_b32 exec_lo, exec_lo, s6
	s_and_saveexec_b32 s6, s103
	s_cbranch_execz .LBB124_470
; %bb.469:                              ;   in Loop: Header=BB124_3 Depth=1
	ds_load_b64 v[38:39], v5 offset:17160
	s_wait_dscnt 0x0
	v_mul_f64_e32 v[36:37], v[36:37], v[38:39]
	s_delay_alu instid0(VALU_DEP_1) | instskip(NEXT) | instid1(VALU_DEP_2)
	v_xor_b32_e32 v39, 0x80000000, v37
	v_mov_b32_e32 v38, v36
	ds_store_b64 v3, v[38:39]
.LBB124_470:                            ;   in Loop: Header=BB124_3 Depth=1
	s_or_b32 exec_lo, exec_lo, s6
	s_wait_loadcnt_dscnt 0x0
	s_barrier_signal -1
	s_barrier_wait -1
	s_and_saveexec_b32 s6, s104
	s_cbranch_execz .LBB124_472
; %bb.471:                              ;   in Loop: Header=BB124_3 Depth=1
	ds_load_b64 v[38:39], v5 offset:17152
	ds_load_b64 v[40:41], v3
	s_wait_dscnt 0x0
	v_fma_f64 v[36:37], -v[38:39], v[40:41], v[36:37]
.LBB124_472:                            ;   in Loop: Header=BB124_3 Depth=1
	s_or_b32 exec_lo, exec_lo, s6
	s_barrier_signal -1
	s_barrier_wait -1
	s_and_saveexec_b32 s6, s104
	s_cbranch_execz .LBB124_474
; %bb.473:                              ;   in Loop: Header=BB124_3 Depth=1
	ds_load_b64 v[38:39], v5 offset:16640
	s_wait_dscnt 0x0
	v_mul_f64_e32 v[36:37], v[36:37], v[38:39]
	s_delay_alu instid0(VALU_DEP_1) | instskip(NEXT) | instid1(VALU_DEP_2)
	v_xor_b32_e32 v39, 0x80000000, v37
	v_mov_b32_e32 v38, v36
	ds_store_b64 v3, v[38:39]
.LBB124_474:                            ;   in Loop: Header=BB124_3 Depth=1
	s_or_b32 exec_lo, exec_lo, s6
	s_wait_dscnt 0x0
	s_barrier_signal -1
	s_barrier_wait -1
	s_barrier_signal -1
	s_barrier_wait -1
	s_and_saveexec_b32 s6, s1
; %bb.475:                              ;   in Loop: Header=BB124_3 Depth=1
	ds_store_b64 v46, v[36:37] offset:18176
; %bb.476:                              ;   in Loop: Header=BB124_3 Depth=1
	s_or_b32 exec_lo, exec_lo, s6
	s_wait_dscnt 0x0
	s_barrier_signal -1
	s_barrier_wait -1
	s_barrier_signal -1
	s_barrier_wait -1
	s_and_saveexec_b32 s6, s14
	s_cbranch_execz .LBB124_478
; %bb.477:                              ;   in Loop: Header=BB124_3 Depth=1
	ds_load_b128 v[36:39], v5 offset:17152
	ds_load_b64 v[40:41], v5 offset:16640
	s_wait_dscnt 0x0
	v_mul_f64_e32 v[38:39], v[40:41], v[38:39]
	s_delay_alu instid0(VALU_DEP_1)
	v_mul_f64_e32 v[36:37], v[36:37], v[38:39]
	ds_store_b64 v5, v[36:37] offset:17152
.LBB124_478:                            ;   in Loop: Header=BB124_3 Depth=1
	s_or_b32 exec_lo, exec_lo, s6
	v_mov_b64_e32 v[36:37], 0
	s_wait_dscnt 0x0
	s_barrier_signal -1
	s_barrier_wait -1
	global_wb scope:SCOPE_DEV
	s_wait_storecnt 0x0
	global_inv scope:SCOPE_DEV
	s_and_saveexec_b32 s96, s35
	s_cbranch_execz .LBB124_540
; %bb.479:                              ;   in Loop: Header=BB124_3 Depth=1
	ds_load_b64 v[36:37], v62 offset:16384
	ds_load_b64 v[38:39], v61 offset:32512
	s_wait_dscnt 0x0
	v_fma_f64 v[36:37], v[36:37], v[38:39], 0
	s_mov_b32 s6, exec_lo
	v_readlane_b32 s7, v85, 9
	s_and_b32 s7, s6, s7
	s_delay_alu instid0(SALU_CYCLE_1)
	s_mov_b32 exec_lo, s7
	s_cbranch_execz .LBB124_481
; %bb.480:                              ;   in Loop: Header=BB124_3 Depth=1
	ds_load_b64 v[38:39], v62 offset:16896
	ds_load_b64 v[40:41], v61 offset:32520
	s_wait_dscnt 0x0
	v_fmac_f64_e32 v[36:37], v[38:39], v[40:41]
.LBB124_481:                            ;   in Loop: Header=BB124_3 Depth=1
	s_or_b32 exec_lo, exec_lo, s6
	s_delay_alu instid0(SALU_CYCLE_1) | instskip(SKIP_2) | instid1(SALU_CYCLE_1)
	s_mov_b32 s6, exec_lo
	v_readlane_b32 s7, v85, 10
	s_and_b32 s7, s6, s7
	s_mov_b32 exec_lo, s7
	s_cbranch_execz .LBB124_483
; %bb.482:                              ;   in Loop: Header=BB124_3 Depth=1
	ds_load_b64 v[38:39], v62 offset:17408
	ds_load_b64 v[40:41], v61 offset:32528
	s_wait_dscnt 0x0
	v_fmac_f64_e32 v[36:37], v[38:39], v[40:41]
.LBB124_483:                            ;   in Loop: Header=BB124_3 Depth=1
	s_or_b32 exec_lo, exec_lo, s6
	s_delay_alu instid0(SALU_CYCLE_1) | instskip(SKIP_2) | instid1(SALU_CYCLE_1)
	s_mov_b32 s6, exec_lo
	v_readlane_b32 s7, v85, 11
	s_and_b32 s7, s6, s7
	;; [unrolled: 13-line block ×22, first 2 shown]
	s_mov_b32 exec_lo, s7
	s_cbranch_execz .LBB124_525
; %bb.524:                              ;   in Loop: Header=BB124_3 Depth=1
	ds_load_b64 v[38:39], v62 offset:28160
	ds_load_b64 v[40:41], v61 offset:32696
	s_wait_dscnt 0x0
	v_fmac_f64_e32 v[36:37], v[38:39], v[40:41]
.LBB124_525:                            ;   in Loop: Header=BB124_3 Depth=1
	s_or_b32 exec_lo, exec_lo, s6
	s_and_saveexec_b32 s6, s4
	s_cbranch_execz .LBB124_527
; %bb.526:                              ;   in Loop: Header=BB124_3 Depth=1
	ds_load_b64 v[38:39], v62 offset:28672
	ds_load_b64 v[40:41], v61 offset:32704
	s_wait_dscnt 0x0
	v_fmac_f64_e32 v[36:37], v[38:39], v[40:41]
.LBB124_527:                            ;   in Loop: Header=BB124_3 Depth=1
	s_or_b32 exec_lo, exec_lo, s6
	s_delay_alu instid0(SALU_CYCLE_1) | instskip(SKIP_2) | instid1(SALU_CYCLE_1)
	s_mov_b32 s6, exec_lo
	v_readlane_b32 s7, v86, 31
	s_and_b32 s7, s6, s7
	s_mov_b32 exec_lo, s7
	s_cbranch_execz .LBB124_529
; %bb.528:                              ;   in Loop: Header=BB124_3 Depth=1
	ds_load_b64 v[38:39], v62 offset:29184
	ds_load_b64 v[40:41], v61 offset:32712
	s_wait_dscnt 0x0
	v_fmac_f64_e32 v[36:37], v[38:39], v[40:41]
.LBB124_529:                            ;   in Loop: Header=BB124_3 Depth=1
	s_or_b32 exec_lo, exec_lo, s6
	s_delay_alu instid0(SALU_CYCLE_1) | instskip(SKIP_2) | instid1(SALU_CYCLE_1)
	s_mov_b32 s6, exec_lo
	v_readlane_b32 s7, v85, 1
	s_and_b32 s7, s6, s7
	s_mov_b32 exec_lo, s7
	s_cbranch_execz .LBB124_531
; %bb.530:                              ;   in Loop: Header=BB124_3 Depth=1
	ds_load_b64 v[38:39], v62 offset:29696
	ds_load_b64 v[40:41], v61 offset:32720
	s_wait_dscnt 0x0
	v_fmac_f64_e32 v[36:37], v[38:39], v[40:41]
.LBB124_531:                            ;   in Loop: Header=BB124_3 Depth=1
	s_or_b32 exec_lo, exec_lo, s6
	s_delay_alu instid0(SALU_CYCLE_1) | instskip(SKIP_2) | instid1(SALU_CYCLE_1)
	s_mov_b32 s6, exec_lo
	v_readlane_b32 s7, v85, 3
	s_and_b32 s7, s6, s7
	s_mov_b32 exec_lo, s7
	s_cbranch_execz .LBB124_533
; %bb.532:                              ;   in Loop: Header=BB124_3 Depth=1
	ds_load_b64 v[38:39], v62 offset:30208
	ds_load_b64 v[40:41], v61 offset:32728
	s_wait_dscnt 0x0
	v_fmac_f64_e32 v[36:37], v[38:39], v[40:41]
.LBB124_533:                            ;   in Loop: Header=BB124_3 Depth=1
	s_or_b32 exec_lo, exec_lo, s6
	s_delay_alu instid0(SALU_CYCLE_1) | instskip(SKIP_2) | instid1(SALU_CYCLE_1)
	s_mov_b32 s6, exec_lo
	v_readlane_b32 s7, v85, 5
	s_and_b32 s7, s6, s7
	s_mov_b32 exec_lo, s7
	s_cbranch_execz .LBB124_535
; %bb.534:                              ;   in Loop: Header=BB124_3 Depth=1
	ds_load_b64 v[38:39], v62 offset:30720
	ds_load_b64 v[40:41], v61 offset:32736
	s_wait_dscnt 0x0
	v_fmac_f64_e32 v[36:37], v[38:39], v[40:41]
.LBB124_535:                            ;   in Loop: Header=BB124_3 Depth=1
	s_or_b32 exec_lo, exec_lo, s6
	s_delay_alu instid0(SALU_CYCLE_1) | instskip(SKIP_2) | instid1(SALU_CYCLE_1)
	s_mov_b32 s6, exec_lo
	v_readlane_b32 s7, v85, 7
	s_and_b32 s7, s6, s7
	s_mov_b32 exec_lo, s7
	s_cbranch_execnz .LBB124_1061
; %bb.536:                              ;   in Loop: Header=BB124_3 Depth=1
	s_or_b32 exec_lo, exec_lo, s6
	s_and_saveexec_b32 s6, s3
	s_cbranch_execnz .LBB124_1062
.LBB124_537:                            ;   in Loop: Header=BB124_3 Depth=1
	s_or_b32 exec_lo, exec_lo, s6
	s_and_saveexec_b32 s6, s21
	s_delay_alu instid0(SALU_CYCLE_1)
	s_xor_b32 s6, exec_lo, s6
	s_cbranch_execz .LBB124_539
.LBB124_538:                            ;   in Loop: Header=BB124_3 Depth=1
	ds_load_b64 v[38:39], v45 offset:32256
	ds_load_b64 v[40:41], v5 offset:32760
	s_wait_dscnt 0x0
	v_fmac_f64_e32 v[36:37], v[38:39], v[40:41]
.LBB124_539:                            ;   in Loop: Header=BB124_3 Depth=1
	s_or_b32 exec_lo, exec_lo, s6
.LBB124_540:                            ;   in Loop: Header=BB124_3 Depth=1
	s_delay_alu instid0(SALU_CYCLE_1)
	s_or_b32 exec_lo, exec_lo, s96
	v_mov_b32_e32 v38, v64
	s_mov_b32 s10, 31
	s_branch .LBB124_542
.LBB124_541:                            ;   in Loop: Header=BB124_542 Depth=2
	s_or_b32 exec_lo, exec_lo, s6
	v_add_nc_u32_e32 v38, 0xfffff800, v38
	s_add_co_i32 s10, s10, -4
	s_cmp_eq_u32 s96, 0
	s_barrier_signal -1
	s_barrier_wait -1
	s_cbranch_scc1 .LBB124_558
.LBB124_542:                            ;   Parent Loop BB124_3 Depth=1
                                        ; =>  This Inner Loop Header: Depth=2
	s_delay_alu instid0(VALU_DEP_1) | instskip(SKIP_1) | instid1(SALU_CYCLE_1)
	v_cmp_eq_u32_e32 vcc_lo, 0xffffc200, v38
	s_and_b32 s7, s9, vcc_lo
	s_and_saveexec_b32 s6, s7
	s_cbranch_execz .LBB124_544
; %bb.543:                              ;   in Loop: Header=BB124_542 Depth=2
	ds_load_b64 v[40:41], v63
	s_wait_dscnt 0x0
	v_mul_f64_e32 v[36:37], v[36:37], v[40:41]
	s_delay_alu instid0(VALU_DEP_1) | instskip(NEXT) | instid1(VALU_DEP_2)
	v_xor_b32_e32 v41, 0x80000000, v37
	v_mov_b32_e32 v40, v36
	ds_store_b64 v60, v[40:41]
.LBB124_544:                            ;   in Loop: Header=BB124_542 Depth=2
	s_or_b32 exec_lo, exec_lo, s6
	v_cmp_gt_u32_e32 vcc_lo, s10, v58
	v_add_nc_u32_e32 v39, v75, v38
	s_wait_loadcnt_dscnt 0x0
	s_barrier_signal -1
	s_barrier_wait -1
	s_and_b32 s7, s9, vcc_lo
	s_delay_alu instid0(SALU_CYCLE_1)
	s_and_saveexec_b32 s6, s7
	s_cbranch_execz .LBB124_546
; %bb.545:                              ;   in Loop: Header=BB124_542 Depth=2
	ds_load_b64 v[40:41], v39 offset:1536
	ds_load_b64 v[80:81], v60
	s_wait_dscnt 0x0
	v_fma_f64 v[36:37], -v[40:41], v[80:81], v[36:37]
.LBB124_546:                            ;   in Loop: Header=BB124_542 Depth=2
	s_or_b32 exec_lo, exec_lo, s6
	s_add_co_i32 s6, s10, -1
	s_delay_alu instid0(SALU_CYCLE_1) | instskip(SKIP_3) | instid1(SALU_CYCLE_1)
	v_cmp_eq_u32_e32 vcc_lo, s6, v58
	s_barrier_signal -1
	s_barrier_wait -1
	s_and_b32 s8, s9, vcc_lo
	s_and_saveexec_b32 s7, s8
	s_cbranch_execz .LBB124_548
; %bb.547:                              ;   in Loop: Header=BB124_542 Depth=2
	ds_load_b64 v[40:41], v63
	s_wait_dscnt 0x0
	v_mul_f64_e32 v[36:37], v[36:37], v[40:41]
	s_delay_alu instid0(VALU_DEP_1) | instskip(NEXT) | instid1(VALU_DEP_2)
	v_xor_b32_e32 v41, 0x80000000, v37
	v_mov_b32_e32 v40, v36
	ds_store_b64 v60, v[40:41]
.LBB124_548:                            ;   in Loop: Header=BB124_542 Depth=2
	s_or_b32 exec_lo, exec_lo, s7
	v_cmp_gt_u32_e32 vcc_lo, s6, v58
	s_wait_dscnt 0x0
	s_barrier_signal -1
	s_barrier_wait -1
	s_and_b32 s7, s9, vcc_lo
	s_delay_alu instid0(SALU_CYCLE_1)
	s_and_saveexec_b32 s6, s7
	s_cbranch_execz .LBB124_550
; %bb.549:                              ;   in Loop: Header=BB124_542 Depth=2
	ds_load_b64 v[40:41], v39 offset:1024
	ds_load_b64 v[80:81], v60
	s_wait_dscnt 0x0
	v_fma_f64 v[36:37], -v[40:41], v[80:81], v[36:37]
.LBB124_550:                            ;   in Loop: Header=BB124_542 Depth=2
	s_or_b32 exec_lo, exec_lo, s6
	s_add_co_i32 s6, s10, -2
	s_delay_alu instid0(SALU_CYCLE_1) | instskip(SKIP_3) | instid1(SALU_CYCLE_1)
	v_cmp_eq_u32_e32 vcc_lo, s6, v58
	s_barrier_signal -1
	s_barrier_wait -1
	s_and_b32 s8, s9, vcc_lo
	s_and_saveexec_b32 s7, s8
	s_cbranch_execz .LBB124_552
; %bb.551:                              ;   in Loop: Header=BB124_542 Depth=2
	ds_load_b64 v[40:41], v63
	s_wait_dscnt 0x0
	v_mul_f64_e32 v[36:37], v[36:37], v[40:41]
	s_delay_alu instid0(VALU_DEP_1) | instskip(NEXT) | instid1(VALU_DEP_2)
	v_xor_b32_e32 v41, 0x80000000, v37
	v_mov_b32_e32 v40, v36
	ds_store_b64 v60, v[40:41]
.LBB124_552:                            ;   in Loop: Header=BB124_542 Depth=2
	s_or_b32 exec_lo, exec_lo, s7
	v_cmp_gt_u32_e32 vcc_lo, s6, v58
	s_wait_dscnt 0x0
	;; [unrolled: 33-line block ×3, first 2 shown]
	s_barrier_signal -1
	s_barrier_wait -1
	s_and_b32 s7, s9, vcc_lo
	s_delay_alu instid0(SALU_CYCLE_1)
	s_and_saveexec_b32 s6, s7
	s_cbranch_execz .LBB124_541
; %bb.557:                              ;   in Loop: Header=BB124_542 Depth=2
	ds_load_b64 v[40:41], v39
	ds_load_b64 v[80:81], v60
	s_wait_dscnt 0x0
	v_fma_f64 v[36:37], -v[40:41], v[80:81], v[36:37]
	s_branch .LBB124_541
.LBB124_558:                            ;   in Loop: Header=BB124_3 Depth=1
	s_and_saveexec_b32 s6, s35
; %bb.559:                              ;   in Loop: Header=BB124_3 Depth=1
	ds_store_b64 v65, v[36:37] offset:32256
; %bb.560:                              ;   in Loop: Header=BB124_3 Depth=1
	s_or_b32 exec_lo, exec_lo, s6
	s_wait_dscnt 0x0
	s_barrier_signal -1
	s_barrier_wait -1
	s_barrier_signal -1
	s_barrier_wait -1
	s_and_saveexec_b32 s6, s14
	s_cbranch_execz .LBB124_562
; %bb.561:                              ;   in Loop: Header=BB124_3 Depth=1
	ds_load_b128 v[36:39], v5 offset:16112
	ds_load_b64 v[40:41], v5 offset:15600
	s_wait_dscnt 0x0
	v_mul_f64_e32 v[38:39], v[40:41], v[38:39]
	s_delay_alu instid0(VALU_DEP_1)
	v_mul_f64_e32 v[36:37], v[36:37], v[38:39]
	ds_store_b64 v5, v[36:37] offset:16112
.LBB124_562:                            ;   in Loop: Header=BB124_3 Depth=1
	s_or_b32 exec_lo, exec_lo, s6
	v_mov_b64_e32 v[36:37], 0
	s_wait_dscnt 0x0
	s_barrier_signal -1
	s_barrier_wait -1
	global_wb scope:SCOPE_DEV
	s_wait_storecnt 0x0
	global_inv scope:SCOPE_DEV
	s_and_saveexec_b32 s6, s1
	s_cbranch_execz .LBB124_566
; %bb.563:                              ;   in Loop: Header=BB124_3 Depth=1
	ds_load_b64 v[36:37], v44 offset:15584
	ds_load_b64 v[38:39], v43 offset:16112
	s_wait_dscnt 0x0
	v_fma_f64 v[36:37], v[36:37], v[38:39], 0
	s_and_saveexec_b32 s7, s15
	s_cbranch_execz .LBB124_565
; %bb.564:                              ;   in Loop: Header=BB124_3 Depth=1
	ds_load_b64 v[38:39], v45 offset:16096
	ds_load_b64 v[40:41], v5 offset:16120
	s_wait_dscnt 0x0
	v_fmac_f64_e32 v[36:37], v[38:39], v[40:41]
.LBB124_565:                            ;   in Loop: Header=BB124_3 Depth=1
	s_or_b32 exec_lo, exec_lo, s7
.LBB124_566:                            ;   in Loop: Header=BB124_3 Depth=1
	s_delay_alu instid0(SALU_CYCLE_1)
	s_or_b32 exec_lo, exec_lo, s6
	s_and_saveexec_b32 s6, s103
	s_cbranch_execz .LBB124_568
; %bb.567:                              ;   in Loop: Header=BB124_3 Depth=1
	ds_load_b64 v[38:39], v5 offset:15080
	s_wait_dscnt 0x0
	v_mul_f64_e32 v[36:37], v[36:37], v[38:39]
	s_delay_alu instid0(VALU_DEP_1) | instskip(NEXT) | instid1(VALU_DEP_2)
	v_xor_b32_e32 v39, 0x80000000, v37
	v_mov_b32_e32 v38, v36
	ds_store_b64 v3, v[38:39]
.LBB124_568:                            ;   in Loop: Header=BB124_3 Depth=1
	s_or_b32 exec_lo, exec_lo, s6
	s_wait_loadcnt_dscnt 0x0
	s_barrier_signal -1
	s_barrier_wait -1
	s_and_saveexec_b32 s6, s104
	s_cbranch_execz .LBB124_570
; %bb.569:                              ;   in Loop: Header=BB124_3 Depth=1
	ds_load_b64 v[38:39], v5 offset:15072
	ds_load_b64 v[40:41], v3
	s_wait_dscnt 0x0
	v_fma_f64 v[36:37], -v[38:39], v[40:41], v[36:37]
.LBB124_570:                            ;   in Loop: Header=BB124_3 Depth=1
	s_or_b32 exec_lo, exec_lo, s6
	s_barrier_signal -1
	s_barrier_wait -1
	s_and_saveexec_b32 s6, s104
	s_cbranch_execz .LBB124_572
; %bb.571:                              ;   in Loop: Header=BB124_3 Depth=1
	ds_load_b64 v[38:39], v5 offset:14560
	s_wait_dscnt 0x0
	v_mul_f64_e32 v[36:37], v[36:37], v[38:39]
	s_delay_alu instid0(VALU_DEP_1) | instskip(NEXT) | instid1(VALU_DEP_2)
	v_xor_b32_e32 v39, 0x80000000, v37
	v_mov_b32_e32 v38, v36
	ds_store_b64 v3, v[38:39]
.LBB124_572:                            ;   in Loop: Header=BB124_3 Depth=1
	s_or_b32 exec_lo, exec_lo, s6
	s_wait_dscnt 0x0
	s_barrier_signal -1
	s_barrier_wait -1
	s_barrier_signal -1
	s_barrier_wait -1
	s_and_saveexec_b32 s6, s1
; %bb.573:                              ;   in Loop: Header=BB124_3 Depth=1
	ds_store_b64 v46, v[36:37] offset:16096
; %bb.574:                              ;   in Loop: Header=BB124_3 Depth=1
	s_or_b32 exec_lo, exec_lo, s6
	s_wait_dscnt 0x0
	s_barrier_signal -1
	s_barrier_wait -1
	s_barrier_signal -1
	s_barrier_wait -1
	s_and_saveexec_b32 s6, s14
	s_cbranch_execz .LBB124_576
; %bb.575:                              ;   in Loop: Header=BB124_3 Depth=1
	ds_load_b128 v[36:39], v5 offset:15072
	ds_load_b64 v[40:41], v5 offset:14560
	s_wait_dscnt 0x0
	v_mul_f64_e32 v[38:39], v[40:41], v[38:39]
	s_delay_alu instid0(VALU_DEP_1)
	v_mul_f64_e32 v[36:37], v[36:37], v[38:39]
	ds_store_b64 v5, v[36:37] offset:15072
.LBB124_576:                            ;   in Loop: Header=BB124_3 Depth=1
	s_or_b32 exec_lo, exec_lo, s6
	v_mov_b64_e32 v[36:37], 0
	s_wait_dscnt 0x0
	s_barrier_signal -1
	s_barrier_wait -1
	global_wb scope:SCOPE_DEV
	s_wait_storecnt 0x0
	global_inv scope:SCOPE_DEV
	s_and_saveexec_b32 s10, s2
	s_cbranch_execz .LBB124_582
; %bb.577:                              ;   in Loop: Header=BB124_3 Depth=1
	ds_load_b64 v[36:37], v49 offset:14528
	ds_load_b64 v[38:39], v48 offset:16096
	s_wait_dscnt 0x0
	v_fma_f64 v[36:37], v[36:37], v[38:39], 0
	s_and_saveexec_b32 s6, s16
	s_cbranch_execnz .LBB124_1063
; %bb.578:                              ;   in Loop: Header=BB124_3 Depth=1
	s_or_b32 exec_lo, exec_lo, s6
	s_and_saveexec_b32 s6, s17
	s_cbranch_execnz .LBB124_1064
.LBB124_579:                            ;   in Loop: Header=BB124_3 Depth=1
	s_or_b32 exec_lo, exec_lo, s6
	s_and_saveexec_b32 s6, s1
	s_cbranch_execz .LBB124_581
.LBB124_580:                            ;   in Loop: Header=BB124_3 Depth=1
	ds_load_b64 v[38:39], v45 offset:16064
	ds_load_b64 v[40:41], v5 offset:16120
	s_wait_dscnt 0x0
	v_fmac_f64_e32 v[36:37], v[38:39], v[40:41]
.LBB124_581:                            ;   in Loop: Header=BB124_3 Depth=1
	s_or_b32 exec_lo, exec_lo, s6
.LBB124_582:                            ;   in Loop: Header=BB124_3 Depth=1
	s_delay_alu instid0(SALU_CYCLE_1)
	s_or_b32 exec_lo, exec_lo, s10
	s_and_saveexec_b32 s6, vcc_hi
	s_cbranch_execz .LBB124_584
; %bb.583:                              ;   in Loop: Header=BB124_3 Depth=1
	ds_load_b64 v[38:39], v5 offset:14040
	s_wait_dscnt 0x0
	v_mul_f64_e32 v[36:37], v[36:37], v[38:39]
	s_delay_alu instid0(VALU_DEP_1) | instskip(NEXT) | instid1(VALU_DEP_2)
	v_xor_b32_e32 v39, 0x80000000, v37
	v_mov_b32_e32 v38, v36
	ds_store_b64 v47, v[38:39]
.LBB124_584:                            ;   in Loop: Header=BB124_3 Depth=1
	s_or_b32 exec_lo, exec_lo, s6
	s_wait_loadcnt_dscnt 0x0
	s_barrier_signal -1
	s_barrier_wait -1
	s_and_saveexec_b32 s6, s36
	s_cbranch_execz .LBB124_586
; %bb.585:                              ;   in Loop: Header=BB124_3 Depth=1
	ds_load_b64 v[38:39], v49 offset:14016
	ds_load_b64 v[40:41], v47
	s_wait_dscnt 0x0
	v_fma_f64 v[36:37], -v[38:39], v[40:41], v[36:37]
.LBB124_586:                            ;   in Loop: Header=BB124_3 Depth=1
	s_or_b32 exec_lo, exec_lo, s6
	s_barrier_signal -1
	s_barrier_wait -1
	s_and_saveexec_b32 s6, s37
	s_cbranch_execz .LBB124_588
; %bb.587:                              ;   in Loop: Header=BB124_3 Depth=1
	ds_load_b64 v[38:39], v5 offset:13520
	s_wait_dscnt 0x0
	v_mul_f64_e32 v[36:37], v[36:37], v[38:39]
	s_delay_alu instid0(VALU_DEP_1) | instskip(NEXT) | instid1(VALU_DEP_2)
	v_xor_b32_e32 v39, 0x80000000, v37
	v_mov_b32_e32 v38, v36
	ds_store_b64 v47, v[38:39]
.LBB124_588:                            ;   in Loop: Header=BB124_3 Depth=1
	s_or_b32 exec_lo, exec_lo, s6
	s_wait_dscnt 0x0
	s_barrier_signal -1
	s_barrier_wait -1
	s_and_saveexec_b32 s6, s38
	s_cbranch_execz .LBB124_590
; %bb.589:                              ;   in Loop: Header=BB124_3 Depth=1
	ds_load_b64 v[38:39], v49 offset:13504
	ds_load_b64 v[40:41], v47
	s_wait_dscnt 0x0
	v_fma_f64 v[36:37], -v[38:39], v[40:41], v[36:37]
.LBB124_590:                            ;   in Loop: Header=BB124_3 Depth=1
	s_or_b32 exec_lo, exec_lo, s6
	s_barrier_signal -1
	s_barrier_wait -1
	s_and_saveexec_b32 s6, s39
	s_cbranch_execz .LBB124_592
; %bb.591:                              ;   in Loop: Header=BB124_3 Depth=1
	ds_load_b64 v[38:39], v5 offset:13000
	s_wait_dscnt 0x0
	v_mul_f64_e32 v[36:37], v[36:37], v[38:39]
	s_delay_alu instid0(VALU_DEP_1) | instskip(NEXT) | instid1(VALU_DEP_2)
	v_xor_b32_e32 v39, 0x80000000, v37
	v_mov_b32_e32 v38, v36
	ds_store_b64 v47, v[38:39]
.LBB124_592:                            ;   in Loop: Header=BB124_3 Depth=1
	s_or_b32 exec_lo, exec_lo, s6
	s_wait_dscnt 0x0
	;; [unrolled: 26-line block ×3, first 2 shown]
	s_barrier_signal -1
	s_barrier_wait -1
	s_barrier_signal -1
	s_barrier_wait -1
	s_and_saveexec_b32 s6, s2
; %bb.597:                              ;   in Loop: Header=BB124_3 Depth=1
	ds_store_b64 v50, v[36:37] offset:16064
; %bb.598:                              ;   in Loop: Header=BB124_3 Depth=1
	s_or_b32 exec_lo, exec_lo, s6
	s_wait_dscnt 0x0
	s_barrier_signal -1
	s_barrier_wait -1
	s_barrier_signal -1
	s_barrier_wait -1
	s_and_saveexec_b32 s6, s14
	s_cbranch_execz .LBB124_600
; %bb.599:                              ;   in Loop: Header=BB124_3 Depth=1
	ds_load_b128 v[36:39], v5 offset:14032
	ds_load_b64 v[40:41], v5 offset:13520
	s_wait_dscnt 0x0
	v_mul_f64_e32 v[38:39], v[40:41], v[38:39]
	s_delay_alu instid0(VALU_DEP_1)
	v_mul_f64_e32 v[36:37], v[36:37], v[38:39]
	ds_store_b64 v5, v[36:37] offset:14032
.LBB124_600:                            ;   in Loop: Header=BB124_3 Depth=1
	s_or_b32 exec_lo, exec_lo, s6
	v_mov_b64_e32 v[36:37], 0
	s_wait_dscnt 0x0
	s_barrier_signal -1
	s_barrier_wait -1
	global_wb scope:SCOPE_DEV
	s_wait_storecnt 0x0
	global_inv scope:SCOPE_DEV
	s_and_saveexec_b32 s6, s1
	s_cbranch_execz .LBB124_604
; %bb.601:                              ;   in Loop: Header=BB124_3 Depth=1
	ds_load_b64 v[36:37], v44 offset:13504
	ds_load_b64 v[38:39], v43 offset:14032
	s_wait_dscnt 0x0
	v_fma_f64 v[36:37], v[36:37], v[38:39], 0
	s_and_saveexec_b32 s7, s15
	s_cbranch_execz .LBB124_603
; %bb.602:                              ;   in Loop: Header=BB124_3 Depth=1
	ds_load_b64 v[38:39], v45 offset:14016
	ds_load_b64 v[40:41], v5 offset:14040
	s_wait_dscnt 0x0
	v_fmac_f64_e32 v[36:37], v[38:39], v[40:41]
.LBB124_603:                            ;   in Loop: Header=BB124_3 Depth=1
	s_or_b32 exec_lo, exec_lo, s7
.LBB124_604:                            ;   in Loop: Header=BB124_3 Depth=1
	s_delay_alu instid0(SALU_CYCLE_1)
	s_or_b32 exec_lo, exec_lo, s6
	s_and_saveexec_b32 s6, s103
	s_cbranch_execz .LBB124_606
; %bb.605:                              ;   in Loop: Header=BB124_3 Depth=1
	ds_load_b64 v[38:39], v5 offset:13000
	s_wait_dscnt 0x0
	v_mul_f64_e32 v[36:37], v[36:37], v[38:39]
	s_delay_alu instid0(VALU_DEP_1) | instskip(NEXT) | instid1(VALU_DEP_2)
	v_xor_b32_e32 v39, 0x80000000, v37
	v_mov_b32_e32 v38, v36
	ds_store_b64 v3, v[38:39]
.LBB124_606:                            ;   in Loop: Header=BB124_3 Depth=1
	s_or_b32 exec_lo, exec_lo, s6
	s_wait_loadcnt_dscnt 0x0
	s_barrier_signal -1
	s_barrier_wait -1
	s_and_saveexec_b32 s6, s104
	s_cbranch_execz .LBB124_608
; %bb.607:                              ;   in Loop: Header=BB124_3 Depth=1
	ds_load_b64 v[38:39], v5 offset:12992
	ds_load_b64 v[40:41], v3
	s_wait_dscnt 0x0
	v_fma_f64 v[36:37], -v[38:39], v[40:41], v[36:37]
.LBB124_608:                            ;   in Loop: Header=BB124_3 Depth=1
	s_or_b32 exec_lo, exec_lo, s6
	s_barrier_signal -1
	s_barrier_wait -1
	s_and_saveexec_b32 s6, s104
	s_cbranch_execz .LBB124_610
; %bb.609:                              ;   in Loop: Header=BB124_3 Depth=1
	ds_load_b64 v[38:39], v5 offset:12480
	s_wait_dscnt 0x0
	v_mul_f64_e32 v[36:37], v[36:37], v[38:39]
	s_delay_alu instid0(VALU_DEP_1) | instskip(NEXT) | instid1(VALU_DEP_2)
	v_xor_b32_e32 v39, 0x80000000, v37
	v_mov_b32_e32 v38, v36
	ds_store_b64 v3, v[38:39]
.LBB124_610:                            ;   in Loop: Header=BB124_3 Depth=1
	s_or_b32 exec_lo, exec_lo, s6
	s_wait_dscnt 0x0
	s_barrier_signal -1
	s_barrier_wait -1
	s_barrier_signal -1
	s_barrier_wait -1
	s_and_saveexec_b32 s6, s1
; %bb.611:                              ;   in Loop: Header=BB124_3 Depth=1
	ds_store_b64 v46, v[36:37] offset:14016
; %bb.612:                              ;   in Loop: Header=BB124_3 Depth=1
	s_or_b32 exec_lo, exec_lo, s6
	s_wait_dscnt 0x0
	s_barrier_signal -1
	s_barrier_wait -1
	s_barrier_signal -1
	s_barrier_wait -1
	s_and_saveexec_b32 s6, s14
	s_cbranch_execz .LBB124_614
; %bb.613:                              ;   in Loop: Header=BB124_3 Depth=1
	ds_load_b128 v[36:39], v5 offset:12992
	ds_load_b64 v[40:41], v5 offset:12480
	s_wait_dscnt 0x0
	v_mul_f64_e32 v[38:39], v[40:41], v[38:39]
	s_delay_alu instid0(VALU_DEP_1)
	v_mul_f64_e32 v[36:37], v[36:37], v[38:39]
	ds_store_b64 v5, v[36:37] offset:12992
.LBB124_614:                            ;   in Loop: Header=BB124_3 Depth=1
	s_or_b32 exec_lo, exec_lo, s6
	v_mov_b64_e32 v[36:37], 0
	s_wait_dscnt 0x0
	s_barrier_signal -1
	s_barrier_wait -1
	global_wb scope:SCOPE_DEV
	s_wait_storecnt 0x0
	global_inv scope:SCOPE_DEV
	s_and_saveexec_b32 s10, s3
	s_cbranch_execz .LBB124_624
; %bb.615:                              ;   in Loop: Header=BB124_3 Depth=1
	ds_load_b64 v[36:37], v53 offset:12416
	ds_load_b64 v[38:39], v52 offset:16064
	s_wait_dscnt 0x0
	v_fma_f64 v[36:37], v[36:37], v[38:39], 0
	s_and_saveexec_b32 s6, s18
	s_cbranch_execnz .LBB124_1065
; %bb.616:                              ;   in Loop: Header=BB124_3 Depth=1
	s_or_b32 exec_lo, exec_lo, s6
	s_and_saveexec_b32 s6, s19
	s_cbranch_execnz .LBB124_1066
.LBB124_617:                            ;   in Loop: Header=BB124_3 Depth=1
	s_or_b32 exec_lo, exec_lo, s6
	s_and_saveexec_b32 s6, s20
	s_cbranch_execnz .LBB124_1067
.LBB124_618:                            ;   in Loop: Header=BB124_3 Depth=1
	s_or_b32 exec_lo, exec_lo, s6
	s_and_saveexec_b32 s6, s21
	s_cbranch_execnz .LBB124_1068
.LBB124_619:                            ;   in Loop: Header=BB124_3 Depth=1
	s_or_b32 exec_lo, exec_lo, s6
	s_and_saveexec_b32 s6, s22
	s_cbranch_execnz .LBB124_1069
.LBB124_620:                            ;   in Loop: Header=BB124_3 Depth=1
	s_or_b32 exec_lo, exec_lo, s6
	s_and_saveexec_b32 s6, s2
	s_cbranch_execnz .LBB124_1070
.LBB124_621:                            ;   in Loop: Header=BB124_3 Depth=1
	s_or_b32 exec_lo, exec_lo, s6
	s_and_saveexec_b32 s6, s17
	s_cbranch_execz .LBB124_623
.LBB124_622:                            ;   in Loop: Header=BB124_3 Depth=1
	ds_load_b64 v[38:39], v45 offset:16000
	ds_load_b64 v[40:41], v5 offset:16120
	s_wait_dscnt 0x0
	v_fmac_f64_e32 v[36:37], v[38:39], v[40:41]
.LBB124_623:                            ;   in Loop: Header=BB124_3 Depth=1
	s_or_b32 exec_lo, exec_lo, s6
.LBB124_624:                            ;   in Loop: Header=BB124_3 Depth=1
	s_delay_alu instid0(SALU_CYCLE_1)
	s_or_b32 exec_lo, exec_lo, s10
	s_and_saveexec_b32 s6, s41
	s_cbranch_execz .LBB124_626
; %bb.625:                              ;   in Loop: Header=BB124_3 Depth=1
	ds_load_b64 v[38:39], v5 offset:11960
	s_wait_dscnt 0x0
	v_mul_f64_e32 v[36:37], v[36:37], v[38:39]
	s_delay_alu instid0(VALU_DEP_1) | instskip(NEXT) | instid1(VALU_DEP_2)
	v_xor_b32_e32 v39, 0x80000000, v37
	v_mov_b32_e32 v38, v36
	ds_store_b64 v51, v[38:39]
.LBB124_626:                            ;   in Loop: Header=BB124_3 Depth=1
	s_or_b32 exec_lo, exec_lo, s6
	s_wait_loadcnt_dscnt 0x0
	s_barrier_signal -1
	s_barrier_wait -1
	s_and_saveexec_b32 s6, s42
	s_cbranch_execz .LBB124_628
; %bb.627:                              ;   in Loop: Header=BB124_3 Depth=1
	ds_load_b64 v[38:39], v53 offset:11904
	ds_load_b64 v[40:41], v51
	s_wait_dscnt 0x0
	v_fma_f64 v[36:37], -v[38:39], v[40:41], v[36:37]
.LBB124_628:                            ;   in Loop: Header=BB124_3 Depth=1
	s_or_b32 exec_lo, exec_lo, s6
	s_barrier_signal -1
	s_barrier_wait -1
	s_and_saveexec_b32 s6, s43
	s_cbranch_execz .LBB124_630
; %bb.629:                              ;   in Loop: Header=BB124_3 Depth=1
	ds_load_b64 v[38:39], v5 offset:11440
	s_wait_dscnt 0x0
	v_mul_f64_e32 v[36:37], v[36:37], v[38:39]
	s_delay_alu instid0(VALU_DEP_1) | instskip(NEXT) | instid1(VALU_DEP_2)
	v_xor_b32_e32 v39, 0x80000000, v37
	v_mov_b32_e32 v38, v36
	ds_store_b64 v51, v[38:39]
.LBB124_630:                            ;   in Loop: Header=BB124_3 Depth=1
	s_or_b32 exec_lo, exec_lo, s6
	s_wait_dscnt 0x0
	s_barrier_signal -1
	s_barrier_wait -1
	s_and_saveexec_b32 s6, s44
	s_cbranch_execz .LBB124_632
; %bb.631:                              ;   in Loop: Header=BB124_3 Depth=1
	ds_load_b64 v[38:39], v53 offset:11392
	ds_load_b64 v[40:41], v51
	s_wait_dscnt 0x0
	v_fma_f64 v[36:37], -v[38:39], v[40:41], v[36:37]
.LBB124_632:                            ;   in Loop: Header=BB124_3 Depth=1
	s_or_b32 exec_lo, exec_lo, s6
	s_barrier_signal -1
	s_barrier_wait -1
	s_and_saveexec_b32 s6, s45
	s_cbranch_execz .LBB124_634
; %bb.633:                              ;   in Loop: Header=BB124_3 Depth=1
	ds_load_b64 v[38:39], v5 offset:10920
	s_wait_dscnt 0x0
	v_mul_f64_e32 v[36:37], v[36:37], v[38:39]
	s_delay_alu instid0(VALU_DEP_1) | instskip(NEXT) | instid1(VALU_DEP_2)
	v_xor_b32_e32 v39, 0x80000000, v37
	v_mov_b32_e32 v38, v36
	ds_store_b64 v51, v[38:39]
.LBB124_634:                            ;   in Loop: Header=BB124_3 Depth=1
	s_or_b32 exec_lo, exec_lo, s6
	s_wait_dscnt 0x0
	;; [unrolled: 26-line block ×7, first 2 shown]
	s_barrier_signal -1
	s_barrier_wait -1
	s_barrier_signal -1
	s_barrier_wait -1
	s_and_saveexec_b32 s6, s3
; %bb.655:                              ;   in Loop: Header=BB124_3 Depth=1
	ds_store_b64 v54, v[36:37] offset:16000
; %bb.656:                              ;   in Loop: Header=BB124_3 Depth=1
	s_or_b32 exec_lo, exec_lo, s6
	s_wait_dscnt 0x0
	s_barrier_signal -1
	s_barrier_wait -1
	s_barrier_signal -1
	s_barrier_wait -1
	s_and_saveexec_b32 s6, s14
	s_cbranch_execz .LBB124_658
; %bb.657:                              ;   in Loop: Header=BB124_3 Depth=1
	ds_load_b128 v[36:39], v5 offset:11952
	ds_load_b64 v[40:41], v5 offset:11440
	s_wait_dscnt 0x0
	v_mul_f64_e32 v[38:39], v[40:41], v[38:39]
	s_delay_alu instid0(VALU_DEP_1)
	v_mul_f64_e32 v[36:37], v[36:37], v[38:39]
	ds_store_b64 v5, v[36:37] offset:11952
.LBB124_658:                            ;   in Loop: Header=BB124_3 Depth=1
	s_or_b32 exec_lo, exec_lo, s6
	v_mov_b64_e32 v[36:37], 0
	s_wait_dscnt 0x0
	s_barrier_signal -1
	s_barrier_wait -1
	global_wb scope:SCOPE_DEV
	s_wait_storecnt 0x0
	global_inv scope:SCOPE_DEV
	s_and_saveexec_b32 s6, s1
	s_cbranch_execz .LBB124_662
; %bb.659:                              ;   in Loop: Header=BB124_3 Depth=1
	ds_load_b64 v[36:37], v44 offset:11424
	ds_load_b64 v[38:39], v43 offset:11952
	s_wait_dscnt 0x0
	v_fma_f64 v[36:37], v[36:37], v[38:39], 0
	s_and_saveexec_b32 s7, s15
	s_cbranch_execz .LBB124_661
; %bb.660:                              ;   in Loop: Header=BB124_3 Depth=1
	ds_load_b64 v[38:39], v45 offset:11936
	ds_load_b64 v[40:41], v5 offset:11960
	s_wait_dscnt 0x0
	v_fmac_f64_e32 v[36:37], v[38:39], v[40:41]
.LBB124_661:                            ;   in Loop: Header=BB124_3 Depth=1
	s_or_b32 exec_lo, exec_lo, s7
.LBB124_662:                            ;   in Loop: Header=BB124_3 Depth=1
	s_delay_alu instid0(SALU_CYCLE_1)
	s_or_b32 exec_lo, exec_lo, s6
	s_and_saveexec_b32 s6, s103
	s_cbranch_execz .LBB124_664
; %bb.663:                              ;   in Loop: Header=BB124_3 Depth=1
	ds_load_b64 v[38:39], v5 offset:10920
	s_wait_dscnt 0x0
	v_mul_f64_e32 v[36:37], v[36:37], v[38:39]
	s_delay_alu instid0(VALU_DEP_1) | instskip(NEXT) | instid1(VALU_DEP_2)
	v_xor_b32_e32 v39, 0x80000000, v37
	v_mov_b32_e32 v38, v36
	ds_store_b64 v3, v[38:39]
.LBB124_664:                            ;   in Loop: Header=BB124_3 Depth=1
	s_or_b32 exec_lo, exec_lo, s6
	s_wait_loadcnt_dscnt 0x0
	s_barrier_signal -1
	s_barrier_wait -1
	s_and_saveexec_b32 s6, s104
	s_cbranch_execz .LBB124_666
; %bb.665:                              ;   in Loop: Header=BB124_3 Depth=1
	ds_load_b64 v[38:39], v5 offset:10912
	ds_load_b64 v[40:41], v3
	s_wait_dscnt 0x0
	v_fma_f64 v[36:37], -v[38:39], v[40:41], v[36:37]
.LBB124_666:                            ;   in Loop: Header=BB124_3 Depth=1
	s_or_b32 exec_lo, exec_lo, s6
	s_barrier_signal -1
	s_barrier_wait -1
	s_and_saveexec_b32 s6, s104
	s_cbranch_execz .LBB124_668
; %bb.667:                              ;   in Loop: Header=BB124_3 Depth=1
	ds_load_b64 v[38:39], v5 offset:10400
	s_wait_dscnt 0x0
	v_mul_f64_e32 v[36:37], v[36:37], v[38:39]
	s_delay_alu instid0(VALU_DEP_1) | instskip(NEXT) | instid1(VALU_DEP_2)
	v_xor_b32_e32 v39, 0x80000000, v37
	v_mov_b32_e32 v38, v36
	ds_store_b64 v3, v[38:39]
.LBB124_668:                            ;   in Loop: Header=BB124_3 Depth=1
	s_or_b32 exec_lo, exec_lo, s6
	s_wait_dscnt 0x0
	s_barrier_signal -1
	s_barrier_wait -1
	s_barrier_signal -1
	s_barrier_wait -1
	s_and_saveexec_b32 s6, s1
; %bb.669:                              ;   in Loop: Header=BB124_3 Depth=1
	ds_store_b64 v46, v[36:37] offset:11936
; %bb.670:                              ;   in Loop: Header=BB124_3 Depth=1
	s_or_b32 exec_lo, exec_lo, s6
	s_wait_dscnt 0x0
	s_barrier_signal -1
	s_barrier_wait -1
	s_barrier_signal -1
	s_barrier_wait -1
	s_and_saveexec_b32 s6, s14
	s_cbranch_execz .LBB124_672
; %bb.671:                              ;   in Loop: Header=BB124_3 Depth=1
	ds_load_b128 v[36:39], v5 offset:10912
	ds_load_b64 v[40:41], v5 offset:10400
	s_wait_dscnt 0x0
	v_mul_f64_e32 v[38:39], v[40:41], v[38:39]
	s_delay_alu instid0(VALU_DEP_1)
	v_mul_f64_e32 v[36:37], v[36:37], v[38:39]
	ds_store_b64 v5, v[36:37] offset:10912
.LBB124_672:                            ;   in Loop: Header=BB124_3 Depth=1
	s_or_b32 exec_lo, exec_lo, s6
	v_mov_b64_e32 v[36:37], 0
	s_wait_dscnt 0x0
	s_barrier_signal -1
	s_barrier_wait -1
	global_wb scope:SCOPE_DEV
	s_wait_storecnt 0x0
	global_inv scope:SCOPE_DEV
	s_and_saveexec_b32 s10, s2
	s_cbranch_execz .LBB124_678
; %bb.673:                              ;   in Loop: Header=BB124_3 Depth=1
	ds_load_b64 v[36:37], v49 offset:10368
	ds_load_b64 v[38:39], v48 offset:11936
	s_wait_dscnt 0x0
	v_fma_f64 v[36:37], v[36:37], v[38:39], 0
	s_and_saveexec_b32 s6, s16
	s_cbranch_execnz .LBB124_1071
; %bb.674:                              ;   in Loop: Header=BB124_3 Depth=1
	s_or_b32 exec_lo, exec_lo, s6
	s_and_saveexec_b32 s6, s17
	s_cbranch_execnz .LBB124_1072
.LBB124_675:                            ;   in Loop: Header=BB124_3 Depth=1
	s_or_b32 exec_lo, exec_lo, s6
	s_and_saveexec_b32 s6, s1
	s_cbranch_execz .LBB124_677
.LBB124_676:                            ;   in Loop: Header=BB124_3 Depth=1
	ds_load_b64 v[38:39], v45 offset:11904
	ds_load_b64 v[40:41], v5 offset:11960
	s_wait_dscnt 0x0
	v_fmac_f64_e32 v[36:37], v[38:39], v[40:41]
.LBB124_677:                            ;   in Loop: Header=BB124_3 Depth=1
	s_or_b32 exec_lo, exec_lo, s6
.LBB124_678:                            ;   in Loop: Header=BB124_3 Depth=1
	s_delay_alu instid0(SALU_CYCLE_1)
	s_or_b32 exec_lo, exec_lo, s10
	s_and_saveexec_b32 s6, vcc_hi
	s_cbranch_execz .LBB124_680
; %bb.679:                              ;   in Loop: Header=BB124_3 Depth=1
	ds_load_b64 v[38:39], v5 offset:9880
	s_wait_dscnt 0x0
	v_mul_f64_e32 v[36:37], v[36:37], v[38:39]
	s_delay_alu instid0(VALU_DEP_1) | instskip(NEXT) | instid1(VALU_DEP_2)
	v_xor_b32_e32 v39, 0x80000000, v37
	v_mov_b32_e32 v38, v36
	ds_store_b64 v47, v[38:39]
.LBB124_680:                            ;   in Loop: Header=BB124_3 Depth=1
	s_or_b32 exec_lo, exec_lo, s6
	s_wait_loadcnt_dscnt 0x0
	s_barrier_signal -1
	s_barrier_wait -1
	s_and_saveexec_b32 s6, s36
	s_cbranch_execz .LBB124_682
; %bb.681:                              ;   in Loop: Header=BB124_3 Depth=1
	ds_load_b64 v[38:39], v49 offset:9856
	ds_load_b64 v[40:41], v47
	s_wait_dscnt 0x0
	v_fma_f64 v[36:37], -v[38:39], v[40:41], v[36:37]
.LBB124_682:                            ;   in Loop: Header=BB124_3 Depth=1
	s_or_b32 exec_lo, exec_lo, s6
	s_barrier_signal -1
	s_barrier_wait -1
	s_and_saveexec_b32 s6, s37
	s_cbranch_execz .LBB124_684
; %bb.683:                              ;   in Loop: Header=BB124_3 Depth=1
	ds_load_b64 v[38:39], v5 offset:9360
	s_wait_dscnt 0x0
	v_mul_f64_e32 v[36:37], v[36:37], v[38:39]
	s_delay_alu instid0(VALU_DEP_1) | instskip(NEXT) | instid1(VALU_DEP_2)
	v_xor_b32_e32 v39, 0x80000000, v37
	v_mov_b32_e32 v38, v36
	ds_store_b64 v47, v[38:39]
.LBB124_684:                            ;   in Loop: Header=BB124_3 Depth=1
	s_or_b32 exec_lo, exec_lo, s6
	s_wait_dscnt 0x0
	s_barrier_signal -1
	s_barrier_wait -1
	s_and_saveexec_b32 s6, s38
	s_cbranch_execz .LBB124_686
; %bb.685:                              ;   in Loop: Header=BB124_3 Depth=1
	ds_load_b64 v[38:39], v49 offset:9344
	ds_load_b64 v[40:41], v47
	s_wait_dscnt 0x0
	v_fma_f64 v[36:37], -v[38:39], v[40:41], v[36:37]
.LBB124_686:                            ;   in Loop: Header=BB124_3 Depth=1
	s_or_b32 exec_lo, exec_lo, s6
	s_barrier_signal -1
	s_barrier_wait -1
	s_and_saveexec_b32 s6, s39
	s_cbranch_execz .LBB124_688
; %bb.687:                              ;   in Loop: Header=BB124_3 Depth=1
	ds_load_b64 v[38:39], v5 offset:8840
	s_wait_dscnt 0x0
	v_mul_f64_e32 v[36:37], v[36:37], v[38:39]
	s_delay_alu instid0(VALU_DEP_1) | instskip(NEXT) | instid1(VALU_DEP_2)
	v_xor_b32_e32 v39, 0x80000000, v37
	v_mov_b32_e32 v38, v36
	ds_store_b64 v47, v[38:39]
.LBB124_688:                            ;   in Loop: Header=BB124_3 Depth=1
	s_or_b32 exec_lo, exec_lo, s6
	s_wait_dscnt 0x0
	;; [unrolled: 26-line block ×3, first 2 shown]
	s_barrier_signal -1
	s_barrier_wait -1
	s_barrier_signal -1
	s_barrier_wait -1
	s_and_saveexec_b32 s6, s2
; %bb.693:                              ;   in Loop: Header=BB124_3 Depth=1
	ds_store_b64 v50, v[36:37] offset:11904
; %bb.694:                              ;   in Loop: Header=BB124_3 Depth=1
	s_or_b32 exec_lo, exec_lo, s6
	s_wait_dscnt 0x0
	s_barrier_signal -1
	s_barrier_wait -1
	s_barrier_signal -1
	s_barrier_wait -1
	s_and_saveexec_b32 s6, s14
	s_cbranch_execz .LBB124_696
; %bb.695:                              ;   in Loop: Header=BB124_3 Depth=1
	ds_load_b128 v[36:39], v5 offset:9872
	ds_load_b64 v[40:41], v5 offset:9360
	s_wait_dscnt 0x0
	v_mul_f64_e32 v[38:39], v[40:41], v[38:39]
	s_delay_alu instid0(VALU_DEP_1)
	v_mul_f64_e32 v[36:37], v[36:37], v[38:39]
	ds_store_b64 v5, v[36:37] offset:9872
.LBB124_696:                            ;   in Loop: Header=BB124_3 Depth=1
	s_or_b32 exec_lo, exec_lo, s6
	v_mov_b64_e32 v[36:37], 0
	s_wait_dscnt 0x0
	s_barrier_signal -1
	s_barrier_wait -1
	global_wb scope:SCOPE_DEV
	s_wait_storecnt 0x0
	global_inv scope:SCOPE_DEV
	s_and_saveexec_b32 s6, s1
	s_cbranch_execz .LBB124_700
; %bb.697:                              ;   in Loop: Header=BB124_3 Depth=1
	ds_load_b64 v[36:37], v44 offset:9344
	ds_load_b64 v[38:39], v43 offset:9872
	s_wait_dscnt 0x0
	v_fma_f64 v[36:37], v[36:37], v[38:39], 0
	s_and_saveexec_b32 s7, s15
	s_cbranch_execz .LBB124_699
; %bb.698:                              ;   in Loop: Header=BB124_3 Depth=1
	ds_load_b64 v[38:39], v45 offset:9856
	ds_load_b64 v[40:41], v5 offset:9880
	s_wait_dscnt 0x0
	v_fmac_f64_e32 v[36:37], v[38:39], v[40:41]
.LBB124_699:                            ;   in Loop: Header=BB124_3 Depth=1
	s_or_b32 exec_lo, exec_lo, s7
.LBB124_700:                            ;   in Loop: Header=BB124_3 Depth=1
	s_delay_alu instid0(SALU_CYCLE_1)
	s_or_b32 exec_lo, exec_lo, s6
	s_and_saveexec_b32 s6, s103
	s_cbranch_execz .LBB124_702
; %bb.701:                              ;   in Loop: Header=BB124_3 Depth=1
	ds_load_b64 v[38:39], v5 offset:8840
	s_wait_dscnt 0x0
	v_mul_f64_e32 v[36:37], v[36:37], v[38:39]
	s_delay_alu instid0(VALU_DEP_1) | instskip(NEXT) | instid1(VALU_DEP_2)
	v_xor_b32_e32 v39, 0x80000000, v37
	v_mov_b32_e32 v38, v36
	ds_store_b64 v3, v[38:39]
.LBB124_702:                            ;   in Loop: Header=BB124_3 Depth=1
	s_or_b32 exec_lo, exec_lo, s6
	s_wait_loadcnt_dscnt 0x0
	s_barrier_signal -1
	s_barrier_wait -1
	s_and_saveexec_b32 s6, s104
	s_cbranch_execz .LBB124_704
; %bb.703:                              ;   in Loop: Header=BB124_3 Depth=1
	ds_load_b64 v[38:39], v5 offset:8832
	ds_load_b64 v[40:41], v3
	s_wait_dscnt 0x0
	v_fma_f64 v[36:37], -v[38:39], v[40:41], v[36:37]
.LBB124_704:                            ;   in Loop: Header=BB124_3 Depth=1
	s_or_b32 exec_lo, exec_lo, s6
	s_barrier_signal -1
	s_barrier_wait -1
	s_and_saveexec_b32 s6, s104
	s_cbranch_execz .LBB124_706
; %bb.705:                              ;   in Loop: Header=BB124_3 Depth=1
	ds_load_b64 v[38:39], v5 offset:8320
	s_wait_dscnt 0x0
	v_mul_f64_e32 v[36:37], v[36:37], v[38:39]
	s_delay_alu instid0(VALU_DEP_1) | instskip(NEXT) | instid1(VALU_DEP_2)
	v_xor_b32_e32 v39, 0x80000000, v37
	v_mov_b32_e32 v38, v36
	ds_store_b64 v3, v[38:39]
.LBB124_706:                            ;   in Loop: Header=BB124_3 Depth=1
	s_or_b32 exec_lo, exec_lo, s6
	s_wait_dscnt 0x0
	s_barrier_signal -1
	s_barrier_wait -1
	s_barrier_signal -1
	s_barrier_wait -1
	s_and_saveexec_b32 s6, s1
; %bb.707:                              ;   in Loop: Header=BB124_3 Depth=1
	ds_store_b64 v46, v[36:37] offset:9856
; %bb.708:                              ;   in Loop: Header=BB124_3 Depth=1
	s_or_b32 exec_lo, exec_lo, s6
	s_wait_dscnt 0x0
	s_barrier_signal -1
	s_barrier_wait -1
	s_barrier_signal -1
	s_barrier_wait -1
	s_and_saveexec_b32 s6, s14
	s_cbranch_execz .LBB124_710
; %bb.709:                              ;   in Loop: Header=BB124_3 Depth=1
	ds_load_b128 v[36:39], v5 offset:8832
	ds_load_b64 v[40:41], v5 offset:8320
	s_wait_dscnt 0x0
	v_mul_f64_e32 v[38:39], v[40:41], v[38:39]
	s_delay_alu instid0(VALU_DEP_1)
	v_mul_f64_e32 v[36:37], v[36:37], v[38:39]
	ds_store_b64 v5, v[36:37] offset:8832
.LBB124_710:                            ;   in Loop: Header=BB124_3 Depth=1
	s_or_b32 exec_lo, exec_lo, s6
	v_mov_b64_e32 v[36:37], 0
	s_wait_dscnt 0x0
	s_barrier_signal -1
	s_barrier_wait -1
	global_wb scope:SCOPE_DEV
	s_wait_storecnt 0x0
	global_inv scope:SCOPE_DEV
	s_and_saveexec_b32 s10, s4
	s_cbranch_execz .LBB124_738
; %bb.711:                              ;   in Loop: Header=BB124_3 Depth=1
	ds_load_b64 v[36:37], v57 offset:8192
	ds_load_b64 v[38:39], v56 offset:16000
	s_wait_dscnt 0x0
	v_fma_f64 v[36:37], v[36:37], v[38:39], 0
	s_mov_b32 s6, exec_lo
	v_readlane_b32 s7, v86, 30
	s_and_b32 s7, s6, s7
	s_delay_alu instid0(SALU_CYCLE_1)
	s_mov_b32 exec_lo, s7
	s_cbranch_execz .LBB124_713
; %bb.712:                              ;   in Loop: Header=BB124_3 Depth=1
	ds_load_b64 v[38:39], v57 offset:8704
	ds_load_b64 v[40:41], v56 offset:16008
	s_wait_dscnt 0x0
	v_fmac_f64_e32 v[36:37], v[38:39], v[40:41]
.LBB124_713:                            ;   in Loop: Header=BB124_3 Depth=1
	s_or_b32 exec_lo, exec_lo, s6
	s_delay_alu instid0(SALU_CYCLE_1) | instskip(SKIP_2) | instid1(SALU_CYCLE_1)
	s_mov_b32 s6, exec_lo
	v_readlane_b32 s7, v86, 31
	s_and_b32 s7, s6, s7
	s_mov_b32 exec_lo, s7
	s_cbranch_execz .LBB124_715
; %bb.714:                              ;   in Loop: Header=BB124_3 Depth=1
	ds_load_b64 v[38:39], v57 offset:9216
	ds_load_b64 v[40:41], v56 offset:16016
	s_wait_dscnt 0x0
	v_fmac_f64_e32 v[36:37], v[38:39], v[40:41]
.LBB124_715:                            ;   in Loop: Header=BB124_3 Depth=1
	s_or_b32 exec_lo, exec_lo, s6
	s_delay_alu instid0(SALU_CYCLE_1) | instskip(SKIP_2) | instid1(SALU_CYCLE_1)
	s_mov_b32 s6, exec_lo
	v_readlane_b32 s7, v85, 0
	s_and_b32 s7, s6, s7
	;; [unrolled: 13-line block ×10, first 2 shown]
	s_mov_b32 exec_lo, s7
	s_cbranch_execnz .LBB124_1073
; %bb.732:                              ;   in Loop: Header=BB124_3 Depth=1
	s_or_b32 exec_lo, exec_lo, s6
	s_and_saveexec_b32 s6, s3
	s_cbranch_execnz .LBB124_1074
.LBB124_733:                            ;   in Loop: Header=BB124_3 Depth=1
	s_or_b32 exec_lo, exec_lo, s6
	s_and_saveexec_b32 s6, s19
	s_cbranch_execnz .LBB124_1075
.LBB124_734:                            ;   in Loop: Header=BB124_3 Depth=1
	s_or_b32 exec_lo, exec_lo, s6
	s_and_saveexec_b32 s6, s21
	s_cbranch_execnz .LBB124_1076
.LBB124_735:                            ;   in Loop: Header=BB124_3 Depth=1
	s_or_b32 exec_lo, exec_lo, s6
	s_and_saveexec_b32 s6, s2
	s_cbranch_execz .LBB124_737
.LBB124_736:                            ;   in Loop: Header=BB124_3 Depth=1
	ds_load_b64 v[38:39], v45 offset:15872
	ds_load_b64 v[40:41], v5 offset:16120
	s_wait_dscnt 0x0
	v_fmac_f64_e32 v[36:37], v[38:39], v[40:41]
.LBB124_737:                            ;   in Loop: Header=BB124_3 Depth=1
	s_or_b32 exec_lo, exec_lo, s6
.LBB124_738:                            ;   in Loop: Header=BB124_3 Depth=1
	s_delay_alu instid0(SALU_CYCLE_1) | instskip(NEXT) | instid1(SALU_CYCLE_1)
	s_or_b32 exec_lo, exec_lo, s10
	s_mov_b32 s6, exec_lo
	v_readlane_b32 s7, v86, 1
	s_and_b32 s7, s6, s7
	s_delay_alu instid0(SALU_CYCLE_1)
	s_mov_b32 exec_lo, s7
	s_cbranch_execz .LBB124_740
; %bb.739:                              ;   in Loop: Header=BB124_3 Depth=1
	ds_load_b64 v[38:39], v5 offset:7800
	s_wait_dscnt 0x0
	v_mul_f64_e32 v[36:37], v[36:37], v[38:39]
	s_delay_alu instid0(VALU_DEP_1) | instskip(NEXT) | instid1(VALU_DEP_2)
	v_xor_b32_e32 v39, 0x80000000, v37
	v_mov_b32_e32 v38, v36
	ds_store_b64 v55, v[38:39]
.LBB124_740:                            ;   in Loop: Header=BB124_3 Depth=1
	s_or_b32 exec_lo, exec_lo, s6
	s_wait_loadcnt_dscnt 0x0
	s_barrier_signal -1
	s_barrier_wait -1
	s_mov_b32 s6, exec_lo
	v_readlane_b32 s7, v86, 2
	s_and_b32 s7, s6, s7
	s_delay_alu instid0(SALU_CYCLE_1)
	s_mov_b32 exec_lo, s7
	s_cbranch_execz .LBB124_742
; %bb.741:                              ;   in Loop: Header=BB124_3 Depth=1
	ds_load_b64 v[38:39], v57 offset:7680
	ds_load_b64 v[40:41], v55
	s_wait_dscnt 0x0
	v_fma_f64 v[36:37], -v[38:39], v[40:41], v[36:37]
.LBB124_742:                            ;   in Loop: Header=BB124_3 Depth=1
	s_or_b32 exec_lo, exec_lo, s6
	s_barrier_signal -1
	s_barrier_wait -1
	s_mov_b32 s6, exec_lo
	v_readlane_b32 s7, v86, 3
	s_and_b32 s7, s6, s7
	s_delay_alu instid0(SALU_CYCLE_1)
	s_mov_b32 exec_lo, s7
	s_cbranch_execz .LBB124_744
; %bb.743:                              ;   in Loop: Header=BB124_3 Depth=1
	ds_load_b64 v[38:39], v5 offset:7280
	s_wait_dscnt 0x0
	v_mul_f64_e32 v[36:37], v[36:37], v[38:39]
	s_delay_alu instid0(VALU_DEP_1) | instskip(NEXT) | instid1(VALU_DEP_2)
	v_xor_b32_e32 v39, 0x80000000, v37
	v_mov_b32_e32 v38, v36
	ds_store_b64 v55, v[38:39]
.LBB124_744:                            ;   in Loop: Header=BB124_3 Depth=1
	s_or_b32 exec_lo, exec_lo, s6
	s_wait_dscnt 0x0
	s_barrier_signal -1
	s_barrier_wait -1
	s_mov_b32 s6, exec_lo
	v_readlane_b32 s7, v86, 4
	s_and_b32 s7, s6, s7
	s_delay_alu instid0(SALU_CYCLE_1)
	s_mov_b32 exec_lo, s7
	s_cbranch_execz .LBB124_746
; %bb.745:                              ;   in Loop: Header=BB124_3 Depth=1
	ds_load_b64 v[38:39], v57 offset:7168
	ds_load_b64 v[40:41], v55
	s_wait_dscnt 0x0
	v_fma_f64 v[36:37], -v[38:39], v[40:41], v[36:37]
.LBB124_746:                            ;   in Loop: Header=BB124_3 Depth=1
	s_or_b32 exec_lo, exec_lo, s6
	s_barrier_signal -1
	s_barrier_wait -1
	s_mov_b32 s6, exec_lo
	v_readlane_b32 s7, v86, 5
	s_and_b32 s7, s6, s7
	s_delay_alu instid0(SALU_CYCLE_1)
	s_mov_b32 exec_lo, s7
	s_cbranch_execz .LBB124_748
; %bb.747:                              ;   in Loop: Header=BB124_3 Depth=1
	ds_load_b64 v[38:39], v5 offset:6760
	s_wait_dscnt 0x0
	v_mul_f64_e32 v[36:37], v[36:37], v[38:39]
	s_delay_alu instid0(VALU_DEP_1) | instskip(NEXT) | instid1(VALU_DEP_2)
	v_xor_b32_e32 v39, 0x80000000, v37
	v_mov_b32_e32 v38, v36
	ds_store_b64 v55, v[38:39]
.LBB124_748:                            ;   in Loop: Header=BB124_3 Depth=1
	s_or_b32 exec_lo, exec_lo, s6
	s_wait_dscnt 0x0
	;; [unrolled: 34-line block ×3, first 2 shown]
	s_barrier_signal -1
	s_barrier_wait -1
	s_mov_b32 s6, exec_lo
	v_readlane_b32 s7, v86, 8
	s_and_b32 s7, s6, s7
	s_delay_alu instid0(SALU_CYCLE_1)
	s_mov_b32 exec_lo, s7
	s_cbranch_execz .LBB124_754
; %bb.753:                              ;   in Loop: Header=BB124_3 Depth=1
	ds_load_b64 v[38:39], v57 offset:6144
	ds_load_b64 v[40:41], v55
	s_wait_dscnt 0x0
	v_fma_f64 v[36:37], -v[38:39], v[40:41], v[36:37]
.LBB124_754:                            ;   in Loop: Header=BB124_3 Depth=1
	s_or_b32 exec_lo, exec_lo, s6
	s_barrier_signal -1
	s_barrier_wait -1
	s_and_saveexec_b32 s6, s12
	s_cbranch_execz .LBB124_756
; %bb.755:                              ;   in Loop: Header=BB124_3 Depth=1
	ds_load_b64 v[38:39], v5 offset:5720
	s_wait_dscnt 0x0
	v_mul_f64_e32 v[36:37], v[36:37], v[38:39]
	s_delay_alu instid0(VALU_DEP_1) | instskip(NEXT) | instid1(VALU_DEP_2)
	v_xor_b32_e32 v39, 0x80000000, v37
	v_mov_b32_e32 v38, v36
	ds_store_b64 v55, v[38:39]
.LBB124_756:                            ;   in Loop: Header=BB124_3 Depth=1
	s_or_b32 exec_lo, exec_lo, s6
	s_wait_dscnt 0x0
	s_barrier_signal -1
	s_barrier_wait -1
	s_and_saveexec_b32 s6, s13
	s_cbranch_execz .LBB124_758
; %bb.757:                              ;   in Loop: Header=BB124_3 Depth=1
	ds_load_b64 v[38:39], v57 offset:5632
	ds_load_b64 v[40:41], v55
	s_wait_dscnt 0x0
	v_fma_f64 v[36:37], -v[38:39], v[40:41], v[36:37]
.LBB124_758:                            ;   in Loop: Header=BB124_3 Depth=1
	s_or_b32 exec_lo, exec_lo, s6
	s_barrier_signal -1
	s_barrier_wait -1
	s_and_saveexec_b32 s6, s23
	s_cbranch_execz .LBB124_760
; %bb.759:                              ;   in Loop: Header=BB124_3 Depth=1
	ds_load_b64 v[38:39], v5 offset:5200
	s_wait_dscnt 0x0
	v_mul_f64_e32 v[36:37], v[36:37], v[38:39]
	s_delay_alu instid0(VALU_DEP_1) | instskip(NEXT) | instid1(VALU_DEP_2)
	v_xor_b32_e32 v39, 0x80000000, v37
	v_mov_b32_e32 v38, v36
	ds_store_b64 v55, v[38:39]
.LBB124_760:                            ;   in Loop: Header=BB124_3 Depth=1
	s_or_b32 exec_lo, exec_lo, s6
	s_wait_dscnt 0x0
	s_barrier_signal -1
	s_barrier_wait -1
	s_and_saveexec_b32 s6, s25
	;; [unrolled: 26-line block ×11, first 2 shown]
	s_cbranch_execz .LBB124_798
; %bb.797:                              ;   in Loop: Header=BB124_3 Depth=1
	ds_load_b64 v[38:39], v5 offset:512
	ds_load_b64 v[40:41], v55
	s_wait_dscnt 0x0
	v_fma_f64 v[36:37], -v[38:39], v[40:41], v[36:37]
.LBB124_798:                            ;   in Loop: Header=BB124_3 Depth=1
	s_or_b32 exec_lo, exec_lo, s6
	s_barrier_signal -1
	s_barrier_wait -1
	s_and_saveexec_b32 s6, s58
	s_cbranch_execz .LBB124_800
; %bb.799:                              ;   in Loop: Header=BB124_3 Depth=1
	ds_load_b64 v[38:39], v5
	s_wait_dscnt 0x0
	v_mul_f64_e32 v[36:37], v[36:37], v[38:39]
	s_delay_alu instid0(VALU_DEP_1) | instskip(NEXT) | instid1(VALU_DEP_2)
	v_xor_b32_e32 v39, 0x80000000, v37
	v_mov_b32_e32 v38, v36
	ds_store_b64 v55, v[38:39]
.LBB124_800:                            ;   in Loop: Header=BB124_3 Depth=1
	s_or_b32 exec_lo, exec_lo, s6
	s_wait_dscnt 0x0
	s_barrier_signal -1
	s_barrier_wait -1
	s_barrier_signal -1
	s_barrier_wait -1
	s_and_saveexec_b32 s6, s4
; %bb.801:                              ;   in Loop: Header=BB124_3 Depth=1
	ds_store_b64 v59, v[36:37] offset:15872
; %bb.802:                              ;   in Loop: Header=BB124_3 Depth=1
	s_or_b32 exec_lo, exec_lo, s6
	s_wait_dscnt 0x0
	s_barrier_signal -1
	s_barrier_wait -1
	s_barrier_signal -1
	s_barrier_wait -1
	s_and_saveexec_b32 s6, s14
	s_cbranch_execz .LBB124_804
; %bb.803:                              ;   in Loop: Header=BB124_3 Depth=1
	ds_load_b128 v[36:39], v5 offset:7792
	ds_load_b64 v[40:41], v5 offset:7280
	s_wait_dscnt 0x0
	v_mul_f64_e32 v[38:39], v[40:41], v[38:39]
	s_delay_alu instid0(VALU_DEP_1)
	v_mul_f64_e32 v[36:37], v[36:37], v[38:39]
	ds_store_b64 v5, v[36:37] offset:7792
.LBB124_804:                            ;   in Loop: Header=BB124_3 Depth=1
	s_or_b32 exec_lo, exec_lo, s6
	v_mov_b64_e32 v[36:37], 0
	s_wait_dscnt 0x0
	s_barrier_signal -1
	s_barrier_wait -1
	global_wb scope:SCOPE_DEV
	s_wait_storecnt 0x0
	global_inv scope:SCOPE_DEV
	s_and_saveexec_b32 s6, s1
	s_cbranch_execz .LBB124_808
; %bb.805:                              ;   in Loop: Header=BB124_3 Depth=1
	ds_load_b64 v[36:37], v44 offset:7264
	ds_load_b64 v[38:39], v43 offset:7792
	s_wait_dscnt 0x0
	v_fma_f64 v[36:37], v[36:37], v[38:39], 0
	s_and_saveexec_b32 s7, s15
	s_cbranch_execz .LBB124_807
; %bb.806:                              ;   in Loop: Header=BB124_3 Depth=1
	ds_load_b64 v[38:39], v45 offset:7776
	ds_load_b64 v[40:41], v5 offset:7800
	s_wait_dscnt 0x0
	v_fmac_f64_e32 v[36:37], v[38:39], v[40:41]
.LBB124_807:                            ;   in Loop: Header=BB124_3 Depth=1
	s_or_b32 exec_lo, exec_lo, s7
.LBB124_808:                            ;   in Loop: Header=BB124_3 Depth=1
	s_delay_alu instid0(SALU_CYCLE_1)
	s_or_b32 exec_lo, exec_lo, s6
	s_and_saveexec_b32 s6, s103
	s_cbranch_execz .LBB124_810
; %bb.809:                              ;   in Loop: Header=BB124_3 Depth=1
	ds_load_b64 v[38:39], v5 offset:6760
	s_wait_dscnt 0x0
	v_mul_f64_e32 v[36:37], v[36:37], v[38:39]
	s_delay_alu instid0(VALU_DEP_1) | instskip(NEXT) | instid1(VALU_DEP_2)
	v_xor_b32_e32 v39, 0x80000000, v37
	v_mov_b32_e32 v38, v36
	ds_store_b64 v3, v[38:39]
.LBB124_810:                            ;   in Loop: Header=BB124_3 Depth=1
	s_or_b32 exec_lo, exec_lo, s6
	s_wait_loadcnt_dscnt 0x0
	s_barrier_signal -1
	s_barrier_wait -1
	s_and_saveexec_b32 s6, s104
	s_cbranch_execz .LBB124_812
; %bb.811:                              ;   in Loop: Header=BB124_3 Depth=1
	ds_load_b64 v[38:39], v5 offset:6752
	ds_load_b64 v[40:41], v3
	s_wait_dscnt 0x0
	v_fma_f64 v[36:37], -v[38:39], v[40:41], v[36:37]
.LBB124_812:                            ;   in Loop: Header=BB124_3 Depth=1
	s_or_b32 exec_lo, exec_lo, s6
	s_barrier_signal -1
	s_barrier_wait -1
	s_and_saveexec_b32 s6, s104
	s_cbranch_execz .LBB124_814
; %bb.813:                              ;   in Loop: Header=BB124_3 Depth=1
	ds_load_b64 v[38:39], v5 offset:6240
	s_wait_dscnt 0x0
	v_mul_f64_e32 v[36:37], v[36:37], v[38:39]
	s_delay_alu instid0(VALU_DEP_1) | instskip(NEXT) | instid1(VALU_DEP_2)
	v_xor_b32_e32 v39, 0x80000000, v37
	v_mov_b32_e32 v38, v36
	ds_store_b64 v3, v[38:39]
.LBB124_814:                            ;   in Loop: Header=BB124_3 Depth=1
	s_or_b32 exec_lo, exec_lo, s6
	s_wait_dscnt 0x0
	s_barrier_signal -1
	s_barrier_wait -1
	s_barrier_signal -1
	s_barrier_wait -1
	s_and_saveexec_b32 s6, s1
; %bb.815:                              ;   in Loop: Header=BB124_3 Depth=1
	ds_store_b64 v46, v[36:37] offset:7776
; %bb.816:                              ;   in Loop: Header=BB124_3 Depth=1
	s_or_b32 exec_lo, exec_lo, s6
	s_wait_dscnt 0x0
	s_barrier_signal -1
	s_barrier_wait -1
	s_barrier_signal -1
	s_barrier_wait -1
	s_and_saveexec_b32 s6, s14
	s_cbranch_execz .LBB124_818
; %bb.817:                              ;   in Loop: Header=BB124_3 Depth=1
	ds_load_b128 v[36:39], v5 offset:6752
	ds_load_b64 v[40:41], v5 offset:6240
	s_wait_dscnt 0x0
	v_mul_f64_e32 v[38:39], v[40:41], v[38:39]
	s_delay_alu instid0(VALU_DEP_1)
	v_mul_f64_e32 v[36:37], v[36:37], v[38:39]
	ds_store_b64 v5, v[36:37] offset:6752
.LBB124_818:                            ;   in Loop: Header=BB124_3 Depth=1
	s_or_b32 exec_lo, exec_lo, s6
	v_mov_b64_e32 v[36:37], 0
	s_wait_dscnt 0x0
	s_barrier_signal -1
	s_barrier_wait -1
	global_wb scope:SCOPE_DEV
	s_wait_storecnt 0x0
	global_inv scope:SCOPE_DEV
	s_and_saveexec_b32 s10, s2
	s_cbranch_execz .LBB124_824
; %bb.819:                              ;   in Loop: Header=BB124_3 Depth=1
	ds_load_b64 v[36:37], v49 offset:6208
	ds_load_b64 v[38:39], v48 offset:7776
	s_wait_dscnt 0x0
	v_fma_f64 v[36:37], v[36:37], v[38:39], 0
	s_and_saveexec_b32 s6, s16
	s_cbranch_execnz .LBB124_1077
; %bb.820:                              ;   in Loop: Header=BB124_3 Depth=1
	s_or_b32 exec_lo, exec_lo, s6
	s_and_saveexec_b32 s6, s17
	s_cbranch_execnz .LBB124_1078
.LBB124_821:                            ;   in Loop: Header=BB124_3 Depth=1
	s_or_b32 exec_lo, exec_lo, s6
	s_and_saveexec_b32 s6, s1
	s_cbranch_execz .LBB124_823
.LBB124_822:                            ;   in Loop: Header=BB124_3 Depth=1
	ds_load_b64 v[38:39], v45 offset:7744
	ds_load_b64 v[40:41], v5 offset:7800
	s_wait_dscnt 0x0
	v_fmac_f64_e32 v[36:37], v[38:39], v[40:41]
.LBB124_823:                            ;   in Loop: Header=BB124_3 Depth=1
	s_or_b32 exec_lo, exec_lo, s6
.LBB124_824:                            ;   in Loop: Header=BB124_3 Depth=1
	s_delay_alu instid0(SALU_CYCLE_1)
	s_or_b32 exec_lo, exec_lo, s10
	s_and_saveexec_b32 s6, vcc_hi
	s_cbranch_execz .LBB124_826
; %bb.825:                              ;   in Loop: Header=BB124_3 Depth=1
	ds_load_b64 v[38:39], v5 offset:5720
	s_wait_dscnt 0x0
	v_mul_f64_e32 v[36:37], v[36:37], v[38:39]
	s_delay_alu instid0(VALU_DEP_1) | instskip(NEXT) | instid1(VALU_DEP_2)
	v_xor_b32_e32 v39, 0x80000000, v37
	v_mov_b32_e32 v38, v36
	ds_store_b64 v47, v[38:39]
.LBB124_826:                            ;   in Loop: Header=BB124_3 Depth=1
	s_or_b32 exec_lo, exec_lo, s6
	s_wait_loadcnt_dscnt 0x0
	s_barrier_signal -1
	s_barrier_wait -1
	s_and_saveexec_b32 s6, s36
	s_cbranch_execz .LBB124_828
; %bb.827:                              ;   in Loop: Header=BB124_3 Depth=1
	ds_load_b64 v[38:39], v49 offset:5696
	ds_load_b64 v[40:41], v47
	s_wait_dscnt 0x0
	v_fma_f64 v[36:37], -v[38:39], v[40:41], v[36:37]
.LBB124_828:                            ;   in Loop: Header=BB124_3 Depth=1
	s_or_b32 exec_lo, exec_lo, s6
	s_barrier_signal -1
	s_barrier_wait -1
	s_and_saveexec_b32 s6, s37
	s_cbranch_execz .LBB124_830
; %bb.829:                              ;   in Loop: Header=BB124_3 Depth=1
	ds_load_b64 v[38:39], v5 offset:5200
	s_wait_dscnt 0x0
	v_mul_f64_e32 v[36:37], v[36:37], v[38:39]
	s_delay_alu instid0(VALU_DEP_1) | instskip(NEXT) | instid1(VALU_DEP_2)
	v_xor_b32_e32 v39, 0x80000000, v37
	v_mov_b32_e32 v38, v36
	ds_store_b64 v47, v[38:39]
.LBB124_830:                            ;   in Loop: Header=BB124_3 Depth=1
	s_or_b32 exec_lo, exec_lo, s6
	s_wait_dscnt 0x0
	s_barrier_signal -1
	s_barrier_wait -1
	s_and_saveexec_b32 s6, s38
	s_cbranch_execz .LBB124_832
; %bb.831:                              ;   in Loop: Header=BB124_3 Depth=1
	ds_load_b64 v[38:39], v49 offset:5184
	ds_load_b64 v[40:41], v47
	s_wait_dscnt 0x0
	v_fma_f64 v[36:37], -v[38:39], v[40:41], v[36:37]
.LBB124_832:                            ;   in Loop: Header=BB124_3 Depth=1
	s_or_b32 exec_lo, exec_lo, s6
	s_barrier_signal -1
	s_barrier_wait -1
	s_and_saveexec_b32 s6, s39
	s_cbranch_execz .LBB124_834
; %bb.833:                              ;   in Loop: Header=BB124_3 Depth=1
	ds_load_b64 v[38:39], v5 offset:4680
	s_wait_dscnt 0x0
	v_mul_f64_e32 v[36:37], v[36:37], v[38:39]
	s_delay_alu instid0(VALU_DEP_1) | instskip(NEXT) | instid1(VALU_DEP_2)
	v_xor_b32_e32 v39, 0x80000000, v37
	v_mov_b32_e32 v38, v36
	ds_store_b64 v47, v[38:39]
.LBB124_834:                            ;   in Loop: Header=BB124_3 Depth=1
	s_or_b32 exec_lo, exec_lo, s6
	s_wait_dscnt 0x0
	;; [unrolled: 26-line block ×3, first 2 shown]
	s_barrier_signal -1
	s_barrier_wait -1
	s_barrier_signal -1
	s_barrier_wait -1
	s_and_saveexec_b32 s6, s2
; %bb.839:                              ;   in Loop: Header=BB124_3 Depth=1
	ds_store_b64 v50, v[36:37] offset:7744
; %bb.840:                              ;   in Loop: Header=BB124_3 Depth=1
	s_or_b32 exec_lo, exec_lo, s6
	s_wait_dscnt 0x0
	s_barrier_signal -1
	s_barrier_wait -1
	s_barrier_signal -1
	s_barrier_wait -1
	s_and_saveexec_b32 s6, s14
	s_cbranch_execz .LBB124_842
; %bb.841:                              ;   in Loop: Header=BB124_3 Depth=1
	ds_load_b128 v[36:39], v5 offset:5712
	ds_load_b64 v[40:41], v5 offset:5200
	s_wait_dscnt 0x0
	v_mul_f64_e32 v[38:39], v[40:41], v[38:39]
	s_delay_alu instid0(VALU_DEP_1)
	v_mul_f64_e32 v[36:37], v[36:37], v[38:39]
	ds_store_b64 v5, v[36:37] offset:5712
.LBB124_842:                            ;   in Loop: Header=BB124_3 Depth=1
	s_or_b32 exec_lo, exec_lo, s6
	v_mov_b64_e32 v[36:37], 0
	s_wait_dscnt 0x0
	s_barrier_signal -1
	s_barrier_wait -1
	global_wb scope:SCOPE_DEV
	s_wait_storecnt 0x0
	global_inv scope:SCOPE_DEV
	s_and_saveexec_b32 s6, s1
	s_cbranch_execz .LBB124_846
; %bb.843:                              ;   in Loop: Header=BB124_3 Depth=1
	ds_load_b64 v[36:37], v44 offset:5184
	ds_load_b64 v[38:39], v43 offset:5712
	s_wait_dscnt 0x0
	v_fma_f64 v[36:37], v[36:37], v[38:39], 0
	s_and_saveexec_b32 s7, s15
	s_cbranch_execz .LBB124_845
; %bb.844:                              ;   in Loop: Header=BB124_3 Depth=1
	ds_load_b64 v[38:39], v45 offset:5696
	ds_load_b64 v[40:41], v5 offset:5720
	s_wait_dscnt 0x0
	v_fmac_f64_e32 v[36:37], v[38:39], v[40:41]
.LBB124_845:                            ;   in Loop: Header=BB124_3 Depth=1
	s_or_b32 exec_lo, exec_lo, s7
.LBB124_846:                            ;   in Loop: Header=BB124_3 Depth=1
	s_delay_alu instid0(SALU_CYCLE_1)
	s_or_b32 exec_lo, exec_lo, s6
	s_and_saveexec_b32 s6, s103
	s_cbranch_execz .LBB124_848
; %bb.847:                              ;   in Loop: Header=BB124_3 Depth=1
	ds_load_b64 v[38:39], v5 offset:4680
	s_wait_dscnt 0x0
	v_mul_f64_e32 v[36:37], v[36:37], v[38:39]
	s_delay_alu instid0(VALU_DEP_1) | instskip(NEXT) | instid1(VALU_DEP_2)
	v_xor_b32_e32 v39, 0x80000000, v37
	v_mov_b32_e32 v38, v36
	ds_store_b64 v3, v[38:39]
.LBB124_848:                            ;   in Loop: Header=BB124_3 Depth=1
	s_or_b32 exec_lo, exec_lo, s6
	s_wait_loadcnt_dscnt 0x0
	s_barrier_signal -1
	s_barrier_wait -1
	s_and_saveexec_b32 s6, s104
	s_cbranch_execz .LBB124_850
; %bb.849:                              ;   in Loop: Header=BB124_3 Depth=1
	ds_load_b64 v[38:39], v5 offset:4672
	ds_load_b64 v[40:41], v3
	s_wait_dscnt 0x0
	v_fma_f64 v[36:37], -v[38:39], v[40:41], v[36:37]
.LBB124_850:                            ;   in Loop: Header=BB124_3 Depth=1
	s_or_b32 exec_lo, exec_lo, s6
	s_barrier_signal -1
	s_barrier_wait -1
	s_and_saveexec_b32 s6, s104
	s_cbranch_execz .LBB124_852
; %bb.851:                              ;   in Loop: Header=BB124_3 Depth=1
	ds_load_b64 v[38:39], v5 offset:4160
	s_wait_dscnt 0x0
	v_mul_f64_e32 v[36:37], v[36:37], v[38:39]
	s_delay_alu instid0(VALU_DEP_1) | instskip(NEXT) | instid1(VALU_DEP_2)
	v_xor_b32_e32 v39, 0x80000000, v37
	v_mov_b32_e32 v38, v36
	ds_store_b64 v3, v[38:39]
.LBB124_852:                            ;   in Loop: Header=BB124_3 Depth=1
	s_or_b32 exec_lo, exec_lo, s6
	s_wait_dscnt 0x0
	s_barrier_signal -1
	s_barrier_wait -1
	s_barrier_signal -1
	s_barrier_wait -1
	s_and_saveexec_b32 s6, s1
; %bb.853:                              ;   in Loop: Header=BB124_3 Depth=1
	ds_store_b64 v46, v[36:37] offset:5696
; %bb.854:                              ;   in Loop: Header=BB124_3 Depth=1
	s_or_b32 exec_lo, exec_lo, s6
	s_wait_dscnt 0x0
	s_barrier_signal -1
	s_barrier_wait -1
	s_barrier_signal -1
	s_barrier_wait -1
	s_and_saveexec_b32 s6, s14
	s_cbranch_execz .LBB124_856
; %bb.855:                              ;   in Loop: Header=BB124_3 Depth=1
	ds_load_b128 v[36:39], v5 offset:4672
	ds_load_b64 v[40:41], v5 offset:4160
	s_wait_dscnt 0x0
	v_mul_f64_e32 v[38:39], v[40:41], v[38:39]
	s_delay_alu instid0(VALU_DEP_1)
	v_mul_f64_e32 v[36:37], v[36:37], v[38:39]
	ds_store_b64 v5, v[36:37] offset:4672
.LBB124_856:                            ;   in Loop: Header=BB124_3 Depth=1
	s_or_b32 exec_lo, exec_lo, s6
	v_mov_b64_e32 v[36:37], 0
	s_wait_dscnt 0x0
	s_barrier_signal -1
	s_barrier_wait -1
	global_wb scope:SCOPE_DEV
	s_wait_storecnt 0x0
	global_inv scope:SCOPE_DEV
	s_and_saveexec_b32 s10, s3
	s_cbranch_execz .LBB124_866
; %bb.857:                              ;   in Loop: Header=BB124_3 Depth=1
	ds_load_b64 v[36:37], v53 offset:4096
	ds_load_b64 v[38:39], v52 offset:7744
	s_wait_dscnt 0x0
	v_fma_f64 v[36:37], v[36:37], v[38:39], 0
	s_and_saveexec_b32 s6, s18
	s_cbranch_execnz .LBB124_1079
; %bb.858:                              ;   in Loop: Header=BB124_3 Depth=1
	s_or_b32 exec_lo, exec_lo, s6
	s_and_saveexec_b32 s6, s19
	s_cbranch_execnz .LBB124_1080
.LBB124_859:                            ;   in Loop: Header=BB124_3 Depth=1
	s_or_b32 exec_lo, exec_lo, s6
	s_and_saveexec_b32 s6, s20
	s_cbranch_execnz .LBB124_1081
.LBB124_860:                            ;   in Loop: Header=BB124_3 Depth=1
	s_or_b32 exec_lo, exec_lo, s6
	s_and_saveexec_b32 s6, s21
	s_cbranch_execnz .LBB124_1082
.LBB124_861:                            ;   in Loop: Header=BB124_3 Depth=1
	s_or_b32 exec_lo, exec_lo, s6
	s_and_saveexec_b32 s6, s22
	s_cbranch_execnz .LBB124_1083
.LBB124_862:                            ;   in Loop: Header=BB124_3 Depth=1
	s_or_b32 exec_lo, exec_lo, s6
	s_and_saveexec_b32 s6, s2
	s_cbranch_execnz .LBB124_1084
.LBB124_863:                            ;   in Loop: Header=BB124_3 Depth=1
	s_or_b32 exec_lo, exec_lo, s6
	s_and_saveexec_b32 s6, s17
	s_cbranch_execz .LBB124_865
.LBB124_864:                            ;   in Loop: Header=BB124_3 Depth=1
	ds_load_b64 v[38:39], v45 offset:7680
	ds_load_b64 v[40:41], v5 offset:7800
	s_wait_dscnt 0x0
	v_fmac_f64_e32 v[36:37], v[38:39], v[40:41]
.LBB124_865:                            ;   in Loop: Header=BB124_3 Depth=1
	s_or_b32 exec_lo, exec_lo, s6
.LBB124_866:                            ;   in Loop: Header=BB124_3 Depth=1
	s_delay_alu instid0(SALU_CYCLE_1)
	s_or_b32 exec_lo, exec_lo, s10
	s_and_saveexec_b32 s6, s41
	s_cbranch_execz .LBB124_868
; %bb.867:                              ;   in Loop: Header=BB124_3 Depth=1
	ds_load_b64 v[38:39], v5 offset:3640
	s_wait_dscnt 0x0
	v_mul_f64_e32 v[36:37], v[36:37], v[38:39]
	s_delay_alu instid0(VALU_DEP_1) | instskip(NEXT) | instid1(VALU_DEP_2)
	v_xor_b32_e32 v39, 0x80000000, v37
	v_mov_b32_e32 v38, v36
	ds_store_b64 v51, v[38:39]
.LBB124_868:                            ;   in Loop: Header=BB124_3 Depth=1
	s_or_b32 exec_lo, exec_lo, s6
	s_wait_loadcnt_dscnt 0x0
	s_barrier_signal -1
	s_barrier_wait -1
	s_and_saveexec_b32 s6, s42
	s_cbranch_execz .LBB124_870
; %bb.869:                              ;   in Loop: Header=BB124_3 Depth=1
	ds_load_b64 v[38:39], v53 offset:3584
	ds_load_b64 v[40:41], v51
	s_wait_dscnt 0x0
	v_fma_f64 v[36:37], -v[38:39], v[40:41], v[36:37]
.LBB124_870:                            ;   in Loop: Header=BB124_3 Depth=1
	s_or_b32 exec_lo, exec_lo, s6
	s_barrier_signal -1
	s_barrier_wait -1
	s_and_saveexec_b32 s6, s43
	s_cbranch_execz .LBB124_872
; %bb.871:                              ;   in Loop: Header=BB124_3 Depth=1
	ds_load_b64 v[38:39], v5 offset:3120
	s_wait_dscnt 0x0
	v_mul_f64_e32 v[36:37], v[36:37], v[38:39]
	s_delay_alu instid0(VALU_DEP_1) | instskip(NEXT) | instid1(VALU_DEP_2)
	v_xor_b32_e32 v39, 0x80000000, v37
	v_mov_b32_e32 v38, v36
	ds_store_b64 v51, v[38:39]
.LBB124_872:                            ;   in Loop: Header=BB124_3 Depth=1
	s_or_b32 exec_lo, exec_lo, s6
	s_wait_dscnt 0x0
	s_barrier_signal -1
	s_barrier_wait -1
	s_and_saveexec_b32 s6, s44
	s_cbranch_execz .LBB124_874
; %bb.873:                              ;   in Loop: Header=BB124_3 Depth=1
	ds_load_b64 v[38:39], v53 offset:3072
	ds_load_b64 v[40:41], v51
	s_wait_dscnt 0x0
	v_fma_f64 v[36:37], -v[38:39], v[40:41], v[36:37]
.LBB124_874:                            ;   in Loop: Header=BB124_3 Depth=1
	s_or_b32 exec_lo, exec_lo, s6
	s_barrier_signal -1
	s_barrier_wait -1
	s_and_saveexec_b32 s6, s45
	s_cbranch_execz .LBB124_876
; %bb.875:                              ;   in Loop: Header=BB124_3 Depth=1
	ds_load_b64 v[38:39], v5 offset:2600
	s_wait_dscnt 0x0
	v_mul_f64_e32 v[36:37], v[36:37], v[38:39]
	s_delay_alu instid0(VALU_DEP_1) | instskip(NEXT) | instid1(VALU_DEP_2)
	v_xor_b32_e32 v39, 0x80000000, v37
	v_mov_b32_e32 v38, v36
	ds_store_b64 v51, v[38:39]
.LBB124_876:                            ;   in Loop: Header=BB124_3 Depth=1
	s_or_b32 exec_lo, exec_lo, s6
	s_wait_dscnt 0x0
	;; [unrolled: 26-line block ×6, first 2 shown]
	s_barrier_signal -1
	s_barrier_wait -1
	s_and_saveexec_b32 s6, s54
	s_cbranch_execz .LBB124_894
; %bb.893:                              ;   in Loop: Header=BB124_3 Depth=1
	ds_load_b64 v[38:39], v5 offset:512
	ds_load_b64 v[40:41], v51
	s_wait_dscnt 0x0
	v_fma_f64 v[36:37], -v[38:39], v[40:41], v[36:37]
.LBB124_894:                            ;   in Loop: Header=BB124_3 Depth=1
	s_or_b32 exec_lo, exec_lo, s6
	s_barrier_signal -1
	s_barrier_wait -1
	s_and_saveexec_b32 s6, s54
	s_cbranch_execz .LBB124_896
; %bb.895:                              ;   in Loop: Header=BB124_3 Depth=1
	ds_load_b64 v[38:39], v5
	s_wait_dscnt 0x0
	v_mul_f64_e32 v[36:37], v[36:37], v[38:39]
	s_delay_alu instid0(VALU_DEP_1) | instskip(NEXT) | instid1(VALU_DEP_2)
	v_xor_b32_e32 v39, 0x80000000, v37
	v_mov_b32_e32 v38, v36
	ds_store_b64 v51, v[38:39]
.LBB124_896:                            ;   in Loop: Header=BB124_3 Depth=1
	s_or_b32 exec_lo, exec_lo, s6
	s_wait_dscnt 0x0
	s_barrier_signal -1
	s_barrier_wait -1
	s_barrier_signal -1
	s_barrier_wait -1
	s_and_saveexec_b32 s6, s3
; %bb.897:                              ;   in Loop: Header=BB124_3 Depth=1
	ds_store_b64 v54, v[36:37] offset:7680
; %bb.898:                              ;   in Loop: Header=BB124_3 Depth=1
	s_or_b32 exec_lo, exec_lo, s6
	s_wait_dscnt 0x0
	s_barrier_signal -1
	s_barrier_wait -1
	s_barrier_signal -1
	s_barrier_wait -1
	s_and_saveexec_b32 s6, s14
	s_cbranch_execz .LBB124_900
; %bb.899:                              ;   in Loop: Header=BB124_3 Depth=1
	ds_load_b128 v[36:39], v5 offset:3632
	ds_load_b64 v[40:41], v5 offset:3120
	s_wait_dscnt 0x0
	v_mul_f64_e32 v[38:39], v[40:41], v[38:39]
	s_delay_alu instid0(VALU_DEP_1)
	v_mul_f64_e32 v[36:37], v[36:37], v[38:39]
	ds_store_b64 v5, v[36:37] offset:3632
.LBB124_900:                            ;   in Loop: Header=BB124_3 Depth=1
	s_or_b32 exec_lo, exec_lo, s6
	v_mov_b64_e32 v[36:37], 0
	s_wait_dscnt 0x0
	s_barrier_signal -1
	s_barrier_wait -1
	global_wb scope:SCOPE_DEV
	s_wait_storecnt 0x0
	global_inv scope:SCOPE_DEV
	s_and_saveexec_b32 s6, s1
	s_cbranch_execz .LBB124_904
; %bb.901:                              ;   in Loop: Header=BB124_3 Depth=1
	ds_load_b64 v[36:37], v44 offset:3104
	ds_load_b64 v[38:39], v43 offset:3632
	s_wait_dscnt 0x0
	v_fma_f64 v[36:37], v[36:37], v[38:39], 0
	s_and_saveexec_b32 s7, s15
	s_cbranch_execz .LBB124_903
; %bb.902:                              ;   in Loop: Header=BB124_3 Depth=1
	ds_load_b64 v[38:39], v45 offset:3616
	ds_load_b64 v[40:41], v5 offset:3640
	s_wait_dscnt 0x0
	v_fmac_f64_e32 v[36:37], v[38:39], v[40:41]
.LBB124_903:                            ;   in Loop: Header=BB124_3 Depth=1
	s_or_b32 exec_lo, exec_lo, s7
.LBB124_904:                            ;   in Loop: Header=BB124_3 Depth=1
	s_delay_alu instid0(SALU_CYCLE_1)
	s_or_b32 exec_lo, exec_lo, s6
	s_and_saveexec_b32 s6, s103
	s_cbranch_execz .LBB124_906
; %bb.905:                              ;   in Loop: Header=BB124_3 Depth=1
	ds_load_b64 v[38:39], v5 offset:2600
	s_wait_dscnt 0x0
	v_mul_f64_e32 v[36:37], v[36:37], v[38:39]
	s_delay_alu instid0(VALU_DEP_1) | instskip(NEXT) | instid1(VALU_DEP_2)
	v_xor_b32_e32 v39, 0x80000000, v37
	v_mov_b32_e32 v38, v36
	ds_store_b64 v3, v[38:39]
.LBB124_906:                            ;   in Loop: Header=BB124_3 Depth=1
	s_or_b32 exec_lo, exec_lo, s6
	s_wait_loadcnt_dscnt 0x0
	s_barrier_signal -1
	s_barrier_wait -1
	s_and_saveexec_b32 s6, s104
	s_cbranch_execz .LBB124_908
; %bb.907:                              ;   in Loop: Header=BB124_3 Depth=1
	ds_load_b64 v[38:39], v5 offset:2592
	ds_load_b64 v[40:41], v3
	s_wait_dscnt 0x0
	v_fma_f64 v[36:37], -v[38:39], v[40:41], v[36:37]
.LBB124_908:                            ;   in Loop: Header=BB124_3 Depth=1
	s_or_b32 exec_lo, exec_lo, s6
	s_barrier_signal -1
	s_barrier_wait -1
	s_and_saveexec_b32 s6, s104
	s_cbranch_execz .LBB124_910
; %bb.909:                              ;   in Loop: Header=BB124_3 Depth=1
	ds_load_b64 v[38:39], v5 offset:2080
	s_wait_dscnt 0x0
	v_mul_f64_e32 v[36:37], v[36:37], v[38:39]
	s_delay_alu instid0(VALU_DEP_1) | instskip(NEXT) | instid1(VALU_DEP_2)
	v_xor_b32_e32 v39, 0x80000000, v37
	v_mov_b32_e32 v38, v36
	ds_store_b64 v3, v[38:39]
.LBB124_910:                            ;   in Loop: Header=BB124_3 Depth=1
	s_or_b32 exec_lo, exec_lo, s6
	s_wait_dscnt 0x0
	s_barrier_signal -1
	s_barrier_wait -1
	s_barrier_signal -1
	s_barrier_wait -1
	s_and_saveexec_b32 s6, s1
; %bb.911:                              ;   in Loop: Header=BB124_3 Depth=1
	ds_store_b64 v46, v[36:37] offset:3616
; %bb.912:                              ;   in Loop: Header=BB124_3 Depth=1
	s_or_b32 exec_lo, exec_lo, s6
	s_wait_dscnt 0x0
	s_barrier_signal -1
	s_barrier_wait -1
	s_barrier_signal -1
	s_barrier_wait -1
	s_and_saveexec_b32 s6, s14
	s_cbranch_execz .LBB124_914
; %bb.913:                              ;   in Loop: Header=BB124_3 Depth=1
	ds_load_b128 v[36:39], v5 offset:2592
	ds_load_b64 v[40:41], v5 offset:2080
	s_wait_dscnt 0x0
	v_mul_f64_e32 v[38:39], v[40:41], v[38:39]
	s_delay_alu instid0(VALU_DEP_1)
	v_mul_f64_e32 v[36:37], v[36:37], v[38:39]
	ds_store_b64 v5, v[36:37] offset:2592
.LBB124_914:                            ;   in Loop: Header=BB124_3 Depth=1
	s_or_b32 exec_lo, exec_lo, s6
	v_mov_b64_e32 v[36:37], 0
	s_wait_dscnt 0x0
	s_barrier_signal -1
	s_barrier_wait -1
	global_wb scope:SCOPE_DEV
	s_wait_storecnt 0x0
	global_inv scope:SCOPE_DEV
	s_and_saveexec_b32 s10, s2
	s_cbranch_execz .LBB124_920
; %bb.915:                              ;   in Loop: Header=BB124_3 Depth=1
	ds_load_b64 v[36:37], v49 offset:2048
	ds_load_b64 v[38:39], v48 offset:3616
	s_wait_dscnt 0x0
	v_fma_f64 v[36:37], v[36:37], v[38:39], 0
	s_and_saveexec_b32 s6, s16
	s_cbranch_execnz .LBB124_1085
; %bb.916:                              ;   in Loop: Header=BB124_3 Depth=1
	s_or_b32 exec_lo, exec_lo, s6
	s_and_saveexec_b32 s6, s17
	s_cbranch_execnz .LBB124_1086
.LBB124_917:                            ;   in Loop: Header=BB124_3 Depth=1
	s_or_b32 exec_lo, exec_lo, s6
	s_and_saveexec_b32 s6, s1
	s_cbranch_execz .LBB124_919
.LBB124_918:                            ;   in Loop: Header=BB124_3 Depth=1
	ds_load_b64 v[38:39], v45 offset:3584
	ds_load_b64 v[40:41], v5 offset:3640
	s_wait_dscnt 0x0
	v_fmac_f64_e32 v[36:37], v[38:39], v[40:41]
.LBB124_919:                            ;   in Loop: Header=BB124_3 Depth=1
	s_or_b32 exec_lo, exec_lo, s6
.LBB124_920:                            ;   in Loop: Header=BB124_3 Depth=1
	s_delay_alu instid0(SALU_CYCLE_1)
	s_or_b32 exec_lo, exec_lo, s10
	s_and_saveexec_b32 s6, vcc_hi
	s_cbranch_execz .LBB124_922
; %bb.921:                              ;   in Loop: Header=BB124_3 Depth=1
	ds_load_b64 v[38:39], v5 offset:1560
	s_wait_dscnt 0x0
	v_mul_f64_e32 v[36:37], v[36:37], v[38:39]
	s_delay_alu instid0(VALU_DEP_1) | instskip(NEXT) | instid1(VALU_DEP_2)
	v_xor_b32_e32 v39, 0x80000000, v37
	v_mov_b32_e32 v38, v36
	ds_store_b64 v47, v[38:39]
.LBB124_922:                            ;   in Loop: Header=BB124_3 Depth=1
	s_or_b32 exec_lo, exec_lo, s6
	s_wait_loadcnt_dscnt 0x0
	s_barrier_signal -1
	s_barrier_wait -1
	s_and_saveexec_b32 s6, s36
	s_cbranch_execz .LBB124_924
; %bb.923:                              ;   in Loop: Header=BB124_3 Depth=1
	ds_load_b64 v[38:39], v49 offset:1536
	ds_load_b64 v[40:41], v47
	s_wait_dscnt 0x0
	v_fma_f64 v[36:37], -v[38:39], v[40:41], v[36:37]
.LBB124_924:                            ;   in Loop: Header=BB124_3 Depth=1
	s_or_b32 exec_lo, exec_lo, s6
	s_barrier_signal -1
	s_barrier_wait -1
	s_and_saveexec_b32 s6, s37
	s_cbranch_execz .LBB124_926
; %bb.925:                              ;   in Loop: Header=BB124_3 Depth=1
	ds_load_b64 v[38:39], v5 offset:1040
	s_wait_dscnt 0x0
	v_mul_f64_e32 v[36:37], v[36:37], v[38:39]
	s_delay_alu instid0(VALU_DEP_1) | instskip(NEXT) | instid1(VALU_DEP_2)
	v_xor_b32_e32 v39, 0x80000000, v37
	v_mov_b32_e32 v38, v36
	ds_store_b64 v47, v[38:39]
.LBB124_926:                            ;   in Loop: Header=BB124_3 Depth=1
	s_or_b32 exec_lo, exec_lo, s6
	s_wait_dscnt 0x0
	s_barrier_signal -1
	s_barrier_wait -1
	s_and_saveexec_b32 s6, s38
	s_cbranch_execz .LBB124_928
; %bb.927:                              ;   in Loop: Header=BB124_3 Depth=1
	ds_load_b64 v[38:39], v49 offset:1024
	ds_load_b64 v[40:41], v47
	s_wait_dscnt 0x0
	v_fma_f64 v[36:37], -v[38:39], v[40:41], v[36:37]
.LBB124_928:                            ;   in Loop: Header=BB124_3 Depth=1
	s_or_b32 exec_lo, exec_lo, s6
	s_barrier_signal -1
	s_barrier_wait -1
	s_and_saveexec_b32 s6, s39
	s_cbranch_execz .LBB124_930
; %bb.929:                              ;   in Loop: Header=BB124_3 Depth=1
	ds_load_b64 v[38:39], v5 offset:520
	s_wait_dscnt 0x0
	v_mul_f64_e32 v[36:37], v[36:37], v[38:39]
	s_delay_alu instid0(VALU_DEP_1) | instskip(NEXT) | instid1(VALU_DEP_2)
	v_xor_b32_e32 v39, 0x80000000, v37
	v_mov_b32_e32 v38, v36
	ds_store_b64 v47, v[38:39]
.LBB124_930:                            ;   in Loop: Header=BB124_3 Depth=1
	s_or_b32 exec_lo, exec_lo, s6
	s_wait_dscnt 0x0
	s_barrier_signal -1
	s_barrier_wait -1
	s_and_saveexec_b32 s6, s40
	s_cbranch_execz .LBB124_932
; %bb.931:                              ;   in Loop: Header=BB124_3 Depth=1
	ds_load_b64 v[38:39], v5 offset:512
	ds_load_b64 v[40:41], v47
	s_wait_dscnt 0x0
	v_fma_f64 v[36:37], -v[38:39], v[40:41], v[36:37]
.LBB124_932:                            ;   in Loop: Header=BB124_3 Depth=1
	s_or_b32 exec_lo, exec_lo, s6
	s_barrier_signal -1
	s_barrier_wait -1
	s_and_saveexec_b32 s6, s40
	s_cbranch_execz .LBB124_934
; %bb.933:                              ;   in Loop: Header=BB124_3 Depth=1
	ds_load_b64 v[38:39], v5
	s_wait_dscnt 0x0
	v_mul_f64_e32 v[36:37], v[36:37], v[38:39]
	s_delay_alu instid0(VALU_DEP_1) | instskip(NEXT) | instid1(VALU_DEP_2)
	v_xor_b32_e32 v39, 0x80000000, v37
	v_mov_b32_e32 v38, v36
	ds_store_b64 v47, v[38:39]
.LBB124_934:                            ;   in Loop: Header=BB124_3 Depth=1
	s_or_b32 exec_lo, exec_lo, s6
	s_wait_dscnt 0x0
	s_barrier_signal -1
	s_barrier_wait -1
	s_barrier_signal -1
	s_barrier_wait -1
	s_and_saveexec_b32 s6, s2
; %bb.935:                              ;   in Loop: Header=BB124_3 Depth=1
	ds_store_b64 v50, v[36:37] offset:3584
; %bb.936:                              ;   in Loop: Header=BB124_3 Depth=1
	s_or_b32 exec_lo, exec_lo, s6
	s_wait_dscnt 0x0
	s_barrier_signal -1
	s_barrier_wait -1
	s_barrier_signal -1
	s_barrier_wait -1
	s_and_saveexec_b32 s6, s14
	s_cbranch_execz .LBB124_938
; %bb.937:                              ;   in Loop: Header=BB124_3 Depth=1
	ds_load_b128 v[36:39], v5 offset:1552
	ds_load_b64 v[40:41], v5 offset:1040
	s_wait_dscnt 0x0
	v_mul_f64_e32 v[38:39], v[40:41], v[38:39]
	s_delay_alu instid0(VALU_DEP_1)
	v_mul_f64_e32 v[36:37], v[36:37], v[38:39]
	ds_store_b64 v5, v[36:37] offset:1552
.LBB124_938:                            ;   in Loop: Header=BB124_3 Depth=1
	s_or_b32 exec_lo, exec_lo, s6
	v_mov_b64_e32 v[36:37], 0
	s_wait_dscnt 0x0
	s_barrier_signal -1
	s_barrier_wait -1
	global_wb scope:SCOPE_DEV
	s_wait_storecnt 0x0
	global_inv scope:SCOPE_DEV
	s_and_saveexec_b32 s6, s1
	s_cbranch_execz .LBB124_942
; %bb.939:                              ;   in Loop: Header=BB124_3 Depth=1
	ds_load_b64 v[36:37], v44 offset:1024
	ds_load_b64 v[38:39], v43 offset:1552
	s_wait_dscnt 0x0
	v_fma_f64 v[36:37], v[36:37], v[38:39], 0
	s_and_saveexec_b32 s7, s15
	s_cbranch_execz .LBB124_941
; %bb.940:                              ;   in Loop: Header=BB124_3 Depth=1
	ds_load_b64 v[38:39], v45 offset:1536
	ds_load_b64 v[40:41], v5 offset:1560
	s_wait_dscnt 0x0
	v_fmac_f64_e32 v[36:37], v[38:39], v[40:41]
.LBB124_941:                            ;   in Loop: Header=BB124_3 Depth=1
	s_or_b32 exec_lo, exec_lo, s7
.LBB124_942:                            ;   in Loop: Header=BB124_3 Depth=1
	s_delay_alu instid0(SALU_CYCLE_1)
	s_or_b32 exec_lo, exec_lo, s6
	s_and_saveexec_b32 s6, s103
	s_cbranch_execz .LBB124_944
; %bb.943:                              ;   in Loop: Header=BB124_3 Depth=1
	ds_load_b64 v[38:39], v5 offset:520
	s_wait_dscnt 0x0
	v_mul_f64_e32 v[36:37], v[36:37], v[38:39]
	s_delay_alu instid0(VALU_DEP_1) | instskip(NEXT) | instid1(VALU_DEP_2)
	v_xor_b32_e32 v39, 0x80000000, v37
	v_mov_b32_e32 v38, v36
	ds_store_b64 v3, v[38:39]
.LBB124_944:                            ;   in Loop: Header=BB124_3 Depth=1
	s_or_b32 exec_lo, exec_lo, s6
	s_wait_loadcnt_dscnt 0x0
	s_barrier_signal -1
	s_barrier_wait -1
	s_and_saveexec_b32 s6, s104
	s_cbranch_execz .LBB124_946
; %bb.945:                              ;   in Loop: Header=BB124_3 Depth=1
	ds_load_b64 v[38:39], v5 offset:512
	ds_load_b64 v[40:41], v3
	s_wait_dscnt 0x0
	v_fma_f64 v[36:37], -v[38:39], v[40:41], v[36:37]
.LBB124_946:                            ;   in Loop: Header=BB124_3 Depth=1
	s_or_b32 exec_lo, exec_lo, s6
	s_barrier_signal -1
	s_barrier_wait -1
	s_and_saveexec_b32 s6, s104
	s_cbranch_execz .LBB124_948
; %bb.947:                              ;   in Loop: Header=BB124_3 Depth=1
	ds_load_b64 v[38:39], v5
	s_wait_dscnt 0x0
	v_mul_f64_e32 v[36:37], v[36:37], v[38:39]
	s_delay_alu instid0(VALU_DEP_1) | instskip(NEXT) | instid1(VALU_DEP_2)
	v_xor_b32_e32 v39, 0x80000000, v37
	v_mov_b32_e32 v38, v36
	ds_store_b64 v3, v[38:39]
.LBB124_948:                            ;   in Loop: Header=BB124_3 Depth=1
	s_or_b32 exec_lo, exec_lo, s6
	s_wait_dscnt 0x0
	s_barrier_signal -1
	s_barrier_wait -1
	s_barrier_signal -1
	s_barrier_wait -1
	s_and_saveexec_b32 s6, s1
; %bb.949:                              ;   in Loop: Header=BB124_3 Depth=1
	ds_store_b64 v46, v[36:37] offset:1536
; %bb.950:                              ;   in Loop: Header=BB124_3 Depth=1
	s_or_b32 exec_lo, exec_lo, s6
	s_wait_dscnt 0x0
	s_barrier_signal -1
	s_barrier_wait -1
	s_barrier_signal -1
	s_barrier_wait -1
	s_and_saveexec_b32 s6, s14
	s_cbranch_execz .LBB124_952
; %bb.951:                              ;   in Loop: Header=BB124_3 Depth=1
	ds_load_b128 v[36:39], v5 offset:512
	ds_load_b64 v[40:41], v5
	s_wait_dscnt 0x0
	v_mul_f64_e32 v[38:39], v[40:41], v[38:39]
	s_delay_alu instid0(VALU_DEP_1)
	v_mul_f64_e32 v[36:37], v[36:37], v[38:39]
	ds_store_b64 v5, v[36:37] offset:512
.LBB124_952:                            ;   in Loop: Header=BB124_3 Depth=1
	s_or_b32 exec_lo, exec_lo, s6
.LBB124_953:                            ;   in Loop: Header=BB124_3 Depth=1
	v_add_nc_u64_e32 v[34:35], s[76:77], v[34:35]
	v_mov_b64_e32 v[36:37], 0
	s_wait_dscnt 0x0
	s_barrier_signal -1
	s_barrier_wait -1
	s_and_saveexec_b32 s6, s66
	s_cbranch_execz .LBB124_955
; %bb.954:                              ;   in Loop: Header=BB124_3 Depth=1
	v_lshl_add_u64 v[36:37], v[20:21], 3, v[34:35]
	flat_load_b64 v[36:37], v[36:37]
	s_wait_loadcnt_dscnt 0x0
	v_mul_f64_e64 v[36:37], v[36:37], -v[32:33]
.LBB124_955:                            ;   in Loop: Header=BB124_3 Depth=1
	s_or_b32 exec_lo, exec_lo, s6
	s_delay_alu instid0(SALU_CYCLE_1)
	s_and_not1_b32 vcc_lo, exec_lo, s67
	s_cbranch_vccnz .LBB124_981
; %bb.956:                              ;   in Loop: Header=BB124_3 Depth=1
	v_lshl_add_u64 v[0:1], v[6:7], 3, v[0:1]
	v_mov_b32_e32 v79, -1
	s_lshl_b64 s[6:7], s[70:71], 2
	s_mov_b32 s10, 0
	s_add_nc_u64 s[96:97], s[88:89], s[6:7]
	s_branch .LBB124_959
.LBB124_957:                            ;   in Loop: Header=BB124_959 Depth=2
	s_wait_xcnt 0x0
	ds_load_b64 v[32:33], v67 offset:384
	s_wait_loadcnt_dscnt 0x0
	v_fmac_f64_e32 v[36:37], v[38:39], v[32:33]
.LBB124_958:                            ;   in Loop: Header=BB124_959 Depth=2
	s_or_b32 exec_lo, exec_lo, s6
	s_add_co_i32 s10, s10, 1
	s_delay_alu instid0(SALU_CYCLE_1)
	s_cmp_eq_u32 s10, s98
	s_cbranch_scc1 .LBB124_981
.LBB124_959:                            ;   Parent Loop BB124_3 Depth=1
                                        ; =>  This Loop Header: Depth=2
                                        ;       Child Loop BB124_961 Depth 3
	v_cmp_gt_i32_e32 vcc_lo, s10, v79
	s_and_b32 s7, s59, vcc_lo
	s_delay_alu instid0(SALU_CYCLE_1)
	s_and_saveexec_b32 s6, s7
	s_cbranch_execz .LBB124_962
; %bb.960:                              ;   in Loop: Header=BB124_959 Depth=2
	global_load_b32 v79, v5, s[96:97]
	s_wait_loadcnt 0x0
	v_cmp_le_i32_e32 vcc_lo, s10, v79
	s_cbranch_vccnz .LBB124_962
.LBB124_961:                            ;   Parent Loop BB124_3 Depth=1
                                        ;     Parent Loop BB124_959 Depth=2
                                        ; =>    This Inner Loop Header: Depth=3
	global_wb scope:SCOPE_DEV
	s_wait_storecnt 0x0
	global_inv scope:SCOPE_DEV
	global_load_b32 v79, v5, s[96:97]
	s_wait_loadcnt 0x0
	v_cmp_gt_i32_e32 vcc_lo, s10, v79
	s_cbranch_vccnz .LBB124_961
.LBB124_962:                            ;   in Loop: Header=BB124_959 Depth=2
	s_or_b32 exec_lo, exec_lo, s6
	s_sub_co_i32 s11, s99, s10
	global_wb scope:SCOPE_DEV
	s_wait_storecnt 0x0
	global_inv scope:SCOPE_DEV
	s_lshl_b32 s6, s11, 6
	s_wait_loadcnt 0x0
	s_barrier_signal -1
	s_barrier_wait -1
	s_and_saveexec_b32 s7, s60
	s_cbranch_execz .LBB124_966
; %bb.963:                              ;   in Loop: Header=BB124_959 Depth=2
	s_ashr_i32 s8, s6, 31
	v_mov_b64_e32 v[38:39], 0
	v_dual_mov_b32 v33, s8 :: v_dual_bitop2_b32 v32, s6, v4 bitop3:0x54
	s_mov_b32 s8, exec_lo
	s_delay_alu instid0(VALU_DEP_1)
	v_cmpx_gt_i64_e64 s[84:85], v[32:33]
	s_cbranch_execz .LBB124_965
; %bb.964:                              ;   in Loop: Header=BB124_959 Depth=2
	v_mul_u64_e32 v[32:33], s[78:79], v[32:33]
	s_delay_alu instid0(VALU_DEP_1)
	v_lshl_add_u64 v[32:33], v[32:33], 3, v[34:35]
	flat_load_b64 v[38:39], v[32:33]
.LBB124_965:                            ;   in Loop: Header=BB124_959 Depth=2
	s_wait_xcnt 0x0
	s_or_b32 exec_lo, exec_lo, s8
	s_wait_loadcnt_dscnt 0x0
	ds_store_b64 v66, v[38:39]
.LBB124_966:                            ;   in Loop: Header=BB124_959 Depth=2
	s_or_b32 exec_lo, exec_lo, s7
	v_add_nc_u32_e32 v38, s6, v42
	s_cmp_lg_u32 s11, s68
	s_wait_dscnt 0x0
	s_cselect_b32 s7, -1, 0
	s_barrier_signal -1
	v_ashrrev_i32_e32 v39, 31, v38
	v_cmp_gt_i32_e32 vcc_lo, s84, v38
	s_barrier_wait -1
	s_delay_alu instid0(VALU_DEP_2) | instskip(SKIP_2) | instid1(VALU_DEP_2)
	v_mul_u64_e32 v[32:33], s[86:87], v[38:39]
	v_cndmask_b32_e64 v39, 0, 1, s7
	s_and_b32 s8, s0, vcc_lo
	v_lshl_add_u64 v[32:33], v[32:33], 3, v[0:1]
	s_and_saveexec_b32 s6, s8
	s_cbranch_execz .LBB124_970
; %bb.967:                              ;   in Loop: Header=BB124_959 Depth=2
	v_mov_b64_e32 v[40:41], v[24:25]
	s_and_not1_b32 vcc_lo, exec_lo, s7
	s_cbranch_vccnz .LBB124_969
; %bb.968:                              ;   in Loop: Header=BB124_959 Depth=2
	flat_load_b64 v[40:41], v[32:33]
.LBB124_969:                            ;   in Loop: Header=BB124_959 Depth=2
	ds_load_b64 v[80:81], v67
	s_wait_loadcnt_dscnt 0x0
	v_fmac_f64_e32 v[36:37], v[40:41], v[80:81]
.LBB124_970:                            ;   in Loop: Header=BB124_959 Depth=2
	s_or_b32 exec_lo, exec_lo, s6
	v_add_nc_u32_e32 v40, 16, v38
	s_delay_alu instid0(VALU_DEP_1) | instskip(SKIP_1) | instid1(SALU_CYCLE_1)
	v_cmp_gt_i32_e32 vcc_lo, s84, v40
	s_and_b32 s7, s0, vcc_lo
	s_and_saveexec_b32 s6, s7
	s_cbranch_execz .LBB124_974
; %bb.971:                              ;   in Loop: Header=BB124_959 Depth=2
	v_cmp_ne_u32_e32 vcc_lo, 1, v39
	v_mov_b64_e32 v[40:41], v[26:27]
	s_cbranch_vccnz .LBB124_973
; %bb.972:                              ;   in Loop: Header=BB124_959 Depth=2
	v_add_nc_u64_e32 v[40:41], s[90:91], v[32:33]
	flat_load_b64 v[40:41], v[40:41]
.LBB124_973:                            ;   in Loop: Header=BB124_959 Depth=2
	ds_load_b64 v[80:81], v67 offset:128
	s_wait_loadcnt_dscnt 0x0
	v_fmac_f64_e32 v[36:37], v[40:41], v[80:81]
.LBB124_974:                            ;   in Loop: Header=BB124_959 Depth=2
	s_or_b32 exec_lo, exec_lo, s6
	v_add_nc_u32_e32 v40, 32, v38
	s_delay_alu instid0(VALU_DEP_1) | instskip(SKIP_1) | instid1(SALU_CYCLE_1)
	v_cmp_gt_i32_e32 vcc_lo, s84, v40
	s_and_b32 s7, s0, vcc_lo
	s_and_saveexec_b32 s6, s7
	s_cbranch_execz .LBB124_978
; %bb.975:                              ;   in Loop: Header=BB124_959 Depth=2
	v_cmp_ne_u32_e32 vcc_lo, 1, v39
	v_mov_b64_e32 v[40:41], v[28:29]
	s_cbranch_vccnz .LBB124_977
; %bb.976:                              ;   in Loop: Header=BB124_959 Depth=2
	v_add_nc_u64_e32 v[40:41], s[92:93], v[32:33]
	flat_load_b64 v[40:41], v[40:41]
.LBB124_977:                            ;   in Loop: Header=BB124_959 Depth=2
	ds_load_b64 v[80:81], v67 offset:256
	s_wait_loadcnt_dscnt 0x0
	v_fmac_f64_e32 v[36:37], v[40:41], v[80:81]
.LBB124_978:                            ;   in Loop: Header=BB124_959 Depth=2
	s_or_b32 exec_lo, exec_lo, s6
	v_add_nc_u32_e32 v38, 48, v38
	s_delay_alu instid0(VALU_DEP_1) | instskip(SKIP_1) | instid1(SALU_CYCLE_1)
	v_cmp_gt_i32_e32 vcc_lo, s84, v38
	s_and_b32 s7, s0, vcc_lo
	s_and_saveexec_b32 s6, s7
	s_cbranch_execz .LBB124_958
; %bb.979:                              ;   in Loop: Header=BB124_959 Depth=2
	v_cmp_ne_u32_e32 vcc_lo, 1, v39
	v_mov_b64_e32 v[38:39], v[30:31]
	s_cbranch_vccnz .LBB124_957
; %bb.980:                              ;   in Loop: Header=BB124_959 Depth=2
	v_add_nc_u64_e32 v[32:33], s[94:95], v[32:33]
	flat_load_b64 v[38:39], v[32:33]
	s_branch .LBB124_957
.LBB124_981:                            ;   in Loop: Header=BB124_3 Depth=1
	ds_store_b64 v68, v[36:37]
	s_wait_dscnt 0x0
	s_barrier_signal -1
	s_barrier_wait -1
	s_and_saveexec_b32 s10, s5
	s_cbranch_execz .LBB124_983
; %bb.982:                              ;   in Loop: Header=BB124_3 Depth=1
	ds_load_2addr_stride64_b64 v[38:41], v69 offset0:1 offset1:2
	ds_load_2addr_stride64_b64 v[80:83], v69 offset0:3 offset1:4
	s_wait_dscnt 0x1
	v_add_f64_e32 v[0:1], v[36:37], v[38:39]
	s_delay_alu instid0(VALU_DEP_1) | instskip(SKIP_1) | instid1(VALU_DEP_1)
	v_add_f64_e32 v[0:1], v[0:1], v[40:41]
	s_wait_dscnt 0x0
	v_add_f64_e32 v[0:1], v[0:1], v[80:81]
	s_delay_alu instid0(VALU_DEP_1) | instskip(SKIP_4) | instid1(VALU_DEP_1)
	v_add_f64_e32 v[0:1], v[0:1], v[82:83]
	ds_load_2addr_stride64_b64 v[36:39], v69 offset0:5 offset1:6
	ds_load_2addr_stride64_b64 v[80:83], v69 offset0:7 offset1:8
	s_wait_dscnt 0x1
	v_add_f64_e32 v[0:1], v[0:1], v[36:37]
	v_add_f64_e32 v[0:1], v[0:1], v[38:39]
	s_wait_dscnt 0x0
	s_delay_alu instid0(VALU_DEP_1) | instskip(NEXT) | instid1(VALU_DEP_1)
	v_add_f64_e32 v[0:1], v[0:1], v[80:81]
	v_add_f64_e32 v[0:1], v[0:1], v[82:83]
	ds_load_2addr_stride64_b64 v[36:39], v69 offset0:9 offset1:10
	ds_load_2addr_stride64_b64 v[80:83], v69 offset0:11 offset1:12
	s_wait_dscnt 0x1
	v_add_f64_e32 v[0:1], v[0:1], v[36:37]
	s_delay_alu instid0(VALU_DEP_1) | instskip(SKIP_4) | instid1(VALU_DEP_1)
	v_add_f64_e32 v[0:1], v[0:1], v[38:39]
	ds_load_2addr_stride64_b64 v[36:39], v69 offset0:13 offset1:14
	ds_load_b64 v[32:33], v69 offset:7680
	s_wait_dscnt 0x2
	v_add_f64_e32 v[0:1], v[0:1], v[80:81]
	v_add_f64_e32 v[0:1], v[0:1], v[82:83]
	s_wait_dscnt 0x1
	s_delay_alu instid0(VALU_DEP_1) | instskip(NEXT) | instid1(VALU_DEP_1)
	v_add_f64_e32 v[0:1], v[0:1], v[36:37]
	v_add_f64_e32 v[0:1], v[0:1], v[38:39]
	s_wait_dscnt 0x0
	s_delay_alu instid0(VALU_DEP_1) | instskip(NEXT) | instid1(VALU_DEP_1)
	v_add_f64_e32 v[0:1], v[0:1], v[32:33]
	v_xor_b32_e32 v1, 0x80000000, v1
	s_delay_alu instid0(VALU_DEP_2) | instskip(NEXT) | instid1(VALU_DEP_2)
	v_cndmask_b32_e64 v36, v0, 0, s65
	v_cndmask_b32_e64 v37, v1, 0, s65
.LBB124_983:                            ;   in Loop: Header=BB124_3 Depth=1
	s_or_b32 exec_lo, exec_lo, s10
	s_delay_alu instid0(SALU_CYCLE_1)
	s_and_not1_b32 vcc_lo, exec_lo, s102
	s_cbranch_vccnz .LBB124_996
; %bb.984:                              ;   in Loop: Header=BB124_3 Depth=1
	s_and_saveexec_b32 s6, s5
; %bb.985:                              ;   in Loop: Header=BB124_3 Depth=1
	ds_store_b64 v71, v[36:37]
; %bb.986:                              ;   in Loop: Header=BB124_3 Depth=1
	s_or_b32 exec_lo, exec_lo, s6
	v_mov_b64_e32 v[0:1], 0
	s_wait_dscnt 0x0
	s_barrier_signal -1
	s_barrier_wait -1
	s_mov_b32 s6, exec_lo
	v_readlane_b32 s7, v84, 0
	s_and_b32 s7, s6, s7
	s_delay_alu instid0(SALU_CYCLE_1)
	s_mov_b32 exec_lo, s7
	s_cbranch_execz .LBB124_988
; %bb.987:                              ;   in Loop: Header=BB124_3 Depth=1
	ds_load_b64 v[0:1], v70
	ds_load_b64 v[32:33], v67
	s_wait_dscnt 0x0
	v_fma_f64 v[0:1], v[0:1], v[32:33], 0
.LBB124_988:                            ;   in Loop: Header=BB124_3 Depth=1
	s_or_b32 exec_lo, exec_lo, s6
	s_delay_alu instid0(SALU_CYCLE_1) | instskip(SKIP_2) | instid1(SALU_CYCLE_1)
	s_mov_b32 s6, exec_lo
	v_readlane_b32 s7, v84, 1
	s_and_b32 s7, s6, s7
	s_mov_b32 exec_lo, s7
	s_cbranch_execz .LBB124_990
; %bb.989:                              ;   in Loop: Header=BB124_3 Depth=1
	ds_load_b64 v[32:33], v70 offset:8192
	ds_load_b64 v[38:39], v67 offset:128
	s_wait_dscnt 0x0
	v_fmac_f64_e32 v[0:1], v[32:33], v[38:39]
.LBB124_990:                            ;   in Loop: Header=BB124_3 Depth=1
	s_or_b32 exec_lo, exec_lo, s6
	s_delay_alu instid0(SALU_CYCLE_1) | instskip(SKIP_2) | instid1(SALU_CYCLE_1)
	s_mov_b32 s6, exec_lo
	v_readlane_b32 s7, v84, 2
	s_and_b32 s7, s6, s7
	s_mov_b32 exec_lo, s7
	s_cbranch_execz .LBB124_992
; %bb.991:                              ;   in Loop: Header=BB124_3 Depth=1
	ds_load_b64 v[32:33], v70 offset:16384
	ds_load_b64 v[38:39], v67 offset:256
	s_wait_dscnt 0x0
	v_fmac_f64_e32 v[0:1], v[32:33], v[38:39]
.LBB124_992:                            ;   in Loop: Header=BB124_3 Depth=1
	;; [unrolled: 13-line block ×3, first 2 shown]
	s_or_b32 exec_lo, exec_lo, s6
	s_mov_b32 s10, 0
	s_mov_b32 s96, 0
	ds_store_b64 v68, v[0:1]
	s_wait_dscnt 0x0
	s_barrier_signal -1
	s_barrier_wait -1
                                        ; implicit-def: $vgpr32_vgpr33
	s_and_saveexec_b32 s97, s5
	s_cbranch_execz .LBB124_1033
; %bb.995:                              ;   in Loop: Header=BB124_3 Depth=1
	ds_load_2addr_stride64_b64 v[38:41], v69 offset0:1 offset1:2
	ds_load_2addr_stride64_b64 v[80:83], v69 offset0:3 offset1:4
	s_mov_b32 s96, exec_lo
	s_wait_dscnt 0x1
	v_add_f64_e32 v[0:1], v[0:1], v[38:39]
	s_delay_alu instid0(VALU_DEP_1) | instskip(SKIP_1) | instid1(VALU_DEP_1)
	v_add_f64_e32 v[0:1], v[40:41], v[0:1]
	s_wait_dscnt 0x0
	v_add_f64_e32 v[0:1], v[80:81], v[0:1]
	s_delay_alu instid0(VALU_DEP_1) | instskip(SKIP_4) | instid1(VALU_DEP_1)
	v_add_f64_e32 v[0:1], v[82:83], v[0:1]
	ds_load_2addr_stride64_b64 v[38:41], v69 offset0:5 offset1:6
	ds_load_2addr_stride64_b64 v[80:83], v69 offset0:7 offset1:8
	s_wait_dscnt 0x1
	v_add_f64_e32 v[0:1], v[38:39], v[0:1]
	v_add_f64_e32 v[0:1], v[40:41], v[0:1]
	s_wait_dscnt 0x0
	s_delay_alu instid0(VALU_DEP_1) | instskip(NEXT) | instid1(VALU_DEP_1)
	v_add_f64_e32 v[0:1], v[80:81], v[0:1]
	v_add_f64_e32 v[0:1], v[82:83], v[0:1]
	ds_load_2addr_stride64_b64 v[38:41], v69 offset0:9 offset1:10
	ds_load_2addr_stride64_b64 v[80:83], v69 offset0:11 offset1:12
	s_wait_dscnt 0x1
	v_add_f64_e32 v[0:1], v[38:39], v[0:1]
	s_delay_alu instid0(VALU_DEP_1) | instskip(SKIP_4) | instid1(VALU_DEP_1)
	v_add_f64_e32 v[0:1], v[40:41], v[0:1]
	ds_load_2addr_stride64_b64 v[38:41], v69 offset0:13 offset1:14
	ds_load_b64 v[32:33], v69 offset:7680
	s_wait_dscnt 0x2
	v_add_f64_e32 v[0:1], v[80:81], v[0:1]
	v_add_f64_e32 v[0:1], v[82:83], v[0:1]
	s_wait_dscnt 0x1
	s_delay_alu instid0(VALU_DEP_1) | instskip(NEXT) | instid1(VALU_DEP_1)
	v_add_f64_e32 v[0:1], v[38:39], v[0:1]
	v_add_f64_e32 v[0:1], v[40:41], v[0:1]
	s_wait_dscnt 0x0
	s_delay_alu instid0(VALU_DEP_1) | instskip(SKIP_1) | instid1(SALU_CYCLE_1)
	v_add_f64_e32 v[32:33], v[32:33], v[0:1]
	s_or_b32 exec_lo, exec_lo, s97
	s_and_b32 vcc_lo, exec_lo, s10
	s_cbranch_vccnz .LBB124_997
	s_branch .LBB124_1034
.LBB124_996:                            ;   in Loop: Header=BB124_3 Depth=1
	s_mov_b32 s96, 0
                                        ; implicit-def: $vgpr32_vgpr33
	s_cbranch_execz .LBB124_1034
.LBB124_997:                            ;   in Loop: Header=BB124_3 Depth=1
	v_dual_mov_b32 v0, v78 :: v_dual_mov_b32 v1, v77
	s_mov_b32 s10, 63
	s_branch .LBB124_999
.LBB124_998:                            ;   in Loop: Header=BB124_999 Depth=2
	s_or_b32 exec_lo, exec_lo, s6
	v_add_nc_u32_e32 v1, 0xfffff800, v1
	v_add_nc_u32_e32 v0, 4, v0
	s_add_co_i32 s10, s10, -4
	s_cmp_lg_u32 s97, 0
	s_barrier_signal -1
	s_barrier_wait -1
	s_cbranch_scc0 .LBB124_1015
.LBB124_999:                            ;   Parent Loop BB124_3 Depth=1
                                        ; =>  This Inner Loop Header: Depth=2
	s_delay_alu instid0(VALU_DEP_1) | instskip(SKIP_1) | instid1(SALU_CYCLE_1)
	v_cmp_eq_u32_e32 vcc_lo, 0, v0
	s_and_b32 s7, s5, vcc_lo
	s_and_saveexec_b32 s6, s7
	s_cbranch_execz .LBB124_1001
; %bb.1000:                             ;   in Loop: Header=BB124_999 Depth=2
	ds_load_b64 v[32:33], v72
	s_wait_dscnt 0x0
	v_mul_f64_e32 v[36:37], v[36:37], v[32:33]
	ds_store_b64 v5, v[36:37] offset:41472
.LBB124_1001:                           ;   in Loop: Header=BB124_999 Depth=2
	s_or_b32 exec_lo, exec_lo, s6
	v_cmp_gt_u32_e32 vcc_lo, s10, v2
	s_wait_dscnt 0x0
	s_barrier_signal -1
	s_barrier_wait -1
	s_and_b32 s7, s5, vcc_lo
	s_delay_alu instid0(SALU_CYCLE_1)
	s_and_saveexec_b32 s6, s7
	s_cbranch_execz .LBB124_1003
; %bb.1002:                             ;   in Loop: Header=BB124_999 Depth=2
	ds_load_b64 v[32:33], v1 offset:1536
	ds_load_b64 v[38:39], v5 offset:41472
	s_wait_dscnt 0x0
	v_fmac_f64_e32 v[36:37], v[32:33], v[38:39]
.LBB124_1003:                           ;   in Loop: Header=BB124_999 Depth=2
	s_or_b32 exec_lo, exec_lo, s6
	s_add_co_i32 s6, s10, -1
	s_delay_alu instid0(SALU_CYCLE_1) | instskip(SKIP_3) | instid1(SALU_CYCLE_1)
	v_cmp_eq_u32_e32 vcc_lo, s6, v2
	s_barrier_signal -1
	s_barrier_wait -1
	s_and_b32 s8, s5, vcc_lo
	s_and_saveexec_b32 s7, s8
	s_cbranch_execz .LBB124_1005
; %bb.1004:                             ;   in Loop: Header=BB124_999 Depth=2
	ds_load_b64 v[32:33], v72
	s_wait_dscnt 0x0
	v_mul_f64_e32 v[36:37], v[36:37], v[32:33]
	ds_store_b64 v5, v[36:37] offset:41472
.LBB124_1005:                           ;   in Loop: Header=BB124_999 Depth=2
	s_or_b32 exec_lo, exec_lo, s7
	v_cmp_gt_u32_e32 vcc_lo, s6, v2
	s_wait_dscnt 0x0
	s_barrier_signal -1
	s_barrier_wait -1
	s_and_b32 s7, s5, vcc_lo
	s_delay_alu instid0(SALU_CYCLE_1)
	s_and_saveexec_b32 s6, s7
	s_cbranch_execz .LBB124_1007
; %bb.1006:                             ;   in Loop: Header=BB124_999 Depth=2
	ds_load_b64 v[32:33], v1 offset:1024
	ds_load_b64 v[38:39], v5 offset:41472
	s_wait_dscnt 0x0
	v_fmac_f64_e32 v[36:37], v[32:33], v[38:39]
.LBB124_1007:                           ;   in Loop: Header=BB124_999 Depth=2
	s_or_b32 exec_lo, exec_lo, s6
	s_add_co_i32 s6, s10, -2
	s_delay_alu instid0(SALU_CYCLE_1) | instskip(SKIP_3) | instid1(SALU_CYCLE_1)
	v_cmp_eq_u32_e32 vcc_lo, s6, v2
	s_barrier_signal -1
	s_barrier_wait -1
	;; [unrolled: 30-line block ×3, first 2 shown]
	s_and_b32 s7, s5, vcc_lo
	s_and_saveexec_b32 s6, s7
	s_cbranch_execz .LBB124_1013
; %bb.1012:                             ;   in Loop: Header=BB124_999 Depth=2
	ds_load_b64 v[32:33], v72
	s_wait_dscnt 0x0
	v_mul_f64_e32 v[36:37], v[36:37], v[32:33]
	ds_store_b64 v5, v[36:37] offset:41472
.LBB124_1013:                           ;   in Loop: Header=BB124_999 Depth=2
	s_or_b32 exec_lo, exec_lo, s6
	v_cmp_gt_u32_e32 vcc_lo, s97, v2
	s_wait_dscnt 0x0
	s_barrier_signal -1
	s_barrier_wait -1
	s_and_b32 s7, s5, vcc_lo
	s_delay_alu instid0(SALU_CYCLE_1)
	s_and_saveexec_b32 s6, s7
	s_cbranch_execz .LBB124_998
; %bb.1014:                             ;   in Loop: Header=BB124_999 Depth=2
	ds_load_b64 v[32:33], v1
	ds_load_b64 v[38:39], v5 offset:41472
	s_wait_dscnt 0x0
	v_fmac_f64_e32 v[36:37], v[32:33], v[38:39]
	s_branch .LBB124_998
.LBB124_1015:                           ;   in Loop: Header=BB124_3 Depth=1
	s_and_b32 vcc_lo, exec_lo, s100
	s_mov_b32 s6, -1
	s_cbranch_vccnz .LBB124_1035
; %bb.1016:                             ;   in Loop: Header=BB124_3 Depth=1
	s_and_not1_b32 vcc_lo, exec_lo, s6
	s_cbranch_vccz .LBB124_1036
.LBB124_1017:                           ;   in Loop: Header=BB124_3 Depth=1
	s_and_saveexec_b32 s6, s96
	s_cbranch_execz .LBB124_1019
.LBB124_1018:                           ;   in Loop: Header=BB124_3 Depth=1
	v_lshl_add_u64 v[0:1], v[10:11], 3, v[34:35]
	flat_store_b64 v[0:1], v[36:37]
.LBB124_1019:                           ;   in Loop: Header=BB124_3 Depth=1
	s_wait_xcnt 0x0
	s_or_b32 exec_lo, exec_lo, s6
	global_wb scope:SCOPE_DEV
	s_wait_storecnt_dscnt 0x0
	global_inv scope:SCOPE_DEV
	s_wait_loadcnt 0x0
	s_barrier_signal -1
	s_barrier_wait -1
	s_and_saveexec_b32 s6, s59
	s_cbranch_execz .LBB124_2
; %bb.1020:                             ;   in Loop: Header=BB124_3 Depth=1
	s_lshl_b64 s[10:11], s[70:71], 2
	s_delay_alu instid0(SALU_CYCLE_1)
	s_add_nc_u64 s[10:11], s[88:89], s[10:11]
	global_load_b32 v0, v5, s[10:11]
	s_wait_loadcnt 0x0
	v_add_nc_u32_e32 v0, 1, v0
	global_store_b32 v5, v0, s[10:11]
	s_branch .LBB124_2
.LBB124_1021:                           ;   in Loop: Header=BB124_3 Depth=1
	s_mov_b32 s11, 0
	s_mov_b32 s6, exec_lo
	v_readlane_b32 s7, v86, 22
	s_and_b32 s7, s6, s7
	s_delay_alu instid0(SALU_CYCLE_1)
	s_xor_b32 s6, s7, s6
	s_mov_b32 exec_lo, s7
	s_cbranch_execz .LBB124_1023
; %bb.1022:                             ;   in Loop: Header=BB124_3 Depth=1
	v_readlane_b32 s7, v84, 4
	s_and_b32 s11, s7, exec_lo
.LBB124_1023:                           ;   in Loop: Header=BB124_3 Depth=1
	s_or_saveexec_b32 s6, s6
	v_mov_b64_e32 v[36:37], 0
	s_xor_b32 exec_lo, exec_lo, s6
	s_cbranch_execz .LBB124_1025
; %bb.1024:                             ;   in Loop: Header=BB124_3 Depth=1
	v_lshl_add_u64 v[36:37], v[12:13], 3, v[0:1]
	s_or_b32 s11, s11, exec_lo
	flat_load_b64 v[36:37], v[36:37]
	s_wait_loadcnt_dscnt 0x0
	v_div_scale_f64 v[38:39], null, v[36:37], v[36:37], 1.0
	s_delay_alu instid0(VALU_DEP_1) | instskip(SKIP_1) | instid1(TRANS32_DEP_1)
	v_rcp_f64_e32 v[40:41], v[38:39]
	v_nop
	v_fma_f64 v[80:81], -v[38:39], v[40:41], 1.0
	s_delay_alu instid0(VALU_DEP_1) | instskip(NEXT) | instid1(VALU_DEP_1)
	v_fmac_f64_e32 v[40:41], v[40:41], v[80:81]
	v_fma_f64 v[80:81], -v[38:39], v[40:41], 1.0
	s_delay_alu instid0(VALU_DEP_1) | instskip(SKIP_1) | instid1(VALU_DEP_1)
	v_fmac_f64_e32 v[40:41], v[40:41], v[80:81]
	v_div_scale_f64 v[80:81], vcc_lo, 1.0, v[36:37], 1.0
	v_mul_f64_e32 v[82:83], v[80:81], v[40:41]
	s_delay_alu instid0(VALU_DEP_1) | instskip(NEXT) | instid1(VALU_DEP_1)
	v_fma_f64 v[38:39], -v[38:39], v[82:83], v[80:81]
	v_div_fmas_f64 v[38:39], v[38:39], v[40:41], v[82:83]
	s_delay_alu instid0(VALU_DEP_1)
	v_div_fixup_f64 v[36:37], v[38:39], v[36:37], 1.0
.LBB124_1025:                           ;   in Loop: Header=BB124_3 Depth=1
	s_or_b32 exec_lo, exec_lo, s6
	s_delay_alu instid0(SALU_CYCLE_1)
	s_and_b32 s6, s11, exec_lo
	s_and_not1_saveexec_b32 s7, s10
	s_cbranch_execz .LBB124_16
.LBB124_1026:                           ;   in Loop: Header=BB124_3 Depth=1
	v_lshl_add_u64 v[36:37], v[12:13], 3, v[0:1]
	s_or_b32 s6, s6, exec_lo
	flat_load_b64 v[36:37], v[36:37]
	s_wait_loadcnt_dscnt 0x0
	v_xor_b32_e32 v37, 0x80000000, v37
	s_or_b32 exec_lo, exec_lo, s7
	s_and_saveexec_b32 s7, s6
	s_cbranch_execnz .LBB124_17
	s_branch .LBB124_18
.LBB124_1027:                           ;   in Loop: Header=BB124_3 Depth=1
	s_mov_b32 s11, 0
	s_mov_b32 s6, exec_lo
	v_readlane_b32 s7, v86, 23
	s_and_b32 s7, s6, s7
	s_delay_alu instid0(SALU_CYCLE_1)
	s_xor_b32 s6, s7, s6
	s_mov_b32 exec_lo, s7
	s_cbranch_execz .LBB124_1029
; %bb.1028:                             ;   in Loop: Header=BB124_3 Depth=1
	v_readlane_b32 s7, v84, 4
	s_and_b32 s11, s7, exec_lo
.LBB124_1029:                           ;   in Loop: Header=BB124_3 Depth=1
	s_or_saveexec_b32 s6, s6
	v_mov_b64_e32 v[36:37], 0
	s_xor_b32 exec_lo, exec_lo, s6
	s_cbranch_execz .LBB124_1031
; %bb.1030:                             ;   in Loop: Header=BB124_3 Depth=1
	v_lshl_add_u64 v[36:37], v[12:13], 3, v[0:1]
	s_or_b32 s11, s11, exec_lo
	flat_load_b64 v[36:37], v[36:37]
	s_wait_loadcnt_dscnt 0x0
	v_div_scale_f64 v[38:39], null, v[36:37], v[36:37], 1.0
	s_delay_alu instid0(VALU_DEP_1) | instskip(SKIP_1) | instid1(TRANS32_DEP_1)
	v_rcp_f64_e32 v[40:41], v[38:39]
	v_nop
	v_fma_f64 v[80:81], -v[38:39], v[40:41], 1.0
	s_delay_alu instid0(VALU_DEP_1) | instskip(NEXT) | instid1(VALU_DEP_1)
	v_fmac_f64_e32 v[40:41], v[40:41], v[80:81]
	v_fma_f64 v[80:81], -v[38:39], v[40:41], 1.0
	s_delay_alu instid0(VALU_DEP_1) | instskip(SKIP_1) | instid1(VALU_DEP_1)
	v_fmac_f64_e32 v[40:41], v[40:41], v[80:81]
	v_div_scale_f64 v[80:81], vcc_lo, 1.0, v[36:37], 1.0
	v_mul_f64_e32 v[82:83], v[80:81], v[40:41]
	s_delay_alu instid0(VALU_DEP_1) | instskip(NEXT) | instid1(VALU_DEP_1)
	v_fma_f64 v[38:39], -v[38:39], v[82:83], v[80:81]
	v_div_fmas_f64 v[38:39], v[38:39], v[40:41], v[82:83]
	s_delay_alu instid0(VALU_DEP_1)
	v_div_fixup_f64 v[36:37], v[38:39], v[36:37], 1.0
.LBB124_1031:                           ;   in Loop: Header=BB124_3 Depth=1
	s_or_b32 exec_lo, exec_lo, s6
	s_delay_alu instid0(SALU_CYCLE_1)
	s_and_b32 s6, s11, exec_lo
	s_and_not1_saveexec_b32 s7, s10
	s_cbranch_execz .LBB124_52
.LBB124_1032:                           ;   in Loop: Header=BB124_3 Depth=1
	v_lshl_add_u64 v[36:37], v[12:13], 3, v[0:1]
	s_or_b32 s6, s6, exec_lo
	flat_load_b64 v[36:37], v[36:37]
	s_wait_loadcnt_dscnt 0x0
	v_xor_b32_e32 v37, 0x80000000, v37
	s_or_b32 exec_lo, exec_lo, s7
	s_and_saveexec_b32 s7, s6
	s_cbranch_execnz .LBB124_53
	s_branch .LBB124_54
.LBB124_1033:                           ;   in Loop: Header=BB124_3 Depth=1
	s_or_b32 exec_lo, exec_lo, s97
	s_delay_alu instid0(SALU_CYCLE_1)
	s_and_b32 vcc_lo, exec_lo, s10
	s_cbranch_vccnz .LBB124_997
.LBB124_1034:                           ;   in Loop: Header=BB124_3 Depth=1
	s_delay_alu instid0(VALU_DEP_1)
	v_mov_b64_e32 v[36:37], v[32:33]
	s_and_saveexec_b32 s6, s96
	s_cbranch_execnz .LBB124_1018
	s_branch .LBB124_1019
.LBB124_1035:                           ;   in Loop: Header=BB124_3 Depth=1
	s_and_not1_b32 s7, s96, exec_lo
	s_and_b32 s8, s5, exec_lo
	s_delay_alu instid0(SALU_CYCLE_1)
	s_or_b32 s96, s7, s8
	s_cbranch_execnz .LBB124_1017
.LBB124_1036:                           ;   in Loop: Header=BB124_3 Depth=1
	v_readlane_b32 s7, v86, 9
	s_and_not1_b32 s6, s96, exec_lo
	s_and_b32 s7, s7, exec_lo
	s_delay_alu instid0(SALU_CYCLE_1) | instskip(NEXT) | instid1(SALU_CYCLE_1)
	s_or_b32 s96, s6, s7
	s_and_saveexec_b32 s6, s96
	s_cbranch_execnz .LBB124_1018
	s_branch .LBB124_1019
.LBB124_1037:                           ;   in Loop: Header=BB124_3 Depth=1
	ds_load_b64 v[38:39], v49 offset:31680
	ds_load_b64 v[40:41], v48 offset:32744
	s_wait_dscnt 0x0
	v_fmac_f64_e32 v[36:37], v[38:39], v[40:41]
	s_or_b32 exec_lo, exec_lo, s6
	s_and_saveexec_b32 s6, s17
	s_cbranch_execz .LBB124_105
.LBB124_1038:                           ;   in Loop: Header=BB124_3 Depth=1
	ds_load_b64 v[38:39], v49 offset:32192
	ds_load_b64 v[40:41], v48 offset:32752
	s_wait_dscnt 0x0
	v_fmac_f64_e32 v[36:37], v[38:39], v[40:41]
	s_or_b32 exec_lo, exec_lo, s6
	s_and_saveexec_b32 s6, s1
	s_cbranch_execnz .LBB124_106
	s_branch .LBB124_107
.LBB124_1039:                           ;   in Loop: Header=BB124_3 Depth=1
	ds_load_b64 v[38:39], v53 offset:29568
	ds_load_b64 v[40:41], v52 offset:32712
	s_wait_dscnt 0x0
	v_fmac_f64_e32 v[36:37], v[38:39], v[40:41]
	s_or_b32 exec_lo, exec_lo, s6
	s_and_saveexec_b32 s6, s19
	s_cbranch_execz .LBB124_143
.LBB124_1040:                           ;   in Loop: Header=BB124_3 Depth=1
	ds_load_b64 v[38:39], v53 offset:30080
	ds_load_b64 v[40:41], v52 offset:32720
	s_wait_dscnt 0x0
	v_fmac_f64_e32 v[36:37], v[38:39], v[40:41]
	s_or_b32 exec_lo, exec_lo, s6
	s_and_saveexec_b32 s6, s20
	s_cbranch_execz .LBB124_144
.LBB124_1041:                           ;   in Loop: Header=BB124_3 Depth=1
	ds_load_b64 v[38:39], v53 offset:30592
	ds_load_b64 v[40:41], v52 offset:32728
	s_wait_dscnt 0x0
	v_fmac_f64_e32 v[36:37], v[38:39], v[40:41]
	s_or_b32 exec_lo, exec_lo, s6
	s_and_saveexec_b32 s6, s21
	s_cbranch_execz .LBB124_145
.LBB124_1042:                           ;   in Loop: Header=BB124_3 Depth=1
	ds_load_b64 v[38:39], v53 offset:31104
	ds_load_b64 v[40:41], v52 offset:32736
	s_wait_dscnt 0x0
	v_fmac_f64_e32 v[36:37], v[38:39], v[40:41]
	s_or_b32 exec_lo, exec_lo, s6
	s_and_saveexec_b32 s6, s22
	s_cbranch_execz .LBB124_146
.LBB124_1043:                           ;   in Loop: Header=BB124_3 Depth=1
	ds_load_b64 v[38:39], v53 offset:31616
	ds_load_b64 v[40:41], v52 offset:32744
	s_wait_dscnt 0x0
	v_fmac_f64_e32 v[36:37], v[38:39], v[40:41]
	s_or_b32 exec_lo, exec_lo, s6
	s_and_saveexec_b32 s6, s2
	s_cbranch_execz .LBB124_147
.LBB124_1044:                           ;   in Loop: Header=BB124_3 Depth=1
	ds_load_b64 v[38:39], v53 offset:32128
	ds_load_b64 v[40:41], v52 offset:32752
	s_wait_dscnt 0x0
	v_fmac_f64_e32 v[36:37], v[38:39], v[40:41]
	s_or_b32 exec_lo, exec_lo, s6
	s_and_saveexec_b32 s6, s17
	s_cbranch_execnz .LBB124_148
	s_branch .LBB124_149
.LBB124_1045:                           ;   in Loop: Header=BB124_3 Depth=1
	ds_load_b64 v[38:39], v49 offset:27520
	ds_load_b64 v[40:41], v48 offset:28584
	s_wait_dscnt 0x0
	v_fmac_f64_e32 v[36:37], v[38:39], v[40:41]
	s_or_b32 exec_lo, exec_lo, s6
	s_and_saveexec_b32 s6, s17
	s_cbranch_execz .LBB124_201
.LBB124_1046:                           ;   in Loop: Header=BB124_3 Depth=1
	ds_load_b64 v[38:39], v49 offset:28032
	ds_load_b64 v[40:41], v48 offset:28592
	s_wait_dscnt 0x0
	v_fmac_f64_e32 v[36:37], v[38:39], v[40:41]
	s_or_b32 exec_lo, exec_lo, s6
	s_and_saveexec_b32 s6, s1
	s_cbranch_execnz .LBB124_202
	s_branch .LBB124_203
.LBB124_1047:                           ;   in Loop: Header=BB124_3 Depth=1
	ds_load_b64 v[38:39], v57 offset:30464
	ds_load_b64 v[40:41], v56 offset:32728
	s_wait_dscnt 0x0
	v_fmac_f64_e32 v[36:37], v[38:39], v[40:41]
	s_or_b32 exec_lo, exec_lo, s6
	s_and_saveexec_b32 s6, s3
	s_cbranch_execz .LBB124_259
.LBB124_1048:                           ;   in Loop: Header=BB124_3 Depth=1
	ds_load_b64 v[38:39], v57 offset:30976
	ds_load_b64 v[40:41], v56 offset:32736
	s_wait_dscnt 0x0
	v_fmac_f64_e32 v[36:37], v[38:39], v[40:41]
	s_or_b32 exec_lo, exec_lo, s6
	s_and_saveexec_b32 s6, s19
	s_cbranch_execz .LBB124_260
.LBB124_1049:                           ;   in Loop: Header=BB124_3 Depth=1
	ds_load_b64 v[38:39], v57 offset:31488
	ds_load_b64 v[40:41], v56 offset:32744
	s_wait_dscnt 0x0
	v_fmac_f64_e32 v[36:37], v[38:39], v[40:41]
	s_or_b32 exec_lo, exec_lo, s6
	s_and_saveexec_b32 s6, s21
	s_cbranch_execz .LBB124_261
.LBB124_1050:                           ;   in Loop: Header=BB124_3 Depth=1
	ds_load_b64 v[38:39], v57 offset:32000
	ds_load_b64 v[40:41], v56 offset:32752
	s_wait_dscnt 0x0
	v_fmac_f64_e32 v[36:37], v[38:39], v[40:41]
	s_or_b32 exec_lo, exec_lo, s6
	s_and_saveexec_b32 s6, s2
	s_cbranch_execnz .LBB124_262
	s_branch .LBB124_263
.LBB124_1051:                           ;   in Loop: Header=BB124_3 Depth=1
	ds_load_b64 v[38:39], v49 offset:23360
	ds_load_b64 v[40:41], v48 offset:24424
	s_wait_dscnt 0x0
	v_fmac_f64_e32 v[36:37], v[38:39], v[40:41]
	s_or_b32 exec_lo, exec_lo, s6
	s_and_saveexec_b32 s6, s17
	s_cbranch_execz .LBB124_347
.LBB124_1052:                           ;   in Loop: Header=BB124_3 Depth=1
	ds_load_b64 v[38:39], v49 offset:23872
	ds_load_b64 v[40:41], v48 offset:24432
	s_wait_dscnt 0x0
	v_fmac_f64_e32 v[36:37], v[38:39], v[40:41]
	s_or_b32 exec_lo, exec_lo, s6
	s_and_saveexec_b32 s6, s1
	s_cbranch_execnz .LBB124_348
	s_branch .LBB124_349
.LBB124_1053:                           ;   in Loop: Header=BB124_3 Depth=1
	ds_load_b64 v[38:39], v53 offset:21248
	ds_load_b64 v[40:41], v52 offset:24392
	s_wait_dscnt 0x0
	v_fmac_f64_e32 v[36:37], v[38:39], v[40:41]
	s_or_b32 exec_lo, exec_lo, s6
	s_and_saveexec_b32 s6, s19
	s_cbranch_execz .LBB124_385
.LBB124_1054:                           ;   in Loop: Header=BB124_3 Depth=1
	ds_load_b64 v[38:39], v53 offset:21760
	ds_load_b64 v[40:41], v52 offset:24400
	s_wait_dscnt 0x0
	v_fmac_f64_e32 v[36:37], v[38:39], v[40:41]
	s_or_b32 exec_lo, exec_lo, s6
	s_and_saveexec_b32 s6, s20
	s_cbranch_execz .LBB124_386
.LBB124_1055:                           ;   in Loop: Header=BB124_3 Depth=1
	ds_load_b64 v[38:39], v53 offset:22272
	ds_load_b64 v[40:41], v52 offset:24408
	s_wait_dscnt 0x0
	v_fmac_f64_e32 v[36:37], v[38:39], v[40:41]
	s_or_b32 exec_lo, exec_lo, s6
	s_and_saveexec_b32 s6, s21
	s_cbranch_execz .LBB124_387
.LBB124_1056:                           ;   in Loop: Header=BB124_3 Depth=1
	ds_load_b64 v[38:39], v53 offset:22784
	ds_load_b64 v[40:41], v52 offset:24416
	s_wait_dscnt 0x0
	v_fmac_f64_e32 v[36:37], v[38:39], v[40:41]
	s_or_b32 exec_lo, exec_lo, s6
	s_and_saveexec_b32 s6, s22
	s_cbranch_execz .LBB124_388
.LBB124_1057:                           ;   in Loop: Header=BB124_3 Depth=1
	ds_load_b64 v[38:39], v53 offset:23296
	ds_load_b64 v[40:41], v52 offset:24424
	s_wait_dscnt 0x0
	v_fmac_f64_e32 v[36:37], v[38:39], v[40:41]
	s_or_b32 exec_lo, exec_lo, s6
	s_and_saveexec_b32 s6, s2
	s_cbranch_execz .LBB124_389
.LBB124_1058:                           ;   in Loop: Header=BB124_3 Depth=1
	ds_load_b64 v[38:39], v53 offset:23808
	ds_load_b64 v[40:41], v52 offset:24432
	s_wait_dscnt 0x0
	v_fmac_f64_e32 v[36:37], v[38:39], v[40:41]
	s_or_b32 exec_lo, exec_lo, s6
	s_and_saveexec_b32 s6, s17
	s_cbranch_execnz .LBB124_390
	s_branch .LBB124_391
.LBB124_1059:                           ;   in Loop: Header=BB124_3 Depth=1
	ds_load_b64 v[38:39], v49 offset:19200
	ds_load_b64 v[40:41], v48 offset:20264
	s_wait_dscnt 0x0
	v_fmac_f64_e32 v[36:37], v[38:39], v[40:41]
	s_or_b32 exec_lo, exec_lo, s6
	s_and_saveexec_b32 s6, s17
	s_cbranch_execz .LBB124_443
.LBB124_1060:                           ;   in Loop: Header=BB124_3 Depth=1
	ds_load_b64 v[38:39], v49 offset:19712
	ds_load_b64 v[40:41], v48 offset:20272
	s_wait_dscnt 0x0
	v_fmac_f64_e32 v[36:37], v[38:39], v[40:41]
	s_or_b32 exec_lo, exec_lo, s6
	s_and_saveexec_b32 s6, s1
	s_cbranch_execnz .LBB124_444
	s_branch .LBB124_445
.LBB124_1061:                           ;   in Loop: Header=BB124_3 Depth=1
	ds_load_b64 v[38:39], v62 offset:31232
	ds_load_b64 v[40:41], v61 offset:32744
	s_wait_dscnt 0x0
	v_fmac_f64_e32 v[36:37], v[38:39], v[40:41]
	s_or_b32 exec_lo, exec_lo, s6
	s_and_saveexec_b32 s6, s3
	s_cbranch_execz .LBB124_537
.LBB124_1062:                           ;   in Loop: Header=BB124_3 Depth=1
	ds_load_b64 v[38:39], v62 offset:31744
	ds_load_b64 v[40:41], v61 offset:32752
	s_wait_dscnt 0x0
	v_fmac_f64_e32 v[36:37], v[38:39], v[40:41]
	s_or_b32 exec_lo, exec_lo, s6
	s_and_saveexec_b32 s6, s21
	s_delay_alu instid0(SALU_CYCLE_1)
	s_xor_b32 s6, exec_lo, s6
	s_cbranch_execnz .LBB124_538
	s_branch .LBB124_539
.LBB124_1063:                           ;   in Loop: Header=BB124_3 Depth=1
	ds_load_b64 v[38:39], v49 offset:15040
	ds_load_b64 v[40:41], v48 offset:16104
	s_wait_dscnt 0x0
	v_fmac_f64_e32 v[36:37], v[38:39], v[40:41]
	s_or_b32 exec_lo, exec_lo, s6
	s_and_saveexec_b32 s6, s17
	s_cbranch_execz .LBB124_579
.LBB124_1064:                           ;   in Loop: Header=BB124_3 Depth=1
	ds_load_b64 v[38:39], v49 offset:15552
	ds_load_b64 v[40:41], v48 offset:16112
	s_wait_dscnt 0x0
	v_fmac_f64_e32 v[36:37], v[38:39], v[40:41]
	s_or_b32 exec_lo, exec_lo, s6
	s_and_saveexec_b32 s6, s1
	s_cbranch_execnz .LBB124_580
	s_branch .LBB124_581
.LBB124_1065:                           ;   in Loop: Header=BB124_3 Depth=1
	ds_load_b64 v[38:39], v53 offset:12928
	ds_load_b64 v[40:41], v52 offset:16072
	s_wait_dscnt 0x0
	v_fmac_f64_e32 v[36:37], v[38:39], v[40:41]
	s_or_b32 exec_lo, exec_lo, s6
	s_and_saveexec_b32 s6, s19
	s_cbranch_execz .LBB124_617
.LBB124_1066:                           ;   in Loop: Header=BB124_3 Depth=1
	ds_load_b64 v[38:39], v53 offset:13440
	ds_load_b64 v[40:41], v52 offset:16080
	s_wait_dscnt 0x0
	v_fmac_f64_e32 v[36:37], v[38:39], v[40:41]
	s_or_b32 exec_lo, exec_lo, s6
	s_and_saveexec_b32 s6, s20
	s_cbranch_execz .LBB124_618
.LBB124_1067:                           ;   in Loop: Header=BB124_3 Depth=1
	ds_load_b64 v[38:39], v53 offset:13952
	ds_load_b64 v[40:41], v52 offset:16088
	s_wait_dscnt 0x0
	v_fmac_f64_e32 v[36:37], v[38:39], v[40:41]
	s_or_b32 exec_lo, exec_lo, s6
	s_and_saveexec_b32 s6, s21
	s_cbranch_execz .LBB124_619
.LBB124_1068:                           ;   in Loop: Header=BB124_3 Depth=1
	ds_load_b64 v[38:39], v53 offset:14464
	ds_load_b64 v[40:41], v52 offset:16096
	s_wait_dscnt 0x0
	v_fmac_f64_e32 v[36:37], v[38:39], v[40:41]
	s_or_b32 exec_lo, exec_lo, s6
	s_and_saveexec_b32 s6, s22
	s_cbranch_execz .LBB124_620
.LBB124_1069:                           ;   in Loop: Header=BB124_3 Depth=1
	ds_load_b64 v[38:39], v53 offset:14976
	ds_load_b64 v[40:41], v52 offset:16104
	s_wait_dscnt 0x0
	v_fmac_f64_e32 v[36:37], v[38:39], v[40:41]
	s_or_b32 exec_lo, exec_lo, s6
	s_and_saveexec_b32 s6, s2
	s_cbranch_execz .LBB124_621
.LBB124_1070:                           ;   in Loop: Header=BB124_3 Depth=1
	ds_load_b64 v[38:39], v53 offset:15488
	ds_load_b64 v[40:41], v52 offset:16112
	s_wait_dscnt 0x0
	v_fmac_f64_e32 v[36:37], v[38:39], v[40:41]
	s_or_b32 exec_lo, exec_lo, s6
	s_and_saveexec_b32 s6, s17
	s_cbranch_execnz .LBB124_622
	s_branch .LBB124_623
.LBB124_1071:                           ;   in Loop: Header=BB124_3 Depth=1
	ds_load_b64 v[38:39], v49 offset:10880
	ds_load_b64 v[40:41], v48 offset:11944
	s_wait_dscnt 0x0
	v_fmac_f64_e32 v[36:37], v[38:39], v[40:41]
	s_or_b32 exec_lo, exec_lo, s6
	s_and_saveexec_b32 s6, s17
	s_cbranch_execz .LBB124_675
.LBB124_1072:                           ;   in Loop: Header=BB124_3 Depth=1
	ds_load_b64 v[38:39], v49 offset:11392
	ds_load_b64 v[40:41], v48 offset:11952
	s_wait_dscnt 0x0
	v_fmac_f64_e32 v[36:37], v[38:39], v[40:41]
	s_or_b32 exec_lo, exec_lo, s6
	s_and_saveexec_b32 s6, s1
	s_cbranch_execnz .LBB124_676
	s_branch .LBB124_677
.LBB124_1073:                           ;   in Loop: Header=BB124_3 Depth=1
	ds_load_b64 v[38:39], v57 offset:13824
	ds_load_b64 v[40:41], v56 offset:16088
	s_wait_dscnt 0x0
	v_fmac_f64_e32 v[36:37], v[38:39], v[40:41]
	s_or_b32 exec_lo, exec_lo, s6
	s_and_saveexec_b32 s6, s3
	s_cbranch_execz .LBB124_733
.LBB124_1074:                           ;   in Loop: Header=BB124_3 Depth=1
	ds_load_b64 v[38:39], v57 offset:14336
	ds_load_b64 v[40:41], v56 offset:16096
	s_wait_dscnt 0x0
	v_fmac_f64_e32 v[36:37], v[38:39], v[40:41]
	s_or_b32 exec_lo, exec_lo, s6
	s_and_saveexec_b32 s6, s19
	s_cbranch_execz .LBB124_734
.LBB124_1075:                           ;   in Loop: Header=BB124_3 Depth=1
	ds_load_b64 v[38:39], v57 offset:14848
	ds_load_b64 v[40:41], v56 offset:16104
	s_wait_dscnt 0x0
	v_fmac_f64_e32 v[36:37], v[38:39], v[40:41]
	s_or_b32 exec_lo, exec_lo, s6
	s_and_saveexec_b32 s6, s21
	s_cbranch_execz .LBB124_735
.LBB124_1076:                           ;   in Loop: Header=BB124_3 Depth=1
	ds_load_b64 v[38:39], v57 offset:15360
	ds_load_b64 v[40:41], v56 offset:16112
	s_wait_dscnt 0x0
	v_fmac_f64_e32 v[36:37], v[38:39], v[40:41]
	s_or_b32 exec_lo, exec_lo, s6
	s_and_saveexec_b32 s6, s2
	s_cbranch_execnz .LBB124_736
	s_branch .LBB124_737
.LBB124_1077:                           ;   in Loop: Header=BB124_3 Depth=1
	ds_load_b64 v[38:39], v49 offset:6720
	ds_load_b64 v[40:41], v48 offset:7784
	s_wait_dscnt 0x0
	v_fmac_f64_e32 v[36:37], v[38:39], v[40:41]
	s_or_b32 exec_lo, exec_lo, s6
	s_and_saveexec_b32 s6, s17
	s_cbranch_execz .LBB124_821
.LBB124_1078:                           ;   in Loop: Header=BB124_3 Depth=1
	ds_load_b64 v[38:39], v49 offset:7232
	ds_load_b64 v[40:41], v48 offset:7792
	s_wait_dscnt 0x0
	v_fmac_f64_e32 v[36:37], v[38:39], v[40:41]
	s_or_b32 exec_lo, exec_lo, s6
	s_and_saveexec_b32 s6, s1
	s_cbranch_execnz .LBB124_822
	s_branch .LBB124_823
.LBB124_1079:                           ;   in Loop: Header=BB124_3 Depth=1
	ds_load_b64 v[38:39], v53 offset:4608
	ds_load_b64 v[40:41], v52 offset:7752
	s_wait_dscnt 0x0
	v_fmac_f64_e32 v[36:37], v[38:39], v[40:41]
	s_or_b32 exec_lo, exec_lo, s6
	s_and_saveexec_b32 s6, s19
	s_cbranch_execz .LBB124_859
.LBB124_1080:                           ;   in Loop: Header=BB124_3 Depth=1
	ds_load_b64 v[38:39], v53 offset:5120
	ds_load_b64 v[40:41], v52 offset:7760
	s_wait_dscnt 0x0
	v_fmac_f64_e32 v[36:37], v[38:39], v[40:41]
	s_or_b32 exec_lo, exec_lo, s6
	s_and_saveexec_b32 s6, s20
	s_cbranch_execz .LBB124_860
.LBB124_1081:                           ;   in Loop: Header=BB124_3 Depth=1
	ds_load_b64 v[38:39], v53 offset:5632
	ds_load_b64 v[40:41], v52 offset:7768
	s_wait_dscnt 0x0
	v_fmac_f64_e32 v[36:37], v[38:39], v[40:41]
	s_or_b32 exec_lo, exec_lo, s6
	s_and_saveexec_b32 s6, s21
	s_cbranch_execz .LBB124_861
.LBB124_1082:                           ;   in Loop: Header=BB124_3 Depth=1
	ds_load_b64 v[38:39], v53 offset:6144
	ds_load_b64 v[40:41], v52 offset:7776
	s_wait_dscnt 0x0
	v_fmac_f64_e32 v[36:37], v[38:39], v[40:41]
	s_or_b32 exec_lo, exec_lo, s6
	s_and_saveexec_b32 s6, s22
	s_cbranch_execz .LBB124_862
.LBB124_1083:                           ;   in Loop: Header=BB124_3 Depth=1
	ds_load_b64 v[38:39], v53 offset:6656
	ds_load_b64 v[40:41], v52 offset:7784
	s_wait_dscnt 0x0
	v_fmac_f64_e32 v[36:37], v[38:39], v[40:41]
	s_or_b32 exec_lo, exec_lo, s6
	s_and_saveexec_b32 s6, s2
	s_cbranch_execz .LBB124_863
.LBB124_1084:                           ;   in Loop: Header=BB124_3 Depth=1
	ds_load_b64 v[38:39], v53 offset:7168
	ds_load_b64 v[40:41], v52 offset:7792
	s_wait_dscnt 0x0
	v_fmac_f64_e32 v[36:37], v[38:39], v[40:41]
	s_or_b32 exec_lo, exec_lo, s6
	s_and_saveexec_b32 s6, s17
	s_cbranch_execnz .LBB124_864
	s_branch .LBB124_865
.LBB124_1085:                           ;   in Loop: Header=BB124_3 Depth=1
	ds_load_b64 v[38:39], v49 offset:2560
	ds_load_b64 v[40:41], v48 offset:3624
	s_wait_dscnt 0x0
	v_fmac_f64_e32 v[36:37], v[38:39], v[40:41]
	s_or_b32 exec_lo, exec_lo, s6
	s_and_saveexec_b32 s6, s17
	s_cbranch_execz .LBB124_917
.LBB124_1086:                           ;   in Loop: Header=BB124_3 Depth=1
	ds_load_b64 v[38:39], v49 offset:3072
	ds_load_b64 v[40:41], v48 offset:3632
	s_wait_dscnt 0x0
	v_fmac_f64_e32 v[36:37], v[38:39], v[40:41]
	s_or_b32 exec_lo, exec_lo, s6
	s_and_saveexec_b32 s6, s1
	s_cbranch_execnz .LBB124_918
	s_branch .LBB124_919
.LBB124_1087:
	s_endpgm
	.section	.rodata,"a",@progbits
	.p2align	6, 0x0
	.amdhsa_kernel _ZL19rocblas_trsv_deviceILi64ELi16ELb0ELb0ELb0ELb0EdPKdPKS1_PKPdEviT7_lllT6_T8_lllPii
		.amdhsa_group_segment_fixed_size 41480
		.amdhsa_private_segment_fixed_size 0
		.amdhsa_kernarg_size 352
		.amdhsa_user_sgpr_count 2
		.amdhsa_user_sgpr_dispatch_ptr 0
		.amdhsa_user_sgpr_queue_ptr 0
		.amdhsa_user_sgpr_kernarg_segment_ptr 1
		.amdhsa_user_sgpr_dispatch_id 0
		.amdhsa_user_sgpr_kernarg_preload_length 0
		.amdhsa_user_sgpr_kernarg_preload_offset 0
		.amdhsa_user_sgpr_private_segment_size 0
		.amdhsa_wavefront_size32 1
		.amdhsa_uses_dynamic_stack 0
		.amdhsa_enable_private_segment 0
		.amdhsa_system_sgpr_workgroup_id_x 1
		.amdhsa_system_sgpr_workgroup_id_y 0
		.amdhsa_system_sgpr_workgroup_id_z 1
		.amdhsa_system_sgpr_workgroup_info 0
		.amdhsa_system_vgpr_workitem_id 1
		.amdhsa_next_free_vgpr 87
		.amdhsa_next_free_sgpr 105
		.amdhsa_named_barrier_count 0
		.amdhsa_reserve_vcc 1
		.amdhsa_float_round_mode_32 0
		.amdhsa_float_round_mode_16_64 0
		.amdhsa_float_denorm_mode_32 3
		.amdhsa_float_denorm_mode_16_64 3
		.amdhsa_fp16_overflow 0
		.amdhsa_memory_ordered 1
		.amdhsa_forward_progress 1
		.amdhsa_inst_pref_size 255
		.amdhsa_round_robin_scheduling 0
		.amdhsa_exception_fp_ieee_invalid_op 0
		.amdhsa_exception_fp_denorm_src 0
		.amdhsa_exception_fp_ieee_div_zero 0
		.amdhsa_exception_fp_ieee_overflow 0
		.amdhsa_exception_fp_ieee_underflow 0
		.amdhsa_exception_fp_ieee_inexact 0
		.amdhsa_exception_int_div_zero 0
	.end_amdhsa_kernel
	.section	.text._ZL19rocblas_trsv_deviceILi64ELi16ELb0ELb0ELb0ELb0EdPKdPKS1_PKPdEviT7_lllT6_T8_lllPii,"axG",@progbits,_ZL19rocblas_trsv_deviceILi64ELi16ELb0ELb0ELb0ELb0EdPKdPKS1_PKPdEviT7_lllT6_T8_lllPii,comdat
.Lfunc_end124:
	.size	_ZL19rocblas_trsv_deviceILi64ELi16ELb0ELb0ELb0ELb0EdPKdPKS1_PKPdEviT7_lllT6_T8_lllPii, .Lfunc_end124-_ZL19rocblas_trsv_deviceILi64ELi16ELb0ELb0ELb0ELb0EdPKdPKS1_PKPdEviT7_lllT6_T8_lllPii
                                        ; -- End function
	.set _ZL19rocblas_trsv_deviceILi64ELi16ELb0ELb0ELb0ELb0EdPKdPKS1_PKPdEviT7_lllT6_T8_lllPii.num_vgpr, 87
	.set _ZL19rocblas_trsv_deviceILi64ELi16ELb0ELb0ELb0ELb0EdPKdPKS1_PKPdEviT7_lllT6_T8_lllPii.num_agpr, 0
	.set _ZL19rocblas_trsv_deviceILi64ELi16ELb0ELb0ELb0ELb0EdPKdPKS1_PKPdEviT7_lllT6_T8_lllPii.numbered_sgpr, 105
	.set _ZL19rocblas_trsv_deviceILi64ELi16ELb0ELb0ELb0ELb0EdPKdPKS1_PKPdEviT7_lllT6_T8_lllPii.num_named_barrier, 0
	.set _ZL19rocblas_trsv_deviceILi64ELi16ELb0ELb0ELb0ELb0EdPKdPKS1_PKPdEviT7_lllT6_T8_lllPii.private_seg_size, 0
	.set _ZL19rocblas_trsv_deviceILi64ELi16ELb0ELb0ELb0ELb0EdPKdPKS1_PKPdEviT7_lllT6_T8_lllPii.uses_vcc, 1
	.set _ZL19rocblas_trsv_deviceILi64ELi16ELb0ELb0ELb0ELb0EdPKdPKS1_PKPdEviT7_lllT6_T8_lllPii.uses_flat_scratch, 0
	.set _ZL19rocblas_trsv_deviceILi64ELi16ELb0ELb0ELb0ELb0EdPKdPKS1_PKPdEviT7_lllT6_T8_lllPii.has_dyn_sized_stack, 0
	.set _ZL19rocblas_trsv_deviceILi64ELi16ELb0ELb0ELb0ELb0EdPKdPKS1_PKPdEviT7_lllT6_T8_lllPii.has_recursion, 0
	.set _ZL19rocblas_trsv_deviceILi64ELi16ELb0ELb0ELb0ELb0EdPKdPKS1_PKPdEviT7_lllT6_T8_lllPii.has_indirect_call, 0
	.section	.AMDGPU.csdata,"",@progbits
; Kernel info:
; codeLenInByte = 34068
; TotalNumSgprs: 107
; NumVgprs: 87
; ScratchSize: 0
; MemoryBound: 0
; FloatMode: 240
; IeeeMode: 1
; LDSByteSize: 41480 bytes/workgroup (compile time only)
; SGPRBlocks: 0
; VGPRBlocks: 5
; NumSGPRsForWavesPerEU: 107
; NumVGPRsForWavesPerEU: 87
; NamedBarCnt: 0
; Occupancy: 10
; WaveLimiterHint : 1
; COMPUTE_PGM_RSRC2:SCRATCH_EN: 0
; COMPUTE_PGM_RSRC2:USER_SGPR: 2
; COMPUTE_PGM_RSRC2:TRAP_HANDLER: 0
; COMPUTE_PGM_RSRC2:TGID_X_EN: 1
; COMPUTE_PGM_RSRC2:TGID_Y_EN: 0
; COMPUTE_PGM_RSRC2:TGID_Z_EN: 1
; COMPUTE_PGM_RSRC2:TIDIG_COMP_CNT: 1
	.section	.text._ZL19rocblas_trsv_deviceILi64ELi16ELb0ELb1ELb0ELb0EdPKdPKS1_PKPdEviT7_lllT6_T8_lllPii,"axG",@progbits,_ZL19rocblas_trsv_deviceILi64ELi16ELb0ELb1ELb0ELb0EdPKdPKS1_PKPdEviT7_lllT6_T8_lllPii,comdat
	.globl	_ZL19rocblas_trsv_deviceILi64ELi16ELb0ELb1ELb0ELb0EdPKdPKS1_PKPdEviT7_lllT6_T8_lllPii ; -- Begin function _ZL19rocblas_trsv_deviceILi64ELi16ELb0ELb1ELb0ELb0EdPKdPKS1_PKPdEviT7_lllT6_T8_lllPii
	.p2align	8
	.type	_ZL19rocblas_trsv_deviceILi64ELi16ELb0ELb1ELb0ELb0EdPKdPKS1_PKPdEviT7_lllT6_T8_lllPii,@function
_ZL19rocblas_trsv_deviceILi64ELi16ELb0ELb1ELb0ELb0EdPKdPKS1_PKPdEviT7_lllT6_T8_lllPii: ; @_ZL19rocblas_trsv_deviceILi64ELi16ELb0ELb1ELb0ELb0EdPKdPKS1_PKPdEviT7_lllT6_T8_lllPii
; %bb.0:
	s_load_b32 s6, s[0:1], 0x58
	s_bfe_u32 s2, ttmp6, 0x40014
	s_lshr_b32 s3, ttmp7, 16
	s_add_co_i32 s2, s2, 1
	s_bfe_u32 s5, ttmp6, 0x40008
	s_mul_i32 s4, s3, s2
	s_getreg_b32 s2, hwreg(HW_REG_IB_STS2, 6, 4)
	s_add_co_i32 s5, s5, s4
	s_cmp_eq_u32 s2, 0
	s_mov_b32 s67, 0
	s_cselect_b32 s66, s3, s5
                                        ; implicit-def: $vgpr103 : SGPR spill to VGPR lane
	s_wait_kmcnt 0x0
	s_cmp_ge_u32 s66, s6
	v_writelane_b32 v103, s6, 0
	s_cbranch_scc1 .LBB125_1149
; %bb.1:
	s_clause 0x2
	s_load_b32 s3, s[0:1], 0x6c
	s_load_b32 s85, s[0:1], 0x0
	s_load_b64 s[12:13], s[0:1], 0x18
	s_bfe_u32 s5, ttmp6, 0x4000c
	s_and_b32 s4, ttmp6, 15
	s_add_co_i32 s5, s5, 1
	s_load_b256 s[68:75], s[0:1], 0x28
	s_mul_i32 s5, ttmp9, s5
	s_load_b64 s[80:81], s[0:1], 0x50
	s_add_co_i32 s4, s4, s5
	s_cmp_eq_u32 s2, 0
	s_load_b128 s[76:79], s[0:1], 0x8
	s_cselect_b32 s86, ttmp9, s4
	v_bfe_u32 v44, v0, 10, 10
	v_and_b32_e32 v2, 0x3ff, v0
	v_mov_b32_e32 v1, 0
	v_sub_co_u32 v45, s5, s86, 1
	s_delay_alu instid0(VALU_DEP_4)
	v_dual_add_nc_u32 v25, 32, v44 :: v_dual_add_nc_u32 v26, 48, v44
	s_wait_kmcnt 0x0
	s_and_b32 s0, s3, 0xffff
	s_add_co_i32 s1, s85, -1
	s_ashr_i32 s2, s85, 31
	s_ashr_i32 s3, s1, 31
	s_lshr_b32 s2, s2, 26
	s_lshr_b32 s3, s3, 26
	s_add_co_i32 s2, s85, s2
	s_add_co_i32 s1, s1, s3
	s_and_not1_b32 s2, s2, 63
	s_ashr_i32 s1, s1, 6
	s_sub_co_i32 s15, s85, s2
	s_cmp_eq_u32 s1, s86
	v_lshlrev_b32_e32 v12, 6, v2
	s_cselect_b32 s1, -1, 0
	s_cmp_lg_u32 s15, 0
	v_dual_mov_b32 v5, v1 :: v_dual_mov_b32 v3, v1
	s_cselect_b32 s4, -1, 0
	s_lshl_b32 s16, s86, 6
	s_add_nc_u64 s[2:3], s[12:13], 1
	v_dual_add_nc_u32 v13, s16, v44 :: v_dual_add_nc_u32 v10, s16, v2
	s_and_b32 s11, s4, s1
	v_mad_u32_u24 v4, v44, s0, v2
	s_xor_b32 s0, s5, -1
	s_delay_alu instid0(VALU_DEP_2) | instskip(SKIP_3) | instid1(VALU_DEP_3)
	v_subrev_nc_u32_e32 v6, 64, v13
	v_dual_ashrrev_i32 v11, 31, v10 :: v_dual_add_nc_u32 v22, 16, v44
	s_xor_b32 s88, s11, -1
	v_mad_nc_u64_u32 v[18:19], s2, s16, v[2:3]
	v_dual_ashrrev_i32 v7, 31, v6 :: v_dual_add_nc_u32 v3, v44, v12
	v_lshl_add_u32 v34, v44, 6, v2
	s_cmp_lt_i32 s86, 5
	v_add_nc_u32_e32 v14, v22, v12
	s_cselect_b32 vcc_lo, -1, 0
	v_lshl_add_u32 v15, v22, 6, v2
	v_dual_cndmask_b32 v23, v34, v3, vcc_lo :: v_dual_lshrrev_b32 v3, 1, v34
	s_or_b32 vcc_lo, vcc_lo, s11
	s_ashr_i32 s17, s16, 31
	s_delay_alu instid0(VALU_DEP_2) | instskip(NEXT) | instid1(VALU_DEP_2)
	v_dual_cndmask_b32 v24, v15, v14, vcc_lo :: v_dual_lshrrev_b32 v14, 10, v0
	v_dual_lshlrev_b32 v15, 9, v3 :: v_dual_bitop2_b32 v16, 1, v0 bitop3:0x40
	v_lshlrev_b32_e32 v48, 3, v2
	s_mul_i32 s1, s2, s17
	s_delay_alu instid0(VALU_DEP_3) | instskip(NEXT) | instid1(VALU_DEP_3)
	v_bitop3_b32 v35, v0, v14, 0x3ff bitop3:0xa8
	v_dual_sub_nc_u32 v46, 0, v15 :: v_dual_lshlrev_b32 v47, 3, v16
	v_lshrrev_b32_e32 v14, 2, v34
	s_mul_i32 s2, s3, s16
	v_cmp_eq_u32_e64 s3, 1, v16
	v_add3_u32 v19, s1, s2, v19
	v_cmp_gt_u32_e64 s1, 4, v34
	v_cmp_eq_u32_e64 s4, 0, v16
	v_cmp_eq_u32_e64 s2, 0, v44
	v_cmp_gt_u32_e64 s5, 2, v2
	v_dual_sub_nc_u32 v49, v47, v15 :: v_dual_lshlrev_b32 v16, 9, v14
	v_and_b32_e32 v17, 3, v0
	s_and_b32 s90, s3, s1
	s_and_b32 s91, s4, s1
	;; [unrolled: 1-line block ×3, first 2 shown]
	v_cmp_gt_u32_e64 s3, 16, v34
	v_cmp_eq_u32_e64 s4, 3, v17
	v_cmp_ne_u32_e64 s5, 3, v17
	v_dual_sub_nc_u32 v52, 0, v16 :: v_dual_lshlrev_b32 v53, 3, v17
	v_cmp_gt_u32_e64 s6, 2, v17
	s_and_b32 s93, s4, s3
	v_cmp_eq_u32_e64 s4, 2, v17
	v_cmp_eq_u32_e64 s7, 1, v17
	s_and_b32 s94, s5, s3
	v_cmp_eq_u32_e64 s5, 0, v17
	v_dual_lshlrev_b32 v17, 6, v34 :: v_dual_sub_nc_u32 v55, v53, v16
	s_and_b32 s95, s4, s3
	v_cmp_gt_u32_e64 s4, 4, v2
	v_and_b32_e32 v20, 7, v0
	s_delay_alu instid0(VALU_DEP_3)
	v_and_b32_e32 v17, 0xfffffe00, v17
	v_and_b32_e32 v16, -8, v34
	s_and_b32 s98, s5, s3
	s_and_b32 s99, s2, s4
	v_cmp_gt_u32_e64 s4, 64, v34
	v_sub_nc_u32_e32 v58, 0, v17
	v_add_nc_u32_e32 v57, 0x8000, v16
	v_lshrrev_b32_e32 v16, 4, v34
	v_cmp_eq_u32_e64 s5, 7, v20
	s_and_b32 s96, s6, s3
	v_cmp_ne_u32_e64 s6, 7, v20
	s_and_b32 s97, s7, s3
	v_cmp_eq_u32_e64 s7, 6, v20
	s_and_b32 s100, s5, s4
	v_cmp_gt_u32_e64 s5, 6, v20
	s_and_b32 s101, s6, s4
	v_cmp_eq_u32_e64 s6, 5, v20
	s_and_b32 s102, s7, s4
	v_cmp_gt_u32_e64 s7, 5, v20
	;; [unrolled: 4-line block ×3, first 2 shown]
	s_and_b32 vcc_hi, s7, s4
	v_cmp_eq_u32_e64 s7, 3, v20
	s_and_b32 s36, s5, s4
	v_cmp_gt_u32_e64 s5, 3, v20
	s_and_b32 s37, s6, s4
	v_cmp_eq_u32_e64 s6, 2, v20
	v_lshlrev_b32_e32 v59, 3, v20
	s_and_b32 s38, s7, s4
	s_and_b32 s39, s5, s4
	v_cmp_eq_u32_e64 s5, 1, v20
	v_cmp_gt_u32_e64 s7, 2, v20
	s_and_b32 s40, s6, s4
	v_cmp_eq_u32_e64 s6, 0, v20
	v_and_b32_e32 v20, 15, v0
	s_and_b32 s42, s5, s4
	v_cmp_gt_u32_e64 s5, 8, v2
	v_dual_sub_nc_u32 v60, v59, v17 :: v_dual_lshlrev_b32 v17, 9, v16
	s_and_b32 s43, s6, s4
	v_lshl_add_u32 v61, v16, 3, 0x8000
	s_and_b32 s44, s2, s5
	v_cmp_gt_u32_e64 s5, 0x100, v34
	v_lshrrev_b32_e32 v16, 5, v34
	v_cmp_eq_u32_e64 s6, 15, v20
	v_writelane_b32 v103, s0, 1
	s_and_b32 s41, s7, s4
	v_cmp_ne_u32_e64 s7, 15, v20
	v_cmp_eq_u32_e64 s8, 14, v20
	s_and_b32 s6, s6, s5
	v_cmp_gt_u32_e64 s10, 14, v20
	v_writelane_b32 v103, s6, 2
	s_and_b32 s6, s7, s5
	s_and_b32 s7, s8, s5
	v_cmp_eq_u32_e64 s8, 12, v20
	s_and_b32 s48, s10, s5
	v_writelane_b32 v103, s6, 3
	v_cmp_eq_u32_e64 s6, 13, v20
	v_cmp_eq_u32_e64 s10, 11, v20
	s_and_b32 s51, s8, s5
	v_cmp_gt_u32_e64 s8, 10, v20
	v_writelane_b32 v103, s7, 4
	s_and_b32 s49, s6, s5
	v_cmp_gt_u32_e64 s6, 12, v20
	v_cmp_gt_u32_e64 s7, 13, v20
	s_and_b32 s53, s10, s5
	v_cmp_gt_u32_e64 s10, 9, v20
	s_and_b32 s56, s8, s5
	s_and_b32 s52, s6, s5
	v_cmp_eq_u32_e64 s6, 10, v20
	s_and_b32 s50, s7, s5
	v_cmp_gt_u32_e64 s7, 11, v20
	s_and_b32 s58, s10, s5
	v_cmp_eq_u32_e64 s8, 7, v20
	s_and_b32 s55, s6, s5
	v_cmp_eq_u32_e64 s6, 8, v20
	;; [unrolled: 2-line block ×3, first 2 shown]
	v_cmp_eq_u32_e64 s10, 6, v20
	s_and_b32 s63, s8, s5
	s_and_b32 s61, s6, s5
	v_cmp_gt_u32_e64 s6, 7, v20
	s_and_b32 s57, s7, s5
	v_cmp_gt_u32_e64 s7, 8, v20
	;; [unrolled: 2-line block ×3, first 2 shown]
	s_and_b32 s64, s6, s5
	v_cmp_eq_u32_e64 s6, 5, v20
	s_and_b32 s62, s7, s5
	v_cmp_gt_u32_e64 s7, 6, v20
	v_cmp_gt_u32_e64 s10, 4, v20
	v_cmp_le_i32_e64 s14, s15, v2
	s_and_b32 s27, s6, s5
	v_cmp_eq_u32_e64 s6, 3, v20
	s_and_b32 s25, s7, s5
	v_cmp_eq_u32_e64 s7, 4, v20
	v_lshlrev_b32_e32 v63, 3, v20
	s_and_b32 s29, s8, s5
	s_and_b32 s24, s6, s5
	v_cmp_gt_u32_e64 s6, 2, v20
	s_and_b32 s31, s7, s5
	v_cmp_gt_u32_e64 s7, 3, v20
	s_and_b32 s34, s10, s5
	v_cmp_eq_u32_e64 s8, 2, v20
	s_and_b32 s30, s6, s5
	v_cmp_gt_u32_e64 s6, 16, v2
	s_and_b32 s26, s7, s5
	v_cmp_eq_u32_e64 s7, 0, v20
	v_cmp_eq_u32_e64 s10, 1, v20
	v_dual_sub_nc_u32 v65, v63, v17 :: v_dual_bitop2_b32 v64, 31, v0 bitop3:0x40
	s_and_b32 s84, s2, s6
	v_cmp_gt_u32_e64 s6, 32, v2
	s_and_b32 s45, s14, s11
	v_cmp_gt_i32_e64 s9, s15, v2
	v_lshl_add_u32 v51, v14, 3, 0x8000
	v_mul_i32_i24_e32 v14, 0xfffffe08, v2
	s_and_b32 s87, s7, s5
	s_xor_b32 s7, s45, -1
	s_and_b32 s6, s2, s6
	s_xor_b32 s89, vcc_lo, -1
	s_and_b32 s28, s8, s5
	s_and_b32 s33, s10, s5
	v_lshlrev_b32_e32 v0, 9, v16
	v_lshl_add_u32 v66, v16, 3, 0x8000
	v_dual_lshlrev_b32 v16, 9, v64 :: v_dual_lshlrev_b32 v67, 3, v64
	v_writelane_b32 v103, s6, 5
	s_and_b32 s46, s2, s7
	s_cmp_gt_i32 s86, 0
	v_mul_lo_u32 v14, v14, 6
	s_cselect_b32 s47, -1, 0
	s_and_b32 s9, s2, s9
	v_cmp_gt_i32_e64 s0, s85, v10
	v_sub_nc_u32_e32 v69, 0, v16
	v_writelane_b32 v103, s9, 6
	v_subrev_nc_u32_e32 v16, 48, v13
	v_cmp_gt_i32_e64 s9, s85, v6
	v_mul_u32_u24_e32 v15, 0x1f8, v2
	v_sub_nc_u32_e32 v62, 0, v17
	v_subrev_nc_u32_e32 v17, 32, v13
	v_cmp_gt_i32_e64 s10, s85, v16
	s_and_b32 s9, s9, s0
	v_add_nc_u32_e32 v13, -16, v13
	v_writelane_b32 v103, s9, 7
	v_mad_u32 v16, v15, 7, v14
	v_dual_add_nc_u32 v14, v25, v12 :: v_dual_add_nc_u32 v12, v26, v12
	v_lshl_add_u32 v15, v25, 6, v2
	v_lshl_add_u32 v27, v26, 6, v2
	v_cmp_gt_i32_e64 s11, s85, v17
	s_and_b32 s9, s10, s0
	v_cmp_ge_u32_e64 s6, v2, v44
	v_writelane_b32 v103, s9, 8
	v_cndmask_b32_e32 v28, v15, v14, vcc_lo
	v_dual_cndmask_b32 v27, v27, v12, vcc_lo :: v_dual_lshlrev_b32 v77, 3, v23
	v_cmp_gt_i32_e32 vcc_lo, s85, v13
	s_and_b32 s9, s11, s0
	v_cmp_ge_u32_e64 s7, v2, v22
	v_writelane_b32 v103, s9, 9
	v_cmp_ge_u32_e64 s8, v2, v25
	s_and_b32 s9, vcc_lo, s0
	v_cmp_le_i32_e32 vcc_lo, s15, v44
	v_mul_u32_u24_e32 v17, 0x1f0, v2
	v_writelane_b32 v103, s9, 10
	s_movk_i32 s9, 0x3800
	v_dual_sub_nc_u32 v68, 0, v0 :: v_dual_sub_nc_u32 v70, v67, v0
	v_mad_u32_u24 v79, 0x208, v64, s9
	v_cmp_le_i32_e64 s9, s15, v22
	s_or_b32 s10, vcc_lo, s14
	v_cmp_le_i32_e32 vcc_lo, s15, v25
	s_or_b32 s10, s10, s6
	v_dual_add_nc_u32 v0, s16, v4 :: v_dual_sub_nc_u32 v73, v16, v17
	v_writelane_b32 v103, s10, 11
	s_or_b32 s11, s9, s14
	v_cmp_le_i32_e64 s10, s15, v26
	s_or_b32 s11, s11, s7
	v_cmp_ge_u32_e64 s9, v2, v26
	v_writelane_b32 v103, s11, 12
	s_or_b32 s11, vcc_lo, s14
	s_or_b32 s10, s10, s14
	s_or_b32 s11, s11, s8
	s_or_b32 s10, s10, s9
	v_writelane_b32 v103, s11, 13
	v_cmp_ne_u32_e64 s11, v2, v22
	v_mad_nc_u64_u32 v[12:13], s12, v44, v[18:19]
	v_mad_nc_u64_u32 v[14:15], s12, v22, v[18:19]
	;; [unrolled: 1-line block ×3, first 2 shown]
	v_writelane_b32 v103, s10, 14
	v_cmp_ne_u32_e64 s10, v2, v44
	v_mad_nc_u64_u32 v[18:19], s12, v26, v[18:19]
	v_mul_u64_e32 v[8:9], s[12:13], v[10:11]
	v_cmp_ne_u32_e64 s12, v2, v25
                                        ; implicit-def: $vgpr102 : SGPR spill to VGPR lane
	v_mad_u32_u24 v50, 0x1f8, v2, v48
	v_writelane_b32 v103, s10, 15
	s_or_b32 s10, s14, s10
	v_mad_u32 v13, s13, v44, v13
	v_mad_u32 v15, s13, v22, v15
	;; [unrolled: 1-line block ×3, first 2 shown]
	v_writelane_b32 v103, s10, 16
	s_or_b32 s10, s14, s11
	v_mad_u32 v19, s13, v26, v19
	v_cmp_ne_u32_e64 s13, v2, v26
	v_mad_i32_i24 v54, 0xfffffe08, v2, v50
	v_writelane_b32 v103, s11, 17
	v_add_nc_u64_e32 v[20:21], s[16:17], v[4:5]
	v_dual_lshlrev_b32 v23, 3, v44 :: v_dual_bitop2_b32 v37, v25, v2 bitop3:0x54
	s_delay_alu instid0(VALU_DEP_4)
	v_mad_u32_u24 v56, 0x1f8, v2, v54
	v_writelane_b32 v103, s10, 18
	s_or_b32 s10, s14, s12
	v_mul_u64_e32 v[10:11], s[74:75], v[10:11]
	v_mul_u64_e32 v[20:21], s[74:75], v[20:21]
	v_mad_i32_i24 v5, 0xfffffe08, v2, v56
	v_writelane_b32 v103, s12, 19
	v_dual_lshlrev_b32 v81, 3, v24 :: v_dual_bitop2_b32 v36, v22, v2 bitop3:0x54
	v_or_b32_e32 v86, 0xa000, v23
	s_delay_alu instid0(VALU_DEP_4)
	v_mad_u32_u24 v71, 0x1f8, v2, v5
	v_writelane_b32 v103, s10, 20
	s_or_b32 s10, s14, s13
	v_or_b32_e32 v38, v26, v2
	v_cmp_lt_u32_e32 vcc_lo, 0x3ff, v34
	v_mad_i32_i24 v72, 0xfffffe08, v2, v71
	v_writelane_b32 v103, s13, 21
	v_mov_b64_e32 v[24:25], 0
	v_lshl_add_u32 v3, v3, 3, 0x8000
	v_dual_lshlrev_b32 v82, 3, v28 :: v_dual_lshlrev_b32 v84, 3, v27
	v_writelane_b32 v103, s10, 22
	v_cmp_gt_u32_e64 s10, 0xf0, v34
	v_mad_u32_u24 v74, 0x1f8, v2, v72
	v_mul_u32_u24_e32 v88, 0x208, v64
	v_lshl_add_u32 v89, v4, 3, 0xa000
	v_lshl_add_u32 v90, v34, 3, 0x8000
	v_writelane_b32 v103, s10, 23
	v_cmp_gt_u32_e64 s10, 0xe0, v34
	v_mad_i32_i24 v75, 0xfffffe08, v2, v74
	v_add_nc_u32_e32 v91, 0x8000, v48
	v_add_nc_u32_e32 v93, v86, v48
	v_cmp_eq_u32_e64 s14, 0, v35
	v_writelane_b32 v103, s10, 24
	v_cmp_gt_u32_e64 s10, 0xd0, v34
	v_mad_u32_u24 v76, 0x1f8, v2, v75
	v_cmp_gt_u32_e64 s15, 2, v34
	v_cmp_gt_u32_e64 s16, 12, v34
	;; [unrolled: 1-line block ×3, first 2 shown]
	v_writelane_b32 v103, s10, 25
	v_cmp_gt_u32_e64 s10, 0xc0, v34
	v_mad_i32_i24 v78, 0xfffffe08, v2, v76
	v_cmp_gt_u32_e64 s18, 56, v34
	v_cmp_gt_u32_e64 s19, 48, v34
	v_cmp_gt_u32_e64 s20, 40, v34
	v_writelane_b32 v103, s10, 26
	v_cmp_gt_u32_e64 s10, 0xb0, v34
	v_mad_u32_u24 v80, 0x1f8, v2, v78
	v_lshl_add_u32 v92, v44, 9, v78
	v_cmp_gt_u32_e64 s21, 32, v34
	v_cmp_gt_u32_e64 s22, 24, v34
	v_writelane_b32 v103, s10, 27
	v_cmp_gt_u32_e64 s10, 0xa0, v34
	v_mad_i32_i24 v83, 0xfffffe08, v2, v80
	v_cmp_gt_u32_e64 s35, 0x400, v34
	v_cmp_eq_u32_e64 s59, 0, v4
	v_cmp_gt_u32_e64 s60, 64, v4
	v_writelane_b32 v103, s10, 28
	v_cmp_gt_u32_e64 s10, 0x90, v34
	v_mad_u32_u24 v85, 0x1f8, v2, v83
	s_xor_b32 s13, vcc_lo, -1
	s_lshl_b64 s[78:79], s[78:79], 3
	s_lshl_b64 s[72:73], s[72:73], 3
	v_writelane_b32 v103, s10, 29
	v_cmp_gt_u32_e64 s10, 0x80, v34
	v_add_nc_u32_e32 v87, v85, v23
	v_mul_u64_e32 v[22:23], s[74:75], v[0:1]
                                        ; implicit-def: $vgpr26_vgpr27
                                        ; implicit-def: $vgpr28_vgpr29
                                        ; implicit-def: $vgpr30_vgpr31
                                        ; implicit-def: $vgpr32_vgpr33
	s_delay_alu instid0(VALU_DEP_3) | instskip(SKIP_1) | instid1(VALU_DEP_1)
	v_writelane_b32 v103, s10, 30
	v_cmp_gt_u32_e64 s10, 0x70, v34
	v_writelane_b32 v103, s10, 31
	v_cmp_gt_u32_e64 s10, 0x60, v34
	s_delay_alu instid0(VALU_DEP_1) | instskip(SKIP_1) | instid1(VALU_DEP_1)
	v_writelane_b32 v102, s10, 0
	v_cmp_gt_u32_e64 s10, 0x50, v34
	v_writelane_b32 v102, s10, 1
	v_cmp_gt_u32_e64 s10, 0x3e0, v34
	s_delay_alu instid0(VALU_DEP_1) | instskip(SKIP_1) | instid1(VALU_DEP_1)
	v_writelane_b32 v102, s10, 2
	v_cmp_gt_u32_e64 s10, 0x3c0, v34
	v_writelane_b32 v102, s10, 3
	v_cmp_gt_u32_e64 s10, 0x3a0, v34
	s_delay_alu instid0(VALU_DEP_1) | instskip(SKIP_1) | instid1(VALU_DEP_1)
	v_writelane_b32 v102, s10, 4
	v_cmp_gt_u32_e64 s10, 0x380, v34
	v_writelane_b32 v102, s10, 5
	v_cmp_gt_u32_e64 s10, 0x360, v34
	s_delay_alu instid0(VALU_DEP_1) | instskip(SKIP_1) | instid1(VALU_DEP_1)
	v_writelane_b32 v102, s10, 6
	v_cmp_gt_u32_e64 s10, 0x340, v34
	v_writelane_b32 v102, s10, 7
	v_cmp_gt_u32_e64 s10, 0x320, v34
	s_delay_alu instid0(VALU_DEP_1) | instskip(SKIP_1) | instid1(VALU_DEP_1)
	v_writelane_b32 v102, s10, 8
	v_cmp_gt_u32_e64 s10, 0x300, v34
	v_writelane_b32 v102, s10, 9
	v_cmp_gt_u32_e64 s10, 0x2e0, v34
	s_delay_alu instid0(VALU_DEP_1) | instskip(SKIP_1) | instid1(VALU_DEP_1)
	v_writelane_b32 v102, s10, 10
	v_cmp_gt_u32_e64 s10, 0x2c0, v34
	v_writelane_b32 v102, s10, 11
	v_cmp_gt_u32_e64 s10, 0x2a0, v34
	s_delay_alu instid0(VALU_DEP_1) | instskip(SKIP_1) | instid1(VALU_DEP_1)
	v_writelane_b32 v102, s10, 12
	v_cmp_gt_u32_e64 s10, 0x280, v34
	v_writelane_b32 v102, s10, 13
	v_cmp_gt_u32_e64 s10, 0x260, v34
	s_delay_alu instid0(VALU_DEP_1) | instskip(SKIP_1) | instid1(VALU_DEP_1)
	v_writelane_b32 v102, s10, 14
	v_cmp_gt_u32_e64 s10, 0x240, v34
	v_writelane_b32 v102, s10, 15
	v_cmp_gt_u32_e64 s10, 0x220, v34
	s_delay_alu instid0(VALU_DEP_1) | instskip(SKIP_1) | instid1(VALU_DEP_1)
	v_writelane_b32 v102, s10, 16
	v_cmp_gt_u32_e64 s10, 0x200, v34
	v_writelane_b32 v102, s10, 17
	v_cmp_gt_u32_e64 s10, 0x1e0, v34
	s_delay_alu instid0(VALU_DEP_1) | instskip(SKIP_1) | instid1(VALU_DEP_1)
	v_writelane_b32 v102, s10, 18
	v_cmp_gt_u32_e64 s10, 0x1c0, v34
	v_writelane_b32 v102, s10, 19
	v_cmp_gt_u32_e64 s10, 0x1a0, v34
	s_delay_alu instid0(VALU_DEP_1) | instskip(SKIP_1) | instid1(VALU_DEP_1)
	v_writelane_b32 v102, s10, 20
	v_cmp_gt_u32_e64 s10, 0x180, v34
	v_writelane_b32 v102, s10, 21
	v_cmp_gt_u32_e64 s10, 0x160, v34
	s_delay_alu instid0(VALU_DEP_1) | instskip(SKIP_1) | instid1(VALU_DEP_1)
	v_writelane_b32 v102, s10, 22
	v_cmp_gt_u32_e64 s10, 0x140, v34
	v_writelane_b32 v102, s10, 23
	v_cmp_gt_u32_e64 s10, 0x120, v34
	s_delay_alu instid0(VALU_DEP_1) | instskip(SKIP_1) | instid1(VALU_DEP_1)
	v_writelane_b32 v102, s10, 24
	v_cmp_gt_u32_e64 s10, 64, v35
	v_writelane_b32 v102, s10, 25
	v_cmp_gt_u32_e64 s10, 64, v36
	s_delay_alu instid0(VALU_DEP_1) | instskip(SKIP_1) | instid1(VALU_DEP_1)
	v_writelane_b32 v102, s10, 26
	v_cmp_gt_u32_e64 s10, 64, v37
	v_writelane_b32 v102, s10, 27
	v_cmp_gt_u32_e64 s10, 64, v38
	s_delay_alu instid0(VALU_DEP_1)
	v_writelane_b32 v102, s10, 28
	s_branch .LBB125_3
.LBB125_2:                              ;   in Loop: Header=BB125_3 Depth=1
	s_wait_xcnt 0x0
	s_or_b32 exec_lo, exec_lo, s10
	v_readlane_b32 s10, v103, 0
	s_add_co_i32 s66, s66, 0x10000
	global_wb scope:SCOPE_DEV
	s_wait_storecnt 0x0
	global_inv scope:SCOPE_DEV
	s_cmp_lt_u32 s66, s10
	s_cbranch_scc0 .LBB125_1149
.LBB125_3:                              ; =>This Loop Header: Depth=1
                                        ;     Child Loop BB125_553 Depth 2
                                        ;     Child Loop BB125_1002 Depth 2
                                        ;       Child Loop BB125_1004 Depth 3
                                        ;     Child Loop BB125_1039 Depth 2
	v_mov_b32_e32 v0, s66
	v_readlane_b32 s10, v103, 1
	s_clause 0x1
	global_load_b64 v[34:35], v0, s[76:77] scale_offset
	global_load_b64 v[38:39], v0, s[70:71] scale_offset
	global_load_b64 v[36:37], v1, s[68:69]
	s_and_not1_b32 vcc_lo, exec_lo, s10
	s_wait_loadcnt 0x2
	v_add_nc_u64_e32 v[40:41], s[78:79], v[34:35]
	s_delay_alu instid0(VALU_DEP_1)
	v_lshl_add_u64 v[34:35], v[8:9], 3, v[40:41]
	s_cbranch_vccz .LBB125_6
; %bb.4:                                ;   in Loop: Header=BB125_3 Depth=1
	s_and_not1_b32 vcc_lo, exec_lo, s88
	s_mov_b32 s10, -1
	s_cbranch_vccz .LBB125_15
.LBB125_5:                              ;   in Loop: Header=BB125_3 Depth=1
	s_and_b32 vcc_lo, exec_lo, s10
	s_cbranch_vccnz .LBB125_25
	s_branch .LBB125_66
.LBB125_6:                              ;   in Loop: Header=BB125_3 Depth=1
	v_mov_b64_e32 v[28:29], 0
	v_mov_b64_e32 v[26:27], 0
	s_delay_alu instid0(VALU_DEP_3)
	v_lshl_add_u64 v[42:43], v[6:7], 3, v[34:35]
	s_wait_loadcnt 0x0
	s_barrier_signal -1
	s_barrier_wait -1
	s_wait_xcnt 0x0
	s_mov_b32 s10, exec_lo
	v_readlane_b32 s11, v103, 7
	s_and_b32 s11, s10, s11
	s_delay_alu instid0(SALU_CYCLE_1)
	s_mov_b32 exec_lo, s11
	s_cbranch_execz .LBB125_8
; %bb.7:                                ;   in Loop: Header=BB125_3 Depth=1
	flat_load_b64 v[26:27], v[42:43]
.LBB125_8:                              ;   in Loop: Header=BB125_3 Depth=1
	s_wait_xcnt 0x0
	s_or_b32 exec_lo, exec_lo, s10
	s_wait_loadcnt_dscnt 0x0
	s_barrier_signal -1
	s_barrier_wait -1
	s_mov_b32 s10, exec_lo
	v_readlane_b32 s11, v103, 8
	s_and_b32 s11, s10, s11
	s_delay_alu instid0(SALU_CYCLE_1)
	s_mov_b32 exec_lo, s11
	s_cbranch_execz .LBB125_10
; %bb.9:                                ;   in Loop: Header=BB125_3 Depth=1
	flat_load_b64 v[28:29], v[42:43] offset:128
.LBB125_10:                             ;   in Loop: Header=BB125_3 Depth=1
	s_wait_xcnt 0x0
	s_or_b32 exec_lo, exec_lo, s10
	v_mov_b64_e32 v[32:33], 0
	v_mov_b64_e32 v[30:31], 0
	s_wait_loadcnt_dscnt 0x0
	s_barrier_signal -1
	s_barrier_wait -1
	s_mov_b32 s10, exec_lo
	v_readlane_b32 s11, v103, 9
	s_and_b32 s11, s10, s11
	s_delay_alu instid0(SALU_CYCLE_1)
	s_mov_b32 exec_lo, s11
	s_cbranch_execz .LBB125_12
; %bb.11:                               ;   in Loop: Header=BB125_3 Depth=1
	flat_load_b64 v[30:31], v[42:43] offset:256
.LBB125_12:                             ;   in Loop: Header=BB125_3 Depth=1
	s_wait_xcnt 0x0
	s_or_b32 exec_lo, exec_lo, s10
	s_wait_loadcnt_dscnt 0x0
	s_barrier_signal -1
	s_barrier_wait -1
	s_mov_b32 s10, exec_lo
	v_readlane_b32 s11, v103, 10
	s_and_b32 s11, s10, s11
	s_delay_alu instid0(SALU_CYCLE_1)
	s_mov_b32 exec_lo, s11
	s_cbranch_execz .LBB125_14
; %bb.13:                               ;   in Loop: Header=BB125_3 Depth=1
	flat_load_b64 v[32:33], v[42:43] offset:384
.LBB125_14:                             ;   in Loop: Header=BB125_3 Depth=1
	s_wait_xcnt 0x0
	s_or_b32 exec_lo, exec_lo, s10
	s_delay_alu instid0(SALU_CYCLE_1)
	s_and_not1_b32 vcc_lo, exec_lo, s88
	s_mov_b32 s10, -1
	s_cbranch_vccnz .LBB125_5
.LBB125_15:                             ;   in Loop: Header=BB125_3 Depth=1
	s_wait_xcnt 0x0
	s_and_saveexec_b32 s10, s6
	s_delay_alu instid0(SALU_CYCLE_1)
	s_xor_b32 s10, exec_lo, s10
	s_cbranch_execnz .LBB125_1060
; %bb.16:                               ;   in Loop: Header=BB125_3 Depth=1
	s_and_not1_saveexec_b32 s10, s10
	s_cbranch_execnz .LBB125_1067
.LBB125_17:                             ;   in Loop: Header=BB125_3 Depth=1
	s_or_b32 exec_lo, exec_lo, s10
	s_and_saveexec_b32 s10, s7
	s_delay_alu instid0(SALU_CYCLE_1)
	s_xor_b32 s10, exec_lo, s10
	s_cbranch_execnz .LBB125_1068
.LBB125_18:                             ;   in Loop: Header=BB125_3 Depth=1
	s_and_not1_saveexec_b32 s10, s10
	s_cbranch_execnz .LBB125_1075
.LBB125_19:                             ;   in Loop: Header=BB125_3 Depth=1
	s_or_b32 exec_lo, exec_lo, s10
	s_and_saveexec_b32 s10, s8
	s_delay_alu instid0(SALU_CYCLE_1)
	s_xor_b32 s10, exec_lo, s10
	s_cbranch_execnz .LBB125_1076
.LBB125_20:                             ;   in Loop: Header=BB125_3 Depth=1
	s_and_not1_saveexec_b32 s10, s10
	s_cbranch_execnz .LBB125_1083
.LBB125_21:                             ;   in Loop: Header=BB125_3 Depth=1
	s_or_b32 exec_lo, exec_lo, s10
	s_and_saveexec_b32 s10, s9
	s_delay_alu instid0(SALU_CYCLE_1)
	s_xor_b32 s10, exec_lo, s10
	s_cbranch_execnz .LBB125_1084
.LBB125_22:                             ;   in Loop: Header=BB125_3 Depth=1
	s_and_not1_saveexec_b32 s10, s10
	s_cbranch_execz .LBB125_24
.LBB125_23:                             ;   in Loop: Header=BB125_3 Depth=1
	v_lshl_add_u64 v[42:43], v[18:19], 3, v[40:41]
	flat_load_b64 v[42:43], v[42:43]
	s_wait_loadcnt_dscnt 0x0
	v_xor_b32_e32 v43, 0x80000000, v43
	ds_store_b64 v84, v[42:43]
.LBB125_24:                             ;   in Loop: Header=BB125_3 Depth=1
	s_or_b32 exec_lo, exec_lo, s10
	s_branch .LBB125_66
.LBB125_25:                             ;   in Loop: Header=BB125_3 Depth=1
	s_wait_xcnt 0x0
	s_mov_b32 s10, exec_lo
	v_readlane_b32 s11, v103, 11
	s_and_b32 s11, s10, s11
	s_delay_alu instid0(SALU_CYCLE_1)
	s_xor_b32 s10, s11, s10
	s_mov_b32 exec_lo, s11
	s_cbranch_execz .LBB125_33
; %bb.26:                               ;   in Loop: Header=BB125_3 Depth=1
	s_mov_b32 s11, exec_lo
	v_readlane_b32 s12, v103, 16
	s_and_b32 s12, s11, s12
	s_delay_alu instid0(SALU_CYCLE_1)
	s_xor_b32 s11, s12, s11
	s_mov_b32 exec_lo, s12
	s_cbranch_execz .LBB125_30
; %bb.27:                               ;   in Loop: Header=BB125_3 Depth=1
	s_mov_b32 s12, exec_lo
	v_readlane_b32 s65, v102, 25
	s_and_b32 s65, s12, s65
	s_delay_alu instid0(SALU_CYCLE_1)
	s_mov_b32 exec_lo, s65
; %bb.28:                               ;   in Loop: Header=BB125_3 Depth=1
	ds_store_b64 v87, v[24:25]
; %bb.29:                               ;   in Loop: Header=BB125_3 Depth=1
	s_or_b32 exec_lo, exec_lo, s12
.LBB125_30:                             ;   in Loop: Header=BB125_3 Depth=1
	s_and_not1_saveexec_b32 s11, s11
	s_cbranch_execz .LBB125_32
; %bb.31:                               ;   in Loop: Header=BB125_3 Depth=1
	v_lshl_add_u64 v[42:43], v[12:13], 3, v[40:41]
	flat_load_b64 v[42:43], v[42:43]
	s_wait_loadcnt_dscnt 0x0
	v_div_scale_f64 v[94:95], null, v[42:43], v[42:43], 1.0
	s_delay_alu instid0(VALU_DEP_1) | instskip(SKIP_1) | instid1(TRANS32_DEP_1)
	v_rcp_f64_e32 v[96:97], v[94:95]
	v_nop
	v_fma_f64 v[98:99], -v[94:95], v[96:97], 1.0
	s_delay_alu instid0(VALU_DEP_1) | instskip(NEXT) | instid1(VALU_DEP_1)
	v_fmac_f64_e32 v[96:97], v[96:97], v[98:99]
	v_fma_f64 v[98:99], -v[94:95], v[96:97], 1.0
	s_delay_alu instid0(VALU_DEP_1) | instskip(SKIP_1) | instid1(VALU_DEP_1)
	v_fmac_f64_e32 v[96:97], v[96:97], v[98:99]
	v_div_scale_f64 v[98:99], vcc_lo, 1.0, v[42:43], 1.0
	v_mul_f64_e32 v[100:101], v[98:99], v[96:97]
	s_delay_alu instid0(VALU_DEP_1) | instskip(NEXT) | instid1(VALU_DEP_1)
	v_fma_f64 v[94:95], -v[94:95], v[100:101], v[98:99]
	v_div_fmas_f64 v[94:95], v[94:95], v[96:97], v[100:101]
	s_delay_alu instid0(VALU_DEP_1)
	v_div_fixup_f64 v[42:43], v[94:95], v[42:43], 1.0
	ds_store_b64 v87, v[42:43]
.LBB125_32:                             ;   in Loop: Header=BB125_3 Depth=1
	s_or_b32 exec_lo, exec_lo, s11
.LBB125_33:                             ;   in Loop: Header=BB125_3 Depth=1
	s_and_not1_saveexec_b32 s10, s10
	s_cbranch_execz .LBB125_35
; %bb.34:                               ;   in Loop: Header=BB125_3 Depth=1
	v_lshl_add_u64 v[42:43], v[12:13], 3, v[40:41]
	flat_load_b64 v[42:43], v[42:43]
	s_wait_loadcnt_dscnt 0x0
	v_xor_b32_e32 v43, 0x80000000, v43
	ds_store_b64 v87, v[42:43]
.LBB125_35:                             ;   in Loop: Header=BB125_3 Depth=1
	s_or_b32 exec_lo, exec_lo, s10
	s_delay_alu instid0(SALU_CYCLE_1) | instskip(SKIP_2) | instid1(SALU_CYCLE_1)
	s_mov_b32 s10, exec_lo
	v_readlane_b32 s11, v103, 12
	s_and_b32 s11, s10, s11
	s_xor_b32 s10, s11, s10
	s_mov_b32 exec_lo, s11
	s_cbranch_execz .LBB125_43
; %bb.36:                               ;   in Loop: Header=BB125_3 Depth=1
	s_mov_b32 s11, exec_lo
	v_readlane_b32 s12, v103, 18
	s_and_b32 s12, s11, s12
	s_delay_alu instid0(SALU_CYCLE_1)
	s_xor_b32 s11, s12, s11
	s_mov_b32 exec_lo, s12
	s_cbranch_execz .LBB125_40
; %bb.37:                               ;   in Loop: Header=BB125_3 Depth=1
	s_mov_b32 s12, exec_lo
	v_readlane_b32 s65, v102, 26
	s_and_b32 s65, s12, s65
	s_delay_alu instid0(SALU_CYCLE_1)
	s_mov_b32 exec_lo, s65
; %bb.38:                               ;   in Loop: Header=BB125_3 Depth=1
	ds_store_b64 v81, v[24:25]
; %bb.39:                               ;   in Loop: Header=BB125_3 Depth=1
	s_or_b32 exec_lo, exec_lo, s12
.LBB125_40:                             ;   in Loop: Header=BB125_3 Depth=1
	s_and_not1_saveexec_b32 s11, s11
	s_cbranch_execz .LBB125_42
; %bb.41:                               ;   in Loop: Header=BB125_3 Depth=1
	v_lshl_add_u64 v[42:43], v[14:15], 3, v[40:41]
	flat_load_b64 v[42:43], v[42:43]
	s_wait_loadcnt_dscnt 0x0
	v_div_scale_f64 v[94:95], null, v[42:43], v[42:43], 1.0
	s_delay_alu instid0(VALU_DEP_1) | instskip(SKIP_1) | instid1(TRANS32_DEP_1)
	v_rcp_f64_e32 v[96:97], v[94:95]
	v_nop
	v_fma_f64 v[98:99], -v[94:95], v[96:97], 1.0
	s_delay_alu instid0(VALU_DEP_1) | instskip(NEXT) | instid1(VALU_DEP_1)
	v_fmac_f64_e32 v[96:97], v[96:97], v[98:99]
	v_fma_f64 v[98:99], -v[94:95], v[96:97], 1.0
	s_delay_alu instid0(VALU_DEP_1) | instskip(SKIP_1) | instid1(VALU_DEP_1)
	v_fmac_f64_e32 v[96:97], v[96:97], v[98:99]
	v_div_scale_f64 v[98:99], vcc_lo, 1.0, v[42:43], 1.0
	v_mul_f64_e32 v[100:101], v[98:99], v[96:97]
	s_delay_alu instid0(VALU_DEP_1) | instskip(NEXT) | instid1(VALU_DEP_1)
	v_fma_f64 v[94:95], -v[94:95], v[100:101], v[98:99]
	v_div_fmas_f64 v[94:95], v[94:95], v[96:97], v[100:101]
	s_delay_alu instid0(VALU_DEP_1)
	v_div_fixup_f64 v[42:43], v[94:95], v[42:43], 1.0
	ds_store_b64 v81, v[42:43]
.LBB125_42:                             ;   in Loop: Header=BB125_3 Depth=1
	s_or_b32 exec_lo, exec_lo, s11
.LBB125_43:                             ;   in Loop: Header=BB125_3 Depth=1
	s_and_not1_saveexec_b32 s10, s10
	s_cbranch_execz .LBB125_45
; %bb.44:                               ;   in Loop: Header=BB125_3 Depth=1
	v_lshl_add_u64 v[42:43], v[14:15], 3, v[40:41]
	flat_load_b64 v[42:43], v[42:43]
	s_wait_loadcnt_dscnt 0x0
	v_xor_b32_e32 v43, 0x80000000, v43
	ds_store_b64 v81, v[42:43]
.LBB125_45:                             ;   in Loop: Header=BB125_3 Depth=1
	s_or_b32 exec_lo, exec_lo, s10
	s_delay_alu instid0(SALU_CYCLE_1) | instskip(SKIP_2) | instid1(SALU_CYCLE_1)
	s_mov_b32 s10, exec_lo
	v_readlane_b32 s11, v103, 13
	s_and_b32 s11, s10, s11
	;; [unrolled: 63-line block ×3, first 2 shown]
	s_xor_b32 s10, s11, s10
	s_mov_b32 exec_lo, s11
	s_cbranch_execz .LBB125_63
; %bb.56:                               ;   in Loop: Header=BB125_3 Depth=1
	s_mov_b32 s11, exec_lo
	v_readlane_b32 s12, v103, 22
	s_and_b32 s12, s11, s12
	s_delay_alu instid0(SALU_CYCLE_1)
	s_xor_b32 s11, s12, s11
	s_mov_b32 exec_lo, s12
	s_cbranch_execz .LBB125_60
; %bb.57:                               ;   in Loop: Header=BB125_3 Depth=1
	s_mov_b32 s12, exec_lo
	v_readlane_b32 s65, v102, 28
	s_and_b32 s65, s12, s65
	s_delay_alu instid0(SALU_CYCLE_1)
	s_mov_b32 exec_lo, s65
; %bb.58:                               ;   in Loop: Header=BB125_3 Depth=1
	ds_store_b64 v84, v[24:25]
; %bb.59:                               ;   in Loop: Header=BB125_3 Depth=1
	s_or_b32 exec_lo, exec_lo, s12
                                        ; implicit-def: $vgpr40_vgpr41
.LBB125_60:                             ;   in Loop: Header=BB125_3 Depth=1
	s_and_not1_saveexec_b32 s11, s11
	s_cbranch_execz .LBB125_62
; %bb.61:                               ;   in Loop: Header=BB125_3 Depth=1
	v_lshl_add_u64 v[40:41], v[18:19], 3, v[40:41]
	flat_load_b64 v[40:41], v[40:41]
	s_wait_loadcnt_dscnt 0x0
	v_div_scale_f64 v[42:43], null, v[40:41], v[40:41], 1.0
	s_delay_alu instid0(VALU_DEP_1) | instskip(SKIP_1) | instid1(TRANS32_DEP_1)
	v_rcp_f64_e32 v[94:95], v[42:43]
	v_nop
	v_fma_f64 v[96:97], -v[42:43], v[94:95], 1.0
	s_delay_alu instid0(VALU_DEP_1) | instskip(NEXT) | instid1(VALU_DEP_1)
	v_fmac_f64_e32 v[94:95], v[94:95], v[96:97]
	v_fma_f64 v[96:97], -v[42:43], v[94:95], 1.0
	s_delay_alu instid0(VALU_DEP_1) | instskip(SKIP_1) | instid1(VALU_DEP_1)
	v_fmac_f64_e32 v[94:95], v[94:95], v[96:97]
	v_div_scale_f64 v[96:97], vcc_lo, 1.0, v[40:41], 1.0
	v_mul_f64_e32 v[98:99], v[96:97], v[94:95]
	s_delay_alu instid0(VALU_DEP_1) | instskip(NEXT) | instid1(VALU_DEP_1)
	v_fma_f64 v[42:43], -v[42:43], v[98:99], v[96:97]
	v_div_fmas_f64 v[42:43], v[42:43], v[94:95], v[98:99]
	s_delay_alu instid0(VALU_DEP_1)
	v_div_fixup_f64 v[40:41], v[42:43], v[40:41], 1.0
	ds_store_b64 v84, v[40:41]
.LBB125_62:                             ;   in Loop: Header=BB125_3 Depth=1
	s_or_b32 exec_lo, exec_lo, s11
                                        ; implicit-def: $vgpr40_vgpr41
.LBB125_63:                             ;   in Loop: Header=BB125_3 Depth=1
	s_and_not1_saveexec_b32 s10, s10
	s_cbranch_execz .LBB125_65
; %bb.64:                               ;   in Loop: Header=BB125_3 Depth=1
	v_lshl_add_u64 v[40:41], v[18:19], 3, v[40:41]
	flat_load_b64 v[40:41], v[40:41]
	s_wait_loadcnt_dscnt 0x0
	v_xor_b32_e32 v41, 0x80000000, v41
	ds_store_b64 v84, v[40:41]
.LBB125_65:                             ;   in Loop: Header=BB125_3 Depth=1
	s_or_b32 exec_lo, exec_lo, s10
.LBB125_66:                             ;   in Loop: Header=BB125_3 Depth=1
	s_delay_alu instid0(SALU_CYCLE_1)
	s_and_not1_b32 vcc_lo, exec_lo, s89
	s_wait_loadcnt_dscnt 0x0
	s_barrier_signal -1
	s_barrier_wait -1
	s_cbranch_vccnz .LBB125_996
; %bb.67:                               ;   in Loop: Header=BB125_3 Depth=1
	s_wait_xcnt 0x0
	s_and_saveexec_b32 s10, s14
	s_cbranch_execz .LBB125_69
; %bb.68:                               ;   in Loop: Header=BB125_3 Depth=1
	ds_load_b128 v[40:43], v1 offset:32752
	ds_load_b64 v[94:95], v1 offset:32240
	v_add_nc_u32_e64 v0, 0x7800, 0
	s_wait_dscnt 0x0
	v_mul_f64_e32 v[42:43], v[94:95], v[42:43]
	s_delay_alu instid0(VALU_DEP_1)
	v_mul_f64_e32 v[40:41], v[40:41], v[42:43]
	ds_store_2addr_b64 v0, v[40:41], v[40:41] offset0:191 offset1:254
.LBB125_69:                             ;   in Loop: Header=BB125_3 Depth=1
	s_or_b32 exec_lo, exec_lo, s10
	v_mov_b64_e32 v[40:41], 0
	s_wait_dscnt 0x0
	s_barrier_signal -1
	s_barrier_wait -1
	global_wb scope:SCOPE_DEV
	s_wait_storecnt 0x0
	global_inv scope:SCOPE_DEV
	s_and_saveexec_b32 s10, s1
	s_cbranch_execz .LBB125_73
; %bb.70:                               ;   in Loop: Header=BB125_3 Depth=1
	ds_load_b64 v[40:41], v47 offset:32224
	ds_load_b64 v[42:43], v46 offset:32752
	s_wait_dscnt 0x0
	v_fma_f64 v[40:41], v[40:41], v[42:43], 0
	s_and_saveexec_b32 s11, s15
	s_cbranch_execz .LBB125_72
; %bb.71:                               ;   in Loop: Header=BB125_3 Depth=1
	ds_load_b64 v[42:43], v48 offset:32736
	ds_load_b64 v[94:95], v1 offset:32760
	s_wait_dscnt 0x0
	v_fmac_f64_e32 v[40:41], v[42:43], v[94:95]
.LBB125_72:                             ;   in Loop: Header=BB125_3 Depth=1
	s_or_b32 exec_lo, exec_lo, s11
.LBB125_73:                             ;   in Loop: Header=BB125_3 Depth=1
	s_delay_alu instid0(SALU_CYCLE_1)
	s_or_b32 exec_lo, exec_lo, s10
	s_and_saveexec_b32 s10, s90
	s_cbranch_execz .LBB125_75
; %bb.74:                               ;   in Loop: Header=BB125_3 Depth=1
	ds_load_b64 v[42:43], v1 offset:31720
	s_wait_dscnt 0x0
	v_mul_f64_e32 v[40:41], v[40:41], v[42:43]
	s_delay_alu instid0(VALU_DEP_1) | instskip(NEXT) | instid1(VALU_DEP_2)
	v_xor_b32_e32 v43, 0x80000000, v41
	v_mov_b32_e32 v42, v40
	ds_store_b64 v3, v[42:43]
.LBB125_75:                             ;   in Loop: Header=BB125_3 Depth=1
	s_or_b32 exec_lo, exec_lo, s10
	s_wait_loadcnt_dscnt 0x0
	s_barrier_signal -1
	s_barrier_wait -1
	s_and_saveexec_b32 s10, s91
	s_cbranch_execz .LBB125_77
; %bb.76:                               ;   in Loop: Header=BB125_3 Depth=1
	ds_load_b64 v[42:43], v1 offset:31712
	ds_load_b64 v[94:95], v3
	s_wait_dscnt 0x0
	v_fma_f64 v[40:41], -v[42:43], v[94:95], v[40:41]
.LBB125_77:                             ;   in Loop: Header=BB125_3 Depth=1
	s_or_b32 exec_lo, exec_lo, s10
	s_barrier_signal -1
	s_barrier_wait -1
	s_and_saveexec_b32 s10, s91
	s_cbranch_execz .LBB125_79
; %bb.78:                               ;   in Loop: Header=BB125_3 Depth=1
	ds_load_b64 v[42:43], v1 offset:31200
	s_wait_dscnt 0x0
	v_mul_f64_e32 v[40:41], v[40:41], v[42:43]
	s_delay_alu instid0(VALU_DEP_1) | instskip(NEXT) | instid1(VALU_DEP_2)
	v_xor_b32_e32 v43, 0x80000000, v41
	v_mov_b32_e32 v42, v40
	ds_store_b64 v3, v[42:43]
.LBB125_79:                             ;   in Loop: Header=BB125_3 Depth=1
	s_or_b32 exec_lo, exec_lo, s10
	s_wait_dscnt 0x0
	s_barrier_signal -1
	s_barrier_wait -1
	s_barrier_signal -1
	s_barrier_wait -1
	s_and_saveexec_b32 s10, s1
; %bb.80:                               ;   in Loop: Header=BB125_3 Depth=1
	ds_store_b64 v49, v[40:41] offset:32736
; %bb.81:                               ;   in Loop: Header=BB125_3 Depth=1
	s_or_b32 exec_lo, exec_lo, s10
	s_wait_dscnt 0x0
	s_barrier_signal -1
	s_barrier_wait -1
	s_barrier_signal -1
	s_barrier_wait -1
	s_and_saveexec_b32 s10, s92
	s_cbranch_execz .LBB125_83
; %bb.82:                               ;   in Loop: Header=BB125_3 Depth=1
	ds_load_b64 v[40:41], v50 offset:32224
	s_wait_dscnt 0x0
	ds_store_b64 v48, v[40:41] offset:31216
	ds_load_b64 v[40:41], v50 offset:32232
	s_wait_dscnt 0x0
	ds_store_b64 v48, v[40:41] offset:31728
.LBB125_83:                             ;   in Loop: Header=BB125_3 Depth=1
	s_or_b32 exec_lo, exec_lo, s10
	s_wait_dscnt 0x0
	s_barrier_signal -1
	s_barrier_wait -1
	s_and_saveexec_b32 s10, s14
	s_cbranch_execz .LBB125_85
; %bb.84:                               ;   in Loop: Header=BB125_3 Depth=1
	ds_load_b128 v[40:43], v1 offset:31712
	ds_load_b64 v[94:95], v1 offset:31200
	v_add_nc_u32_e64 v0, 0x7800, 0
	s_wait_dscnt 0x0
	v_mul_f64_e32 v[42:43], v[94:95], v[42:43]
	s_delay_alu instid0(VALU_DEP_1)
	v_mul_f64_e32 v[40:41], v[40:41], v[42:43]
	ds_store_2addr_b64 v0, v[40:41], v[40:41] offset0:61 offset1:124
.LBB125_85:                             ;   in Loop: Header=BB125_3 Depth=1
	s_or_b32 exec_lo, exec_lo, s10
	v_mov_b64_e32 v[40:41], 0
	s_wait_dscnt 0x0
	s_barrier_signal -1
	s_barrier_wait -1
	global_wb scope:SCOPE_DEV
	s_wait_storecnt 0x0
	global_inv scope:SCOPE_DEV
	s_and_saveexec_b32 s10, s3
	s_cbranch_execz .LBB125_91
; %bb.86:                               ;   in Loop: Header=BB125_3 Depth=1
	ds_load_b64 v[40:41], v53 offset:31168
	ds_load_b64 v[42:43], v52 offset:32736
	s_wait_dscnt 0x0
	v_fma_f64 v[40:41], v[40:41], v[42:43], 0
	s_and_saveexec_b32 s11, s16
	s_cbranch_execnz .LBB125_1099
; %bb.87:                               ;   in Loop: Header=BB125_3 Depth=1
	s_or_b32 exec_lo, exec_lo, s11
	s_and_saveexec_b32 s11, s17
	s_cbranch_execnz .LBB125_1100
.LBB125_88:                             ;   in Loop: Header=BB125_3 Depth=1
	s_or_b32 exec_lo, exec_lo, s11
	s_and_saveexec_b32 s11, s1
	s_cbranch_execz .LBB125_90
.LBB125_89:                             ;   in Loop: Header=BB125_3 Depth=1
	ds_load_b64 v[42:43], v54 offset:32704
	ds_load_b64 v[94:95], v1 offset:32760
	s_wait_dscnt 0x0
	v_fmac_f64_e32 v[40:41], v[42:43], v[94:95]
.LBB125_90:                             ;   in Loop: Header=BB125_3 Depth=1
	s_or_b32 exec_lo, exec_lo, s11
.LBB125_91:                             ;   in Loop: Header=BB125_3 Depth=1
	s_delay_alu instid0(SALU_CYCLE_1)
	s_or_b32 exec_lo, exec_lo, s10
	s_and_saveexec_b32 s10, s93
	s_cbranch_execz .LBB125_93
; %bb.92:                               ;   in Loop: Header=BB125_3 Depth=1
	ds_load_b64 v[42:43], v1 offset:30680
	s_wait_dscnt 0x0
	v_mul_f64_e32 v[40:41], v[40:41], v[42:43]
	s_delay_alu instid0(VALU_DEP_1) | instskip(NEXT) | instid1(VALU_DEP_2)
	v_xor_b32_e32 v43, 0x80000000, v41
	v_mov_b32_e32 v42, v40
	ds_store_b64 v51, v[42:43]
.LBB125_93:                             ;   in Loop: Header=BB125_3 Depth=1
	s_or_b32 exec_lo, exec_lo, s10
	s_wait_loadcnt_dscnt 0x0
	s_barrier_signal -1
	s_barrier_wait -1
	s_and_saveexec_b32 s10, s94
	s_cbranch_execz .LBB125_95
; %bb.94:                               ;   in Loop: Header=BB125_3 Depth=1
	ds_load_b64 v[42:43], v53 offset:30656
	ds_load_b64 v[94:95], v51
	s_wait_dscnt 0x0
	v_fma_f64 v[40:41], -v[42:43], v[94:95], v[40:41]
.LBB125_95:                             ;   in Loop: Header=BB125_3 Depth=1
	s_or_b32 exec_lo, exec_lo, s10
	s_barrier_signal -1
	s_barrier_wait -1
	s_and_saveexec_b32 s10, s95
	s_cbranch_execz .LBB125_97
; %bb.96:                               ;   in Loop: Header=BB125_3 Depth=1
	ds_load_b64 v[42:43], v1 offset:30160
	s_wait_dscnt 0x0
	v_mul_f64_e32 v[40:41], v[40:41], v[42:43]
	s_delay_alu instid0(VALU_DEP_1) | instskip(NEXT) | instid1(VALU_DEP_2)
	v_xor_b32_e32 v43, 0x80000000, v41
	v_mov_b32_e32 v42, v40
	ds_store_b64 v51, v[42:43]
.LBB125_97:                             ;   in Loop: Header=BB125_3 Depth=1
	s_or_b32 exec_lo, exec_lo, s10
	s_wait_dscnt 0x0
	s_barrier_signal -1
	s_barrier_wait -1
	s_and_saveexec_b32 s10, s96
	s_cbranch_execz .LBB125_99
; %bb.98:                               ;   in Loop: Header=BB125_3 Depth=1
	ds_load_b64 v[42:43], v53 offset:30144
	ds_load_b64 v[94:95], v51
	s_wait_dscnt 0x0
	v_fma_f64 v[40:41], -v[42:43], v[94:95], v[40:41]
.LBB125_99:                             ;   in Loop: Header=BB125_3 Depth=1
	s_or_b32 exec_lo, exec_lo, s10
	s_barrier_signal -1
	s_barrier_wait -1
	s_and_saveexec_b32 s10, s97
	s_cbranch_execz .LBB125_101
; %bb.100:                              ;   in Loop: Header=BB125_3 Depth=1
	ds_load_b64 v[42:43], v1 offset:29640
	s_wait_dscnt 0x0
	v_mul_f64_e32 v[40:41], v[40:41], v[42:43]
	s_delay_alu instid0(VALU_DEP_1) | instskip(NEXT) | instid1(VALU_DEP_2)
	v_xor_b32_e32 v43, 0x80000000, v41
	v_mov_b32_e32 v42, v40
	ds_store_b64 v51, v[42:43]
.LBB125_101:                            ;   in Loop: Header=BB125_3 Depth=1
	s_or_b32 exec_lo, exec_lo, s10
	s_wait_dscnt 0x0
	s_barrier_signal -1
	s_barrier_wait -1
	s_and_saveexec_b32 s10, s98
	s_cbranch_execz .LBB125_103
; %bb.102:                              ;   in Loop: Header=BB125_3 Depth=1
	ds_load_b64 v[42:43], v1 offset:29632
	ds_load_b64 v[94:95], v51
	s_wait_dscnt 0x0
	v_fma_f64 v[40:41], -v[42:43], v[94:95], v[40:41]
.LBB125_103:                            ;   in Loop: Header=BB125_3 Depth=1
	s_or_b32 exec_lo, exec_lo, s10
	s_barrier_signal -1
	s_barrier_wait -1
	s_and_saveexec_b32 s10, s98
	s_cbranch_execz .LBB125_105
; %bb.104:                              ;   in Loop: Header=BB125_3 Depth=1
	ds_load_b64 v[42:43], v1 offset:29120
	s_wait_dscnt 0x0
	v_mul_f64_e32 v[40:41], v[40:41], v[42:43]
	s_delay_alu instid0(VALU_DEP_1) | instskip(NEXT) | instid1(VALU_DEP_2)
	v_xor_b32_e32 v43, 0x80000000, v41
	v_mov_b32_e32 v42, v40
	ds_store_b64 v51, v[42:43]
.LBB125_105:                            ;   in Loop: Header=BB125_3 Depth=1
	s_or_b32 exec_lo, exec_lo, s10
	s_wait_dscnt 0x0
	s_barrier_signal -1
	s_barrier_wait -1
	s_barrier_signal -1
	s_barrier_wait -1
	s_and_saveexec_b32 s10, s3
; %bb.106:                              ;   in Loop: Header=BB125_3 Depth=1
	ds_store_b64 v55, v[40:41] offset:32704
; %bb.107:                              ;   in Loop: Header=BB125_3 Depth=1
	s_or_b32 exec_lo, exec_lo, s10
	s_wait_dscnt 0x0
	s_barrier_signal -1
	s_barrier_wait -1
	s_barrier_signal -1
	s_barrier_wait -1
	s_and_saveexec_b32 s10, s99
	s_cbranch_execz .LBB125_109
; %bb.108:                              ;   in Loop: Header=BB125_3 Depth=1
	ds_load_b64 v[40:41], v56 offset:31168
	s_wait_dscnt 0x0
	ds_store_b64 v5, v[40:41] offset:29152
	ds_load_b64 v[40:41], v56 offset:31176
	s_wait_dscnt 0x0
	ds_store_b64 v5, v[40:41] offset:29664
	;; [unrolled: 3-line block ×4, first 2 shown]
.LBB125_109:                            ;   in Loop: Header=BB125_3 Depth=1
	s_or_b32 exec_lo, exec_lo, s10
	s_wait_dscnt 0x0
	s_barrier_signal -1
	s_barrier_wait -1
	s_and_saveexec_b32 s10, s14
	s_cbranch_execz .LBB125_111
; %bb.110:                              ;   in Loop: Header=BB125_3 Depth=1
	ds_load_b128 v[40:43], v1 offset:30672
	ds_load_b64 v[94:95], v1 offset:30160
	v_add_nc_u32_e64 v0, 0x7000, 0
	s_wait_dscnt 0x0
	v_mul_f64_e32 v[42:43], v[94:95], v[42:43]
	s_delay_alu instid0(VALU_DEP_1)
	v_mul_f64_e32 v[40:41], v[40:41], v[42:43]
	ds_store_2addr_b64 v0, v[40:41], v[40:41] offset0:187 offset1:250
.LBB125_111:                            ;   in Loop: Header=BB125_3 Depth=1
	s_or_b32 exec_lo, exec_lo, s10
	v_mov_b64_e32 v[40:41], 0
	s_wait_dscnt 0x0
	s_barrier_signal -1
	s_barrier_wait -1
	global_wb scope:SCOPE_DEV
	s_wait_storecnt 0x0
	global_inv scope:SCOPE_DEV
	s_and_saveexec_b32 s10, s1
	s_cbranch_execz .LBB125_115
; %bb.112:                              ;   in Loop: Header=BB125_3 Depth=1
	ds_load_b64 v[40:41], v47 offset:30144
	ds_load_b64 v[42:43], v46 offset:30672
	s_wait_dscnt 0x0
	v_fma_f64 v[40:41], v[40:41], v[42:43], 0
	s_and_saveexec_b32 s11, s15
	s_cbranch_execz .LBB125_114
; %bb.113:                              ;   in Loop: Header=BB125_3 Depth=1
	ds_load_b64 v[42:43], v5 offset:30656
	ds_load_b64 v[94:95], v1 offset:30680
	s_wait_dscnt 0x0
	v_fmac_f64_e32 v[40:41], v[42:43], v[94:95]
.LBB125_114:                            ;   in Loop: Header=BB125_3 Depth=1
	s_or_b32 exec_lo, exec_lo, s11
.LBB125_115:                            ;   in Loop: Header=BB125_3 Depth=1
	s_delay_alu instid0(SALU_CYCLE_1)
	s_or_b32 exec_lo, exec_lo, s10
	s_and_saveexec_b32 s10, s90
	s_cbranch_execz .LBB125_117
; %bb.116:                              ;   in Loop: Header=BB125_3 Depth=1
	ds_load_b64 v[42:43], v1 offset:29640
	s_wait_dscnt 0x0
	v_mul_f64_e32 v[40:41], v[40:41], v[42:43]
	s_delay_alu instid0(VALU_DEP_1) | instskip(NEXT) | instid1(VALU_DEP_2)
	v_xor_b32_e32 v43, 0x80000000, v41
	v_mov_b32_e32 v42, v40
	ds_store_b64 v3, v[42:43]
.LBB125_117:                            ;   in Loop: Header=BB125_3 Depth=1
	s_or_b32 exec_lo, exec_lo, s10
	s_wait_loadcnt_dscnt 0x0
	s_barrier_signal -1
	s_barrier_wait -1
	s_and_saveexec_b32 s10, s91
	s_cbranch_execz .LBB125_119
; %bb.118:                              ;   in Loop: Header=BB125_3 Depth=1
	ds_load_b64 v[42:43], v1 offset:29632
	ds_load_b64 v[94:95], v3
	s_wait_dscnt 0x0
	v_fma_f64 v[40:41], -v[42:43], v[94:95], v[40:41]
.LBB125_119:                            ;   in Loop: Header=BB125_3 Depth=1
	s_or_b32 exec_lo, exec_lo, s10
	s_barrier_signal -1
	s_barrier_wait -1
	s_and_saveexec_b32 s10, s91
	s_cbranch_execz .LBB125_121
; %bb.120:                              ;   in Loop: Header=BB125_3 Depth=1
	ds_load_b64 v[42:43], v1 offset:29120
	s_wait_dscnt 0x0
	v_mul_f64_e32 v[40:41], v[40:41], v[42:43]
	s_delay_alu instid0(VALU_DEP_1) | instskip(NEXT) | instid1(VALU_DEP_2)
	v_xor_b32_e32 v43, 0x80000000, v41
	v_mov_b32_e32 v42, v40
	ds_store_b64 v3, v[42:43]
.LBB125_121:                            ;   in Loop: Header=BB125_3 Depth=1
	s_or_b32 exec_lo, exec_lo, s10
	s_wait_dscnt 0x0
	s_barrier_signal -1
	s_barrier_wait -1
	s_barrier_signal -1
	s_barrier_wait -1
	s_and_saveexec_b32 s10, s1
; %bb.122:                              ;   in Loop: Header=BB125_3 Depth=1
	ds_store_b64 v49, v[40:41] offset:30656
; %bb.123:                              ;   in Loop: Header=BB125_3 Depth=1
	s_or_b32 exec_lo, exec_lo, s10
	s_wait_dscnt 0x0
	s_barrier_signal -1
	s_barrier_wait -1
	s_barrier_signal -1
	s_barrier_wait -1
	s_and_saveexec_b32 s10, s92
	s_cbranch_execz .LBB125_125
; %bb.124:                              ;   in Loop: Header=BB125_3 Depth=1
	ds_load_b64 v[40:41], v71 offset:30144
	s_wait_dscnt 0x0
	ds_store_b64 v5, v[40:41] offset:29136
	ds_load_b64 v[40:41], v71 offset:30152
	s_wait_dscnt 0x0
	ds_store_b64 v5, v[40:41] offset:29648
.LBB125_125:                            ;   in Loop: Header=BB125_3 Depth=1
	s_or_b32 exec_lo, exec_lo, s10
	s_wait_dscnt 0x0
	s_barrier_signal -1
	s_barrier_wait -1
	s_and_saveexec_b32 s10, s14
	s_cbranch_execz .LBB125_127
; %bb.126:                              ;   in Loop: Header=BB125_3 Depth=1
	ds_load_b128 v[40:43], v1 offset:29632
	ds_load_b64 v[94:95], v1 offset:29120
	v_add_nc_u32_e64 v0, 0x7000, 0
	s_wait_dscnt 0x0
	v_mul_f64_e32 v[42:43], v[94:95], v[42:43]
	s_delay_alu instid0(VALU_DEP_1)
	v_mul_f64_e32 v[40:41], v[40:41], v[42:43]
	ds_store_2addr_b64 v0, v[40:41], v[40:41] offset0:57 offset1:120
.LBB125_127:                            ;   in Loop: Header=BB125_3 Depth=1
	s_or_b32 exec_lo, exec_lo, s10
	v_mov_b64_e32 v[40:41], 0
	s_wait_dscnt 0x0
	s_barrier_signal -1
	s_barrier_wait -1
	global_wb scope:SCOPE_DEV
	s_wait_storecnt 0x0
	global_inv scope:SCOPE_DEV
	s_and_saveexec_b32 s10, s4
	s_cbranch_execz .LBB125_137
; %bb.128:                              ;   in Loop: Header=BB125_3 Depth=1
	ds_load_b64 v[40:41], v59 offset:29056
	ds_load_b64 v[42:43], v58 offset:32704
	s_wait_dscnt 0x0
	v_fma_f64 v[40:41], v[40:41], v[42:43], 0
	s_and_saveexec_b32 s11, s18
	s_cbranch_execnz .LBB125_1101
; %bb.129:                              ;   in Loop: Header=BB125_3 Depth=1
	s_or_b32 exec_lo, exec_lo, s11
	s_and_saveexec_b32 s11, s19
	s_cbranch_execnz .LBB125_1102
.LBB125_130:                            ;   in Loop: Header=BB125_3 Depth=1
	s_or_b32 exec_lo, exec_lo, s11
	s_and_saveexec_b32 s11, s20
	s_cbranch_execnz .LBB125_1103
.LBB125_131:                            ;   in Loop: Header=BB125_3 Depth=1
	s_or_b32 exec_lo, exec_lo, s11
	s_and_saveexec_b32 s11, s21
	s_cbranch_execnz .LBB125_1104
.LBB125_132:                            ;   in Loop: Header=BB125_3 Depth=1
	s_or_b32 exec_lo, exec_lo, s11
	s_and_saveexec_b32 s11, s22
	s_cbranch_execnz .LBB125_1105
.LBB125_133:                            ;   in Loop: Header=BB125_3 Depth=1
	s_or_b32 exec_lo, exec_lo, s11
	s_and_saveexec_b32 s11, s3
	s_cbranch_execnz .LBB125_1106
.LBB125_134:                            ;   in Loop: Header=BB125_3 Depth=1
	s_or_b32 exec_lo, exec_lo, s11
	s_and_saveexec_b32 s11, s17
	s_cbranch_execz .LBB125_136
.LBB125_135:                            ;   in Loop: Header=BB125_3 Depth=1
	ds_load_b64 v[42:43], v72 offset:32640
	ds_load_b64 v[94:95], v1 offset:32760
	s_wait_dscnt 0x0
	v_fmac_f64_e32 v[40:41], v[42:43], v[94:95]
.LBB125_136:                            ;   in Loop: Header=BB125_3 Depth=1
	s_or_b32 exec_lo, exec_lo, s11
.LBB125_137:                            ;   in Loop: Header=BB125_3 Depth=1
	s_delay_alu instid0(SALU_CYCLE_1)
	s_or_b32 exec_lo, exec_lo, s10
	s_and_saveexec_b32 s10, s100
	s_cbranch_execz .LBB125_139
; %bb.138:                              ;   in Loop: Header=BB125_3 Depth=1
	ds_load_b64 v[42:43], v1 offset:28600
	s_wait_dscnt 0x0
	v_mul_f64_e32 v[40:41], v[40:41], v[42:43]
	s_delay_alu instid0(VALU_DEP_1) | instskip(NEXT) | instid1(VALU_DEP_2)
	v_xor_b32_e32 v43, 0x80000000, v41
	v_mov_b32_e32 v42, v40
	ds_store_b64 v57, v[42:43]
.LBB125_139:                            ;   in Loop: Header=BB125_3 Depth=1
	s_or_b32 exec_lo, exec_lo, s10
	s_wait_loadcnt_dscnt 0x0
	s_barrier_signal -1
	s_barrier_wait -1
	s_and_saveexec_b32 s10, s101
	s_cbranch_execz .LBB125_141
; %bb.140:                              ;   in Loop: Header=BB125_3 Depth=1
	ds_load_b64 v[42:43], v59 offset:28544
	ds_load_b64 v[94:95], v57
	s_wait_dscnt 0x0
	v_fma_f64 v[40:41], -v[42:43], v[94:95], v[40:41]
.LBB125_141:                            ;   in Loop: Header=BB125_3 Depth=1
	s_or_b32 exec_lo, exec_lo, s10
	s_barrier_signal -1
	s_barrier_wait -1
	s_and_saveexec_b32 s10, s102
	s_cbranch_execz .LBB125_143
; %bb.142:                              ;   in Loop: Header=BB125_3 Depth=1
	ds_load_b64 v[42:43], v1 offset:28080
	s_wait_dscnt 0x0
	v_mul_f64_e32 v[40:41], v[40:41], v[42:43]
	s_delay_alu instid0(VALU_DEP_1) | instskip(NEXT) | instid1(VALU_DEP_2)
	v_xor_b32_e32 v43, 0x80000000, v41
	v_mov_b32_e32 v42, v40
	ds_store_b64 v57, v[42:43]
.LBB125_143:                            ;   in Loop: Header=BB125_3 Depth=1
	s_or_b32 exec_lo, exec_lo, s10
	s_wait_dscnt 0x0
	s_barrier_signal -1
	s_barrier_wait -1
	s_and_saveexec_b32 s10, s103
	s_cbranch_execz .LBB125_145
; %bb.144:                              ;   in Loop: Header=BB125_3 Depth=1
	ds_load_b64 v[42:43], v59 offset:28032
	ds_load_b64 v[94:95], v57
	s_wait_dscnt 0x0
	v_fma_f64 v[40:41], -v[42:43], v[94:95], v[40:41]
.LBB125_145:                            ;   in Loop: Header=BB125_3 Depth=1
	s_or_b32 exec_lo, exec_lo, s10
	s_barrier_signal -1
	s_barrier_wait -1
	s_and_saveexec_b32 s10, s104
	s_cbranch_execz .LBB125_147
; %bb.146:                              ;   in Loop: Header=BB125_3 Depth=1
	ds_load_b64 v[42:43], v1 offset:27560
	s_wait_dscnt 0x0
	v_mul_f64_e32 v[40:41], v[40:41], v[42:43]
	s_delay_alu instid0(VALU_DEP_1) | instskip(NEXT) | instid1(VALU_DEP_2)
	v_xor_b32_e32 v43, 0x80000000, v41
	v_mov_b32_e32 v42, v40
	ds_store_b64 v57, v[42:43]
.LBB125_147:                            ;   in Loop: Header=BB125_3 Depth=1
	s_or_b32 exec_lo, exec_lo, s10
	s_wait_dscnt 0x0
	s_barrier_signal -1
	s_barrier_wait -1
	s_and_saveexec_b32 s10, vcc_hi
	s_cbranch_execz .LBB125_149
; %bb.148:                              ;   in Loop: Header=BB125_3 Depth=1
	ds_load_b64 v[42:43], v59 offset:27520
	ds_load_b64 v[94:95], v57
	s_wait_dscnt 0x0
	v_fma_f64 v[40:41], -v[42:43], v[94:95], v[40:41]
.LBB125_149:                            ;   in Loop: Header=BB125_3 Depth=1
	s_or_b32 exec_lo, exec_lo, s10
	s_barrier_signal -1
	s_barrier_wait -1
	s_and_saveexec_b32 s10, s36
	s_cbranch_execz .LBB125_151
; %bb.150:                              ;   in Loop: Header=BB125_3 Depth=1
	ds_load_b64 v[42:43], v1 offset:27040
	s_wait_dscnt 0x0
	v_mul_f64_e32 v[40:41], v[40:41], v[42:43]
	s_delay_alu instid0(VALU_DEP_1) | instskip(NEXT) | instid1(VALU_DEP_2)
	v_xor_b32_e32 v43, 0x80000000, v41
	v_mov_b32_e32 v42, v40
	ds_store_b64 v57, v[42:43]
.LBB125_151:                            ;   in Loop: Header=BB125_3 Depth=1
	s_or_b32 exec_lo, exec_lo, s10
	s_wait_dscnt 0x0
	s_barrier_signal -1
	s_barrier_wait -1
	s_and_saveexec_b32 s10, s37
	s_cbranch_execz .LBB125_153
; %bb.152:                              ;   in Loop: Header=BB125_3 Depth=1
	ds_load_b64 v[42:43], v59 offset:27008
	ds_load_b64 v[94:95], v57
	s_wait_dscnt 0x0
	v_fma_f64 v[40:41], -v[42:43], v[94:95], v[40:41]
.LBB125_153:                            ;   in Loop: Header=BB125_3 Depth=1
	s_or_b32 exec_lo, exec_lo, s10
	s_barrier_signal -1
	s_barrier_wait -1
	s_and_saveexec_b32 s10, s38
	s_cbranch_execz .LBB125_155
; %bb.154:                              ;   in Loop: Header=BB125_3 Depth=1
	ds_load_b64 v[42:43], v1 offset:26520
	s_wait_dscnt 0x0
	v_mul_f64_e32 v[40:41], v[40:41], v[42:43]
	s_delay_alu instid0(VALU_DEP_1) | instskip(NEXT) | instid1(VALU_DEP_2)
	v_xor_b32_e32 v43, 0x80000000, v41
	v_mov_b32_e32 v42, v40
	ds_store_b64 v57, v[42:43]
.LBB125_155:                            ;   in Loop: Header=BB125_3 Depth=1
	s_or_b32 exec_lo, exec_lo, s10
	s_wait_dscnt 0x0
	s_barrier_signal -1
	s_barrier_wait -1
	s_and_saveexec_b32 s10, s39
	;; [unrolled: 26-line block ×4, first 2 shown]
	s_cbranch_execz .LBB125_165
; %bb.164:                              ;   in Loop: Header=BB125_3 Depth=1
	ds_load_b64 v[42:43], v1 offset:25472
	ds_load_b64 v[94:95], v57
	s_wait_dscnt 0x0
	v_fma_f64 v[40:41], -v[42:43], v[94:95], v[40:41]
.LBB125_165:                            ;   in Loop: Header=BB125_3 Depth=1
	s_or_b32 exec_lo, exec_lo, s10
	s_barrier_signal -1
	s_barrier_wait -1
	s_and_saveexec_b32 s10, s43
	s_cbranch_execz .LBB125_167
; %bb.166:                              ;   in Loop: Header=BB125_3 Depth=1
	ds_load_b64 v[42:43], v1 offset:24960
	s_wait_dscnt 0x0
	v_mul_f64_e32 v[40:41], v[40:41], v[42:43]
	s_delay_alu instid0(VALU_DEP_1) | instskip(NEXT) | instid1(VALU_DEP_2)
	v_xor_b32_e32 v43, 0x80000000, v41
	v_mov_b32_e32 v42, v40
	ds_store_b64 v57, v[42:43]
.LBB125_167:                            ;   in Loop: Header=BB125_3 Depth=1
	s_or_b32 exec_lo, exec_lo, s10
	s_wait_dscnt 0x0
	s_barrier_signal -1
	s_barrier_wait -1
	s_barrier_signal -1
	s_barrier_wait -1
	s_and_saveexec_b32 s10, s4
; %bb.168:                              ;   in Loop: Header=BB125_3 Depth=1
	ds_store_b64 v60, v[40:41] offset:32640
; %bb.169:                              ;   in Loop: Header=BB125_3 Depth=1
	s_or_b32 exec_lo, exec_lo, s10
	s_wait_dscnt 0x0
	s_barrier_signal -1
	s_barrier_wait -1
	s_barrier_signal -1
	s_barrier_wait -1
	s_and_saveexec_b32 s10, s44
	s_cbranch_execz .LBB125_171
; %bb.170:                              ;   in Loop: Header=BB125_3 Depth=1
	ds_load_b64 v[40:41], v74 offset:29056
	s_wait_dscnt 0x0
	ds_store_b64 v75, v[40:41] offset:25024
	ds_load_b64 v[40:41], v74 offset:29064
	s_wait_dscnt 0x0
	ds_store_b64 v75, v[40:41] offset:25536
	;; [unrolled: 3-line block ×8, first 2 shown]
.LBB125_171:                            ;   in Loop: Header=BB125_3 Depth=1
	s_or_b32 exec_lo, exec_lo, s10
	s_wait_dscnt 0x0
	s_barrier_signal -1
	s_barrier_wait -1
	s_and_saveexec_b32 s10, s14
	s_cbranch_execz .LBB125_173
; %bb.172:                              ;   in Loop: Header=BB125_3 Depth=1
	ds_load_b128 v[40:43], v1 offset:28592
	ds_load_b64 v[94:95], v1 offset:28080
	v_add_nc_u32_e64 v0, 0x6800, 0
	s_wait_dscnt 0x0
	v_mul_f64_e32 v[42:43], v[94:95], v[42:43]
	s_delay_alu instid0(VALU_DEP_1)
	v_mul_f64_e32 v[40:41], v[40:41], v[42:43]
	ds_store_2addr_b64 v0, v[40:41], v[40:41] offset0:183 offset1:246
.LBB125_173:                            ;   in Loop: Header=BB125_3 Depth=1
	s_or_b32 exec_lo, exec_lo, s10
	v_mov_b64_e32 v[40:41], 0
	s_wait_dscnt 0x0
	s_barrier_signal -1
	s_barrier_wait -1
	global_wb scope:SCOPE_DEV
	s_wait_storecnt 0x0
	global_inv scope:SCOPE_DEV
	s_and_saveexec_b32 s10, s1
	s_cbranch_execz .LBB125_177
; %bb.174:                              ;   in Loop: Header=BB125_3 Depth=1
	ds_load_b64 v[40:41], v47 offset:28064
	ds_load_b64 v[42:43], v46 offset:28592
	s_wait_dscnt 0x0
	v_fma_f64 v[40:41], v[40:41], v[42:43], 0
	s_and_saveexec_b32 s11, s15
	s_cbranch_execz .LBB125_176
; %bb.175:                              ;   in Loop: Header=BB125_3 Depth=1
	ds_load_b64 v[42:43], v75 offset:28576
	ds_load_b64 v[94:95], v1 offset:28600
	s_wait_dscnt 0x0
	v_fmac_f64_e32 v[40:41], v[42:43], v[94:95]
.LBB125_176:                            ;   in Loop: Header=BB125_3 Depth=1
	s_or_b32 exec_lo, exec_lo, s11
.LBB125_177:                            ;   in Loop: Header=BB125_3 Depth=1
	s_delay_alu instid0(SALU_CYCLE_1)
	s_or_b32 exec_lo, exec_lo, s10
	s_and_saveexec_b32 s10, s90
	s_cbranch_execz .LBB125_179
; %bb.178:                              ;   in Loop: Header=BB125_3 Depth=1
	ds_load_b64 v[42:43], v1 offset:27560
	s_wait_dscnt 0x0
	v_mul_f64_e32 v[40:41], v[40:41], v[42:43]
	s_delay_alu instid0(VALU_DEP_1) | instskip(NEXT) | instid1(VALU_DEP_2)
	v_xor_b32_e32 v43, 0x80000000, v41
	v_mov_b32_e32 v42, v40
	ds_store_b64 v3, v[42:43]
.LBB125_179:                            ;   in Loop: Header=BB125_3 Depth=1
	s_or_b32 exec_lo, exec_lo, s10
	s_wait_loadcnt_dscnt 0x0
	s_barrier_signal -1
	s_barrier_wait -1
	s_and_saveexec_b32 s10, s91
	s_cbranch_execz .LBB125_181
; %bb.180:                              ;   in Loop: Header=BB125_3 Depth=1
	ds_load_b64 v[42:43], v1 offset:27552
	ds_load_b64 v[94:95], v3
	s_wait_dscnt 0x0
	v_fma_f64 v[40:41], -v[42:43], v[94:95], v[40:41]
.LBB125_181:                            ;   in Loop: Header=BB125_3 Depth=1
	s_or_b32 exec_lo, exec_lo, s10
	s_barrier_signal -1
	s_barrier_wait -1
	s_and_saveexec_b32 s10, s91
	s_cbranch_execz .LBB125_183
; %bb.182:                              ;   in Loop: Header=BB125_3 Depth=1
	ds_load_b64 v[42:43], v1 offset:27040
	s_wait_dscnt 0x0
	v_mul_f64_e32 v[40:41], v[40:41], v[42:43]
	s_delay_alu instid0(VALU_DEP_1) | instskip(NEXT) | instid1(VALU_DEP_2)
	v_xor_b32_e32 v43, 0x80000000, v41
	v_mov_b32_e32 v42, v40
	ds_store_b64 v3, v[42:43]
.LBB125_183:                            ;   in Loop: Header=BB125_3 Depth=1
	s_or_b32 exec_lo, exec_lo, s10
	s_wait_dscnt 0x0
	s_barrier_signal -1
	s_barrier_wait -1
	s_barrier_signal -1
	s_barrier_wait -1
	s_and_saveexec_b32 s10, s1
; %bb.184:                              ;   in Loop: Header=BB125_3 Depth=1
	ds_store_b64 v49, v[40:41] offset:28576
; %bb.185:                              ;   in Loop: Header=BB125_3 Depth=1
	s_or_b32 exec_lo, exec_lo, s10
	s_wait_dscnt 0x0
	s_barrier_signal -1
	s_barrier_wait -1
	s_barrier_signal -1
	s_barrier_wait -1
	s_and_saveexec_b32 s10, s92
	s_cbranch_execz .LBB125_187
; %bb.186:                              ;   in Loop: Header=BB125_3 Depth=1
	ds_load_b64 v[40:41], v76 offset:28064
	s_wait_dscnt 0x0
	ds_store_b64 v75, v[40:41] offset:27056
	ds_load_b64 v[40:41], v76 offset:28072
	s_wait_dscnt 0x0
	ds_store_b64 v75, v[40:41] offset:27568
.LBB125_187:                            ;   in Loop: Header=BB125_3 Depth=1
	s_or_b32 exec_lo, exec_lo, s10
	s_wait_dscnt 0x0
	s_barrier_signal -1
	s_barrier_wait -1
	s_and_saveexec_b32 s10, s14
	s_cbranch_execz .LBB125_189
; %bb.188:                              ;   in Loop: Header=BB125_3 Depth=1
	ds_load_b128 v[40:43], v1 offset:27552
	ds_load_b64 v[94:95], v1 offset:27040
	v_add_nc_u32_e64 v0, 0x6800, 0
	s_wait_dscnt 0x0
	v_mul_f64_e32 v[42:43], v[94:95], v[42:43]
	s_delay_alu instid0(VALU_DEP_1)
	v_mul_f64_e32 v[40:41], v[40:41], v[42:43]
	ds_store_2addr_b64 v0, v[40:41], v[40:41] offset0:53 offset1:116
.LBB125_189:                            ;   in Loop: Header=BB125_3 Depth=1
	s_or_b32 exec_lo, exec_lo, s10
	v_mov_b64_e32 v[40:41], 0
	s_wait_dscnt 0x0
	s_barrier_signal -1
	s_barrier_wait -1
	global_wb scope:SCOPE_DEV
	s_wait_storecnt 0x0
	global_inv scope:SCOPE_DEV
	s_and_saveexec_b32 s10, s3
	s_cbranch_execz .LBB125_195
; %bb.190:                              ;   in Loop: Header=BB125_3 Depth=1
	ds_load_b64 v[40:41], v53 offset:27008
	ds_load_b64 v[42:43], v52 offset:28576
	s_wait_dscnt 0x0
	v_fma_f64 v[40:41], v[40:41], v[42:43], 0
	s_and_saveexec_b32 s11, s16
	s_cbranch_execnz .LBB125_1107
; %bb.191:                              ;   in Loop: Header=BB125_3 Depth=1
	s_or_b32 exec_lo, exec_lo, s11
	s_and_saveexec_b32 s11, s17
	s_cbranch_execnz .LBB125_1108
.LBB125_192:                            ;   in Loop: Header=BB125_3 Depth=1
	s_or_b32 exec_lo, exec_lo, s11
	s_and_saveexec_b32 s11, s1
	s_cbranch_execz .LBB125_194
.LBB125_193:                            ;   in Loop: Header=BB125_3 Depth=1
	ds_load_b64 v[42:43], v78 offset:28544
	ds_load_b64 v[94:95], v1 offset:28600
	s_wait_dscnt 0x0
	v_fmac_f64_e32 v[40:41], v[42:43], v[94:95]
.LBB125_194:                            ;   in Loop: Header=BB125_3 Depth=1
	s_or_b32 exec_lo, exec_lo, s11
.LBB125_195:                            ;   in Loop: Header=BB125_3 Depth=1
	s_delay_alu instid0(SALU_CYCLE_1)
	s_or_b32 exec_lo, exec_lo, s10
	s_and_saveexec_b32 s10, s93
	s_cbranch_execz .LBB125_197
; %bb.196:                              ;   in Loop: Header=BB125_3 Depth=1
	ds_load_b64 v[42:43], v1 offset:26520
	s_wait_dscnt 0x0
	v_mul_f64_e32 v[40:41], v[40:41], v[42:43]
	s_delay_alu instid0(VALU_DEP_1) | instskip(NEXT) | instid1(VALU_DEP_2)
	v_xor_b32_e32 v43, 0x80000000, v41
	v_mov_b32_e32 v42, v40
	ds_store_b64 v51, v[42:43]
.LBB125_197:                            ;   in Loop: Header=BB125_3 Depth=1
	s_or_b32 exec_lo, exec_lo, s10
	s_wait_loadcnt_dscnt 0x0
	s_barrier_signal -1
	s_barrier_wait -1
	s_and_saveexec_b32 s10, s94
	s_cbranch_execz .LBB125_199
; %bb.198:                              ;   in Loop: Header=BB125_3 Depth=1
	ds_load_b64 v[42:43], v53 offset:26496
	ds_load_b64 v[94:95], v51
	s_wait_dscnt 0x0
	v_fma_f64 v[40:41], -v[42:43], v[94:95], v[40:41]
.LBB125_199:                            ;   in Loop: Header=BB125_3 Depth=1
	s_or_b32 exec_lo, exec_lo, s10
	s_barrier_signal -1
	s_barrier_wait -1
	s_and_saveexec_b32 s10, s95
	s_cbranch_execz .LBB125_201
; %bb.200:                              ;   in Loop: Header=BB125_3 Depth=1
	ds_load_b64 v[42:43], v1 offset:26000
	s_wait_dscnt 0x0
	v_mul_f64_e32 v[40:41], v[40:41], v[42:43]
	s_delay_alu instid0(VALU_DEP_1) | instskip(NEXT) | instid1(VALU_DEP_2)
	v_xor_b32_e32 v43, 0x80000000, v41
	v_mov_b32_e32 v42, v40
	ds_store_b64 v51, v[42:43]
.LBB125_201:                            ;   in Loop: Header=BB125_3 Depth=1
	s_or_b32 exec_lo, exec_lo, s10
	s_wait_dscnt 0x0
	s_barrier_signal -1
	s_barrier_wait -1
	s_and_saveexec_b32 s10, s96
	s_cbranch_execz .LBB125_203
; %bb.202:                              ;   in Loop: Header=BB125_3 Depth=1
	ds_load_b64 v[42:43], v53 offset:25984
	ds_load_b64 v[94:95], v51
	s_wait_dscnt 0x0
	v_fma_f64 v[40:41], -v[42:43], v[94:95], v[40:41]
.LBB125_203:                            ;   in Loop: Header=BB125_3 Depth=1
	s_or_b32 exec_lo, exec_lo, s10
	s_barrier_signal -1
	s_barrier_wait -1
	s_and_saveexec_b32 s10, s97
	s_cbranch_execz .LBB125_205
; %bb.204:                              ;   in Loop: Header=BB125_3 Depth=1
	ds_load_b64 v[42:43], v1 offset:25480
	s_wait_dscnt 0x0
	v_mul_f64_e32 v[40:41], v[40:41], v[42:43]
	s_delay_alu instid0(VALU_DEP_1) | instskip(NEXT) | instid1(VALU_DEP_2)
	v_xor_b32_e32 v43, 0x80000000, v41
	v_mov_b32_e32 v42, v40
	ds_store_b64 v51, v[42:43]
.LBB125_205:                            ;   in Loop: Header=BB125_3 Depth=1
	s_or_b32 exec_lo, exec_lo, s10
	s_wait_dscnt 0x0
	;; [unrolled: 26-line block ×3, first 2 shown]
	s_barrier_signal -1
	s_barrier_wait -1
	s_barrier_signal -1
	s_barrier_wait -1
	s_and_saveexec_b32 s10, s3
; %bb.210:                              ;   in Loop: Header=BB125_3 Depth=1
	ds_store_b64 v55, v[40:41] offset:28544
; %bb.211:                              ;   in Loop: Header=BB125_3 Depth=1
	s_or_b32 exec_lo, exec_lo, s10
	s_wait_dscnt 0x0
	s_barrier_signal -1
	s_barrier_wait -1
	s_barrier_signal -1
	s_barrier_wait -1
	s_and_saveexec_b32 s10, s99
	s_cbranch_execz .LBB125_213
; %bb.212:                              ;   in Loop: Header=BB125_3 Depth=1
	ds_load_b64 v[40:41], v80 offset:27008
	s_wait_dscnt 0x0
	ds_store_b64 v83, v[40:41] offset:24992
	ds_load_b64 v[40:41], v80 offset:27016
	s_wait_dscnt 0x0
	ds_store_b64 v83, v[40:41] offset:25504
	;; [unrolled: 3-line block ×4, first 2 shown]
.LBB125_213:                            ;   in Loop: Header=BB125_3 Depth=1
	s_or_b32 exec_lo, exec_lo, s10
	s_wait_dscnt 0x0
	s_barrier_signal -1
	s_barrier_wait -1
	s_and_saveexec_b32 s10, s14
	s_cbranch_execz .LBB125_215
; %bb.214:                              ;   in Loop: Header=BB125_3 Depth=1
	ds_load_b128 v[40:43], v1 offset:26512
	ds_load_b64 v[94:95], v1 offset:26000
	v_add_nc_u32_e64 v0, 0x6000, 0
	s_wait_dscnt 0x0
	v_mul_f64_e32 v[42:43], v[94:95], v[42:43]
	s_delay_alu instid0(VALU_DEP_1)
	v_mul_f64_e32 v[40:41], v[40:41], v[42:43]
	ds_store_2addr_b64 v0, v[40:41], v[40:41] offset0:179 offset1:242
.LBB125_215:                            ;   in Loop: Header=BB125_3 Depth=1
	s_or_b32 exec_lo, exec_lo, s10
	v_mov_b64_e32 v[40:41], 0
	s_wait_dscnt 0x0
	s_barrier_signal -1
	s_barrier_wait -1
	global_wb scope:SCOPE_DEV
	s_wait_storecnt 0x0
	global_inv scope:SCOPE_DEV
	s_and_saveexec_b32 s10, s1
	s_cbranch_execz .LBB125_219
; %bb.216:                              ;   in Loop: Header=BB125_3 Depth=1
	ds_load_b64 v[40:41], v47 offset:25984
	ds_load_b64 v[42:43], v46 offset:26512
	s_wait_dscnt 0x0
	v_fma_f64 v[40:41], v[40:41], v[42:43], 0
	s_and_saveexec_b32 s11, s15
	s_cbranch_execz .LBB125_218
; %bb.217:                              ;   in Loop: Header=BB125_3 Depth=1
	ds_load_b64 v[42:43], v83 offset:26496
	ds_load_b64 v[94:95], v1 offset:26520
	s_wait_dscnt 0x0
	v_fmac_f64_e32 v[40:41], v[42:43], v[94:95]
.LBB125_218:                            ;   in Loop: Header=BB125_3 Depth=1
	s_or_b32 exec_lo, exec_lo, s11
.LBB125_219:                            ;   in Loop: Header=BB125_3 Depth=1
	s_delay_alu instid0(SALU_CYCLE_1)
	s_or_b32 exec_lo, exec_lo, s10
	s_and_saveexec_b32 s10, s90
	s_cbranch_execz .LBB125_221
; %bb.220:                              ;   in Loop: Header=BB125_3 Depth=1
	ds_load_b64 v[42:43], v1 offset:25480
	s_wait_dscnt 0x0
	v_mul_f64_e32 v[40:41], v[40:41], v[42:43]
	s_delay_alu instid0(VALU_DEP_1) | instskip(NEXT) | instid1(VALU_DEP_2)
	v_xor_b32_e32 v43, 0x80000000, v41
	v_mov_b32_e32 v42, v40
	ds_store_b64 v3, v[42:43]
.LBB125_221:                            ;   in Loop: Header=BB125_3 Depth=1
	s_or_b32 exec_lo, exec_lo, s10
	s_wait_loadcnt_dscnt 0x0
	s_barrier_signal -1
	s_barrier_wait -1
	s_and_saveexec_b32 s10, s91
	s_cbranch_execz .LBB125_223
; %bb.222:                              ;   in Loop: Header=BB125_3 Depth=1
	ds_load_b64 v[42:43], v1 offset:25472
	ds_load_b64 v[94:95], v3
	s_wait_dscnt 0x0
	v_fma_f64 v[40:41], -v[42:43], v[94:95], v[40:41]
.LBB125_223:                            ;   in Loop: Header=BB125_3 Depth=1
	s_or_b32 exec_lo, exec_lo, s10
	s_barrier_signal -1
	s_barrier_wait -1
	s_and_saveexec_b32 s10, s91
	s_cbranch_execz .LBB125_225
; %bb.224:                              ;   in Loop: Header=BB125_3 Depth=1
	ds_load_b64 v[42:43], v1 offset:24960
	s_wait_dscnt 0x0
	v_mul_f64_e32 v[40:41], v[40:41], v[42:43]
	s_delay_alu instid0(VALU_DEP_1) | instskip(NEXT) | instid1(VALU_DEP_2)
	v_xor_b32_e32 v43, 0x80000000, v41
	v_mov_b32_e32 v42, v40
	ds_store_b64 v3, v[42:43]
.LBB125_225:                            ;   in Loop: Header=BB125_3 Depth=1
	s_or_b32 exec_lo, exec_lo, s10
	s_wait_dscnt 0x0
	s_barrier_signal -1
	s_barrier_wait -1
	s_barrier_signal -1
	s_barrier_wait -1
	s_and_saveexec_b32 s10, s1
; %bb.226:                              ;   in Loop: Header=BB125_3 Depth=1
	ds_store_b64 v49, v[40:41] offset:26496
; %bb.227:                              ;   in Loop: Header=BB125_3 Depth=1
	s_or_b32 exec_lo, exec_lo, s10
	s_wait_dscnt 0x0
	s_barrier_signal -1
	s_barrier_wait -1
	s_barrier_signal -1
	s_barrier_wait -1
	s_and_saveexec_b32 s10, s92
	s_cbranch_execz .LBB125_229
; %bb.228:                              ;   in Loop: Header=BB125_3 Depth=1
	ds_load_b64 v[40:41], v85 offset:25984
	s_wait_dscnt 0x0
	ds_store_b64 v83, v[40:41] offset:24976
	ds_load_b64 v[40:41], v85 offset:25992
	s_wait_dscnt 0x0
	ds_store_b64 v83, v[40:41] offset:25488
.LBB125_229:                            ;   in Loop: Header=BB125_3 Depth=1
	s_or_b32 exec_lo, exec_lo, s10
	s_wait_dscnt 0x0
	s_barrier_signal -1
	s_barrier_wait -1
	s_and_saveexec_b32 s10, s14
	s_cbranch_execz .LBB125_231
; %bb.230:                              ;   in Loop: Header=BB125_3 Depth=1
	ds_load_b128 v[40:43], v1 offset:25472
	ds_load_b64 v[94:95], v1 offset:24960
	v_add_nc_u32_e64 v0, 0x6000, 0
	s_wait_dscnt 0x0
	v_mul_f64_e32 v[42:43], v[94:95], v[42:43]
	s_delay_alu instid0(VALU_DEP_1)
	v_mul_f64_e32 v[40:41], v[40:41], v[42:43]
	ds_store_2addr_b64 v0, v[40:41], v[40:41] offset0:49 offset1:112
.LBB125_231:                            ;   in Loop: Header=BB125_3 Depth=1
	s_or_b32 exec_lo, exec_lo, s10
	v_mov_b64_e32 v[40:41], 0
	s_wait_dscnt 0x0
	s_barrier_signal -1
	s_barrier_wait -1
	global_wb scope:SCOPE_DEV
	s_wait_storecnt 0x0
	global_inv scope:SCOPE_DEV
	s_and_saveexec_b32 s65, s5
	s_cbranch_execz .LBB125_259
; %bb.232:                              ;   in Loop: Header=BB125_3 Depth=1
	ds_load_b64 v[40:41], v63 offset:24832
	ds_load_b64 v[42:43], v62 offset:32640
	s_wait_dscnt 0x0
	v_fma_f64 v[40:41], v[40:41], v[42:43], 0
	s_mov_b32 s10, exec_lo
	v_readlane_b32 s11, v103, 23
	s_and_b32 s11, s10, s11
	s_delay_alu instid0(SALU_CYCLE_1)
	s_mov_b32 exec_lo, s11
	s_cbranch_execz .LBB125_234
; %bb.233:                              ;   in Loop: Header=BB125_3 Depth=1
	ds_load_b64 v[42:43], v63 offset:25344
	ds_load_b64 v[94:95], v62 offset:32648
	s_wait_dscnt 0x0
	v_fmac_f64_e32 v[40:41], v[42:43], v[94:95]
.LBB125_234:                            ;   in Loop: Header=BB125_3 Depth=1
	s_or_b32 exec_lo, exec_lo, s10
	s_delay_alu instid0(SALU_CYCLE_1) | instskip(SKIP_2) | instid1(SALU_CYCLE_1)
	s_mov_b32 s10, exec_lo
	v_readlane_b32 s11, v103, 24
	s_and_b32 s11, s10, s11
	s_mov_b32 exec_lo, s11
	s_cbranch_execz .LBB125_236
; %bb.235:                              ;   in Loop: Header=BB125_3 Depth=1
	ds_load_b64 v[42:43], v63 offset:25856
	ds_load_b64 v[94:95], v62 offset:32656
	s_wait_dscnt 0x0
	v_fmac_f64_e32 v[40:41], v[42:43], v[94:95]
.LBB125_236:                            ;   in Loop: Header=BB125_3 Depth=1
	s_or_b32 exec_lo, exec_lo, s10
	s_delay_alu instid0(SALU_CYCLE_1) | instskip(SKIP_2) | instid1(SALU_CYCLE_1)
	s_mov_b32 s10, exec_lo
	v_readlane_b32 s11, v103, 25
	s_and_b32 s11, s10, s11
	;; [unrolled: 13-line block ×10, first 2 shown]
	s_mov_b32 exec_lo, s11
	s_cbranch_execnz .LBB125_1109
; %bb.253:                              ;   in Loop: Header=BB125_3 Depth=1
	s_or_b32 exec_lo, exec_lo, s10
	s_and_saveexec_b32 s10, s4
	s_cbranch_execnz .LBB125_1110
.LBB125_254:                            ;   in Loop: Header=BB125_3 Depth=1
	s_or_b32 exec_lo, exec_lo, s10
	s_and_saveexec_b32 s10, s19
	s_cbranch_execnz .LBB125_1111
.LBB125_255:                            ;   in Loop: Header=BB125_3 Depth=1
	s_or_b32 exec_lo, exec_lo, s10
	s_and_saveexec_b32 s10, s21
	s_cbranch_execnz .LBB125_1112
.LBB125_256:                            ;   in Loop: Header=BB125_3 Depth=1
	s_or_b32 exec_lo, exec_lo, s10
	s_and_saveexec_b32 s10, s3
	s_cbranch_execz .LBB125_258
.LBB125_257:                            ;   in Loop: Header=BB125_3 Depth=1
	ds_load_b64 v[42:43], v48 offset:32512
	ds_load_b64 v[94:95], v1 offset:32760
	s_wait_dscnt 0x0
	v_fmac_f64_e32 v[40:41], v[42:43], v[94:95]
.LBB125_258:                            ;   in Loop: Header=BB125_3 Depth=1
	s_or_b32 exec_lo, exec_lo, s10
.LBB125_259:                            ;   in Loop: Header=BB125_3 Depth=1
	s_delay_alu instid0(SALU_CYCLE_1) | instskip(NEXT) | instid1(SALU_CYCLE_1)
	s_or_b32 exec_lo, exec_lo, s65
	s_mov_b32 s10, exec_lo
	v_readlane_b32 s11, v103, 2
	s_and_b32 s11, s10, s11
	s_delay_alu instid0(SALU_CYCLE_1)
	s_mov_b32 exec_lo, s11
	s_cbranch_execz .LBB125_261
; %bb.260:                              ;   in Loop: Header=BB125_3 Depth=1
	ds_load_b64 v[42:43], v1 offset:24440
	s_wait_dscnt 0x0
	v_mul_f64_e32 v[40:41], v[40:41], v[42:43]
	s_delay_alu instid0(VALU_DEP_1) | instskip(NEXT) | instid1(VALU_DEP_2)
	v_xor_b32_e32 v43, 0x80000000, v41
	v_mov_b32_e32 v42, v40
	ds_store_b64 v61, v[42:43]
.LBB125_261:                            ;   in Loop: Header=BB125_3 Depth=1
	s_or_b32 exec_lo, exec_lo, s10
	s_wait_loadcnt_dscnt 0x0
	s_barrier_signal -1
	s_barrier_wait -1
	s_mov_b32 s10, exec_lo
	v_readlane_b32 s11, v103, 3
	s_and_b32 s11, s10, s11
	s_delay_alu instid0(SALU_CYCLE_1)
	s_mov_b32 exec_lo, s11
	s_cbranch_execz .LBB125_263
; %bb.262:                              ;   in Loop: Header=BB125_3 Depth=1
	ds_load_b64 v[42:43], v63 offset:24320
	ds_load_b64 v[94:95], v61
	s_wait_dscnt 0x0
	v_fma_f64 v[40:41], -v[42:43], v[94:95], v[40:41]
.LBB125_263:                            ;   in Loop: Header=BB125_3 Depth=1
	s_or_b32 exec_lo, exec_lo, s10
	s_barrier_signal -1
	s_barrier_wait -1
	s_mov_b32 s10, exec_lo
	v_readlane_b32 s11, v103, 4
	s_and_b32 s11, s10, s11
	s_delay_alu instid0(SALU_CYCLE_1)
	s_mov_b32 exec_lo, s11
	s_cbranch_execz .LBB125_265
; %bb.264:                              ;   in Loop: Header=BB125_3 Depth=1
	ds_load_b64 v[42:43], v1 offset:23920
	s_wait_dscnt 0x0
	v_mul_f64_e32 v[40:41], v[40:41], v[42:43]
	s_delay_alu instid0(VALU_DEP_1) | instskip(NEXT) | instid1(VALU_DEP_2)
	v_xor_b32_e32 v43, 0x80000000, v41
	v_mov_b32_e32 v42, v40
	ds_store_b64 v61, v[42:43]
.LBB125_265:                            ;   in Loop: Header=BB125_3 Depth=1
	s_or_b32 exec_lo, exec_lo, s10
	s_wait_dscnt 0x0
	s_barrier_signal -1
	s_barrier_wait -1
	s_and_saveexec_b32 s10, s48
	s_cbranch_execz .LBB125_267
; %bb.266:                              ;   in Loop: Header=BB125_3 Depth=1
	ds_load_b64 v[42:43], v63 offset:23808
	ds_load_b64 v[94:95], v61
	s_wait_dscnt 0x0
	v_fma_f64 v[40:41], -v[42:43], v[94:95], v[40:41]
.LBB125_267:                            ;   in Loop: Header=BB125_3 Depth=1
	s_or_b32 exec_lo, exec_lo, s10
	s_barrier_signal -1
	s_barrier_wait -1
	s_and_saveexec_b32 s10, s49
	s_cbranch_execz .LBB125_269
; %bb.268:                              ;   in Loop: Header=BB125_3 Depth=1
	ds_load_b64 v[42:43], v1 offset:23400
	s_wait_dscnt 0x0
	v_mul_f64_e32 v[40:41], v[40:41], v[42:43]
	s_delay_alu instid0(VALU_DEP_1) | instskip(NEXT) | instid1(VALU_DEP_2)
	v_xor_b32_e32 v43, 0x80000000, v41
	v_mov_b32_e32 v42, v40
	ds_store_b64 v61, v[42:43]
.LBB125_269:                            ;   in Loop: Header=BB125_3 Depth=1
	s_or_b32 exec_lo, exec_lo, s10
	s_wait_dscnt 0x0
	s_barrier_signal -1
	s_barrier_wait -1
	s_and_saveexec_b32 s10, s50
	s_cbranch_execz .LBB125_271
; %bb.270:                              ;   in Loop: Header=BB125_3 Depth=1
	ds_load_b64 v[42:43], v63 offset:23296
	ds_load_b64 v[94:95], v61
	s_wait_dscnt 0x0
	v_fma_f64 v[40:41], -v[42:43], v[94:95], v[40:41]
.LBB125_271:                            ;   in Loop: Header=BB125_3 Depth=1
	s_or_b32 exec_lo, exec_lo, s10
	s_barrier_signal -1
	s_barrier_wait -1
	s_and_saveexec_b32 s10, s51
	;; [unrolled: 26-line block ×14, first 2 shown]
	s_cbranch_execz .LBB125_321
; %bb.320:                              ;   in Loop: Header=BB125_3 Depth=1
	ds_load_b64 v[42:43], v1 offset:16640
	s_wait_dscnt 0x0
	v_mul_f64_e32 v[40:41], v[40:41], v[42:43]
	s_delay_alu instid0(VALU_DEP_1) | instskip(NEXT) | instid1(VALU_DEP_2)
	v_xor_b32_e32 v43, 0x80000000, v41
	v_mov_b32_e32 v42, v40
	ds_store_b64 v61, v[42:43]
.LBB125_321:                            ;   in Loop: Header=BB125_3 Depth=1
	s_or_b32 exec_lo, exec_lo, s10
	s_wait_dscnt 0x0
	s_barrier_signal -1
	s_barrier_wait -1
	s_barrier_signal -1
	s_barrier_wait -1
	s_and_saveexec_b32 s10, s5
; %bb.322:                              ;   in Loop: Header=BB125_3 Depth=1
	ds_store_b64 v65, v[40:41] offset:32512
; %bb.323:                              ;   in Loop: Header=BB125_3 Depth=1
	s_or_b32 exec_lo, exec_lo, s10
	s_wait_dscnt 0x0
	s_barrier_signal -1
	s_barrier_wait -1
	s_barrier_signal -1
	s_barrier_wait -1
	s_and_saveexec_b32 s10, s84
	s_cbranch_execz .LBB125_325
; %bb.324:                              ;   in Loop: Header=BB125_3 Depth=1
	ds_load_b64 v[40:41], v50 offset:24832
	s_wait_dscnt 0x0
	ds_store_b64 v54, v[40:41] offset:16768
	ds_load_b64 v[40:41], v50 offset:24840
	s_wait_dscnt 0x0
	ds_store_b64 v54, v[40:41] offset:17280
	;; [unrolled: 3-line block ×16, first 2 shown]
.LBB125_325:                            ;   in Loop: Header=BB125_3 Depth=1
	s_or_b32 exec_lo, exec_lo, s10
	s_wait_dscnt 0x0
	s_barrier_signal -1
	s_barrier_wait -1
	s_and_saveexec_b32 s10, s14
	s_cbranch_execz .LBB125_327
; %bb.326:                              ;   in Loop: Header=BB125_3 Depth=1
	ds_load_b128 v[40:43], v1 offset:24432
	ds_load_b64 v[94:95], v1 offset:23920
	v_add_nc_u32_e64 v0, 0x5800, 0
	s_wait_dscnt 0x0
	v_mul_f64_e32 v[42:43], v[94:95], v[42:43]
	s_delay_alu instid0(VALU_DEP_1)
	v_mul_f64_e32 v[40:41], v[40:41], v[42:43]
	ds_store_2addr_b64 v0, v[40:41], v[40:41] offset0:175 offset1:238
.LBB125_327:                            ;   in Loop: Header=BB125_3 Depth=1
	s_or_b32 exec_lo, exec_lo, s10
	v_mov_b64_e32 v[40:41], 0
	s_wait_dscnt 0x0
	s_barrier_signal -1
	s_barrier_wait -1
	global_wb scope:SCOPE_DEV
	s_wait_storecnt 0x0
	global_inv scope:SCOPE_DEV
	s_and_saveexec_b32 s10, s1
	s_cbranch_execz .LBB125_331
; %bb.328:                              ;   in Loop: Header=BB125_3 Depth=1
	ds_load_b64 v[40:41], v47 offset:23904
	ds_load_b64 v[42:43], v46 offset:24432
	s_wait_dscnt 0x0
	v_fma_f64 v[40:41], v[40:41], v[42:43], 0
	s_and_saveexec_b32 s11, s15
	s_cbranch_execz .LBB125_330
; %bb.329:                              ;   in Loop: Header=BB125_3 Depth=1
	ds_load_b64 v[42:43], v48 offset:24416
	ds_load_b64 v[94:95], v1 offset:24440
	s_wait_dscnt 0x0
	v_fmac_f64_e32 v[40:41], v[42:43], v[94:95]
.LBB125_330:                            ;   in Loop: Header=BB125_3 Depth=1
	s_or_b32 exec_lo, exec_lo, s11
.LBB125_331:                            ;   in Loop: Header=BB125_3 Depth=1
	s_delay_alu instid0(SALU_CYCLE_1)
	s_or_b32 exec_lo, exec_lo, s10
	s_and_saveexec_b32 s10, s90
	s_cbranch_execz .LBB125_333
; %bb.332:                              ;   in Loop: Header=BB125_3 Depth=1
	ds_load_b64 v[42:43], v1 offset:23400
	s_wait_dscnt 0x0
	v_mul_f64_e32 v[40:41], v[40:41], v[42:43]
	s_delay_alu instid0(VALU_DEP_1) | instskip(NEXT) | instid1(VALU_DEP_2)
	v_xor_b32_e32 v43, 0x80000000, v41
	v_mov_b32_e32 v42, v40
	ds_store_b64 v3, v[42:43]
.LBB125_333:                            ;   in Loop: Header=BB125_3 Depth=1
	s_or_b32 exec_lo, exec_lo, s10
	s_wait_loadcnt_dscnt 0x0
	s_barrier_signal -1
	s_barrier_wait -1
	s_and_saveexec_b32 s10, s91
	s_cbranch_execz .LBB125_335
; %bb.334:                              ;   in Loop: Header=BB125_3 Depth=1
	ds_load_b64 v[42:43], v1 offset:23392
	ds_load_b64 v[94:95], v3
	s_wait_dscnt 0x0
	v_fma_f64 v[40:41], -v[42:43], v[94:95], v[40:41]
.LBB125_335:                            ;   in Loop: Header=BB125_3 Depth=1
	s_or_b32 exec_lo, exec_lo, s10
	s_barrier_signal -1
	s_barrier_wait -1
	s_and_saveexec_b32 s10, s91
	s_cbranch_execz .LBB125_337
; %bb.336:                              ;   in Loop: Header=BB125_3 Depth=1
	ds_load_b64 v[42:43], v1 offset:22880
	s_wait_dscnt 0x0
	v_mul_f64_e32 v[40:41], v[40:41], v[42:43]
	s_delay_alu instid0(VALU_DEP_1) | instskip(NEXT) | instid1(VALU_DEP_2)
	v_xor_b32_e32 v43, 0x80000000, v41
	v_mov_b32_e32 v42, v40
	ds_store_b64 v3, v[42:43]
.LBB125_337:                            ;   in Loop: Header=BB125_3 Depth=1
	s_or_b32 exec_lo, exec_lo, s10
	s_wait_dscnt 0x0
	s_barrier_signal -1
	s_barrier_wait -1
	s_barrier_signal -1
	s_barrier_wait -1
	s_and_saveexec_b32 s10, s1
; %bb.338:                              ;   in Loop: Header=BB125_3 Depth=1
	ds_store_b64 v49, v[40:41] offset:24416
; %bb.339:                              ;   in Loop: Header=BB125_3 Depth=1
	s_or_b32 exec_lo, exec_lo, s10
	s_wait_dscnt 0x0
	s_barrier_signal -1
	s_barrier_wait -1
	s_barrier_signal -1
	s_barrier_wait -1
	s_and_saveexec_b32 s10, s92
	s_cbranch_execz .LBB125_341
; %bb.340:                              ;   in Loop: Header=BB125_3 Depth=1
	ds_load_b64 v[40:41], v50 offset:23904
	s_wait_dscnt 0x0
	ds_store_b64 v48, v[40:41] offset:22896
	ds_load_b64 v[40:41], v50 offset:23912
	s_wait_dscnt 0x0
	ds_store_b64 v48, v[40:41] offset:23408
.LBB125_341:                            ;   in Loop: Header=BB125_3 Depth=1
	s_or_b32 exec_lo, exec_lo, s10
	s_wait_dscnt 0x0
	s_barrier_signal -1
	s_barrier_wait -1
	s_and_saveexec_b32 s10, s14
	s_cbranch_execz .LBB125_343
; %bb.342:                              ;   in Loop: Header=BB125_3 Depth=1
	ds_load_b128 v[40:43], v1 offset:23392
	ds_load_b64 v[94:95], v1 offset:22880
	v_add_nc_u32_e64 v0, 0x5800, 0
	s_wait_dscnt 0x0
	v_mul_f64_e32 v[42:43], v[94:95], v[42:43]
	s_delay_alu instid0(VALU_DEP_1)
	v_mul_f64_e32 v[40:41], v[40:41], v[42:43]
	ds_store_2addr_b64 v0, v[40:41], v[40:41] offset0:45 offset1:108
.LBB125_343:                            ;   in Loop: Header=BB125_3 Depth=1
	s_or_b32 exec_lo, exec_lo, s10
	v_mov_b64_e32 v[40:41], 0
	s_wait_dscnt 0x0
	s_barrier_signal -1
	s_barrier_wait -1
	global_wb scope:SCOPE_DEV
	s_wait_storecnt 0x0
	global_inv scope:SCOPE_DEV
	s_and_saveexec_b32 s10, s3
	s_cbranch_execz .LBB125_349
; %bb.344:                              ;   in Loop: Header=BB125_3 Depth=1
	ds_load_b64 v[40:41], v53 offset:22848
	ds_load_b64 v[42:43], v52 offset:24416
	s_wait_dscnt 0x0
	v_fma_f64 v[40:41], v[40:41], v[42:43], 0
	s_and_saveexec_b32 s11, s16
	s_cbranch_execnz .LBB125_1113
; %bb.345:                              ;   in Loop: Header=BB125_3 Depth=1
	s_or_b32 exec_lo, exec_lo, s11
	s_and_saveexec_b32 s11, s17
	s_cbranch_execnz .LBB125_1114
.LBB125_346:                            ;   in Loop: Header=BB125_3 Depth=1
	s_or_b32 exec_lo, exec_lo, s11
	s_and_saveexec_b32 s11, s1
	s_cbranch_execz .LBB125_348
.LBB125_347:                            ;   in Loop: Header=BB125_3 Depth=1
	ds_load_b64 v[42:43], v54 offset:24384
	ds_load_b64 v[94:95], v1 offset:24440
	s_wait_dscnt 0x0
	v_fmac_f64_e32 v[40:41], v[42:43], v[94:95]
.LBB125_348:                            ;   in Loop: Header=BB125_3 Depth=1
	s_or_b32 exec_lo, exec_lo, s11
.LBB125_349:                            ;   in Loop: Header=BB125_3 Depth=1
	s_delay_alu instid0(SALU_CYCLE_1)
	s_or_b32 exec_lo, exec_lo, s10
	s_and_saveexec_b32 s10, s93
	s_cbranch_execz .LBB125_351
; %bb.350:                              ;   in Loop: Header=BB125_3 Depth=1
	ds_load_b64 v[42:43], v1 offset:22360
	s_wait_dscnt 0x0
	v_mul_f64_e32 v[40:41], v[40:41], v[42:43]
	s_delay_alu instid0(VALU_DEP_1) | instskip(NEXT) | instid1(VALU_DEP_2)
	v_xor_b32_e32 v43, 0x80000000, v41
	v_mov_b32_e32 v42, v40
	ds_store_b64 v51, v[42:43]
.LBB125_351:                            ;   in Loop: Header=BB125_3 Depth=1
	s_or_b32 exec_lo, exec_lo, s10
	s_wait_loadcnt_dscnt 0x0
	s_barrier_signal -1
	s_barrier_wait -1
	s_and_saveexec_b32 s10, s94
	s_cbranch_execz .LBB125_353
; %bb.352:                              ;   in Loop: Header=BB125_3 Depth=1
	ds_load_b64 v[42:43], v53 offset:22336
	ds_load_b64 v[94:95], v51
	s_wait_dscnt 0x0
	v_fma_f64 v[40:41], -v[42:43], v[94:95], v[40:41]
.LBB125_353:                            ;   in Loop: Header=BB125_3 Depth=1
	s_or_b32 exec_lo, exec_lo, s10
	s_barrier_signal -1
	s_barrier_wait -1
	s_and_saveexec_b32 s10, s95
	s_cbranch_execz .LBB125_355
; %bb.354:                              ;   in Loop: Header=BB125_3 Depth=1
	ds_load_b64 v[42:43], v1 offset:21840
	s_wait_dscnt 0x0
	v_mul_f64_e32 v[40:41], v[40:41], v[42:43]
	s_delay_alu instid0(VALU_DEP_1) | instskip(NEXT) | instid1(VALU_DEP_2)
	v_xor_b32_e32 v43, 0x80000000, v41
	v_mov_b32_e32 v42, v40
	ds_store_b64 v51, v[42:43]
.LBB125_355:                            ;   in Loop: Header=BB125_3 Depth=1
	s_or_b32 exec_lo, exec_lo, s10
	s_wait_dscnt 0x0
	s_barrier_signal -1
	s_barrier_wait -1
	s_and_saveexec_b32 s10, s96
	s_cbranch_execz .LBB125_357
; %bb.356:                              ;   in Loop: Header=BB125_3 Depth=1
	ds_load_b64 v[42:43], v53 offset:21824
	ds_load_b64 v[94:95], v51
	s_wait_dscnt 0x0
	v_fma_f64 v[40:41], -v[42:43], v[94:95], v[40:41]
.LBB125_357:                            ;   in Loop: Header=BB125_3 Depth=1
	s_or_b32 exec_lo, exec_lo, s10
	s_barrier_signal -1
	s_barrier_wait -1
	s_and_saveexec_b32 s10, s97
	s_cbranch_execz .LBB125_359
; %bb.358:                              ;   in Loop: Header=BB125_3 Depth=1
	ds_load_b64 v[42:43], v1 offset:21320
	s_wait_dscnt 0x0
	v_mul_f64_e32 v[40:41], v[40:41], v[42:43]
	s_delay_alu instid0(VALU_DEP_1) | instskip(NEXT) | instid1(VALU_DEP_2)
	v_xor_b32_e32 v43, 0x80000000, v41
	v_mov_b32_e32 v42, v40
	ds_store_b64 v51, v[42:43]
.LBB125_359:                            ;   in Loop: Header=BB125_3 Depth=1
	s_or_b32 exec_lo, exec_lo, s10
	s_wait_dscnt 0x0
	;; [unrolled: 26-line block ×3, first 2 shown]
	s_barrier_signal -1
	s_barrier_wait -1
	s_barrier_signal -1
	s_barrier_wait -1
	s_and_saveexec_b32 s10, s3
; %bb.364:                              ;   in Loop: Header=BB125_3 Depth=1
	ds_store_b64 v55, v[40:41] offset:24384
; %bb.365:                              ;   in Loop: Header=BB125_3 Depth=1
	s_or_b32 exec_lo, exec_lo, s10
	s_wait_dscnt 0x0
	s_barrier_signal -1
	s_barrier_wait -1
	s_barrier_signal -1
	s_barrier_wait -1
	s_and_saveexec_b32 s10, s99
	s_cbranch_execz .LBB125_367
; %bb.366:                              ;   in Loop: Header=BB125_3 Depth=1
	ds_load_b64 v[40:41], v56 offset:22848
	s_wait_dscnt 0x0
	ds_store_b64 v5, v[40:41] offset:20832
	ds_load_b64 v[40:41], v56 offset:22856
	s_wait_dscnt 0x0
	ds_store_b64 v5, v[40:41] offset:21344
	;; [unrolled: 3-line block ×4, first 2 shown]
.LBB125_367:                            ;   in Loop: Header=BB125_3 Depth=1
	s_or_b32 exec_lo, exec_lo, s10
	s_wait_dscnt 0x0
	s_barrier_signal -1
	s_barrier_wait -1
	s_and_saveexec_b32 s10, s14
	s_cbranch_execz .LBB125_369
; %bb.368:                              ;   in Loop: Header=BB125_3 Depth=1
	ds_load_b128 v[40:43], v1 offset:22352
	ds_load_b64 v[94:95], v1 offset:21840
	v_add_nc_u32_e64 v0, 0x5000, 0
	s_wait_dscnt 0x0
	v_mul_f64_e32 v[42:43], v[94:95], v[42:43]
	s_delay_alu instid0(VALU_DEP_1)
	v_mul_f64_e32 v[40:41], v[40:41], v[42:43]
	ds_store_2addr_b64 v0, v[40:41], v[40:41] offset0:171 offset1:234
.LBB125_369:                            ;   in Loop: Header=BB125_3 Depth=1
	s_or_b32 exec_lo, exec_lo, s10
	v_mov_b64_e32 v[40:41], 0
	s_wait_dscnt 0x0
	s_barrier_signal -1
	s_barrier_wait -1
	global_wb scope:SCOPE_DEV
	s_wait_storecnt 0x0
	global_inv scope:SCOPE_DEV
	s_and_saveexec_b32 s10, s1
	s_cbranch_execz .LBB125_373
; %bb.370:                              ;   in Loop: Header=BB125_3 Depth=1
	ds_load_b64 v[40:41], v47 offset:21824
	ds_load_b64 v[42:43], v46 offset:22352
	s_wait_dscnt 0x0
	v_fma_f64 v[40:41], v[40:41], v[42:43], 0
	s_and_saveexec_b32 s11, s15
	s_cbranch_execz .LBB125_372
; %bb.371:                              ;   in Loop: Header=BB125_3 Depth=1
	ds_load_b64 v[42:43], v5 offset:22336
	ds_load_b64 v[94:95], v1 offset:22360
	s_wait_dscnt 0x0
	v_fmac_f64_e32 v[40:41], v[42:43], v[94:95]
.LBB125_372:                            ;   in Loop: Header=BB125_3 Depth=1
	s_or_b32 exec_lo, exec_lo, s11
.LBB125_373:                            ;   in Loop: Header=BB125_3 Depth=1
	s_delay_alu instid0(SALU_CYCLE_1)
	s_or_b32 exec_lo, exec_lo, s10
	s_and_saveexec_b32 s10, s90
	s_cbranch_execz .LBB125_375
; %bb.374:                              ;   in Loop: Header=BB125_3 Depth=1
	ds_load_b64 v[42:43], v1 offset:21320
	s_wait_dscnt 0x0
	v_mul_f64_e32 v[40:41], v[40:41], v[42:43]
	s_delay_alu instid0(VALU_DEP_1) | instskip(NEXT) | instid1(VALU_DEP_2)
	v_xor_b32_e32 v43, 0x80000000, v41
	v_mov_b32_e32 v42, v40
	ds_store_b64 v3, v[42:43]
.LBB125_375:                            ;   in Loop: Header=BB125_3 Depth=1
	s_or_b32 exec_lo, exec_lo, s10
	s_wait_loadcnt_dscnt 0x0
	s_barrier_signal -1
	s_barrier_wait -1
	s_and_saveexec_b32 s10, s91
	s_cbranch_execz .LBB125_377
; %bb.376:                              ;   in Loop: Header=BB125_3 Depth=1
	ds_load_b64 v[42:43], v1 offset:21312
	ds_load_b64 v[94:95], v3
	s_wait_dscnt 0x0
	v_fma_f64 v[40:41], -v[42:43], v[94:95], v[40:41]
.LBB125_377:                            ;   in Loop: Header=BB125_3 Depth=1
	s_or_b32 exec_lo, exec_lo, s10
	s_barrier_signal -1
	s_barrier_wait -1
	s_and_saveexec_b32 s10, s91
	s_cbranch_execz .LBB125_379
; %bb.378:                              ;   in Loop: Header=BB125_3 Depth=1
	ds_load_b64 v[42:43], v1 offset:20800
	s_wait_dscnt 0x0
	v_mul_f64_e32 v[40:41], v[40:41], v[42:43]
	s_delay_alu instid0(VALU_DEP_1) | instskip(NEXT) | instid1(VALU_DEP_2)
	v_xor_b32_e32 v43, 0x80000000, v41
	v_mov_b32_e32 v42, v40
	ds_store_b64 v3, v[42:43]
.LBB125_379:                            ;   in Loop: Header=BB125_3 Depth=1
	s_or_b32 exec_lo, exec_lo, s10
	s_wait_dscnt 0x0
	s_barrier_signal -1
	s_barrier_wait -1
	s_barrier_signal -1
	s_barrier_wait -1
	s_and_saveexec_b32 s10, s1
; %bb.380:                              ;   in Loop: Header=BB125_3 Depth=1
	ds_store_b64 v49, v[40:41] offset:22336
; %bb.381:                              ;   in Loop: Header=BB125_3 Depth=1
	s_or_b32 exec_lo, exec_lo, s10
	s_wait_dscnt 0x0
	s_barrier_signal -1
	s_barrier_wait -1
	s_barrier_signal -1
	s_barrier_wait -1
	s_and_saveexec_b32 s10, s92
	s_cbranch_execz .LBB125_383
; %bb.382:                              ;   in Loop: Header=BB125_3 Depth=1
	ds_load_b64 v[40:41], v71 offset:21824
	s_wait_dscnt 0x0
	ds_store_b64 v5, v[40:41] offset:20816
	ds_load_b64 v[40:41], v71 offset:21832
	s_wait_dscnt 0x0
	ds_store_b64 v5, v[40:41] offset:21328
.LBB125_383:                            ;   in Loop: Header=BB125_3 Depth=1
	s_or_b32 exec_lo, exec_lo, s10
	s_wait_dscnt 0x0
	s_barrier_signal -1
	s_barrier_wait -1
	s_and_saveexec_b32 s10, s14
	s_cbranch_execz .LBB125_385
; %bb.384:                              ;   in Loop: Header=BB125_3 Depth=1
	ds_load_b128 v[40:43], v1 offset:21312
	ds_load_b64 v[94:95], v1 offset:20800
	v_add_nc_u32_e64 v0, 0x5000, 0
	s_wait_dscnt 0x0
	v_mul_f64_e32 v[42:43], v[94:95], v[42:43]
	s_delay_alu instid0(VALU_DEP_1)
	v_mul_f64_e32 v[40:41], v[40:41], v[42:43]
	ds_store_2addr_b64 v0, v[40:41], v[40:41] offset0:41 offset1:104
.LBB125_385:                            ;   in Loop: Header=BB125_3 Depth=1
	s_or_b32 exec_lo, exec_lo, s10
	v_mov_b64_e32 v[40:41], 0
	s_wait_dscnt 0x0
	s_barrier_signal -1
	s_barrier_wait -1
	global_wb scope:SCOPE_DEV
	s_wait_storecnt 0x0
	global_inv scope:SCOPE_DEV
	s_and_saveexec_b32 s10, s4
	s_cbranch_execz .LBB125_395
; %bb.386:                              ;   in Loop: Header=BB125_3 Depth=1
	ds_load_b64 v[40:41], v59 offset:20736
	ds_load_b64 v[42:43], v58 offset:24384
	s_wait_dscnt 0x0
	v_fma_f64 v[40:41], v[40:41], v[42:43], 0
	s_and_saveexec_b32 s11, s18
	s_cbranch_execnz .LBB125_1115
; %bb.387:                              ;   in Loop: Header=BB125_3 Depth=1
	s_or_b32 exec_lo, exec_lo, s11
	s_and_saveexec_b32 s11, s19
	s_cbranch_execnz .LBB125_1116
.LBB125_388:                            ;   in Loop: Header=BB125_3 Depth=1
	s_or_b32 exec_lo, exec_lo, s11
	s_and_saveexec_b32 s11, s20
	s_cbranch_execnz .LBB125_1117
.LBB125_389:                            ;   in Loop: Header=BB125_3 Depth=1
	s_or_b32 exec_lo, exec_lo, s11
	s_and_saveexec_b32 s11, s21
	s_cbranch_execnz .LBB125_1118
.LBB125_390:                            ;   in Loop: Header=BB125_3 Depth=1
	s_or_b32 exec_lo, exec_lo, s11
	s_and_saveexec_b32 s11, s22
	s_cbranch_execnz .LBB125_1119
.LBB125_391:                            ;   in Loop: Header=BB125_3 Depth=1
	s_or_b32 exec_lo, exec_lo, s11
	s_and_saveexec_b32 s11, s3
	s_cbranch_execnz .LBB125_1120
.LBB125_392:                            ;   in Loop: Header=BB125_3 Depth=1
	s_or_b32 exec_lo, exec_lo, s11
	s_and_saveexec_b32 s11, s17
	s_cbranch_execz .LBB125_394
.LBB125_393:                            ;   in Loop: Header=BB125_3 Depth=1
	ds_load_b64 v[42:43], v72 offset:24320
	ds_load_b64 v[94:95], v1 offset:24440
	s_wait_dscnt 0x0
	v_fmac_f64_e32 v[40:41], v[42:43], v[94:95]
.LBB125_394:                            ;   in Loop: Header=BB125_3 Depth=1
	s_or_b32 exec_lo, exec_lo, s11
.LBB125_395:                            ;   in Loop: Header=BB125_3 Depth=1
	s_delay_alu instid0(SALU_CYCLE_1)
	s_or_b32 exec_lo, exec_lo, s10
	s_and_saveexec_b32 s10, s100
	s_cbranch_execz .LBB125_397
; %bb.396:                              ;   in Loop: Header=BB125_3 Depth=1
	ds_load_b64 v[42:43], v1 offset:20280
	s_wait_dscnt 0x0
	v_mul_f64_e32 v[40:41], v[40:41], v[42:43]
	s_delay_alu instid0(VALU_DEP_1) | instskip(NEXT) | instid1(VALU_DEP_2)
	v_xor_b32_e32 v43, 0x80000000, v41
	v_mov_b32_e32 v42, v40
	ds_store_b64 v57, v[42:43]
.LBB125_397:                            ;   in Loop: Header=BB125_3 Depth=1
	s_or_b32 exec_lo, exec_lo, s10
	s_wait_loadcnt_dscnt 0x0
	s_barrier_signal -1
	s_barrier_wait -1
	s_and_saveexec_b32 s10, s101
	s_cbranch_execz .LBB125_399
; %bb.398:                              ;   in Loop: Header=BB125_3 Depth=1
	ds_load_b64 v[42:43], v59 offset:20224
	ds_load_b64 v[94:95], v57
	s_wait_dscnt 0x0
	v_fma_f64 v[40:41], -v[42:43], v[94:95], v[40:41]
.LBB125_399:                            ;   in Loop: Header=BB125_3 Depth=1
	s_or_b32 exec_lo, exec_lo, s10
	s_barrier_signal -1
	s_barrier_wait -1
	s_and_saveexec_b32 s10, s102
	s_cbranch_execz .LBB125_401
; %bb.400:                              ;   in Loop: Header=BB125_3 Depth=1
	ds_load_b64 v[42:43], v1 offset:19760
	s_wait_dscnt 0x0
	v_mul_f64_e32 v[40:41], v[40:41], v[42:43]
	s_delay_alu instid0(VALU_DEP_1) | instskip(NEXT) | instid1(VALU_DEP_2)
	v_xor_b32_e32 v43, 0x80000000, v41
	v_mov_b32_e32 v42, v40
	ds_store_b64 v57, v[42:43]
.LBB125_401:                            ;   in Loop: Header=BB125_3 Depth=1
	s_or_b32 exec_lo, exec_lo, s10
	s_wait_dscnt 0x0
	s_barrier_signal -1
	s_barrier_wait -1
	s_and_saveexec_b32 s10, s103
	s_cbranch_execz .LBB125_403
; %bb.402:                              ;   in Loop: Header=BB125_3 Depth=1
	ds_load_b64 v[42:43], v59 offset:19712
	ds_load_b64 v[94:95], v57
	s_wait_dscnt 0x0
	v_fma_f64 v[40:41], -v[42:43], v[94:95], v[40:41]
.LBB125_403:                            ;   in Loop: Header=BB125_3 Depth=1
	s_or_b32 exec_lo, exec_lo, s10
	s_barrier_signal -1
	s_barrier_wait -1
	s_and_saveexec_b32 s10, s104
	s_cbranch_execz .LBB125_405
; %bb.404:                              ;   in Loop: Header=BB125_3 Depth=1
	ds_load_b64 v[42:43], v1 offset:19240
	s_wait_dscnt 0x0
	v_mul_f64_e32 v[40:41], v[40:41], v[42:43]
	s_delay_alu instid0(VALU_DEP_1) | instskip(NEXT) | instid1(VALU_DEP_2)
	v_xor_b32_e32 v43, 0x80000000, v41
	v_mov_b32_e32 v42, v40
	ds_store_b64 v57, v[42:43]
.LBB125_405:                            ;   in Loop: Header=BB125_3 Depth=1
	s_or_b32 exec_lo, exec_lo, s10
	s_wait_dscnt 0x0
	s_barrier_signal -1
	s_barrier_wait -1
	s_and_saveexec_b32 s10, vcc_hi
	s_cbranch_execz .LBB125_407
; %bb.406:                              ;   in Loop: Header=BB125_3 Depth=1
	ds_load_b64 v[42:43], v59 offset:19200
	ds_load_b64 v[94:95], v57
	s_wait_dscnt 0x0
	v_fma_f64 v[40:41], -v[42:43], v[94:95], v[40:41]
.LBB125_407:                            ;   in Loop: Header=BB125_3 Depth=1
	s_or_b32 exec_lo, exec_lo, s10
	s_barrier_signal -1
	s_barrier_wait -1
	s_and_saveexec_b32 s10, s36
	s_cbranch_execz .LBB125_409
; %bb.408:                              ;   in Loop: Header=BB125_3 Depth=1
	ds_load_b64 v[42:43], v1 offset:18720
	s_wait_dscnt 0x0
	v_mul_f64_e32 v[40:41], v[40:41], v[42:43]
	s_delay_alu instid0(VALU_DEP_1) | instskip(NEXT) | instid1(VALU_DEP_2)
	v_xor_b32_e32 v43, 0x80000000, v41
	v_mov_b32_e32 v42, v40
	ds_store_b64 v57, v[42:43]
.LBB125_409:                            ;   in Loop: Header=BB125_3 Depth=1
	s_or_b32 exec_lo, exec_lo, s10
	s_wait_dscnt 0x0
	s_barrier_signal -1
	s_barrier_wait -1
	s_and_saveexec_b32 s10, s37
	s_cbranch_execz .LBB125_411
; %bb.410:                              ;   in Loop: Header=BB125_3 Depth=1
	ds_load_b64 v[42:43], v59 offset:18688
	ds_load_b64 v[94:95], v57
	s_wait_dscnt 0x0
	v_fma_f64 v[40:41], -v[42:43], v[94:95], v[40:41]
.LBB125_411:                            ;   in Loop: Header=BB125_3 Depth=1
	s_or_b32 exec_lo, exec_lo, s10
	s_barrier_signal -1
	s_barrier_wait -1
	s_and_saveexec_b32 s10, s38
	s_cbranch_execz .LBB125_413
; %bb.412:                              ;   in Loop: Header=BB125_3 Depth=1
	ds_load_b64 v[42:43], v1 offset:18200
	s_wait_dscnt 0x0
	v_mul_f64_e32 v[40:41], v[40:41], v[42:43]
	s_delay_alu instid0(VALU_DEP_1) | instskip(NEXT) | instid1(VALU_DEP_2)
	v_xor_b32_e32 v43, 0x80000000, v41
	v_mov_b32_e32 v42, v40
	ds_store_b64 v57, v[42:43]
.LBB125_413:                            ;   in Loop: Header=BB125_3 Depth=1
	s_or_b32 exec_lo, exec_lo, s10
	s_wait_dscnt 0x0
	s_barrier_signal -1
	s_barrier_wait -1
	s_and_saveexec_b32 s10, s39
	;; [unrolled: 26-line block ×4, first 2 shown]
	s_cbranch_execz .LBB125_423
; %bb.422:                              ;   in Loop: Header=BB125_3 Depth=1
	ds_load_b64 v[42:43], v1 offset:17152
	ds_load_b64 v[94:95], v57
	s_wait_dscnt 0x0
	v_fma_f64 v[40:41], -v[42:43], v[94:95], v[40:41]
.LBB125_423:                            ;   in Loop: Header=BB125_3 Depth=1
	s_or_b32 exec_lo, exec_lo, s10
	s_barrier_signal -1
	s_barrier_wait -1
	s_and_saveexec_b32 s10, s43
	s_cbranch_execz .LBB125_425
; %bb.424:                              ;   in Loop: Header=BB125_3 Depth=1
	ds_load_b64 v[42:43], v1 offset:16640
	s_wait_dscnt 0x0
	v_mul_f64_e32 v[40:41], v[40:41], v[42:43]
	s_delay_alu instid0(VALU_DEP_1) | instskip(NEXT) | instid1(VALU_DEP_2)
	v_xor_b32_e32 v43, 0x80000000, v41
	v_mov_b32_e32 v42, v40
	ds_store_b64 v57, v[42:43]
.LBB125_425:                            ;   in Loop: Header=BB125_3 Depth=1
	s_or_b32 exec_lo, exec_lo, s10
	s_wait_dscnt 0x0
	s_barrier_signal -1
	s_barrier_wait -1
	s_barrier_signal -1
	s_barrier_wait -1
	s_and_saveexec_b32 s10, s4
; %bb.426:                              ;   in Loop: Header=BB125_3 Depth=1
	ds_store_b64 v60, v[40:41] offset:24320
; %bb.427:                              ;   in Loop: Header=BB125_3 Depth=1
	s_or_b32 exec_lo, exec_lo, s10
	s_wait_dscnt 0x0
	s_barrier_signal -1
	s_barrier_wait -1
	s_barrier_signal -1
	s_barrier_wait -1
	s_and_saveexec_b32 s10, s44
	s_cbranch_execz .LBB125_429
; %bb.428:                              ;   in Loop: Header=BB125_3 Depth=1
	ds_load_b64 v[40:41], v74 offset:20736
	s_wait_dscnt 0x0
	ds_store_b64 v75, v[40:41] offset:16704
	ds_load_b64 v[40:41], v74 offset:20744
	s_wait_dscnt 0x0
	ds_store_b64 v75, v[40:41] offset:17216
	ds_load_b64 v[40:41], v74 offset:20752
	s_wait_dscnt 0x0
	ds_store_b64 v75, v[40:41] offset:17728
	ds_load_b64 v[40:41], v74 offset:20760
	s_wait_dscnt 0x0
	ds_store_b64 v75, v[40:41] offset:18240
	ds_load_b64 v[40:41], v74 offset:20768
	s_wait_dscnt 0x0
	ds_store_b64 v75, v[40:41] offset:18752
	ds_load_b64 v[40:41], v74 offset:20776
	s_wait_dscnt 0x0
	ds_store_b64 v75, v[40:41] offset:19264
	ds_load_b64 v[40:41], v74 offset:20784
	s_wait_dscnt 0x0
	ds_store_b64 v75, v[40:41] offset:19776
	ds_load_b64 v[40:41], v74 offset:20792
	s_wait_dscnt 0x0
	ds_store_b64 v75, v[40:41] offset:20288
.LBB125_429:                            ;   in Loop: Header=BB125_3 Depth=1
	s_or_b32 exec_lo, exec_lo, s10
	s_wait_dscnt 0x0
	s_barrier_signal -1
	s_barrier_wait -1
	s_and_saveexec_b32 s10, s14
	s_cbranch_execz .LBB125_431
; %bb.430:                              ;   in Loop: Header=BB125_3 Depth=1
	ds_load_b128 v[40:43], v1 offset:20272
	ds_load_b64 v[94:95], v1 offset:19760
	v_add_nc_u32_e64 v0, 0x4800, 0
	s_wait_dscnt 0x0
	v_mul_f64_e32 v[42:43], v[94:95], v[42:43]
	s_delay_alu instid0(VALU_DEP_1)
	v_mul_f64_e32 v[40:41], v[40:41], v[42:43]
	ds_store_2addr_b64 v0, v[40:41], v[40:41] offset0:167 offset1:230
.LBB125_431:                            ;   in Loop: Header=BB125_3 Depth=1
	s_or_b32 exec_lo, exec_lo, s10
	v_mov_b64_e32 v[40:41], 0
	s_wait_dscnt 0x0
	s_barrier_signal -1
	s_barrier_wait -1
	global_wb scope:SCOPE_DEV
	s_wait_storecnt 0x0
	global_inv scope:SCOPE_DEV
	s_and_saveexec_b32 s10, s1
	s_cbranch_execz .LBB125_435
; %bb.432:                              ;   in Loop: Header=BB125_3 Depth=1
	ds_load_b64 v[40:41], v47 offset:19744
	ds_load_b64 v[42:43], v46 offset:20272
	s_wait_dscnt 0x0
	v_fma_f64 v[40:41], v[40:41], v[42:43], 0
	s_and_saveexec_b32 s11, s15
	s_cbranch_execz .LBB125_434
; %bb.433:                              ;   in Loop: Header=BB125_3 Depth=1
	ds_load_b64 v[42:43], v75 offset:20256
	ds_load_b64 v[94:95], v1 offset:20280
	s_wait_dscnt 0x0
	v_fmac_f64_e32 v[40:41], v[42:43], v[94:95]
.LBB125_434:                            ;   in Loop: Header=BB125_3 Depth=1
	s_or_b32 exec_lo, exec_lo, s11
.LBB125_435:                            ;   in Loop: Header=BB125_3 Depth=1
	s_delay_alu instid0(SALU_CYCLE_1)
	s_or_b32 exec_lo, exec_lo, s10
	s_and_saveexec_b32 s10, s90
	s_cbranch_execz .LBB125_437
; %bb.436:                              ;   in Loop: Header=BB125_3 Depth=1
	ds_load_b64 v[42:43], v1 offset:19240
	s_wait_dscnt 0x0
	v_mul_f64_e32 v[40:41], v[40:41], v[42:43]
	s_delay_alu instid0(VALU_DEP_1) | instskip(NEXT) | instid1(VALU_DEP_2)
	v_xor_b32_e32 v43, 0x80000000, v41
	v_mov_b32_e32 v42, v40
	ds_store_b64 v3, v[42:43]
.LBB125_437:                            ;   in Loop: Header=BB125_3 Depth=1
	s_or_b32 exec_lo, exec_lo, s10
	s_wait_loadcnt_dscnt 0x0
	s_barrier_signal -1
	s_barrier_wait -1
	s_and_saveexec_b32 s10, s91
	s_cbranch_execz .LBB125_439
; %bb.438:                              ;   in Loop: Header=BB125_3 Depth=1
	ds_load_b64 v[42:43], v1 offset:19232
	ds_load_b64 v[94:95], v3
	s_wait_dscnt 0x0
	v_fma_f64 v[40:41], -v[42:43], v[94:95], v[40:41]
.LBB125_439:                            ;   in Loop: Header=BB125_3 Depth=1
	s_or_b32 exec_lo, exec_lo, s10
	s_barrier_signal -1
	s_barrier_wait -1
	s_and_saveexec_b32 s10, s91
	s_cbranch_execz .LBB125_441
; %bb.440:                              ;   in Loop: Header=BB125_3 Depth=1
	ds_load_b64 v[42:43], v1 offset:18720
	s_wait_dscnt 0x0
	v_mul_f64_e32 v[40:41], v[40:41], v[42:43]
	s_delay_alu instid0(VALU_DEP_1) | instskip(NEXT) | instid1(VALU_DEP_2)
	v_xor_b32_e32 v43, 0x80000000, v41
	v_mov_b32_e32 v42, v40
	ds_store_b64 v3, v[42:43]
.LBB125_441:                            ;   in Loop: Header=BB125_3 Depth=1
	s_or_b32 exec_lo, exec_lo, s10
	s_wait_dscnt 0x0
	s_barrier_signal -1
	s_barrier_wait -1
	s_barrier_signal -1
	s_barrier_wait -1
	s_and_saveexec_b32 s10, s1
; %bb.442:                              ;   in Loop: Header=BB125_3 Depth=1
	ds_store_b64 v49, v[40:41] offset:20256
; %bb.443:                              ;   in Loop: Header=BB125_3 Depth=1
	s_or_b32 exec_lo, exec_lo, s10
	s_wait_dscnt 0x0
	s_barrier_signal -1
	s_barrier_wait -1
	s_barrier_signal -1
	s_barrier_wait -1
	s_and_saveexec_b32 s10, s92
	s_cbranch_execz .LBB125_445
; %bb.444:                              ;   in Loop: Header=BB125_3 Depth=1
	ds_load_b64 v[40:41], v76 offset:19744
	s_wait_dscnt 0x0
	ds_store_b64 v75, v[40:41] offset:18736
	ds_load_b64 v[40:41], v76 offset:19752
	s_wait_dscnt 0x0
	ds_store_b64 v75, v[40:41] offset:19248
.LBB125_445:                            ;   in Loop: Header=BB125_3 Depth=1
	s_or_b32 exec_lo, exec_lo, s10
	s_wait_dscnt 0x0
	s_barrier_signal -1
	s_barrier_wait -1
	s_and_saveexec_b32 s10, s14
	s_cbranch_execz .LBB125_447
; %bb.446:                              ;   in Loop: Header=BB125_3 Depth=1
	ds_load_b128 v[40:43], v1 offset:19232
	ds_load_b64 v[94:95], v1 offset:18720
	v_add_nc_u32_e64 v0, 0x4800, 0
	s_wait_dscnt 0x0
	v_mul_f64_e32 v[42:43], v[94:95], v[42:43]
	s_delay_alu instid0(VALU_DEP_1)
	v_mul_f64_e32 v[40:41], v[40:41], v[42:43]
	ds_store_2addr_b64 v0, v[40:41], v[40:41] offset0:37 offset1:100
.LBB125_447:                            ;   in Loop: Header=BB125_3 Depth=1
	s_or_b32 exec_lo, exec_lo, s10
	v_mov_b64_e32 v[40:41], 0
	s_wait_dscnt 0x0
	s_barrier_signal -1
	s_barrier_wait -1
	global_wb scope:SCOPE_DEV
	s_wait_storecnt 0x0
	global_inv scope:SCOPE_DEV
	s_and_saveexec_b32 s10, s3
	s_cbranch_execz .LBB125_453
; %bb.448:                              ;   in Loop: Header=BB125_3 Depth=1
	ds_load_b64 v[40:41], v53 offset:18688
	ds_load_b64 v[42:43], v52 offset:20256
	s_wait_dscnt 0x0
	v_fma_f64 v[40:41], v[40:41], v[42:43], 0
	s_and_saveexec_b32 s11, s16
	s_cbranch_execnz .LBB125_1121
; %bb.449:                              ;   in Loop: Header=BB125_3 Depth=1
	s_or_b32 exec_lo, exec_lo, s11
	s_and_saveexec_b32 s11, s17
	s_cbranch_execnz .LBB125_1122
.LBB125_450:                            ;   in Loop: Header=BB125_3 Depth=1
	s_or_b32 exec_lo, exec_lo, s11
	s_and_saveexec_b32 s11, s1
	s_cbranch_execz .LBB125_452
.LBB125_451:                            ;   in Loop: Header=BB125_3 Depth=1
	ds_load_b64 v[42:43], v78 offset:20224
	ds_load_b64 v[94:95], v1 offset:20280
	s_wait_dscnt 0x0
	v_fmac_f64_e32 v[40:41], v[42:43], v[94:95]
.LBB125_452:                            ;   in Loop: Header=BB125_3 Depth=1
	s_or_b32 exec_lo, exec_lo, s11
.LBB125_453:                            ;   in Loop: Header=BB125_3 Depth=1
	s_delay_alu instid0(SALU_CYCLE_1)
	s_or_b32 exec_lo, exec_lo, s10
	s_and_saveexec_b32 s10, s93
	s_cbranch_execz .LBB125_455
; %bb.454:                              ;   in Loop: Header=BB125_3 Depth=1
	ds_load_b64 v[42:43], v1 offset:18200
	s_wait_dscnt 0x0
	v_mul_f64_e32 v[40:41], v[40:41], v[42:43]
	s_delay_alu instid0(VALU_DEP_1) | instskip(NEXT) | instid1(VALU_DEP_2)
	v_xor_b32_e32 v43, 0x80000000, v41
	v_mov_b32_e32 v42, v40
	ds_store_b64 v51, v[42:43]
.LBB125_455:                            ;   in Loop: Header=BB125_3 Depth=1
	s_or_b32 exec_lo, exec_lo, s10
	s_wait_loadcnt_dscnt 0x0
	s_barrier_signal -1
	s_barrier_wait -1
	s_and_saveexec_b32 s10, s94
	s_cbranch_execz .LBB125_457
; %bb.456:                              ;   in Loop: Header=BB125_3 Depth=1
	ds_load_b64 v[42:43], v53 offset:18176
	ds_load_b64 v[94:95], v51
	s_wait_dscnt 0x0
	v_fma_f64 v[40:41], -v[42:43], v[94:95], v[40:41]
.LBB125_457:                            ;   in Loop: Header=BB125_3 Depth=1
	s_or_b32 exec_lo, exec_lo, s10
	s_barrier_signal -1
	s_barrier_wait -1
	s_and_saveexec_b32 s10, s95
	s_cbranch_execz .LBB125_459
; %bb.458:                              ;   in Loop: Header=BB125_3 Depth=1
	ds_load_b64 v[42:43], v1 offset:17680
	s_wait_dscnt 0x0
	v_mul_f64_e32 v[40:41], v[40:41], v[42:43]
	s_delay_alu instid0(VALU_DEP_1) | instskip(NEXT) | instid1(VALU_DEP_2)
	v_xor_b32_e32 v43, 0x80000000, v41
	v_mov_b32_e32 v42, v40
	ds_store_b64 v51, v[42:43]
.LBB125_459:                            ;   in Loop: Header=BB125_3 Depth=1
	s_or_b32 exec_lo, exec_lo, s10
	s_wait_dscnt 0x0
	s_barrier_signal -1
	s_barrier_wait -1
	s_and_saveexec_b32 s10, s96
	s_cbranch_execz .LBB125_461
; %bb.460:                              ;   in Loop: Header=BB125_3 Depth=1
	ds_load_b64 v[42:43], v53 offset:17664
	ds_load_b64 v[94:95], v51
	s_wait_dscnt 0x0
	v_fma_f64 v[40:41], -v[42:43], v[94:95], v[40:41]
.LBB125_461:                            ;   in Loop: Header=BB125_3 Depth=1
	s_or_b32 exec_lo, exec_lo, s10
	s_barrier_signal -1
	s_barrier_wait -1
	s_and_saveexec_b32 s10, s97
	s_cbranch_execz .LBB125_463
; %bb.462:                              ;   in Loop: Header=BB125_3 Depth=1
	ds_load_b64 v[42:43], v1 offset:17160
	s_wait_dscnt 0x0
	v_mul_f64_e32 v[40:41], v[40:41], v[42:43]
	s_delay_alu instid0(VALU_DEP_1) | instskip(NEXT) | instid1(VALU_DEP_2)
	v_xor_b32_e32 v43, 0x80000000, v41
	v_mov_b32_e32 v42, v40
	ds_store_b64 v51, v[42:43]
.LBB125_463:                            ;   in Loop: Header=BB125_3 Depth=1
	s_or_b32 exec_lo, exec_lo, s10
	s_wait_dscnt 0x0
	;; [unrolled: 26-line block ×3, first 2 shown]
	s_barrier_signal -1
	s_barrier_wait -1
	s_barrier_signal -1
	s_barrier_wait -1
	s_and_saveexec_b32 s10, s3
; %bb.468:                              ;   in Loop: Header=BB125_3 Depth=1
	ds_store_b64 v55, v[40:41] offset:20224
; %bb.469:                              ;   in Loop: Header=BB125_3 Depth=1
	s_or_b32 exec_lo, exec_lo, s10
	s_wait_dscnt 0x0
	s_barrier_signal -1
	s_barrier_wait -1
	s_barrier_signal -1
	s_barrier_wait -1
	s_and_saveexec_b32 s10, s99
	s_cbranch_execz .LBB125_471
; %bb.470:                              ;   in Loop: Header=BB125_3 Depth=1
	ds_load_b64 v[40:41], v80 offset:18688
	s_wait_dscnt 0x0
	ds_store_b64 v83, v[40:41] offset:16672
	ds_load_b64 v[40:41], v80 offset:18696
	s_wait_dscnt 0x0
	ds_store_b64 v83, v[40:41] offset:17184
	;; [unrolled: 3-line block ×4, first 2 shown]
.LBB125_471:                            ;   in Loop: Header=BB125_3 Depth=1
	s_or_b32 exec_lo, exec_lo, s10
	s_wait_dscnt 0x0
	s_barrier_signal -1
	s_barrier_wait -1
	s_and_saveexec_b32 s10, s14
	s_cbranch_execz .LBB125_473
; %bb.472:                              ;   in Loop: Header=BB125_3 Depth=1
	ds_load_b128 v[40:43], v1 offset:18192
	ds_load_b64 v[94:95], v1 offset:17680
	v_add_nc_u32_e64 v0, 0x4000, 0
	s_wait_dscnt 0x0
	v_mul_f64_e32 v[42:43], v[94:95], v[42:43]
	s_delay_alu instid0(VALU_DEP_1)
	v_mul_f64_e32 v[40:41], v[40:41], v[42:43]
	ds_store_2addr_b64 v0, v[40:41], v[40:41] offset0:163 offset1:226
.LBB125_473:                            ;   in Loop: Header=BB125_3 Depth=1
	s_or_b32 exec_lo, exec_lo, s10
	v_mov_b64_e32 v[40:41], 0
	s_wait_dscnt 0x0
	s_barrier_signal -1
	s_barrier_wait -1
	global_wb scope:SCOPE_DEV
	s_wait_storecnt 0x0
	global_inv scope:SCOPE_DEV
	s_and_saveexec_b32 s10, s1
	s_cbranch_execz .LBB125_477
; %bb.474:                              ;   in Loop: Header=BB125_3 Depth=1
	ds_load_b64 v[40:41], v47 offset:17664
	ds_load_b64 v[42:43], v46 offset:18192
	s_wait_dscnt 0x0
	v_fma_f64 v[40:41], v[40:41], v[42:43], 0
	s_and_saveexec_b32 s11, s15
	s_cbranch_execz .LBB125_476
; %bb.475:                              ;   in Loop: Header=BB125_3 Depth=1
	ds_load_b64 v[42:43], v83 offset:18176
	ds_load_b64 v[94:95], v1 offset:18200
	s_wait_dscnt 0x0
	v_fmac_f64_e32 v[40:41], v[42:43], v[94:95]
.LBB125_476:                            ;   in Loop: Header=BB125_3 Depth=1
	s_or_b32 exec_lo, exec_lo, s11
.LBB125_477:                            ;   in Loop: Header=BB125_3 Depth=1
	s_delay_alu instid0(SALU_CYCLE_1)
	s_or_b32 exec_lo, exec_lo, s10
	s_and_saveexec_b32 s10, s90
	s_cbranch_execz .LBB125_479
; %bb.478:                              ;   in Loop: Header=BB125_3 Depth=1
	ds_load_b64 v[42:43], v1 offset:17160
	s_wait_dscnt 0x0
	v_mul_f64_e32 v[40:41], v[40:41], v[42:43]
	s_delay_alu instid0(VALU_DEP_1) | instskip(NEXT) | instid1(VALU_DEP_2)
	v_xor_b32_e32 v43, 0x80000000, v41
	v_mov_b32_e32 v42, v40
	ds_store_b64 v3, v[42:43]
.LBB125_479:                            ;   in Loop: Header=BB125_3 Depth=1
	s_or_b32 exec_lo, exec_lo, s10
	s_wait_loadcnt_dscnt 0x0
	s_barrier_signal -1
	s_barrier_wait -1
	s_and_saveexec_b32 s10, s91
	s_cbranch_execz .LBB125_481
; %bb.480:                              ;   in Loop: Header=BB125_3 Depth=1
	ds_load_b64 v[42:43], v1 offset:17152
	ds_load_b64 v[94:95], v3
	s_wait_dscnt 0x0
	v_fma_f64 v[40:41], -v[42:43], v[94:95], v[40:41]
.LBB125_481:                            ;   in Loop: Header=BB125_3 Depth=1
	s_or_b32 exec_lo, exec_lo, s10
	s_barrier_signal -1
	s_barrier_wait -1
	s_and_saveexec_b32 s10, s91
	s_cbranch_execz .LBB125_483
; %bb.482:                              ;   in Loop: Header=BB125_3 Depth=1
	ds_load_b64 v[42:43], v1 offset:16640
	s_wait_dscnt 0x0
	v_mul_f64_e32 v[40:41], v[40:41], v[42:43]
	s_delay_alu instid0(VALU_DEP_1) | instskip(NEXT) | instid1(VALU_DEP_2)
	v_xor_b32_e32 v43, 0x80000000, v41
	v_mov_b32_e32 v42, v40
	ds_store_b64 v3, v[42:43]
.LBB125_483:                            ;   in Loop: Header=BB125_3 Depth=1
	s_or_b32 exec_lo, exec_lo, s10
	s_wait_dscnt 0x0
	s_barrier_signal -1
	s_barrier_wait -1
	s_barrier_signal -1
	s_barrier_wait -1
	s_and_saveexec_b32 s10, s1
; %bb.484:                              ;   in Loop: Header=BB125_3 Depth=1
	ds_store_b64 v49, v[40:41] offset:18176
; %bb.485:                              ;   in Loop: Header=BB125_3 Depth=1
	s_or_b32 exec_lo, exec_lo, s10
	s_wait_dscnt 0x0
	s_barrier_signal -1
	s_barrier_wait -1
	s_barrier_signal -1
	s_barrier_wait -1
	s_and_saveexec_b32 s10, s92
	s_cbranch_execz .LBB125_487
; %bb.486:                              ;   in Loop: Header=BB125_3 Depth=1
	ds_load_b64 v[40:41], v85 offset:17664
	s_wait_dscnt 0x0
	ds_store_b64 v83, v[40:41] offset:16656
	ds_load_b64 v[40:41], v85 offset:17672
	s_wait_dscnt 0x0
	ds_store_b64 v83, v[40:41] offset:17168
.LBB125_487:                            ;   in Loop: Header=BB125_3 Depth=1
	s_or_b32 exec_lo, exec_lo, s10
	s_wait_dscnt 0x0
	s_barrier_signal -1
	s_barrier_wait -1
	s_and_saveexec_b32 s10, s14
	s_cbranch_execz .LBB125_489
; %bb.488:                              ;   in Loop: Header=BB125_3 Depth=1
	ds_load_b128 v[40:43], v1 offset:17152
	ds_load_b64 v[94:95], v1 offset:16640
	v_add_nc_u32_e64 v0, 0x4000, 0
	s_wait_dscnt 0x0
	v_mul_f64_e32 v[42:43], v[94:95], v[42:43]
	s_delay_alu instid0(VALU_DEP_1)
	v_mul_f64_e32 v[40:41], v[40:41], v[42:43]
	ds_store_2addr_b64 v0, v[40:41], v[40:41] offset0:33 offset1:96
.LBB125_489:                            ;   in Loop: Header=BB125_3 Depth=1
	s_or_b32 exec_lo, exec_lo, s10
	v_mov_b64_e32 v[40:41], 0
	s_wait_dscnt 0x0
	s_barrier_signal -1
	s_barrier_wait -1
	global_wb scope:SCOPE_DEV
	s_wait_storecnt 0x0
	global_inv scope:SCOPE_DEV
	s_and_saveexec_b32 s65, s35
	s_cbranch_execz .LBB125_551
; %bb.490:                              ;   in Loop: Header=BB125_3 Depth=1
	ds_load_b64 v[40:41], v67 offset:16384
	ds_load_b64 v[42:43], v68 offset:32512
	s_wait_dscnt 0x0
	v_fma_f64 v[40:41], v[40:41], v[42:43], 0
	s_mov_b32 s10, exec_lo
	v_readlane_b32 s11, v102, 2
	s_and_b32 s11, s10, s11
	s_delay_alu instid0(SALU_CYCLE_1)
	s_mov_b32 exec_lo, s11
	s_cbranch_execz .LBB125_492
; %bb.491:                              ;   in Loop: Header=BB125_3 Depth=1
	ds_load_b64 v[42:43], v67 offset:16896
	ds_load_b64 v[94:95], v68 offset:32520
	s_wait_dscnt 0x0
	v_fmac_f64_e32 v[40:41], v[42:43], v[94:95]
.LBB125_492:                            ;   in Loop: Header=BB125_3 Depth=1
	s_or_b32 exec_lo, exec_lo, s10
	s_delay_alu instid0(SALU_CYCLE_1) | instskip(SKIP_2) | instid1(SALU_CYCLE_1)
	s_mov_b32 s10, exec_lo
	v_readlane_b32 s11, v102, 3
	s_and_b32 s11, s10, s11
	s_mov_b32 exec_lo, s11
	s_cbranch_execz .LBB125_494
; %bb.493:                              ;   in Loop: Header=BB125_3 Depth=1
	ds_load_b64 v[42:43], v67 offset:17408
	ds_load_b64 v[94:95], v68 offset:32528
	s_wait_dscnt 0x0
	v_fmac_f64_e32 v[40:41], v[42:43], v[94:95]
.LBB125_494:                            ;   in Loop: Header=BB125_3 Depth=1
	s_or_b32 exec_lo, exec_lo, s10
	s_delay_alu instid0(SALU_CYCLE_1) | instskip(SKIP_2) | instid1(SALU_CYCLE_1)
	s_mov_b32 s10, exec_lo
	v_readlane_b32 s11, v102, 4
	s_and_b32 s11, s10, s11
	;; [unrolled: 13-line block ×22, first 2 shown]
	s_mov_b32 exec_lo, s11
	s_cbranch_execz .LBB125_536
; %bb.535:                              ;   in Loop: Header=BB125_3 Depth=1
	ds_load_b64 v[42:43], v67 offset:28160
	ds_load_b64 v[94:95], v68 offset:32696
	s_wait_dscnt 0x0
	v_fmac_f64_e32 v[40:41], v[42:43], v[94:95]
.LBB125_536:                            ;   in Loop: Header=BB125_3 Depth=1
	s_or_b32 exec_lo, exec_lo, s10
	s_and_saveexec_b32 s10, s5
	s_cbranch_execz .LBB125_538
; %bb.537:                              ;   in Loop: Header=BB125_3 Depth=1
	ds_load_b64 v[42:43], v67 offset:28672
	ds_load_b64 v[94:95], v68 offset:32704
	s_wait_dscnt 0x0
	v_fmac_f64_e32 v[40:41], v[42:43], v[94:95]
.LBB125_538:                            ;   in Loop: Header=BB125_3 Depth=1
	s_or_b32 exec_lo, exec_lo, s10
	s_delay_alu instid0(SALU_CYCLE_1) | instskip(SKIP_2) | instid1(SALU_CYCLE_1)
	s_mov_b32 s10, exec_lo
	v_readlane_b32 s11, v103, 24
	s_and_b32 s11, s10, s11
	s_mov_b32 exec_lo, s11
	s_cbranch_execz .LBB125_540
; %bb.539:                              ;   in Loop: Header=BB125_3 Depth=1
	ds_load_b64 v[42:43], v67 offset:29184
	ds_load_b64 v[94:95], v68 offset:32712
	s_wait_dscnt 0x0
	v_fmac_f64_e32 v[40:41], v[42:43], v[94:95]
.LBB125_540:                            ;   in Loop: Header=BB125_3 Depth=1
	s_or_b32 exec_lo, exec_lo, s10
	s_delay_alu instid0(SALU_CYCLE_1) | instskip(SKIP_2) | instid1(SALU_CYCLE_1)
	s_mov_b32 s10, exec_lo
	v_readlane_b32 s11, v103, 26
	s_and_b32 s11, s10, s11
	s_mov_b32 exec_lo, s11
	;; [unrolled: 13-line block ×5, first 2 shown]
	s_cbranch_execnz .LBB125_1123
; %bb.547:                              ;   in Loop: Header=BB125_3 Depth=1
	s_or_b32 exec_lo, exec_lo, s10
	s_and_saveexec_b32 s10, s4
	s_cbranch_execnz .LBB125_1124
.LBB125_548:                            ;   in Loop: Header=BB125_3 Depth=1
	s_or_b32 exec_lo, exec_lo, s10
	s_and_saveexec_b32 s10, s21
	s_delay_alu instid0(SALU_CYCLE_1)
	s_xor_b32 s10, exec_lo, s10
	s_cbranch_execz .LBB125_550
.LBB125_549:                            ;   in Loop: Header=BB125_3 Depth=1
	ds_load_b64 v[42:43], v48 offset:32256
	ds_load_b64 v[94:95], v1 offset:32760
	s_wait_dscnt 0x0
	v_fmac_f64_e32 v[40:41], v[42:43], v[94:95]
.LBB125_550:                            ;   in Loop: Header=BB125_3 Depth=1
	s_or_b32 exec_lo, exec_lo, s10
.LBB125_551:                            ;   in Loop: Header=BB125_3 Depth=1
	s_delay_alu instid0(SALU_CYCLE_1)
	s_or_b32 exec_lo, exec_lo, s65
	v_mov_b32_e32 v0, v69
	s_mov_b32 s10, 31
	s_branch .LBB125_553
.LBB125_552:                            ;   in Loop: Header=BB125_553 Depth=2
	s_or_b32 exec_lo, exec_lo, s11
	v_add_nc_u32_e32 v0, 0xfffff800, v0
	s_add_co_i32 s10, s10, -4
	s_cmp_eq_u32 s65, 0
	s_barrier_signal -1
	s_barrier_wait -1
	s_cbranch_scc1 .LBB125_569
.LBB125_553:                            ;   Parent Loop BB125_3 Depth=1
                                        ; =>  This Inner Loop Header: Depth=2
	s_delay_alu instid0(VALU_DEP_1) | instskip(SKIP_1) | instid1(SALU_CYCLE_1)
	v_cmp_eq_u32_e32 vcc_lo, 0xffffc200, v0
	s_and_b32 s12, s13, vcc_lo
	s_and_saveexec_b32 s11, s12
	s_cbranch_execz .LBB125_555
; %bb.554:                              ;   in Loop: Header=BB125_553 Depth=2
	ds_load_b64 v[42:43], v88
	s_wait_dscnt 0x0
	v_mul_f64_e32 v[40:41], v[40:41], v[42:43]
	s_delay_alu instid0(VALU_DEP_1) | instskip(NEXT) | instid1(VALU_DEP_2)
	v_xor_b32_e32 v43, 0x80000000, v41
	v_mov_b32_e32 v42, v40
	ds_store_b64 v66, v[42:43]
.LBB125_555:                            ;   in Loop: Header=BB125_553 Depth=2
	s_or_b32 exec_lo, exec_lo, s11
	v_cmp_gt_u32_e32 vcc_lo, s10, v64
	v_add_nc_u32_e32 v42, v79, v0
	s_wait_loadcnt_dscnt 0x0
	s_barrier_signal -1
	s_barrier_wait -1
	s_and_b32 s12, s13, vcc_lo
	s_delay_alu instid0(SALU_CYCLE_1)
	s_and_saveexec_b32 s11, s12
	s_cbranch_execz .LBB125_557
; %bb.556:                              ;   in Loop: Header=BB125_553 Depth=2
	ds_load_b64 v[94:95], v42 offset:1536
	ds_load_b64 v[96:97], v66
	s_wait_dscnt 0x0
	v_fma_f64 v[40:41], -v[94:95], v[96:97], v[40:41]
.LBB125_557:                            ;   in Loop: Header=BB125_553 Depth=2
	s_or_b32 exec_lo, exec_lo, s11
	s_add_co_i32 s11, s10, -1
	s_delay_alu instid0(SALU_CYCLE_1) | instskip(SKIP_3) | instid1(SALU_CYCLE_1)
	v_cmp_eq_u32_e32 vcc_lo, s11, v64
	s_barrier_signal -1
	s_barrier_wait -1
	s_and_b32 s12, s13, vcc_lo
	s_and_saveexec_b32 s65, s12
	s_cbranch_execz .LBB125_559
; %bb.558:                              ;   in Loop: Header=BB125_553 Depth=2
	ds_load_b64 v[94:95], v88
	s_wait_dscnt 0x0
	v_mul_f64_e32 v[40:41], v[40:41], v[94:95]
	s_delay_alu instid0(VALU_DEP_1) | instskip(NEXT) | instid1(VALU_DEP_2)
	v_xor_b32_e32 v95, 0x80000000, v41
	v_mov_b32_e32 v94, v40
	ds_store_b64 v66, v[94:95]
.LBB125_559:                            ;   in Loop: Header=BB125_553 Depth=2
	s_or_b32 exec_lo, exec_lo, s65
	v_cmp_gt_u32_e32 vcc_lo, s11, v64
	s_wait_dscnt 0x0
	s_barrier_signal -1
	s_barrier_wait -1
	s_and_b32 s12, s13, vcc_lo
	s_delay_alu instid0(SALU_CYCLE_1)
	s_and_saveexec_b32 s11, s12
	s_cbranch_execz .LBB125_561
; %bb.560:                              ;   in Loop: Header=BB125_553 Depth=2
	ds_load_b64 v[94:95], v42 offset:1024
	ds_load_b64 v[96:97], v66
	s_wait_dscnt 0x0
	v_fma_f64 v[40:41], -v[94:95], v[96:97], v[40:41]
.LBB125_561:                            ;   in Loop: Header=BB125_553 Depth=2
	s_or_b32 exec_lo, exec_lo, s11
	s_add_co_i32 s11, s10, -2
	s_delay_alu instid0(SALU_CYCLE_1) | instskip(SKIP_3) | instid1(SALU_CYCLE_1)
	v_cmp_eq_u32_e32 vcc_lo, s11, v64
	s_barrier_signal -1
	s_barrier_wait -1
	s_and_b32 s12, s13, vcc_lo
	s_and_saveexec_b32 s65, s12
	s_cbranch_execz .LBB125_563
; %bb.562:                              ;   in Loop: Header=BB125_553 Depth=2
	ds_load_b64 v[94:95], v88
	s_wait_dscnt 0x0
	v_mul_f64_e32 v[40:41], v[40:41], v[94:95]
	s_delay_alu instid0(VALU_DEP_1) | instskip(NEXT) | instid1(VALU_DEP_2)
	v_xor_b32_e32 v95, 0x80000000, v41
	v_mov_b32_e32 v94, v40
	ds_store_b64 v66, v[94:95]
.LBB125_563:                            ;   in Loop: Header=BB125_553 Depth=2
	s_or_b32 exec_lo, exec_lo, s65
	v_cmp_gt_u32_e32 vcc_lo, s11, v64
	s_wait_dscnt 0x0
	;; [unrolled: 33-line block ×3, first 2 shown]
	s_barrier_signal -1
	s_barrier_wait -1
	s_and_b32 s12, s13, vcc_lo
	s_delay_alu instid0(SALU_CYCLE_1)
	s_and_saveexec_b32 s11, s12
	s_cbranch_execz .LBB125_552
; %bb.568:                              ;   in Loop: Header=BB125_553 Depth=2
	ds_load_b64 v[42:43], v42
	ds_load_b64 v[94:95], v66
	s_wait_dscnt 0x0
	v_fma_f64 v[40:41], -v[42:43], v[94:95], v[40:41]
	s_branch .LBB125_552
.LBB125_569:                            ;   in Loop: Header=BB125_3 Depth=1
	s_and_saveexec_b32 s10, s35
; %bb.570:                              ;   in Loop: Header=BB125_3 Depth=1
	ds_store_b64 v70, v[40:41] offset:32256
; %bb.571:                              ;   in Loop: Header=BB125_3 Depth=1
	s_or_b32 exec_lo, exec_lo, s10
	s_wait_dscnt 0x0
	s_barrier_signal -1
	s_barrier_wait -1
	s_barrier_signal -1
	s_barrier_wait -1
	s_mov_b32 s10, exec_lo
	v_readlane_b32 s11, v103, 5
	s_and_b32 s11, s10, s11
	s_delay_alu instid0(SALU_CYCLE_1)
	s_mov_b32 exec_lo, s11
	s_cbranch_execz .LBB125_573
; %bb.572:                              ;   in Loop: Header=BB125_3 Depth=1
	ds_load_b64 v[40:41], v50 offset:16384
	s_wait_dscnt 0x0
	ds_store_b64 v54, v[40:41] offset:256
	ds_load_b64 v[40:41], v50 offset:16392
	s_wait_dscnt 0x0
	ds_store_b64 v54, v[40:41] offset:768
	;; [unrolled: 3-line block ×32, first 2 shown]
.LBB125_573:                            ;   in Loop: Header=BB125_3 Depth=1
	s_or_b32 exec_lo, exec_lo, s10
	s_wait_dscnt 0x0
	s_barrier_signal -1
	s_barrier_wait -1
	s_and_saveexec_b32 s10, s14
	s_cbranch_execz .LBB125_575
; %bb.574:                              ;   in Loop: Header=BB125_3 Depth=1
	ds_load_b128 v[40:43], v1 offset:16112
	ds_load_b64 v[94:95], v1 offset:15600
	v_add_nc_u32_e64 v0, 0x3800, 0
	s_wait_dscnt 0x0
	v_mul_f64_e32 v[42:43], v[94:95], v[42:43]
	s_delay_alu instid0(VALU_DEP_1)
	v_mul_f64_e32 v[40:41], v[40:41], v[42:43]
	ds_store_2addr_b64 v0, v[40:41], v[40:41] offset0:159 offset1:222
.LBB125_575:                            ;   in Loop: Header=BB125_3 Depth=1
	s_or_b32 exec_lo, exec_lo, s10
	v_mov_b64_e32 v[40:41], 0
	s_wait_dscnt 0x0
	s_barrier_signal -1
	s_barrier_wait -1
	global_wb scope:SCOPE_DEV
	s_wait_storecnt 0x0
	global_inv scope:SCOPE_DEV
	s_and_saveexec_b32 s10, s1
	s_cbranch_execz .LBB125_579
; %bb.576:                              ;   in Loop: Header=BB125_3 Depth=1
	ds_load_b64 v[40:41], v47 offset:15584
	ds_load_b64 v[42:43], v46 offset:16112
	s_wait_dscnt 0x0
	v_fma_f64 v[40:41], v[40:41], v[42:43], 0
	s_and_saveexec_b32 s11, s15
	s_cbranch_execz .LBB125_578
; %bb.577:                              ;   in Loop: Header=BB125_3 Depth=1
	ds_load_b64 v[42:43], v48 offset:16096
	ds_load_b64 v[94:95], v1 offset:16120
	s_wait_dscnt 0x0
	v_fmac_f64_e32 v[40:41], v[42:43], v[94:95]
.LBB125_578:                            ;   in Loop: Header=BB125_3 Depth=1
	s_or_b32 exec_lo, exec_lo, s11
.LBB125_579:                            ;   in Loop: Header=BB125_3 Depth=1
	s_delay_alu instid0(SALU_CYCLE_1)
	s_or_b32 exec_lo, exec_lo, s10
	s_and_saveexec_b32 s10, s90
	s_cbranch_execz .LBB125_581
; %bb.580:                              ;   in Loop: Header=BB125_3 Depth=1
	ds_load_b64 v[42:43], v1 offset:15080
	s_wait_dscnt 0x0
	v_mul_f64_e32 v[40:41], v[40:41], v[42:43]
	s_delay_alu instid0(VALU_DEP_1) | instskip(NEXT) | instid1(VALU_DEP_2)
	v_xor_b32_e32 v43, 0x80000000, v41
	v_mov_b32_e32 v42, v40
	ds_store_b64 v3, v[42:43]
.LBB125_581:                            ;   in Loop: Header=BB125_3 Depth=1
	s_or_b32 exec_lo, exec_lo, s10
	s_wait_loadcnt_dscnt 0x0
	s_barrier_signal -1
	s_barrier_wait -1
	s_and_saveexec_b32 s10, s91
	s_cbranch_execz .LBB125_583
; %bb.582:                              ;   in Loop: Header=BB125_3 Depth=1
	ds_load_b64 v[42:43], v1 offset:15072
	ds_load_b64 v[94:95], v3
	s_wait_dscnt 0x0
	v_fma_f64 v[40:41], -v[42:43], v[94:95], v[40:41]
.LBB125_583:                            ;   in Loop: Header=BB125_3 Depth=1
	s_or_b32 exec_lo, exec_lo, s10
	s_barrier_signal -1
	s_barrier_wait -1
	s_and_saveexec_b32 s10, s91
	s_cbranch_execz .LBB125_585
; %bb.584:                              ;   in Loop: Header=BB125_3 Depth=1
	ds_load_b64 v[42:43], v1 offset:14560
	s_wait_dscnt 0x0
	v_mul_f64_e32 v[40:41], v[40:41], v[42:43]
	s_delay_alu instid0(VALU_DEP_1) | instskip(NEXT) | instid1(VALU_DEP_2)
	v_xor_b32_e32 v43, 0x80000000, v41
	v_mov_b32_e32 v42, v40
	ds_store_b64 v3, v[42:43]
.LBB125_585:                            ;   in Loop: Header=BB125_3 Depth=1
	s_or_b32 exec_lo, exec_lo, s10
	s_wait_dscnt 0x0
	s_barrier_signal -1
	s_barrier_wait -1
	s_barrier_signal -1
	s_barrier_wait -1
	s_and_saveexec_b32 s10, s1
; %bb.586:                              ;   in Loop: Header=BB125_3 Depth=1
	ds_store_b64 v49, v[40:41] offset:16096
; %bb.587:                              ;   in Loop: Header=BB125_3 Depth=1
	s_or_b32 exec_lo, exec_lo, s10
	s_wait_dscnt 0x0
	s_barrier_signal -1
	s_barrier_wait -1
	s_barrier_signal -1
	s_barrier_wait -1
	s_and_saveexec_b32 s10, s92
	s_cbranch_execz .LBB125_589
; %bb.588:                              ;   in Loop: Header=BB125_3 Depth=1
	ds_load_b64 v[40:41], v50 offset:15584
	s_wait_dscnt 0x0
	ds_store_b64 v48, v[40:41] offset:14576
	ds_load_b64 v[40:41], v50 offset:15592
	s_wait_dscnt 0x0
	ds_store_b64 v48, v[40:41] offset:15088
.LBB125_589:                            ;   in Loop: Header=BB125_3 Depth=1
	s_or_b32 exec_lo, exec_lo, s10
	s_wait_dscnt 0x0
	s_barrier_signal -1
	s_barrier_wait -1
	s_and_saveexec_b32 s10, s14
	s_cbranch_execz .LBB125_591
; %bb.590:                              ;   in Loop: Header=BB125_3 Depth=1
	ds_load_b128 v[40:43], v1 offset:15072
	ds_load_b64 v[94:95], v1 offset:14560
	v_add_nc_u32_e64 v0, 0x3800, 0
	s_wait_dscnt 0x0
	v_mul_f64_e32 v[42:43], v[94:95], v[42:43]
	s_delay_alu instid0(VALU_DEP_1)
	v_mul_f64_e32 v[40:41], v[40:41], v[42:43]
	ds_store_2addr_b64 v0, v[40:41], v[40:41] offset0:29 offset1:92
.LBB125_591:                            ;   in Loop: Header=BB125_3 Depth=1
	s_or_b32 exec_lo, exec_lo, s10
	v_mov_b64_e32 v[40:41], 0
	s_wait_dscnt 0x0
	s_barrier_signal -1
	s_barrier_wait -1
	global_wb scope:SCOPE_DEV
	s_wait_storecnt 0x0
	global_inv scope:SCOPE_DEV
	s_and_saveexec_b32 s10, s3
	s_cbranch_execz .LBB125_597
; %bb.592:                              ;   in Loop: Header=BB125_3 Depth=1
	ds_load_b64 v[40:41], v53 offset:14528
	ds_load_b64 v[42:43], v52 offset:16096
	s_wait_dscnt 0x0
	v_fma_f64 v[40:41], v[40:41], v[42:43], 0
	s_and_saveexec_b32 s11, s16
	s_cbranch_execnz .LBB125_1125
; %bb.593:                              ;   in Loop: Header=BB125_3 Depth=1
	s_or_b32 exec_lo, exec_lo, s11
	s_and_saveexec_b32 s11, s17
	s_cbranch_execnz .LBB125_1126
.LBB125_594:                            ;   in Loop: Header=BB125_3 Depth=1
	s_or_b32 exec_lo, exec_lo, s11
	s_and_saveexec_b32 s11, s1
	s_cbranch_execz .LBB125_596
.LBB125_595:                            ;   in Loop: Header=BB125_3 Depth=1
	ds_load_b64 v[42:43], v54 offset:16064
	ds_load_b64 v[94:95], v1 offset:16120
	s_wait_dscnt 0x0
	v_fmac_f64_e32 v[40:41], v[42:43], v[94:95]
.LBB125_596:                            ;   in Loop: Header=BB125_3 Depth=1
	s_or_b32 exec_lo, exec_lo, s11
.LBB125_597:                            ;   in Loop: Header=BB125_3 Depth=1
	s_delay_alu instid0(SALU_CYCLE_1)
	s_or_b32 exec_lo, exec_lo, s10
	s_and_saveexec_b32 s10, s93
	s_cbranch_execz .LBB125_599
; %bb.598:                              ;   in Loop: Header=BB125_3 Depth=1
	ds_load_b64 v[42:43], v1 offset:14040
	s_wait_dscnt 0x0
	v_mul_f64_e32 v[40:41], v[40:41], v[42:43]
	s_delay_alu instid0(VALU_DEP_1) | instskip(NEXT) | instid1(VALU_DEP_2)
	v_xor_b32_e32 v43, 0x80000000, v41
	v_mov_b32_e32 v42, v40
	ds_store_b64 v51, v[42:43]
.LBB125_599:                            ;   in Loop: Header=BB125_3 Depth=1
	s_or_b32 exec_lo, exec_lo, s10
	s_wait_loadcnt_dscnt 0x0
	s_barrier_signal -1
	s_barrier_wait -1
	s_and_saveexec_b32 s10, s94
	s_cbranch_execz .LBB125_601
; %bb.600:                              ;   in Loop: Header=BB125_3 Depth=1
	ds_load_b64 v[42:43], v53 offset:14016
	ds_load_b64 v[94:95], v51
	s_wait_dscnt 0x0
	v_fma_f64 v[40:41], -v[42:43], v[94:95], v[40:41]
.LBB125_601:                            ;   in Loop: Header=BB125_3 Depth=1
	s_or_b32 exec_lo, exec_lo, s10
	s_barrier_signal -1
	s_barrier_wait -1
	s_and_saveexec_b32 s10, s95
	s_cbranch_execz .LBB125_603
; %bb.602:                              ;   in Loop: Header=BB125_3 Depth=1
	ds_load_b64 v[42:43], v1 offset:13520
	s_wait_dscnt 0x0
	v_mul_f64_e32 v[40:41], v[40:41], v[42:43]
	s_delay_alu instid0(VALU_DEP_1) | instskip(NEXT) | instid1(VALU_DEP_2)
	v_xor_b32_e32 v43, 0x80000000, v41
	v_mov_b32_e32 v42, v40
	ds_store_b64 v51, v[42:43]
.LBB125_603:                            ;   in Loop: Header=BB125_3 Depth=1
	s_or_b32 exec_lo, exec_lo, s10
	s_wait_dscnt 0x0
	s_barrier_signal -1
	s_barrier_wait -1
	s_and_saveexec_b32 s10, s96
	s_cbranch_execz .LBB125_605
; %bb.604:                              ;   in Loop: Header=BB125_3 Depth=1
	ds_load_b64 v[42:43], v53 offset:13504
	ds_load_b64 v[94:95], v51
	s_wait_dscnt 0x0
	v_fma_f64 v[40:41], -v[42:43], v[94:95], v[40:41]
.LBB125_605:                            ;   in Loop: Header=BB125_3 Depth=1
	s_or_b32 exec_lo, exec_lo, s10
	s_barrier_signal -1
	s_barrier_wait -1
	s_and_saveexec_b32 s10, s97
	s_cbranch_execz .LBB125_607
; %bb.606:                              ;   in Loop: Header=BB125_3 Depth=1
	ds_load_b64 v[42:43], v1 offset:13000
	s_wait_dscnt 0x0
	v_mul_f64_e32 v[40:41], v[40:41], v[42:43]
	s_delay_alu instid0(VALU_DEP_1) | instskip(NEXT) | instid1(VALU_DEP_2)
	v_xor_b32_e32 v43, 0x80000000, v41
	v_mov_b32_e32 v42, v40
	ds_store_b64 v51, v[42:43]
.LBB125_607:                            ;   in Loop: Header=BB125_3 Depth=1
	s_or_b32 exec_lo, exec_lo, s10
	s_wait_dscnt 0x0
	;; [unrolled: 26-line block ×3, first 2 shown]
	s_barrier_signal -1
	s_barrier_wait -1
	s_barrier_signal -1
	s_barrier_wait -1
	s_and_saveexec_b32 s10, s3
; %bb.612:                              ;   in Loop: Header=BB125_3 Depth=1
	ds_store_b64 v55, v[40:41] offset:16064
; %bb.613:                              ;   in Loop: Header=BB125_3 Depth=1
	s_or_b32 exec_lo, exec_lo, s10
	s_wait_dscnt 0x0
	s_barrier_signal -1
	s_barrier_wait -1
	s_barrier_signal -1
	s_barrier_wait -1
	s_and_saveexec_b32 s10, s99
	s_cbranch_execz .LBB125_615
; %bb.614:                              ;   in Loop: Header=BB125_3 Depth=1
	ds_load_b64 v[40:41], v56 offset:14528
	s_wait_dscnt 0x0
	ds_store_b64 v5, v[40:41] offset:12512
	ds_load_b64 v[40:41], v56 offset:14536
	s_wait_dscnt 0x0
	ds_store_b64 v5, v[40:41] offset:13024
	;; [unrolled: 3-line block ×4, first 2 shown]
.LBB125_615:                            ;   in Loop: Header=BB125_3 Depth=1
	s_or_b32 exec_lo, exec_lo, s10
	s_wait_dscnt 0x0
	s_barrier_signal -1
	s_barrier_wait -1
	s_and_saveexec_b32 s10, s14
	s_cbranch_execz .LBB125_617
; %bb.616:                              ;   in Loop: Header=BB125_3 Depth=1
	ds_load_b128 v[40:43], v1 offset:14032
	ds_load_b64 v[94:95], v1 offset:13520
	v_add_nc_u32_e64 v0, 0x3000, 0
	s_wait_dscnt 0x0
	v_mul_f64_e32 v[42:43], v[94:95], v[42:43]
	s_delay_alu instid0(VALU_DEP_1)
	v_mul_f64_e32 v[40:41], v[40:41], v[42:43]
	ds_store_2addr_b64 v0, v[40:41], v[40:41] offset0:155 offset1:218
.LBB125_617:                            ;   in Loop: Header=BB125_3 Depth=1
	s_or_b32 exec_lo, exec_lo, s10
	v_mov_b64_e32 v[40:41], 0
	s_wait_dscnt 0x0
	s_barrier_signal -1
	s_barrier_wait -1
	global_wb scope:SCOPE_DEV
	s_wait_storecnt 0x0
	global_inv scope:SCOPE_DEV
	s_and_saveexec_b32 s10, s1
	s_cbranch_execz .LBB125_621
; %bb.618:                              ;   in Loop: Header=BB125_3 Depth=1
	ds_load_b64 v[40:41], v47 offset:13504
	ds_load_b64 v[42:43], v46 offset:14032
	s_wait_dscnt 0x0
	v_fma_f64 v[40:41], v[40:41], v[42:43], 0
	s_and_saveexec_b32 s11, s15
	s_cbranch_execz .LBB125_620
; %bb.619:                              ;   in Loop: Header=BB125_3 Depth=1
	ds_load_b64 v[42:43], v5 offset:14016
	ds_load_b64 v[94:95], v1 offset:14040
	s_wait_dscnt 0x0
	v_fmac_f64_e32 v[40:41], v[42:43], v[94:95]
.LBB125_620:                            ;   in Loop: Header=BB125_3 Depth=1
	s_or_b32 exec_lo, exec_lo, s11
.LBB125_621:                            ;   in Loop: Header=BB125_3 Depth=1
	s_delay_alu instid0(SALU_CYCLE_1)
	s_or_b32 exec_lo, exec_lo, s10
	s_and_saveexec_b32 s10, s90
	s_cbranch_execz .LBB125_623
; %bb.622:                              ;   in Loop: Header=BB125_3 Depth=1
	ds_load_b64 v[42:43], v1 offset:13000
	s_wait_dscnt 0x0
	v_mul_f64_e32 v[40:41], v[40:41], v[42:43]
	s_delay_alu instid0(VALU_DEP_1) | instskip(NEXT) | instid1(VALU_DEP_2)
	v_xor_b32_e32 v43, 0x80000000, v41
	v_mov_b32_e32 v42, v40
	ds_store_b64 v3, v[42:43]
.LBB125_623:                            ;   in Loop: Header=BB125_3 Depth=1
	s_or_b32 exec_lo, exec_lo, s10
	s_wait_loadcnt_dscnt 0x0
	s_barrier_signal -1
	s_barrier_wait -1
	s_and_saveexec_b32 s10, s91
	s_cbranch_execz .LBB125_625
; %bb.624:                              ;   in Loop: Header=BB125_3 Depth=1
	ds_load_b64 v[42:43], v1 offset:12992
	ds_load_b64 v[94:95], v3
	s_wait_dscnt 0x0
	v_fma_f64 v[40:41], -v[42:43], v[94:95], v[40:41]
.LBB125_625:                            ;   in Loop: Header=BB125_3 Depth=1
	s_or_b32 exec_lo, exec_lo, s10
	s_barrier_signal -1
	s_barrier_wait -1
	s_and_saveexec_b32 s10, s91
	s_cbranch_execz .LBB125_627
; %bb.626:                              ;   in Loop: Header=BB125_3 Depth=1
	ds_load_b64 v[42:43], v1 offset:12480
	s_wait_dscnt 0x0
	v_mul_f64_e32 v[40:41], v[40:41], v[42:43]
	s_delay_alu instid0(VALU_DEP_1) | instskip(NEXT) | instid1(VALU_DEP_2)
	v_xor_b32_e32 v43, 0x80000000, v41
	v_mov_b32_e32 v42, v40
	ds_store_b64 v3, v[42:43]
.LBB125_627:                            ;   in Loop: Header=BB125_3 Depth=1
	s_or_b32 exec_lo, exec_lo, s10
	s_wait_dscnt 0x0
	s_barrier_signal -1
	s_barrier_wait -1
	s_barrier_signal -1
	s_barrier_wait -1
	s_and_saveexec_b32 s10, s1
; %bb.628:                              ;   in Loop: Header=BB125_3 Depth=1
	ds_store_b64 v49, v[40:41] offset:14016
; %bb.629:                              ;   in Loop: Header=BB125_3 Depth=1
	s_or_b32 exec_lo, exec_lo, s10
	s_wait_dscnt 0x0
	s_barrier_signal -1
	s_barrier_wait -1
	s_barrier_signal -1
	s_barrier_wait -1
	s_and_saveexec_b32 s10, s92
	s_cbranch_execz .LBB125_631
; %bb.630:                              ;   in Loop: Header=BB125_3 Depth=1
	ds_load_b64 v[40:41], v71 offset:13504
	s_wait_dscnt 0x0
	ds_store_b64 v5, v[40:41] offset:12496
	ds_load_b64 v[40:41], v71 offset:13512
	s_wait_dscnt 0x0
	ds_store_b64 v5, v[40:41] offset:13008
.LBB125_631:                            ;   in Loop: Header=BB125_3 Depth=1
	s_or_b32 exec_lo, exec_lo, s10
	s_wait_dscnt 0x0
	s_barrier_signal -1
	s_barrier_wait -1
	s_and_saveexec_b32 s10, s14
	s_cbranch_execz .LBB125_633
; %bb.632:                              ;   in Loop: Header=BB125_3 Depth=1
	ds_load_b128 v[40:43], v1 offset:12992
	ds_load_b64 v[94:95], v1 offset:12480
	v_add_nc_u32_e64 v0, 0x3000, 0
	s_wait_dscnt 0x0
	v_mul_f64_e32 v[42:43], v[94:95], v[42:43]
	s_delay_alu instid0(VALU_DEP_1)
	v_mul_f64_e32 v[40:41], v[40:41], v[42:43]
	ds_store_2addr_b64 v0, v[40:41], v[40:41] offset0:25 offset1:88
.LBB125_633:                            ;   in Loop: Header=BB125_3 Depth=1
	s_or_b32 exec_lo, exec_lo, s10
	v_mov_b64_e32 v[40:41], 0
	s_wait_dscnt 0x0
	s_barrier_signal -1
	s_barrier_wait -1
	global_wb scope:SCOPE_DEV
	s_wait_storecnt 0x0
	global_inv scope:SCOPE_DEV
	s_and_saveexec_b32 s10, s4
	s_cbranch_execz .LBB125_643
; %bb.634:                              ;   in Loop: Header=BB125_3 Depth=1
	ds_load_b64 v[40:41], v59 offset:12416
	ds_load_b64 v[42:43], v58 offset:16064
	s_wait_dscnt 0x0
	v_fma_f64 v[40:41], v[40:41], v[42:43], 0
	s_and_saveexec_b32 s11, s18
	s_cbranch_execnz .LBB125_1127
; %bb.635:                              ;   in Loop: Header=BB125_3 Depth=1
	s_or_b32 exec_lo, exec_lo, s11
	s_and_saveexec_b32 s11, s19
	s_cbranch_execnz .LBB125_1128
.LBB125_636:                            ;   in Loop: Header=BB125_3 Depth=1
	s_or_b32 exec_lo, exec_lo, s11
	s_and_saveexec_b32 s11, s20
	s_cbranch_execnz .LBB125_1129
.LBB125_637:                            ;   in Loop: Header=BB125_3 Depth=1
	s_or_b32 exec_lo, exec_lo, s11
	s_and_saveexec_b32 s11, s21
	s_cbranch_execnz .LBB125_1130
.LBB125_638:                            ;   in Loop: Header=BB125_3 Depth=1
	s_or_b32 exec_lo, exec_lo, s11
	s_and_saveexec_b32 s11, s22
	s_cbranch_execnz .LBB125_1131
.LBB125_639:                            ;   in Loop: Header=BB125_3 Depth=1
	s_or_b32 exec_lo, exec_lo, s11
	s_and_saveexec_b32 s11, s3
	s_cbranch_execnz .LBB125_1132
.LBB125_640:                            ;   in Loop: Header=BB125_3 Depth=1
	s_or_b32 exec_lo, exec_lo, s11
	s_and_saveexec_b32 s11, s17
	s_cbranch_execz .LBB125_642
.LBB125_641:                            ;   in Loop: Header=BB125_3 Depth=1
	ds_load_b64 v[42:43], v72 offset:16000
	ds_load_b64 v[94:95], v1 offset:16120
	s_wait_dscnt 0x0
	v_fmac_f64_e32 v[40:41], v[42:43], v[94:95]
.LBB125_642:                            ;   in Loop: Header=BB125_3 Depth=1
	s_or_b32 exec_lo, exec_lo, s11
.LBB125_643:                            ;   in Loop: Header=BB125_3 Depth=1
	s_delay_alu instid0(SALU_CYCLE_1)
	s_or_b32 exec_lo, exec_lo, s10
	s_and_saveexec_b32 s10, s100
	s_cbranch_execz .LBB125_645
; %bb.644:                              ;   in Loop: Header=BB125_3 Depth=1
	ds_load_b64 v[42:43], v1 offset:11960
	s_wait_dscnt 0x0
	v_mul_f64_e32 v[40:41], v[40:41], v[42:43]
	s_delay_alu instid0(VALU_DEP_1) | instskip(NEXT) | instid1(VALU_DEP_2)
	v_xor_b32_e32 v43, 0x80000000, v41
	v_mov_b32_e32 v42, v40
	ds_store_b64 v57, v[42:43]
.LBB125_645:                            ;   in Loop: Header=BB125_3 Depth=1
	s_or_b32 exec_lo, exec_lo, s10
	s_wait_loadcnt_dscnt 0x0
	s_barrier_signal -1
	s_barrier_wait -1
	s_and_saveexec_b32 s10, s101
	s_cbranch_execz .LBB125_647
; %bb.646:                              ;   in Loop: Header=BB125_3 Depth=1
	ds_load_b64 v[42:43], v59 offset:11904
	ds_load_b64 v[94:95], v57
	s_wait_dscnt 0x0
	v_fma_f64 v[40:41], -v[42:43], v[94:95], v[40:41]
.LBB125_647:                            ;   in Loop: Header=BB125_3 Depth=1
	s_or_b32 exec_lo, exec_lo, s10
	s_barrier_signal -1
	s_barrier_wait -1
	s_and_saveexec_b32 s10, s102
	s_cbranch_execz .LBB125_649
; %bb.648:                              ;   in Loop: Header=BB125_3 Depth=1
	ds_load_b64 v[42:43], v1 offset:11440
	s_wait_dscnt 0x0
	v_mul_f64_e32 v[40:41], v[40:41], v[42:43]
	s_delay_alu instid0(VALU_DEP_1) | instskip(NEXT) | instid1(VALU_DEP_2)
	v_xor_b32_e32 v43, 0x80000000, v41
	v_mov_b32_e32 v42, v40
	ds_store_b64 v57, v[42:43]
.LBB125_649:                            ;   in Loop: Header=BB125_3 Depth=1
	s_or_b32 exec_lo, exec_lo, s10
	s_wait_dscnt 0x0
	s_barrier_signal -1
	s_barrier_wait -1
	s_and_saveexec_b32 s10, s103
	s_cbranch_execz .LBB125_651
; %bb.650:                              ;   in Loop: Header=BB125_3 Depth=1
	ds_load_b64 v[42:43], v59 offset:11392
	ds_load_b64 v[94:95], v57
	s_wait_dscnt 0x0
	v_fma_f64 v[40:41], -v[42:43], v[94:95], v[40:41]
.LBB125_651:                            ;   in Loop: Header=BB125_3 Depth=1
	s_or_b32 exec_lo, exec_lo, s10
	s_barrier_signal -1
	s_barrier_wait -1
	s_and_saveexec_b32 s10, s104
	s_cbranch_execz .LBB125_653
; %bb.652:                              ;   in Loop: Header=BB125_3 Depth=1
	ds_load_b64 v[42:43], v1 offset:10920
	s_wait_dscnt 0x0
	v_mul_f64_e32 v[40:41], v[40:41], v[42:43]
	s_delay_alu instid0(VALU_DEP_1) | instskip(NEXT) | instid1(VALU_DEP_2)
	v_xor_b32_e32 v43, 0x80000000, v41
	v_mov_b32_e32 v42, v40
	ds_store_b64 v57, v[42:43]
.LBB125_653:                            ;   in Loop: Header=BB125_3 Depth=1
	s_or_b32 exec_lo, exec_lo, s10
	s_wait_dscnt 0x0
	s_barrier_signal -1
	s_barrier_wait -1
	s_and_saveexec_b32 s10, vcc_hi
	s_cbranch_execz .LBB125_655
; %bb.654:                              ;   in Loop: Header=BB125_3 Depth=1
	ds_load_b64 v[42:43], v59 offset:10880
	ds_load_b64 v[94:95], v57
	s_wait_dscnt 0x0
	v_fma_f64 v[40:41], -v[42:43], v[94:95], v[40:41]
.LBB125_655:                            ;   in Loop: Header=BB125_3 Depth=1
	s_or_b32 exec_lo, exec_lo, s10
	s_barrier_signal -1
	s_barrier_wait -1
	s_and_saveexec_b32 s10, s36
	s_cbranch_execz .LBB125_657
; %bb.656:                              ;   in Loop: Header=BB125_3 Depth=1
	ds_load_b64 v[42:43], v1 offset:10400
	s_wait_dscnt 0x0
	v_mul_f64_e32 v[40:41], v[40:41], v[42:43]
	s_delay_alu instid0(VALU_DEP_1) | instskip(NEXT) | instid1(VALU_DEP_2)
	v_xor_b32_e32 v43, 0x80000000, v41
	v_mov_b32_e32 v42, v40
	ds_store_b64 v57, v[42:43]
.LBB125_657:                            ;   in Loop: Header=BB125_3 Depth=1
	s_or_b32 exec_lo, exec_lo, s10
	s_wait_dscnt 0x0
	s_barrier_signal -1
	s_barrier_wait -1
	s_and_saveexec_b32 s10, s37
	s_cbranch_execz .LBB125_659
; %bb.658:                              ;   in Loop: Header=BB125_3 Depth=1
	ds_load_b64 v[42:43], v59 offset:10368
	ds_load_b64 v[94:95], v57
	s_wait_dscnt 0x0
	v_fma_f64 v[40:41], -v[42:43], v[94:95], v[40:41]
.LBB125_659:                            ;   in Loop: Header=BB125_3 Depth=1
	s_or_b32 exec_lo, exec_lo, s10
	s_barrier_signal -1
	s_barrier_wait -1
	s_and_saveexec_b32 s10, s38
	s_cbranch_execz .LBB125_661
; %bb.660:                              ;   in Loop: Header=BB125_3 Depth=1
	ds_load_b64 v[42:43], v1 offset:9880
	s_wait_dscnt 0x0
	v_mul_f64_e32 v[40:41], v[40:41], v[42:43]
	s_delay_alu instid0(VALU_DEP_1) | instskip(NEXT) | instid1(VALU_DEP_2)
	v_xor_b32_e32 v43, 0x80000000, v41
	v_mov_b32_e32 v42, v40
	ds_store_b64 v57, v[42:43]
.LBB125_661:                            ;   in Loop: Header=BB125_3 Depth=1
	s_or_b32 exec_lo, exec_lo, s10
	s_wait_dscnt 0x0
	s_barrier_signal -1
	s_barrier_wait -1
	s_and_saveexec_b32 s10, s39
	;; [unrolled: 26-line block ×4, first 2 shown]
	s_cbranch_execz .LBB125_671
; %bb.670:                              ;   in Loop: Header=BB125_3 Depth=1
	ds_load_b64 v[42:43], v1 offset:8832
	ds_load_b64 v[94:95], v57
	s_wait_dscnt 0x0
	v_fma_f64 v[40:41], -v[42:43], v[94:95], v[40:41]
.LBB125_671:                            ;   in Loop: Header=BB125_3 Depth=1
	s_or_b32 exec_lo, exec_lo, s10
	s_barrier_signal -1
	s_barrier_wait -1
	s_and_saveexec_b32 s10, s43
	s_cbranch_execz .LBB125_673
; %bb.672:                              ;   in Loop: Header=BB125_3 Depth=1
	ds_load_b64 v[42:43], v1 offset:8320
	s_wait_dscnt 0x0
	v_mul_f64_e32 v[40:41], v[40:41], v[42:43]
	s_delay_alu instid0(VALU_DEP_1) | instskip(NEXT) | instid1(VALU_DEP_2)
	v_xor_b32_e32 v43, 0x80000000, v41
	v_mov_b32_e32 v42, v40
	ds_store_b64 v57, v[42:43]
.LBB125_673:                            ;   in Loop: Header=BB125_3 Depth=1
	s_or_b32 exec_lo, exec_lo, s10
	s_wait_dscnt 0x0
	s_barrier_signal -1
	s_barrier_wait -1
	s_barrier_signal -1
	s_barrier_wait -1
	s_and_saveexec_b32 s10, s4
; %bb.674:                              ;   in Loop: Header=BB125_3 Depth=1
	ds_store_b64 v60, v[40:41] offset:16000
; %bb.675:                              ;   in Loop: Header=BB125_3 Depth=1
	s_or_b32 exec_lo, exec_lo, s10
	s_wait_dscnt 0x0
	s_barrier_signal -1
	s_barrier_wait -1
	s_barrier_signal -1
	s_barrier_wait -1
	s_and_saveexec_b32 s10, s44
	s_cbranch_execz .LBB125_677
; %bb.676:                              ;   in Loop: Header=BB125_3 Depth=1
	ds_load_b64 v[40:41], v74 offset:12416
	s_wait_dscnt 0x0
	ds_store_b64 v75, v[40:41] offset:8384
	ds_load_b64 v[40:41], v74 offset:12424
	s_wait_dscnt 0x0
	ds_store_b64 v75, v[40:41] offset:8896
	;; [unrolled: 3-line block ×8, first 2 shown]
.LBB125_677:                            ;   in Loop: Header=BB125_3 Depth=1
	s_or_b32 exec_lo, exec_lo, s10
	s_wait_dscnt 0x0
	s_barrier_signal -1
	s_barrier_wait -1
	s_and_saveexec_b32 s10, s14
	s_cbranch_execz .LBB125_679
; %bb.678:                              ;   in Loop: Header=BB125_3 Depth=1
	ds_load_b128 v[40:43], v1 offset:11952
	ds_load_b64 v[94:95], v1 offset:11440
	v_add_nc_u32_e64 v0, 0x2800, 0
	s_wait_dscnt 0x0
	v_mul_f64_e32 v[42:43], v[94:95], v[42:43]
	s_delay_alu instid0(VALU_DEP_1)
	v_mul_f64_e32 v[40:41], v[40:41], v[42:43]
	ds_store_2addr_b64 v0, v[40:41], v[40:41] offset0:151 offset1:214
.LBB125_679:                            ;   in Loop: Header=BB125_3 Depth=1
	s_or_b32 exec_lo, exec_lo, s10
	v_mov_b64_e32 v[40:41], 0
	s_wait_dscnt 0x0
	s_barrier_signal -1
	s_barrier_wait -1
	global_wb scope:SCOPE_DEV
	s_wait_storecnt 0x0
	global_inv scope:SCOPE_DEV
	s_and_saveexec_b32 s10, s1
	s_cbranch_execz .LBB125_683
; %bb.680:                              ;   in Loop: Header=BB125_3 Depth=1
	ds_load_b64 v[40:41], v47 offset:11424
	ds_load_b64 v[42:43], v46 offset:11952
	s_wait_dscnt 0x0
	v_fma_f64 v[40:41], v[40:41], v[42:43], 0
	s_and_saveexec_b32 s11, s15
	s_cbranch_execz .LBB125_682
; %bb.681:                              ;   in Loop: Header=BB125_3 Depth=1
	ds_load_b64 v[42:43], v75 offset:11936
	ds_load_b64 v[94:95], v1 offset:11960
	s_wait_dscnt 0x0
	v_fmac_f64_e32 v[40:41], v[42:43], v[94:95]
.LBB125_682:                            ;   in Loop: Header=BB125_3 Depth=1
	s_or_b32 exec_lo, exec_lo, s11
.LBB125_683:                            ;   in Loop: Header=BB125_3 Depth=1
	s_delay_alu instid0(SALU_CYCLE_1)
	s_or_b32 exec_lo, exec_lo, s10
	s_and_saveexec_b32 s10, s90
	s_cbranch_execz .LBB125_685
; %bb.684:                              ;   in Loop: Header=BB125_3 Depth=1
	ds_load_b64 v[42:43], v1 offset:10920
	s_wait_dscnt 0x0
	v_mul_f64_e32 v[40:41], v[40:41], v[42:43]
	s_delay_alu instid0(VALU_DEP_1) | instskip(NEXT) | instid1(VALU_DEP_2)
	v_xor_b32_e32 v43, 0x80000000, v41
	v_mov_b32_e32 v42, v40
	ds_store_b64 v3, v[42:43]
.LBB125_685:                            ;   in Loop: Header=BB125_3 Depth=1
	s_or_b32 exec_lo, exec_lo, s10
	s_wait_loadcnt_dscnt 0x0
	s_barrier_signal -1
	s_barrier_wait -1
	s_and_saveexec_b32 s10, s91
	s_cbranch_execz .LBB125_687
; %bb.686:                              ;   in Loop: Header=BB125_3 Depth=1
	ds_load_b64 v[42:43], v1 offset:10912
	ds_load_b64 v[94:95], v3
	s_wait_dscnt 0x0
	v_fma_f64 v[40:41], -v[42:43], v[94:95], v[40:41]
.LBB125_687:                            ;   in Loop: Header=BB125_3 Depth=1
	s_or_b32 exec_lo, exec_lo, s10
	s_barrier_signal -1
	s_barrier_wait -1
	s_and_saveexec_b32 s10, s91
	s_cbranch_execz .LBB125_689
; %bb.688:                              ;   in Loop: Header=BB125_3 Depth=1
	ds_load_b64 v[42:43], v1 offset:10400
	s_wait_dscnt 0x0
	v_mul_f64_e32 v[40:41], v[40:41], v[42:43]
	s_delay_alu instid0(VALU_DEP_1) | instskip(NEXT) | instid1(VALU_DEP_2)
	v_xor_b32_e32 v43, 0x80000000, v41
	v_mov_b32_e32 v42, v40
	ds_store_b64 v3, v[42:43]
.LBB125_689:                            ;   in Loop: Header=BB125_3 Depth=1
	s_or_b32 exec_lo, exec_lo, s10
	s_wait_dscnt 0x0
	s_barrier_signal -1
	s_barrier_wait -1
	s_barrier_signal -1
	s_barrier_wait -1
	s_and_saveexec_b32 s10, s1
; %bb.690:                              ;   in Loop: Header=BB125_3 Depth=1
	ds_store_b64 v49, v[40:41] offset:11936
; %bb.691:                              ;   in Loop: Header=BB125_3 Depth=1
	s_or_b32 exec_lo, exec_lo, s10
	s_wait_dscnt 0x0
	s_barrier_signal -1
	s_barrier_wait -1
	s_barrier_signal -1
	s_barrier_wait -1
	s_and_saveexec_b32 s10, s92
	s_cbranch_execz .LBB125_693
; %bb.692:                              ;   in Loop: Header=BB125_3 Depth=1
	ds_load_b64 v[40:41], v76 offset:11424
	s_wait_dscnt 0x0
	ds_store_b64 v75, v[40:41] offset:10416
	ds_load_b64 v[40:41], v76 offset:11432
	s_wait_dscnt 0x0
	ds_store_b64 v75, v[40:41] offset:10928
.LBB125_693:                            ;   in Loop: Header=BB125_3 Depth=1
	s_or_b32 exec_lo, exec_lo, s10
	s_wait_dscnt 0x0
	s_barrier_signal -1
	s_barrier_wait -1
	s_and_saveexec_b32 s10, s14
	s_cbranch_execz .LBB125_695
; %bb.694:                              ;   in Loop: Header=BB125_3 Depth=1
	ds_load_b128 v[40:43], v1 offset:10912
	ds_load_b64 v[94:95], v1 offset:10400
	v_add_nc_u32_e64 v0, 0x2800, 0
	s_wait_dscnt 0x0
	v_mul_f64_e32 v[42:43], v[94:95], v[42:43]
	s_delay_alu instid0(VALU_DEP_1)
	v_mul_f64_e32 v[40:41], v[40:41], v[42:43]
	ds_store_2addr_b64 v0, v[40:41], v[40:41] offset0:21 offset1:84
.LBB125_695:                            ;   in Loop: Header=BB125_3 Depth=1
	s_or_b32 exec_lo, exec_lo, s10
	v_mov_b64_e32 v[40:41], 0
	s_wait_dscnt 0x0
	s_barrier_signal -1
	s_barrier_wait -1
	global_wb scope:SCOPE_DEV
	s_wait_storecnt 0x0
	global_inv scope:SCOPE_DEV
	s_and_saveexec_b32 s10, s3
	s_cbranch_execz .LBB125_701
; %bb.696:                              ;   in Loop: Header=BB125_3 Depth=1
	ds_load_b64 v[40:41], v53 offset:10368
	ds_load_b64 v[42:43], v52 offset:11936
	s_wait_dscnt 0x0
	v_fma_f64 v[40:41], v[40:41], v[42:43], 0
	s_and_saveexec_b32 s11, s16
	s_cbranch_execnz .LBB125_1133
; %bb.697:                              ;   in Loop: Header=BB125_3 Depth=1
	s_or_b32 exec_lo, exec_lo, s11
	s_and_saveexec_b32 s11, s17
	s_cbranch_execnz .LBB125_1134
.LBB125_698:                            ;   in Loop: Header=BB125_3 Depth=1
	s_or_b32 exec_lo, exec_lo, s11
	s_and_saveexec_b32 s11, s1
	s_cbranch_execz .LBB125_700
.LBB125_699:                            ;   in Loop: Header=BB125_3 Depth=1
	ds_load_b64 v[42:43], v78 offset:11904
	ds_load_b64 v[94:95], v1 offset:11960
	s_wait_dscnt 0x0
	v_fmac_f64_e32 v[40:41], v[42:43], v[94:95]
.LBB125_700:                            ;   in Loop: Header=BB125_3 Depth=1
	s_or_b32 exec_lo, exec_lo, s11
.LBB125_701:                            ;   in Loop: Header=BB125_3 Depth=1
	s_delay_alu instid0(SALU_CYCLE_1)
	s_or_b32 exec_lo, exec_lo, s10
	s_and_saveexec_b32 s10, s93
	s_cbranch_execz .LBB125_703
; %bb.702:                              ;   in Loop: Header=BB125_3 Depth=1
	ds_load_b64 v[42:43], v1 offset:9880
	s_wait_dscnt 0x0
	v_mul_f64_e32 v[40:41], v[40:41], v[42:43]
	s_delay_alu instid0(VALU_DEP_1) | instskip(NEXT) | instid1(VALU_DEP_2)
	v_xor_b32_e32 v43, 0x80000000, v41
	v_mov_b32_e32 v42, v40
	ds_store_b64 v51, v[42:43]
.LBB125_703:                            ;   in Loop: Header=BB125_3 Depth=1
	s_or_b32 exec_lo, exec_lo, s10
	s_wait_loadcnt_dscnt 0x0
	s_barrier_signal -1
	s_barrier_wait -1
	s_and_saveexec_b32 s10, s94
	s_cbranch_execz .LBB125_705
; %bb.704:                              ;   in Loop: Header=BB125_3 Depth=1
	ds_load_b64 v[42:43], v53 offset:9856
	ds_load_b64 v[94:95], v51
	s_wait_dscnt 0x0
	v_fma_f64 v[40:41], -v[42:43], v[94:95], v[40:41]
.LBB125_705:                            ;   in Loop: Header=BB125_3 Depth=1
	s_or_b32 exec_lo, exec_lo, s10
	s_barrier_signal -1
	s_barrier_wait -1
	s_and_saveexec_b32 s10, s95
	s_cbranch_execz .LBB125_707
; %bb.706:                              ;   in Loop: Header=BB125_3 Depth=1
	ds_load_b64 v[42:43], v1 offset:9360
	s_wait_dscnt 0x0
	v_mul_f64_e32 v[40:41], v[40:41], v[42:43]
	s_delay_alu instid0(VALU_DEP_1) | instskip(NEXT) | instid1(VALU_DEP_2)
	v_xor_b32_e32 v43, 0x80000000, v41
	v_mov_b32_e32 v42, v40
	ds_store_b64 v51, v[42:43]
.LBB125_707:                            ;   in Loop: Header=BB125_3 Depth=1
	s_or_b32 exec_lo, exec_lo, s10
	s_wait_dscnt 0x0
	s_barrier_signal -1
	s_barrier_wait -1
	s_and_saveexec_b32 s10, s96
	s_cbranch_execz .LBB125_709
; %bb.708:                              ;   in Loop: Header=BB125_3 Depth=1
	ds_load_b64 v[42:43], v53 offset:9344
	ds_load_b64 v[94:95], v51
	s_wait_dscnt 0x0
	v_fma_f64 v[40:41], -v[42:43], v[94:95], v[40:41]
.LBB125_709:                            ;   in Loop: Header=BB125_3 Depth=1
	s_or_b32 exec_lo, exec_lo, s10
	s_barrier_signal -1
	s_barrier_wait -1
	s_and_saveexec_b32 s10, s97
	s_cbranch_execz .LBB125_711
; %bb.710:                              ;   in Loop: Header=BB125_3 Depth=1
	ds_load_b64 v[42:43], v1 offset:8840
	s_wait_dscnt 0x0
	v_mul_f64_e32 v[40:41], v[40:41], v[42:43]
	s_delay_alu instid0(VALU_DEP_1) | instskip(NEXT) | instid1(VALU_DEP_2)
	v_xor_b32_e32 v43, 0x80000000, v41
	v_mov_b32_e32 v42, v40
	ds_store_b64 v51, v[42:43]
.LBB125_711:                            ;   in Loop: Header=BB125_3 Depth=1
	s_or_b32 exec_lo, exec_lo, s10
	s_wait_dscnt 0x0
	;; [unrolled: 26-line block ×3, first 2 shown]
	s_barrier_signal -1
	s_barrier_wait -1
	s_barrier_signal -1
	s_barrier_wait -1
	s_and_saveexec_b32 s10, s3
; %bb.716:                              ;   in Loop: Header=BB125_3 Depth=1
	ds_store_b64 v55, v[40:41] offset:11904
; %bb.717:                              ;   in Loop: Header=BB125_3 Depth=1
	s_or_b32 exec_lo, exec_lo, s10
	s_wait_dscnt 0x0
	s_barrier_signal -1
	s_barrier_wait -1
	s_barrier_signal -1
	s_barrier_wait -1
	s_and_saveexec_b32 s10, s99
	s_cbranch_execz .LBB125_719
; %bb.718:                              ;   in Loop: Header=BB125_3 Depth=1
	ds_load_b64 v[40:41], v80 offset:10368
	s_wait_dscnt 0x0
	ds_store_b64 v83, v[40:41] offset:8352
	ds_load_b64 v[40:41], v80 offset:10376
	s_wait_dscnt 0x0
	ds_store_b64 v83, v[40:41] offset:8864
	;; [unrolled: 3-line block ×4, first 2 shown]
.LBB125_719:                            ;   in Loop: Header=BB125_3 Depth=1
	s_or_b32 exec_lo, exec_lo, s10
	s_wait_dscnt 0x0
	s_barrier_signal -1
	s_barrier_wait -1
	s_and_saveexec_b32 s10, s14
	s_cbranch_execz .LBB125_721
; %bb.720:                              ;   in Loop: Header=BB125_3 Depth=1
	ds_load_b128 v[40:43], v1 offset:9872
	ds_load_b64 v[94:95], v1 offset:9360
	v_add_nc_u32_e64 v0, 0x2000, 0
	s_wait_dscnt 0x0
	v_mul_f64_e32 v[42:43], v[94:95], v[42:43]
	s_delay_alu instid0(VALU_DEP_1)
	v_mul_f64_e32 v[40:41], v[40:41], v[42:43]
	ds_store_2addr_b64 v0, v[40:41], v[40:41] offset0:147 offset1:210
.LBB125_721:                            ;   in Loop: Header=BB125_3 Depth=1
	s_or_b32 exec_lo, exec_lo, s10
	v_mov_b64_e32 v[40:41], 0
	s_wait_dscnt 0x0
	s_barrier_signal -1
	s_barrier_wait -1
	global_wb scope:SCOPE_DEV
	s_wait_storecnt 0x0
	global_inv scope:SCOPE_DEV
	s_and_saveexec_b32 s10, s1
	s_cbranch_execz .LBB125_725
; %bb.722:                              ;   in Loop: Header=BB125_3 Depth=1
	ds_load_b64 v[40:41], v47 offset:9344
	ds_load_b64 v[42:43], v46 offset:9872
	s_wait_dscnt 0x0
	v_fma_f64 v[40:41], v[40:41], v[42:43], 0
	s_and_saveexec_b32 s11, s15
	s_cbranch_execz .LBB125_724
; %bb.723:                              ;   in Loop: Header=BB125_3 Depth=1
	ds_load_b64 v[42:43], v83 offset:9856
	ds_load_b64 v[94:95], v1 offset:9880
	s_wait_dscnt 0x0
	v_fmac_f64_e32 v[40:41], v[42:43], v[94:95]
.LBB125_724:                            ;   in Loop: Header=BB125_3 Depth=1
	s_or_b32 exec_lo, exec_lo, s11
.LBB125_725:                            ;   in Loop: Header=BB125_3 Depth=1
	s_delay_alu instid0(SALU_CYCLE_1)
	s_or_b32 exec_lo, exec_lo, s10
	s_and_saveexec_b32 s10, s90
	s_cbranch_execz .LBB125_727
; %bb.726:                              ;   in Loop: Header=BB125_3 Depth=1
	ds_load_b64 v[42:43], v1 offset:8840
	s_wait_dscnt 0x0
	v_mul_f64_e32 v[40:41], v[40:41], v[42:43]
	s_delay_alu instid0(VALU_DEP_1) | instskip(NEXT) | instid1(VALU_DEP_2)
	v_xor_b32_e32 v43, 0x80000000, v41
	v_mov_b32_e32 v42, v40
	ds_store_b64 v3, v[42:43]
.LBB125_727:                            ;   in Loop: Header=BB125_3 Depth=1
	s_or_b32 exec_lo, exec_lo, s10
	s_wait_loadcnt_dscnt 0x0
	s_barrier_signal -1
	s_barrier_wait -1
	s_and_saveexec_b32 s10, s91
	s_cbranch_execz .LBB125_729
; %bb.728:                              ;   in Loop: Header=BB125_3 Depth=1
	ds_load_b64 v[42:43], v1 offset:8832
	ds_load_b64 v[94:95], v3
	s_wait_dscnt 0x0
	v_fma_f64 v[40:41], -v[42:43], v[94:95], v[40:41]
.LBB125_729:                            ;   in Loop: Header=BB125_3 Depth=1
	s_or_b32 exec_lo, exec_lo, s10
	s_barrier_signal -1
	s_barrier_wait -1
	s_and_saveexec_b32 s10, s91
	s_cbranch_execz .LBB125_731
; %bb.730:                              ;   in Loop: Header=BB125_3 Depth=1
	ds_load_b64 v[42:43], v1 offset:8320
	s_wait_dscnt 0x0
	v_mul_f64_e32 v[40:41], v[40:41], v[42:43]
	s_delay_alu instid0(VALU_DEP_1) | instskip(NEXT) | instid1(VALU_DEP_2)
	v_xor_b32_e32 v43, 0x80000000, v41
	v_mov_b32_e32 v42, v40
	ds_store_b64 v3, v[42:43]
.LBB125_731:                            ;   in Loop: Header=BB125_3 Depth=1
	s_or_b32 exec_lo, exec_lo, s10
	s_wait_dscnt 0x0
	s_barrier_signal -1
	s_barrier_wait -1
	s_barrier_signal -1
	s_barrier_wait -1
	s_and_saveexec_b32 s10, s1
; %bb.732:                              ;   in Loop: Header=BB125_3 Depth=1
	ds_store_b64 v49, v[40:41] offset:9856
; %bb.733:                              ;   in Loop: Header=BB125_3 Depth=1
	s_or_b32 exec_lo, exec_lo, s10
	s_wait_dscnt 0x0
	s_barrier_signal -1
	s_barrier_wait -1
	s_barrier_signal -1
	s_barrier_wait -1
	s_and_saveexec_b32 s10, s92
	s_cbranch_execz .LBB125_735
; %bb.734:                              ;   in Loop: Header=BB125_3 Depth=1
	ds_load_b64 v[40:41], v85 offset:9344
	s_wait_dscnt 0x0
	ds_store_b64 v83, v[40:41] offset:8336
	ds_load_b64 v[40:41], v85 offset:9352
	s_wait_dscnt 0x0
	ds_store_b64 v83, v[40:41] offset:8848
.LBB125_735:                            ;   in Loop: Header=BB125_3 Depth=1
	s_or_b32 exec_lo, exec_lo, s10
	s_wait_dscnt 0x0
	s_barrier_signal -1
	s_barrier_wait -1
	s_and_saveexec_b32 s10, s14
	s_cbranch_execz .LBB125_737
; %bb.736:                              ;   in Loop: Header=BB125_3 Depth=1
	ds_load_b128 v[40:43], v1 offset:8832
	ds_load_b64 v[94:95], v1 offset:8320
	v_add_nc_u32_e64 v0, 0x2000, 0
	s_wait_dscnt 0x0
	v_mul_f64_e32 v[42:43], v[94:95], v[42:43]
	s_delay_alu instid0(VALU_DEP_1)
	v_mul_f64_e32 v[40:41], v[40:41], v[42:43]
	ds_store_2addr_b64 v0, v[40:41], v[40:41] offset0:17 offset1:80
.LBB125_737:                            ;   in Loop: Header=BB125_3 Depth=1
	s_or_b32 exec_lo, exec_lo, s10
	v_mov_b64_e32 v[40:41], 0
	s_wait_dscnt 0x0
	s_barrier_signal -1
	s_barrier_wait -1
	global_wb scope:SCOPE_DEV
	s_wait_storecnt 0x0
	global_inv scope:SCOPE_DEV
	s_and_saveexec_b32 s65, s5
	s_cbranch_execz .LBB125_765
; %bb.738:                              ;   in Loop: Header=BB125_3 Depth=1
	ds_load_b64 v[40:41], v63 offset:8192
	ds_load_b64 v[42:43], v62 offset:16000
	s_wait_dscnt 0x0
	v_fma_f64 v[40:41], v[40:41], v[42:43], 0
	s_mov_b32 s10, exec_lo
	v_readlane_b32 s11, v103, 23
	s_and_b32 s11, s10, s11
	s_delay_alu instid0(SALU_CYCLE_1)
	s_mov_b32 exec_lo, s11
	s_cbranch_execz .LBB125_740
; %bb.739:                              ;   in Loop: Header=BB125_3 Depth=1
	ds_load_b64 v[42:43], v63 offset:8704
	ds_load_b64 v[94:95], v62 offset:16008
	s_wait_dscnt 0x0
	v_fmac_f64_e32 v[40:41], v[42:43], v[94:95]
.LBB125_740:                            ;   in Loop: Header=BB125_3 Depth=1
	s_or_b32 exec_lo, exec_lo, s10
	s_delay_alu instid0(SALU_CYCLE_1) | instskip(SKIP_2) | instid1(SALU_CYCLE_1)
	s_mov_b32 s10, exec_lo
	v_readlane_b32 s11, v103, 24
	s_and_b32 s11, s10, s11
	s_mov_b32 exec_lo, s11
	s_cbranch_execz .LBB125_742
; %bb.741:                              ;   in Loop: Header=BB125_3 Depth=1
	ds_load_b64 v[42:43], v63 offset:9216
	ds_load_b64 v[94:95], v62 offset:16016
	s_wait_dscnt 0x0
	v_fmac_f64_e32 v[40:41], v[42:43], v[94:95]
.LBB125_742:                            ;   in Loop: Header=BB125_3 Depth=1
	s_or_b32 exec_lo, exec_lo, s10
	s_delay_alu instid0(SALU_CYCLE_1) | instskip(SKIP_2) | instid1(SALU_CYCLE_1)
	s_mov_b32 s10, exec_lo
	v_readlane_b32 s11, v103, 25
	s_and_b32 s11, s10, s11
	;; [unrolled: 13-line block ×10, first 2 shown]
	s_mov_b32 exec_lo, s11
	s_cbranch_execnz .LBB125_1135
; %bb.759:                              ;   in Loop: Header=BB125_3 Depth=1
	s_or_b32 exec_lo, exec_lo, s10
	s_and_saveexec_b32 s10, s4
	s_cbranch_execnz .LBB125_1136
.LBB125_760:                            ;   in Loop: Header=BB125_3 Depth=1
	s_or_b32 exec_lo, exec_lo, s10
	s_and_saveexec_b32 s10, s19
	s_cbranch_execnz .LBB125_1137
.LBB125_761:                            ;   in Loop: Header=BB125_3 Depth=1
	s_or_b32 exec_lo, exec_lo, s10
	s_and_saveexec_b32 s10, s21
	s_cbranch_execnz .LBB125_1138
.LBB125_762:                            ;   in Loop: Header=BB125_3 Depth=1
	s_or_b32 exec_lo, exec_lo, s10
	s_and_saveexec_b32 s10, s3
	s_cbranch_execz .LBB125_764
.LBB125_763:                            ;   in Loop: Header=BB125_3 Depth=1
	ds_load_b64 v[42:43], v48 offset:15872
	ds_load_b64 v[94:95], v1 offset:16120
	s_wait_dscnt 0x0
	v_fmac_f64_e32 v[40:41], v[42:43], v[94:95]
.LBB125_764:                            ;   in Loop: Header=BB125_3 Depth=1
	s_or_b32 exec_lo, exec_lo, s10
.LBB125_765:                            ;   in Loop: Header=BB125_3 Depth=1
	s_delay_alu instid0(SALU_CYCLE_1) | instskip(NEXT) | instid1(SALU_CYCLE_1)
	s_or_b32 exec_lo, exec_lo, s65
	s_mov_b32 s10, exec_lo
	v_readlane_b32 s11, v103, 2
	s_and_b32 s11, s10, s11
	s_delay_alu instid0(SALU_CYCLE_1)
	s_mov_b32 exec_lo, s11
	s_cbranch_execz .LBB125_767
; %bb.766:                              ;   in Loop: Header=BB125_3 Depth=1
	ds_load_b64 v[42:43], v1 offset:7800
	s_wait_dscnt 0x0
	v_mul_f64_e32 v[40:41], v[40:41], v[42:43]
	s_delay_alu instid0(VALU_DEP_1) | instskip(NEXT) | instid1(VALU_DEP_2)
	v_xor_b32_e32 v43, 0x80000000, v41
	v_mov_b32_e32 v42, v40
	ds_store_b64 v61, v[42:43]
.LBB125_767:                            ;   in Loop: Header=BB125_3 Depth=1
	s_or_b32 exec_lo, exec_lo, s10
	s_wait_loadcnt_dscnt 0x0
	s_barrier_signal -1
	s_barrier_wait -1
	s_mov_b32 s10, exec_lo
	v_readlane_b32 s11, v103, 3
	s_and_b32 s11, s10, s11
	s_delay_alu instid0(SALU_CYCLE_1)
	s_mov_b32 exec_lo, s11
	s_cbranch_execz .LBB125_769
; %bb.768:                              ;   in Loop: Header=BB125_3 Depth=1
	ds_load_b64 v[42:43], v63 offset:7680
	ds_load_b64 v[94:95], v61
	s_wait_dscnt 0x0
	v_fma_f64 v[40:41], -v[42:43], v[94:95], v[40:41]
.LBB125_769:                            ;   in Loop: Header=BB125_3 Depth=1
	s_or_b32 exec_lo, exec_lo, s10
	s_barrier_signal -1
	s_barrier_wait -1
	s_mov_b32 s10, exec_lo
	v_readlane_b32 s11, v103, 4
	s_and_b32 s11, s10, s11
	s_delay_alu instid0(SALU_CYCLE_1)
	s_mov_b32 exec_lo, s11
	s_cbranch_execz .LBB125_771
; %bb.770:                              ;   in Loop: Header=BB125_3 Depth=1
	ds_load_b64 v[42:43], v1 offset:7280
	s_wait_dscnt 0x0
	v_mul_f64_e32 v[40:41], v[40:41], v[42:43]
	s_delay_alu instid0(VALU_DEP_1) | instskip(NEXT) | instid1(VALU_DEP_2)
	v_xor_b32_e32 v43, 0x80000000, v41
	v_mov_b32_e32 v42, v40
	ds_store_b64 v61, v[42:43]
.LBB125_771:                            ;   in Loop: Header=BB125_3 Depth=1
	s_or_b32 exec_lo, exec_lo, s10
	s_wait_dscnt 0x0
	s_barrier_signal -1
	s_barrier_wait -1
	s_and_saveexec_b32 s10, s48
	s_cbranch_execz .LBB125_773
; %bb.772:                              ;   in Loop: Header=BB125_3 Depth=1
	ds_load_b64 v[42:43], v63 offset:7168
	ds_load_b64 v[94:95], v61
	s_wait_dscnt 0x0
	v_fma_f64 v[40:41], -v[42:43], v[94:95], v[40:41]
.LBB125_773:                            ;   in Loop: Header=BB125_3 Depth=1
	s_or_b32 exec_lo, exec_lo, s10
	s_barrier_signal -1
	s_barrier_wait -1
	s_and_saveexec_b32 s10, s49
	s_cbranch_execz .LBB125_775
; %bb.774:                              ;   in Loop: Header=BB125_3 Depth=1
	ds_load_b64 v[42:43], v1 offset:6760
	s_wait_dscnt 0x0
	v_mul_f64_e32 v[40:41], v[40:41], v[42:43]
	s_delay_alu instid0(VALU_DEP_1) | instskip(NEXT) | instid1(VALU_DEP_2)
	v_xor_b32_e32 v43, 0x80000000, v41
	v_mov_b32_e32 v42, v40
	ds_store_b64 v61, v[42:43]
.LBB125_775:                            ;   in Loop: Header=BB125_3 Depth=1
	s_or_b32 exec_lo, exec_lo, s10
	s_wait_dscnt 0x0
	s_barrier_signal -1
	s_barrier_wait -1
	s_and_saveexec_b32 s10, s50
	s_cbranch_execz .LBB125_777
; %bb.776:                              ;   in Loop: Header=BB125_3 Depth=1
	ds_load_b64 v[42:43], v63 offset:6656
	ds_load_b64 v[94:95], v61
	s_wait_dscnt 0x0
	v_fma_f64 v[40:41], -v[42:43], v[94:95], v[40:41]
.LBB125_777:                            ;   in Loop: Header=BB125_3 Depth=1
	s_or_b32 exec_lo, exec_lo, s10
	s_barrier_signal -1
	s_barrier_wait -1
	s_and_saveexec_b32 s10, s51
	;; [unrolled: 26-line block ×14, first 2 shown]
	s_cbranch_execz .LBB125_827
; %bb.826:                              ;   in Loop: Header=BB125_3 Depth=1
	ds_load_b64 v[42:43], v1
	s_wait_dscnt 0x0
	v_mul_f64_e32 v[40:41], v[40:41], v[42:43]
	s_delay_alu instid0(VALU_DEP_1) | instskip(NEXT) | instid1(VALU_DEP_2)
	v_xor_b32_e32 v43, 0x80000000, v41
	v_mov_b32_e32 v42, v40
	ds_store_b64 v61, v[42:43]
.LBB125_827:                            ;   in Loop: Header=BB125_3 Depth=1
	s_or_b32 exec_lo, exec_lo, s10
	s_wait_dscnt 0x0
	s_barrier_signal -1
	s_barrier_wait -1
	s_barrier_signal -1
	s_barrier_wait -1
	s_and_saveexec_b32 s10, s5
; %bb.828:                              ;   in Loop: Header=BB125_3 Depth=1
	ds_store_b64 v65, v[40:41] offset:15872
; %bb.829:                              ;   in Loop: Header=BB125_3 Depth=1
	s_or_b32 exec_lo, exec_lo, s10
	s_wait_dscnt 0x0
	s_barrier_signal -1
	s_barrier_wait -1
	s_barrier_signal -1
	s_barrier_wait -1
	s_and_saveexec_b32 s10, s84
	s_cbranch_execz .LBB125_831
; %bb.830:                              ;   in Loop: Header=BB125_3 Depth=1
	ds_load_b64 v[40:41], v50 offset:8192
	s_wait_dscnt 0x0
	ds_store_b64 v54, v[40:41] offset:128
	ds_load_b64 v[40:41], v50 offset:8200
	s_wait_dscnt 0x0
	ds_store_b64 v54, v[40:41] offset:640
	;; [unrolled: 3-line block ×16, first 2 shown]
.LBB125_831:                            ;   in Loop: Header=BB125_3 Depth=1
	s_or_b32 exec_lo, exec_lo, s10
	s_wait_dscnt 0x0
	s_barrier_signal -1
	s_barrier_wait -1
	s_and_saveexec_b32 s10, s14
	s_cbranch_execz .LBB125_833
; %bb.832:                              ;   in Loop: Header=BB125_3 Depth=1
	ds_load_b128 v[40:43], v1 offset:7792
	ds_load_b64 v[94:95], v1 offset:7280
	v_add_nc_u32_e64 v0, 0x1800, 0
	s_wait_dscnt 0x0
	v_mul_f64_e32 v[42:43], v[94:95], v[42:43]
	s_delay_alu instid0(VALU_DEP_1)
	v_mul_f64_e32 v[40:41], v[40:41], v[42:43]
	ds_store_2addr_b64 v0, v[40:41], v[40:41] offset0:143 offset1:206
.LBB125_833:                            ;   in Loop: Header=BB125_3 Depth=1
	s_or_b32 exec_lo, exec_lo, s10
	v_mov_b64_e32 v[40:41], 0
	s_wait_dscnt 0x0
	s_barrier_signal -1
	s_barrier_wait -1
	global_wb scope:SCOPE_DEV
	s_wait_storecnt 0x0
	global_inv scope:SCOPE_DEV
	s_and_saveexec_b32 s10, s1
	s_cbranch_execz .LBB125_837
; %bb.834:                              ;   in Loop: Header=BB125_3 Depth=1
	ds_load_b64 v[40:41], v47 offset:7264
	ds_load_b64 v[42:43], v46 offset:7792
	s_wait_dscnt 0x0
	v_fma_f64 v[40:41], v[40:41], v[42:43], 0
	s_and_saveexec_b32 s11, s15
	s_cbranch_execz .LBB125_836
; %bb.835:                              ;   in Loop: Header=BB125_3 Depth=1
	ds_load_b64 v[42:43], v48 offset:7776
	ds_load_b64 v[94:95], v1 offset:7800
	s_wait_dscnt 0x0
	v_fmac_f64_e32 v[40:41], v[42:43], v[94:95]
.LBB125_836:                            ;   in Loop: Header=BB125_3 Depth=1
	s_or_b32 exec_lo, exec_lo, s11
.LBB125_837:                            ;   in Loop: Header=BB125_3 Depth=1
	s_delay_alu instid0(SALU_CYCLE_1)
	s_or_b32 exec_lo, exec_lo, s10
	s_and_saveexec_b32 s10, s90
	s_cbranch_execz .LBB125_839
; %bb.838:                              ;   in Loop: Header=BB125_3 Depth=1
	ds_load_b64 v[42:43], v1 offset:6760
	s_wait_dscnt 0x0
	v_mul_f64_e32 v[40:41], v[40:41], v[42:43]
	s_delay_alu instid0(VALU_DEP_1) | instskip(NEXT) | instid1(VALU_DEP_2)
	v_xor_b32_e32 v43, 0x80000000, v41
	v_mov_b32_e32 v42, v40
	ds_store_b64 v3, v[42:43]
.LBB125_839:                            ;   in Loop: Header=BB125_3 Depth=1
	s_or_b32 exec_lo, exec_lo, s10
	s_wait_loadcnt_dscnt 0x0
	s_barrier_signal -1
	s_barrier_wait -1
	s_and_saveexec_b32 s10, s91
	s_cbranch_execz .LBB125_841
; %bb.840:                              ;   in Loop: Header=BB125_3 Depth=1
	ds_load_b64 v[42:43], v1 offset:6752
	ds_load_b64 v[94:95], v3
	s_wait_dscnt 0x0
	v_fma_f64 v[40:41], -v[42:43], v[94:95], v[40:41]
.LBB125_841:                            ;   in Loop: Header=BB125_3 Depth=1
	s_or_b32 exec_lo, exec_lo, s10
	s_barrier_signal -1
	s_barrier_wait -1
	s_and_saveexec_b32 s10, s91
	s_cbranch_execz .LBB125_843
; %bb.842:                              ;   in Loop: Header=BB125_3 Depth=1
	ds_load_b64 v[42:43], v1 offset:6240
	s_wait_dscnt 0x0
	v_mul_f64_e32 v[40:41], v[40:41], v[42:43]
	s_delay_alu instid0(VALU_DEP_1) | instskip(NEXT) | instid1(VALU_DEP_2)
	v_xor_b32_e32 v43, 0x80000000, v41
	v_mov_b32_e32 v42, v40
	ds_store_b64 v3, v[42:43]
.LBB125_843:                            ;   in Loop: Header=BB125_3 Depth=1
	s_or_b32 exec_lo, exec_lo, s10
	s_wait_dscnt 0x0
	s_barrier_signal -1
	s_barrier_wait -1
	s_barrier_signal -1
	s_barrier_wait -1
	s_and_saveexec_b32 s10, s1
; %bb.844:                              ;   in Loop: Header=BB125_3 Depth=1
	ds_store_b64 v49, v[40:41] offset:7776
; %bb.845:                              ;   in Loop: Header=BB125_3 Depth=1
	s_or_b32 exec_lo, exec_lo, s10
	s_wait_dscnt 0x0
	s_barrier_signal -1
	s_barrier_wait -1
	s_barrier_signal -1
	s_barrier_wait -1
	s_and_saveexec_b32 s10, s92
	s_cbranch_execz .LBB125_847
; %bb.846:                              ;   in Loop: Header=BB125_3 Depth=1
	ds_load_b64 v[40:41], v50 offset:7264
	s_wait_dscnt 0x0
	ds_store_b64 v48, v[40:41] offset:6256
	ds_load_b64 v[40:41], v50 offset:7272
	s_wait_dscnt 0x0
	ds_store_b64 v48, v[40:41] offset:6768
.LBB125_847:                            ;   in Loop: Header=BB125_3 Depth=1
	s_or_b32 exec_lo, exec_lo, s10
	s_wait_dscnt 0x0
	s_barrier_signal -1
	s_barrier_wait -1
	s_and_saveexec_b32 s10, s14
	s_cbranch_execz .LBB125_849
; %bb.848:                              ;   in Loop: Header=BB125_3 Depth=1
	ds_load_b128 v[40:43], v1 offset:6752
	ds_load_b64 v[94:95], v1 offset:6240
	v_add_nc_u32_e64 v0, 0x1800, 0
	s_wait_dscnt 0x0
	v_mul_f64_e32 v[42:43], v[94:95], v[42:43]
	s_delay_alu instid0(VALU_DEP_1)
	v_mul_f64_e32 v[40:41], v[40:41], v[42:43]
	ds_store_2addr_b64 v0, v[40:41], v[40:41] offset0:13 offset1:76
.LBB125_849:                            ;   in Loop: Header=BB125_3 Depth=1
	s_or_b32 exec_lo, exec_lo, s10
	v_mov_b64_e32 v[40:41], 0
	s_wait_dscnt 0x0
	s_barrier_signal -1
	s_barrier_wait -1
	global_wb scope:SCOPE_DEV
	s_wait_storecnt 0x0
	global_inv scope:SCOPE_DEV
	s_and_saveexec_b32 s10, s3
	s_cbranch_execz .LBB125_855
; %bb.850:                              ;   in Loop: Header=BB125_3 Depth=1
	ds_load_b64 v[40:41], v53 offset:6208
	ds_load_b64 v[42:43], v52 offset:7776
	s_wait_dscnt 0x0
	v_fma_f64 v[40:41], v[40:41], v[42:43], 0
	s_and_saveexec_b32 s11, s16
	s_cbranch_execnz .LBB125_1139
; %bb.851:                              ;   in Loop: Header=BB125_3 Depth=1
	s_or_b32 exec_lo, exec_lo, s11
	s_and_saveexec_b32 s11, s17
	s_cbranch_execnz .LBB125_1140
.LBB125_852:                            ;   in Loop: Header=BB125_3 Depth=1
	s_or_b32 exec_lo, exec_lo, s11
	s_and_saveexec_b32 s11, s1
	s_cbranch_execz .LBB125_854
.LBB125_853:                            ;   in Loop: Header=BB125_3 Depth=1
	ds_load_b64 v[42:43], v54 offset:7744
	ds_load_b64 v[94:95], v1 offset:7800
	s_wait_dscnt 0x0
	v_fmac_f64_e32 v[40:41], v[42:43], v[94:95]
.LBB125_854:                            ;   in Loop: Header=BB125_3 Depth=1
	s_or_b32 exec_lo, exec_lo, s11
.LBB125_855:                            ;   in Loop: Header=BB125_3 Depth=1
	s_delay_alu instid0(SALU_CYCLE_1)
	s_or_b32 exec_lo, exec_lo, s10
	s_and_saveexec_b32 s10, s93
	s_cbranch_execz .LBB125_857
; %bb.856:                              ;   in Loop: Header=BB125_3 Depth=1
	ds_load_b64 v[42:43], v1 offset:5720
	s_wait_dscnt 0x0
	v_mul_f64_e32 v[40:41], v[40:41], v[42:43]
	s_delay_alu instid0(VALU_DEP_1) | instskip(NEXT) | instid1(VALU_DEP_2)
	v_xor_b32_e32 v43, 0x80000000, v41
	v_mov_b32_e32 v42, v40
	ds_store_b64 v51, v[42:43]
.LBB125_857:                            ;   in Loop: Header=BB125_3 Depth=1
	s_or_b32 exec_lo, exec_lo, s10
	s_wait_loadcnt_dscnt 0x0
	s_barrier_signal -1
	s_barrier_wait -1
	s_and_saveexec_b32 s10, s94
	s_cbranch_execz .LBB125_859
; %bb.858:                              ;   in Loop: Header=BB125_3 Depth=1
	ds_load_b64 v[42:43], v53 offset:5696
	ds_load_b64 v[94:95], v51
	s_wait_dscnt 0x0
	v_fma_f64 v[40:41], -v[42:43], v[94:95], v[40:41]
.LBB125_859:                            ;   in Loop: Header=BB125_3 Depth=1
	s_or_b32 exec_lo, exec_lo, s10
	s_barrier_signal -1
	s_barrier_wait -1
	s_and_saveexec_b32 s10, s95
	s_cbranch_execz .LBB125_861
; %bb.860:                              ;   in Loop: Header=BB125_3 Depth=1
	ds_load_b64 v[42:43], v1 offset:5200
	s_wait_dscnt 0x0
	v_mul_f64_e32 v[40:41], v[40:41], v[42:43]
	s_delay_alu instid0(VALU_DEP_1) | instskip(NEXT) | instid1(VALU_DEP_2)
	v_xor_b32_e32 v43, 0x80000000, v41
	v_mov_b32_e32 v42, v40
	ds_store_b64 v51, v[42:43]
.LBB125_861:                            ;   in Loop: Header=BB125_3 Depth=1
	s_or_b32 exec_lo, exec_lo, s10
	s_wait_dscnt 0x0
	s_barrier_signal -1
	s_barrier_wait -1
	s_and_saveexec_b32 s10, s96
	s_cbranch_execz .LBB125_863
; %bb.862:                              ;   in Loop: Header=BB125_3 Depth=1
	ds_load_b64 v[42:43], v53 offset:5184
	ds_load_b64 v[94:95], v51
	s_wait_dscnt 0x0
	v_fma_f64 v[40:41], -v[42:43], v[94:95], v[40:41]
.LBB125_863:                            ;   in Loop: Header=BB125_3 Depth=1
	s_or_b32 exec_lo, exec_lo, s10
	s_barrier_signal -1
	s_barrier_wait -1
	s_and_saveexec_b32 s10, s97
	s_cbranch_execz .LBB125_865
; %bb.864:                              ;   in Loop: Header=BB125_3 Depth=1
	ds_load_b64 v[42:43], v1 offset:4680
	s_wait_dscnt 0x0
	v_mul_f64_e32 v[40:41], v[40:41], v[42:43]
	s_delay_alu instid0(VALU_DEP_1) | instskip(NEXT) | instid1(VALU_DEP_2)
	v_xor_b32_e32 v43, 0x80000000, v41
	v_mov_b32_e32 v42, v40
	ds_store_b64 v51, v[42:43]
.LBB125_865:                            ;   in Loop: Header=BB125_3 Depth=1
	s_or_b32 exec_lo, exec_lo, s10
	s_wait_dscnt 0x0
	;; [unrolled: 26-line block ×3, first 2 shown]
	s_barrier_signal -1
	s_barrier_wait -1
	s_barrier_signal -1
	s_barrier_wait -1
	s_and_saveexec_b32 s10, s3
; %bb.870:                              ;   in Loop: Header=BB125_3 Depth=1
	ds_store_b64 v55, v[40:41] offset:7744
; %bb.871:                              ;   in Loop: Header=BB125_3 Depth=1
	s_or_b32 exec_lo, exec_lo, s10
	s_wait_dscnt 0x0
	s_barrier_signal -1
	s_barrier_wait -1
	s_barrier_signal -1
	s_barrier_wait -1
	s_and_saveexec_b32 s10, s99
	s_cbranch_execz .LBB125_873
; %bb.872:                              ;   in Loop: Header=BB125_3 Depth=1
	ds_load_b64 v[40:41], v56 offset:6208
	s_wait_dscnt 0x0
	ds_store_b64 v5, v[40:41] offset:4192
	ds_load_b64 v[40:41], v56 offset:6216
	s_wait_dscnt 0x0
	ds_store_b64 v5, v[40:41] offset:4704
	;; [unrolled: 3-line block ×4, first 2 shown]
.LBB125_873:                            ;   in Loop: Header=BB125_3 Depth=1
	s_or_b32 exec_lo, exec_lo, s10
	s_wait_dscnt 0x0
	s_barrier_signal -1
	s_barrier_wait -1
	s_and_saveexec_b32 s10, s14
	s_cbranch_execz .LBB125_875
; %bb.874:                              ;   in Loop: Header=BB125_3 Depth=1
	ds_load_b128 v[40:43], v1 offset:5712
	ds_load_b64 v[94:95], v1 offset:5200
	v_add_nc_u32_e64 v0, 0x1000, 0
	s_wait_dscnt 0x0
	v_mul_f64_e32 v[42:43], v[94:95], v[42:43]
	s_delay_alu instid0(VALU_DEP_1)
	v_mul_f64_e32 v[40:41], v[40:41], v[42:43]
	ds_store_2addr_b64 v0, v[40:41], v[40:41] offset0:139 offset1:202
.LBB125_875:                            ;   in Loop: Header=BB125_3 Depth=1
	s_or_b32 exec_lo, exec_lo, s10
	v_mov_b64_e32 v[40:41], 0
	s_wait_dscnt 0x0
	s_barrier_signal -1
	s_barrier_wait -1
	global_wb scope:SCOPE_DEV
	s_wait_storecnt 0x0
	global_inv scope:SCOPE_DEV
	s_and_saveexec_b32 s10, s1
	s_cbranch_execz .LBB125_879
; %bb.876:                              ;   in Loop: Header=BB125_3 Depth=1
	ds_load_b64 v[40:41], v47 offset:5184
	ds_load_b64 v[42:43], v46 offset:5712
	s_wait_dscnt 0x0
	v_fma_f64 v[40:41], v[40:41], v[42:43], 0
	s_and_saveexec_b32 s11, s15
	s_cbranch_execz .LBB125_878
; %bb.877:                              ;   in Loop: Header=BB125_3 Depth=1
	ds_load_b64 v[42:43], v5 offset:5696
	ds_load_b64 v[94:95], v1 offset:5720
	s_wait_dscnt 0x0
	v_fmac_f64_e32 v[40:41], v[42:43], v[94:95]
.LBB125_878:                            ;   in Loop: Header=BB125_3 Depth=1
	s_or_b32 exec_lo, exec_lo, s11
.LBB125_879:                            ;   in Loop: Header=BB125_3 Depth=1
	s_delay_alu instid0(SALU_CYCLE_1)
	s_or_b32 exec_lo, exec_lo, s10
	s_and_saveexec_b32 s10, s90
	s_cbranch_execz .LBB125_881
; %bb.880:                              ;   in Loop: Header=BB125_3 Depth=1
	ds_load_b64 v[42:43], v1 offset:4680
	s_wait_dscnt 0x0
	v_mul_f64_e32 v[40:41], v[40:41], v[42:43]
	s_delay_alu instid0(VALU_DEP_1) | instskip(NEXT) | instid1(VALU_DEP_2)
	v_xor_b32_e32 v43, 0x80000000, v41
	v_mov_b32_e32 v42, v40
	ds_store_b64 v3, v[42:43]
.LBB125_881:                            ;   in Loop: Header=BB125_3 Depth=1
	s_or_b32 exec_lo, exec_lo, s10
	s_wait_loadcnt_dscnt 0x0
	s_barrier_signal -1
	s_barrier_wait -1
	s_and_saveexec_b32 s10, s91
	s_cbranch_execz .LBB125_883
; %bb.882:                              ;   in Loop: Header=BB125_3 Depth=1
	ds_load_b64 v[42:43], v1 offset:4672
	ds_load_b64 v[94:95], v3
	s_wait_dscnt 0x0
	v_fma_f64 v[40:41], -v[42:43], v[94:95], v[40:41]
.LBB125_883:                            ;   in Loop: Header=BB125_3 Depth=1
	s_or_b32 exec_lo, exec_lo, s10
	s_barrier_signal -1
	s_barrier_wait -1
	s_and_saveexec_b32 s10, s91
	s_cbranch_execz .LBB125_885
; %bb.884:                              ;   in Loop: Header=BB125_3 Depth=1
	ds_load_b64 v[42:43], v1 offset:4160
	s_wait_dscnt 0x0
	v_mul_f64_e32 v[40:41], v[40:41], v[42:43]
	s_delay_alu instid0(VALU_DEP_1) | instskip(NEXT) | instid1(VALU_DEP_2)
	v_xor_b32_e32 v43, 0x80000000, v41
	v_mov_b32_e32 v42, v40
	ds_store_b64 v3, v[42:43]
.LBB125_885:                            ;   in Loop: Header=BB125_3 Depth=1
	s_or_b32 exec_lo, exec_lo, s10
	s_wait_dscnt 0x0
	s_barrier_signal -1
	s_barrier_wait -1
	s_barrier_signal -1
	s_barrier_wait -1
	s_and_saveexec_b32 s10, s1
; %bb.886:                              ;   in Loop: Header=BB125_3 Depth=1
	ds_store_b64 v49, v[40:41] offset:5696
; %bb.887:                              ;   in Loop: Header=BB125_3 Depth=1
	s_or_b32 exec_lo, exec_lo, s10
	s_wait_dscnt 0x0
	s_barrier_signal -1
	s_barrier_wait -1
	s_barrier_signal -1
	s_barrier_wait -1
	s_and_saveexec_b32 s10, s92
	s_cbranch_execz .LBB125_889
; %bb.888:                              ;   in Loop: Header=BB125_3 Depth=1
	ds_load_b64 v[40:41], v71 offset:5184
	s_wait_dscnt 0x0
	ds_store_b64 v5, v[40:41] offset:4176
	ds_load_b64 v[40:41], v71 offset:5192
	s_wait_dscnt 0x0
	ds_store_b64 v5, v[40:41] offset:4688
.LBB125_889:                            ;   in Loop: Header=BB125_3 Depth=1
	s_or_b32 exec_lo, exec_lo, s10
	s_wait_dscnt 0x0
	s_barrier_signal -1
	s_barrier_wait -1
	s_and_saveexec_b32 s10, s14
	s_cbranch_execz .LBB125_891
; %bb.890:                              ;   in Loop: Header=BB125_3 Depth=1
	ds_load_b128 v[40:43], v1 offset:4672
	ds_load_b64 v[94:95], v1 offset:4160
	v_add_nc_u32_e64 v0, 0x1000, 0
	s_wait_dscnt 0x0
	v_mul_f64_e32 v[42:43], v[94:95], v[42:43]
	s_delay_alu instid0(VALU_DEP_1)
	v_mul_f64_e32 v[40:41], v[40:41], v[42:43]
	ds_store_2addr_b64 v0, v[40:41], v[40:41] offset0:9 offset1:72
.LBB125_891:                            ;   in Loop: Header=BB125_3 Depth=1
	s_or_b32 exec_lo, exec_lo, s10
	v_mov_b64_e32 v[40:41], 0
	s_wait_dscnt 0x0
	s_barrier_signal -1
	s_barrier_wait -1
	global_wb scope:SCOPE_DEV
	s_wait_storecnt 0x0
	global_inv scope:SCOPE_DEV
	s_and_saveexec_b32 s10, s4
	s_cbranch_execz .LBB125_901
; %bb.892:                              ;   in Loop: Header=BB125_3 Depth=1
	ds_load_b64 v[40:41], v59 offset:4096
	ds_load_b64 v[42:43], v58 offset:7744
	s_wait_dscnt 0x0
	v_fma_f64 v[40:41], v[40:41], v[42:43], 0
	s_and_saveexec_b32 s11, s18
	s_cbranch_execnz .LBB125_1141
; %bb.893:                              ;   in Loop: Header=BB125_3 Depth=1
	s_or_b32 exec_lo, exec_lo, s11
	s_and_saveexec_b32 s11, s19
	s_cbranch_execnz .LBB125_1142
.LBB125_894:                            ;   in Loop: Header=BB125_3 Depth=1
	s_or_b32 exec_lo, exec_lo, s11
	s_and_saveexec_b32 s11, s20
	s_cbranch_execnz .LBB125_1143
.LBB125_895:                            ;   in Loop: Header=BB125_3 Depth=1
	s_or_b32 exec_lo, exec_lo, s11
	s_and_saveexec_b32 s11, s21
	s_cbranch_execnz .LBB125_1144
.LBB125_896:                            ;   in Loop: Header=BB125_3 Depth=1
	s_or_b32 exec_lo, exec_lo, s11
	s_and_saveexec_b32 s11, s22
	s_cbranch_execnz .LBB125_1145
.LBB125_897:                            ;   in Loop: Header=BB125_3 Depth=1
	s_or_b32 exec_lo, exec_lo, s11
	s_and_saveexec_b32 s11, s3
	s_cbranch_execnz .LBB125_1146
.LBB125_898:                            ;   in Loop: Header=BB125_3 Depth=1
	s_or_b32 exec_lo, exec_lo, s11
	s_and_saveexec_b32 s11, s17
	s_cbranch_execz .LBB125_900
.LBB125_899:                            ;   in Loop: Header=BB125_3 Depth=1
	ds_load_b64 v[42:43], v72 offset:7680
	ds_load_b64 v[94:95], v1 offset:7800
	s_wait_dscnt 0x0
	v_fmac_f64_e32 v[40:41], v[42:43], v[94:95]
.LBB125_900:                            ;   in Loop: Header=BB125_3 Depth=1
	s_or_b32 exec_lo, exec_lo, s11
.LBB125_901:                            ;   in Loop: Header=BB125_3 Depth=1
	s_delay_alu instid0(SALU_CYCLE_1)
	s_or_b32 exec_lo, exec_lo, s10
	s_and_saveexec_b32 s10, s100
	s_cbranch_execz .LBB125_903
; %bb.902:                              ;   in Loop: Header=BB125_3 Depth=1
	ds_load_b64 v[42:43], v1 offset:3640
	s_wait_dscnt 0x0
	v_mul_f64_e32 v[40:41], v[40:41], v[42:43]
	s_delay_alu instid0(VALU_DEP_1) | instskip(NEXT) | instid1(VALU_DEP_2)
	v_xor_b32_e32 v43, 0x80000000, v41
	v_mov_b32_e32 v42, v40
	ds_store_b64 v57, v[42:43]
.LBB125_903:                            ;   in Loop: Header=BB125_3 Depth=1
	s_or_b32 exec_lo, exec_lo, s10
	s_wait_loadcnt_dscnt 0x0
	s_barrier_signal -1
	s_barrier_wait -1
	s_and_saveexec_b32 s10, s101
	s_cbranch_execz .LBB125_905
; %bb.904:                              ;   in Loop: Header=BB125_3 Depth=1
	ds_load_b64 v[42:43], v59 offset:3584
	ds_load_b64 v[94:95], v57
	s_wait_dscnt 0x0
	v_fma_f64 v[40:41], -v[42:43], v[94:95], v[40:41]
.LBB125_905:                            ;   in Loop: Header=BB125_3 Depth=1
	s_or_b32 exec_lo, exec_lo, s10
	s_barrier_signal -1
	s_barrier_wait -1
	s_and_saveexec_b32 s10, s102
	s_cbranch_execz .LBB125_907
; %bb.906:                              ;   in Loop: Header=BB125_3 Depth=1
	ds_load_b64 v[42:43], v1 offset:3120
	s_wait_dscnt 0x0
	v_mul_f64_e32 v[40:41], v[40:41], v[42:43]
	s_delay_alu instid0(VALU_DEP_1) | instskip(NEXT) | instid1(VALU_DEP_2)
	v_xor_b32_e32 v43, 0x80000000, v41
	v_mov_b32_e32 v42, v40
	ds_store_b64 v57, v[42:43]
.LBB125_907:                            ;   in Loop: Header=BB125_3 Depth=1
	s_or_b32 exec_lo, exec_lo, s10
	s_wait_dscnt 0x0
	s_barrier_signal -1
	s_barrier_wait -1
	s_and_saveexec_b32 s10, s103
	s_cbranch_execz .LBB125_909
; %bb.908:                              ;   in Loop: Header=BB125_3 Depth=1
	ds_load_b64 v[42:43], v59 offset:3072
	ds_load_b64 v[94:95], v57
	s_wait_dscnt 0x0
	v_fma_f64 v[40:41], -v[42:43], v[94:95], v[40:41]
.LBB125_909:                            ;   in Loop: Header=BB125_3 Depth=1
	s_or_b32 exec_lo, exec_lo, s10
	s_barrier_signal -1
	s_barrier_wait -1
	s_and_saveexec_b32 s10, s104
	s_cbranch_execz .LBB125_911
; %bb.910:                              ;   in Loop: Header=BB125_3 Depth=1
	ds_load_b64 v[42:43], v1 offset:2600
	s_wait_dscnt 0x0
	v_mul_f64_e32 v[40:41], v[40:41], v[42:43]
	s_delay_alu instid0(VALU_DEP_1) | instskip(NEXT) | instid1(VALU_DEP_2)
	v_xor_b32_e32 v43, 0x80000000, v41
	v_mov_b32_e32 v42, v40
	ds_store_b64 v57, v[42:43]
.LBB125_911:                            ;   in Loop: Header=BB125_3 Depth=1
	s_or_b32 exec_lo, exec_lo, s10
	s_wait_dscnt 0x0
	s_barrier_signal -1
	s_barrier_wait -1
	s_and_saveexec_b32 s10, vcc_hi
	s_cbranch_execz .LBB125_913
; %bb.912:                              ;   in Loop: Header=BB125_3 Depth=1
	ds_load_b64 v[42:43], v59 offset:2560
	ds_load_b64 v[94:95], v57
	s_wait_dscnt 0x0
	v_fma_f64 v[40:41], -v[42:43], v[94:95], v[40:41]
.LBB125_913:                            ;   in Loop: Header=BB125_3 Depth=1
	s_or_b32 exec_lo, exec_lo, s10
	s_barrier_signal -1
	s_barrier_wait -1
	s_and_saveexec_b32 s10, s36
	s_cbranch_execz .LBB125_915
; %bb.914:                              ;   in Loop: Header=BB125_3 Depth=1
	ds_load_b64 v[42:43], v1 offset:2080
	s_wait_dscnt 0x0
	v_mul_f64_e32 v[40:41], v[40:41], v[42:43]
	s_delay_alu instid0(VALU_DEP_1) | instskip(NEXT) | instid1(VALU_DEP_2)
	v_xor_b32_e32 v43, 0x80000000, v41
	v_mov_b32_e32 v42, v40
	ds_store_b64 v57, v[42:43]
.LBB125_915:                            ;   in Loop: Header=BB125_3 Depth=1
	s_or_b32 exec_lo, exec_lo, s10
	s_wait_dscnt 0x0
	s_barrier_signal -1
	s_barrier_wait -1
	s_and_saveexec_b32 s10, s37
	s_cbranch_execz .LBB125_917
; %bb.916:                              ;   in Loop: Header=BB125_3 Depth=1
	ds_load_b64 v[42:43], v59 offset:2048
	ds_load_b64 v[94:95], v57
	s_wait_dscnt 0x0
	v_fma_f64 v[40:41], -v[42:43], v[94:95], v[40:41]
.LBB125_917:                            ;   in Loop: Header=BB125_3 Depth=1
	s_or_b32 exec_lo, exec_lo, s10
	s_barrier_signal -1
	s_barrier_wait -1
	s_and_saveexec_b32 s10, s38
	s_cbranch_execz .LBB125_919
; %bb.918:                              ;   in Loop: Header=BB125_3 Depth=1
	ds_load_b64 v[42:43], v1 offset:1560
	s_wait_dscnt 0x0
	v_mul_f64_e32 v[40:41], v[40:41], v[42:43]
	s_delay_alu instid0(VALU_DEP_1) | instskip(NEXT) | instid1(VALU_DEP_2)
	v_xor_b32_e32 v43, 0x80000000, v41
	v_mov_b32_e32 v42, v40
	ds_store_b64 v57, v[42:43]
.LBB125_919:                            ;   in Loop: Header=BB125_3 Depth=1
	s_or_b32 exec_lo, exec_lo, s10
	s_wait_dscnt 0x0
	s_barrier_signal -1
	s_barrier_wait -1
	s_and_saveexec_b32 s10, s39
	;; [unrolled: 26-line block ×4, first 2 shown]
	s_cbranch_execz .LBB125_929
; %bb.928:                              ;   in Loop: Header=BB125_3 Depth=1
	ds_load_b64 v[42:43], v1 offset:512
	ds_load_b64 v[94:95], v57
	s_wait_dscnt 0x0
	v_fma_f64 v[40:41], -v[42:43], v[94:95], v[40:41]
.LBB125_929:                            ;   in Loop: Header=BB125_3 Depth=1
	s_or_b32 exec_lo, exec_lo, s10
	s_barrier_signal -1
	s_barrier_wait -1
	s_and_saveexec_b32 s10, s43
	s_cbranch_execz .LBB125_931
; %bb.930:                              ;   in Loop: Header=BB125_3 Depth=1
	ds_load_b64 v[42:43], v1
	s_wait_dscnt 0x0
	v_mul_f64_e32 v[40:41], v[40:41], v[42:43]
	s_delay_alu instid0(VALU_DEP_1) | instskip(NEXT) | instid1(VALU_DEP_2)
	v_xor_b32_e32 v43, 0x80000000, v41
	v_mov_b32_e32 v42, v40
	ds_store_b64 v57, v[42:43]
.LBB125_931:                            ;   in Loop: Header=BB125_3 Depth=1
	s_or_b32 exec_lo, exec_lo, s10
	s_wait_dscnt 0x0
	s_barrier_signal -1
	s_barrier_wait -1
	s_barrier_signal -1
	s_barrier_wait -1
	s_and_saveexec_b32 s10, s4
; %bb.932:                              ;   in Loop: Header=BB125_3 Depth=1
	ds_store_b64 v60, v[40:41] offset:7680
; %bb.933:                              ;   in Loop: Header=BB125_3 Depth=1
	s_or_b32 exec_lo, exec_lo, s10
	s_wait_dscnt 0x0
	s_barrier_signal -1
	s_barrier_wait -1
	s_barrier_signal -1
	s_barrier_wait -1
	s_and_saveexec_b32 s10, s44
	s_cbranch_execz .LBB125_935
; %bb.934:                              ;   in Loop: Header=BB125_3 Depth=1
	ds_load_b64 v[40:41], v74 offset:4096
	s_wait_dscnt 0x0
	ds_store_b64 v75, v[40:41] offset:64
	ds_load_b64 v[40:41], v74 offset:4104
	s_wait_dscnt 0x0
	ds_store_b64 v75, v[40:41] offset:576
	;; [unrolled: 3-line block ×8, first 2 shown]
.LBB125_935:                            ;   in Loop: Header=BB125_3 Depth=1
	s_or_b32 exec_lo, exec_lo, s10
	s_wait_dscnt 0x0
	s_barrier_signal -1
	s_barrier_wait -1
	s_and_saveexec_b32 s10, s14
	s_cbranch_execz .LBB125_937
; %bb.936:                              ;   in Loop: Header=BB125_3 Depth=1
	ds_load_b128 v[40:43], v1 offset:3632
	ds_load_b64 v[94:95], v1 offset:3120
	v_add_nc_u32_e64 v0, 0x800, 0
	s_wait_dscnt 0x0
	v_mul_f64_e32 v[42:43], v[94:95], v[42:43]
	s_delay_alu instid0(VALU_DEP_1)
	v_mul_f64_e32 v[40:41], v[40:41], v[42:43]
	ds_store_2addr_b64 v0, v[40:41], v[40:41] offset0:135 offset1:198
.LBB125_937:                            ;   in Loop: Header=BB125_3 Depth=1
	s_or_b32 exec_lo, exec_lo, s10
	v_mov_b64_e32 v[40:41], 0
	s_wait_dscnt 0x0
	s_barrier_signal -1
	s_barrier_wait -1
	global_wb scope:SCOPE_DEV
	s_wait_storecnt 0x0
	global_inv scope:SCOPE_DEV
	s_and_saveexec_b32 s10, s1
	s_cbranch_execz .LBB125_941
; %bb.938:                              ;   in Loop: Header=BB125_3 Depth=1
	ds_load_b64 v[40:41], v47 offset:3104
	ds_load_b64 v[42:43], v46 offset:3632
	s_wait_dscnt 0x0
	v_fma_f64 v[40:41], v[40:41], v[42:43], 0
	s_and_saveexec_b32 s11, s15
	s_cbranch_execz .LBB125_940
; %bb.939:                              ;   in Loop: Header=BB125_3 Depth=1
	ds_load_b64 v[42:43], v75 offset:3616
	ds_load_b64 v[94:95], v1 offset:3640
	s_wait_dscnt 0x0
	v_fmac_f64_e32 v[40:41], v[42:43], v[94:95]
.LBB125_940:                            ;   in Loop: Header=BB125_3 Depth=1
	s_or_b32 exec_lo, exec_lo, s11
.LBB125_941:                            ;   in Loop: Header=BB125_3 Depth=1
	s_delay_alu instid0(SALU_CYCLE_1)
	s_or_b32 exec_lo, exec_lo, s10
	s_and_saveexec_b32 s10, s90
	s_cbranch_execz .LBB125_943
; %bb.942:                              ;   in Loop: Header=BB125_3 Depth=1
	ds_load_b64 v[42:43], v1 offset:2600
	s_wait_dscnt 0x0
	v_mul_f64_e32 v[40:41], v[40:41], v[42:43]
	s_delay_alu instid0(VALU_DEP_1) | instskip(NEXT) | instid1(VALU_DEP_2)
	v_xor_b32_e32 v43, 0x80000000, v41
	v_mov_b32_e32 v42, v40
	ds_store_b64 v3, v[42:43]
.LBB125_943:                            ;   in Loop: Header=BB125_3 Depth=1
	s_or_b32 exec_lo, exec_lo, s10
	s_wait_loadcnt_dscnt 0x0
	s_barrier_signal -1
	s_barrier_wait -1
	s_and_saveexec_b32 s10, s91
	s_cbranch_execz .LBB125_945
; %bb.944:                              ;   in Loop: Header=BB125_3 Depth=1
	ds_load_b64 v[42:43], v1 offset:2592
	ds_load_b64 v[94:95], v3
	s_wait_dscnt 0x0
	v_fma_f64 v[40:41], -v[42:43], v[94:95], v[40:41]
.LBB125_945:                            ;   in Loop: Header=BB125_3 Depth=1
	s_or_b32 exec_lo, exec_lo, s10
	s_barrier_signal -1
	s_barrier_wait -1
	s_and_saveexec_b32 s10, s91
	s_cbranch_execz .LBB125_947
; %bb.946:                              ;   in Loop: Header=BB125_3 Depth=1
	ds_load_b64 v[42:43], v1 offset:2080
	s_wait_dscnt 0x0
	v_mul_f64_e32 v[40:41], v[40:41], v[42:43]
	s_delay_alu instid0(VALU_DEP_1) | instskip(NEXT) | instid1(VALU_DEP_2)
	v_xor_b32_e32 v43, 0x80000000, v41
	v_mov_b32_e32 v42, v40
	ds_store_b64 v3, v[42:43]
.LBB125_947:                            ;   in Loop: Header=BB125_3 Depth=1
	s_or_b32 exec_lo, exec_lo, s10
	s_wait_dscnt 0x0
	s_barrier_signal -1
	s_barrier_wait -1
	s_barrier_signal -1
	s_barrier_wait -1
	s_and_saveexec_b32 s10, s1
; %bb.948:                              ;   in Loop: Header=BB125_3 Depth=1
	ds_store_b64 v49, v[40:41] offset:3616
; %bb.949:                              ;   in Loop: Header=BB125_3 Depth=1
	s_or_b32 exec_lo, exec_lo, s10
	s_wait_dscnt 0x0
	s_barrier_signal -1
	s_barrier_wait -1
	s_barrier_signal -1
	s_barrier_wait -1
	s_and_saveexec_b32 s10, s92
	s_cbranch_execz .LBB125_951
; %bb.950:                              ;   in Loop: Header=BB125_3 Depth=1
	ds_load_b64 v[40:41], v76 offset:3104
	s_wait_dscnt 0x0
	ds_store_b64 v75, v[40:41] offset:2096
	ds_load_b64 v[40:41], v76 offset:3112
	s_wait_dscnt 0x0
	ds_store_b64 v75, v[40:41] offset:2608
.LBB125_951:                            ;   in Loop: Header=BB125_3 Depth=1
	s_or_b32 exec_lo, exec_lo, s10
	s_wait_dscnt 0x0
	s_barrier_signal -1
	s_barrier_wait -1
	s_and_saveexec_b32 s10, s14
	s_cbranch_execz .LBB125_953
; %bb.952:                              ;   in Loop: Header=BB125_3 Depth=1
	ds_load_b128 v[40:43], v1 offset:2592
	ds_load_b64 v[94:95], v1 offset:2080
	v_add_nc_u32_e64 v0, 0x800, 0
	s_wait_dscnt 0x0
	v_mul_f64_e32 v[42:43], v[94:95], v[42:43]
	s_delay_alu instid0(VALU_DEP_1)
	v_mul_f64_e32 v[40:41], v[40:41], v[42:43]
	ds_store_2addr_b64 v0, v[40:41], v[40:41] offset0:5 offset1:68
.LBB125_953:                            ;   in Loop: Header=BB125_3 Depth=1
	s_or_b32 exec_lo, exec_lo, s10
	v_mov_b64_e32 v[40:41], 0
	s_wait_dscnt 0x0
	s_barrier_signal -1
	s_barrier_wait -1
	global_wb scope:SCOPE_DEV
	s_wait_storecnt 0x0
	global_inv scope:SCOPE_DEV
	s_and_saveexec_b32 s10, s3
	s_cbranch_execz .LBB125_959
; %bb.954:                              ;   in Loop: Header=BB125_3 Depth=1
	ds_load_b64 v[40:41], v53 offset:2048
	ds_load_b64 v[42:43], v52 offset:3616
	s_wait_dscnt 0x0
	v_fma_f64 v[40:41], v[40:41], v[42:43], 0
	s_and_saveexec_b32 s11, s16
	s_cbranch_execnz .LBB125_1147
; %bb.955:                              ;   in Loop: Header=BB125_3 Depth=1
	s_or_b32 exec_lo, exec_lo, s11
	s_and_saveexec_b32 s11, s17
	s_cbranch_execnz .LBB125_1148
.LBB125_956:                            ;   in Loop: Header=BB125_3 Depth=1
	s_or_b32 exec_lo, exec_lo, s11
	s_and_saveexec_b32 s11, s1
	s_cbranch_execz .LBB125_958
.LBB125_957:                            ;   in Loop: Header=BB125_3 Depth=1
	ds_load_b64 v[42:43], v78 offset:3584
	ds_load_b64 v[94:95], v1 offset:3640
	s_wait_dscnt 0x0
	v_fmac_f64_e32 v[40:41], v[42:43], v[94:95]
.LBB125_958:                            ;   in Loop: Header=BB125_3 Depth=1
	s_or_b32 exec_lo, exec_lo, s11
.LBB125_959:                            ;   in Loop: Header=BB125_3 Depth=1
	s_delay_alu instid0(SALU_CYCLE_1)
	s_or_b32 exec_lo, exec_lo, s10
	s_and_saveexec_b32 s10, s93
	s_cbranch_execz .LBB125_961
; %bb.960:                              ;   in Loop: Header=BB125_3 Depth=1
	ds_load_b64 v[42:43], v1 offset:1560
	s_wait_dscnt 0x0
	v_mul_f64_e32 v[40:41], v[40:41], v[42:43]
	s_delay_alu instid0(VALU_DEP_1) | instskip(NEXT) | instid1(VALU_DEP_2)
	v_xor_b32_e32 v43, 0x80000000, v41
	v_mov_b32_e32 v42, v40
	ds_store_b64 v51, v[42:43]
.LBB125_961:                            ;   in Loop: Header=BB125_3 Depth=1
	s_or_b32 exec_lo, exec_lo, s10
	s_wait_loadcnt_dscnt 0x0
	s_barrier_signal -1
	s_barrier_wait -1
	s_and_saveexec_b32 s10, s94
	s_cbranch_execz .LBB125_963
; %bb.962:                              ;   in Loop: Header=BB125_3 Depth=1
	ds_load_b64 v[42:43], v53 offset:1536
	ds_load_b64 v[94:95], v51
	s_wait_dscnt 0x0
	v_fma_f64 v[40:41], -v[42:43], v[94:95], v[40:41]
.LBB125_963:                            ;   in Loop: Header=BB125_3 Depth=1
	s_or_b32 exec_lo, exec_lo, s10
	s_barrier_signal -1
	s_barrier_wait -1
	s_and_saveexec_b32 s10, s95
	s_cbranch_execz .LBB125_965
; %bb.964:                              ;   in Loop: Header=BB125_3 Depth=1
	ds_load_b64 v[42:43], v1 offset:1040
	s_wait_dscnt 0x0
	v_mul_f64_e32 v[40:41], v[40:41], v[42:43]
	s_delay_alu instid0(VALU_DEP_1) | instskip(NEXT) | instid1(VALU_DEP_2)
	v_xor_b32_e32 v43, 0x80000000, v41
	v_mov_b32_e32 v42, v40
	ds_store_b64 v51, v[42:43]
.LBB125_965:                            ;   in Loop: Header=BB125_3 Depth=1
	s_or_b32 exec_lo, exec_lo, s10
	s_wait_dscnt 0x0
	s_barrier_signal -1
	s_barrier_wait -1
	s_and_saveexec_b32 s10, s96
	s_cbranch_execz .LBB125_967
; %bb.966:                              ;   in Loop: Header=BB125_3 Depth=1
	ds_load_b64 v[42:43], v53 offset:1024
	ds_load_b64 v[94:95], v51
	s_wait_dscnt 0x0
	v_fma_f64 v[40:41], -v[42:43], v[94:95], v[40:41]
.LBB125_967:                            ;   in Loop: Header=BB125_3 Depth=1
	s_or_b32 exec_lo, exec_lo, s10
	s_barrier_signal -1
	s_barrier_wait -1
	s_and_saveexec_b32 s10, s97
	s_cbranch_execz .LBB125_969
; %bb.968:                              ;   in Loop: Header=BB125_3 Depth=1
	ds_load_b64 v[42:43], v1 offset:520
	s_wait_dscnt 0x0
	v_mul_f64_e32 v[40:41], v[40:41], v[42:43]
	s_delay_alu instid0(VALU_DEP_1) | instskip(NEXT) | instid1(VALU_DEP_2)
	v_xor_b32_e32 v43, 0x80000000, v41
	v_mov_b32_e32 v42, v40
	ds_store_b64 v51, v[42:43]
.LBB125_969:                            ;   in Loop: Header=BB125_3 Depth=1
	s_or_b32 exec_lo, exec_lo, s10
	s_wait_dscnt 0x0
	s_barrier_signal -1
	s_barrier_wait -1
	s_and_saveexec_b32 s10, s98
	s_cbranch_execz .LBB125_971
; %bb.970:                              ;   in Loop: Header=BB125_3 Depth=1
	ds_load_b64 v[42:43], v1 offset:512
	ds_load_b64 v[94:95], v51
	s_wait_dscnt 0x0
	v_fma_f64 v[40:41], -v[42:43], v[94:95], v[40:41]
.LBB125_971:                            ;   in Loop: Header=BB125_3 Depth=1
	s_or_b32 exec_lo, exec_lo, s10
	s_barrier_signal -1
	s_barrier_wait -1
	s_and_saveexec_b32 s10, s98
	s_cbranch_execz .LBB125_973
; %bb.972:                              ;   in Loop: Header=BB125_3 Depth=1
	ds_load_b64 v[42:43], v1
	s_wait_dscnt 0x0
	v_mul_f64_e32 v[40:41], v[40:41], v[42:43]
	s_delay_alu instid0(VALU_DEP_1) | instskip(NEXT) | instid1(VALU_DEP_2)
	v_xor_b32_e32 v43, 0x80000000, v41
	v_mov_b32_e32 v42, v40
	ds_store_b64 v51, v[42:43]
.LBB125_973:                            ;   in Loop: Header=BB125_3 Depth=1
	s_or_b32 exec_lo, exec_lo, s10
	s_wait_dscnt 0x0
	s_barrier_signal -1
	s_barrier_wait -1
	s_barrier_signal -1
	s_barrier_wait -1
	s_and_saveexec_b32 s10, s3
; %bb.974:                              ;   in Loop: Header=BB125_3 Depth=1
	ds_store_b64 v55, v[40:41] offset:3584
; %bb.975:                              ;   in Loop: Header=BB125_3 Depth=1
	s_or_b32 exec_lo, exec_lo, s10
	s_wait_dscnt 0x0
	s_barrier_signal -1
	s_barrier_wait -1
	s_barrier_signal -1
	s_barrier_wait -1
	s_and_saveexec_b32 s10, s99
	s_cbranch_execz .LBB125_977
; %bb.976:                              ;   in Loop: Header=BB125_3 Depth=1
	ds_load_b64 v[40:41], v80 offset:2048
	s_wait_dscnt 0x0
	ds_store_b64 v83, v[40:41] offset:32
	ds_load_b64 v[40:41], v80 offset:2056
	s_wait_dscnt 0x0
	ds_store_b64 v83, v[40:41] offset:544
	;; [unrolled: 3-line block ×4, first 2 shown]
.LBB125_977:                            ;   in Loop: Header=BB125_3 Depth=1
	s_or_b32 exec_lo, exec_lo, s10
	s_wait_dscnt 0x0
	s_barrier_signal -1
	s_barrier_wait -1
	s_and_saveexec_b32 s10, s14
	s_cbranch_execz .LBB125_979
; %bb.978:                              ;   in Loop: Header=BB125_3 Depth=1
	ds_load_b128 v[40:43], v1 offset:1552
	ds_load_b64 v[94:95], v1 offset:1040
	s_wait_dscnt 0x0
	v_mul_f64_e32 v[42:43], v[94:95], v[42:43]
	s_delay_alu instid0(VALU_DEP_1)
	v_mul_f64_e32 v[40:41], v[40:41], v[42:43]
	ds_store_2addr_b64 v1, v[40:41], v[40:41] offset0:131 offset1:194
.LBB125_979:                            ;   in Loop: Header=BB125_3 Depth=1
	s_or_b32 exec_lo, exec_lo, s10
	v_mov_b64_e32 v[40:41], 0
	s_wait_dscnt 0x0
	s_barrier_signal -1
	s_barrier_wait -1
	global_wb scope:SCOPE_DEV
	s_wait_storecnt 0x0
	global_inv scope:SCOPE_DEV
	s_and_saveexec_b32 s10, s1
	s_cbranch_execz .LBB125_983
; %bb.980:                              ;   in Loop: Header=BB125_3 Depth=1
	ds_load_b64 v[40:41], v47 offset:1024
	ds_load_b64 v[42:43], v46 offset:1552
	s_wait_dscnt 0x0
	v_fma_f64 v[40:41], v[40:41], v[42:43], 0
	s_and_saveexec_b32 s11, s15
	s_cbranch_execz .LBB125_982
; %bb.981:                              ;   in Loop: Header=BB125_3 Depth=1
	ds_load_b64 v[42:43], v83 offset:1536
	ds_load_b64 v[94:95], v1 offset:1560
	s_wait_dscnt 0x0
	v_fmac_f64_e32 v[40:41], v[42:43], v[94:95]
.LBB125_982:                            ;   in Loop: Header=BB125_3 Depth=1
	s_or_b32 exec_lo, exec_lo, s11
.LBB125_983:                            ;   in Loop: Header=BB125_3 Depth=1
	s_delay_alu instid0(SALU_CYCLE_1)
	s_or_b32 exec_lo, exec_lo, s10
	s_and_saveexec_b32 s10, s90
	s_cbranch_execz .LBB125_985
; %bb.984:                              ;   in Loop: Header=BB125_3 Depth=1
	ds_load_b64 v[42:43], v1 offset:520
	s_wait_dscnt 0x0
	v_mul_f64_e32 v[40:41], v[40:41], v[42:43]
	s_delay_alu instid0(VALU_DEP_1) | instskip(NEXT) | instid1(VALU_DEP_2)
	v_xor_b32_e32 v43, 0x80000000, v41
	v_mov_b32_e32 v42, v40
	ds_store_b64 v3, v[42:43]
.LBB125_985:                            ;   in Loop: Header=BB125_3 Depth=1
	s_or_b32 exec_lo, exec_lo, s10
	s_wait_loadcnt_dscnt 0x0
	s_barrier_signal -1
	s_barrier_wait -1
	s_and_saveexec_b32 s10, s91
	s_cbranch_execz .LBB125_987
; %bb.986:                              ;   in Loop: Header=BB125_3 Depth=1
	ds_load_b64 v[42:43], v1 offset:512
	ds_load_b64 v[94:95], v3
	s_wait_dscnt 0x0
	v_fma_f64 v[40:41], -v[42:43], v[94:95], v[40:41]
.LBB125_987:                            ;   in Loop: Header=BB125_3 Depth=1
	s_or_b32 exec_lo, exec_lo, s10
	s_barrier_signal -1
	s_barrier_wait -1
	s_and_saveexec_b32 s10, s91
	s_cbranch_execz .LBB125_989
; %bb.988:                              ;   in Loop: Header=BB125_3 Depth=1
	ds_load_b64 v[42:43], v1
	s_wait_dscnt 0x0
	v_mul_f64_e32 v[40:41], v[40:41], v[42:43]
	s_delay_alu instid0(VALU_DEP_1) | instskip(NEXT) | instid1(VALU_DEP_2)
	v_xor_b32_e32 v43, 0x80000000, v41
	v_mov_b32_e32 v42, v40
	ds_store_b64 v3, v[42:43]
.LBB125_989:                            ;   in Loop: Header=BB125_3 Depth=1
	s_or_b32 exec_lo, exec_lo, s10
	s_wait_dscnt 0x0
	s_barrier_signal -1
	s_barrier_wait -1
	s_barrier_signal -1
	s_barrier_wait -1
	s_and_saveexec_b32 s10, s1
; %bb.990:                              ;   in Loop: Header=BB125_3 Depth=1
	ds_store_b64 v49, v[40:41] offset:1536
; %bb.991:                              ;   in Loop: Header=BB125_3 Depth=1
	s_or_b32 exec_lo, exec_lo, s10
	s_wait_dscnt 0x0
	s_barrier_signal -1
	s_barrier_wait -1
	s_barrier_signal -1
	s_barrier_wait -1
	s_and_saveexec_b32 s10, s92
	s_cbranch_execz .LBB125_993
; %bb.992:                              ;   in Loop: Header=BB125_3 Depth=1
	ds_load_b64 v[40:41], v85 offset:1024
	s_wait_dscnt 0x0
	ds_store_b64 v83, v[40:41] offset:16
	ds_load_b64 v[40:41], v85 offset:1032
	s_wait_dscnt 0x0
	ds_store_b64 v83, v[40:41] offset:528
.LBB125_993:                            ;   in Loop: Header=BB125_3 Depth=1
	s_or_b32 exec_lo, exec_lo, s10
	s_wait_dscnt 0x0
	s_barrier_signal -1
	s_barrier_wait -1
	s_and_saveexec_b32 s10, s14
	s_cbranch_execz .LBB125_995
; %bb.994:                              ;   in Loop: Header=BB125_3 Depth=1
	ds_load_b128 v[40:43], v1 offset:512
	ds_load_b64 v[94:95], v1
	s_wait_dscnt 0x0
	v_mul_f64_e32 v[42:43], v[94:95], v[42:43]
	s_delay_alu instid0(VALU_DEP_1)
	v_mul_f64_e32 v[40:41], v[40:41], v[42:43]
	ds_store_2addr_b64 v1, v[40:41], v[40:41] offset0:1 offset1:64
.LBB125_995:                            ;   in Loop: Header=BB125_3 Depth=1
	s_or_b32 exec_lo, exec_lo, s10
.LBB125_996:                            ;   in Loop: Header=BB125_3 Depth=1
	v_add_nc_u64_e32 v[38:39], s[72:73], v[38:39]
	v_mov_b64_e32 v[40:41], 0
	s_wait_dscnt 0x0
	s_barrier_signal -1
	s_barrier_wait -1
	s_wait_xcnt 0x0
	s_and_saveexec_b32 s10, s46
	s_cbranch_execz .LBB125_998
; %bb.997:                              ;   in Loop: Header=BB125_3 Depth=1
	v_lshl_add_u64 v[40:41], v[10:11], 3, v[38:39]
	flat_load_b64 v[40:41], v[40:41]
	s_wait_loadcnt_dscnt 0x0
	v_mul_f64_e64 v[40:41], v[40:41], -v[36:37]
.LBB125_998:                            ;   in Loop: Header=BB125_3 Depth=1
	s_or_b32 exec_lo, exec_lo, s10
	s_delay_alu instid0(SALU_CYCLE_1)
	s_and_not1_b32 vcc_lo, exec_lo, s47
	s_cbranch_vccnz .LBB125_1024
; %bb.999:                              ;   in Loop: Header=BB125_3 Depth=1
	v_mov_b32_e32 v94, -1
	s_lshl_b64 s[10:11], s[66:67], 2
	s_delay_alu instid0(SALU_CYCLE_1)
	s_add_nc_u64 s[82:83], s[80:81], s[10:11]
	s_mov_b32 s10, 0
	s_branch .LBB125_1002
.LBB125_1000:                           ;   in Loop: Header=BB125_1002 Depth=2
	s_wait_xcnt 0x0
	ds_load_b64 v[36:37], v86 offset:384
	s_wait_loadcnt_dscnt 0x0
	v_fmac_f64_e32 v[40:41], v[42:43], v[36:37]
.LBB125_1001:                           ;   in Loop: Header=BB125_1002 Depth=2
	s_or_b32 exec_lo, exec_lo, s11
	s_add_co_i32 s10, s10, 1
	s_delay_alu instid0(SALU_CYCLE_1)
	s_cmp_eq_u32 s10, s86
	s_cbranch_scc1 .LBB125_1024
.LBB125_1002:                           ;   Parent Loop BB125_3 Depth=1
                                        ; =>  This Loop Header: Depth=2
                                        ;       Child Loop BB125_1004 Depth 3
	v_cmp_gt_i32_e32 vcc_lo, s10, v94
	s_and_b32 s12, s59, vcc_lo
	s_delay_alu instid0(SALU_CYCLE_1)
	s_and_saveexec_b32 s11, s12
	s_cbranch_execz .LBB125_1005
; %bb.1003:                             ;   in Loop: Header=BB125_1002 Depth=2
	global_load_b32 v94, v1, s[82:83]
	s_wait_loadcnt 0x0
	v_cmp_le_i32_e32 vcc_lo, s10, v94
	s_cbranch_vccnz .LBB125_1005
.LBB125_1004:                           ;   Parent Loop BB125_3 Depth=1
                                        ;     Parent Loop BB125_1002 Depth=2
                                        ; =>    This Inner Loop Header: Depth=3
	global_wb scope:SCOPE_DEV
	s_wait_storecnt 0x0
	global_inv scope:SCOPE_DEV
	global_load_b32 v94, v1, s[82:83]
	s_wait_loadcnt 0x0
	v_cmp_gt_i32_e32 vcc_lo, s10, v94
	s_cbranch_vccnz .LBB125_1004
.LBB125_1005:                           ;   in Loop: Header=BB125_1002 Depth=2
	s_or_b32 exec_lo, exec_lo, s11
	s_lshl_b32 s65, s10, 6
	global_wb scope:SCOPE_DEV
	s_wait_storecnt 0x0
	global_inv scope:SCOPE_DEV
	s_wait_loadcnt 0x0
	s_barrier_signal -1
	s_barrier_wait -1
	s_and_saveexec_b32 s11, s60
	s_cbranch_execz .LBB125_1009
; %bb.1006:                             ;   in Loop: Header=BB125_1002 Depth=2
	v_mov_b64_e32 v[36:37], 0
	v_or_b32_e32 v0, s65, v4
	s_mov_b32 s12, exec_lo
	s_delay_alu instid0(VALU_DEP_1)
	v_cmpx_gt_i32_e64 s85, v0
	s_cbranch_execz .LBB125_1008
; %bb.1007:                             ;   in Loop: Header=BB125_1002 Depth=2
	v_mul_u64_e32 v[36:37], s[74:75], v[0:1]
	s_delay_alu instid0(VALU_DEP_1)
	v_lshl_add_u64 v[36:37], v[36:37], 3, v[38:39]
	flat_load_b64 v[36:37], v[36:37]
.LBB125_1008:                           ;   in Loop: Header=BB125_1002 Depth=2
	s_wait_xcnt 0x0
	s_or_b32 exec_lo, exec_lo, s12
	s_wait_loadcnt_dscnt 0x0
	ds_store_b64 v89, v[36:37]
.LBB125_1009:                           ;   in Loop: Header=BB125_1002 Depth=2
	s_or_b32 exec_lo, exec_lo, s11
	v_add_nc_u32_e32 v0, s65, v44
	v_cmp_ne_u32_e32 vcc_lo, s10, v45
	s_wait_dscnt 0x0
	s_barrier_signal -1
	s_barrier_wait -1
	v_cmp_gt_i32_e64 s65, s85, v0
	v_lshl_add_u64 v[36:37], v[0:1], 3, v[34:35]
	v_cndmask_b32_e64 v95, 0, 1, vcc_lo
	s_and_b32 s12, s65, s0
	s_delay_alu instid0(SALU_CYCLE_1)
	s_and_saveexec_b32 s11, s12
	s_cbranch_execz .LBB125_1013
; %bb.1010:                             ;   in Loop: Header=BB125_1002 Depth=2
	v_mov_b64_e32 v[42:43], v[26:27]
	s_and_not1_b32 vcc_lo, exec_lo, vcc_lo
	s_cbranch_vccnz .LBB125_1012
; %bb.1011:                             ;   in Loop: Header=BB125_1002 Depth=2
	flat_load_b64 v[42:43], v[36:37]
.LBB125_1012:                           ;   in Loop: Header=BB125_1002 Depth=2
	ds_load_b64 v[96:97], v86
	s_wait_loadcnt_dscnt 0x0
	v_fmac_f64_e32 v[40:41], v[42:43], v[96:97]
.LBB125_1013:                           ;   in Loop: Header=BB125_1002 Depth=2
	s_or_b32 exec_lo, exec_lo, s11
	v_add_nc_u32_e32 v42, 16, v0
	s_delay_alu instid0(VALU_DEP_1) | instskip(SKIP_1) | instid1(SALU_CYCLE_1)
	v_cmp_gt_i32_e32 vcc_lo, s85, v42
	s_and_b32 s12, vcc_lo, s0
	s_and_saveexec_b32 s11, s12
	s_cbranch_execz .LBB125_1017
; %bb.1014:                             ;   in Loop: Header=BB125_1002 Depth=2
	v_cmp_ne_u32_e32 vcc_lo, 1, v95
	v_mov_b64_e32 v[42:43], v[28:29]
	s_cbranch_vccnz .LBB125_1016
; %bb.1015:                             ;   in Loop: Header=BB125_1002 Depth=2
	flat_load_b64 v[42:43], v[36:37] offset:128
.LBB125_1016:                           ;   in Loop: Header=BB125_1002 Depth=2
	ds_load_b64 v[96:97], v86 offset:128
	s_wait_loadcnt_dscnt 0x0
	v_fmac_f64_e32 v[40:41], v[42:43], v[96:97]
.LBB125_1017:                           ;   in Loop: Header=BB125_1002 Depth=2
	s_or_b32 exec_lo, exec_lo, s11
	v_add_nc_u32_e32 v42, 32, v0
	s_delay_alu instid0(VALU_DEP_1) | instskip(SKIP_1) | instid1(SALU_CYCLE_1)
	v_cmp_gt_i32_e32 vcc_lo, s85, v42
	s_and_b32 s12, vcc_lo, s0
	s_and_saveexec_b32 s11, s12
	s_cbranch_execz .LBB125_1021
; %bb.1018:                             ;   in Loop: Header=BB125_1002 Depth=2
	v_cmp_ne_u32_e32 vcc_lo, 1, v95
	v_mov_b64_e32 v[42:43], v[30:31]
	s_cbranch_vccnz .LBB125_1020
; %bb.1019:                             ;   in Loop: Header=BB125_1002 Depth=2
	flat_load_b64 v[42:43], v[36:37] offset:256
.LBB125_1020:                           ;   in Loop: Header=BB125_1002 Depth=2
	ds_load_b64 v[96:97], v86 offset:256
	s_wait_loadcnt_dscnt 0x0
	v_fmac_f64_e32 v[40:41], v[42:43], v[96:97]
.LBB125_1021:                           ;   in Loop: Header=BB125_1002 Depth=2
	s_or_b32 exec_lo, exec_lo, s11
	v_add_nc_u32_e32 v0, 48, v0
	s_delay_alu instid0(VALU_DEP_1) | instskip(SKIP_1) | instid1(SALU_CYCLE_1)
	v_cmp_gt_i32_e32 vcc_lo, s85, v0
	s_and_b32 s12, vcc_lo, s0
	s_and_saveexec_b32 s11, s12
	s_cbranch_execz .LBB125_1001
; %bb.1022:                             ;   in Loop: Header=BB125_1002 Depth=2
	v_cmp_ne_u32_e32 vcc_lo, 1, v95
	v_mov_b64_e32 v[42:43], v[32:33]
	s_cbranch_vccnz .LBB125_1000
; %bb.1023:                             ;   in Loop: Header=BB125_1002 Depth=2
	flat_load_b64 v[42:43], v[36:37] offset:384
	s_branch .LBB125_1000
.LBB125_1024:                           ;   in Loop: Header=BB125_3 Depth=1
	ds_store_b64 v90, v[40:41]
	s_wait_dscnt 0x0
	s_barrier_signal -1
	s_barrier_wait -1
	s_and_saveexec_b32 s10, s2
	s_cbranch_execz .LBB125_1026
; %bb.1025:                             ;   in Loop: Header=BB125_3 Depth=1
	ds_load_2addr_stride64_b64 v[34:37], v91 offset0:1 offset1:2
	ds_load_2addr_stride64_b64 v[94:97], v91 offset0:3 offset1:4
	s_wait_dscnt 0x1
	v_add_f64_e32 v[34:35], v[40:41], v[34:35]
	s_delay_alu instid0(VALU_DEP_1) | instskip(SKIP_1) | instid1(VALU_DEP_1)
	v_add_f64_e32 v[34:35], v[34:35], v[36:37]
	s_wait_dscnt 0x0
	v_add_f64_e32 v[34:35], v[34:35], v[94:95]
	s_delay_alu instid0(VALU_DEP_1) | instskip(SKIP_4) | instid1(VALU_DEP_1)
	v_add_f64_e32 v[94:95], v[34:35], v[96:97]
	ds_load_2addr_stride64_b64 v[34:37], v91 offset0:5 offset1:6
	ds_load_2addr_stride64_b64 v[40:43], v91 offset0:7 offset1:8
	s_wait_dscnt 0x1
	v_add_f64_e32 v[34:35], v[94:95], v[34:35]
	v_add_f64_e32 v[34:35], v[34:35], v[36:37]
	s_wait_dscnt 0x0
	s_delay_alu instid0(VALU_DEP_1) | instskip(NEXT) | instid1(VALU_DEP_1)
	v_add_f64_e32 v[34:35], v[34:35], v[40:41]
	v_add_f64_e32 v[94:95], v[34:35], v[42:43]
	ds_load_2addr_stride64_b64 v[34:37], v91 offset0:9 offset1:10
	ds_load_2addr_stride64_b64 v[40:43], v91 offset0:11 offset1:12
	s_wait_dscnt 0x1
	v_add_f64_e32 v[34:35], v[94:95], v[34:35]
	s_delay_alu instid0(VALU_DEP_1) | instskip(SKIP_1) | instid1(VALU_DEP_1)
	v_add_f64_e32 v[34:35], v[34:35], v[36:37]
	s_wait_dscnt 0x0
	v_add_f64_e32 v[34:35], v[34:35], v[40:41]
	s_delay_alu instid0(VALU_DEP_1) | instskip(SKIP_4) | instid1(VALU_DEP_1)
	v_add_f64_e32 v[40:41], v[34:35], v[42:43]
	ds_load_2addr_stride64_b64 v[34:37], v91 offset0:13 offset1:14
	ds_load_b64 v[42:43], v91 offset:7680
	s_wait_dscnt 0x1
	v_add_f64_e32 v[34:35], v[40:41], v[34:35]
	v_add_f64_e32 v[34:35], v[34:35], v[36:37]
	s_wait_dscnt 0x0
	s_delay_alu instid0(VALU_DEP_1) | instskip(NEXT) | instid1(VALU_DEP_1)
	v_add_f64_e32 v[34:35], v[34:35], v[42:43]
	v_xor_b32_e32 v0, 0x80000000, v35
	s_delay_alu instid0(VALU_DEP_2) | instskip(NEXT) | instid1(VALU_DEP_2)
	v_cndmask_b32_e64 v40, v34, 0, s45
	v_cndmask_b32_e64 v41, v0, 0, s45
.LBB125_1026:                           ;   in Loop: Header=BB125_3 Depth=1
	s_or_b32 exec_lo, exec_lo, s10
	s_delay_alu instid0(SALU_CYCLE_1)
	s_and_not1_b32 vcc_lo, exec_lo, s89
	s_cbranch_vccnz .LBB125_1036
; %bb.1027:                             ;   in Loop: Header=BB125_3 Depth=1
	s_and_saveexec_b32 s10, s2
; %bb.1028:                             ;   in Loop: Header=BB125_3 Depth=1
	ds_store_b64 v93, v[40:41]
; %bb.1029:                             ;   in Loop: Header=BB125_3 Depth=1
	s_or_b32 exec_lo, exec_lo, s10
	v_mov_b64_e32 v[34:35], 0
	s_wait_dscnt 0x0
	s_barrier_signal -1
	s_barrier_wait -1
	s_and_saveexec_b32 s10, s6
	s_cbranch_execnz .LBB125_1091
; %bb.1030:                             ;   in Loop: Header=BB125_3 Depth=1
	s_or_b32 exec_lo, exec_lo, s10
	s_and_saveexec_b32 s10, s7
	s_cbranch_execnz .LBB125_1092
.LBB125_1031:                           ;   in Loop: Header=BB125_3 Depth=1
	s_or_b32 exec_lo, exec_lo, s10
	s_and_saveexec_b32 s10, s8
	s_cbranch_execnz .LBB125_1093
.LBB125_1032:                           ;   in Loop: Header=BB125_3 Depth=1
	s_or_b32 exec_lo, exec_lo, s10
	s_and_saveexec_b32 s10, s9
	s_cbranch_execz .LBB125_1034
.LBB125_1033:                           ;   in Loop: Header=BB125_3 Depth=1
	ds_load_b64 v[36:37], v92 offset:24576
	ds_load_b64 v[42:43], v86 offset:384
	s_wait_dscnt 0x0
	v_fmac_f64_e32 v[34:35], v[36:37], v[42:43]
.LBB125_1034:                           ;   in Loop: Header=BB125_3 Depth=1
	s_or_b32 exec_lo, exec_lo, s10
	s_mov_b32 s10, 0
	s_mov_b32 s65, 0
	ds_store_b64 v90, v[34:35]
	s_wait_dscnt 0x0
	s_barrier_signal -1
	s_barrier_wait -1
                                        ; implicit-def: $vgpr36_vgpr37
	s_and_saveexec_b32 s82, s2
	s_cbranch_execz .LBB125_1094
; %bb.1035:                             ;   in Loop: Header=BB125_3 Depth=1
	ds_load_2addr_stride64_b64 v[94:97], v91 offset0:1 offset1:2
	ds_load_2addr_stride64_b64 v[98:101], v91 offset0:3 offset1:4
	s_mov_b32 s65, exec_lo
	s_wait_dscnt 0x1
	v_add_f64_e32 v[34:35], v[34:35], v[94:95]
	s_delay_alu instid0(VALU_DEP_1) | instskip(SKIP_1) | instid1(VALU_DEP_1)
	v_add_f64_e32 v[34:35], v[96:97], v[34:35]
	s_wait_dscnt 0x0
	v_add_f64_e32 v[34:35], v[98:99], v[34:35]
	s_delay_alu instid0(VALU_DEP_1) | instskip(SKIP_4) | instid1(VALU_DEP_1)
	v_add_f64_e32 v[42:43], v[100:101], v[34:35]
	ds_load_2addr_stride64_b64 v[34:37], v91 offset0:5 offset1:6
	ds_load_2addr_stride64_b64 v[94:97], v91 offset0:7 offset1:8
	s_wait_dscnt 0x1
	v_add_f64_e32 v[34:35], v[34:35], v[42:43]
	v_add_f64_e32 v[34:35], v[36:37], v[34:35]
	s_wait_dscnt 0x0
	s_delay_alu instid0(VALU_DEP_1) | instskip(NEXT) | instid1(VALU_DEP_1)
	v_add_f64_e32 v[34:35], v[94:95], v[34:35]
	v_add_f64_e32 v[42:43], v[96:97], v[34:35]
	ds_load_2addr_stride64_b64 v[34:37], v91 offset0:9 offset1:10
	ds_load_2addr_stride64_b64 v[94:97], v91 offset0:11 offset1:12
	s_wait_dscnt 0x1
	v_add_f64_e32 v[34:35], v[34:35], v[42:43]
	s_delay_alu instid0(VALU_DEP_1) | instskip(SKIP_1) | instid1(VALU_DEP_1)
	v_add_f64_e32 v[34:35], v[36:37], v[34:35]
	s_wait_dscnt 0x0
	v_add_f64_e32 v[34:35], v[94:95], v[34:35]
	s_delay_alu instid0(VALU_DEP_1) | instskip(SKIP_4) | instid1(VALU_DEP_1)
	v_add_f64_e32 v[42:43], v[96:97], v[34:35]
	ds_load_2addr_stride64_b64 v[34:37], v91 offset0:13 offset1:14
	ds_load_b64 v[94:95], v91 offset:7680
	s_wait_dscnt 0x1
	v_add_f64_e32 v[34:35], v[34:35], v[42:43]
	v_add_f64_e32 v[34:35], v[36:37], v[34:35]
	s_wait_dscnt 0x0
	s_delay_alu instid0(VALU_DEP_1) | instskip(SKIP_1) | instid1(SALU_CYCLE_1)
	v_add_f64_e32 v[36:37], v[94:95], v[34:35]
	s_or_b32 exec_lo, exec_lo, s82
	s_and_b32 vcc_lo, exec_lo, s10
	s_cbranch_vccnz .LBB125_1037
	s_branch .LBB125_1095
.LBB125_1036:                           ;   in Loop: Header=BB125_3 Depth=1
	s_mov_b32 s65, 0
                                        ; implicit-def: $vgpr36_vgpr37
	s_cbranch_execz .LBB125_1095
.LBB125_1037:                           ;   in Loop: Header=BB125_3 Depth=1
	v_dual_mov_b32 v0, v2 :: v_dual_mov_b32 v34, v73
	s_mov_b32 s10, 0
	s_branch .LBB125_1039
.LBB125_1038:                           ;   in Loop: Header=BB125_1039 Depth=2
	s_or_b32 exec_lo, exec_lo, s11
	v_add_nc_u32_e32 v34, 0x800, v34
	v_add_nc_u32_e32 v0, -4, v0
	s_add_co_i32 s10, s10, 4
	s_delay_alu instid0(SALU_CYCLE_1)
	s_cmp_lg_u32 s10, 64
	s_barrier_signal -1
	s_barrier_wait -1
	s_cbranch_scc0 .LBB125_1055
.LBB125_1039:                           ;   Parent Loop BB125_3 Depth=1
                                        ; =>  This Inner Loop Header: Depth=2
	s_delay_alu instid0(VALU_DEP_1) | instskip(SKIP_2) | instid1(SALU_CYCLE_1)
	v_cmp_eq_u32_e32 vcc_lo, 0, v0
	v_add_nc_u32_e32 v35, v85, v48
	s_and_b32 s12, s2, vcc_lo
	s_and_saveexec_b32 s11, s12
	s_cbranch_execz .LBB125_1041
; %bb.1040:                             ;   in Loop: Header=BB125_1039 Depth=2
	ds_load_b64 v[36:37], v35
	s_wait_dscnt 0x0
	v_mul_f64_e32 v[40:41], v[40:41], v[36:37]
	ds_store_b64 v1, v[40:41] offset:41472
.LBB125_1041:                           ;   in Loop: Header=BB125_1039 Depth=2
	s_or_b32 exec_lo, exec_lo, s11
	v_cmp_lt_u32_e32 vcc_lo, s10, v2
	s_wait_dscnt 0x0
	s_barrier_signal -1
	s_barrier_wait -1
	s_and_b32 s12, s2, vcc_lo
	s_delay_alu instid0(SALU_CYCLE_1)
	s_and_saveexec_b32 s11, s12
	s_cbranch_execz .LBB125_1043
; %bb.1042:                             ;   in Loop: Header=BB125_1039 Depth=2
	ds_load_b64 v[36:37], v34
	ds_load_b64 v[42:43], v1 offset:41472
	s_wait_dscnt 0x0
	v_fmac_f64_e32 v[40:41], v[36:37], v[42:43]
.LBB125_1043:                           ;   in Loop: Header=BB125_1039 Depth=2
	s_or_b32 exec_lo, exec_lo, s11
	s_or_b32 s11, s10, 1
	s_delay_alu instid0(SALU_CYCLE_1) | instskip(SKIP_3) | instid1(SALU_CYCLE_1)
	v_cmp_eq_u32_e32 vcc_lo, s11, v2
	s_barrier_signal -1
	s_barrier_wait -1
	s_and_b32 s82, s2, vcc_lo
	s_and_saveexec_b32 s12, s82
	s_cbranch_execz .LBB125_1045
; %bb.1044:                             ;   in Loop: Header=BB125_1039 Depth=2
	ds_load_b64 v[36:37], v35
	s_wait_dscnt 0x0
	v_mul_f64_e32 v[40:41], v[40:41], v[36:37]
	ds_store_b64 v1, v[40:41] offset:41472
.LBB125_1045:                           ;   in Loop: Header=BB125_1039 Depth=2
	s_or_b32 exec_lo, exec_lo, s12
	v_cmp_lt_u32_e32 vcc_lo, s11, v2
	s_wait_dscnt 0x0
	s_barrier_signal -1
	s_barrier_wait -1
	s_and_b32 s12, s2, vcc_lo
	s_delay_alu instid0(SALU_CYCLE_1)
	s_and_saveexec_b32 s11, s12
	s_cbranch_execz .LBB125_1047
; %bb.1046:                             ;   in Loop: Header=BB125_1039 Depth=2
	ds_load_b64 v[36:37], v34 offset:512
	ds_load_b64 v[42:43], v1 offset:41472
	s_wait_dscnt 0x0
	v_fmac_f64_e32 v[40:41], v[36:37], v[42:43]
.LBB125_1047:                           ;   in Loop: Header=BB125_1039 Depth=2
	s_or_b32 exec_lo, exec_lo, s11
	s_or_b32 s11, s10, 2
	s_delay_alu instid0(SALU_CYCLE_1) | instskip(SKIP_3) | instid1(SALU_CYCLE_1)
	v_cmp_eq_u32_e32 vcc_lo, s11, v2
	s_barrier_signal -1
	s_barrier_wait -1
	s_and_b32 s82, s2, vcc_lo
	s_and_saveexec_b32 s12, s82
	s_cbranch_execz .LBB125_1049
; %bb.1048:                             ;   in Loop: Header=BB125_1039 Depth=2
	ds_load_b64 v[36:37], v35
	s_wait_dscnt 0x0
	v_mul_f64_e32 v[40:41], v[40:41], v[36:37]
	ds_store_b64 v1, v[40:41] offset:41472
.LBB125_1049:                           ;   in Loop: Header=BB125_1039 Depth=2
	s_or_b32 exec_lo, exec_lo, s12
	v_cmp_lt_u32_e32 vcc_lo, s11, v2
	s_wait_dscnt 0x0
	s_barrier_signal -1
	s_barrier_wait -1
	s_and_b32 s12, s2, vcc_lo
	s_delay_alu instid0(SALU_CYCLE_1)
	s_and_saveexec_b32 s11, s12
	s_cbranch_execz .LBB125_1051
; %bb.1050:                             ;   in Loop: Header=BB125_1039 Depth=2
	ds_load_b64 v[36:37], v34 offset:1024
	ds_load_b64 v[42:43], v1 offset:41472
	s_wait_dscnt 0x0
	v_fmac_f64_e32 v[40:41], v[36:37], v[42:43]
.LBB125_1051:                           ;   in Loop: Header=BB125_1039 Depth=2
	s_or_b32 exec_lo, exec_lo, s11
	s_or_b32 s11, s10, 3
	s_delay_alu instid0(SALU_CYCLE_1) | instskip(SKIP_3) | instid1(SALU_CYCLE_1)
	v_cmp_eq_u32_e32 vcc_lo, s11, v2
	s_barrier_signal -1
	s_barrier_wait -1
	s_and_b32 s82, s2, vcc_lo
	s_and_saveexec_b32 s12, s82
	s_cbranch_execz .LBB125_1053
; %bb.1052:                             ;   in Loop: Header=BB125_1039 Depth=2
	ds_load_b64 v[36:37], v35
	s_wait_dscnt 0x0
	v_mul_f64_e32 v[40:41], v[40:41], v[36:37]
	ds_store_b64 v1, v[40:41] offset:41472
.LBB125_1053:                           ;   in Loop: Header=BB125_1039 Depth=2
	s_or_b32 exec_lo, exec_lo, s12
	v_cmp_lt_u32_e32 vcc_lo, s11, v2
	s_wait_dscnt 0x0
	s_barrier_signal -1
	s_barrier_wait -1
	s_and_b32 s12, s2, vcc_lo
	s_delay_alu instid0(SALU_CYCLE_1)
	s_and_saveexec_b32 s11, s12
	s_cbranch_execz .LBB125_1038
; %bb.1054:                             ;   in Loop: Header=BB125_1039 Depth=2
	ds_load_b64 v[36:37], v34 offset:1536
	ds_load_b64 v[42:43], v1 offset:41472
	s_wait_dscnt 0x0
	v_fmac_f64_e32 v[40:41], v[36:37], v[42:43]
	s_branch .LBB125_1038
.LBB125_1055:                           ;   in Loop: Header=BB125_3 Depth=1
	s_and_b32 vcc_lo, exec_lo, s88
	s_mov_b32 s10, -1
	s_cbranch_vccz .LBB125_1057
; %bb.1056:                             ;   in Loop: Header=BB125_3 Depth=1
	s_and_not1_b32 s11, s65, exec_lo
	s_and_b32 s12, s2, exec_lo
	s_mov_b32 s10, 0
	s_or_b32 s65, s11, s12
.LBB125_1057:                           ;   in Loop: Header=BB125_3 Depth=1
	s_and_not1_b32 vcc_lo, exec_lo, s10
	s_cbranch_vccnz .LBB125_1059
; %bb.1058:                             ;   in Loop: Header=BB125_3 Depth=1
	v_readlane_b32 s11, v103, 6
	s_and_not1_b32 s10, s65, exec_lo
	s_and_b32 s11, s11, exec_lo
	s_delay_alu instid0(SALU_CYCLE_1)
	s_or_b32 s65, s10, s11
.LBB125_1059:                           ;   in Loop: Header=BB125_3 Depth=1
	v_mov_b64_e32 v[34:35], v[20:21]
	s_and_saveexec_b32 s10, s65
	s_cbranch_execnz .LBB125_1096
	s_branch .LBB125_1097
.LBB125_1060:                           ;   in Loop: Header=BB125_3 Depth=1
	s_mov_b32 s11, exec_lo
	v_readlane_b32 s12, v103, 15
	s_and_b32 s12, s11, s12
	s_delay_alu instid0(SALU_CYCLE_1)
	s_xor_b32 s11, s12, s11
	s_mov_b32 exec_lo, s12
	s_cbranch_execz .LBB125_1064
; %bb.1061:                             ;   in Loop: Header=BB125_3 Depth=1
	s_mov_b32 s12, exec_lo
	v_readlane_b32 s65, v102, 25
	s_and_b32 s65, s12, s65
	s_delay_alu instid0(SALU_CYCLE_1)
	s_mov_b32 exec_lo, s65
; %bb.1062:                             ;   in Loop: Header=BB125_3 Depth=1
	ds_store_b64 v77, v[24:25]
; %bb.1063:                             ;   in Loop: Header=BB125_3 Depth=1
	s_or_b32 exec_lo, exec_lo, s12
.LBB125_1064:                           ;   in Loop: Header=BB125_3 Depth=1
	s_and_not1_saveexec_b32 s11, s11
	s_cbranch_execz .LBB125_1066
; %bb.1065:                             ;   in Loop: Header=BB125_3 Depth=1
	v_lshl_add_u64 v[42:43], v[12:13], 3, v[40:41]
	flat_load_b64 v[42:43], v[42:43]
	s_wait_loadcnt_dscnt 0x0
	v_div_scale_f64 v[94:95], null, v[42:43], v[42:43], 1.0
	s_delay_alu instid0(VALU_DEP_1) | instskip(SKIP_1) | instid1(TRANS32_DEP_1)
	v_rcp_f64_e32 v[96:97], v[94:95]
	v_nop
	v_fma_f64 v[98:99], -v[94:95], v[96:97], 1.0
	s_delay_alu instid0(VALU_DEP_1) | instskip(NEXT) | instid1(VALU_DEP_1)
	v_fmac_f64_e32 v[96:97], v[96:97], v[98:99]
	v_fma_f64 v[98:99], -v[94:95], v[96:97], 1.0
	s_delay_alu instid0(VALU_DEP_1) | instskip(SKIP_1) | instid1(VALU_DEP_1)
	v_fmac_f64_e32 v[96:97], v[96:97], v[98:99]
	v_div_scale_f64 v[98:99], vcc_lo, 1.0, v[42:43], 1.0
	v_mul_f64_e32 v[100:101], v[98:99], v[96:97]
	s_delay_alu instid0(VALU_DEP_1) | instskip(NEXT) | instid1(VALU_DEP_1)
	v_fma_f64 v[94:95], -v[94:95], v[100:101], v[98:99]
	v_div_fmas_f64 v[94:95], v[94:95], v[96:97], v[100:101]
	s_delay_alu instid0(VALU_DEP_1)
	v_div_fixup_f64 v[42:43], v[94:95], v[42:43], 1.0
	ds_store_b64 v77, v[42:43]
.LBB125_1066:                           ;   in Loop: Header=BB125_3 Depth=1
	s_or_b32 exec_lo, exec_lo, s11
	s_and_not1_saveexec_b32 s10, s10
	s_cbranch_execz .LBB125_17
.LBB125_1067:                           ;   in Loop: Header=BB125_3 Depth=1
	v_lshl_add_u64 v[42:43], v[12:13], 3, v[40:41]
	flat_load_b64 v[42:43], v[42:43]
	s_wait_loadcnt_dscnt 0x0
	v_xor_b32_e32 v43, 0x80000000, v43
	ds_store_b64 v77, v[42:43]
	s_or_b32 exec_lo, exec_lo, s10
	s_and_saveexec_b32 s10, s7
	s_delay_alu instid0(SALU_CYCLE_1)
	s_xor_b32 s10, exec_lo, s10
	s_cbranch_execz .LBB125_18
.LBB125_1068:                           ;   in Loop: Header=BB125_3 Depth=1
	s_mov_b32 s11, exec_lo
	v_readlane_b32 s12, v103, 17
	s_and_b32 s12, s11, s12
	s_delay_alu instid0(SALU_CYCLE_1)
	s_xor_b32 s11, s12, s11
	s_mov_b32 exec_lo, s12
	s_cbranch_execz .LBB125_1072
; %bb.1069:                             ;   in Loop: Header=BB125_3 Depth=1
	s_mov_b32 s12, exec_lo
	v_readlane_b32 s65, v102, 26
	s_and_b32 s65, s12, s65
	s_delay_alu instid0(SALU_CYCLE_1)
	s_mov_b32 exec_lo, s65
; %bb.1070:                             ;   in Loop: Header=BB125_3 Depth=1
	ds_store_b64 v81, v[24:25]
; %bb.1071:                             ;   in Loop: Header=BB125_3 Depth=1
	s_or_b32 exec_lo, exec_lo, s12
.LBB125_1072:                           ;   in Loop: Header=BB125_3 Depth=1
	s_and_not1_saveexec_b32 s11, s11
	s_cbranch_execz .LBB125_1074
; %bb.1073:                             ;   in Loop: Header=BB125_3 Depth=1
	v_lshl_add_u64 v[42:43], v[14:15], 3, v[40:41]
	flat_load_b64 v[42:43], v[42:43]
	s_wait_loadcnt_dscnt 0x0
	v_div_scale_f64 v[94:95], null, v[42:43], v[42:43], 1.0
	s_delay_alu instid0(VALU_DEP_1) | instskip(SKIP_1) | instid1(TRANS32_DEP_1)
	v_rcp_f64_e32 v[96:97], v[94:95]
	v_nop
	v_fma_f64 v[98:99], -v[94:95], v[96:97], 1.0
	s_delay_alu instid0(VALU_DEP_1) | instskip(NEXT) | instid1(VALU_DEP_1)
	v_fmac_f64_e32 v[96:97], v[96:97], v[98:99]
	v_fma_f64 v[98:99], -v[94:95], v[96:97], 1.0
	s_delay_alu instid0(VALU_DEP_1) | instskip(SKIP_1) | instid1(VALU_DEP_1)
	v_fmac_f64_e32 v[96:97], v[96:97], v[98:99]
	v_div_scale_f64 v[98:99], vcc_lo, 1.0, v[42:43], 1.0
	v_mul_f64_e32 v[100:101], v[98:99], v[96:97]
	s_delay_alu instid0(VALU_DEP_1) | instskip(NEXT) | instid1(VALU_DEP_1)
	v_fma_f64 v[94:95], -v[94:95], v[100:101], v[98:99]
	v_div_fmas_f64 v[94:95], v[94:95], v[96:97], v[100:101]
	s_delay_alu instid0(VALU_DEP_1)
	v_div_fixup_f64 v[42:43], v[94:95], v[42:43], 1.0
	ds_store_b64 v81, v[42:43]
.LBB125_1074:                           ;   in Loop: Header=BB125_3 Depth=1
	s_or_b32 exec_lo, exec_lo, s11
	s_and_not1_saveexec_b32 s10, s10
	s_cbranch_execz .LBB125_19
.LBB125_1075:                           ;   in Loop: Header=BB125_3 Depth=1
	v_lshl_add_u64 v[42:43], v[14:15], 3, v[40:41]
	flat_load_b64 v[42:43], v[42:43]
	s_wait_loadcnt_dscnt 0x0
	v_xor_b32_e32 v43, 0x80000000, v43
	ds_store_b64 v81, v[42:43]
	s_or_b32 exec_lo, exec_lo, s10
	s_and_saveexec_b32 s10, s8
	s_delay_alu instid0(SALU_CYCLE_1)
	s_xor_b32 s10, exec_lo, s10
	s_cbranch_execz .LBB125_20
.LBB125_1076:                           ;   in Loop: Header=BB125_3 Depth=1
	s_mov_b32 s11, exec_lo
	v_readlane_b32 s12, v103, 19
	s_and_b32 s12, s11, s12
	s_delay_alu instid0(SALU_CYCLE_1)
	s_xor_b32 s11, s12, s11
	s_mov_b32 exec_lo, s12
	s_cbranch_execz .LBB125_1080
; %bb.1077:                             ;   in Loop: Header=BB125_3 Depth=1
	s_mov_b32 s12, exec_lo
	v_readlane_b32 s65, v102, 27
	s_and_b32 s65, s12, s65
	s_delay_alu instid0(SALU_CYCLE_1)
	s_mov_b32 exec_lo, s65
; %bb.1078:                             ;   in Loop: Header=BB125_3 Depth=1
	ds_store_b64 v82, v[24:25]
; %bb.1079:                             ;   in Loop: Header=BB125_3 Depth=1
	s_or_b32 exec_lo, exec_lo, s12
.LBB125_1080:                           ;   in Loop: Header=BB125_3 Depth=1
	s_and_not1_saveexec_b32 s11, s11
	s_cbranch_execz .LBB125_1082
; %bb.1081:                             ;   in Loop: Header=BB125_3 Depth=1
	v_lshl_add_u64 v[42:43], v[16:17], 3, v[40:41]
	flat_load_b64 v[42:43], v[42:43]
	s_wait_loadcnt_dscnt 0x0
	v_div_scale_f64 v[94:95], null, v[42:43], v[42:43], 1.0
	s_delay_alu instid0(VALU_DEP_1) | instskip(SKIP_1) | instid1(TRANS32_DEP_1)
	v_rcp_f64_e32 v[96:97], v[94:95]
	v_nop
	v_fma_f64 v[98:99], -v[94:95], v[96:97], 1.0
	s_delay_alu instid0(VALU_DEP_1) | instskip(NEXT) | instid1(VALU_DEP_1)
	v_fmac_f64_e32 v[96:97], v[96:97], v[98:99]
	v_fma_f64 v[98:99], -v[94:95], v[96:97], 1.0
	s_delay_alu instid0(VALU_DEP_1) | instskip(SKIP_1) | instid1(VALU_DEP_1)
	v_fmac_f64_e32 v[96:97], v[96:97], v[98:99]
	v_div_scale_f64 v[98:99], vcc_lo, 1.0, v[42:43], 1.0
	v_mul_f64_e32 v[100:101], v[98:99], v[96:97]
	s_delay_alu instid0(VALU_DEP_1) | instskip(NEXT) | instid1(VALU_DEP_1)
	v_fma_f64 v[94:95], -v[94:95], v[100:101], v[98:99]
	v_div_fmas_f64 v[94:95], v[94:95], v[96:97], v[100:101]
	s_delay_alu instid0(VALU_DEP_1)
	v_div_fixup_f64 v[42:43], v[94:95], v[42:43], 1.0
	ds_store_b64 v82, v[42:43]
.LBB125_1082:                           ;   in Loop: Header=BB125_3 Depth=1
	s_or_b32 exec_lo, exec_lo, s11
	s_and_not1_saveexec_b32 s10, s10
	s_cbranch_execz .LBB125_21
.LBB125_1083:                           ;   in Loop: Header=BB125_3 Depth=1
	v_lshl_add_u64 v[42:43], v[16:17], 3, v[40:41]
	flat_load_b64 v[42:43], v[42:43]
	s_wait_loadcnt_dscnt 0x0
	v_xor_b32_e32 v43, 0x80000000, v43
	ds_store_b64 v82, v[42:43]
	s_or_b32 exec_lo, exec_lo, s10
	s_and_saveexec_b32 s10, s9
	s_delay_alu instid0(SALU_CYCLE_1)
	s_xor_b32 s10, exec_lo, s10
	s_cbranch_execz .LBB125_22
.LBB125_1084:                           ;   in Loop: Header=BB125_3 Depth=1
	s_mov_b32 s11, exec_lo
	v_readlane_b32 s12, v103, 21
	s_and_b32 s12, s11, s12
	s_delay_alu instid0(SALU_CYCLE_1)
	s_xor_b32 s11, s12, s11
	s_mov_b32 exec_lo, s12
	s_cbranch_execz .LBB125_1088
; %bb.1085:                             ;   in Loop: Header=BB125_3 Depth=1
	s_mov_b32 s12, exec_lo
	v_readlane_b32 s65, v102, 28
	s_and_b32 s65, s12, s65
	s_delay_alu instid0(SALU_CYCLE_1)
	s_mov_b32 exec_lo, s65
; %bb.1086:                             ;   in Loop: Header=BB125_3 Depth=1
	ds_store_b64 v84, v[24:25]
; %bb.1087:                             ;   in Loop: Header=BB125_3 Depth=1
	s_or_b32 exec_lo, exec_lo, s12
.LBB125_1088:                           ;   in Loop: Header=BB125_3 Depth=1
	s_and_not1_saveexec_b32 s11, s11
	s_cbranch_execz .LBB125_1090
; %bb.1089:                             ;   in Loop: Header=BB125_3 Depth=1
	v_lshl_add_u64 v[42:43], v[18:19], 3, v[40:41]
	flat_load_b64 v[42:43], v[42:43]
	s_wait_loadcnt_dscnt 0x0
	v_div_scale_f64 v[94:95], null, v[42:43], v[42:43], 1.0
	s_delay_alu instid0(VALU_DEP_1) | instskip(SKIP_1) | instid1(TRANS32_DEP_1)
	v_rcp_f64_e32 v[96:97], v[94:95]
	v_nop
	v_fma_f64 v[98:99], -v[94:95], v[96:97], 1.0
	s_delay_alu instid0(VALU_DEP_1) | instskip(NEXT) | instid1(VALU_DEP_1)
	v_fmac_f64_e32 v[96:97], v[96:97], v[98:99]
	v_fma_f64 v[98:99], -v[94:95], v[96:97], 1.0
	s_delay_alu instid0(VALU_DEP_1) | instskip(SKIP_1) | instid1(VALU_DEP_1)
	v_fmac_f64_e32 v[96:97], v[96:97], v[98:99]
	v_div_scale_f64 v[98:99], vcc_lo, 1.0, v[42:43], 1.0
	v_mul_f64_e32 v[100:101], v[98:99], v[96:97]
	s_delay_alu instid0(VALU_DEP_1) | instskip(NEXT) | instid1(VALU_DEP_1)
	v_fma_f64 v[94:95], -v[94:95], v[100:101], v[98:99]
	v_div_fmas_f64 v[94:95], v[94:95], v[96:97], v[100:101]
	s_delay_alu instid0(VALU_DEP_1)
	v_div_fixup_f64 v[42:43], v[94:95], v[42:43], 1.0
	ds_store_b64 v84, v[42:43]
.LBB125_1090:                           ;   in Loop: Header=BB125_3 Depth=1
	s_or_b32 exec_lo, exec_lo, s11
	s_and_not1_saveexec_b32 s10, s10
	s_cbranch_execnz .LBB125_23
	s_branch .LBB125_24
.LBB125_1091:                           ;   in Loop: Header=BB125_3 Depth=1
	ds_load_b64 v[34:35], v92
	ds_load_b64 v[36:37], v86
	s_wait_dscnt 0x0
	v_fma_f64 v[34:35], v[34:35], v[36:37], 0
	s_or_b32 exec_lo, exec_lo, s10
	s_and_saveexec_b32 s10, s7
	s_cbranch_execz .LBB125_1031
.LBB125_1092:                           ;   in Loop: Header=BB125_3 Depth=1
	ds_load_b64 v[36:37], v92 offset:8192
	ds_load_b64 v[42:43], v86 offset:128
	s_wait_dscnt 0x0
	v_fmac_f64_e32 v[34:35], v[36:37], v[42:43]
	s_or_b32 exec_lo, exec_lo, s10
	s_and_saveexec_b32 s10, s8
	s_cbranch_execz .LBB125_1032
.LBB125_1093:                           ;   in Loop: Header=BB125_3 Depth=1
	ds_load_b64 v[36:37], v92 offset:16384
	ds_load_b64 v[42:43], v86 offset:256
	s_wait_dscnt 0x0
	v_fmac_f64_e32 v[34:35], v[36:37], v[42:43]
	s_or_b32 exec_lo, exec_lo, s10
	s_and_saveexec_b32 s10, s9
	s_cbranch_execnz .LBB125_1033
	s_branch .LBB125_1034
.LBB125_1094:                           ;   in Loop: Header=BB125_3 Depth=1
	s_or_b32 exec_lo, exec_lo, s82
	s_delay_alu instid0(SALU_CYCLE_1)
	s_and_b32 vcc_lo, exec_lo, s10
	s_cbranch_vccnz .LBB125_1037
.LBB125_1095:                           ;   in Loop: Header=BB125_3 Depth=1
	s_delay_alu instid0(VALU_DEP_1)
	v_mov_b64_e32 v[40:41], v[36:37]
	v_mov_b64_e32 v[34:35], v[22:23]
	s_and_saveexec_b32 s10, s65
	s_cbranch_execz .LBB125_1097
.LBB125_1096:                           ;   in Loop: Header=BB125_3 Depth=1
	s_delay_alu instid0(VALU_DEP_1)
	v_lshl_add_u64 v[34:35], v[34:35], 3, v[38:39]
	flat_store_b64 v[34:35], v[40:41]
.LBB125_1097:                           ;   in Loop: Header=BB125_3 Depth=1
	s_wait_xcnt 0x0
	s_or_b32 exec_lo, exec_lo, s10
	global_wb scope:SCOPE_DEV
	s_wait_storecnt_dscnt 0x0
	global_inv scope:SCOPE_DEV
	s_wait_loadcnt 0x0
	s_barrier_signal -1
	s_barrier_wait -1
	s_and_saveexec_b32 s10, s59
	s_cbranch_execz .LBB125_2
; %bb.1098:                             ;   in Loop: Header=BB125_3 Depth=1
	s_lshl_b64 s[82:83], s[66:67], 2
	s_delay_alu instid0(SALU_CYCLE_1)
	s_add_nc_u64 s[82:83], s[80:81], s[82:83]
	global_load_b32 v0, v1, s[82:83]
	s_wait_loadcnt 0x0
	v_add_nc_u32_e32 v0, 1, v0
	global_store_b32 v1, v0, s[82:83]
	s_branch .LBB125_2
.LBB125_1099:                           ;   in Loop: Header=BB125_3 Depth=1
	ds_load_b64 v[42:43], v53 offset:31680
	ds_load_b64 v[94:95], v52 offset:32744
	s_wait_dscnt 0x0
	v_fmac_f64_e32 v[40:41], v[42:43], v[94:95]
	s_or_b32 exec_lo, exec_lo, s11
	s_and_saveexec_b32 s11, s17
	s_cbranch_execz .LBB125_88
.LBB125_1100:                           ;   in Loop: Header=BB125_3 Depth=1
	ds_load_b64 v[42:43], v53 offset:32192
	ds_load_b64 v[94:95], v52 offset:32752
	s_wait_dscnt 0x0
	v_fmac_f64_e32 v[40:41], v[42:43], v[94:95]
	s_or_b32 exec_lo, exec_lo, s11
	s_and_saveexec_b32 s11, s1
	s_cbranch_execnz .LBB125_89
	s_branch .LBB125_90
.LBB125_1101:                           ;   in Loop: Header=BB125_3 Depth=1
	ds_load_b64 v[42:43], v59 offset:29568
	ds_load_b64 v[94:95], v58 offset:32712
	s_wait_dscnt 0x0
	v_fmac_f64_e32 v[40:41], v[42:43], v[94:95]
	s_or_b32 exec_lo, exec_lo, s11
	s_and_saveexec_b32 s11, s19
	s_cbranch_execz .LBB125_130
.LBB125_1102:                           ;   in Loop: Header=BB125_3 Depth=1
	ds_load_b64 v[42:43], v59 offset:30080
	ds_load_b64 v[94:95], v58 offset:32720
	s_wait_dscnt 0x0
	v_fmac_f64_e32 v[40:41], v[42:43], v[94:95]
	s_or_b32 exec_lo, exec_lo, s11
	s_and_saveexec_b32 s11, s20
	s_cbranch_execz .LBB125_131
.LBB125_1103:                           ;   in Loop: Header=BB125_3 Depth=1
	ds_load_b64 v[42:43], v59 offset:30592
	ds_load_b64 v[94:95], v58 offset:32728
	s_wait_dscnt 0x0
	v_fmac_f64_e32 v[40:41], v[42:43], v[94:95]
	s_or_b32 exec_lo, exec_lo, s11
	s_and_saveexec_b32 s11, s21
	s_cbranch_execz .LBB125_132
.LBB125_1104:                           ;   in Loop: Header=BB125_3 Depth=1
	ds_load_b64 v[42:43], v59 offset:31104
	ds_load_b64 v[94:95], v58 offset:32736
	s_wait_dscnt 0x0
	v_fmac_f64_e32 v[40:41], v[42:43], v[94:95]
	s_or_b32 exec_lo, exec_lo, s11
	s_and_saveexec_b32 s11, s22
	s_cbranch_execz .LBB125_133
.LBB125_1105:                           ;   in Loop: Header=BB125_3 Depth=1
	ds_load_b64 v[42:43], v59 offset:31616
	ds_load_b64 v[94:95], v58 offset:32744
	s_wait_dscnt 0x0
	v_fmac_f64_e32 v[40:41], v[42:43], v[94:95]
	s_or_b32 exec_lo, exec_lo, s11
	s_and_saveexec_b32 s11, s3
	s_cbranch_execz .LBB125_134
.LBB125_1106:                           ;   in Loop: Header=BB125_3 Depth=1
	ds_load_b64 v[42:43], v59 offset:32128
	ds_load_b64 v[94:95], v58 offset:32752
	s_wait_dscnt 0x0
	v_fmac_f64_e32 v[40:41], v[42:43], v[94:95]
	s_or_b32 exec_lo, exec_lo, s11
	s_and_saveexec_b32 s11, s17
	s_cbranch_execnz .LBB125_135
	s_branch .LBB125_136
.LBB125_1107:                           ;   in Loop: Header=BB125_3 Depth=1
	ds_load_b64 v[42:43], v53 offset:27520
	ds_load_b64 v[94:95], v52 offset:28584
	s_wait_dscnt 0x0
	v_fmac_f64_e32 v[40:41], v[42:43], v[94:95]
	s_or_b32 exec_lo, exec_lo, s11
	s_and_saveexec_b32 s11, s17
	s_cbranch_execz .LBB125_192
.LBB125_1108:                           ;   in Loop: Header=BB125_3 Depth=1
	ds_load_b64 v[42:43], v53 offset:28032
	ds_load_b64 v[94:95], v52 offset:28592
	s_wait_dscnt 0x0
	v_fmac_f64_e32 v[40:41], v[42:43], v[94:95]
	s_or_b32 exec_lo, exec_lo, s11
	s_and_saveexec_b32 s11, s1
	s_cbranch_execnz .LBB125_193
	s_branch .LBB125_194
.LBB125_1109:                           ;   in Loop: Header=BB125_3 Depth=1
	ds_load_b64 v[42:43], v63 offset:30464
	ds_load_b64 v[94:95], v62 offset:32728
	s_wait_dscnt 0x0
	v_fmac_f64_e32 v[40:41], v[42:43], v[94:95]
	s_or_b32 exec_lo, exec_lo, s10
	s_and_saveexec_b32 s10, s4
	s_cbranch_execz .LBB125_254
.LBB125_1110:                           ;   in Loop: Header=BB125_3 Depth=1
	ds_load_b64 v[42:43], v63 offset:30976
	ds_load_b64 v[94:95], v62 offset:32736
	s_wait_dscnt 0x0
	v_fmac_f64_e32 v[40:41], v[42:43], v[94:95]
	s_or_b32 exec_lo, exec_lo, s10
	s_and_saveexec_b32 s10, s19
	s_cbranch_execz .LBB125_255
.LBB125_1111:                           ;   in Loop: Header=BB125_3 Depth=1
	ds_load_b64 v[42:43], v63 offset:31488
	ds_load_b64 v[94:95], v62 offset:32744
	s_wait_dscnt 0x0
	v_fmac_f64_e32 v[40:41], v[42:43], v[94:95]
	s_or_b32 exec_lo, exec_lo, s10
	s_and_saveexec_b32 s10, s21
	s_cbranch_execz .LBB125_256
.LBB125_1112:                           ;   in Loop: Header=BB125_3 Depth=1
	ds_load_b64 v[42:43], v63 offset:32000
	ds_load_b64 v[94:95], v62 offset:32752
	s_wait_dscnt 0x0
	v_fmac_f64_e32 v[40:41], v[42:43], v[94:95]
	s_or_b32 exec_lo, exec_lo, s10
	s_and_saveexec_b32 s10, s3
	s_cbranch_execnz .LBB125_257
	s_branch .LBB125_258
.LBB125_1113:                           ;   in Loop: Header=BB125_3 Depth=1
	ds_load_b64 v[42:43], v53 offset:23360
	ds_load_b64 v[94:95], v52 offset:24424
	s_wait_dscnt 0x0
	v_fmac_f64_e32 v[40:41], v[42:43], v[94:95]
	s_or_b32 exec_lo, exec_lo, s11
	s_and_saveexec_b32 s11, s17
	s_cbranch_execz .LBB125_346
.LBB125_1114:                           ;   in Loop: Header=BB125_3 Depth=1
	ds_load_b64 v[42:43], v53 offset:23872
	ds_load_b64 v[94:95], v52 offset:24432
	s_wait_dscnt 0x0
	v_fmac_f64_e32 v[40:41], v[42:43], v[94:95]
	s_or_b32 exec_lo, exec_lo, s11
	s_and_saveexec_b32 s11, s1
	s_cbranch_execnz .LBB125_347
	s_branch .LBB125_348
.LBB125_1115:                           ;   in Loop: Header=BB125_3 Depth=1
	ds_load_b64 v[42:43], v59 offset:21248
	ds_load_b64 v[94:95], v58 offset:24392
	s_wait_dscnt 0x0
	v_fmac_f64_e32 v[40:41], v[42:43], v[94:95]
	s_or_b32 exec_lo, exec_lo, s11
	s_and_saveexec_b32 s11, s19
	s_cbranch_execz .LBB125_388
.LBB125_1116:                           ;   in Loop: Header=BB125_3 Depth=1
	ds_load_b64 v[42:43], v59 offset:21760
	ds_load_b64 v[94:95], v58 offset:24400
	s_wait_dscnt 0x0
	v_fmac_f64_e32 v[40:41], v[42:43], v[94:95]
	s_or_b32 exec_lo, exec_lo, s11
	s_and_saveexec_b32 s11, s20
	s_cbranch_execz .LBB125_389
.LBB125_1117:                           ;   in Loop: Header=BB125_3 Depth=1
	ds_load_b64 v[42:43], v59 offset:22272
	ds_load_b64 v[94:95], v58 offset:24408
	s_wait_dscnt 0x0
	v_fmac_f64_e32 v[40:41], v[42:43], v[94:95]
	s_or_b32 exec_lo, exec_lo, s11
	s_and_saveexec_b32 s11, s21
	s_cbranch_execz .LBB125_390
.LBB125_1118:                           ;   in Loop: Header=BB125_3 Depth=1
	ds_load_b64 v[42:43], v59 offset:22784
	ds_load_b64 v[94:95], v58 offset:24416
	s_wait_dscnt 0x0
	v_fmac_f64_e32 v[40:41], v[42:43], v[94:95]
	s_or_b32 exec_lo, exec_lo, s11
	s_and_saveexec_b32 s11, s22
	s_cbranch_execz .LBB125_391
.LBB125_1119:                           ;   in Loop: Header=BB125_3 Depth=1
	ds_load_b64 v[42:43], v59 offset:23296
	ds_load_b64 v[94:95], v58 offset:24424
	s_wait_dscnt 0x0
	v_fmac_f64_e32 v[40:41], v[42:43], v[94:95]
	s_or_b32 exec_lo, exec_lo, s11
	s_and_saveexec_b32 s11, s3
	s_cbranch_execz .LBB125_392
.LBB125_1120:                           ;   in Loop: Header=BB125_3 Depth=1
	ds_load_b64 v[42:43], v59 offset:23808
	ds_load_b64 v[94:95], v58 offset:24432
	s_wait_dscnt 0x0
	v_fmac_f64_e32 v[40:41], v[42:43], v[94:95]
	s_or_b32 exec_lo, exec_lo, s11
	s_and_saveexec_b32 s11, s17
	s_cbranch_execnz .LBB125_393
	s_branch .LBB125_394
.LBB125_1121:                           ;   in Loop: Header=BB125_3 Depth=1
	ds_load_b64 v[42:43], v53 offset:19200
	ds_load_b64 v[94:95], v52 offset:20264
	s_wait_dscnt 0x0
	v_fmac_f64_e32 v[40:41], v[42:43], v[94:95]
	s_or_b32 exec_lo, exec_lo, s11
	s_and_saveexec_b32 s11, s17
	s_cbranch_execz .LBB125_450
.LBB125_1122:                           ;   in Loop: Header=BB125_3 Depth=1
	ds_load_b64 v[42:43], v53 offset:19712
	ds_load_b64 v[94:95], v52 offset:20272
	s_wait_dscnt 0x0
	v_fmac_f64_e32 v[40:41], v[42:43], v[94:95]
	s_or_b32 exec_lo, exec_lo, s11
	s_and_saveexec_b32 s11, s1
	s_cbranch_execnz .LBB125_451
	s_branch .LBB125_452
.LBB125_1123:                           ;   in Loop: Header=BB125_3 Depth=1
	ds_load_b64 v[42:43], v67 offset:31232
	ds_load_b64 v[94:95], v68 offset:32744
	s_wait_dscnt 0x0
	v_fmac_f64_e32 v[40:41], v[42:43], v[94:95]
	s_or_b32 exec_lo, exec_lo, s10
	s_and_saveexec_b32 s10, s4
	s_cbranch_execz .LBB125_548
.LBB125_1124:                           ;   in Loop: Header=BB125_3 Depth=1
	ds_load_b64 v[42:43], v67 offset:31744
	ds_load_b64 v[94:95], v68 offset:32752
	s_wait_dscnt 0x0
	v_fmac_f64_e32 v[40:41], v[42:43], v[94:95]
	s_or_b32 exec_lo, exec_lo, s10
	s_and_saveexec_b32 s10, s21
	s_delay_alu instid0(SALU_CYCLE_1)
	s_xor_b32 s10, exec_lo, s10
	s_cbranch_execnz .LBB125_549
	s_branch .LBB125_550
.LBB125_1125:                           ;   in Loop: Header=BB125_3 Depth=1
	ds_load_b64 v[42:43], v53 offset:15040
	ds_load_b64 v[94:95], v52 offset:16104
	s_wait_dscnt 0x0
	v_fmac_f64_e32 v[40:41], v[42:43], v[94:95]
	s_or_b32 exec_lo, exec_lo, s11
	s_and_saveexec_b32 s11, s17
	s_cbranch_execz .LBB125_594
.LBB125_1126:                           ;   in Loop: Header=BB125_3 Depth=1
	ds_load_b64 v[42:43], v53 offset:15552
	ds_load_b64 v[94:95], v52 offset:16112
	s_wait_dscnt 0x0
	v_fmac_f64_e32 v[40:41], v[42:43], v[94:95]
	s_or_b32 exec_lo, exec_lo, s11
	s_and_saveexec_b32 s11, s1
	s_cbranch_execnz .LBB125_595
	s_branch .LBB125_596
.LBB125_1127:                           ;   in Loop: Header=BB125_3 Depth=1
	ds_load_b64 v[42:43], v59 offset:12928
	ds_load_b64 v[94:95], v58 offset:16072
	s_wait_dscnt 0x0
	v_fmac_f64_e32 v[40:41], v[42:43], v[94:95]
	s_or_b32 exec_lo, exec_lo, s11
	s_and_saveexec_b32 s11, s19
	s_cbranch_execz .LBB125_636
.LBB125_1128:                           ;   in Loop: Header=BB125_3 Depth=1
	ds_load_b64 v[42:43], v59 offset:13440
	ds_load_b64 v[94:95], v58 offset:16080
	s_wait_dscnt 0x0
	v_fmac_f64_e32 v[40:41], v[42:43], v[94:95]
	s_or_b32 exec_lo, exec_lo, s11
	s_and_saveexec_b32 s11, s20
	s_cbranch_execz .LBB125_637
.LBB125_1129:                           ;   in Loop: Header=BB125_3 Depth=1
	ds_load_b64 v[42:43], v59 offset:13952
	ds_load_b64 v[94:95], v58 offset:16088
	s_wait_dscnt 0x0
	v_fmac_f64_e32 v[40:41], v[42:43], v[94:95]
	s_or_b32 exec_lo, exec_lo, s11
	s_and_saveexec_b32 s11, s21
	s_cbranch_execz .LBB125_638
.LBB125_1130:                           ;   in Loop: Header=BB125_3 Depth=1
	ds_load_b64 v[42:43], v59 offset:14464
	ds_load_b64 v[94:95], v58 offset:16096
	s_wait_dscnt 0x0
	v_fmac_f64_e32 v[40:41], v[42:43], v[94:95]
	s_or_b32 exec_lo, exec_lo, s11
	s_and_saveexec_b32 s11, s22
	s_cbranch_execz .LBB125_639
.LBB125_1131:                           ;   in Loop: Header=BB125_3 Depth=1
	ds_load_b64 v[42:43], v59 offset:14976
	ds_load_b64 v[94:95], v58 offset:16104
	s_wait_dscnt 0x0
	v_fmac_f64_e32 v[40:41], v[42:43], v[94:95]
	s_or_b32 exec_lo, exec_lo, s11
	s_and_saveexec_b32 s11, s3
	s_cbranch_execz .LBB125_640
.LBB125_1132:                           ;   in Loop: Header=BB125_3 Depth=1
	ds_load_b64 v[42:43], v59 offset:15488
	ds_load_b64 v[94:95], v58 offset:16112
	s_wait_dscnt 0x0
	v_fmac_f64_e32 v[40:41], v[42:43], v[94:95]
	s_or_b32 exec_lo, exec_lo, s11
	s_and_saveexec_b32 s11, s17
	s_cbranch_execnz .LBB125_641
	s_branch .LBB125_642
.LBB125_1133:                           ;   in Loop: Header=BB125_3 Depth=1
	ds_load_b64 v[42:43], v53 offset:10880
	ds_load_b64 v[94:95], v52 offset:11944
	s_wait_dscnt 0x0
	v_fmac_f64_e32 v[40:41], v[42:43], v[94:95]
	s_or_b32 exec_lo, exec_lo, s11
	s_and_saveexec_b32 s11, s17
	s_cbranch_execz .LBB125_698
.LBB125_1134:                           ;   in Loop: Header=BB125_3 Depth=1
	ds_load_b64 v[42:43], v53 offset:11392
	ds_load_b64 v[94:95], v52 offset:11952
	s_wait_dscnt 0x0
	v_fmac_f64_e32 v[40:41], v[42:43], v[94:95]
	s_or_b32 exec_lo, exec_lo, s11
	s_and_saveexec_b32 s11, s1
	s_cbranch_execnz .LBB125_699
	s_branch .LBB125_700
.LBB125_1135:                           ;   in Loop: Header=BB125_3 Depth=1
	ds_load_b64 v[42:43], v63 offset:13824
	ds_load_b64 v[94:95], v62 offset:16088
	s_wait_dscnt 0x0
	v_fmac_f64_e32 v[40:41], v[42:43], v[94:95]
	s_or_b32 exec_lo, exec_lo, s10
	s_and_saveexec_b32 s10, s4
	s_cbranch_execz .LBB125_760
.LBB125_1136:                           ;   in Loop: Header=BB125_3 Depth=1
	ds_load_b64 v[42:43], v63 offset:14336
	ds_load_b64 v[94:95], v62 offset:16096
	s_wait_dscnt 0x0
	v_fmac_f64_e32 v[40:41], v[42:43], v[94:95]
	s_or_b32 exec_lo, exec_lo, s10
	s_and_saveexec_b32 s10, s19
	s_cbranch_execz .LBB125_761
.LBB125_1137:                           ;   in Loop: Header=BB125_3 Depth=1
	ds_load_b64 v[42:43], v63 offset:14848
	ds_load_b64 v[94:95], v62 offset:16104
	s_wait_dscnt 0x0
	v_fmac_f64_e32 v[40:41], v[42:43], v[94:95]
	s_or_b32 exec_lo, exec_lo, s10
	s_and_saveexec_b32 s10, s21
	s_cbranch_execz .LBB125_762
.LBB125_1138:                           ;   in Loop: Header=BB125_3 Depth=1
	ds_load_b64 v[42:43], v63 offset:15360
	ds_load_b64 v[94:95], v62 offset:16112
	s_wait_dscnt 0x0
	v_fmac_f64_e32 v[40:41], v[42:43], v[94:95]
	s_or_b32 exec_lo, exec_lo, s10
	s_and_saveexec_b32 s10, s3
	s_cbranch_execnz .LBB125_763
	s_branch .LBB125_764
.LBB125_1139:                           ;   in Loop: Header=BB125_3 Depth=1
	ds_load_b64 v[42:43], v53 offset:6720
	ds_load_b64 v[94:95], v52 offset:7784
	s_wait_dscnt 0x0
	v_fmac_f64_e32 v[40:41], v[42:43], v[94:95]
	s_or_b32 exec_lo, exec_lo, s11
	s_and_saveexec_b32 s11, s17
	s_cbranch_execz .LBB125_852
.LBB125_1140:                           ;   in Loop: Header=BB125_3 Depth=1
	ds_load_b64 v[42:43], v53 offset:7232
	ds_load_b64 v[94:95], v52 offset:7792
	s_wait_dscnt 0x0
	v_fmac_f64_e32 v[40:41], v[42:43], v[94:95]
	s_or_b32 exec_lo, exec_lo, s11
	s_and_saveexec_b32 s11, s1
	s_cbranch_execnz .LBB125_853
	s_branch .LBB125_854
.LBB125_1141:                           ;   in Loop: Header=BB125_3 Depth=1
	ds_load_b64 v[42:43], v59 offset:4608
	ds_load_b64 v[94:95], v58 offset:7752
	s_wait_dscnt 0x0
	v_fmac_f64_e32 v[40:41], v[42:43], v[94:95]
	s_or_b32 exec_lo, exec_lo, s11
	s_and_saveexec_b32 s11, s19
	s_cbranch_execz .LBB125_894
.LBB125_1142:                           ;   in Loop: Header=BB125_3 Depth=1
	ds_load_b64 v[42:43], v59 offset:5120
	ds_load_b64 v[94:95], v58 offset:7760
	s_wait_dscnt 0x0
	v_fmac_f64_e32 v[40:41], v[42:43], v[94:95]
	s_or_b32 exec_lo, exec_lo, s11
	s_and_saveexec_b32 s11, s20
	s_cbranch_execz .LBB125_895
.LBB125_1143:                           ;   in Loop: Header=BB125_3 Depth=1
	ds_load_b64 v[42:43], v59 offset:5632
	ds_load_b64 v[94:95], v58 offset:7768
	s_wait_dscnt 0x0
	v_fmac_f64_e32 v[40:41], v[42:43], v[94:95]
	s_or_b32 exec_lo, exec_lo, s11
	s_and_saveexec_b32 s11, s21
	s_cbranch_execz .LBB125_896
.LBB125_1144:                           ;   in Loop: Header=BB125_3 Depth=1
	ds_load_b64 v[42:43], v59 offset:6144
	ds_load_b64 v[94:95], v58 offset:7776
	s_wait_dscnt 0x0
	v_fmac_f64_e32 v[40:41], v[42:43], v[94:95]
	s_or_b32 exec_lo, exec_lo, s11
	s_and_saveexec_b32 s11, s22
	s_cbranch_execz .LBB125_897
.LBB125_1145:                           ;   in Loop: Header=BB125_3 Depth=1
	ds_load_b64 v[42:43], v59 offset:6656
	ds_load_b64 v[94:95], v58 offset:7784
	s_wait_dscnt 0x0
	v_fmac_f64_e32 v[40:41], v[42:43], v[94:95]
	s_or_b32 exec_lo, exec_lo, s11
	s_and_saveexec_b32 s11, s3
	s_cbranch_execz .LBB125_898
.LBB125_1146:                           ;   in Loop: Header=BB125_3 Depth=1
	ds_load_b64 v[42:43], v59 offset:7168
	ds_load_b64 v[94:95], v58 offset:7792
	s_wait_dscnt 0x0
	v_fmac_f64_e32 v[40:41], v[42:43], v[94:95]
	s_or_b32 exec_lo, exec_lo, s11
	s_and_saveexec_b32 s11, s17
	s_cbranch_execnz .LBB125_899
	s_branch .LBB125_900
.LBB125_1147:                           ;   in Loop: Header=BB125_3 Depth=1
	ds_load_b64 v[42:43], v53 offset:2560
	ds_load_b64 v[94:95], v52 offset:3624
	s_wait_dscnt 0x0
	v_fmac_f64_e32 v[40:41], v[42:43], v[94:95]
	s_or_b32 exec_lo, exec_lo, s11
	s_and_saveexec_b32 s11, s17
	s_cbranch_execz .LBB125_956
.LBB125_1148:                           ;   in Loop: Header=BB125_3 Depth=1
	ds_load_b64 v[42:43], v53 offset:3072
	ds_load_b64 v[94:95], v52 offset:3632
	s_wait_dscnt 0x0
	v_fmac_f64_e32 v[40:41], v[42:43], v[94:95]
	s_or_b32 exec_lo, exec_lo, s11
	s_and_saveexec_b32 s11, s1
	s_cbranch_execnz .LBB125_957
	s_branch .LBB125_958
.LBB125_1149:
	s_endpgm
	.section	.rodata,"a",@progbits
	.p2align	6, 0x0
	.amdhsa_kernel _ZL19rocblas_trsv_deviceILi64ELi16ELb0ELb1ELb0ELb0EdPKdPKS1_PKPdEviT7_lllT6_T8_lllPii
		.amdhsa_group_segment_fixed_size 41480
		.amdhsa_private_segment_fixed_size 0
		.amdhsa_kernarg_size 352
		.amdhsa_user_sgpr_count 2
		.amdhsa_user_sgpr_dispatch_ptr 0
		.amdhsa_user_sgpr_queue_ptr 0
		.amdhsa_user_sgpr_kernarg_segment_ptr 1
		.amdhsa_user_sgpr_dispatch_id 0
		.amdhsa_user_sgpr_kernarg_preload_length 0
		.amdhsa_user_sgpr_kernarg_preload_offset 0
		.amdhsa_user_sgpr_private_segment_size 0
		.amdhsa_wavefront_size32 1
		.amdhsa_uses_dynamic_stack 0
		.amdhsa_enable_private_segment 0
		.amdhsa_system_sgpr_workgroup_id_x 1
		.amdhsa_system_sgpr_workgroup_id_y 0
		.amdhsa_system_sgpr_workgroup_id_z 1
		.amdhsa_system_sgpr_workgroup_info 0
		.amdhsa_system_vgpr_workitem_id 1
		.amdhsa_next_free_vgpr 104
		.amdhsa_next_free_sgpr 105
		.amdhsa_named_barrier_count 0
		.amdhsa_reserve_vcc 1
		.amdhsa_float_round_mode_32 0
		.amdhsa_float_round_mode_16_64 0
		.amdhsa_float_denorm_mode_32 3
		.amdhsa_float_denorm_mode_16_64 3
		.amdhsa_fp16_overflow 0
		.amdhsa_memory_ordered 1
		.amdhsa_forward_progress 1
		.amdhsa_inst_pref_size 255
		.amdhsa_round_robin_scheduling 0
		.amdhsa_exception_fp_ieee_invalid_op 0
		.amdhsa_exception_fp_denorm_src 0
		.amdhsa_exception_fp_ieee_div_zero 0
		.amdhsa_exception_fp_ieee_overflow 0
		.amdhsa_exception_fp_ieee_underflow 0
		.amdhsa_exception_fp_ieee_inexact 0
		.amdhsa_exception_int_div_zero 0
	.end_amdhsa_kernel
	.section	.text._ZL19rocblas_trsv_deviceILi64ELi16ELb0ELb1ELb0ELb0EdPKdPKS1_PKPdEviT7_lllT6_T8_lllPii,"axG",@progbits,_ZL19rocblas_trsv_deviceILi64ELi16ELb0ELb1ELb0ELb0EdPKdPKS1_PKPdEviT7_lllT6_T8_lllPii,comdat
.Lfunc_end125:
	.size	_ZL19rocblas_trsv_deviceILi64ELi16ELb0ELb1ELb0ELb0EdPKdPKS1_PKPdEviT7_lllT6_T8_lllPii, .Lfunc_end125-_ZL19rocblas_trsv_deviceILi64ELi16ELb0ELb1ELb0ELb0EdPKdPKS1_PKPdEviT7_lllT6_T8_lllPii
                                        ; -- End function
	.set _ZL19rocblas_trsv_deviceILi64ELi16ELb0ELb1ELb0ELb0EdPKdPKS1_PKPdEviT7_lllT6_T8_lllPii.num_vgpr, 104
	.set _ZL19rocblas_trsv_deviceILi64ELi16ELb0ELb1ELb0ELb0EdPKdPKS1_PKPdEviT7_lllT6_T8_lllPii.num_agpr, 0
	.set _ZL19rocblas_trsv_deviceILi64ELi16ELb0ELb1ELb0ELb0EdPKdPKS1_PKPdEviT7_lllT6_T8_lllPii.numbered_sgpr, 105
	.set _ZL19rocblas_trsv_deviceILi64ELi16ELb0ELb1ELb0ELb0EdPKdPKS1_PKPdEviT7_lllT6_T8_lllPii.num_named_barrier, 0
	.set _ZL19rocblas_trsv_deviceILi64ELi16ELb0ELb1ELb0ELb0EdPKdPKS1_PKPdEviT7_lllT6_T8_lllPii.private_seg_size, 0
	.set _ZL19rocblas_trsv_deviceILi64ELi16ELb0ELb1ELb0ELb0EdPKdPKS1_PKPdEviT7_lllT6_T8_lllPii.uses_vcc, 1
	.set _ZL19rocblas_trsv_deviceILi64ELi16ELb0ELb1ELb0ELb0EdPKdPKS1_PKPdEviT7_lllT6_T8_lllPii.uses_flat_scratch, 0
	.set _ZL19rocblas_trsv_deviceILi64ELi16ELb0ELb1ELb0ELb0EdPKdPKS1_PKPdEviT7_lllT6_T8_lllPii.has_dyn_sized_stack, 0
	.set _ZL19rocblas_trsv_deviceILi64ELi16ELb0ELb1ELb0ELb0EdPKdPKS1_PKPdEviT7_lllT6_T8_lllPii.has_recursion, 0
	.set _ZL19rocblas_trsv_deviceILi64ELi16ELb0ELb1ELb0ELb0EdPKdPKS1_PKPdEviT7_lllT6_T8_lllPii.has_indirect_call, 0
	.section	.AMDGPU.csdata,"",@progbits
; Kernel info:
; codeLenInByte = 38272
; TotalNumSgprs: 107
; NumVgprs: 104
; ScratchSize: 0
; MemoryBound: 0
; FloatMode: 240
; IeeeMode: 1
; LDSByteSize: 41480 bytes/workgroup (compile time only)
; SGPRBlocks: 0
; VGPRBlocks: 6
; NumSGPRsForWavesPerEU: 107
; NumVGPRsForWavesPerEU: 104
; NamedBarCnt: 0
; Occupancy: 9
; WaveLimiterHint : 1
; COMPUTE_PGM_RSRC2:SCRATCH_EN: 0
; COMPUTE_PGM_RSRC2:USER_SGPR: 2
; COMPUTE_PGM_RSRC2:TRAP_HANDLER: 0
; COMPUTE_PGM_RSRC2:TGID_X_EN: 1
; COMPUTE_PGM_RSRC2:TGID_Y_EN: 0
; COMPUTE_PGM_RSRC2:TGID_Z_EN: 1
; COMPUTE_PGM_RSRC2:TIDIG_COMP_CNT: 1
	.section	.text._ZL19rocblas_trsv_deviceILi64ELi16ELb0ELb1ELb1ELb0EdPKdPKS1_PKPdEviT7_lllT6_T8_lllPii,"axG",@progbits,_ZL19rocblas_trsv_deviceILi64ELi16ELb0ELb1ELb1ELb0EdPKdPKS1_PKPdEviT7_lllT6_T8_lllPii,comdat
	.globl	_ZL19rocblas_trsv_deviceILi64ELi16ELb0ELb1ELb1ELb0EdPKdPKS1_PKPdEviT7_lllT6_T8_lllPii ; -- Begin function _ZL19rocblas_trsv_deviceILi64ELi16ELb0ELb1ELb1ELb0EdPKdPKS1_PKPdEviT7_lllT6_T8_lllPii
	.p2align	8
	.type	_ZL19rocblas_trsv_deviceILi64ELi16ELb0ELb1ELb1ELb0EdPKdPKS1_PKPdEviT7_lllT6_T8_lllPii,@function
_ZL19rocblas_trsv_deviceILi64ELi16ELb0ELb1ELb1ELb0EdPKdPKS1_PKPdEviT7_lllT6_T8_lllPii: ; @_ZL19rocblas_trsv_deviceILi64ELi16ELb0ELb1ELb1ELb0EdPKdPKS1_PKPdEviT7_lllT6_T8_lllPii
; %bb.0:
	s_load_b32 s6, s[0:1], 0x58
	s_bfe_u32 s2, ttmp6, 0x40014
	s_lshr_b32 s3, ttmp7, 16
	s_add_co_i32 s2, s2, 1
	s_bfe_u32 s5, ttmp6, 0x40008
	s_mul_i32 s4, s3, s2
	s_getreg_b32 s2, hwreg(HW_REG_IB_STS2, 6, 4)
	s_add_co_i32 s5, s5, s4
	s_cmp_eq_u32 s2, 0
	s_mov_b32 s67, 0
	s_cselect_b32 s66, s3, s5
                                        ; implicit-def: $vgpr103 : SGPR spill to VGPR lane
	s_wait_kmcnt 0x0
	s_cmp_ge_u32 s66, s6
	v_writelane_b32 v103, s6, 0
	s_cbranch_scc1 .LBB126_1149
; %bb.1:
	s_clause 0x2
	s_load_b32 s3, s[0:1], 0x6c
	s_load_b32 s85, s[0:1], 0x0
	s_load_b64 s[12:13], s[0:1], 0x18
	s_bfe_u32 s5, ttmp6, 0x4000c
	s_and_b32 s4, ttmp6, 15
	s_add_co_i32 s5, s5, 1
	s_load_b256 s[68:75], s[0:1], 0x28
	s_mul_i32 s5, ttmp9, s5
	s_load_b64 s[80:81], s[0:1], 0x50
	s_add_co_i32 s4, s4, s5
	s_cmp_eq_u32 s2, 0
	s_load_b128 s[76:79], s[0:1], 0x8
	s_cselect_b32 s86, ttmp9, s4
	v_bfe_u32 v44, v0, 10, 10
	v_and_b32_e32 v2, 0x3ff, v0
	v_mov_b32_e32 v1, 0
	v_sub_co_u32 v45, s5, s86, 1
	s_delay_alu instid0(VALU_DEP_4)
	v_dual_add_nc_u32 v25, 32, v44 :: v_dual_add_nc_u32 v26, 48, v44
	s_wait_kmcnt 0x0
	s_and_b32 s0, s3, 0xffff
	s_add_co_i32 s1, s85, -1
	s_ashr_i32 s2, s85, 31
	s_ashr_i32 s3, s1, 31
	s_lshr_b32 s2, s2, 26
	s_lshr_b32 s3, s3, 26
	s_add_co_i32 s2, s85, s2
	s_add_co_i32 s1, s1, s3
	s_and_not1_b32 s2, s2, 63
	s_ashr_i32 s1, s1, 6
	s_sub_co_i32 s15, s85, s2
	s_cmp_eq_u32 s1, s86
	v_lshlrev_b32_e32 v12, 6, v2
	s_cselect_b32 s1, -1, 0
	s_cmp_lg_u32 s15, 0
	v_dual_mov_b32 v5, v1 :: v_dual_mov_b32 v3, v1
	s_cselect_b32 s4, -1, 0
	s_lshl_b32 s16, s86, 6
	s_add_nc_u64 s[2:3], s[12:13], 1
	v_dual_add_nc_u32 v13, s16, v44 :: v_dual_add_nc_u32 v10, s16, v2
	s_and_b32 s11, s4, s1
	v_mad_u32_u24 v4, v44, s0, v2
	s_xor_b32 s0, s5, -1
	s_delay_alu instid0(VALU_DEP_2) | instskip(SKIP_3) | instid1(VALU_DEP_3)
	v_subrev_nc_u32_e32 v6, 64, v13
	v_dual_ashrrev_i32 v11, 31, v10 :: v_dual_add_nc_u32 v22, 16, v44
	s_xor_b32 s88, s11, -1
	v_mad_nc_u64_u32 v[18:19], s2, s16, v[2:3]
	v_dual_ashrrev_i32 v7, 31, v6 :: v_dual_add_nc_u32 v3, v44, v12
	v_lshl_add_u32 v34, v44, 6, v2
	s_cmp_lt_i32 s86, 5
	v_add_nc_u32_e32 v14, v22, v12
	s_cselect_b32 vcc_lo, -1, 0
	v_lshl_add_u32 v15, v22, 6, v2
	v_dual_cndmask_b32 v23, v34, v3, vcc_lo :: v_dual_lshrrev_b32 v3, 1, v34
	s_or_b32 vcc_lo, vcc_lo, s11
	s_ashr_i32 s17, s16, 31
	s_delay_alu instid0(VALU_DEP_2) | instskip(NEXT) | instid1(VALU_DEP_2)
	v_dual_cndmask_b32 v24, v15, v14, vcc_lo :: v_dual_lshrrev_b32 v14, 10, v0
	v_dual_lshlrev_b32 v15, 9, v3 :: v_dual_bitop2_b32 v16, 1, v0 bitop3:0x40
	v_lshlrev_b32_e32 v48, 3, v2
	s_mul_i32 s1, s2, s17
	s_delay_alu instid0(VALU_DEP_3) | instskip(NEXT) | instid1(VALU_DEP_3)
	v_bitop3_b32 v35, v0, v14, 0x3ff bitop3:0xa8
	v_dual_sub_nc_u32 v46, 0, v15 :: v_dual_lshlrev_b32 v47, 3, v16
	v_lshrrev_b32_e32 v14, 2, v34
	s_mul_i32 s2, s3, s16
	v_cmp_eq_u32_e64 s3, 1, v16
	v_add3_u32 v19, s1, s2, v19
	v_cmp_gt_u32_e64 s1, 4, v34
	v_cmp_eq_u32_e64 s4, 0, v16
	v_cmp_eq_u32_e64 s2, 0, v44
	v_cmp_gt_u32_e64 s5, 2, v2
	v_dual_sub_nc_u32 v49, v47, v15 :: v_dual_lshlrev_b32 v16, 9, v14
	v_and_b32_e32 v17, 3, v0
	s_and_b32 s90, s3, s1
	s_and_b32 s91, s4, s1
	;; [unrolled: 1-line block ×3, first 2 shown]
	v_cmp_gt_u32_e64 s3, 16, v34
	v_cmp_eq_u32_e64 s4, 3, v17
	v_cmp_ne_u32_e64 s5, 3, v17
	v_dual_sub_nc_u32 v52, 0, v16 :: v_dual_lshlrev_b32 v53, 3, v17
	v_cmp_gt_u32_e64 s6, 2, v17
	s_and_b32 s93, s4, s3
	v_cmp_eq_u32_e64 s4, 2, v17
	v_cmp_eq_u32_e64 s7, 1, v17
	s_and_b32 s94, s5, s3
	v_cmp_eq_u32_e64 s5, 0, v17
	v_dual_lshlrev_b32 v17, 6, v34 :: v_dual_sub_nc_u32 v55, v53, v16
	s_and_b32 s95, s4, s3
	v_cmp_gt_u32_e64 s4, 4, v2
	v_and_b32_e32 v20, 7, v0
	s_delay_alu instid0(VALU_DEP_3)
	v_and_b32_e32 v17, 0xfffffe00, v17
	v_and_b32_e32 v16, -8, v34
	s_and_b32 s98, s5, s3
	s_and_b32 s99, s2, s4
	v_cmp_gt_u32_e64 s4, 64, v34
	v_sub_nc_u32_e32 v58, 0, v17
	v_add_nc_u32_e32 v57, 0x8000, v16
	v_lshrrev_b32_e32 v16, 4, v34
	v_cmp_eq_u32_e64 s5, 7, v20
	s_and_b32 s96, s6, s3
	v_cmp_ne_u32_e64 s6, 7, v20
	s_and_b32 s97, s7, s3
	v_cmp_eq_u32_e64 s7, 6, v20
	s_and_b32 s100, s5, s4
	v_cmp_gt_u32_e64 s5, 6, v20
	s_and_b32 s101, s6, s4
	v_cmp_eq_u32_e64 s6, 5, v20
	s_and_b32 s102, s7, s4
	v_cmp_gt_u32_e64 s7, 5, v20
	;; [unrolled: 4-line block ×3, first 2 shown]
	s_and_b32 vcc_hi, s7, s4
	v_cmp_eq_u32_e64 s7, 3, v20
	s_and_b32 s36, s5, s4
	v_cmp_gt_u32_e64 s5, 3, v20
	s_and_b32 s37, s6, s4
	v_cmp_eq_u32_e64 s6, 2, v20
	v_lshlrev_b32_e32 v59, 3, v20
	s_and_b32 s38, s7, s4
	s_and_b32 s39, s5, s4
	v_cmp_eq_u32_e64 s5, 1, v20
	v_cmp_gt_u32_e64 s7, 2, v20
	s_and_b32 s40, s6, s4
	v_cmp_eq_u32_e64 s6, 0, v20
	v_and_b32_e32 v20, 15, v0
	s_and_b32 s42, s5, s4
	v_cmp_gt_u32_e64 s5, 8, v2
	v_dual_sub_nc_u32 v60, v59, v17 :: v_dual_lshlrev_b32 v17, 9, v16
	s_and_b32 s43, s6, s4
	v_lshl_add_u32 v61, v16, 3, 0x8000
	s_and_b32 s44, s2, s5
	v_cmp_gt_u32_e64 s5, 0x100, v34
	v_lshrrev_b32_e32 v16, 5, v34
	v_cmp_eq_u32_e64 s6, 15, v20
	v_writelane_b32 v103, s0, 1
	s_and_b32 s41, s7, s4
	v_cmp_ne_u32_e64 s7, 15, v20
	v_cmp_eq_u32_e64 s8, 14, v20
	s_and_b32 s6, s6, s5
	v_cmp_gt_u32_e64 s10, 14, v20
	v_writelane_b32 v103, s6, 2
	s_and_b32 s6, s7, s5
	s_and_b32 s7, s8, s5
	v_cmp_eq_u32_e64 s8, 12, v20
	s_and_b32 s48, s10, s5
	v_writelane_b32 v103, s6, 3
	v_cmp_eq_u32_e64 s6, 13, v20
	v_cmp_eq_u32_e64 s10, 11, v20
	s_and_b32 s51, s8, s5
	v_cmp_gt_u32_e64 s8, 10, v20
	v_writelane_b32 v103, s7, 4
	s_and_b32 s49, s6, s5
	v_cmp_gt_u32_e64 s6, 12, v20
	v_cmp_gt_u32_e64 s7, 13, v20
	s_and_b32 s53, s10, s5
	v_cmp_gt_u32_e64 s10, 9, v20
	s_and_b32 s56, s8, s5
	s_and_b32 s52, s6, s5
	v_cmp_eq_u32_e64 s6, 10, v20
	s_and_b32 s50, s7, s5
	v_cmp_gt_u32_e64 s7, 11, v20
	s_and_b32 s58, s10, s5
	v_cmp_eq_u32_e64 s8, 7, v20
	s_and_b32 s55, s6, s5
	v_cmp_eq_u32_e64 s6, 8, v20
	;; [unrolled: 2-line block ×3, first 2 shown]
	v_cmp_eq_u32_e64 s10, 6, v20
	s_and_b32 s63, s8, s5
	s_and_b32 s61, s6, s5
	v_cmp_gt_u32_e64 s6, 7, v20
	s_and_b32 s57, s7, s5
	v_cmp_gt_u32_e64 s7, 8, v20
	;; [unrolled: 2-line block ×3, first 2 shown]
	s_and_b32 s64, s6, s5
	v_cmp_eq_u32_e64 s6, 5, v20
	s_and_b32 s62, s7, s5
	v_cmp_gt_u32_e64 s7, 6, v20
	v_cmp_gt_u32_e64 s10, 4, v20
	v_cmp_le_i32_e64 s14, s15, v2
	s_and_b32 s27, s6, s5
	v_cmp_eq_u32_e64 s6, 3, v20
	s_and_b32 s25, s7, s5
	v_cmp_eq_u32_e64 s7, 4, v20
	v_lshlrev_b32_e32 v63, 3, v20
	s_and_b32 s29, s8, s5
	s_and_b32 s24, s6, s5
	v_cmp_gt_u32_e64 s6, 2, v20
	s_and_b32 s31, s7, s5
	v_cmp_gt_u32_e64 s7, 3, v20
	s_and_b32 s34, s10, s5
	v_cmp_eq_u32_e64 s8, 2, v20
	s_and_b32 s30, s6, s5
	v_cmp_gt_u32_e64 s6, 16, v2
	s_and_b32 s26, s7, s5
	v_cmp_eq_u32_e64 s7, 0, v20
	v_cmp_eq_u32_e64 s10, 1, v20
	v_dual_sub_nc_u32 v65, v63, v17 :: v_dual_bitop2_b32 v64, 31, v0 bitop3:0x40
	s_and_b32 s84, s2, s6
	v_cmp_gt_u32_e64 s6, 32, v2
	s_and_b32 s45, s14, s11
	v_cmp_gt_i32_e64 s9, s15, v2
	v_lshl_add_u32 v51, v14, 3, 0x8000
	v_mul_i32_i24_e32 v14, 0xfffffe08, v2
	s_and_b32 s87, s7, s5
	s_xor_b32 s7, s45, -1
	s_and_b32 s6, s2, s6
	s_xor_b32 s89, vcc_lo, -1
	s_and_b32 s28, s8, s5
	s_and_b32 s33, s10, s5
	v_lshlrev_b32_e32 v0, 9, v16
	v_lshl_add_u32 v66, v16, 3, 0x8000
	v_dual_lshlrev_b32 v16, 9, v64 :: v_dual_lshlrev_b32 v67, 3, v64
	v_writelane_b32 v103, s6, 5
	s_and_b32 s46, s2, s7
	s_cmp_gt_i32 s86, 0
	v_mul_lo_u32 v14, v14, 6
	s_cselect_b32 s47, -1, 0
	s_and_b32 s9, s2, s9
	v_cmp_gt_i32_e64 s0, s85, v10
	v_sub_nc_u32_e32 v69, 0, v16
	v_writelane_b32 v103, s9, 6
	v_subrev_nc_u32_e32 v16, 48, v13
	v_cmp_gt_i32_e64 s9, s85, v6
	v_mul_u32_u24_e32 v15, 0x1f8, v2
	v_sub_nc_u32_e32 v62, 0, v17
	v_subrev_nc_u32_e32 v17, 32, v13
	v_cmp_gt_i32_e64 s10, s85, v16
	s_and_b32 s9, s9, s0
	v_add_nc_u32_e32 v13, -16, v13
	v_writelane_b32 v103, s9, 7
	v_mad_u32 v16, v15, 7, v14
	v_dual_add_nc_u32 v14, v25, v12 :: v_dual_add_nc_u32 v12, v26, v12
	v_lshl_add_u32 v15, v25, 6, v2
	v_lshl_add_u32 v27, v26, 6, v2
	v_cmp_gt_i32_e64 s11, s85, v17
	s_and_b32 s9, s10, s0
	v_cmp_ge_u32_e64 s6, v2, v44
	v_writelane_b32 v103, s9, 8
	v_cndmask_b32_e32 v28, v15, v14, vcc_lo
	v_dual_cndmask_b32 v27, v27, v12, vcc_lo :: v_dual_lshlrev_b32 v77, 3, v23
	v_cmp_gt_i32_e32 vcc_lo, s85, v13
	s_and_b32 s9, s11, s0
	v_cmp_ge_u32_e64 s7, v2, v22
	v_writelane_b32 v103, s9, 9
	v_cmp_ge_u32_e64 s8, v2, v25
	s_and_b32 s9, vcc_lo, s0
	v_cmp_le_i32_e32 vcc_lo, s15, v44
	v_mul_u32_u24_e32 v17, 0x1f0, v2
	v_writelane_b32 v103, s9, 10
	s_movk_i32 s9, 0x3800
	v_dual_sub_nc_u32 v68, 0, v0 :: v_dual_sub_nc_u32 v70, v67, v0
	v_mad_u32_u24 v79, 0x208, v64, s9
	v_cmp_le_i32_e64 s9, s15, v22
	s_or_b32 s10, vcc_lo, s14
	v_cmp_le_i32_e32 vcc_lo, s15, v25
	s_or_b32 s10, s10, s6
	v_dual_add_nc_u32 v0, s16, v4 :: v_dual_sub_nc_u32 v73, v16, v17
	v_writelane_b32 v103, s10, 11
	s_or_b32 s11, s9, s14
	v_cmp_le_i32_e64 s10, s15, v26
	s_or_b32 s11, s11, s7
	v_cmp_ge_u32_e64 s9, v2, v26
	v_writelane_b32 v103, s11, 12
	s_or_b32 s11, vcc_lo, s14
	s_or_b32 s10, s10, s14
	s_or_b32 s11, s11, s8
	;; [unrolled: 1-line block ×3, first 2 shown]
	v_writelane_b32 v103, s11, 13
	v_cmp_ne_u32_e64 s11, v2, v22
	v_mad_nc_u64_u32 v[12:13], s12, v44, v[18:19]
	v_mad_nc_u64_u32 v[14:15], s12, v22, v[18:19]
	;; [unrolled: 1-line block ×3, first 2 shown]
	v_writelane_b32 v103, s10, 14
	v_cmp_ne_u32_e64 s10, v2, v44
	v_mad_nc_u64_u32 v[18:19], s12, v26, v[18:19]
	v_mul_u64_e32 v[8:9], s[12:13], v[10:11]
	v_cmp_ne_u32_e64 s12, v2, v25
                                        ; implicit-def: $vgpr102 : SGPR spill to VGPR lane
	v_mad_u32_u24 v50, 0x1f8, v2, v48
	v_writelane_b32 v103, s10, 15
	s_or_b32 s10, s14, s10
	v_mad_u32 v13, s13, v44, v13
	v_mad_u32 v15, s13, v22, v15
	;; [unrolled: 1-line block ×3, first 2 shown]
	v_writelane_b32 v103, s10, 16
	s_or_b32 s10, s14, s11
	v_mad_u32 v19, s13, v26, v19
	v_cmp_ne_u32_e64 s13, v2, v26
	v_mad_i32_i24 v54, 0xfffffe08, v2, v50
	v_writelane_b32 v103, s11, 17
	v_add_nc_u64_e32 v[20:21], s[16:17], v[4:5]
	v_dual_lshlrev_b32 v23, 3, v44 :: v_dual_bitop2_b32 v37, v25, v2 bitop3:0x54
	s_delay_alu instid0(VALU_DEP_4)
	v_mad_u32_u24 v56, 0x1f8, v2, v54
	v_writelane_b32 v103, s10, 18
	s_or_b32 s10, s14, s12
	v_mul_u64_e32 v[10:11], s[74:75], v[10:11]
	v_mul_u64_e32 v[20:21], s[74:75], v[20:21]
	v_mad_i32_i24 v5, 0xfffffe08, v2, v56
	v_writelane_b32 v103, s12, 19
	v_dual_lshlrev_b32 v81, 3, v24 :: v_dual_bitop2_b32 v36, v22, v2 bitop3:0x54
	v_or_b32_e32 v86, 0xa000, v23
	s_delay_alu instid0(VALU_DEP_4)
	v_mad_u32_u24 v71, 0x1f8, v2, v5
	v_writelane_b32 v103, s10, 20
	s_or_b32 s10, s14, s13
	v_or_b32_e32 v38, v26, v2
	v_cmp_lt_u32_e32 vcc_lo, 0x3ff, v34
	v_mad_i32_i24 v72, 0xfffffe08, v2, v71
	v_writelane_b32 v103, s13, 21
	v_mov_b64_e32 v[24:25], 0
	v_lshl_add_u32 v3, v3, 3, 0x8000
	v_dual_lshlrev_b32 v82, 3, v28 :: v_dual_lshlrev_b32 v84, 3, v27
	v_writelane_b32 v103, s10, 22
	v_cmp_gt_u32_e64 s10, 0xf0, v34
	v_mad_u32_u24 v74, 0x1f8, v2, v72
	v_mul_u32_u24_e32 v88, 0x208, v64
	v_lshl_add_u32 v89, v4, 3, 0xa000
	v_lshl_add_u32 v90, v34, 3, 0x8000
	v_writelane_b32 v103, s10, 23
	v_cmp_gt_u32_e64 s10, 0xe0, v34
	v_mad_i32_i24 v75, 0xfffffe08, v2, v74
	v_add_nc_u32_e32 v91, 0x8000, v48
	v_add_nc_u32_e32 v93, v86, v48
	v_cmp_eq_u32_e64 s14, 0, v35
	v_writelane_b32 v103, s10, 24
	v_cmp_gt_u32_e64 s10, 0xd0, v34
	v_mad_u32_u24 v76, 0x1f8, v2, v75
	v_cmp_gt_u32_e64 s15, 2, v34
	v_cmp_gt_u32_e64 s16, 12, v34
	;; [unrolled: 1-line block ×3, first 2 shown]
	v_writelane_b32 v103, s10, 25
	v_cmp_gt_u32_e64 s10, 0xc0, v34
	v_mad_i32_i24 v78, 0xfffffe08, v2, v76
	v_cmp_gt_u32_e64 s18, 56, v34
	v_cmp_gt_u32_e64 s19, 48, v34
	;; [unrolled: 1-line block ×3, first 2 shown]
	v_writelane_b32 v103, s10, 26
	v_cmp_gt_u32_e64 s10, 0xb0, v34
	v_mad_u32_u24 v80, 0x1f8, v2, v78
	v_lshl_add_u32 v92, v44, 9, v78
	v_cmp_gt_u32_e64 s21, 32, v34
	v_cmp_gt_u32_e64 s22, 24, v34
	v_writelane_b32 v103, s10, 27
	v_cmp_gt_u32_e64 s10, 0xa0, v34
	v_mad_i32_i24 v83, 0xfffffe08, v2, v80
	v_cmp_gt_u32_e64 s35, 0x400, v34
	v_cmp_eq_u32_e64 s59, 0, v4
	v_cmp_gt_u32_e64 s60, 64, v4
	v_writelane_b32 v103, s10, 28
	v_cmp_gt_u32_e64 s10, 0x90, v34
	v_mad_u32_u24 v85, 0x1f8, v2, v83
	s_xor_b32 s13, vcc_lo, -1
	s_lshl_b64 s[78:79], s[78:79], 3
	s_lshl_b64 s[72:73], s[72:73], 3
	v_writelane_b32 v103, s10, 29
	v_cmp_gt_u32_e64 s10, 0x80, v34
	v_add_nc_u32_e32 v87, v85, v23
	v_mul_u64_e32 v[22:23], s[74:75], v[0:1]
                                        ; implicit-def: $vgpr26_vgpr27
                                        ; implicit-def: $vgpr28_vgpr29
                                        ; implicit-def: $vgpr30_vgpr31
                                        ; implicit-def: $vgpr32_vgpr33
	s_delay_alu instid0(VALU_DEP_3) | instskip(SKIP_1) | instid1(VALU_DEP_1)
	v_writelane_b32 v103, s10, 30
	v_cmp_gt_u32_e64 s10, 0x70, v34
	v_writelane_b32 v103, s10, 31
	v_cmp_gt_u32_e64 s10, 0x60, v34
	s_delay_alu instid0(VALU_DEP_1) | instskip(SKIP_1) | instid1(VALU_DEP_1)
	v_writelane_b32 v102, s10, 0
	v_cmp_gt_u32_e64 s10, 0x50, v34
	v_writelane_b32 v102, s10, 1
	v_cmp_gt_u32_e64 s10, 0x3e0, v34
	s_delay_alu instid0(VALU_DEP_1) | instskip(SKIP_1) | instid1(VALU_DEP_1)
	;; [unrolled: 5-line block ×14, first 2 shown]
	v_writelane_b32 v102, s10, 26
	v_cmp_gt_u32_e64 s10, 64, v37
	v_writelane_b32 v102, s10, 27
	v_cmp_gt_u32_e64 s10, 64, v38
	s_delay_alu instid0(VALU_DEP_1)
	v_writelane_b32 v102, s10, 28
	s_branch .LBB126_3
.LBB126_2:                              ;   in Loop: Header=BB126_3 Depth=1
	s_wait_xcnt 0x0
	s_or_b32 exec_lo, exec_lo, s10
	v_readlane_b32 s10, v103, 0
	s_add_co_i32 s66, s66, 0x10000
	global_wb scope:SCOPE_DEV
	s_wait_storecnt 0x0
	global_inv scope:SCOPE_DEV
	s_cmp_lt_u32 s66, s10
	s_cbranch_scc0 .LBB126_1149
.LBB126_3:                              ; =>This Loop Header: Depth=1
                                        ;     Child Loop BB126_553 Depth 2
                                        ;     Child Loop BB126_1002 Depth 2
                                        ;       Child Loop BB126_1004 Depth 3
                                        ;     Child Loop BB126_1039 Depth 2
	v_mov_b32_e32 v0, s66
	v_readlane_b32 s10, v103, 1
	s_clause 0x1
	global_load_b64 v[34:35], v0, s[76:77] scale_offset
	global_load_b64 v[38:39], v0, s[70:71] scale_offset
	global_load_b64 v[36:37], v1, s[68:69]
	s_and_not1_b32 vcc_lo, exec_lo, s10
	s_wait_loadcnt 0x2
	v_add_nc_u64_e32 v[40:41], s[78:79], v[34:35]
	s_delay_alu instid0(VALU_DEP_1)
	v_lshl_add_u64 v[34:35], v[8:9], 3, v[40:41]
	s_cbranch_vccz .LBB126_6
; %bb.4:                                ;   in Loop: Header=BB126_3 Depth=1
	s_and_not1_b32 vcc_lo, exec_lo, s88
	s_mov_b32 s10, -1
	s_cbranch_vccz .LBB126_15
.LBB126_5:                              ;   in Loop: Header=BB126_3 Depth=1
	s_and_b32 vcc_lo, exec_lo, s10
	s_cbranch_vccnz .LBB126_25
	s_branch .LBB126_66
.LBB126_6:                              ;   in Loop: Header=BB126_3 Depth=1
	v_mov_b64_e32 v[28:29], 0
	v_mov_b64_e32 v[26:27], 0
	s_delay_alu instid0(VALU_DEP_3)
	v_lshl_add_u64 v[42:43], v[6:7], 3, v[34:35]
	s_wait_loadcnt 0x0
	s_barrier_signal -1
	s_barrier_wait -1
	s_wait_xcnt 0x0
	s_mov_b32 s10, exec_lo
	v_readlane_b32 s11, v103, 7
	s_and_b32 s11, s10, s11
	s_delay_alu instid0(SALU_CYCLE_1)
	s_mov_b32 exec_lo, s11
	s_cbranch_execz .LBB126_8
; %bb.7:                                ;   in Loop: Header=BB126_3 Depth=1
	flat_load_b64 v[26:27], v[42:43]
.LBB126_8:                              ;   in Loop: Header=BB126_3 Depth=1
	s_wait_xcnt 0x0
	s_or_b32 exec_lo, exec_lo, s10
	s_wait_loadcnt_dscnt 0x0
	s_barrier_signal -1
	s_barrier_wait -1
	s_mov_b32 s10, exec_lo
	v_readlane_b32 s11, v103, 8
	s_and_b32 s11, s10, s11
	s_delay_alu instid0(SALU_CYCLE_1)
	s_mov_b32 exec_lo, s11
	s_cbranch_execz .LBB126_10
; %bb.9:                                ;   in Loop: Header=BB126_3 Depth=1
	flat_load_b64 v[28:29], v[42:43] offset:128
.LBB126_10:                             ;   in Loop: Header=BB126_3 Depth=1
	s_wait_xcnt 0x0
	s_or_b32 exec_lo, exec_lo, s10
	v_mov_b64_e32 v[32:33], 0
	v_mov_b64_e32 v[30:31], 0
	s_wait_loadcnt_dscnt 0x0
	s_barrier_signal -1
	s_barrier_wait -1
	s_mov_b32 s10, exec_lo
	v_readlane_b32 s11, v103, 9
	s_and_b32 s11, s10, s11
	s_delay_alu instid0(SALU_CYCLE_1)
	s_mov_b32 exec_lo, s11
	s_cbranch_execz .LBB126_12
; %bb.11:                               ;   in Loop: Header=BB126_3 Depth=1
	flat_load_b64 v[30:31], v[42:43] offset:256
.LBB126_12:                             ;   in Loop: Header=BB126_3 Depth=1
	s_wait_xcnt 0x0
	s_or_b32 exec_lo, exec_lo, s10
	s_wait_loadcnt_dscnt 0x0
	s_barrier_signal -1
	s_barrier_wait -1
	s_mov_b32 s10, exec_lo
	v_readlane_b32 s11, v103, 10
	s_and_b32 s11, s10, s11
	s_delay_alu instid0(SALU_CYCLE_1)
	s_mov_b32 exec_lo, s11
	s_cbranch_execz .LBB126_14
; %bb.13:                               ;   in Loop: Header=BB126_3 Depth=1
	flat_load_b64 v[32:33], v[42:43] offset:384
.LBB126_14:                             ;   in Loop: Header=BB126_3 Depth=1
	s_wait_xcnt 0x0
	s_or_b32 exec_lo, exec_lo, s10
	s_delay_alu instid0(SALU_CYCLE_1)
	s_and_not1_b32 vcc_lo, exec_lo, s88
	s_mov_b32 s10, -1
	s_cbranch_vccnz .LBB126_5
.LBB126_15:                             ;   in Loop: Header=BB126_3 Depth=1
	s_wait_xcnt 0x0
	s_and_saveexec_b32 s10, s6
	s_delay_alu instid0(SALU_CYCLE_1)
	s_xor_b32 s10, exec_lo, s10
	s_cbranch_execnz .LBB126_1060
; %bb.16:                               ;   in Loop: Header=BB126_3 Depth=1
	s_and_not1_saveexec_b32 s10, s10
	s_cbranch_execnz .LBB126_1067
.LBB126_17:                             ;   in Loop: Header=BB126_3 Depth=1
	s_or_b32 exec_lo, exec_lo, s10
	s_and_saveexec_b32 s10, s7
	s_delay_alu instid0(SALU_CYCLE_1)
	s_xor_b32 s10, exec_lo, s10
	s_cbranch_execnz .LBB126_1068
.LBB126_18:                             ;   in Loop: Header=BB126_3 Depth=1
	s_and_not1_saveexec_b32 s10, s10
	s_cbranch_execnz .LBB126_1075
.LBB126_19:                             ;   in Loop: Header=BB126_3 Depth=1
	s_or_b32 exec_lo, exec_lo, s10
	s_and_saveexec_b32 s10, s8
	s_delay_alu instid0(SALU_CYCLE_1)
	s_xor_b32 s10, exec_lo, s10
	s_cbranch_execnz .LBB126_1076
.LBB126_20:                             ;   in Loop: Header=BB126_3 Depth=1
	s_and_not1_saveexec_b32 s10, s10
	s_cbranch_execnz .LBB126_1083
.LBB126_21:                             ;   in Loop: Header=BB126_3 Depth=1
	s_or_b32 exec_lo, exec_lo, s10
	s_and_saveexec_b32 s10, s9
	s_delay_alu instid0(SALU_CYCLE_1)
	s_xor_b32 s10, exec_lo, s10
	s_cbranch_execnz .LBB126_1084
.LBB126_22:                             ;   in Loop: Header=BB126_3 Depth=1
	s_and_not1_saveexec_b32 s10, s10
	s_cbranch_execz .LBB126_24
.LBB126_23:                             ;   in Loop: Header=BB126_3 Depth=1
	v_lshl_add_u64 v[42:43], v[18:19], 3, v[40:41]
	flat_load_b64 v[42:43], v[42:43]
	s_wait_loadcnt_dscnt 0x0
	v_xor_b32_e32 v43, 0x80000000, v43
	ds_store_b64 v84, v[42:43]
.LBB126_24:                             ;   in Loop: Header=BB126_3 Depth=1
	s_or_b32 exec_lo, exec_lo, s10
	s_branch .LBB126_66
.LBB126_25:                             ;   in Loop: Header=BB126_3 Depth=1
	s_wait_xcnt 0x0
	s_mov_b32 s10, exec_lo
	v_readlane_b32 s11, v103, 11
	s_and_b32 s11, s10, s11
	s_delay_alu instid0(SALU_CYCLE_1)
	s_xor_b32 s10, s11, s10
	s_mov_b32 exec_lo, s11
	s_cbranch_execz .LBB126_33
; %bb.26:                               ;   in Loop: Header=BB126_3 Depth=1
	s_mov_b32 s11, exec_lo
	v_readlane_b32 s12, v103, 16
	s_and_b32 s12, s11, s12
	s_delay_alu instid0(SALU_CYCLE_1)
	s_xor_b32 s11, s12, s11
	s_mov_b32 exec_lo, s12
	s_cbranch_execz .LBB126_30
; %bb.27:                               ;   in Loop: Header=BB126_3 Depth=1
	s_mov_b32 s12, exec_lo
	v_readlane_b32 s65, v102, 25
	s_and_b32 s65, s12, s65
	s_delay_alu instid0(SALU_CYCLE_1)
	s_mov_b32 exec_lo, s65
; %bb.28:                               ;   in Loop: Header=BB126_3 Depth=1
	ds_store_b64 v87, v[24:25]
; %bb.29:                               ;   in Loop: Header=BB126_3 Depth=1
	s_or_b32 exec_lo, exec_lo, s12
.LBB126_30:                             ;   in Loop: Header=BB126_3 Depth=1
	s_and_not1_saveexec_b32 s11, s11
	s_cbranch_execz .LBB126_32
; %bb.31:                               ;   in Loop: Header=BB126_3 Depth=1
	v_lshl_add_u64 v[42:43], v[12:13], 3, v[40:41]
	flat_load_b64 v[42:43], v[42:43]
	s_wait_loadcnt_dscnt 0x0
	v_div_scale_f64 v[94:95], null, v[42:43], v[42:43], 1.0
	s_delay_alu instid0(VALU_DEP_1) | instskip(SKIP_1) | instid1(TRANS32_DEP_1)
	v_rcp_f64_e32 v[96:97], v[94:95]
	v_nop
	v_fma_f64 v[98:99], -v[94:95], v[96:97], 1.0
	s_delay_alu instid0(VALU_DEP_1) | instskip(NEXT) | instid1(VALU_DEP_1)
	v_fmac_f64_e32 v[96:97], v[96:97], v[98:99]
	v_fma_f64 v[98:99], -v[94:95], v[96:97], 1.0
	s_delay_alu instid0(VALU_DEP_1) | instskip(SKIP_1) | instid1(VALU_DEP_1)
	v_fmac_f64_e32 v[96:97], v[96:97], v[98:99]
	v_div_scale_f64 v[98:99], vcc_lo, 1.0, v[42:43], 1.0
	v_mul_f64_e32 v[100:101], v[98:99], v[96:97]
	s_delay_alu instid0(VALU_DEP_1) | instskip(NEXT) | instid1(VALU_DEP_1)
	v_fma_f64 v[94:95], -v[94:95], v[100:101], v[98:99]
	v_div_fmas_f64 v[94:95], v[94:95], v[96:97], v[100:101]
	s_delay_alu instid0(VALU_DEP_1)
	v_div_fixup_f64 v[42:43], v[94:95], v[42:43], 1.0
	ds_store_b64 v87, v[42:43]
.LBB126_32:                             ;   in Loop: Header=BB126_3 Depth=1
	s_or_b32 exec_lo, exec_lo, s11
.LBB126_33:                             ;   in Loop: Header=BB126_3 Depth=1
	s_and_not1_saveexec_b32 s10, s10
	s_cbranch_execz .LBB126_35
; %bb.34:                               ;   in Loop: Header=BB126_3 Depth=1
	v_lshl_add_u64 v[42:43], v[12:13], 3, v[40:41]
	flat_load_b64 v[42:43], v[42:43]
	s_wait_loadcnt_dscnt 0x0
	v_xor_b32_e32 v43, 0x80000000, v43
	ds_store_b64 v87, v[42:43]
.LBB126_35:                             ;   in Loop: Header=BB126_3 Depth=1
	s_or_b32 exec_lo, exec_lo, s10
	s_delay_alu instid0(SALU_CYCLE_1) | instskip(SKIP_2) | instid1(SALU_CYCLE_1)
	s_mov_b32 s10, exec_lo
	v_readlane_b32 s11, v103, 12
	s_and_b32 s11, s10, s11
	s_xor_b32 s10, s11, s10
	s_mov_b32 exec_lo, s11
	s_cbranch_execz .LBB126_43
; %bb.36:                               ;   in Loop: Header=BB126_3 Depth=1
	s_mov_b32 s11, exec_lo
	v_readlane_b32 s12, v103, 18
	s_and_b32 s12, s11, s12
	s_delay_alu instid0(SALU_CYCLE_1)
	s_xor_b32 s11, s12, s11
	s_mov_b32 exec_lo, s12
	s_cbranch_execz .LBB126_40
; %bb.37:                               ;   in Loop: Header=BB126_3 Depth=1
	s_mov_b32 s12, exec_lo
	v_readlane_b32 s65, v102, 26
	s_and_b32 s65, s12, s65
	s_delay_alu instid0(SALU_CYCLE_1)
	s_mov_b32 exec_lo, s65
; %bb.38:                               ;   in Loop: Header=BB126_3 Depth=1
	ds_store_b64 v81, v[24:25]
; %bb.39:                               ;   in Loop: Header=BB126_3 Depth=1
	s_or_b32 exec_lo, exec_lo, s12
.LBB126_40:                             ;   in Loop: Header=BB126_3 Depth=1
	s_and_not1_saveexec_b32 s11, s11
	s_cbranch_execz .LBB126_42
; %bb.41:                               ;   in Loop: Header=BB126_3 Depth=1
	v_lshl_add_u64 v[42:43], v[14:15], 3, v[40:41]
	flat_load_b64 v[42:43], v[42:43]
	s_wait_loadcnt_dscnt 0x0
	v_div_scale_f64 v[94:95], null, v[42:43], v[42:43], 1.0
	s_delay_alu instid0(VALU_DEP_1) | instskip(SKIP_1) | instid1(TRANS32_DEP_1)
	v_rcp_f64_e32 v[96:97], v[94:95]
	v_nop
	v_fma_f64 v[98:99], -v[94:95], v[96:97], 1.0
	s_delay_alu instid0(VALU_DEP_1) | instskip(NEXT) | instid1(VALU_DEP_1)
	v_fmac_f64_e32 v[96:97], v[96:97], v[98:99]
	v_fma_f64 v[98:99], -v[94:95], v[96:97], 1.0
	s_delay_alu instid0(VALU_DEP_1) | instskip(SKIP_1) | instid1(VALU_DEP_1)
	v_fmac_f64_e32 v[96:97], v[96:97], v[98:99]
	v_div_scale_f64 v[98:99], vcc_lo, 1.0, v[42:43], 1.0
	v_mul_f64_e32 v[100:101], v[98:99], v[96:97]
	s_delay_alu instid0(VALU_DEP_1) | instskip(NEXT) | instid1(VALU_DEP_1)
	v_fma_f64 v[94:95], -v[94:95], v[100:101], v[98:99]
	v_div_fmas_f64 v[94:95], v[94:95], v[96:97], v[100:101]
	s_delay_alu instid0(VALU_DEP_1)
	v_div_fixup_f64 v[42:43], v[94:95], v[42:43], 1.0
	ds_store_b64 v81, v[42:43]
.LBB126_42:                             ;   in Loop: Header=BB126_3 Depth=1
	s_or_b32 exec_lo, exec_lo, s11
.LBB126_43:                             ;   in Loop: Header=BB126_3 Depth=1
	s_and_not1_saveexec_b32 s10, s10
	s_cbranch_execz .LBB126_45
; %bb.44:                               ;   in Loop: Header=BB126_3 Depth=1
	v_lshl_add_u64 v[42:43], v[14:15], 3, v[40:41]
	flat_load_b64 v[42:43], v[42:43]
	s_wait_loadcnt_dscnt 0x0
	v_xor_b32_e32 v43, 0x80000000, v43
	ds_store_b64 v81, v[42:43]
.LBB126_45:                             ;   in Loop: Header=BB126_3 Depth=1
	s_or_b32 exec_lo, exec_lo, s10
	s_delay_alu instid0(SALU_CYCLE_1) | instskip(SKIP_2) | instid1(SALU_CYCLE_1)
	s_mov_b32 s10, exec_lo
	v_readlane_b32 s11, v103, 13
	s_and_b32 s11, s10, s11
	s_xor_b32 s10, s11, s10
	s_mov_b32 exec_lo, s11
	s_cbranch_execz .LBB126_53
; %bb.46:                               ;   in Loop: Header=BB126_3 Depth=1
	s_mov_b32 s11, exec_lo
	v_readlane_b32 s12, v103, 20
	s_and_b32 s12, s11, s12
	s_delay_alu instid0(SALU_CYCLE_1)
	s_xor_b32 s11, s12, s11
	s_mov_b32 exec_lo, s12
	s_cbranch_execz .LBB126_50
; %bb.47:                               ;   in Loop: Header=BB126_3 Depth=1
	s_mov_b32 s12, exec_lo
	v_readlane_b32 s65, v102, 27
	s_and_b32 s65, s12, s65
	s_delay_alu instid0(SALU_CYCLE_1)
	s_mov_b32 exec_lo, s65
; %bb.48:                               ;   in Loop: Header=BB126_3 Depth=1
	ds_store_b64 v82, v[24:25]
; %bb.49:                               ;   in Loop: Header=BB126_3 Depth=1
	s_or_b32 exec_lo, exec_lo, s12
.LBB126_50:                             ;   in Loop: Header=BB126_3 Depth=1
	s_and_not1_saveexec_b32 s11, s11
	s_cbranch_execz .LBB126_52
; %bb.51:                               ;   in Loop: Header=BB126_3 Depth=1
	v_lshl_add_u64 v[42:43], v[16:17], 3, v[40:41]
	flat_load_b64 v[42:43], v[42:43]
	s_wait_loadcnt_dscnt 0x0
	v_div_scale_f64 v[94:95], null, v[42:43], v[42:43], 1.0
	s_delay_alu instid0(VALU_DEP_1) | instskip(SKIP_1) | instid1(TRANS32_DEP_1)
	v_rcp_f64_e32 v[96:97], v[94:95]
	v_nop
	v_fma_f64 v[98:99], -v[94:95], v[96:97], 1.0
	s_delay_alu instid0(VALU_DEP_1) | instskip(NEXT) | instid1(VALU_DEP_1)
	v_fmac_f64_e32 v[96:97], v[96:97], v[98:99]
	v_fma_f64 v[98:99], -v[94:95], v[96:97], 1.0
	s_delay_alu instid0(VALU_DEP_1) | instskip(SKIP_1) | instid1(VALU_DEP_1)
	v_fmac_f64_e32 v[96:97], v[96:97], v[98:99]
	v_div_scale_f64 v[98:99], vcc_lo, 1.0, v[42:43], 1.0
	v_mul_f64_e32 v[100:101], v[98:99], v[96:97]
	s_delay_alu instid0(VALU_DEP_1) | instskip(NEXT) | instid1(VALU_DEP_1)
	v_fma_f64 v[94:95], -v[94:95], v[100:101], v[98:99]
	v_div_fmas_f64 v[94:95], v[94:95], v[96:97], v[100:101]
	s_delay_alu instid0(VALU_DEP_1)
	v_div_fixup_f64 v[42:43], v[94:95], v[42:43], 1.0
	ds_store_b64 v82, v[42:43]
.LBB126_52:                             ;   in Loop: Header=BB126_3 Depth=1
	s_or_b32 exec_lo, exec_lo, s11
.LBB126_53:                             ;   in Loop: Header=BB126_3 Depth=1
	s_and_not1_saveexec_b32 s10, s10
	s_cbranch_execz .LBB126_55
; %bb.54:                               ;   in Loop: Header=BB126_3 Depth=1
	v_lshl_add_u64 v[42:43], v[16:17], 3, v[40:41]
	flat_load_b64 v[42:43], v[42:43]
	s_wait_loadcnt_dscnt 0x0
	v_xor_b32_e32 v43, 0x80000000, v43
	ds_store_b64 v82, v[42:43]
.LBB126_55:                             ;   in Loop: Header=BB126_3 Depth=1
	s_or_b32 exec_lo, exec_lo, s10
	s_delay_alu instid0(SALU_CYCLE_1) | instskip(SKIP_2) | instid1(SALU_CYCLE_1)
	s_mov_b32 s10, exec_lo
	v_readlane_b32 s11, v103, 14
	s_and_b32 s11, s10, s11
	s_xor_b32 s10, s11, s10
	s_mov_b32 exec_lo, s11
	s_cbranch_execz .LBB126_63
; %bb.56:                               ;   in Loop: Header=BB126_3 Depth=1
	s_mov_b32 s11, exec_lo
	v_readlane_b32 s12, v103, 22
	s_and_b32 s12, s11, s12
	s_delay_alu instid0(SALU_CYCLE_1)
	s_xor_b32 s11, s12, s11
	s_mov_b32 exec_lo, s12
	s_cbranch_execz .LBB126_60
; %bb.57:                               ;   in Loop: Header=BB126_3 Depth=1
	s_mov_b32 s12, exec_lo
	v_readlane_b32 s65, v102, 28
	s_and_b32 s65, s12, s65
	s_delay_alu instid0(SALU_CYCLE_1)
	s_mov_b32 exec_lo, s65
; %bb.58:                               ;   in Loop: Header=BB126_3 Depth=1
	ds_store_b64 v84, v[24:25]
; %bb.59:                               ;   in Loop: Header=BB126_3 Depth=1
	s_or_b32 exec_lo, exec_lo, s12
                                        ; implicit-def: $vgpr40_vgpr41
.LBB126_60:                             ;   in Loop: Header=BB126_3 Depth=1
	s_and_not1_saveexec_b32 s11, s11
	s_cbranch_execz .LBB126_62
; %bb.61:                               ;   in Loop: Header=BB126_3 Depth=1
	v_lshl_add_u64 v[40:41], v[18:19], 3, v[40:41]
	flat_load_b64 v[40:41], v[40:41]
	s_wait_loadcnt_dscnt 0x0
	v_div_scale_f64 v[42:43], null, v[40:41], v[40:41], 1.0
	s_delay_alu instid0(VALU_DEP_1) | instskip(SKIP_1) | instid1(TRANS32_DEP_1)
	v_rcp_f64_e32 v[94:95], v[42:43]
	v_nop
	v_fma_f64 v[96:97], -v[42:43], v[94:95], 1.0
	s_delay_alu instid0(VALU_DEP_1) | instskip(NEXT) | instid1(VALU_DEP_1)
	v_fmac_f64_e32 v[94:95], v[94:95], v[96:97]
	v_fma_f64 v[96:97], -v[42:43], v[94:95], 1.0
	s_delay_alu instid0(VALU_DEP_1) | instskip(SKIP_1) | instid1(VALU_DEP_1)
	v_fmac_f64_e32 v[94:95], v[94:95], v[96:97]
	v_div_scale_f64 v[96:97], vcc_lo, 1.0, v[40:41], 1.0
	v_mul_f64_e32 v[98:99], v[96:97], v[94:95]
	s_delay_alu instid0(VALU_DEP_1) | instskip(NEXT) | instid1(VALU_DEP_1)
	v_fma_f64 v[42:43], -v[42:43], v[98:99], v[96:97]
	v_div_fmas_f64 v[42:43], v[42:43], v[94:95], v[98:99]
	s_delay_alu instid0(VALU_DEP_1)
	v_div_fixup_f64 v[40:41], v[42:43], v[40:41], 1.0
	ds_store_b64 v84, v[40:41]
.LBB126_62:                             ;   in Loop: Header=BB126_3 Depth=1
	s_or_b32 exec_lo, exec_lo, s11
                                        ; implicit-def: $vgpr40_vgpr41
.LBB126_63:                             ;   in Loop: Header=BB126_3 Depth=1
	s_and_not1_saveexec_b32 s10, s10
	s_cbranch_execz .LBB126_65
; %bb.64:                               ;   in Loop: Header=BB126_3 Depth=1
	v_lshl_add_u64 v[40:41], v[18:19], 3, v[40:41]
	flat_load_b64 v[40:41], v[40:41]
	s_wait_loadcnt_dscnt 0x0
	v_xor_b32_e32 v41, 0x80000000, v41
	ds_store_b64 v84, v[40:41]
.LBB126_65:                             ;   in Loop: Header=BB126_3 Depth=1
	s_or_b32 exec_lo, exec_lo, s10
.LBB126_66:                             ;   in Loop: Header=BB126_3 Depth=1
	s_delay_alu instid0(SALU_CYCLE_1)
	s_and_not1_b32 vcc_lo, exec_lo, s89
	s_wait_loadcnt_dscnt 0x0
	s_barrier_signal -1
	s_barrier_wait -1
	s_cbranch_vccnz .LBB126_996
; %bb.67:                               ;   in Loop: Header=BB126_3 Depth=1
	s_wait_xcnt 0x0
	s_and_saveexec_b32 s10, s14
	s_cbranch_execz .LBB126_69
; %bb.68:                               ;   in Loop: Header=BB126_3 Depth=1
	ds_load_b128 v[40:43], v1 offset:32752
	ds_load_b64 v[94:95], v1 offset:32240
	v_add_nc_u32_e64 v0, 0x7800, 0
	s_wait_dscnt 0x0
	v_mul_f64_e32 v[42:43], v[94:95], v[42:43]
	s_delay_alu instid0(VALU_DEP_1)
	v_mul_f64_e32 v[40:41], v[40:41], v[42:43]
	ds_store_2addr_b64 v0, v[40:41], v[40:41] offset0:191 offset1:254
.LBB126_69:                             ;   in Loop: Header=BB126_3 Depth=1
	s_or_b32 exec_lo, exec_lo, s10
	v_mov_b64_e32 v[40:41], 0
	s_wait_dscnt 0x0
	s_barrier_signal -1
	s_barrier_wait -1
	global_wb scope:SCOPE_DEV
	s_wait_storecnt 0x0
	global_inv scope:SCOPE_DEV
	s_and_saveexec_b32 s10, s1
	s_cbranch_execz .LBB126_73
; %bb.70:                               ;   in Loop: Header=BB126_3 Depth=1
	ds_load_b64 v[40:41], v47 offset:32224
	ds_load_b64 v[42:43], v46 offset:32752
	s_wait_dscnt 0x0
	v_fma_f64 v[40:41], v[40:41], v[42:43], 0
	s_and_saveexec_b32 s11, s15
	s_cbranch_execz .LBB126_72
; %bb.71:                               ;   in Loop: Header=BB126_3 Depth=1
	ds_load_b64 v[42:43], v48 offset:32736
	ds_load_b64 v[94:95], v1 offset:32760
	s_wait_dscnt 0x0
	v_fmac_f64_e32 v[40:41], v[42:43], v[94:95]
.LBB126_72:                             ;   in Loop: Header=BB126_3 Depth=1
	s_or_b32 exec_lo, exec_lo, s11
.LBB126_73:                             ;   in Loop: Header=BB126_3 Depth=1
	s_delay_alu instid0(SALU_CYCLE_1)
	s_or_b32 exec_lo, exec_lo, s10
	s_and_saveexec_b32 s10, s90
	s_cbranch_execz .LBB126_75
; %bb.74:                               ;   in Loop: Header=BB126_3 Depth=1
	ds_load_b64 v[42:43], v1 offset:31720
	s_wait_dscnt 0x0
	v_mul_f64_e32 v[40:41], v[40:41], v[42:43]
	s_delay_alu instid0(VALU_DEP_1) | instskip(NEXT) | instid1(VALU_DEP_2)
	v_xor_b32_e32 v43, 0x80000000, v41
	v_mov_b32_e32 v42, v40
	ds_store_b64 v3, v[42:43]
.LBB126_75:                             ;   in Loop: Header=BB126_3 Depth=1
	s_or_b32 exec_lo, exec_lo, s10
	s_wait_loadcnt_dscnt 0x0
	s_barrier_signal -1
	s_barrier_wait -1
	s_and_saveexec_b32 s10, s91
	s_cbranch_execz .LBB126_77
; %bb.76:                               ;   in Loop: Header=BB126_3 Depth=1
	ds_load_b64 v[42:43], v1 offset:31712
	ds_load_b64 v[94:95], v3
	s_wait_dscnt 0x0
	v_fma_f64 v[40:41], -v[42:43], v[94:95], v[40:41]
.LBB126_77:                             ;   in Loop: Header=BB126_3 Depth=1
	s_or_b32 exec_lo, exec_lo, s10
	s_barrier_signal -1
	s_barrier_wait -1
	s_and_saveexec_b32 s10, s91
	s_cbranch_execz .LBB126_79
; %bb.78:                               ;   in Loop: Header=BB126_3 Depth=1
	ds_load_b64 v[42:43], v1 offset:31200
	s_wait_dscnt 0x0
	v_mul_f64_e32 v[40:41], v[40:41], v[42:43]
	s_delay_alu instid0(VALU_DEP_1) | instskip(NEXT) | instid1(VALU_DEP_2)
	v_xor_b32_e32 v43, 0x80000000, v41
	v_mov_b32_e32 v42, v40
	ds_store_b64 v3, v[42:43]
.LBB126_79:                             ;   in Loop: Header=BB126_3 Depth=1
	s_or_b32 exec_lo, exec_lo, s10
	s_wait_dscnt 0x0
	s_barrier_signal -1
	s_barrier_wait -1
	s_barrier_signal -1
	s_barrier_wait -1
	s_and_saveexec_b32 s10, s1
; %bb.80:                               ;   in Loop: Header=BB126_3 Depth=1
	ds_store_b64 v49, v[40:41] offset:32736
; %bb.81:                               ;   in Loop: Header=BB126_3 Depth=1
	s_or_b32 exec_lo, exec_lo, s10
	s_wait_dscnt 0x0
	s_barrier_signal -1
	s_barrier_wait -1
	s_barrier_signal -1
	s_barrier_wait -1
	s_and_saveexec_b32 s10, s92
	s_cbranch_execz .LBB126_83
; %bb.82:                               ;   in Loop: Header=BB126_3 Depth=1
	ds_load_b64 v[40:41], v50 offset:32224
	s_wait_dscnt 0x0
	ds_store_b64 v48, v[40:41] offset:31216
	ds_load_b64 v[40:41], v50 offset:32232
	s_wait_dscnt 0x0
	ds_store_b64 v48, v[40:41] offset:31728
.LBB126_83:                             ;   in Loop: Header=BB126_3 Depth=1
	s_or_b32 exec_lo, exec_lo, s10
	s_wait_dscnt 0x0
	s_barrier_signal -1
	s_barrier_wait -1
	s_and_saveexec_b32 s10, s14
	s_cbranch_execz .LBB126_85
; %bb.84:                               ;   in Loop: Header=BB126_3 Depth=1
	ds_load_b128 v[40:43], v1 offset:31712
	ds_load_b64 v[94:95], v1 offset:31200
	v_add_nc_u32_e64 v0, 0x7800, 0
	s_wait_dscnt 0x0
	v_mul_f64_e32 v[42:43], v[94:95], v[42:43]
	s_delay_alu instid0(VALU_DEP_1)
	v_mul_f64_e32 v[40:41], v[40:41], v[42:43]
	ds_store_2addr_b64 v0, v[40:41], v[40:41] offset0:61 offset1:124
.LBB126_85:                             ;   in Loop: Header=BB126_3 Depth=1
	s_or_b32 exec_lo, exec_lo, s10
	v_mov_b64_e32 v[40:41], 0
	s_wait_dscnt 0x0
	s_barrier_signal -1
	s_barrier_wait -1
	global_wb scope:SCOPE_DEV
	s_wait_storecnt 0x0
	global_inv scope:SCOPE_DEV
	s_and_saveexec_b32 s10, s3
	s_cbranch_execz .LBB126_91
; %bb.86:                               ;   in Loop: Header=BB126_3 Depth=1
	ds_load_b64 v[40:41], v53 offset:31168
	ds_load_b64 v[42:43], v52 offset:32736
	s_wait_dscnt 0x0
	v_fma_f64 v[40:41], v[40:41], v[42:43], 0
	s_and_saveexec_b32 s11, s16
	s_cbranch_execnz .LBB126_1099
; %bb.87:                               ;   in Loop: Header=BB126_3 Depth=1
	s_or_b32 exec_lo, exec_lo, s11
	s_and_saveexec_b32 s11, s17
	s_cbranch_execnz .LBB126_1100
.LBB126_88:                             ;   in Loop: Header=BB126_3 Depth=1
	s_or_b32 exec_lo, exec_lo, s11
	s_and_saveexec_b32 s11, s1
	s_cbranch_execz .LBB126_90
.LBB126_89:                             ;   in Loop: Header=BB126_3 Depth=1
	ds_load_b64 v[42:43], v54 offset:32704
	ds_load_b64 v[94:95], v1 offset:32760
	s_wait_dscnt 0x0
	v_fmac_f64_e32 v[40:41], v[42:43], v[94:95]
.LBB126_90:                             ;   in Loop: Header=BB126_3 Depth=1
	s_or_b32 exec_lo, exec_lo, s11
.LBB126_91:                             ;   in Loop: Header=BB126_3 Depth=1
	s_delay_alu instid0(SALU_CYCLE_1)
	s_or_b32 exec_lo, exec_lo, s10
	s_and_saveexec_b32 s10, s93
	s_cbranch_execz .LBB126_93
; %bb.92:                               ;   in Loop: Header=BB126_3 Depth=1
	ds_load_b64 v[42:43], v1 offset:30680
	s_wait_dscnt 0x0
	v_mul_f64_e32 v[40:41], v[40:41], v[42:43]
	s_delay_alu instid0(VALU_DEP_1) | instskip(NEXT) | instid1(VALU_DEP_2)
	v_xor_b32_e32 v43, 0x80000000, v41
	v_mov_b32_e32 v42, v40
	ds_store_b64 v51, v[42:43]
.LBB126_93:                             ;   in Loop: Header=BB126_3 Depth=1
	s_or_b32 exec_lo, exec_lo, s10
	s_wait_loadcnt_dscnt 0x0
	s_barrier_signal -1
	s_barrier_wait -1
	s_and_saveexec_b32 s10, s94
	s_cbranch_execz .LBB126_95
; %bb.94:                               ;   in Loop: Header=BB126_3 Depth=1
	ds_load_b64 v[42:43], v53 offset:30656
	ds_load_b64 v[94:95], v51
	s_wait_dscnt 0x0
	v_fma_f64 v[40:41], -v[42:43], v[94:95], v[40:41]
.LBB126_95:                             ;   in Loop: Header=BB126_3 Depth=1
	s_or_b32 exec_lo, exec_lo, s10
	s_barrier_signal -1
	s_barrier_wait -1
	s_and_saveexec_b32 s10, s95
	s_cbranch_execz .LBB126_97
; %bb.96:                               ;   in Loop: Header=BB126_3 Depth=1
	ds_load_b64 v[42:43], v1 offset:30160
	s_wait_dscnt 0x0
	v_mul_f64_e32 v[40:41], v[40:41], v[42:43]
	s_delay_alu instid0(VALU_DEP_1) | instskip(NEXT) | instid1(VALU_DEP_2)
	v_xor_b32_e32 v43, 0x80000000, v41
	v_mov_b32_e32 v42, v40
	ds_store_b64 v51, v[42:43]
.LBB126_97:                             ;   in Loop: Header=BB126_3 Depth=1
	s_or_b32 exec_lo, exec_lo, s10
	s_wait_dscnt 0x0
	s_barrier_signal -1
	s_barrier_wait -1
	s_and_saveexec_b32 s10, s96
	s_cbranch_execz .LBB126_99
; %bb.98:                               ;   in Loop: Header=BB126_3 Depth=1
	ds_load_b64 v[42:43], v53 offset:30144
	ds_load_b64 v[94:95], v51
	s_wait_dscnt 0x0
	v_fma_f64 v[40:41], -v[42:43], v[94:95], v[40:41]
.LBB126_99:                             ;   in Loop: Header=BB126_3 Depth=1
	s_or_b32 exec_lo, exec_lo, s10
	s_barrier_signal -1
	s_barrier_wait -1
	s_and_saveexec_b32 s10, s97
	s_cbranch_execz .LBB126_101
; %bb.100:                              ;   in Loop: Header=BB126_3 Depth=1
	ds_load_b64 v[42:43], v1 offset:29640
	s_wait_dscnt 0x0
	v_mul_f64_e32 v[40:41], v[40:41], v[42:43]
	s_delay_alu instid0(VALU_DEP_1) | instskip(NEXT) | instid1(VALU_DEP_2)
	v_xor_b32_e32 v43, 0x80000000, v41
	v_mov_b32_e32 v42, v40
	ds_store_b64 v51, v[42:43]
.LBB126_101:                            ;   in Loop: Header=BB126_3 Depth=1
	s_or_b32 exec_lo, exec_lo, s10
	s_wait_dscnt 0x0
	s_barrier_signal -1
	s_barrier_wait -1
	s_and_saveexec_b32 s10, s98
	s_cbranch_execz .LBB126_103
; %bb.102:                              ;   in Loop: Header=BB126_3 Depth=1
	ds_load_b64 v[42:43], v1 offset:29632
	ds_load_b64 v[94:95], v51
	s_wait_dscnt 0x0
	v_fma_f64 v[40:41], -v[42:43], v[94:95], v[40:41]
.LBB126_103:                            ;   in Loop: Header=BB126_3 Depth=1
	s_or_b32 exec_lo, exec_lo, s10
	s_barrier_signal -1
	s_barrier_wait -1
	s_and_saveexec_b32 s10, s98
	s_cbranch_execz .LBB126_105
; %bb.104:                              ;   in Loop: Header=BB126_3 Depth=1
	ds_load_b64 v[42:43], v1 offset:29120
	s_wait_dscnt 0x0
	v_mul_f64_e32 v[40:41], v[40:41], v[42:43]
	s_delay_alu instid0(VALU_DEP_1) | instskip(NEXT) | instid1(VALU_DEP_2)
	v_xor_b32_e32 v43, 0x80000000, v41
	v_mov_b32_e32 v42, v40
	ds_store_b64 v51, v[42:43]
.LBB126_105:                            ;   in Loop: Header=BB126_3 Depth=1
	s_or_b32 exec_lo, exec_lo, s10
	s_wait_dscnt 0x0
	s_barrier_signal -1
	s_barrier_wait -1
	s_barrier_signal -1
	s_barrier_wait -1
	s_and_saveexec_b32 s10, s3
; %bb.106:                              ;   in Loop: Header=BB126_3 Depth=1
	ds_store_b64 v55, v[40:41] offset:32704
; %bb.107:                              ;   in Loop: Header=BB126_3 Depth=1
	s_or_b32 exec_lo, exec_lo, s10
	s_wait_dscnt 0x0
	s_barrier_signal -1
	s_barrier_wait -1
	s_barrier_signal -1
	s_barrier_wait -1
	s_and_saveexec_b32 s10, s99
	s_cbranch_execz .LBB126_109
; %bb.108:                              ;   in Loop: Header=BB126_3 Depth=1
	ds_load_b64 v[40:41], v56 offset:31168
	s_wait_dscnt 0x0
	ds_store_b64 v5, v[40:41] offset:29152
	ds_load_b64 v[40:41], v56 offset:31176
	s_wait_dscnt 0x0
	ds_store_b64 v5, v[40:41] offset:29664
	ds_load_b64 v[40:41], v56 offset:31184
	s_wait_dscnt 0x0
	ds_store_b64 v5, v[40:41] offset:30176
	ds_load_b64 v[40:41], v56 offset:31192
	s_wait_dscnt 0x0
	ds_store_b64 v5, v[40:41] offset:30688
.LBB126_109:                            ;   in Loop: Header=BB126_3 Depth=1
	s_or_b32 exec_lo, exec_lo, s10
	s_wait_dscnt 0x0
	s_barrier_signal -1
	s_barrier_wait -1
	s_and_saveexec_b32 s10, s14
	s_cbranch_execz .LBB126_111
; %bb.110:                              ;   in Loop: Header=BB126_3 Depth=1
	ds_load_b128 v[40:43], v1 offset:30672
	ds_load_b64 v[94:95], v1 offset:30160
	v_add_nc_u32_e64 v0, 0x7000, 0
	s_wait_dscnt 0x0
	v_mul_f64_e32 v[42:43], v[94:95], v[42:43]
	s_delay_alu instid0(VALU_DEP_1)
	v_mul_f64_e32 v[40:41], v[40:41], v[42:43]
	ds_store_2addr_b64 v0, v[40:41], v[40:41] offset0:187 offset1:250
.LBB126_111:                            ;   in Loop: Header=BB126_3 Depth=1
	s_or_b32 exec_lo, exec_lo, s10
	v_mov_b64_e32 v[40:41], 0
	s_wait_dscnt 0x0
	s_barrier_signal -1
	s_barrier_wait -1
	global_wb scope:SCOPE_DEV
	s_wait_storecnt 0x0
	global_inv scope:SCOPE_DEV
	s_and_saveexec_b32 s10, s1
	s_cbranch_execz .LBB126_115
; %bb.112:                              ;   in Loop: Header=BB126_3 Depth=1
	ds_load_b64 v[40:41], v47 offset:30144
	ds_load_b64 v[42:43], v46 offset:30672
	s_wait_dscnt 0x0
	v_fma_f64 v[40:41], v[40:41], v[42:43], 0
	s_and_saveexec_b32 s11, s15
	s_cbranch_execz .LBB126_114
; %bb.113:                              ;   in Loop: Header=BB126_3 Depth=1
	ds_load_b64 v[42:43], v5 offset:30656
	ds_load_b64 v[94:95], v1 offset:30680
	s_wait_dscnt 0x0
	v_fmac_f64_e32 v[40:41], v[42:43], v[94:95]
.LBB126_114:                            ;   in Loop: Header=BB126_3 Depth=1
	s_or_b32 exec_lo, exec_lo, s11
.LBB126_115:                            ;   in Loop: Header=BB126_3 Depth=1
	s_delay_alu instid0(SALU_CYCLE_1)
	s_or_b32 exec_lo, exec_lo, s10
	s_and_saveexec_b32 s10, s90
	s_cbranch_execz .LBB126_117
; %bb.116:                              ;   in Loop: Header=BB126_3 Depth=1
	ds_load_b64 v[42:43], v1 offset:29640
	s_wait_dscnt 0x0
	v_mul_f64_e32 v[40:41], v[40:41], v[42:43]
	s_delay_alu instid0(VALU_DEP_1) | instskip(NEXT) | instid1(VALU_DEP_2)
	v_xor_b32_e32 v43, 0x80000000, v41
	v_mov_b32_e32 v42, v40
	ds_store_b64 v3, v[42:43]
.LBB126_117:                            ;   in Loop: Header=BB126_3 Depth=1
	s_or_b32 exec_lo, exec_lo, s10
	s_wait_loadcnt_dscnt 0x0
	s_barrier_signal -1
	s_barrier_wait -1
	s_and_saveexec_b32 s10, s91
	s_cbranch_execz .LBB126_119
; %bb.118:                              ;   in Loop: Header=BB126_3 Depth=1
	ds_load_b64 v[42:43], v1 offset:29632
	ds_load_b64 v[94:95], v3
	s_wait_dscnt 0x0
	v_fma_f64 v[40:41], -v[42:43], v[94:95], v[40:41]
.LBB126_119:                            ;   in Loop: Header=BB126_3 Depth=1
	s_or_b32 exec_lo, exec_lo, s10
	s_barrier_signal -1
	s_barrier_wait -1
	s_and_saveexec_b32 s10, s91
	s_cbranch_execz .LBB126_121
; %bb.120:                              ;   in Loop: Header=BB126_3 Depth=1
	ds_load_b64 v[42:43], v1 offset:29120
	s_wait_dscnt 0x0
	v_mul_f64_e32 v[40:41], v[40:41], v[42:43]
	s_delay_alu instid0(VALU_DEP_1) | instskip(NEXT) | instid1(VALU_DEP_2)
	v_xor_b32_e32 v43, 0x80000000, v41
	v_mov_b32_e32 v42, v40
	ds_store_b64 v3, v[42:43]
.LBB126_121:                            ;   in Loop: Header=BB126_3 Depth=1
	s_or_b32 exec_lo, exec_lo, s10
	s_wait_dscnt 0x0
	s_barrier_signal -1
	s_barrier_wait -1
	s_barrier_signal -1
	s_barrier_wait -1
	s_and_saveexec_b32 s10, s1
; %bb.122:                              ;   in Loop: Header=BB126_3 Depth=1
	ds_store_b64 v49, v[40:41] offset:30656
; %bb.123:                              ;   in Loop: Header=BB126_3 Depth=1
	s_or_b32 exec_lo, exec_lo, s10
	s_wait_dscnt 0x0
	s_barrier_signal -1
	s_barrier_wait -1
	s_barrier_signal -1
	s_barrier_wait -1
	s_and_saveexec_b32 s10, s92
	s_cbranch_execz .LBB126_125
; %bb.124:                              ;   in Loop: Header=BB126_3 Depth=1
	ds_load_b64 v[40:41], v71 offset:30144
	s_wait_dscnt 0x0
	ds_store_b64 v5, v[40:41] offset:29136
	ds_load_b64 v[40:41], v71 offset:30152
	s_wait_dscnt 0x0
	ds_store_b64 v5, v[40:41] offset:29648
.LBB126_125:                            ;   in Loop: Header=BB126_3 Depth=1
	s_or_b32 exec_lo, exec_lo, s10
	s_wait_dscnt 0x0
	s_barrier_signal -1
	s_barrier_wait -1
	s_and_saveexec_b32 s10, s14
	s_cbranch_execz .LBB126_127
; %bb.126:                              ;   in Loop: Header=BB126_3 Depth=1
	ds_load_b128 v[40:43], v1 offset:29632
	ds_load_b64 v[94:95], v1 offset:29120
	v_add_nc_u32_e64 v0, 0x7000, 0
	s_wait_dscnt 0x0
	v_mul_f64_e32 v[42:43], v[94:95], v[42:43]
	s_delay_alu instid0(VALU_DEP_1)
	v_mul_f64_e32 v[40:41], v[40:41], v[42:43]
	ds_store_2addr_b64 v0, v[40:41], v[40:41] offset0:57 offset1:120
.LBB126_127:                            ;   in Loop: Header=BB126_3 Depth=1
	s_or_b32 exec_lo, exec_lo, s10
	v_mov_b64_e32 v[40:41], 0
	s_wait_dscnt 0x0
	s_barrier_signal -1
	s_barrier_wait -1
	global_wb scope:SCOPE_DEV
	s_wait_storecnt 0x0
	global_inv scope:SCOPE_DEV
	s_and_saveexec_b32 s10, s4
	s_cbranch_execz .LBB126_137
; %bb.128:                              ;   in Loop: Header=BB126_3 Depth=1
	ds_load_b64 v[40:41], v59 offset:29056
	ds_load_b64 v[42:43], v58 offset:32704
	s_wait_dscnt 0x0
	v_fma_f64 v[40:41], v[40:41], v[42:43], 0
	s_and_saveexec_b32 s11, s18
	s_cbranch_execnz .LBB126_1101
; %bb.129:                              ;   in Loop: Header=BB126_3 Depth=1
	s_or_b32 exec_lo, exec_lo, s11
	s_and_saveexec_b32 s11, s19
	s_cbranch_execnz .LBB126_1102
.LBB126_130:                            ;   in Loop: Header=BB126_3 Depth=1
	s_or_b32 exec_lo, exec_lo, s11
	s_and_saveexec_b32 s11, s20
	s_cbranch_execnz .LBB126_1103
.LBB126_131:                            ;   in Loop: Header=BB126_3 Depth=1
	s_or_b32 exec_lo, exec_lo, s11
	s_and_saveexec_b32 s11, s21
	s_cbranch_execnz .LBB126_1104
.LBB126_132:                            ;   in Loop: Header=BB126_3 Depth=1
	s_or_b32 exec_lo, exec_lo, s11
	s_and_saveexec_b32 s11, s22
	s_cbranch_execnz .LBB126_1105
.LBB126_133:                            ;   in Loop: Header=BB126_3 Depth=1
	s_or_b32 exec_lo, exec_lo, s11
	s_and_saveexec_b32 s11, s3
	s_cbranch_execnz .LBB126_1106
.LBB126_134:                            ;   in Loop: Header=BB126_3 Depth=1
	s_or_b32 exec_lo, exec_lo, s11
	s_and_saveexec_b32 s11, s17
	s_cbranch_execz .LBB126_136
.LBB126_135:                            ;   in Loop: Header=BB126_3 Depth=1
	ds_load_b64 v[42:43], v72 offset:32640
	ds_load_b64 v[94:95], v1 offset:32760
	s_wait_dscnt 0x0
	v_fmac_f64_e32 v[40:41], v[42:43], v[94:95]
.LBB126_136:                            ;   in Loop: Header=BB126_3 Depth=1
	s_or_b32 exec_lo, exec_lo, s11
.LBB126_137:                            ;   in Loop: Header=BB126_3 Depth=1
	s_delay_alu instid0(SALU_CYCLE_1)
	s_or_b32 exec_lo, exec_lo, s10
	s_and_saveexec_b32 s10, s100
	s_cbranch_execz .LBB126_139
; %bb.138:                              ;   in Loop: Header=BB126_3 Depth=1
	ds_load_b64 v[42:43], v1 offset:28600
	s_wait_dscnt 0x0
	v_mul_f64_e32 v[40:41], v[40:41], v[42:43]
	s_delay_alu instid0(VALU_DEP_1) | instskip(NEXT) | instid1(VALU_DEP_2)
	v_xor_b32_e32 v43, 0x80000000, v41
	v_mov_b32_e32 v42, v40
	ds_store_b64 v57, v[42:43]
.LBB126_139:                            ;   in Loop: Header=BB126_3 Depth=1
	s_or_b32 exec_lo, exec_lo, s10
	s_wait_loadcnt_dscnt 0x0
	s_barrier_signal -1
	s_barrier_wait -1
	s_and_saveexec_b32 s10, s101
	s_cbranch_execz .LBB126_141
; %bb.140:                              ;   in Loop: Header=BB126_3 Depth=1
	ds_load_b64 v[42:43], v59 offset:28544
	ds_load_b64 v[94:95], v57
	s_wait_dscnt 0x0
	v_fma_f64 v[40:41], -v[42:43], v[94:95], v[40:41]
.LBB126_141:                            ;   in Loop: Header=BB126_3 Depth=1
	s_or_b32 exec_lo, exec_lo, s10
	s_barrier_signal -1
	s_barrier_wait -1
	s_and_saveexec_b32 s10, s102
	s_cbranch_execz .LBB126_143
; %bb.142:                              ;   in Loop: Header=BB126_3 Depth=1
	ds_load_b64 v[42:43], v1 offset:28080
	s_wait_dscnt 0x0
	v_mul_f64_e32 v[40:41], v[40:41], v[42:43]
	s_delay_alu instid0(VALU_DEP_1) | instskip(NEXT) | instid1(VALU_DEP_2)
	v_xor_b32_e32 v43, 0x80000000, v41
	v_mov_b32_e32 v42, v40
	ds_store_b64 v57, v[42:43]
.LBB126_143:                            ;   in Loop: Header=BB126_3 Depth=1
	s_or_b32 exec_lo, exec_lo, s10
	s_wait_dscnt 0x0
	s_barrier_signal -1
	s_barrier_wait -1
	s_and_saveexec_b32 s10, s103
	s_cbranch_execz .LBB126_145
; %bb.144:                              ;   in Loop: Header=BB126_3 Depth=1
	ds_load_b64 v[42:43], v59 offset:28032
	ds_load_b64 v[94:95], v57
	s_wait_dscnt 0x0
	v_fma_f64 v[40:41], -v[42:43], v[94:95], v[40:41]
.LBB126_145:                            ;   in Loop: Header=BB126_3 Depth=1
	s_or_b32 exec_lo, exec_lo, s10
	s_barrier_signal -1
	s_barrier_wait -1
	s_and_saveexec_b32 s10, s104
	s_cbranch_execz .LBB126_147
; %bb.146:                              ;   in Loop: Header=BB126_3 Depth=1
	ds_load_b64 v[42:43], v1 offset:27560
	s_wait_dscnt 0x0
	v_mul_f64_e32 v[40:41], v[40:41], v[42:43]
	s_delay_alu instid0(VALU_DEP_1) | instskip(NEXT) | instid1(VALU_DEP_2)
	v_xor_b32_e32 v43, 0x80000000, v41
	v_mov_b32_e32 v42, v40
	ds_store_b64 v57, v[42:43]
.LBB126_147:                            ;   in Loop: Header=BB126_3 Depth=1
	s_or_b32 exec_lo, exec_lo, s10
	s_wait_dscnt 0x0
	s_barrier_signal -1
	s_barrier_wait -1
	s_and_saveexec_b32 s10, vcc_hi
	s_cbranch_execz .LBB126_149
; %bb.148:                              ;   in Loop: Header=BB126_3 Depth=1
	ds_load_b64 v[42:43], v59 offset:27520
	ds_load_b64 v[94:95], v57
	s_wait_dscnt 0x0
	v_fma_f64 v[40:41], -v[42:43], v[94:95], v[40:41]
.LBB126_149:                            ;   in Loop: Header=BB126_3 Depth=1
	s_or_b32 exec_lo, exec_lo, s10
	s_barrier_signal -1
	s_barrier_wait -1
	s_and_saveexec_b32 s10, s36
	s_cbranch_execz .LBB126_151
; %bb.150:                              ;   in Loop: Header=BB126_3 Depth=1
	ds_load_b64 v[42:43], v1 offset:27040
	s_wait_dscnt 0x0
	v_mul_f64_e32 v[40:41], v[40:41], v[42:43]
	s_delay_alu instid0(VALU_DEP_1) | instskip(NEXT) | instid1(VALU_DEP_2)
	v_xor_b32_e32 v43, 0x80000000, v41
	v_mov_b32_e32 v42, v40
	ds_store_b64 v57, v[42:43]
.LBB126_151:                            ;   in Loop: Header=BB126_3 Depth=1
	s_or_b32 exec_lo, exec_lo, s10
	s_wait_dscnt 0x0
	s_barrier_signal -1
	s_barrier_wait -1
	s_and_saveexec_b32 s10, s37
	s_cbranch_execz .LBB126_153
; %bb.152:                              ;   in Loop: Header=BB126_3 Depth=1
	ds_load_b64 v[42:43], v59 offset:27008
	ds_load_b64 v[94:95], v57
	s_wait_dscnt 0x0
	v_fma_f64 v[40:41], -v[42:43], v[94:95], v[40:41]
.LBB126_153:                            ;   in Loop: Header=BB126_3 Depth=1
	s_or_b32 exec_lo, exec_lo, s10
	s_barrier_signal -1
	s_barrier_wait -1
	s_and_saveexec_b32 s10, s38
	s_cbranch_execz .LBB126_155
; %bb.154:                              ;   in Loop: Header=BB126_3 Depth=1
	ds_load_b64 v[42:43], v1 offset:26520
	s_wait_dscnt 0x0
	v_mul_f64_e32 v[40:41], v[40:41], v[42:43]
	s_delay_alu instid0(VALU_DEP_1) | instskip(NEXT) | instid1(VALU_DEP_2)
	v_xor_b32_e32 v43, 0x80000000, v41
	v_mov_b32_e32 v42, v40
	ds_store_b64 v57, v[42:43]
.LBB126_155:                            ;   in Loop: Header=BB126_3 Depth=1
	s_or_b32 exec_lo, exec_lo, s10
	s_wait_dscnt 0x0
	s_barrier_signal -1
	s_barrier_wait -1
	s_and_saveexec_b32 s10, s39
	;; [unrolled: 26-line block ×4, first 2 shown]
	s_cbranch_execz .LBB126_165
; %bb.164:                              ;   in Loop: Header=BB126_3 Depth=1
	ds_load_b64 v[42:43], v1 offset:25472
	ds_load_b64 v[94:95], v57
	s_wait_dscnt 0x0
	v_fma_f64 v[40:41], -v[42:43], v[94:95], v[40:41]
.LBB126_165:                            ;   in Loop: Header=BB126_3 Depth=1
	s_or_b32 exec_lo, exec_lo, s10
	s_barrier_signal -1
	s_barrier_wait -1
	s_and_saveexec_b32 s10, s43
	s_cbranch_execz .LBB126_167
; %bb.166:                              ;   in Loop: Header=BB126_3 Depth=1
	ds_load_b64 v[42:43], v1 offset:24960
	s_wait_dscnt 0x0
	v_mul_f64_e32 v[40:41], v[40:41], v[42:43]
	s_delay_alu instid0(VALU_DEP_1) | instskip(NEXT) | instid1(VALU_DEP_2)
	v_xor_b32_e32 v43, 0x80000000, v41
	v_mov_b32_e32 v42, v40
	ds_store_b64 v57, v[42:43]
.LBB126_167:                            ;   in Loop: Header=BB126_3 Depth=1
	s_or_b32 exec_lo, exec_lo, s10
	s_wait_dscnt 0x0
	s_barrier_signal -1
	s_barrier_wait -1
	s_barrier_signal -1
	s_barrier_wait -1
	s_and_saveexec_b32 s10, s4
; %bb.168:                              ;   in Loop: Header=BB126_3 Depth=1
	ds_store_b64 v60, v[40:41] offset:32640
; %bb.169:                              ;   in Loop: Header=BB126_3 Depth=1
	s_or_b32 exec_lo, exec_lo, s10
	s_wait_dscnt 0x0
	s_barrier_signal -1
	s_barrier_wait -1
	s_barrier_signal -1
	s_barrier_wait -1
	s_and_saveexec_b32 s10, s44
	s_cbranch_execz .LBB126_171
; %bb.170:                              ;   in Loop: Header=BB126_3 Depth=1
	ds_load_b64 v[40:41], v74 offset:29056
	s_wait_dscnt 0x0
	ds_store_b64 v75, v[40:41] offset:25024
	ds_load_b64 v[40:41], v74 offset:29064
	s_wait_dscnt 0x0
	ds_store_b64 v75, v[40:41] offset:25536
	;; [unrolled: 3-line block ×8, first 2 shown]
.LBB126_171:                            ;   in Loop: Header=BB126_3 Depth=1
	s_or_b32 exec_lo, exec_lo, s10
	s_wait_dscnt 0x0
	s_barrier_signal -1
	s_barrier_wait -1
	s_and_saveexec_b32 s10, s14
	s_cbranch_execz .LBB126_173
; %bb.172:                              ;   in Loop: Header=BB126_3 Depth=1
	ds_load_b128 v[40:43], v1 offset:28592
	ds_load_b64 v[94:95], v1 offset:28080
	v_add_nc_u32_e64 v0, 0x6800, 0
	s_wait_dscnt 0x0
	v_mul_f64_e32 v[42:43], v[94:95], v[42:43]
	s_delay_alu instid0(VALU_DEP_1)
	v_mul_f64_e32 v[40:41], v[40:41], v[42:43]
	ds_store_2addr_b64 v0, v[40:41], v[40:41] offset0:183 offset1:246
.LBB126_173:                            ;   in Loop: Header=BB126_3 Depth=1
	s_or_b32 exec_lo, exec_lo, s10
	v_mov_b64_e32 v[40:41], 0
	s_wait_dscnt 0x0
	s_barrier_signal -1
	s_barrier_wait -1
	global_wb scope:SCOPE_DEV
	s_wait_storecnt 0x0
	global_inv scope:SCOPE_DEV
	s_and_saveexec_b32 s10, s1
	s_cbranch_execz .LBB126_177
; %bb.174:                              ;   in Loop: Header=BB126_3 Depth=1
	ds_load_b64 v[40:41], v47 offset:28064
	ds_load_b64 v[42:43], v46 offset:28592
	s_wait_dscnt 0x0
	v_fma_f64 v[40:41], v[40:41], v[42:43], 0
	s_and_saveexec_b32 s11, s15
	s_cbranch_execz .LBB126_176
; %bb.175:                              ;   in Loop: Header=BB126_3 Depth=1
	ds_load_b64 v[42:43], v75 offset:28576
	ds_load_b64 v[94:95], v1 offset:28600
	s_wait_dscnt 0x0
	v_fmac_f64_e32 v[40:41], v[42:43], v[94:95]
.LBB126_176:                            ;   in Loop: Header=BB126_3 Depth=1
	s_or_b32 exec_lo, exec_lo, s11
.LBB126_177:                            ;   in Loop: Header=BB126_3 Depth=1
	s_delay_alu instid0(SALU_CYCLE_1)
	s_or_b32 exec_lo, exec_lo, s10
	s_and_saveexec_b32 s10, s90
	s_cbranch_execz .LBB126_179
; %bb.178:                              ;   in Loop: Header=BB126_3 Depth=1
	ds_load_b64 v[42:43], v1 offset:27560
	s_wait_dscnt 0x0
	v_mul_f64_e32 v[40:41], v[40:41], v[42:43]
	s_delay_alu instid0(VALU_DEP_1) | instskip(NEXT) | instid1(VALU_DEP_2)
	v_xor_b32_e32 v43, 0x80000000, v41
	v_mov_b32_e32 v42, v40
	ds_store_b64 v3, v[42:43]
.LBB126_179:                            ;   in Loop: Header=BB126_3 Depth=1
	s_or_b32 exec_lo, exec_lo, s10
	s_wait_loadcnt_dscnt 0x0
	s_barrier_signal -1
	s_barrier_wait -1
	s_and_saveexec_b32 s10, s91
	s_cbranch_execz .LBB126_181
; %bb.180:                              ;   in Loop: Header=BB126_3 Depth=1
	ds_load_b64 v[42:43], v1 offset:27552
	ds_load_b64 v[94:95], v3
	s_wait_dscnt 0x0
	v_fma_f64 v[40:41], -v[42:43], v[94:95], v[40:41]
.LBB126_181:                            ;   in Loop: Header=BB126_3 Depth=1
	s_or_b32 exec_lo, exec_lo, s10
	s_barrier_signal -1
	s_barrier_wait -1
	s_and_saveexec_b32 s10, s91
	s_cbranch_execz .LBB126_183
; %bb.182:                              ;   in Loop: Header=BB126_3 Depth=1
	ds_load_b64 v[42:43], v1 offset:27040
	s_wait_dscnt 0x0
	v_mul_f64_e32 v[40:41], v[40:41], v[42:43]
	s_delay_alu instid0(VALU_DEP_1) | instskip(NEXT) | instid1(VALU_DEP_2)
	v_xor_b32_e32 v43, 0x80000000, v41
	v_mov_b32_e32 v42, v40
	ds_store_b64 v3, v[42:43]
.LBB126_183:                            ;   in Loop: Header=BB126_3 Depth=1
	s_or_b32 exec_lo, exec_lo, s10
	s_wait_dscnt 0x0
	s_barrier_signal -1
	s_barrier_wait -1
	s_barrier_signal -1
	s_barrier_wait -1
	s_and_saveexec_b32 s10, s1
; %bb.184:                              ;   in Loop: Header=BB126_3 Depth=1
	ds_store_b64 v49, v[40:41] offset:28576
; %bb.185:                              ;   in Loop: Header=BB126_3 Depth=1
	s_or_b32 exec_lo, exec_lo, s10
	s_wait_dscnt 0x0
	s_barrier_signal -1
	s_barrier_wait -1
	s_barrier_signal -1
	s_barrier_wait -1
	s_and_saveexec_b32 s10, s92
	s_cbranch_execz .LBB126_187
; %bb.186:                              ;   in Loop: Header=BB126_3 Depth=1
	ds_load_b64 v[40:41], v76 offset:28064
	s_wait_dscnt 0x0
	ds_store_b64 v75, v[40:41] offset:27056
	ds_load_b64 v[40:41], v76 offset:28072
	s_wait_dscnt 0x0
	ds_store_b64 v75, v[40:41] offset:27568
.LBB126_187:                            ;   in Loop: Header=BB126_3 Depth=1
	s_or_b32 exec_lo, exec_lo, s10
	s_wait_dscnt 0x0
	s_barrier_signal -1
	s_barrier_wait -1
	s_and_saveexec_b32 s10, s14
	s_cbranch_execz .LBB126_189
; %bb.188:                              ;   in Loop: Header=BB126_3 Depth=1
	ds_load_b128 v[40:43], v1 offset:27552
	ds_load_b64 v[94:95], v1 offset:27040
	v_add_nc_u32_e64 v0, 0x6800, 0
	s_wait_dscnt 0x0
	v_mul_f64_e32 v[42:43], v[94:95], v[42:43]
	s_delay_alu instid0(VALU_DEP_1)
	v_mul_f64_e32 v[40:41], v[40:41], v[42:43]
	ds_store_2addr_b64 v0, v[40:41], v[40:41] offset0:53 offset1:116
.LBB126_189:                            ;   in Loop: Header=BB126_3 Depth=1
	s_or_b32 exec_lo, exec_lo, s10
	v_mov_b64_e32 v[40:41], 0
	s_wait_dscnt 0x0
	s_barrier_signal -1
	s_barrier_wait -1
	global_wb scope:SCOPE_DEV
	s_wait_storecnt 0x0
	global_inv scope:SCOPE_DEV
	s_and_saveexec_b32 s10, s3
	s_cbranch_execz .LBB126_195
; %bb.190:                              ;   in Loop: Header=BB126_3 Depth=1
	ds_load_b64 v[40:41], v53 offset:27008
	ds_load_b64 v[42:43], v52 offset:28576
	s_wait_dscnt 0x0
	v_fma_f64 v[40:41], v[40:41], v[42:43], 0
	s_and_saveexec_b32 s11, s16
	s_cbranch_execnz .LBB126_1107
; %bb.191:                              ;   in Loop: Header=BB126_3 Depth=1
	s_or_b32 exec_lo, exec_lo, s11
	s_and_saveexec_b32 s11, s17
	s_cbranch_execnz .LBB126_1108
.LBB126_192:                            ;   in Loop: Header=BB126_3 Depth=1
	s_or_b32 exec_lo, exec_lo, s11
	s_and_saveexec_b32 s11, s1
	s_cbranch_execz .LBB126_194
.LBB126_193:                            ;   in Loop: Header=BB126_3 Depth=1
	ds_load_b64 v[42:43], v78 offset:28544
	ds_load_b64 v[94:95], v1 offset:28600
	s_wait_dscnt 0x0
	v_fmac_f64_e32 v[40:41], v[42:43], v[94:95]
.LBB126_194:                            ;   in Loop: Header=BB126_3 Depth=1
	s_or_b32 exec_lo, exec_lo, s11
.LBB126_195:                            ;   in Loop: Header=BB126_3 Depth=1
	s_delay_alu instid0(SALU_CYCLE_1)
	s_or_b32 exec_lo, exec_lo, s10
	s_and_saveexec_b32 s10, s93
	s_cbranch_execz .LBB126_197
; %bb.196:                              ;   in Loop: Header=BB126_3 Depth=1
	ds_load_b64 v[42:43], v1 offset:26520
	s_wait_dscnt 0x0
	v_mul_f64_e32 v[40:41], v[40:41], v[42:43]
	s_delay_alu instid0(VALU_DEP_1) | instskip(NEXT) | instid1(VALU_DEP_2)
	v_xor_b32_e32 v43, 0x80000000, v41
	v_mov_b32_e32 v42, v40
	ds_store_b64 v51, v[42:43]
.LBB126_197:                            ;   in Loop: Header=BB126_3 Depth=1
	s_or_b32 exec_lo, exec_lo, s10
	s_wait_loadcnt_dscnt 0x0
	s_barrier_signal -1
	s_barrier_wait -1
	s_and_saveexec_b32 s10, s94
	s_cbranch_execz .LBB126_199
; %bb.198:                              ;   in Loop: Header=BB126_3 Depth=1
	ds_load_b64 v[42:43], v53 offset:26496
	ds_load_b64 v[94:95], v51
	s_wait_dscnt 0x0
	v_fma_f64 v[40:41], -v[42:43], v[94:95], v[40:41]
.LBB126_199:                            ;   in Loop: Header=BB126_3 Depth=1
	s_or_b32 exec_lo, exec_lo, s10
	s_barrier_signal -1
	s_barrier_wait -1
	s_and_saveexec_b32 s10, s95
	s_cbranch_execz .LBB126_201
; %bb.200:                              ;   in Loop: Header=BB126_3 Depth=1
	ds_load_b64 v[42:43], v1 offset:26000
	s_wait_dscnt 0x0
	v_mul_f64_e32 v[40:41], v[40:41], v[42:43]
	s_delay_alu instid0(VALU_DEP_1) | instskip(NEXT) | instid1(VALU_DEP_2)
	v_xor_b32_e32 v43, 0x80000000, v41
	v_mov_b32_e32 v42, v40
	ds_store_b64 v51, v[42:43]
.LBB126_201:                            ;   in Loop: Header=BB126_3 Depth=1
	s_or_b32 exec_lo, exec_lo, s10
	s_wait_dscnt 0x0
	s_barrier_signal -1
	s_barrier_wait -1
	s_and_saveexec_b32 s10, s96
	s_cbranch_execz .LBB126_203
; %bb.202:                              ;   in Loop: Header=BB126_3 Depth=1
	ds_load_b64 v[42:43], v53 offset:25984
	ds_load_b64 v[94:95], v51
	s_wait_dscnt 0x0
	v_fma_f64 v[40:41], -v[42:43], v[94:95], v[40:41]
.LBB126_203:                            ;   in Loop: Header=BB126_3 Depth=1
	s_or_b32 exec_lo, exec_lo, s10
	s_barrier_signal -1
	s_barrier_wait -1
	s_and_saveexec_b32 s10, s97
	s_cbranch_execz .LBB126_205
; %bb.204:                              ;   in Loop: Header=BB126_3 Depth=1
	ds_load_b64 v[42:43], v1 offset:25480
	s_wait_dscnt 0x0
	v_mul_f64_e32 v[40:41], v[40:41], v[42:43]
	s_delay_alu instid0(VALU_DEP_1) | instskip(NEXT) | instid1(VALU_DEP_2)
	v_xor_b32_e32 v43, 0x80000000, v41
	v_mov_b32_e32 v42, v40
	ds_store_b64 v51, v[42:43]
.LBB126_205:                            ;   in Loop: Header=BB126_3 Depth=1
	s_or_b32 exec_lo, exec_lo, s10
	s_wait_dscnt 0x0
	;; [unrolled: 26-line block ×3, first 2 shown]
	s_barrier_signal -1
	s_barrier_wait -1
	s_barrier_signal -1
	s_barrier_wait -1
	s_and_saveexec_b32 s10, s3
; %bb.210:                              ;   in Loop: Header=BB126_3 Depth=1
	ds_store_b64 v55, v[40:41] offset:28544
; %bb.211:                              ;   in Loop: Header=BB126_3 Depth=1
	s_or_b32 exec_lo, exec_lo, s10
	s_wait_dscnt 0x0
	s_barrier_signal -1
	s_barrier_wait -1
	s_barrier_signal -1
	s_barrier_wait -1
	s_and_saveexec_b32 s10, s99
	s_cbranch_execz .LBB126_213
; %bb.212:                              ;   in Loop: Header=BB126_3 Depth=1
	ds_load_b64 v[40:41], v80 offset:27008
	s_wait_dscnt 0x0
	ds_store_b64 v83, v[40:41] offset:24992
	ds_load_b64 v[40:41], v80 offset:27016
	s_wait_dscnt 0x0
	ds_store_b64 v83, v[40:41] offset:25504
	;; [unrolled: 3-line block ×4, first 2 shown]
.LBB126_213:                            ;   in Loop: Header=BB126_3 Depth=1
	s_or_b32 exec_lo, exec_lo, s10
	s_wait_dscnt 0x0
	s_barrier_signal -1
	s_barrier_wait -1
	s_and_saveexec_b32 s10, s14
	s_cbranch_execz .LBB126_215
; %bb.214:                              ;   in Loop: Header=BB126_3 Depth=1
	ds_load_b128 v[40:43], v1 offset:26512
	ds_load_b64 v[94:95], v1 offset:26000
	v_add_nc_u32_e64 v0, 0x6000, 0
	s_wait_dscnt 0x0
	v_mul_f64_e32 v[42:43], v[94:95], v[42:43]
	s_delay_alu instid0(VALU_DEP_1)
	v_mul_f64_e32 v[40:41], v[40:41], v[42:43]
	ds_store_2addr_b64 v0, v[40:41], v[40:41] offset0:179 offset1:242
.LBB126_215:                            ;   in Loop: Header=BB126_3 Depth=1
	s_or_b32 exec_lo, exec_lo, s10
	v_mov_b64_e32 v[40:41], 0
	s_wait_dscnt 0x0
	s_barrier_signal -1
	s_barrier_wait -1
	global_wb scope:SCOPE_DEV
	s_wait_storecnt 0x0
	global_inv scope:SCOPE_DEV
	s_and_saveexec_b32 s10, s1
	s_cbranch_execz .LBB126_219
; %bb.216:                              ;   in Loop: Header=BB126_3 Depth=1
	ds_load_b64 v[40:41], v47 offset:25984
	ds_load_b64 v[42:43], v46 offset:26512
	s_wait_dscnt 0x0
	v_fma_f64 v[40:41], v[40:41], v[42:43], 0
	s_and_saveexec_b32 s11, s15
	s_cbranch_execz .LBB126_218
; %bb.217:                              ;   in Loop: Header=BB126_3 Depth=1
	ds_load_b64 v[42:43], v83 offset:26496
	ds_load_b64 v[94:95], v1 offset:26520
	s_wait_dscnt 0x0
	v_fmac_f64_e32 v[40:41], v[42:43], v[94:95]
.LBB126_218:                            ;   in Loop: Header=BB126_3 Depth=1
	s_or_b32 exec_lo, exec_lo, s11
.LBB126_219:                            ;   in Loop: Header=BB126_3 Depth=1
	s_delay_alu instid0(SALU_CYCLE_1)
	s_or_b32 exec_lo, exec_lo, s10
	s_and_saveexec_b32 s10, s90
	s_cbranch_execz .LBB126_221
; %bb.220:                              ;   in Loop: Header=BB126_3 Depth=1
	ds_load_b64 v[42:43], v1 offset:25480
	s_wait_dscnt 0x0
	v_mul_f64_e32 v[40:41], v[40:41], v[42:43]
	s_delay_alu instid0(VALU_DEP_1) | instskip(NEXT) | instid1(VALU_DEP_2)
	v_xor_b32_e32 v43, 0x80000000, v41
	v_mov_b32_e32 v42, v40
	ds_store_b64 v3, v[42:43]
.LBB126_221:                            ;   in Loop: Header=BB126_3 Depth=1
	s_or_b32 exec_lo, exec_lo, s10
	s_wait_loadcnt_dscnt 0x0
	s_barrier_signal -1
	s_barrier_wait -1
	s_and_saveexec_b32 s10, s91
	s_cbranch_execz .LBB126_223
; %bb.222:                              ;   in Loop: Header=BB126_3 Depth=1
	ds_load_b64 v[42:43], v1 offset:25472
	ds_load_b64 v[94:95], v3
	s_wait_dscnt 0x0
	v_fma_f64 v[40:41], -v[42:43], v[94:95], v[40:41]
.LBB126_223:                            ;   in Loop: Header=BB126_3 Depth=1
	s_or_b32 exec_lo, exec_lo, s10
	s_barrier_signal -1
	s_barrier_wait -1
	s_and_saveexec_b32 s10, s91
	s_cbranch_execz .LBB126_225
; %bb.224:                              ;   in Loop: Header=BB126_3 Depth=1
	ds_load_b64 v[42:43], v1 offset:24960
	s_wait_dscnt 0x0
	v_mul_f64_e32 v[40:41], v[40:41], v[42:43]
	s_delay_alu instid0(VALU_DEP_1) | instskip(NEXT) | instid1(VALU_DEP_2)
	v_xor_b32_e32 v43, 0x80000000, v41
	v_mov_b32_e32 v42, v40
	ds_store_b64 v3, v[42:43]
.LBB126_225:                            ;   in Loop: Header=BB126_3 Depth=1
	s_or_b32 exec_lo, exec_lo, s10
	s_wait_dscnt 0x0
	s_barrier_signal -1
	s_barrier_wait -1
	s_barrier_signal -1
	s_barrier_wait -1
	s_and_saveexec_b32 s10, s1
; %bb.226:                              ;   in Loop: Header=BB126_3 Depth=1
	ds_store_b64 v49, v[40:41] offset:26496
; %bb.227:                              ;   in Loop: Header=BB126_3 Depth=1
	s_or_b32 exec_lo, exec_lo, s10
	s_wait_dscnt 0x0
	s_barrier_signal -1
	s_barrier_wait -1
	s_barrier_signal -1
	s_barrier_wait -1
	s_and_saveexec_b32 s10, s92
	s_cbranch_execz .LBB126_229
; %bb.228:                              ;   in Loop: Header=BB126_3 Depth=1
	ds_load_b64 v[40:41], v85 offset:25984
	s_wait_dscnt 0x0
	ds_store_b64 v83, v[40:41] offset:24976
	ds_load_b64 v[40:41], v85 offset:25992
	s_wait_dscnt 0x0
	ds_store_b64 v83, v[40:41] offset:25488
.LBB126_229:                            ;   in Loop: Header=BB126_3 Depth=1
	s_or_b32 exec_lo, exec_lo, s10
	s_wait_dscnt 0x0
	s_barrier_signal -1
	s_barrier_wait -1
	s_and_saveexec_b32 s10, s14
	s_cbranch_execz .LBB126_231
; %bb.230:                              ;   in Loop: Header=BB126_3 Depth=1
	ds_load_b128 v[40:43], v1 offset:25472
	ds_load_b64 v[94:95], v1 offset:24960
	v_add_nc_u32_e64 v0, 0x6000, 0
	s_wait_dscnt 0x0
	v_mul_f64_e32 v[42:43], v[94:95], v[42:43]
	s_delay_alu instid0(VALU_DEP_1)
	v_mul_f64_e32 v[40:41], v[40:41], v[42:43]
	ds_store_2addr_b64 v0, v[40:41], v[40:41] offset0:49 offset1:112
.LBB126_231:                            ;   in Loop: Header=BB126_3 Depth=1
	s_or_b32 exec_lo, exec_lo, s10
	v_mov_b64_e32 v[40:41], 0
	s_wait_dscnt 0x0
	s_barrier_signal -1
	s_barrier_wait -1
	global_wb scope:SCOPE_DEV
	s_wait_storecnt 0x0
	global_inv scope:SCOPE_DEV
	s_and_saveexec_b32 s65, s5
	s_cbranch_execz .LBB126_259
; %bb.232:                              ;   in Loop: Header=BB126_3 Depth=1
	ds_load_b64 v[40:41], v63 offset:24832
	ds_load_b64 v[42:43], v62 offset:32640
	s_wait_dscnt 0x0
	v_fma_f64 v[40:41], v[40:41], v[42:43], 0
	s_mov_b32 s10, exec_lo
	v_readlane_b32 s11, v103, 23
	s_and_b32 s11, s10, s11
	s_delay_alu instid0(SALU_CYCLE_1)
	s_mov_b32 exec_lo, s11
	s_cbranch_execz .LBB126_234
; %bb.233:                              ;   in Loop: Header=BB126_3 Depth=1
	ds_load_b64 v[42:43], v63 offset:25344
	ds_load_b64 v[94:95], v62 offset:32648
	s_wait_dscnt 0x0
	v_fmac_f64_e32 v[40:41], v[42:43], v[94:95]
.LBB126_234:                            ;   in Loop: Header=BB126_3 Depth=1
	s_or_b32 exec_lo, exec_lo, s10
	s_delay_alu instid0(SALU_CYCLE_1) | instskip(SKIP_2) | instid1(SALU_CYCLE_1)
	s_mov_b32 s10, exec_lo
	v_readlane_b32 s11, v103, 24
	s_and_b32 s11, s10, s11
	s_mov_b32 exec_lo, s11
	s_cbranch_execz .LBB126_236
; %bb.235:                              ;   in Loop: Header=BB126_3 Depth=1
	ds_load_b64 v[42:43], v63 offset:25856
	ds_load_b64 v[94:95], v62 offset:32656
	s_wait_dscnt 0x0
	v_fmac_f64_e32 v[40:41], v[42:43], v[94:95]
.LBB126_236:                            ;   in Loop: Header=BB126_3 Depth=1
	s_or_b32 exec_lo, exec_lo, s10
	s_delay_alu instid0(SALU_CYCLE_1) | instskip(SKIP_2) | instid1(SALU_CYCLE_1)
	s_mov_b32 s10, exec_lo
	v_readlane_b32 s11, v103, 25
	s_and_b32 s11, s10, s11
	;; [unrolled: 13-line block ×10, first 2 shown]
	s_mov_b32 exec_lo, s11
	s_cbranch_execnz .LBB126_1109
; %bb.253:                              ;   in Loop: Header=BB126_3 Depth=1
	s_or_b32 exec_lo, exec_lo, s10
	s_and_saveexec_b32 s10, s4
	s_cbranch_execnz .LBB126_1110
.LBB126_254:                            ;   in Loop: Header=BB126_3 Depth=1
	s_or_b32 exec_lo, exec_lo, s10
	s_and_saveexec_b32 s10, s19
	s_cbranch_execnz .LBB126_1111
.LBB126_255:                            ;   in Loop: Header=BB126_3 Depth=1
	s_or_b32 exec_lo, exec_lo, s10
	s_and_saveexec_b32 s10, s21
	s_cbranch_execnz .LBB126_1112
.LBB126_256:                            ;   in Loop: Header=BB126_3 Depth=1
	s_or_b32 exec_lo, exec_lo, s10
	s_and_saveexec_b32 s10, s3
	s_cbranch_execz .LBB126_258
.LBB126_257:                            ;   in Loop: Header=BB126_3 Depth=1
	ds_load_b64 v[42:43], v48 offset:32512
	ds_load_b64 v[94:95], v1 offset:32760
	s_wait_dscnt 0x0
	v_fmac_f64_e32 v[40:41], v[42:43], v[94:95]
.LBB126_258:                            ;   in Loop: Header=BB126_3 Depth=1
	s_or_b32 exec_lo, exec_lo, s10
.LBB126_259:                            ;   in Loop: Header=BB126_3 Depth=1
	s_delay_alu instid0(SALU_CYCLE_1) | instskip(NEXT) | instid1(SALU_CYCLE_1)
	s_or_b32 exec_lo, exec_lo, s65
	s_mov_b32 s10, exec_lo
	v_readlane_b32 s11, v103, 2
	s_and_b32 s11, s10, s11
	s_delay_alu instid0(SALU_CYCLE_1)
	s_mov_b32 exec_lo, s11
	s_cbranch_execz .LBB126_261
; %bb.260:                              ;   in Loop: Header=BB126_3 Depth=1
	ds_load_b64 v[42:43], v1 offset:24440
	s_wait_dscnt 0x0
	v_mul_f64_e32 v[40:41], v[40:41], v[42:43]
	s_delay_alu instid0(VALU_DEP_1) | instskip(NEXT) | instid1(VALU_DEP_2)
	v_xor_b32_e32 v43, 0x80000000, v41
	v_mov_b32_e32 v42, v40
	ds_store_b64 v61, v[42:43]
.LBB126_261:                            ;   in Loop: Header=BB126_3 Depth=1
	s_or_b32 exec_lo, exec_lo, s10
	s_wait_loadcnt_dscnt 0x0
	s_barrier_signal -1
	s_barrier_wait -1
	s_mov_b32 s10, exec_lo
	v_readlane_b32 s11, v103, 3
	s_and_b32 s11, s10, s11
	s_delay_alu instid0(SALU_CYCLE_1)
	s_mov_b32 exec_lo, s11
	s_cbranch_execz .LBB126_263
; %bb.262:                              ;   in Loop: Header=BB126_3 Depth=1
	ds_load_b64 v[42:43], v63 offset:24320
	ds_load_b64 v[94:95], v61
	s_wait_dscnt 0x0
	v_fma_f64 v[40:41], -v[42:43], v[94:95], v[40:41]
.LBB126_263:                            ;   in Loop: Header=BB126_3 Depth=1
	s_or_b32 exec_lo, exec_lo, s10
	s_barrier_signal -1
	s_barrier_wait -1
	s_mov_b32 s10, exec_lo
	v_readlane_b32 s11, v103, 4
	s_and_b32 s11, s10, s11
	s_delay_alu instid0(SALU_CYCLE_1)
	s_mov_b32 exec_lo, s11
	s_cbranch_execz .LBB126_265
; %bb.264:                              ;   in Loop: Header=BB126_3 Depth=1
	ds_load_b64 v[42:43], v1 offset:23920
	s_wait_dscnt 0x0
	v_mul_f64_e32 v[40:41], v[40:41], v[42:43]
	s_delay_alu instid0(VALU_DEP_1) | instskip(NEXT) | instid1(VALU_DEP_2)
	v_xor_b32_e32 v43, 0x80000000, v41
	v_mov_b32_e32 v42, v40
	ds_store_b64 v61, v[42:43]
.LBB126_265:                            ;   in Loop: Header=BB126_3 Depth=1
	s_or_b32 exec_lo, exec_lo, s10
	s_wait_dscnt 0x0
	s_barrier_signal -1
	s_barrier_wait -1
	s_and_saveexec_b32 s10, s48
	s_cbranch_execz .LBB126_267
; %bb.266:                              ;   in Loop: Header=BB126_3 Depth=1
	ds_load_b64 v[42:43], v63 offset:23808
	ds_load_b64 v[94:95], v61
	s_wait_dscnt 0x0
	v_fma_f64 v[40:41], -v[42:43], v[94:95], v[40:41]
.LBB126_267:                            ;   in Loop: Header=BB126_3 Depth=1
	s_or_b32 exec_lo, exec_lo, s10
	s_barrier_signal -1
	s_barrier_wait -1
	s_and_saveexec_b32 s10, s49
	s_cbranch_execz .LBB126_269
; %bb.268:                              ;   in Loop: Header=BB126_3 Depth=1
	ds_load_b64 v[42:43], v1 offset:23400
	s_wait_dscnt 0x0
	v_mul_f64_e32 v[40:41], v[40:41], v[42:43]
	s_delay_alu instid0(VALU_DEP_1) | instskip(NEXT) | instid1(VALU_DEP_2)
	v_xor_b32_e32 v43, 0x80000000, v41
	v_mov_b32_e32 v42, v40
	ds_store_b64 v61, v[42:43]
.LBB126_269:                            ;   in Loop: Header=BB126_3 Depth=1
	s_or_b32 exec_lo, exec_lo, s10
	s_wait_dscnt 0x0
	s_barrier_signal -1
	s_barrier_wait -1
	s_and_saveexec_b32 s10, s50
	s_cbranch_execz .LBB126_271
; %bb.270:                              ;   in Loop: Header=BB126_3 Depth=1
	ds_load_b64 v[42:43], v63 offset:23296
	ds_load_b64 v[94:95], v61
	s_wait_dscnt 0x0
	v_fma_f64 v[40:41], -v[42:43], v[94:95], v[40:41]
.LBB126_271:                            ;   in Loop: Header=BB126_3 Depth=1
	s_or_b32 exec_lo, exec_lo, s10
	s_barrier_signal -1
	s_barrier_wait -1
	s_and_saveexec_b32 s10, s51
	;; [unrolled: 26-line block ×14, first 2 shown]
	s_cbranch_execz .LBB126_321
; %bb.320:                              ;   in Loop: Header=BB126_3 Depth=1
	ds_load_b64 v[42:43], v1 offset:16640
	s_wait_dscnt 0x0
	v_mul_f64_e32 v[40:41], v[40:41], v[42:43]
	s_delay_alu instid0(VALU_DEP_1) | instskip(NEXT) | instid1(VALU_DEP_2)
	v_xor_b32_e32 v43, 0x80000000, v41
	v_mov_b32_e32 v42, v40
	ds_store_b64 v61, v[42:43]
.LBB126_321:                            ;   in Loop: Header=BB126_3 Depth=1
	s_or_b32 exec_lo, exec_lo, s10
	s_wait_dscnt 0x0
	s_barrier_signal -1
	s_barrier_wait -1
	s_barrier_signal -1
	s_barrier_wait -1
	s_and_saveexec_b32 s10, s5
; %bb.322:                              ;   in Loop: Header=BB126_3 Depth=1
	ds_store_b64 v65, v[40:41] offset:32512
; %bb.323:                              ;   in Loop: Header=BB126_3 Depth=1
	s_or_b32 exec_lo, exec_lo, s10
	s_wait_dscnt 0x0
	s_barrier_signal -1
	s_barrier_wait -1
	s_barrier_signal -1
	s_barrier_wait -1
	s_and_saveexec_b32 s10, s84
	s_cbranch_execz .LBB126_325
; %bb.324:                              ;   in Loop: Header=BB126_3 Depth=1
	ds_load_b64 v[40:41], v50 offset:24832
	s_wait_dscnt 0x0
	ds_store_b64 v54, v[40:41] offset:16768
	ds_load_b64 v[40:41], v50 offset:24840
	s_wait_dscnt 0x0
	ds_store_b64 v54, v[40:41] offset:17280
	;; [unrolled: 3-line block ×16, first 2 shown]
.LBB126_325:                            ;   in Loop: Header=BB126_3 Depth=1
	s_or_b32 exec_lo, exec_lo, s10
	s_wait_dscnt 0x0
	s_barrier_signal -1
	s_barrier_wait -1
	s_and_saveexec_b32 s10, s14
	s_cbranch_execz .LBB126_327
; %bb.326:                              ;   in Loop: Header=BB126_3 Depth=1
	ds_load_b128 v[40:43], v1 offset:24432
	ds_load_b64 v[94:95], v1 offset:23920
	v_add_nc_u32_e64 v0, 0x5800, 0
	s_wait_dscnt 0x0
	v_mul_f64_e32 v[42:43], v[94:95], v[42:43]
	s_delay_alu instid0(VALU_DEP_1)
	v_mul_f64_e32 v[40:41], v[40:41], v[42:43]
	ds_store_2addr_b64 v0, v[40:41], v[40:41] offset0:175 offset1:238
.LBB126_327:                            ;   in Loop: Header=BB126_3 Depth=1
	s_or_b32 exec_lo, exec_lo, s10
	v_mov_b64_e32 v[40:41], 0
	s_wait_dscnt 0x0
	s_barrier_signal -1
	s_barrier_wait -1
	global_wb scope:SCOPE_DEV
	s_wait_storecnt 0x0
	global_inv scope:SCOPE_DEV
	s_and_saveexec_b32 s10, s1
	s_cbranch_execz .LBB126_331
; %bb.328:                              ;   in Loop: Header=BB126_3 Depth=1
	ds_load_b64 v[40:41], v47 offset:23904
	ds_load_b64 v[42:43], v46 offset:24432
	s_wait_dscnt 0x0
	v_fma_f64 v[40:41], v[40:41], v[42:43], 0
	s_and_saveexec_b32 s11, s15
	s_cbranch_execz .LBB126_330
; %bb.329:                              ;   in Loop: Header=BB126_3 Depth=1
	ds_load_b64 v[42:43], v48 offset:24416
	ds_load_b64 v[94:95], v1 offset:24440
	s_wait_dscnt 0x0
	v_fmac_f64_e32 v[40:41], v[42:43], v[94:95]
.LBB126_330:                            ;   in Loop: Header=BB126_3 Depth=1
	s_or_b32 exec_lo, exec_lo, s11
.LBB126_331:                            ;   in Loop: Header=BB126_3 Depth=1
	s_delay_alu instid0(SALU_CYCLE_1)
	s_or_b32 exec_lo, exec_lo, s10
	s_and_saveexec_b32 s10, s90
	s_cbranch_execz .LBB126_333
; %bb.332:                              ;   in Loop: Header=BB126_3 Depth=1
	ds_load_b64 v[42:43], v1 offset:23400
	s_wait_dscnt 0x0
	v_mul_f64_e32 v[40:41], v[40:41], v[42:43]
	s_delay_alu instid0(VALU_DEP_1) | instskip(NEXT) | instid1(VALU_DEP_2)
	v_xor_b32_e32 v43, 0x80000000, v41
	v_mov_b32_e32 v42, v40
	ds_store_b64 v3, v[42:43]
.LBB126_333:                            ;   in Loop: Header=BB126_3 Depth=1
	s_or_b32 exec_lo, exec_lo, s10
	s_wait_loadcnt_dscnt 0x0
	s_barrier_signal -1
	s_barrier_wait -1
	s_and_saveexec_b32 s10, s91
	s_cbranch_execz .LBB126_335
; %bb.334:                              ;   in Loop: Header=BB126_3 Depth=1
	ds_load_b64 v[42:43], v1 offset:23392
	ds_load_b64 v[94:95], v3
	s_wait_dscnt 0x0
	v_fma_f64 v[40:41], -v[42:43], v[94:95], v[40:41]
.LBB126_335:                            ;   in Loop: Header=BB126_3 Depth=1
	s_or_b32 exec_lo, exec_lo, s10
	s_barrier_signal -1
	s_barrier_wait -1
	s_and_saveexec_b32 s10, s91
	s_cbranch_execz .LBB126_337
; %bb.336:                              ;   in Loop: Header=BB126_3 Depth=1
	ds_load_b64 v[42:43], v1 offset:22880
	s_wait_dscnt 0x0
	v_mul_f64_e32 v[40:41], v[40:41], v[42:43]
	s_delay_alu instid0(VALU_DEP_1) | instskip(NEXT) | instid1(VALU_DEP_2)
	v_xor_b32_e32 v43, 0x80000000, v41
	v_mov_b32_e32 v42, v40
	ds_store_b64 v3, v[42:43]
.LBB126_337:                            ;   in Loop: Header=BB126_3 Depth=1
	s_or_b32 exec_lo, exec_lo, s10
	s_wait_dscnt 0x0
	s_barrier_signal -1
	s_barrier_wait -1
	s_barrier_signal -1
	s_barrier_wait -1
	s_and_saveexec_b32 s10, s1
; %bb.338:                              ;   in Loop: Header=BB126_3 Depth=1
	ds_store_b64 v49, v[40:41] offset:24416
; %bb.339:                              ;   in Loop: Header=BB126_3 Depth=1
	s_or_b32 exec_lo, exec_lo, s10
	s_wait_dscnt 0x0
	s_barrier_signal -1
	s_barrier_wait -1
	s_barrier_signal -1
	s_barrier_wait -1
	s_and_saveexec_b32 s10, s92
	s_cbranch_execz .LBB126_341
; %bb.340:                              ;   in Loop: Header=BB126_3 Depth=1
	ds_load_b64 v[40:41], v50 offset:23904
	s_wait_dscnt 0x0
	ds_store_b64 v48, v[40:41] offset:22896
	ds_load_b64 v[40:41], v50 offset:23912
	s_wait_dscnt 0x0
	ds_store_b64 v48, v[40:41] offset:23408
.LBB126_341:                            ;   in Loop: Header=BB126_3 Depth=1
	s_or_b32 exec_lo, exec_lo, s10
	s_wait_dscnt 0x0
	s_barrier_signal -1
	s_barrier_wait -1
	s_and_saveexec_b32 s10, s14
	s_cbranch_execz .LBB126_343
; %bb.342:                              ;   in Loop: Header=BB126_3 Depth=1
	ds_load_b128 v[40:43], v1 offset:23392
	ds_load_b64 v[94:95], v1 offset:22880
	v_add_nc_u32_e64 v0, 0x5800, 0
	s_wait_dscnt 0x0
	v_mul_f64_e32 v[42:43], v[94:95], v[42:43]
	s_delay_alu instid0(VALU_DEP_1)
	v_mul_f64_e32 v[40:41], v[40:41], v[42:43]
	ds_store_2addr_b64 v0, v[40:41], v[40:41] offset0:45 offset1:108
.LBB126_343:                            ;   in Loop: Header=BB126_3 Depth=1
	s_or_b32 exec_lo, exec_lo, s10
	v_mov_b64_e32 v[40:41], 0
	s_wait_dscnt 0x0
	s_barrier_signal -1
	s_barrier_wait -1
	global_wb scope:SCOPE_DEV
	s_wait_storecnt 0x0
	global_inv scope:SCOPE_DEV
	s_and_saveexec_b32 s10, s3
	s_cbranch_execz .LBB126_349
; %bb.344:                              ;   in Loop: Header=BB126_3 Depth=1
	ds_load_b64 v[40:41], v53 offset:22848
	ds_load_b64 v[42:43], v52 offset:24416
	s_wait_dscnt 0x0
	v_fma_f64 v[40:41], v[40:41], v[42:43], 0
	s_and_saveexec_b32 s11, s16
	s_cbranch_execnz .LBB126_1113
; %bb.345:                              ;   in Loop: Header=BB126_3 Depth=1
	s_or_b32 exec_lo, exec_lo, s11
	s_and_saveexec_b32 s11, s17
	s_cbranch_execnz .LBB126_1114
.LBB126_346:                            ;   in Loop: Header=BB126_3 Depth=1
	s_or_b32 exec_lo, exec_lo, s11
	s_and_saveexec_b32 s11, s1
	s_cbranch_execz .LBB126_348
.LBB126_347:                            ;   in Loop: Header=BB126_3 Depth=1
	ds_load_b64 v[42:43], v54 offset:24384
	ds_load_b64 v[94:95], v1 offset:24440
	s_wait_dscnt 0x0
	v_fmac_f64_e32 v[40:41], v[42:43], v[94:95]
.LBB126_348:                            ;   in Loop: Header=BB126_3 Depth=1
	s_or_b32 exec_lo, exec_lo, s11
.LBB126_349:                            ;   in Loop: Header=BB126_3 Depth=1
	s_delay_alu instid0(SALU_CYCLE_1)
	s_or_b32 exec_lo, exec_lo, s10
	s_and_saveexec_b32 s10, s93
	s_cbranch_execz .LBB126_351
; %bb.350:                              ;   in Loop: Header=BB126_3 Depth=1
	ds_load_b64 v[42:43], v1 offset:22360
	s_wait_dscnt 0x0
	v_mul_f64_e32 v[40:41], v[40:41], v[42:43]
	s_delay_alu instid0(VALU_DEP_1) | instskip(NEXT) | instid1(VALU_DEP_2)
	v_xor_b32_e32 v43, 0x80000000, v41
	v_mov_b32_e32 v42, v40
	ds_store_b64 v51, v[42:43]
.LBB126_351:                            ;   in Loop: Header=BB126_3 Depth=1
	s_or_b32 exec_lo, exec_lo, s10
	s_wait_loadcnt_dscnt 0x0
	s_barrier_signal -1
	s_barrier_wait -1
	s_and_saveexec_b32 s10, s94
	s_cbranch_execz .LBB126_353
; %bb.352:                              ;   in Loop: Header=BB126_3 Depth=1
	ds_load_b64 v[42:43], v53 offset:22336
	ds_load_b64 v[94:95], v51
	s_wait_dscnt 0x0
	v_fma_f64 v[40:41], -v[42:43], v[94:95], v[40:41]
.LBB126_353:                            ;   in Loop: Header=BB126_3 Depth=1
	s_or_b32 exec_lo, exec_lo, s10
	s_barrier_signal -1
	s_barrier_wait -1
	s_and_saveexec_b32 s10, s95
	s_cbranch_execz .LBB126_355
; %bb.354:                              ;   in Loop: Header=BB126_3 Depth=1
	ds_load_b64 v[42:43], v1 offset:21840
	s_wait_dscnt 0x0
	v_mul_f64_e32 v[40:41], v[40:41], v[42:43]
	s_delay_alu instid0(VALU_DEP_1) | instskip(NEXT) | instid1(VALU_DEP_2)
	v_xor_b32_e32 v43, 0x80000000, v41
	v_mov_b32_e32 v42, v40
	ds_store_b64 v51, v[42:43]
.LBB126_355:                            ;   in Loop: Header=BB126_3 Depth=1
	s_or_b32 exec_lo, exec_lo, s10
	s_wait_dscnt 0x0
	s_barrier_signal -1
	s_barrier_wait -1
	s_and_saveexec_b32 s10, s96
	s_cbranch_execz .LBB126_357
; %bb.356:                              ;   in Loop: Header=BB126_3 Depth=1
	ds_load_b64 v[42:43], v53 offset:21824
	ds_load_b64 v[94:95], v51
	s_wait_dscnt 0x0
	v_fma_f64 v[40:41], -v[42:43], v[94:95], v[40:41]
.LBB126_357:                            ;   in Loop: Header=BB126_3 Depth=1
	s_or_b32 exec_lo, exec_lo, s10
	s_barrier_signal -1
	s_barrier_wait -1
	s_and_saveexec_b32 s10, s97
	s_cbranch_execz .LBB126_359
; %bb.358:                              ;   in Loop: Header=BB126_3 Depth=1
	ds_load_b64 v[42:43], v1 offset:21320
	s_wait_dscnt 0x0
	v_mul_f64_e32 v[40:41], v[40:41], v[42:43]
	s_delay_alu instid0(VALU_DEP_1) | instskip(NEXT) | instid1(VALU_DEP_2)
	v_xor_b32_e32 v43, 0x80000000, v41
	v_mov_b32_e32 v42, v40
	ds_store_b64 v51, v[42:43]
.LBB126_359:                            ;   in Loop: Header=BB126_3 Depth=1
	s_or_b32 exec_lo, exec_lo, s10
	s_wait_dscnt 0x0
	;; [unrolled: 26-line block ×3, first 2 shown]
	s_barrier_signal -1
	s_barrier_wait -1
	s_barrier_signal -1
	s_barrier_wait -1
	s_and_saveexec_b32 s10, s3
; %bb.364:                              ;   in Loop: Header=BB126_3 Depth=1
	ds_store_b64 v55, v[40:41] offset:24384
; %bb.365:                              ;   in Loop: Header=BB126_3 Depth=1
	s_or_b32 exec_lo, exec_lo, s10
	s_wait_dscnt 0x0
	s_barrier_signal -1
	s_barrier_wait -1
	s_barrier_signal -1
	s_barrier_wait -1
	s_and_saveexec_b32 s10, s99
	s_cbranch_execz .LBB126_367
; %bb.366:                              ;   in Loop: Header=BB126_3 Depth=1
	ds_load_b64 v[40:41], v56 offset:22848
	s_wait_dscnt 0x0
	ds_store_b64 v5, v[40:41] offset:20832
	ds_load_b64 v[40:41], v56 offset:22856
	s_wait_dscnt 0x0
	ds_store_b64 v5, v[40:41] offset:21344
	ds_load_b64 v[40:41], v56 offset:22864
	s_wait_dscnt 0x0
	ds_store_b64 v5, v[40:41] offset:21856
	ds_load_b64 v[40:41], v56 offset:22872
	s_wait_dscnt 0x0
	ds_store_b64 v5, v[40:41] offset:22368
.LBB126_367:                            ;   in Loop: Header=BB126_3 Depth=1
	s_or_b32 exec_lo, exec_lo, s10
	s_wait_dscnt 0x0
	s_barrier_signal -1
	s_barrier_wait -1
	s_and_saveexec_b32 s10, s14
	s_cbranch_execz .LBB126_369
; %bb.368:                              ;   in Loop: Header=BB126_3 Depth=1
	ds_load_b128 v[40:43], v1 offset:22352
	ds_load_b64 v[94:95], v1 offset:21840
	v_add_nc_u32_e64 v0, 0x5000, 0
	s_wait_dscnt 0x0
	v_mul_f64_e32 v[42:43], v[94:95], v[42:43]
	s_delay_alu instid0(VALU_DEP_1)
	v_mul_f64_e32 v[40:41], v[40:41], v[42:43]
	ds_store_2addr_b64 v0, v[40:41], v[40:41] offset0:171 offset1:234
.LBB126_369:                            ;   in Loop: Header=BB126_3 Depth=1
	s_or_b32 exec_lo, exec_lo, s10
	v_mov_b64_e32 v[40:41], 0
	s_wait_dscnt 0x0
	s_barrier_signal -1
	s_barrier_wait -1
	global_wb scope:SCOPE_DEV
	s_wait_storecnt 0x0
	global_inv scope:SCOPE_DEV
	s_and_saveexec_b32 s10, s1
	s_cbranch_execz .LBB126_373
; %bb.370:                              ;   in Loop: Header=BB126_3 Depth=1
	ds_load_b64 v[40:41], v47 offset:21824
	ds_load_b64 v[42:43], v46 offset:22352
	s_wait_dscnt 0x0
	v_fma_f64 v[40:41], v[40:41], v[42:43], 0
	s_and_saveexec_b32 s11, s15
	s_cbranch_execz .LBB126_372
; %bb.371:                              ;   in Loop: Header=BB126_3 Depth=1
	ds_load_b64 v[42:43], v5 offset:22336
	ds_load_b64 v[94:95], v1 offset:22360
	s_wait_dscnt 0x0
	v_fmac_f64_e32 v[40:41], v[42:43], v[94:95]
.LBB126_372:                            ;   in Loop: Header=BB126_3 Depth=1
	s_or_b32 exec_lo, exec_lo, s11
.LBB126_373:                            ;   in Loop: Header=BB126_3 Depth=1
	s_delay_alu instid0(SALU_CYCLE_1)
	s_or_b32 exec_lo, exec_lo, s10
	s_and_saveexec_b32 s10, s90
	s_cbranch_execz .LBB126_375
; %bb.374:                              ;   in Loop: Header=BB126_3 Depth=1
	ds_load_b64 v[42:43], v1 offset:21320
	s_wait_dscnt 0x0
	v_mul_f64_e32 v[40:41], v[40:41], v[42:43]
	s_delay_alu instid0(VALU_DEP_1) | instskip(NEXT) | instid1(VALU_DEP_2)
	v_xor_b32_e32 v43, 0x80000000, v41
	v_mov_b32_e32 v42, v40
	ds_store_b64 v3, v[42:43]
.LBB126_375:                            ;   in Loop: Header=BB126_3 Depth=1
	s_or_b32 exec_lo, exec_lo, s10
	s_wait_loadcnt_dscnt 0x0
	s_barrier_signal -1
	s_barrier_wait -1
	s_and_saveexec_b32 s10, s91
	s_cbranch_execz .LBB126_377
; %bb.376:                              ;   in Loop: Header=BB126_3 Depth=1
	ds_load_b64 v[42:43], v1 offset:21312
	ds_load_b64 v[94:95], v3
	s_wait_dscnt 0x0
	v_fma_f64 v[40:41], -v[42:43], v[94:95], v[40:41]
.LBB126_377:                            ;   in Loop: Header=BB126_3 Depth=1
	s_or_b32 exec_lo, exec_lo, s10
	s_barrier_signal -1
	s_barrier_wait -1
	s_and_saveexec_b32 s10, s91
	s_cbranch_execz .LBB126_379
; %bb.378:                              ;   in Loop: Header=BB126_3 Depth=1
	ds_load_b64 v[42:43], v1 offset:20800
	s_wait_dscnt 0x0
	v_mul_f64_e32 v[40:41], v[40:41], v[42:43]
	s_delay_alu instid0(VALU_DEP_1) | instskip(NEXT) | instid1(VALU_DEP_2)
	v_xor_b32_e32 v43, 0x80000000, v41
	v_mov_b32_e32 v42, v40
	ds_store_b64 v3, v[42:43]
.LBB126_379:                            ;   in Loop: Header=BB126_3 Depth=1
	s_or_b32 exec_lo, exec_lo, s10
	s_wait_dscnt 0x0
	s_barrier_signal -1
	s_barrier_wait -1
	s_barrier_signal -1
	s_barrier_wait -1
	s_and_saveexec_b32 s10, s1
; %bb.380:                              ;   in Loop: Header=BB126_3 Depth=1
	ds_store_b64 v49, v[40:41] offset:22336
; %bb.381:                              ;   in Loop: Header=BB126_3 Depth=1
	s_or_b32 exec_lo, exec_lo, s10
	s_wait_dscnt 0x0
	s_barrier_signal -1
	s_barrier_wait -1
	s_barrier_signal -1
	s_barrier_wait -1
	s_and_saveexec_b32 s10, s92
	s_cbranch_execz .LBB126_383
; %bb.382:                              ;   in Loop: Header=BB126_3 Depth=1
	ds_load_b64 v[40:41], v71 offset:21824
	s_wait_dscnt 0x0
	ds_store_b64 v5, v[40:41] offset:20816
	ds_load_b64 v[40:41], v71 offset:21832
	s_wait_dscnt 0x0
	ds_store_b64 v5, v[40:41] offset:21328
.LBB126_383:                            ;   in Loop: Header=BB126_3 Depth=1
	s_or_b32 exec_lo, exec_lo, s10
	s_wait_dscnt 0x0
	s_barrier_signal -1
	s_barrier_wait -1
	s_and_saveexec_b32 s10, s14
	s_cbranch_execz .LBB126_385
; %bb.384:                              ;   in Loop: Header=BB126_3 Depth=1
	ds_load_b128 v[40:43], v1 offset:21312
	ds_load_b64 v[94:95], v1 offset:20800
	v_add_nc_u32_e64 v0, 0x5000, 0
	s_wait_dscnt 0x0
	v_mul_f64_e32 v[42:43], v[94:95], v[42:43]
	s_delay_alu instid0(VALU_DEP_1)
	v_mul_f64_e32 v[40:41], v[40:41], v[42:43]
	ds_store_2addr_b64 v0, v[40:41], v[40:41] offset0:41 offset1:104
.LBB126_385:                            ;   in Loop: Header=BB126_3 Depth=1
	s_or_b32 exec_lo, exec_lo, s10
	v_mov_b64_e32 v[40:41], 0
	s_wait_dscnt 0x0
	s_barrier_signal -1
	s_barrier_wait -1
	global_wb scope:SCOPE_DEV
	s_wait_storecnt 0x0
	global_inv scope:SCOPE_DEV
	s_and_saveexec_b32 s10, s4
	s_cbranch_execz .LBB126_395
; %bb.386:                              ;   in Loop: Header=BB126_3 Depth=1
	ds_load_b64 v[40:41], v59 offset:20736
	ds_load_b64 v[42:43], v58 offset:24384
	s_wait_dscnt 0x0
	v_fma_f64 v[40:41], v[40:41], v[42:43], 0
	s_and_saveexec_b32 s11, s18
	s_cbranch_execnz .LBB126_1115
; %bb.387:                              ;   in Loop: Header=BB126_3 Depth=1
	s_or_b32 exec_lo, exec_lo, s11
	s_and_saveexec_b32 s11, s19
	s_cbranch_execnz .LBB126_1116
.LBB126_388:                            ;   in Loop: Header=BB126_3 Depth=1
	s_or_b32 exec_lo, exec_lo, s11
	s_and_saveexec_b32 s11, s20
	s_cbranch_execnz .LBB126_1117
.LBB126_389:                            ;   in Loop: Header=BB126_3 Depth=1
	s_or_b32 exec_lo, exec_lo, s11
	s_and_saveexec_b32 s11, s21
	s_cbranch_execnz .LBB126_1118
.LBB126_390:                            ;   in Loop: Header=BB126_3 Depth=1
	s_or_b32 exec_lo, exec_lo, s11
	s_and_saveexec_b32 s11, s22
	s_cbranch_execnz .LBB126_1119
.LBB126_391:                            ;   in Loop: Header=BB126_3 Depth=1
	s_or_b32 exec_lo, exec_lo, s11
	s_and_saveexec_b32 s11, s3
	s_cbranch_execnz .LBB126_1120
.LBB126_392:                            ;   in Loop: Header=BB126_3 Depth=1
	s_or_b32 exec_lo, exec_lo, s11
	s_and_saveexec_b32 s11, s17
	s_cbranch_execz .LBB126_394
.LBB126_393:                            ;   in Loop: Header=BB126_3 Depth=1
	ds_load_b64 v[42:43], v72 offset:24320
	ds_load_b64 v[94:95], v1 offset:24440
	s_wait_dscnt 0x0
	v_fmac_f64_e32 v[40:41], v[42:43], v[94:95]
.LBB126_394:                            ;   in Loop: Header=BB126_3 Depth=1
	s_or_b32 exec_lo, exec_lo, s11
.LBB126_395:                            ;   in Loop: Header=BB126_3 Depth=1
	s_delay_alu instid0(SALU_CYCLE_1)
	s_or_b32 exec_lo, exec_lo, s10
	s_and_saveexec_b32 s10, s100
	s_cbranch_execz .LBB126_397
; %bb.396:                              ;   in Loop: Header=BB126_3 Depth=1
	ds_load_b64 v[42:43], v1 offset:20280
	s_wait_dscnt 0x0
	v_mul_f64_e32 v[40:41], v[40:41], v[42:43]
	s_delay_alu instid0(VALU_DEP_1) | instskip(NEXT) | instid1(VALU_DEP_2)
	v_xor_b32_e32 v43, 0x80000000, v41
	v_mov_b32_e32 v42, v40
	ds_store_b64 v57, v[42:43]
.LBB126_397:                            ;   in Loop: Header=BB126_3 Depth=1
	s_or_b32 exec_lo, exec_lo, s10
	s_wait_loadcnt_dscnt 0x0
	s_barrier_signal -1
	s_barrier_wait -1
	s_and_saveexec_b32 s10, s101
	s_cbranch_execz .LBB126_399
; %bb.398:                              ;   in Loop: Header=BB126_3 Depth=1
	ds_load_b64 v[42:43], v59 offset:20224
	ds_load_b64 v[94:95], v57
	s_wait_dscnt 0x0
	v_fma_f64 v[40:41], -v[42:43], v[94:95], v[40:41]
.LBB126_399:                            ;   in Loop: Header=BB126_3 Depth=1
	s_or_b32 exec_lo, exec_lo, s10
	s_barrier_signal -1
	s_barrier_wait -1
	s_and_saveexec_b32 s10, s102
	s_cbranch_execz .LBB126_401
; %bb.400:                              ;   in Loop: Header=BB126_3 Depth=1
	ds_load_b64 v[42:43], v1 offset:19760
	s_wait_dscnt 0x0
	v_mul_f64_e32 v[40:41], v[40:41], v[42:43]
	s_delay_alu instid0(VALU_DEP_1) | instskip(NEXT) | instid1(VALU_DEP_2)
	v_xor_b32_e32 v43, 0x80000000, v41
	v_mov_b32_e32 v42, v40
	ds_store_b64 v57, v[42:43]
.LBB126_401:                            ;   in Loop: Header=BB126_3 Depth=1
	s_or_b32 exec_lo, exec_lo, s10
	s_wait_dscnt 0x0
	s_barrier_signal -1
	s_barrier_wait -1
	s_and_saveexec_b32 s10, s103
	s_cbranch_execz .LBB126_403
; %bb.402:                              ;   in Loop: Header=BB126_3 Depth=1
	ds_load_b64 v[42:43], v59 offset:19712
	ds_load_b64 v[94:95], v57
	s_wait_dscnt 0x0
	v_fma_f64 v[40:41], -v[42:43], v[94:95], v[40:41]
.LBB126_403:                            ;   in Loop: Header=BB126_3 Depth=1
	s_or_b32 exec_lo, exec_lo, s10
	s_barrier_signal -1
	s_barrier_wait -1
	s_and_saveexec_b32 s10, s104
	s_cbranch_execz .LBB126_405
; %bb.404:                              ;   in Loop: Header=BB126_3 Depth=1
	ds_load_b64 v[42:43], v1 offset:19240
	s_wait_dscnt 0x0
	v_mul_f64_e32 v[40:41], v[40:41], v[42:43]
	s_delay_alu instid0(VALU_DEP_1) | instskip(NEXT) | instid1(VALU_DEP_2)
	v_xor_b32_e32 v43, 0x80000000, v41
	v_mov_b32_e32 v42, v40
	ds_store_b64 v57, v[42:43]
.LBB126_405:                            ;   in Loop: Header=BB126_3 Depth=1
	s_or_b32 exec_lo, exec_lo, s10
	s_wait_dscnt 0x0
	s_barrier_signal -1
	s_barrier_wait -1
	s_and_saveexec_b32 s10, vcc_hi
	s_cbranch_execz .LBB126_407
; %bb.406:                              ;   in Loop: Header=BB126_3 Depth=1
	ds_load_b64 v[42:43], v59 offset:19200
	ds_load_b64 v[94:95], v57
	s_wait_dscnt 0x0
	v_fma_f64 v[40:41], -v[42:43], v[94:95], v[40:41]
.LBB126_407:                            ;   in Loop: Header=BB126_3 Depth=1
	s_or_b32 exec_lo, exec_lo, s10
	s_barrier_signal -1
	s_barrier_wait -1
	s_and_saveexec_b32 s10, s36
	s_cbranch_execz .LBB126_409
; %bb.408:                              ;   in Loop: Header=BB126_3 Depth=1
	ds_load_b64 v[42:43], v1 offset:18720
	s_wait_dscnt 0x0
	v_mul_f64_e32 v[40:41], v[40:41], v[42:43]
	s_delay_alu instid0(VALU_DEP_1) | instskip(NEXT) | instid1(VALU_DEP_2)
	v_xor_b32_e32 v43, 0x80000000, v41
	v_mov_b32_e32 v42, v40
	ds_store_b64 v57, v[42:43]
.LBB126_409:                            ;   in Loop: Header=BB126_3 Depth=1
	s_or_b32 exec_lo, exec_lo, s10
	s_wait_dscnt 0x0
	s_barrier_signal -1
	s_barrier_wait -1
	s_and_saveexec_b32 s10, s37
	s_cbranch_execz .LBB126_411
; %bb.410:                              ;   in Loop: Header=BB126_3 Depth=1
	ds_load_b64 v[42:43], v59 offset:18688
	ds_load_b64 v[94:95], v57
	s_wait_dscnt 0x0
	v_fma_f64 v[40:41], -v[42:43], v[94:95], v[40:41]
.LBB126_411:                            ;   in Loop: Header=BB126_3 Depth=1
	s_or_b32 exec_lo, exec_lo, s10
	s_barrier_signal -1
	s_barrier_wait -1
	s_and_saveexec_b32 s10, s38
	s_cbranch_execz .LBB126_413
; %bb.412:                              ;   in Loop: Header=BB126_3 Depth=1
	ds_load_b64 v[42:43], v1 offset:18200
	s_wait_dscnt 0x0
	v_mul_f64_e32 v[40:41], v[40:41], v[42:43]
	s_delay_alu instid0(VALU_DEP_1) | instskip(NEXT) | instid1(VALU_DEP_2)
	v_xor_b32_e32 v43, 0x80000000, v41
	v_mov_b32_e32 v42, v40
	ds_store_b64 v57, v[42:43]
.LBB126_413:                            ;   in Loop: Header=BB126_3 Depth=1
	s_or_b32 exec_lo, exec_lo, s10
	s_wait_dscnt 0x0
	s_barrier_signal -1
	s_barrier_wait -1
	s_and_saveexec_b32 s10, s39
	s_cbranch_execz .LBB126_415
; %bb.414:                              ;   in Loop: Header=BB126_3 Depth=1
	ds_load_b64 v[42:43], v59 offset:18176
	ds_load_b64 v[94:95], v57
	s_wait_dscnt 0x0
	v_fma_f64 v[40:41], -v[42:43], v[94:95], v[40:41]
.LBB126_415:                            ;   in Loop: Header=BB126_3 Depth=1
	s_or_b32 exec_lo, exec_lo, s10
	s_barrier_signal -1
	s_barrier_wait -1
	s_and_saveexec_b32 s10, s40
	s_cbranch_execz .LBB126_417
; %bb.416:                              ;   in Loop: Header=BB126_3 Depth=1
	ds_load_b64 v[42:43], v1 offset:17680
	s_wait_dscnt 0x0
	v_mul_f64_e32 v[40:41], v[40:41], v[42:43]
	s_delay_alu instid0(VALU_DEP_1) | instskip(NEXT) | instid1(VALU_DEP_2)
	v_xor_b32_e32 v43, 0x80000000, v41
	v_mov_b32_e32 v42, v40
	ds_store_b64 v57, v[42:43]
.LBB126_417:                            ;   in Loop: Header=BB126_3 Depth=1
	s_or_b32 exec_lo, exec_lo, s10
	s_wait_dscnt 0x0
	s_barrier_signal -1
	s_barrier_wait -1
	s_and_saveexec_b32 s10, s41
	s_cbranch_execz .LBB126_419
; %bb.418:                              ;   in Loop: Header=BB126_3 Depth=1
	ds_load_b64 v[42:43], v59 offset:17664
	ds_load_b64 v[94:95], v57
	s_wait_dscnt 0x0
	v_fma_f64 v[40:41], -v[42:43], v[94:95], v[40:41]
.LBB126_419:                            ;   in Loop: Header=BB126_3 Depth=1
	s_or_b32 exec_lo, exec_lo, s10
	s_barrier_signal -1
	s_barrier_wait -1
	s_and_saveexec_b32 s10, s42
	s_cbranch_execz .LBB126_421
; %bb.420:                              ;   in Loop: Header=BB126_3 Depth=1
	ds_load_b64 v[42:43], v1 offset:17160
	s_wait_dscnt 0x0
	v_mul_f64_e32 v[40:41], v[40:41], v[42:43]
	s_delay_alu instid0(VALU_DEP_1) | instskip(NEXT) | instid1(VALU_DEP_2)
	v_xor_b32_e32 v43, 0x80000000, v41
	v_mov_b32_e32 v42, v40
	ds_store_b64 v57, v[42:43]
.LBB126_421:                            ;   in Loop: Header=BB126_3 Depth=1
	s_or_b32 exec_lo, exec_lo, s10
	s_wait_dscnt 0x0
	s_barrier_signal -1
	s_barrier_wait -1
	s_and_saveexec_b32 s10, s43
	s_cbranch_execz .LBB126_423
; %bb.422:                              ;   in Loop: Header=BB126_3 Depth=1
	ds_load_b64 v[42:43], v1 offset:17152
	ds_load_b64 v[94:95], v57
	s_wait_dscnt 0x0
	v_fma_f64 v[40:41], -v[42:43], v[94:95], v[40:41]
.LBB126_423:                            ;   in Loop: Header=BB126_3 Depth=1
	s_or_b32 exec_lo, exec_lo, s10
	s_barrier_signal -1
	s_barrier_wait -1
	s_and_saveexec_b32 s10, s43
	s_cbranch_execz .LBB126_425
; %bb.424:                              ;   in Loop: Header=BB126_3 Depth=1
	ds_load_b64 v[42:43], v1 offset:16640
	s_wait_dscnt 0x0
	v_mul_f64_e32 v[40:41], v[40:41], v[42:43]
	s_delay_alu instid0(VALU_DEP_1) | instskip(NEXT) | instid1(VALU_DEP_2)
	v_xor_b32_e32 v43, 0x80000000, v41
	v_mov_b32_e32 v42, v40
	ds_store_b64 v57, v[42:43]
.LBB126_425:                            ;   in Loop: Header=BB126_3 Depth=1
	s_or_b32 exec_lo, exec_lo, s10
	s_wait_dscnt 0x0
	s_barrier_signal -1
	s_barrier_wait -1
	s_barrier_signal -1
	s_barrier_wait -1
	s_and_saveexec_b32 s10, s4
; %bb.426:                              ;   in Loop: Header=BB126_3 Depth=1
	ds_store_b64 v60, v[40:41] offset:24320
; %bb.427:                              ;   in Loop: Header=BB126_3 Depth=1
	s_or_b32 exec_lo, exec_lo, s10
	s_wait_dscnt 0x0
	s_barrier_signal -1
	s_barrier_wait -1
	s_barrier_signal -1
	s_barrier_wait -1
	s_and_saveexec_b32 s10, s44
	s_cbranch_execz .LBB126_429
; %bb.428:                              ;   in Loop: Header=BB126_3 Depth=1
	ds_load_b64 v[40:41], v74 offset:20736
	s_wait_dscnt 0x0
	ds_store_b64 v75, v[40:41] offset:16704
	ds_load_b64 v[40:41], v74 offset:20744
	s_wait_dscnt 0x0
	ds_store_b64 v75, v[40:41] offset:17216
	;; [unrolled: 3-line block ×8, first 2 shown]
.LBB126_429:                            ;   in Loop: Header=BB126_3 Depth=1
	s_or_b32 exec_lo, exec_lo, s10
	s_wait_dscnt 0x0
	s_barrier_signal -1
	s_barrier_wait -1
	s_and_saveexec_b32 s10, s14
	s_cbranch_execz .LBB126_431
; %bb.430:                              ;   in Loop: Header=BB126_3 Depth=1
	ds_load_b128 v[40:43], v1 offset:20272
	ds_load_b64 v[94:95], v1 offset:19760
	v_add_nc_u32_e64 v0, 0x4800, 0
	s_wait_dscnt 0x0
	v_mul_f64_e32 v[42:43], v[94:95], v[42:43]
	s_delay_alu instid0(VALU_DEP_1)
	v_mul_f64_e32 v[40:41], v[40:41], v[42:43]
	ds_store_2addr_b64 v0, v[40:41], v[40:41] offset0:167 offset1:230
.LBB126_431:                            ;   in Loop: Header=BB126_3 Depth=1
	s_or_b32 exec_lo, exec_lo, s10
	v_mov_b64_e32 v[40:41], 0
	s_wait_dscnt 0x0
	s_barrier_signal -1
	s_barrier_wait -1
	global_wb scope:SCOPE_DEV
	s_wait_storecnt 0x0
	global_inv scope:SCOPE_DEV
	s_and_saveexec_b32 s10, s1
	s_cbranch_execz .LBB126_435
; %bb.432:                              ;   in Loop: Header=BB126_3 Depth=1
	ds_load_b64 v[40:41], v47 offset:19744
	ds_load_b64 v[42:43], v46 offset:20272
	s_wait_dscnt 0x0
	v_fma_f64 v[40:41], v[40:41], v[42:43], 0
	s_and_saveexec_b32 s11, s15
	s_cbranch_execz .LBB126_434
; %bb.433:                              ;   in Loop: Header=BB126_3 Depth=1
	ds_load_b64 v[42:43], v75 offset:20256
	ds_load_b64 v[94:95], v1 offset:20280
	s_wait_dscnt 0x0
	v_fmac_f64_e32 v[40:41], v[42:43], v[94:95]
.LBB126_434:                            ;   in Loop: Header=BB126_3 Depth=1
	s_or_b32 exec_lo, exec_lo, s11
.LBB126_435:                            ;   in Loop: Header=BB126_3 Depth=1
	s_delay_alu instid0(SALU_CYCLE_1)
	s_or_b32 exec_lo, exec_lo, s10
	s_and_saveexec_b32 s10, s90
	s_cbranch_execz .LBB126_437
; %bb.436:                              ;   in Loop: Header=BB126_3 Depth=1
	ds_load_b64 v[42:43], v1 offset:19240
	s_wait_dscnt 0x0
	v_mul_f64_e32 v[40:41], v[40:41], v[42:43]
	s_delay_alu instid0(VALU_DEP_1) | instskip(NEXT) | instid1(VALU_DEP_2)
	v_xor_b32_e32 v43, 0x80000000, v41
	v_mov_b32_e32 v42, v40
	ds_store_b64 v3, v[42:43]
.LBB126_437:                            ;   in Loop: Header=BB126_3 Depth=1
	s_or_b32 exec_lo, exec_lo, s10
	s_wait_loadcnt_dscnt 0x0
	s_barrier_signal -1
	s_barrier_wait -1
	s_and_saveexec_b32 s10, s91
	s_cbranch_execz .LBB126_439
; %bb.438:                              ;   in Loop: Header=BB126_3 Depth=1
	ds_load_b64 v[42:43], v1 offset:19232
	ds_load_b64 v[94:95], v3
	s_wait_dscnt 0x0
	v_fma_f64 v[40:41], -v[42:43], v[94:95], v[40:41]
.LBB126_439:                            ;   in Loop: Header=BB126_3 Depth=1
	s_or_b32 exec_lo, exec_lo, s10
	s_barrier_signal -1
	s_barrier_wait -1
	s_and_saveexec_b32 s10, s91
	s_cbranch_execz .LBB126_441
; %bb.440:                              ;   in Loop: Header=BB126_3 Depth=1
	ds_load_b64 v[42:43], v1 offset:18720
	s_wait_dscnt 0x0
	v_mul_f64_e32 v[40:41], v[40:41], v[42:43]
	s_delay_alu instid0(VALU_DEP_1) | instskip(NEXT) | instid1(VALU_DEP_2)
	v_xor_b32_e32 v43, 0x80000000, v41
	v_mov_b32_e32 v42, v40
	ds_store_b64 v3, v[42:43]
.LBB126_441:                            ;   in Loop: Header=BB126_3 Depth=1
	s_or_b32 exec_lo, exec_lo, s10
	s_wait_dscnt 0x0
	s_barrier_signal -1
	s_barrier_wait -1
	s_barrier_signal -1
	s_barrier_wait -1
	s_and_saveexec_b32 s10, s1
; %bb.442:                              ;   in Loop: Header=BB126_3 Depth=1
	ds_store_b64 v49, v[40:41] offset:20256
; %bb.443:                              ;   in Loop: Header=BB126_3 Depth=1
	s_or_b32 exec_lo, exec_lo, s10
	s_wait_dscnt 0x0
	s_barrier_signal -1
	s_barrier_wait -1
	s_barrier_signal -1
	s_barrier_wait -1
	s_and_saveexec_b32 s10, s92
	s_cbranch_execz .LBB126_445
; %bb.444:                              ;   in Loop: Header=BB126_3 Depth=1
	ds_load_b64 v[40:41], v76 offset:19744
	s_wait_dscnt 0x0
	ds_store_b64 v75, v[40:41] offset:18736
	ds_load_b64 v[40:41], v76 offset:19752
	s_wait_dscnt 0x0
	ds_store_b64 v75, v[40:41] offset:19248
.LBB126_445:                            ;   in Loop: Header=BB126_3 Depth=1
	s_or_b32 exec_lo, exec_lo, s10
	s_wait_dscnt 0x0
	s_barrier_signal -1
	s_barrier_wait -1
	s_and_saveexec_b32 s10, s14
	s_cbranch_execz .LBB126_447
; %bb.446:                              ;   in Loop: Header=BB126_3 Depth=1
	ds_load_b128 v[40:43], v1 offset:19232
	ds_load_b64 v[94:95], v1 offset:18720
	v_add_nc_u32_e64 v0, 0x4800, 0
	s_wait_dscnt 0x0
	v_mul_f64_e32 v[42:43], v[94:95], v[42:43]
	s_delay_alu instid0(VALU_DEP_1)
	v_mul_f64_e32 v[40:41], v[40:41], v[42:43]
	ds_store_2addr_b64 v0, v[40:41], v[40:41] offset0:37 offset1:100
.LBB126_447:                            ;   in Loop: Header=BB126_3 Depth=1
	s_or_b32 exec_lo, exec_lo, s10
	v_mov_b64_e32 v[40:41], 0
	s_wait_dscnt 0x0
	s_barrier_signal -1
	s_barrier_wait -1
	global_wb scope:SCOPE_DEV
	s_wait_storecnt 0x0
	global_inv scope:SCOPE_DEV
	s_and_saveexec_b32 s10, s3
	s_cbranch_execz .LBB126_453
; %bb.448:                              ;   in Loop: Header=BB126_3 Depth=1
	ds_load_b64 v[40:41], v53 offset:18688
	ds_load_b64 v[42:43], v52 offset:20256
	s_wait_dscnt 0x0
	v_fma_f64 v[40:41], v[40:41], v[42:43], 0
	s_and_saveexec_b32 s11, s16
	s_cbranch_execnz .LBB126_1121
; %bb.449:                              ;   in Loop: Header=BB126_3 Depth=1
	s_or_b32 exec_lo, exec_lo, s11
	s_and_saveexec_b32 s11, s17
	s_cbranch_execnz .LBB126_1122
.LBB126_450:                            ;   in Loop: Header=BB126_3 Depth=1
	s_or_b32 exec_lo, exec_lo, s11
	s_and_saveexec_b32 s11, s1
	s_cbranch_execz .LBB126_452
.LBB126_451:                            ;   in Loop: Header=BB126_3 Depth=1
	ds_load_b64 v[42:43], v78 offset:20224
	ds_load_b64 v[94:95], v1 offset:20280
	s_wait_dscnt 0x0
	v_fmac_f64_e32 v[40:41], v[42:43], v[94:95]
.LBB126_452:                            ;   in Loop: Header=BB126_3 Depth=1
	s_or_b32 exec_lo, exec_lo, s11
.LBB126_453:                            ;   in Loop: Header=BB126_3 Depth=1
	s_delay_alu instid0(SALU_CYCLE_1)
	s_or_b32 exec_lo, exec_lo, s10
	s_and_saveexec_b32 s10, s93
	s_cbranch_execz .LBB126_455
; %bb.454:                              ;   in Loop: Header=BB126_3 Depth=1
	ds_load_b64 v[42:43], v1 offset:18200
	s_wait_dscnt 0x0
	v_mul_f64_e32 v[40:41], v[40:41], v[42:43]
	s_delay_alu instid0(VALU_DEP_1) | instskip(NEXT) | instid1(VALU_DEP_2)
	v_xor_b32_e32 v43, 0x80000000, v41
	v_mov_b32_e32 v42, v40
	ds_store_b64 v51, v[42:43]
.LBB126_455:                            ;   in Loop: Header=BB126_3 Depth=1
	s_or_b32 exec_lo, exec_lo, s10
	s_wait_loadcnt_dscnt 0x0
	s_barrier_signal -1
	s_barrier_wait -1
	s_and_saveexec_b32 s10, s94
	s_cbranch_execz .LBB126_457
; %bb.456:                              ;   in Loop: Header=BB126_3 Depth=1
	ds_load_b64 v[42:43], v53 offset:18176
	ds_load_b64 v[94:95], v51
	s_wait_dscnt 0x0
	v_fma_f64 v[40:41], -v[42:43], v[94:95], v[40:41]
.LBB126_457:                            ;   in Loop: Header=BB126_3 Depth=1
	s_or_b32 exec_lo, exec_lo, s10
	s_barrier_signal -1
	s_barrier_wait -1
	s_and_saveexec_b32 s10, s95
	s_cbranch_execz .LBB126_459
; %bb.458:                              ;   in Loop: Header=BB126_3 Depth=1
	ds_load_b64 v[42:43], v1 offset:17680
	s_wait_dscnt 0x0
	v_mul_f64_e32 v[40:41], v[40:41], v[42:43]
	s_delay_alu instid0(VALU_DEP_1) | instskip(NEXT) | instid1(VALU_DEP_2)
	v_xor_b32_e32 v43, 0x80000000, v41
	v_mov_b32_e32 v42, v40
	ds_store_b64 v51, v[42:43]
.LBB126_459:                            ;   in Loop: Header=BB126_3 Depth=1
	s_or_b32 exec_lo, exec_lo, s10
	s_wait_dscnt 0x0
	s_barrier_signal -1
	s_barrier_wait -1
	s_and_saveexec_b32 s10, s96
	s_cbranch_execz .LBB126_461
; %bb.460:                              ;   in Loop: Header=BB126_3 Depth=1
	ds_load_b64 v[42:43], v53 offset:17664
	ds_load_b64 v[94:95], v51
	s_wait_dscnt 0x0
	v_fma_f64 v[40:41], -v[42:43], v[94:95], v[40:41]
.LBB126_461:                            ;   in Loop: Header=BB126_3 Depth=1
	s_or_b32 exec_lo, exec_lo, s10
	s_barrier_signal -1
	s_barrier_wait -1
	s_and_saveexec_b32 s10, s97
	s_cbranch_execz .LBB126_463
; %bb.462:                              ;   in Loop: Header=BB126_3 Depth=1
	ds_load_b64 v[42:43], v1 offset:17160
	s_wait_dscnt 0x0
	v_mul_f64_e32 v[40:41], v[40:41], v[42:43]
	s_delay_alu instid0(VALU_DEP_1) | instskip(NEXT) | instid1(VALU_DEP_2)
	v_xor_b32_e32 v43, 0x80000000, v41
	v_mov_b32_e32 v42, v40
	ds_store_b64 v51, v[42:43]
.LBB126_463:                            ;   in Loop: Header=BB126_3 Depth=1
	s_or_b32 exec_lo, exec_lo, s10
	s_wait_dscnt 0x0
	;; [unrolled: 26-line block ×3, first 2 shown]
	s_barrier_signal -1
	s_barrier_wait -1
	s_barrier_signal -1
	s_barrier_wait -1
	s_and_saveexec_b32 s10, s3
; %bb.468:                              ;   in Loop: Header=BB126_3 Depth=1
	ds_store_b64 v55, v[40:41] offset:20224
; %bb.469:                              ;   in Loop: Header=BB126_3 Depth=1
	s_or_b32 exec_lo, exec_lo, s10
	s_wait_dscnt 0x0
	s_barrier_signal -1
	s_barrier_wait -1
	s_barrier_signal -1
	s_barrier_wait -1
	s_and_saveexec_b32 s10, s99
	s_cbranch_execz .LBB126_471
; %bb.470:                              ;   in Loop: Header=BB126_3 Depth=1
	ds_load_b64 v[40:41], v80 offset:18688
	s_wait_dscnt 0x0
	ds_store_b64 v83, v[40:41] offset:16672
	ds_load_b64 v[40:41], v80 offset:18696
	s_wait_dscnt 0x0
	ds_store_b64 v83, v[40:41] offset:17184
	;; [unrolled: 3-line block ×4, first 2 shown]
.LBB126_471:                            ;   in Loop: Header=BB126_3 Depth=1
	s_or_b32 exec_lo, exec_lo, s10
	s_wait_dscnt 0x0
	s_barrier_signal -1
	s_barrier_wait -1
	s_and_saveexec_b32 s10, s14
	s_cbranch_execz .LBB126_473
; %bb.472:                              ;   in Loop: Header=BB126_3 Depth=1
	ds_load_b128 v[40:43], v1 offset:18192
	ds_load_b64 v[94:95], v1 offset:17680
	v_add_nc_u32_e64 v0, 0x4000, 0
	s_wait_dscnt 0x0
	v_mul_f64_e32 v[42:43], v[94:95], v[42:43]
	s_delay_alu instid0(VALU_DEP_1)
	v_mul_f64_e32 v[40:41], v[40:41], v[42:43]
	ds_store_2addr_b64 v0, v[40:41], v[40:41] offset0:163 offset1:226
.LBB126_473:                            ;   in Loop: Header=BB126_3 Depth=1
	s_or_b32 exec_lo, exec_lo, s10
	v_mov_b64_e32 v[40:41], 0
	s_wait_dscnt 0x0
	s_barrier_signal -1
	s_barrier_wait -1
	global_wb scope:SCOPE_DEV
	s_wait_storecnt 0x0
	global_inv scope:SCOPE_DEV
	s_and_saveexec_b32 s10, s1
	s_cbranch_execz .LBB126_477
; %bb.474:                              ;   in Loop: Header=BB126_3 Depth=1
	ds_load_b64 v[40:41], v47 offset:17664
	ds_load_b64 v[42:43], v46 offset:18192
	s_wait_dscnt 0x0
	v_fma_f64 v[40:41], v[40:41], v[42:43], 0
	s_and_saveexec_b32 s11, s15
	s_cbranch_execz .LBB126_476
; %bb.475:                              ;   in Loop: Header=BB126_3 Depth=1
	ds_load_b64 v[42:43], v83 offset:18176
	ds_load_b64 v[94:95], v1 offset:18200
	s_wait_dscnt 0x0
	v_fmac_f64_e32 v[40:41], v[42:43], v[94:95]
.LBB126_476:                            ;   in Loop: Header=BB126_3 Depth=1
	s_or_b32 exec_lo, exec_lo, s11
.LBB126_477:                            ;   in Loop: Header=BB126_3 Depth=1
	s_delay_alu instid0(SALU_CYCLE_1)
	s_or_b32 exec_lo, exec_lo, s10
	s_and_saveexec_b32 s10, s90
	s_cbranch_execz .LBB126_479
; %bb.478:                              ;   in Loop: Header=BB126_3 Depth=1
	ds_load_b64 v[42:43], v1 offset:17160
	s_wait_dscnt 0x0
	v_mul_f64_e32 v[40:41], v[40:41], v[42:43]
	s_delay_alu instid0(VALU_DEP_1) | instskip(NEXT) | instid1(VALU_DEP_2)
	v_xor_b32_e32 v43, 0x80000000, v41
	v_mov_b32_e32 v42, v40
	ds_store_b64 v3, v[42:43]
.LBB126_479:                            ;   in Loop: Header=BB126_3 Depth=1
	s_or_b32 exec_lo, exec_lo, s10
	s_wait_loadcnt_dscnt 0x0
	s_barrier_signal -1
	s_barrier_wait -1
	s_and_saveexec_b32 s10, s91
	s_cbranch_execz .LBB126_481
; %bb.480:                              ;   in Loop: Header=BB126_3 Depth=1
	ds_load_b64 v[42:43], v1 offset:17152
	ds_load_b64 v[94:95], v3
	s_wait_dscnt 0x0
	v_fma_f64 v[40:41], -v[42:43], v[94:95], v[40:41]
.LBB126_481:                            ;   in Loop: Header=BB126_3 Depth=1
	s_or_b32 exec_lo, exec_lo, s10
	s_barrier_signal -1
	s_barrier_wait -1
	s_and_saveexec_b32 s10, s91
	s_cbranch_execz .LBB126_483
; %bb.482:                              ;   in Loop: Header=BB126_3 Depth=1
	ds_load_b64 v[42:43], v1 offset:16640
	s_wait_dscnt 0x0
	v_mul_f64_e32 v[40:41], v[40:41], v[42:43]
	s_delay_alu instid0(VALU_DEP_1) | instskip(NEXT) | instid1(VALU_DEP_2)
	v_xor_b32_e32 v43, 0x80000000, v41
	v_mov_b32_e32 v42, v40
	ds_store_b64 v3, v[42:43]
.LBB126_483:                            ;   in Loop: Header=BB126_3 Depth=1
	s_or_b32 exec_lo, exec_lo, s10
	s_wait_dscnt 0x0
	s_barrier_signal -1
	s_barrier_wait -1
	s_barrier_signal -1
	s_barrier_wait -1
	s_and_saveexec_b32 s10, s1
; %bb.484:                              ;   in Loop: Header=BB126_3 Depth=1
	ds_store_b64 v49, v[40:41] offset:18176
; %bb.485:                              ;   in Loop: Header=BB126_3 Depth=1
	s_or_b32 exec_lo, exec_lo, s10
	s_wait_dscnt 0x0
	s_barrier_signal -1
	s_barrier_wait -1
	s_barrier_signal -1
	s_barrier_wait -1
	s_and_saveexec_b32 s10, s92
	s_cbranch_execz .LBB126_487
; %bb.486:                              ;   in Loop: Header=BB126_3 Depth=1
	ds_load_b64 v[40:41], v85 offset:17664
	s_wait_dscnt 0x0
	ds_store_b64 v83, v[40:41] offset:16656
	ds_load_b64 v[40:41], v85 offset:17672
	s_wait_dscnt 0x0
	ds_store_b64 v83, v[40:41] offset:17168
.LBB126_487:                            ;   in Loop: Header=BB126_3 Depth=1
	s_or_b32 exec_lo, exec_lo, s10
	s_wait_dscnt 0x0
	s_barrier_signal -1
	s_barrier_wait -1
	s_and_saveexec_b32 s10, s14
	s_cbranch_execz .LBB126_489
; %bb.488:                              ;   in Loop: Header=BB126_3 Depth=1
	ds_load_b128 v[40:43], v1 offset:17152
	ds_load_b64 v[94:95], v1 offset:16640
	v_add_nc_u32_e64 v0, 0x4000, 0
	s_wait_dscnt 0x0
	v_mul_f64_e32 v[42:43], v[94:95], v[42:43]
	s_delay_alu instid0(VALU_DEP_1)
	v_mul_f64_e32 v[40:41], v[40:41], v[42:43]
	ds_store_2addr_b64 v0, v[40:41], v[40:41] offset0:33 offset1:96
.LBB126_489:                            ;   in Loop: Header=BB126_3 Depth=1
	s_or_b32 exec_lo, exec_lo, s10
	v_mov_b64_e32 v[40:41], 0
	s_wait_dscnt 0x0
	s_barrier_signal -1
	s_barrier_wait -1
	global_wb scope:SCOPE_DEV
	s_wait_storecnt 0x0
	global_inv scope:SCOPE_DEV
	s_and_saveexec_b32 s65, s35
	s_cbranch_execz .LBB126_551
; %bb.490:                              ;   in Loop: Header=BB126_3 Depth=1
	ds_load_b64 v[40:41], v67 offset:16384
	ds_load_b64 v[42:43], v68 offset:32512
	s_wait_dscnt 0x0
	v_fma_f64 v[40:41], v[40:41], v[42:43], 0
	s_mov_b32 s10, exec_lo
	v_readlane_b32 s11, v102, 2
	s_and_b32 s11, s10, s11
	s_delay_alu instid0(SALU_CYCLE_1)
	s_mov_b32 exec_lo, s11
	s_cbranch_execz .LBB126_492
; %bb.491:                              ;   in Loop: Header=BB126_3 Depth=1
	ds_load_b64 v[42:43], v67 offset:16896
	ds_load_b64 v[94:95], v68 offset:32520
	s_wait_dscnt 0x0
	v_fmac_f64_e32 v[40:41], v[42:43], v[94:95]
.LBB126_492:                            ;   in Loop: Header=BB126_3 Depth=1
	s_or_b32 exec_lo, exec_lo, s10
	s_delay_alu instid0(SALU_CYCLE_1) | instskip(SKIP_2) | instid1(SALU_CYCLE_1)
	s_mov_b32 s10, exec_lo
	v_readlane_b32 s11, v102, 3
	s_and_b32 s11, s10, s11
	s_mov_b32 exec_lo, s11
	s_cbranch_execz .LBB126_494
; %bb.493:                              ;   in Loop: Header=BB126_3 Depth=1
	ds_load_b64 v[42:43], v67 offset:17408
	ds_load_b64 v[94:95], v68 offset:32528
	s_wait_dscnt 0x0
	v_fmac_f64_e32 v[40:41], v[42:43], v[94:95]
.LBB126_494:                            ;   in Loop: Header=BB126_3 Depth=1
	s_or_b32 exec_lo, exec_lo, s10
	s_delay_alu instid0(SALU_CYCLE_1) | instskip(SKIP_2) | instid1(SALU_CYCLE_1)
	s_mov_b32 s10, exec_lo
	v_readlane_b32 s11, v102, 4
	s_and_b32 s11, s10, s11
	s_mov_b32 exec_lo, s11
	s_cbranch_execz .LBB126_496
; %bb.495:                              ;   in Loop: Header=BB126_3 Depth=1
	ds_load_b64 v[42:43], v67 offset:17920
	ds_load_b64 v[94:95], v68 offset:32536
	s_wait_dscnt 0x0
	v_fmac_f64_e32 v[40:41], v[42:43], v[94:95]
.LBB126_496:                            ;   in Loop: Header=BB126_3 Depth=1
	s_or_b32 exec_lo, exec_lo, s10
	s_delay_alu instid0(SALU_CYCLE_1) | instskip(SKIP_2) | instid1(SALU_CYCLE_1)
	s_mov_b32 s10, exec_lo
	v_readlane_b32 s11, v102, 5
	s_and_b32 s11, s10, s11
	s_mov_b32 exec_lo, s11
	s_cbranch_execz .LBB126_498
; %bb.497:                              ;   in Loop: Header=BB126_3 Depth=1
	ds_load_b64 v[42:43], v67 offset:18432
	ds_load_b64 v[94:95], v68 offset:32544
	s_wait_dscnt 0x0
	v_fmac_f64_e32 v[40:41], v[42:43], v[94:95]
.LBB126_498:                            ;   in Loop: Header=BB126_3 Depth=1
	s_or_b32 exec_lo, exec_lo, s10
	s_delay_alu instid0(SALU_CYCLE_1) | instskip(SKIP_2) | instid1(SALU_CYCLE_1)
	s_mov_b32 s10, exec_lo
	v_readlane_b32 s11, v102, 6
	s_and_b32 s11, s10, s11
	s_mov_b32 exec_lo, s11
	s_cbranch_execz .LBB126_500
; %bb.499:                              ;   in Loop: Header=BB126_3 Depth=1
	ds_load_b64 v[42:43], v67 offset:18944
	ds_load_b64 v[94:95], v68 offset:32552
	s_wait_dscnt 0x0
	v_fmac_f64_e32 v[40:41], v[42:43], v[94:95]
.LBB126_500:                            ;   in Loop: Header=BB126_3 Depth=1
	s_or_b32 exec_lo, exec_lo, s10
	s_delay_alu instid0(SALU_CYCLE_1) | instskip(SKIP_2) | instid1(SALU_CYCLE_1)
	s_mov_b32 s10, exec_lo
	v_readlane_b32 s11, v102, 7
	s_and_b32 s11, s10, s11
	s_mov_b32 exec_lo, s11
	s_cbranch_execz .LBB126_502
; %bb.501:                              ;   in Loop: Header=BB126_3 Depth=1
	ds_load_b64 v[42:43], v67 offset:19456
	ds_load_b64 v[94:95], v68 offset:32560
	s_wait_dscnt 0x0
	v_fmac_f64_e32 v[40:41], v[42:43], v[94:95]
.LBB126_502:                            ;   in Loop: Header=BB126_3 Depth=1
	s_or_b32 exec_lo, exec_lo, s10
	s_delay_alu instid0(SALU_CYCLE_1) | instskip(SKIP_2) | instid1(SALU_CYCLE_1)
	s_mov_b32 s10, exec_lo
	v_readlane_b32 s11, v102, 8
	s_and_b32 s11, s10, s11
	s_mov_b32 exec_lo, s11
	s_cbranch_execz .LBB126_504
; %bb.503:                              ;   in Loop: Header=BB126_3 Depth=1
	ds_load_b64 v[42:43], v67 offset:19968
	ds_load_b64 v[94:95], v68 offset:32568
	s_wait_dscnt 0x0
	v_fmac_f64_e32 v[40:41], v[42:43], v[94:95]
.LBB126_504:                            ;   in Loop: Header=BB126_3 Depth=1
	s_or_b32 exec_lo, exec_lo, s10
	s_delay_alu instid0(SALU_CYCLE_1) | instskip(SKIP_2) | instid1(SALU_CYCLE_1)
	s_mov_b32 s10, exec_lo
	v_readlane_b32 s11, v102, 9
	s_and_b32 s11, s10, s11
	s_mov_b32 exec_lo, s11
	s_cbranch_execz .LBB126_506
; %bb.505:                              ;   in Loop: Header=BB126_3 Depth=1
	ds_load_b64 v[42:43], v67 offset:20480
	ds_load_b64 v[94:95], v68 offset:32576
	s_wait_dscnt 0x0
	v_fmac_f64_e32 v[40:41], v[42:43], v[94:95]
.LBB126_506:                            ;   in Loop: Header=BB126_3 Depth=1
	s_or_b32 exec_lo, exec_lo, s10
	s_delay_alu instid0(SALU_CYCLE_1) | instskip(SKIP_2) | instid1(SALU_CYCLE_1)
	s_mov_b32 s10, exec_lo
	v_readlane_b32 s11, v102, 10
	s_and_b32 s11, s10, s11
	s_mov_b32 exec_lo, s11
	s_cbranch_execz .LBB126_508
; %bb.507:                              ;   in Loop: Header=BB126_3 Depth=1
	ds_load_b64 v[42:43], v67 offset:20992
	ds_load_b64 v[94:95], v68 offset:32584
	s_wait_dscnt 0x0
	v_fmac_f64_e32 v[40:41], v[42:43], v[94:95]
.LBB126_508:                            ;   in Loop: Header=BB126_3 Depth=1
	s_or_b32 exec_lo, exec_lo, s10
	s_delay_alu instid0(SALU_CYCLE_1) | instskip(SKIP_2) | instid1(SALU_CYCLE_1)
	s_mov_b32 s10, exec_lo
	v_readlane_b32 s11, v102, 11
	s_and_b32 s11, s10, s11
	s_mov_b32 exec_lo, s11
	s_cbranch_execz .LBB126_510
; %bb.509:                              ;   in Loop: Header=BB126_3 Depth=1
	ds_load_b64 v[42:43], v67 offset:21504
	ds_load_b64 v[94:95], v68 offset:32592
	s_wait_dscnt 0x0
	v_fmac_f64_e32 v[40:41], v[42:43], v[94:95]
.LBB126_510:                            ;   in Loop: Header=BB126_3 Depth=1
	s_or_b32 exec_lo, exec_lo, s10
	s_delay_alu instid0(SALU_CYCLE_1) | instskip(SKIP_2) | instid1(SALU_CYCLE_1)
	s_mov_b32 s10, exec_lo
	v_readlane_b32 s11, v102, 12
	s_and_b32 s11, s10, s11
	s_mov_b32 exec_lo, s11
	s_cbranch_execz .LBB126_512
; %bb.511:                              ;   in Loop: Header=BB126_3 Depth=1
	ds_load_b64 v[42:43], v67 offset:22016
	ds_load_b64 v[94:95], v68 offset:32600
	s_wait_dscnt 0x0
	v_fmac_f64_e32 v[40:41], v[42:43], v[94:95]
.LBB126_512:                            ;   in Loop: Header=BB126_3 Depth=1
	s_or_b32 exec_lo, exec_lo, s10
	s_delay_alu instid0(SALU_CYCLE_1) | instskip(SKIP_2) | instid1(SALU_CYCLE_1)
	s_mov_b32 s10, exec_lo
	v_readlane_b32 s11, v102, 13
	s_and_b32 s11, s10, s11
	s_mov_b32 exec_lo, s11
	s_cbranch_execz .LBB126_514
; %bb.513:                              ;   in Loop: Header=BB126_3 Depth=1
	ds_load_b64 v[42:43], v67 offset:22528
	ds_load_b64 v[94:95], v68 offset:32608
	s_wait_dscnt 0x0
	v_fmac_f64_e32 v[40:41], v[42:43], v[94:95]
.LBB126_514:                            ;   in Loop: Header=BB126_3 Depth=1
	s_or_b32 exec_lo, exec_lo, s10
	s_delay_alu instid0(SALU_CYCLE_1) | instskip(SKIP_2) | instid1(SALU_CYCLE_1)
	s_mov_b32 s10, exec_lo
	v_readlane_b32 s11, v102, 14
	s_and_b32 s11, s10, s11
	s_mov_b32 exec_lo, s11
	s_cbranch_execz .LBB126_516
; %bb.515:                              ;   in Loop: Header=BB126_3 Depth=1
	ds_load_b64 v[42:43], v67 offset:23040
	ds_load_b64 v[94:95], v68 offset:32616
	s_wait_dscnt 0x0
	v_fmac_f64_e32 v[40:41], v[42:43], v[94:95]
.LBB126_516:                            ;   in Loop: Header=BB126_3 Depth=1
	s_or_b32 exec_lo, exec_lo, s10
	s_delay_alu instid0(SALU_CYCLE_1) | instskip(SKIP_2) | instid1(SALU_CYCLE_1)
	s_mov_b32 s10, exec_lo
	v_readlane_b32 s11, v102, 15
	s_and_b32 s11, s10, s11
	s_mov_b32 exec_lo, s11
	s_cbranch_execz .LBB126_518
; %bb.517:                              ;   in Loop: Header=BB126_3 Depth=1
	ds_load_b64 v[42:43], v67 offset:23552
	ds_load_b64 v[94:95], v68 offset:32624
	s_wait_dscnt 0x0
	v_fmac_f64_e32 v[40:41], v[42:43], v[94:95]
.LBB126_518:                            ;   in Loop: Header=BB126_3 Depth=1
	s_or_b32 exec_lo, exec_lo, s10
	s_delay_alu instid0(SALU_CYCLE_1) | instskip(SKIP_2) | instid1(SALU_CYCLE_1)
	s_mov_b32 s10, exec_lo
	v_readlane_b32 s11, v102, 16
	s_and_b32 s11, s10, s11
	s_mov_b32 exec_lo, s11
	s_cbranch_execz .LBB126_520
; %bb.519:                              ;   in Loop: Header=BB126_3 Depth=1
	ds_load_b64 v[42:43], v67 offset:24064
	ds_load_b64 v[94:95], v68 offset:32632
	s_wait_dscnt 0x0
	v_fmac_f64_e32 v[40:41], v[42:43], v[94:95]
.LBB126_520:                            ;   in Loop: Header=BB126_3 Depth=1
	s_or_b32 exec_lo, exec_lo, s10
	s_delay_alu instid0(SALU_CYCLE_1) | instskip(SKIP_2) | instid1(SALU_CYCLE_1)
	s_mov_b32 s10, exec_lo
	v_readlane_b32 s11, v102, 17
	s_and_b32 s11, s10, s11
	s_mov_b32 exec_lo, s11
	s_cbranch_execz .LBB126_522
; %bb.521:                              ;   in Loop: Header=BB126_3 Depth=1
	ds_load_b64 v[42:43], v67 offset:24576
	ds_load_b64 v[94:95], v68 offset:32640
	s_wait_dscnt 0x0
	v_fmac_f64_e32 v[40:41], v[42:43], v[94:95]
.LBB126_522:                            ;   in Loop: Header=BB126_3 Depth=1
	s_or_b32 exec_lo, exec_lo, s10
	s_delay_alu instid0(SALU_CYCLE_1) | instskip(SKIP_2) | instid1(SALU_CYCLE_1)
	s_mov_b32 s10, exec_lo
	v_readlane_b32 s11, v102, 18
	s_and_b32 s11, s10, s11
	s_mov_b32 exec_lo, s11
	s_cbranch_execz .LBB126_524
; %bb.523:                              ;   in Loop: Header=BB126_3 Depth=1
	ds_load_b64 v[42:43], v67 offset:25088
	ds_load_b64 v[94:95], v68 offset:32648
	s_wait_dscnt 0x0
	v_fmac_f64_e32 v[40:41], v[42:43], v[94:95]
.LBB126_524:                            ;   in Loop: Header=BB126_3 Depth=1
	s_or_b32 exec_lo, exec_lo, s10
	s_delay_alu instid0(SALU_CYCLE_1) | instskip(SKIP_2) | instid1(SALU_CYCLE_1)
	s_mov_b32 s10, exec_lo
	v_readlane_b32 s11, v102, 19
	s_and_b32 s11, s10, s11
	s_mov_b32 exec_lo, s11
	s_cbranch_execz .LBB126_526
; %bb.525:                              ;   in Loop: Header=BB126_3 Depth=1
	ds_load_b64 v[42:43], v67 offset:25600
	ds_load_b64 v[94:95], v68 offset:32656
	s_wait_dscnt 0x0
	v_fmac_f64_e32 v[40:41], v[42:43], v[94:95]
.LBB126_526:                            ;   in Loop: Header=BB126_3 Depth=1
	s_or_b32 exec_lo, exec_lo, s10
	s_delay_alu instid0(SALU_CYCLE_1) | instskip(SKIP_2) | instid1(SALU_CYCLE_1)
	s_mov_b32 s10, exec_lo
	v_readlane_b32 s11, v102, 20
	s_and_b32 s11, s10, s11
	s_mov_b32 exec_lo, s11
	s_cbranch_execz .LBB126_528
; %bb.527:                              ;   in Loop: Header=BB126_3 Depth=1
	ds_load_b64 v[42:43], v67 offset:26112
	ds_load_b64 v[94:95], v68 offset:32664
	s_wait_dscnt 0x0
	v_fmac_f64_e32 v[40:41], v[42:43], v[94:95]
.LBB126_528:                            ;   in Loop: Header=BB126_3 Depth=1
	s_or_b32 exec_lo, exec_lo, s10
	s_delay_alu instid0(SALU_CYCLE_1) | instskip(SKIP_2) | instid1(SALU_CYCLE_1)
	s_mov_b32 s10, exec_lo
	v_readlane_b32 s11, v102, 21
	s_and_b32 s11, s10, s11
	s_mov_b32 exec_lo, s11
	s_cbranch_execz .LBB126_530
; %bb.529:                              ;   in Loop: Header=BB126_3 Depth=1
	ds_load_b64 v[42:43], v67 offset:26624
	ds_load_b64 v[94:95], v68 offset:32672
	s_wait_dscnt 0x0
	v_fmac_f64_e32 v[40:41], v[42:43], v[94:95]
.LBB126_530:                            ;   in Loop: Header=BB126_3 Depth=1
	s_or_b32 exec_lo, exec_lo, s10
	s_delay_alu instid0(SALU_CYCLE_1) | instskip(SKIP_2) | instid1(SALU_CYCLE_1)
	s_mov_b32 s10, exec_lo
	v_readlane_b32 s11, v102, 22
	s_and_b32 s11, s10, s11
	s_mov_b32 exec_lo, s11
	s_cbranch_execz .LBB126_532
; %bb.531:                              ;   in Loop: Header=BB126_3 Depth=1
	ds_load_b64 v[42:43], v67 offset:27136
	ds_load_b64 v[94:95], v68 offset:32680
	s_wait_dscnt 0x0
	v_fmac_f64_e32 v[40:41], v[42:43], v[94:95]
.LBB126_532:                            ;   in Loop: Header=BB126_3 Depth=1
	s_or_b32 exec_lo, exec_lo, s10
	s_delay_alu instid0(SALU_CYCLE_1) | instskip(SKIP_2) | instid1(SALU_CYCLE_1)
	s_mov_b32 s10, exec_lo
	v_readlane_b32 s11, v102, 23
	s_and_b32 s11, s10, s11
	s_mov_b32 exec_lo, s11
	s_cbranch_execz .LBB126_534
; %bb.533:                              ;   in Loop: Header=BB126_3 Depth=1
	ds_load_b64 v[42:43], v67 offset:27648
	ds_load_b64 v[94:95], v68 offset:32688
	s_wait_dscnt 0x0
	v_fmac_f64_e32 v[40:41], v[42:43], v[94:95]
.LBB126_534:                            ;   in Loop: Header=BB126_3 Depth=1
	s_or_b32 exec_lo, exec_lo, s10
	s_delay_alu instid0(SALU_CYCLE_1) | instskip(SKIP_2) | instid1(SALU_CYCLE_1)
	s_mov_b32 s10, exec_lo
	v_readlane_b32 s11, v102, 24
	s_and_b32 s11, s10, s11
	s_mov_b32 exec_lo, s11
	s_cbranch_execz .LBB126_536
; %bb.535:                              ;   in Loop: Header=BB126_3 Depth=1
	ds_load_b64 v[42:43], v67 offset:28160
	ds_load_b64 v[94:95], v68 offset:32696
	s_wait_dscnt 0x0
	v_fmac_f64_e32 v[40:41], v[42:43], v[94:95]
.LBB126_536:                            ;   in Loop: Header=BB126_3 Depth=1
	s_or_b32 exec_lo, exec_lo, s10
	s_and_saveexec_b32 s10, s5
	s_cbranch_execz .LBB126_538
; %bb.537:                              ;   in Loop: Header=BB126_3 Depth=1
	ds_load_b64 v[42:43], v67 offset:28672
	ds_load_b64 v[94:95], v68 offset:32704
	s_wait_dscnt 0x0
	v_fmac_f64_e32 v[40:41], v[42:43], v[94:95]
.LBB126_538:                            ;   in Loop: Header=BB126_3 Depth=1
	s_or_b32 exec_lo, exec_lo, s10
	s_delay_alu instid0(SALU_CYCLE_1) | instskip(SKIP_2) | instid1(SALU_CYCLE_1)
	s_mov_b32 s10, exec_lo
	v_readlane_b32 s11, v103, 24
	s_and_b32 s11, s10, s11
	s_mov_b32 exec_lo, s11
	s_cbranch_execz .LBB126_540
; %bb.539:                              ;   in Loop: Header=BB126_3 Depth=1
	ds_load_b64 v[42:43], v67 offset:29184
	ds_load_b64 v[94:95], v68 offset:32712
	s_wait_dscnt 0x0
	v_fmac_f64_e32 v[40:41], v[42:43], v[94:95]
.LBB126_540:                            ;   in Loop: Header=BB126_3 Depth=1
	s_or_b32 exec_lo, exec_lo, s10
	s_delay_alu instid0(SALU_CYCLE_1) | instskip(SKIP_2) | instid1(SALU_CYCLE_1)
	s_mov_b32 s10, exec_lo
	v_readlane_b32 s11, v103, 26
	s_and_b32 s11, s10, s11
	s_mov_b32 exec_lo, s11
	;; [unrolled: 13-line block ×5, first 2 shown]
	s_cbranch_execnz .LBB126_1123
; %bb.547:                              ;   in Loop: Header=BB126_3 Depth=1
	s_or_b32 exec_lo, exec_lo, s10
	s_and_saveexec_b32 s10, s4
	s_cbranch_execnz .LBB126_1124
.LBB126_548:                            ;   in Loop: Header=BB126_3 Depth=1
	s_or_b32 exec_lo, exec_lo, s10
	s_and_saveexec_b32 s10, s21
	s_delay_alu instid0(SALU_CYCLE_1)
	s_xor_b32 s10, exec_lo, s10
	s_cbranch_execz .LBB126_550
.LBB126_549:                            ;   in Loop: Header=BB126_3 Depth=1
	ds_load_b64 v[42:43], v48 offset:32256
	ds_load_b64 v[94:95], v1 offset:32760
	s_wait_dscnt 0x0
	v_fmac_f64_e32 v[40:41], v[42:43], v[94:95]
.LBB126_550:                            ;   in Loop: Header=BB126_3 Depth=1
	s_or_b32 exec_lo, exec_lo, s10
.LBB126_551:                            ;   in Loop: Header=BB126_3 Depth=1
	s_delay_alu instid0(SALU_CYCLE_1)
	s_or_b32 exec_lo, exec_lo, s65
	v_mov_b32_e32 v0, v69
	s_mov_b32 s10, 31
	s_branch .LBB126_553
.LBB126_552:                            ;   in Loop: Header=BB126_553 Depth=2
	s_or_b32 exec_lo, exec_lo, s11
	v_add_nc_u32_e32 v0, 0xfffff800, v0
	s_add_co_i32 s10, s10, -4
	s_cmp_eq_u32 s65, 0
	s_barrier_signal -1
	s_barrier_wait -1
	s_cbranch_scc1 .LBB126_569
.LBB126_553:                            ;   Parent Loop BB126_3 Depth=1
                                        ; =>  This Inner Loop Header: Depth=2
	s_delay_alu instid0(VALU_DEP_1) | instskip(SKIP_1) | instid1(SALU_CYCLE_1)
	v_cmp_eq_u32_e32 vcc_lo, 0xffffc200, v0
	s_and_b32 s12, s13, vcc_lo
	s_and_saveexec_b32 s11, s12
	s_cbranch_execz .LBB126_555
; %bb.554:                              ;   in Loop: Header=BB126_553 Depth=2
	ds_load_b64 v[42:43], v88
	s_wait_dscnt 0x0
	v_mul_f64_e32 v[40:41], v[40:41], v[42:43]
	s_delay_alu instid0(VALU_DEP_1) | instskip(NEXT) | instid1(VALU_DEP_2)
	v_xor_b32_e32 v43, 0x80000000, v41
	v_mov_b32_e32 v42, v40
	ds_store_b64 v66, v[42:43]
.LBB126_555:                            ;   in Loop: Header=BB126_553 Depth=2
	s_or_b32 exec_lo, exec_lo, s11
	v_cmp_gt_u32_e32 vcc_lo, s10, v64
	v_add_nc_u32_e32 v42, v79, v0
	s_wait_loadcnt_dscnt 0x0
	s_barrier_signal -1
	s_barrier_wait -1
	s_and_b32 s12, s13, vcc_lo
	s_delay_alu instid0(SALU_CYCLE_1)
	s_and_saveexec_b32 s11, s12
	s_cbranch_execz .LBB126_557
; %bb.556:                              ;   in Loop: Header=BB126_553 Depth=2
	ds_load_b64 v[94:95], v42 offset:1536
	ds_load_b64 v[96:97], v66
	s_wait_dscnt 0x0
	v_fma_f64 v[40:41], -v[94:95], v[96:97], v[40:41]
.LBB126_557:                            ;   in Loop: Header=BB126_553 Depth=2
	s_or_b32 exec_lo, exec_lo, s11
	s_add_co_i32 s11, s10, -1
	s_delay_alu instid0(SALU_CYCLE_1) | instskip(SKIP_3) | instid1(SALU_CYCLE_1)
	v_cmp_eq_u32_e32 vcc_lo, s11, v64
	s_barrier_signal -1
	s_barrier_wait -1
	s_and_b32 s12, s13, vcc_lo
	s_and_saveexec_b32 s65, s12
	s_cbranch_execz .LBB126_559
; %bb.558:                              ;   in Loop: Header=BB126_553 Depth=2
	ds_load_b64 v[94:95], v88
	s_wait_dscnt 0x0
	v_mul_f64_e32 v[40:41], v[40:41], v[94:95]
	s_delay_alu instid0(VALU_DEP_1) | instskip(NEXT) | instid1(VALU_DEP_2)
	v_xor_b32_e32 v95, 0x80000000, v41
	v_mov_b32_e32 v94, v40
	ds_store_b64 v66, v[94:95]
.LBB126_559:                            ;   in Loop: Header=BB126_553 Depth=2
	s_or_b32 exec_lo, exec_lo, s65
	v_cmp_gt_u32_e32 vcc_lo, s11, v64
	s_wait_dscnt 0x0
	s_barrier_signal -1
	s_barrier_wait -1
	s_and_b32 s12, s13, vcc_lo
	s_delay_alu instid0(SALU_CYCLE_1)
	s_and_saveexec_b32 s11, s12
	s_cbranch_execz .LBB126_561
; %bb.560:                              ;   in Loop: Header=BB126_553 Depth=2
	ds_load_b64 v[94:95], v42 offset:1024
	ds_load_b64 v[96:97], v66
	s_wait_dscnt 0x0
	v_fma_f64 v[40:41], -v[94:95], v[96:97], v[40:41]
.LBB126_561:                            ;   in Loop: Header=BB126_553 Depth=2
	s_or_b32 exec_lo, exec_lo, s11
	s_add_co_i32 s11, s10, -2
	s_delay_alu instid0(SALU_CYCLE_1) | instskip(SKIP_3) | instid1(SALU_CYCLE_1)
	v_cmp_eq_u32_e32 vcc_lo, s11, v64
	s_barrier_signal -1
	s_barrier_wait -1
	s_and_b32 s12, s13, vcc_lo
	s_and_saveexec_b32 s65, s12
	s_cbranch_execz .LBB126_563
; %bb.562:                              ;   in Loop: Header=BB126_553 Depth=2
	ds_load_b64 v[94:95], v88
	s_wait_dscnt 0x0
	v_mul_f64_e32 v[40:41], v[40:41], v[94:95]
	s_delay_alu instid0(VALU_DEP_1) | instskip(NEXT) | instid1(VALU_DEP_2)
	v_xor_b32_e32 v95, 0x80000000, v41
	v_mov_b32_e32 v94, v40
	ds_store_b64 v66, v[94:95]
.LBB126_563:                            ;   in Loop: Header=BB126_553 Depth=2
	s_or_b32 exec_lo, exec_lo, s65
	v_cmp_gt_u32_e32 vcc_lo, s11, v64
	s_wait_dscnt 0x0
	s_barrier_signal -1
	s_barrier_wait -1
	s_and_b32 s12, s13, vcc_lo
	s_delay_alu instid0(SALU_CYCLE_1)
	s_and_saveexec_b32 s11, s12
	s_cbranch_execz .LBB126_565
; %bb.564:                              ;   in Loop: Header=BB126_553 Depth=2
	ds_load_b64 v[94:95], v42 offset:512
	ds_load_b64 v[96:97], v66
	s_wait_dscnt 0x0
	v_fma_f64 v[40:41], -v[94:95], v[96:97], v[40:41]
.LBB126_565:                            ;   in Loop: Header=BB126_553 Depth=2
	s_or_b32 exec_lo, exec_lo, s11
	s_add_co_i32 s65, s10, -3
	s_delay_alu instid0(SALU_CYCLE_1) | instskip(SKIP_3) | instid1(SALU_CYCLE_1)
	v_cmp_eq_u32_e32 vcc_lo, s65, v64
	s_barrier_signal -1
	s_barrier_wait -1
	s_and_b32 s12, s13, vcc_lo
	s_and_saveexec_b32 s11, s12
	s_cbranch_execz .LBB126_567
; %bb.566:                              ;   in Loop: Header=BB126_553 Depth=2
	ds_load_b64 v[94:95], v88
	s_wait_dscnt 0x0
	v_mul_f64_e32 v[40:41], v[40:41], v[94:95]
	s_delay_alu instid0(VALU_DEP_1) | instskip(NEXT) | instid1(VALU_DEP_2)
	v_xor_b32_e32 v95, 0x80000000, v41
	v_mov_b32_e32 v94, v40
	ds_store_b64 v66, v[94:95]
.LBB126_567:                            ;   in Loop: Header=BB126_553 Depth=2
	s_or_b32 exec_lo, exec_lo, s11
	v_cmp_gt_u32_e32 vcc_lo, s65, v64
	s_wait_dscnt 0x0
	s_barrier_signal -1
	s_barrier_wait -1
	s_and_b32 s12, s13, vcc_lo
	s_delay_alu instid0(SALU_CYCLE_1)
	s_and_saveexec_b32 s11, s12
	s_cbranch_execz .LBB126_552
; %bb.568:                              ;   in Loop: Header=BB126_553 Depth=2
	ds_load_b64 v[42:43], v42
	ds_load_b64 v[94:95], v66
	s_wait_dscnt 0x0
	v_fma_f64 v[40:41], -v[42:43], v[94:95], v[40:41]
	s_branch .LBB126_552
.LBB126_569:                            ;   in Loop: Header=BB126_3 Depth=1
	s_and_saveexec_b32 s10, s35
; %bb.570:                              ;   in Loop: Header=BB126_3 Depth=1
	ds_store_b64 v70, v[40:41] offset:32256
; %bb.571:                              ;   in Loop: Header=BB126_3 Depth=1
	s_or_b32 exec_lo, exec_lo, s10
	s_wait_dscnt 0x0
	s_barrier_signal -1
	s_barrier_wait -1
	s_barrier_signal -1
	s_barrier_wait -1
	s_mov_b32 s10, exec_lo
	v_readlane_b32 s11, v103, 5
	s_and_b32 s11, s10, s11
	s_delay_alu instid0(SALU_CYCLE_1)
	s_mov_b32 exec_lo, s11
	s_cbranch_execz .LBB126_573
; %bb.572:                              ;   in Loop: Header=BB126_3 Depth=1
	ds_load_b64 v[40:41], v50 offset:16384
	s_wait_dscnt 0x0
	ds_store_b64 v54, v[40:41] offset:256
	ds_load_b64 v[40:41], v50 offset:16392
	s_wait_dscnt 0x0
	ds_store_b64 v54, v[40:41] offset:768
	;; [unrolled: 3-line block ×32, first 2 shown]
.LBB126_573:                            ;   in Loop: Header=BB126_3 Depth=1
	s_or_b32 exec_lo, exec_lo, s10
	s_wait_dscnt 0x0
	s_barrier_signal -1
	s_barrier_wait -1
	s_and_saveexec_b32 s10, s14
	s_cbranch_execz .LBB126_575
; %bb.574:                              ;   in Loop: Header=BB126_3 Depth=1
	ds_load_b128 v[40:43], v1 offset:16112
	ds_load_b64 v[94:95], v1 offset:15600
	v_add_nc_u32_e64 v0, 0x3800, 0
	s_wait_dscnt 0x0
	v_mul_f64_e32 v[42:43], v[94:95], v[42:43]
	s_delay_alu instid0(VALU_DEP_1)
	v_mul_f64_e32 v[40:41], v[40:41], v[42:43]
	ds_store_2addr_b64 v0, v[40:41], v[40:41] offset0:159 offset1:222
.LBB126_575:                            ;   in Loop: Header=BB126_3 Depth=1
	s_or_b32 exec_lo, exec_lo, s10
	v_mov_b64_e32 v[40:41], 0
	s_wait_dscnt 0x0
	s_barrier_signal -1
	s_barrier_wait -1
	global_wb scope:SCOPE_DEV
	s_wait_storecnt 0x0
	global_inv scope:SCOPE_DEV
	s_and_saveexec_b32 s10, s1
	s_cbranch_execz .LBB126_579
; %bb.576:                              ;   in Loop: Header=BB126_3 Depth=1
	ds_load_b64 v[40:41], v47 offset:15584
	ds_load_b64 v[42:43], v46 offset:16112
	s_wait_dscnt 0x0
	v_fma_f64 v[40:41], v[40:41], v[42:43], 0
	s_and_saveexec_b32 s11, s15
	s_cbranch_execz .LBB126_578
; %bb.577:                              ;   in Loop: Header=BB126_3 Depth=1
	ds_load_b64 v[42:43], v48 offset:16096
	ds_load_b64 v[94:95], v1 offset:16120
	s_wait_dscnt 0x0
	v_fmac_f64_e32 v[40:41], v[42:43], v[94:95]
.LBB126_578:                            ;   in Loop: Header=BB126_3 Depth=1
	s_or_b32 exec_lo, exec_lo, s11
.LBB126_579:                            ;   in Loop: Header=BB126_3 Depth=1
	s_delay_alu instid0(SALU_CYCLE_1)
	s_or_b32 exec_lo, exec_lo, s10
	s_and_saveexec_b32 s10, s90
	s_cbranch_execz .LBB126_581
; %bb.580:                              ;   in Loop: Header=BB126_3 Depth=1
	ds_load_b64 v[42:43], v1 offset:15080
	s_wait_dscnt 0x0
	v_mul_f64_e32 v[40:41], v[40:41], v[42:43]
	s_delay_alu instid0(VALU_DEP_1) | instskip(NEXT) | instid1(VALU_DEP_2)
	v_xor_b32_e32 v43, 0x80000000, v41
	v_mov_b32_e32 v42, v40
	ds_store_b64 v3, v[42:43]
.LBB126_581:                            ;   in Loop: Header=BB126_3 Depth=1
	s_or_b32 exec_lo, exec_lo, s10
	s_wait_loadcnt_dscnt 0x0
	s_barrier_signal -1
	s_barrier_wait -1
	s_and_saveexec_b32 s10, s91
	s_cbranch_execz .LBB126_583
; %bb.582:                              ;   in Loop: Header=BB126_3 Depth=1
	ds_load_b64 v[42:43], v1 offset:15072
	ds_load_b64 v[94:95], v3
	s_wait_dscnt 0x0
	v_fma_f64 v[40:41], -v[42:43], v[94:95], v[40:41]
.LBB126_583:                            ;   in Loop: Header=BB126_3 Depth=1
	s_or_b32 exec_lo, exec_lo, s10
	s_barrier_signal -1
	s_barrier_wait -1
	s_and_saveexec_b32 s10, s91
	s_cbranch_execz .LBB126_585
; %bb.584:                              ;   in Loop: Header=BB126_3 Depth=1
	ds_load_b64 v[42:43], v1 offset:14560
	s_wait_dscnt 0x0
	v_mul_f64_e32 v[40:41], v[40:41], v[42:43]
	s_delay_alu instid0(VALU_DEP_1) | instskip(NEXT) | instid1(VALU_DEP_2)
	v_xor_b32_e32 v43, 0x80000000, v41
	v_mov_b32_e32 v42, v40
	ds_store_b64 v3, v[42:43]
.LBB126_585:                            ;   in Loop: Header=BB126_3 Depth=1
	s_or_b32 exec_lo, exec_lo, s10
	s_wait_dscnt 0x0
	s_barrier_signal -1
	s_barrier_wait -1
	s_barrier_signal -1
	s_barrier_wait -1
	s_and_saveexec_b32 s10, s1
; %bb.586:                              ;   in Loop: Header=BB126_3 Depth=1
	ds_store_b64 v49, v[40:41] offset:16096
; %bb.587:                              ;   in Loop: Header=BB126_3 Depth=1
	s_or_b32 exec_lo, exec_lo, s10
	s_wait_dscnt 0x0
	s_barrier_signal -1
	s_barrier_wait -1
	s_barrier_signal -1
	s_barrier_wait -1
	s_and_saveexec_b32 s10, s92
	s_cbranch_execz .LBB126_589
; %bb.588:                              ;   in Loop: Header=BB126_3 Depth=1
	ds_load_b64 v[40:41], v50 offset:15584
	s_wait_dscnt 0x0
	ds_store_b64 v48, v[40:41] offset:14576
	ds_load_b64 v[40:41], v50 offset:15592
	s_wait_dscnt 0x0
	ds_store_b64 v48, v[40:41] offset:15088
.LBB126_589:                            ;   in Loop: Header=BB126_3 Depth=1
	s_or_b32 exec_lo, exec_lo, s10
	s_wait_dscnt 0x0
	s_barrier_signal -1
	s_barrier_wait -1
	s_and_saveexec_b32 s10, s14
	s_cbranch_execz .LBB126_591
; %bb.590:                              ;   in Loop: Header=BB126_3 Depth=1
	ds_load_b128 v[40:43], v1 offset:15072
	ds_load_b64 v[94:95], v1 offset:14560
	v_add_nc_u32_e64 v0, 0x3800, 0
	s_wait_dscnt 0x0
	v_mul_f64_e32 v[42:43], v[94:95], v[42:43]
	s_delay_alu instid0(VALU_DEP_1)
	v_mul_f64_e32 v[40:41], v[40:41], v[42:43]
	ds_store_2addr_b64 v0, v[40:41], v[40:41] offset0:29 offset1:92
.LBB126_591:                            ;   in Loop: Header=BB126_3 Depth=1
	s_or_b32 exec_lo, exec_lo, s10
	v_mov_b64_e32 v[40:41], 0
	s_wait_dscnt 0x0
	s_barrier_signal -1
	s_barrier_wait -1
	global_wb scope:SCOPE_DEV
	s_wait_storecnt 0x0
	global_inv scope:SCOPE_DEV
	s_and_saveexec_b32 s10, s3
	s_cbranch_execz .LBB126_597
; %bb.592:                              ;   in Loop: Header=BB126_3 Depth=1
	ds_load_b64 v[40:41], v53 offset:14528
	ds_load_b64 v[42:43], v52 offset:16096
	s_wait_dscnt 0x0
	v_fma_f64 v[40:41], v[40:41], v[42:43], 0
	s_and_saveexec_b32 s11, s16
	s_cbranch_execnz .LBB126_1125
; %bb.593:                              ;   in Loop: Header=BB126_3 Depth=1
	s_or_b32 exec_lo, exec_lo, s11
	s_and_saveexec_b32 s11, s17
	s_cbranch_execnz .LBB126_1126
.LBB126_594:                            ;   in Loop: Header=BB126_3 Depth=1
	s_or_b32 exec_lo, exec_lo, s11
	s_and_saveexec_b32 s11, s1
	s_cbranch_execz .LBB126_596
.LBB126_595:                            ;   in Loop: Header=BB126_3 Depth=1
	ds_load_b64 v[42:43], v54 offset:16064
	ds_load_b64 v[94:95], v1 offset:16120
	s_wait_dscnt 0x0
	v_fmac_f64_e32 v[40:41], v[42:43], v[94:95]
.LBB126_596:                            ;   in Loop: Header=BB126_3 Depth=1
	s_or_b32 exec_lo, exec_lo, s11
.LBB126_597:                            ;   in Loop: Header=BB126_3 Depth=1
	s_delay_alu instid0(SALU_CYCLE_1)
	s_or_b32 exec_lo, exec_lo, s10
	s_and_saveexec_b32 s10, s93
	s_cbranch_execz .LBB126_599
; %bb.598:                              ;   in Loop: Header=BB126_3 Depth=1
	ds_load_b64 v[42:43], v1 offset:14040
	s_wait_dscnt 0x0
	v_mul_f64_e32 v[40:41], v[40:41], v[42:43]
	s_delay_alu instid0(VALU_DEP_1) | instskip(NEXT) | instid1(VALU_DEP_2)
	v_xor_b32_e32 v43, 0x80000000, v41
	v_mov_b32_e32 v42, v40
	ds_store_b64 v51, v[42:43]
.LBB126_599:                            ;   in Loop: Header=BB126_3 Depth=1
	s_or_b32 exec_lo, exec_lo, s10
	s_wait_loadcnt_dscnt 0x0
	s_barrier_signal -1
	s_barrier_wait -1
	s_and_saveexec_b32 s10, s94
	s_cbranch_execz .LBB126_601
; %bb.600:                              ;   in Loop: Header=BB126_3 Depth=1
	ds_load_b64 v[42:43], v53 offset:14016
	ds_load_b64 v[94:95], v51
	s_wait_dscnt 0x0
	v_fma_f64 v[40:41], -v[42:43], v[94:95], v[40:41]
.LBB126_601:                            ;   in Loop: Header=BB126_3 Depth=1
	s_or_b32 exec_lo, exec_lo, s10
	s_barrier_signal -1
	s_barrier_wait -1
	s_and_saveexec_b32 s10, s95
	s_cbranch_execz .LBB126_603
; %bb.602:                              ;   in Loop: Header=BB126_3 Depth=1
	ds_load_b64 v[42:43], v1 offset:13520
	s_wait_dscnt 0x0
	v_mul_f64_e32 v[40:41], v[40:41], v[42:43]
	s_delay_alu instid0(VALU_DEP_1) | instskip(NEXT) | instid1(VALU_DEP_2)
	v_xor_b32_e32 v43, 0x80000000, v41
	v_mov_b32_e32 v42, v40
	ds_store_b64 v51, v[42:43]
.LBB126_603:                            ;   in Loop: Header=BB126_3 Depth=1
	s_or_b32 exec_lo, exec_lo, s10
	s_wait_dscnt 0x0
	s_barrier_signal -1
	s_barrier_wait -1
	s_and_saveexec_b32 s10, s96
	s_cbranch_execz .LBB126_605
; %bb.604:                              ;   in Loop: Header=BB126_3 Depth=1
	ds_load_b64 v[42:43], v53 offset:13504
	ds_load_b64 v[94:95], v51
	s_wait_dscnt 0x0
	v_fma_f64 v[40:41], -v[42:43], v[94:95], v[40:41]
.LBB126_605:                            ;   in Loop: Header=BB126_3 Depth=1
	s_or_b32 exec_lo, exec_lo, s10
	s_barrier_signal -1
	s_barrier_wait -1
	s_and_saveexec_b32 s10, s97
	s_cbranch_execz .LBB126_607
; %bb.606:                              ;   in Loop: Header=BB126_3 Depth=1
	ds_load_b64 v[42:43], v1 offset:13000
	s_wait_dscnt 0x0
	v_mul_f64_e32 v[40:41], v[40:41], v[42:43]
	s_delay_alu instid0(VALU_DEP_1) | instskip(NEXT) | instid1(VALU_DEP_2)
	v_xor_b32_e32 v43, 0x80000000, v41
	v_mov_b32_e32 v42, v40
	ds_store_b64 v51, v[42:43]
.LBB126_607:                            ;   in Loop: Header=BB126_3 Depth=1
	s_or_b32 exec_lo, exec_lo, s10
	s_wait_dscnt 0x0
	s_barrier_signal -1
	s_barrier_wait -1
	s_and_saveexec_b32 s10, s98
	s_cbranch_execz .LBB126_609
; %bb.608:                              ;   in Loop: Header=BB126_3 Depth=1
	ds_load_b64 v[42:43], v1 offset:12992
	ds_load_b64 v[94:95], v51
	s_wait_dscnt 0x0
	v_fma_f64 v[40:41], -v[42:43], v[94:95], v[40:41]
.LBB126_609:                            ;   in Loop: Header=BB126_3 Depth=1
	s_or_b32 exec_lo, exec_lo, s10
	s_barrier_signal -1
	s_barrier_wait -1
	s_and_saveexec_b32 s10, s98
	s_cbranch_execz .LBB126_611
; %bb.610:                              ;   in Loop: Header=BB126_3 Depth=1
	ds_load_b64 v[42:43], v1 offset:12480
	s_wait_dscnt 0x0
	v_mul_f64_e32 v[40:41], v[40:41], v[42:43]
	s_delay_alu instid0(VALU_DEP_1) | instskip(NEXT) | instid1(VALU_DEP_2)
	v_xor_b32_e32 v43, 0x80000000, v41
	v_mov_b32_e32 v42, v40
	ds_store_b64 v51, v[42:43]
.LBB126_611:                            ;   in Loop: Header=BB126_3 Depth=1
	s_or_b32 exec_lo, exec_lo, s10
	s_wait_dscnt 0x0
	s_barrier_signal -1
	s_barrier_wait -1
	s_barrier_signal -1
	s_barrier_wait -1
	s_and_saveexec_b32 s10, s3
; %bb.612:                              ;   in Loop: Header=BB126_3 Depth=1
	ds_store_b64 v55, v[40:41] offset:16064
; %bb.613:                              ;   in Loop: Header=BB126_3 Depth=1
	s_or_b32 exec_lo, exec_lo, s10
	s_wait_dscnt 0x0
	s_barrier_signal -1
	s_barrier_wait -1
	s_barrier_signal -1
	s_barrier_wait -1
	s_and_saveexec_b32 s10, s99
	s_cbranch_execz .LBB126_615
; %bb.614:                              ;   in Loop: Header=BB126_3 Depth=1
	ds_load_b64 v[40:41], v56 offset:14528
	s_wait_dscnt 0x0
	ds_store_b64 v5, v[40:41] offset:12512
	ds_load_b64 v[40:41], v56 offset:14536
	s_wait_dscnt 0x0
	ds_store_b64 v5, v[40:41] offset:13024
	;; [unrolled: 3-line block ×4, first 2 shown]
.LBB126_615:                            ;   in Loop: Header=BB126_3 Depth=1
	s_or_b32 exec_lo, exec_lo, s10
	s_wait_dscnt 0x0
	s_barrier_signal -1
	s_barrier_wait -1
	s_and_saveexec_b32 s10, s14
	s_cbranch_execz .LBB126_617
; %bb.616:                              ;   in Loop: Header=BB126_3 Depth=1
	ds_load_b128 v[40:43], v1 offset:14032
	ds_load_b64 v[94:95], v1 offset:13520
	v_add_nc_u32_e64 v0, 0x3000, 0
	s_wait_dscnt 0x0
	v_mul_f64_e32 v[42:43], v[94:95], v[42:43]
	s_delay_alu instid0(VALU_DEP_1)
	v_mul_f64_e32 v[40:41], v[40:41], v[42:43]
	ds_store_2addr_b64 v0, v[40:41], v[40:41] offset0:155 offset1:218
.LBB126_617:                            ;   in Loop: Header=BB126_3 Depth=1
	s_or_b32 exec_lo, exec_lo, s10
	v_mov_b64_e32 v[40:41], 0
	s_wait_dscnt 0x0
	s_barrier_signal -1
	s_barrier_wait -1
	global_wb scope:SCOPE_DEV
	s_wait_storecnt 0x0
	global_inv scope:SCOPE_DEV
	s_and_saveexec_b32 s10, s1
	s_cbranch_execz .LBB126_621
; %bb.618:                              ;   in Loop: Header=BB126_3 Depth=1
	ds_load_b64 v[40:41], v47 offset:13504
	ds_load_b64 v[42:43], v46 offset:14032
	s_wait_dscnt 0x0
	v_fma_f64 v[40:41], v[40:41], v[42:43], 0
	s_and_saveexec_b32 s11, s15
	s_cbranch_execz .LBB126_620
; %bb.619:                              ;   in Loop: Header=BB126_3 Depth=1
	ds_load_b64 v[42:43], v5 offset:14016
	ds_load_b64 v[94:95], v1 offset:14040
	s_wait_dscnt 0x0
	v_fmac_f64_e32 v[40:41], v[42:43], v[94:95]
.LBB126_620:                            ;   in Loop: Header=BB126_3 Depth=1
	s_or_b32 exec_lo, exec_lo, s11
.LBB126_621:                            ;   in Loop: Header=BB126_3 Depth=1
	s_delay_alu instid0(SALU_CYCLE_1)
	s_or_b32 exec_lo, exec_lo, s10
	s_and_saveexec_b32 s10, s90
	s_cbranch_execz .LBB126_623
; %bb.622:                              ;   in Loop: Header=BB126_3 Depth=1
	ds_load_b64 v[42:43], v1 offset:13000
	s_wait_dscnt 0x0
	v_mul_f64_e32 v[40:41], v[40:41], v[42:43]
	s_delay_alu instid0(VALU_DEP_1) | instskip(NEXT) | instid1(VALU_DEP_2)
	v_xor_b32_e32 v43, 0x80000000, v41
	v_mov_b32_e32 v42, v40
	ds_store_b64 v3, v[42:43]
.LBB126_623:                            ;   in Loop: Header=BB126_3 Depth=1
	s_or_b32 exec_lo, exec_lo, s10
	s_wait_loadcnt_dscnt 0x0
	s_barrier_signal -1
	s_barrier_wait -1
	s_and_saveexec_b32 s10, s91
	s_cbranch_execz .LBB126_625
; %bb.624:                              ;   in Loop: Header=BB126_3 Depth=1
	ds_load_b64 v[42:43], v1 offset:12992
	ds_load_b64 v[94:95], v3
	s_wait_dscnt 0x0
	v_fma_f64 v[40:41], -v[42:43], v[94:95], v[40:41]
.LBB126_625:                            ;   in Loop: Header=BB126_3 Depth=1
	s_or_b32 exec_lo, exec_lo, s10
	s_barrier_signal -1
	s_barrier_wait -1
	s_and_saveexec_b32 s10, s91
	s_cbranch_execz .LBB126_627
; %bb.626:                              ;   in Loop: Header=BB126_3 Depth=1
	ds_load_b64 v[42:43], v1 offset:12480
	s_wait_dscnt 0x0
	v_mul_f64_e32 v[40:41], v[40:41], v[42:43]
	s_delay_alu instid0(VALU_DEP_1) | instskip(NEXT) | instid1(VALU_DEP_2)
	v_xor_b32_e32 v43, 0x80000000, v41
	v_mov_b32_e32 v42, v40
	ds_store_b64 v3, v[42:43]
.LBB126_627:                            ;   in Loop: Header=BB126_3 Depth=1
	s_or_b32 exec_lo, exec_lo, s10
	s_wait_dscnt 0x0
	s_barrier_signal -1
	s_barrier_wait -1
	s_barrier_signal -1
	s_barrier_wait -1
	s_and_saveexec_b32 s10, s1
; %bb.628:                              ;   in Loop: Header=BB126_3 Depth=1
	ds_store_b64 v49, v[40:41] offset:14016
; %bb.629:                              ;   in Loop: Header=BB126_3 Depth=1
	s_or_b32 exec_lo, exec_lo, s10
	s_wait_dscnt 0x0
	s_barrier_signal -1
	s_barrier_wait -1
	s_barrier_signal -1
	s_barrier_wait -1
	s_and_saveexec_b32 s10, s92
	s_cbranch_execz .LBB126_631
; %bb.630:                              ;   in Loop: Header=BB126_3 Depth=1
	ds_load_b64 v[40:41], v71 offset:13504
	s_wait_dscnt 0x0
	ds_store_b64 v5, v[40:41] offset:12496
	ds_load_b64 v[40:41], v71 offset:13512
	s_wait_dscnt 0x0
	ds_store_b64 v5, v[40:41] offset:13008
.LBB126_631:                            ;   in Loop: Header=BB126_3 Depth=1
	s_or_b32 exec_lo, exec_lo, s10
	s_wait_dscnt 0x0
	s_barrier_signal -1
	s_barrier_wait -1
	s_and_saveexec_b32 s10, s14
	s_cbranch_execz .LBB126_633
; %bb.632:                              ;   in Loop: Header=BB126_3 Depth=1
	ds_load_b128 v[40:43], v1 offset:12992
	ds_load_b64 v[94:95], v1 offset:12480
	v_add_nc_u32_e64 v0, 0x3000, 0
	s_wait_dscnt 0x0
	v_mul_f64_e32 v[42:43], v[94:95], v[42:43]
	s_delay_alu instid0(VALU_DEP_1)
	v_mul_f64_e32 v[40:41], v[40:41], v[42:43]
	ds_store_2addr_b64 v0, v[40:41], v[40:41] offset0:25 offset1:88
.LBB126_633:                            ;   in Loop: Header=BB126_3 Depth=1
	s_or_b32 exec_lo, exec_lo, s10
	v_mov_b64_e32 v[40:41], 0
	s_wait_dscnt 0x0
	s_barrier_signal -1
	s_barrier_wait -1
	global_wb scope:SCOPE_DEV
	s_wait_storecnt 0x0
	global_inv scope:SCOPE_DEV
	s_and_saveexec_b32 s10, s4
	s_cbranch_execz .LBB126_643
; %bb.634:                              ;   in Loop: Header=BB126_3 Depth=1
	ds_load_b64 v[40:41], v59 offset:12416
	ds_load_b64 v[42:43], v58 offset:16064
	s_wait_dscnt 0x0
	v_fma_f64 v[40:41], v[40:41], v[42:43], 0
	s_and_saveexec_b32 s11, s18
	s_cbranch_execnz .LBB126_1127
; %bb.635:                              ;   in Loop: Header=BB126_3 Depth=1
	s_or_b32 exec_lo, exec_lo, s11
	s_and_saveexec_b32 s11, s19
	s_cbranch_execnz .LBB126_1128
.LBB126_636:                            ;   in Loop: Header=BB126_3 Depth=1
	s_or_b32 exec_lo, exec_lo, s11
	s_and_saveexec_b32 s11, s20
	s_cbranch_execnz .LBB126_1129
.LBB126_637:                            ;   in Loop: Header=BB126_3 Depth=1
	s_or_b32 exec_lo, exec_lo, s11
	s_and_saveexec_b32 s11, s21
	s_cbranch_execnz .LBB126_1130
.LBB126_638:                            ;   in Loop: Header=BB126_3 Depth=1
	s_or_b32 exec_lo, exec_lo, s11
	s_and_saveexec_b32 s11, s22
	s_cbranch_execnz .LBB126_1131
.LBB126_639:                            ;   in Loop: Header=BB126_3 Depth=1
	s_or_b32 exec_lo, exec_lo, s11
	s_and_saveexec_b32 s11, s3
	s_cbranch_execnz .LBB126_1132
.LBB126_640:                            ;   in Loop: Header=BB126_3 Depth=1
	s_or_b32 exec_lo, exec_lo, s11
	s_and_saveexec_b32 s11, s17
	s_cbranch_execz .LBB126_642
.LBB126_641:                            ;   in Loop: Header=BB126_3 Depth=1
	ds_load_b64 v[42:43], v72 offset:16000
	ds_load_b64 v[94:95], v1 offset:16120
	s_wait_dscnt 0x0
	v_fmac_f64_e32 v[40:41], v[42:43], v[94:95]
.LBB126_642:                            ;   in Loop: Header=BB126_3 Depth=1
	s_or_b32 exec_lo, exec_lo, s11
.LBB126_643:                            ;   in Loop: Header=BB126_3 Depth=1
	s_delay_alu instid0(SALU_CYCLE_1)
	s_or_b32 exec_lo, exec_lo, s10
	s_and_saveexec_b32 s10, s100
	s_cbranch_execz .LBB126_645
; %bb.644:                              ;   in Loop: Header=BB126_3 Depth=1
	ds_load_b64 v[42:43], v1 offset:11960
	s_wait_dscnt 0x0
	v_mul_f64_e32 v[40:41], v[40:41], v[42:43]
	s_delay_alu instid0(VALU_DEP_1) | instskip(NEXT) | instid1(VALU_DEP_2)
	v_xor_b32_e32 v43, 0x80000000, v41
	v_mov_b32_e32 v42, v40
	ds_store_b64 v57, v[42:43]
.LBB126_645:                            ;   in Loop: Header=BB126_3 Depth=1
	s_or_b32 exec_lo, exec_lo, s10
	s_wait_loadcnt_dscnt 0x0
	s_barrier_signal -1
	s_barrier_wait -1
	s_and_saveexec_b32 s10, s101
	s_cbranch_execz .LBB126_647
; %bb.646:                              ;   in Loop: Header=BB126_3 Depth=1
	ds_load_b64 v[42:43], v59 offset:11904
	ds_load_b64 v[94:95], v57
	s_wait_dscnt 0x0
	v_fma_f64 v[40:41], -v[42:43], v[94:95], v[40:41]
.LBB126_647:                            ;   in Loop: Header=BB126_3 Depth=1
	s_or_b32 exec_lo, exec_lo, s10
	s_barrier_signal -1
	s_barrier_wait -1
	s_and_saveexec_b32 s10, s102
	s_cbranch_execz .LBB126_649
; %bb.648:                              ;   in Loop: Header=BB126_3 Depth=1
	ds_load_b64 v[42:43], v1 offset:11440
	s_wait_dscnt 0x0
	v_mul_f64_e32 v[40:41], v[40:41], v[42:43]
	s_delay_alu instid0(VALU_DEP_1) | instskip(NEXT) | instid1(VALU_DEP_2)
	v_xor_b32_e32 v43, 0x80000000, v41
	v_mov_b32_e32 v42, v40
	ds_store_b64 v57, v[42:43]
.LBB126_649:                            ;   in Loop: Header=BB126_3 Depth=1
	s_or_b32 exec_lo, exec_lo, s10
	s_wait_dscnt 0x0
	s_barrier_signal -1
	s_barrier_wait -1
	s_and_saveexec_b32 s10, s103
	s_cbranch_execz .LBB126_651
; %bb.650:                              ;   in Loop: Header=BB126_3 Depth=1
	ds_load_b64 v[42:43], v59 offset:11392
	ds_load_b64 v[94:95], v57
	s_wait_dscnt 0x0
	v_fma_f64 v[40:41], -v[42:43], v[94:95], v[40:41]
.LBB126_651:                            ;   in Loop: Header=BB126_3 Depth=1
	s_or_b32 exec_lo, exec_lo, s10
	s_barrier_signal -1
	s_barrier_wait -1
	s_and_saveexec_b32 s10, s104
	s_cbranch_execz .LBB126_653
; %bb.652:                              ;   in Loop: Header=BB126_3 Depth=1
	ds_load_b64 v[42:43], v1 offset:10920
	s_wait_dscnt 0x0
	v_mul_f64_e32 v[40:41], v[40:41], v[42:43]
	s_delay_alu instid0(VALU_DEP_1) | instskip(NEXT) | instid1(VALU_DEP_2)
	v_xor_b32_e32 v43, 0x80000000, v41
	v_mov_b32_e32 v42, v40
	ds_store_b64 v57, v[42:43]
.LBB126_653:                            ;   in Loop: Header=BB126_3 Depth=1
	s_or_b32 exec_lo, exec_lo, s10
	s_wait_dscnt 0x0
	s_barrier_signal -1
	s_barrier_wait -1
	s_and_saveexec_b32 s10, vcc_hi
	s_cbranch_execz .LBB126_655
; %bb.654:                              ;   in Loop: Header=BB126_3 Depth=1
	ds_load_b64 v[42:43], v59 offset:10880
	ds_load_b64 v[94:95], v57
	s_wait_dscnt 0x0
	v_fma_f64 v[40:41], -v[42:43], v[94:95], v[40:41]
.LBB126_655:                            ;   in Loop: Header=BB126_3 Depth=1
	s_or_b32 exec_lo, exec_lo, s10
	s_barrier_signal -1
	s_barrier_wait -1
	s_and_saveexec_b32 s10, s36
	s_cbranch_execz .LBB126_657
; %bb.656:                              ;   in Loop: Header=BB126_3 Depth=1
	ds_load_b64 v[42:43], v1 offset:10400
	s_wait_dscnt 0x0
	v_mul_f64_e32 v[40:41], v[40:41], v[42:43]
	s_delay_alu instid0(VALU_DEP_1) | instskip(NEXT) | instid1(VALU_DEP_2)
	v_xor_b32_e32 v43, 0x80000000, v41
	v_mov_b32_e32 v42, v40
	ds_store_b64 v57, v[42:43]
.LBB126_657:                            ;   in Loop: Header=BB126_3 Depth=1
	s_or_b32 exec_lo, exec_lo, s10
	s_wait_dscnt 0x0
	s_barrier_signal -1
	s_barrier_wait -1
	s_and_saveexec_b32 s10, s37
	s_cbranch_execz .LBB126_659
; %bb.658:                              ;   in Loop: Header=BB126_3 Depth=1
	ds_load_b64 v[42:43], v59 offset:10368
	ds_load_b64 v[94:95], v57
	s_wait_dscnt 0x0
	v_fma_f64 v[40:41], -v[42:43], v[94:95], v[40:41]
.LBB126_659:                            ;   in Loop: Header=BB126_3 Depth=1
	s_or_b32 exec_lo, exec_lo, s10
	s_barrier_signal -1
	s_barrier_wait -1
	s_and_saveexec_b32 s10, s38
	s_cbranch_execz .LBB126_661
; %bb.660:                              ;   in Loop: Header=BB126_3 Depth=1
	ds_load_b64 v[42:43], v1 offset:9880
	s_wait_dscnt 0x0
	v_mul_f64_e32 v[40:41], v[40:41], v[42:43]
	s_delay_alu instid0(VALU_DEP_1) | instskip(NEXT) | instid1(VALU_DEP_2)
	v_xor_b32_e32 v43, 0x80000000, v41
	v_mov_b32_e32 v42, v40
	ds_store_b64 v57, v[42:43]
.LBB126_661:                            ;   in Loop: Header=BB126_3 Depth=1
	s_or_b32 exec_lo, exec_lo, s10
	s_wait_dscnt 0x0
	s_barrier_signal -1
	s_barrier_wait -1
	s_and_saveexec_b32 s10, s39
	;; [unrolled: 26-line block ×4, first 2 shown]
	s_cbranch_execz .LBB126_671
; %bb.670:                              ;   in Loop: Header=BB126_3 Depth=1
	ds_load_b64 v[42:43], v1 offset:8832
	ds_load_b64 v[94:95], v57
	s_wait_dscnt 0x0
	v_fma_f64 v[40:41], -v[42:43], v[94:95], v[40:41]
.LBB126_671:                            ;   in Loop: Header=BB126_3 Depth=1
	s_or_b32 exec_lo, exec_lo, s10
	s_barrier_signal -1
	s_barrier_wait -1
	s_and_saveexec_b32 s10, s43
	s_cbranch_execz .LBB126_673
; %bb.672:                              ;   in Loop: Header=BB126_3 Depth=1
	ds_load_b64 v[42:43], v1 offset:8320
	s_wait_dscnt 0x0
	v_mul_f64_e32 v[40:41], v[40:41], v[42:43]
	s_delay_alu instid0(VALU_DEP_1) | instskip(NEXT) | instid1(VALU_DEP_2)
	v_xor_b32_e32 v43, 0x80000000, v41
	v_mov_b32_e32 v42, v40
	ds_store_b64 v57, v[42:43]
.LBB126_673:                            ;   in Loop: Header=BB126_3 Depth=1
	s_or_b32 exec_lo, exec_lo, s10
	s_wait_dscnt 0x0
	s_barrier_signal -1
	s_barrier_wait -1
	s_barrier_signal -1
	s_barrier_wait -1
	s_and_saveexec_b32 s10, s4
; %bb.674:                              ;   in Loop: Header=BB126_3 Depth=1
	ds_store_b64 v60, v[40:41] offset:16000
; %bb.675:                              ;   in Loop: Header=BB126_3 Depth=1
	s_or_b32 exec_lo, exec_lo, s10
	s_wait_dscnt 0x0
	s_barrier_signal -1
	s_barrier_wait -1
	s_barrier_signal -1
	s_barrier_wait -1
	s_and_saveexec_b32 s10, s44
	s_cbranch_execz .LBB126_677
; %bb.676:                              ;   in Loop: Header=BB126_3 Depth=1
	ds_load_b64 v[40:41], v74 offset:12416
	s_wait_dscnt 0x0
	ds_store_b64 v75, v[40:41] offset:8384
	ds_load_b64 v[40:41], v74 offset:12424
	s_wait_dscnt 0x0
	ds_store_b64 v75, v[40:41] offset:8896
	;; [unrolled: 3-line block ×8, first 2 shown]
.LBB126_677:                            ;   in Loop: Header=BB126_3 Depth=1
	s_or_b32 exec_lo, exec_lo, s10
	s_wait_dscnt 0x0
	s_barrier_signal -1
	s_barrier_wait -1
	s_and_saveexec_b32 s10, s14
	s_cbranch_execz .LBB126_679
; %bb.678:                              ;   in Loop: Header=BB126_3 Depth=1
	ds_load_b128 v[40:43], v1 offset:11952
	ds_load_b64 v[94:95], v1 offset:11440
	v_add_nc_u32_e64 v0, 0x2800, 0
	s_wait_dscnt 0x0
	v_mul_f64_e32 v[42:43], v[94:95], v[42:43]
	s_delay_alu instid0(VALU_DEP_1)
	v_mul_f64_e32 v[40:41], v[40:41], v[42:43]
	ds_store_2addr_b64 v0, v[40:41], v[40:41] offset0:151 offset1:214
.LBB126_679:                            ;   in Loop: Header=BB126_3 Depth=1
	s_or_b32 exec_lo, exec_lo, s10
	v_mov_b64_e32 v[40:41], 0
	s_wait_dscnt 0x0
	s_barrier_signal -1
	s_barrier_wait -1
	global_wb scope:SCOPE_DEV
	s_wait_storecnt 0x0
	global_inv scope:SCOPE_DEV
	s_and_saveexec_b32 s10, s1
	s_cbranch_execz .LBB126_683
; %bb.680:                              ;   in Loop: Header=BB126_3 Depth=1
	ds_load_b64 v[40:41], v47 offset:11424
	ds_load_b64 v[42:43], v46 offset:11952
	s_wait_dscnt 0x0
	v_fma_f64 v[40:41], v[40:41], v[42:43], 0
	s_and_saveexec_b32 s11, s15
	s_cbranch_execz .LBB126_682
; %bb.681:                              ;   in Loop: Header=BB126_3 Depth=1
	ds_load_b64 v[42:43], v75 offset:11936
	ds_load_b64 v[94:95], v1 offset:11960
	s_wait_dscnt 0x0
	v_fmac_f64_e32 v[40:41], v[42:43], v[94:95]
.LBB126_682:                            ;   in Loop: Header=BB126_3 Depth=1
	s_or_b32 exec_lo, exec_lo, s11
.LBB126_683:                            ;   in Loop: Header=BB126_3 Depth=1
	s_delay_alu instid0(SALU_CYCLE_1)
	s_or_b32 exec_lo, exec_lo, s10
	s_and_saveexec_b32 s10, s90
	s_cbranch_execz .LBB126_685
; %bb.684:                              ;   in Loop: Header=BB126_3 Depth=1
	ds_load_b64 v[42:43], v1 offset:10920
	s_wait_dscnt 0x0
	v_mul_f64_e32 v[40:41], v[40:41], v[42:43]
	s_delay_alu instid0(VALU_DEP_1) | instskip(NEXT) | instid1(VALU_DEP_2)
	v_xor_b32_e32 v43, 0x80000000, v41
	v_mov_b32_e32 v42, v40
	ds_store_b64 v3, v[42:43]
.LBB126_685:                            ;   in Loop: Header=BB126_3 Depth=1
	s_or_b32 exec_lo, exec_lo, s10
	s_wait_loadcnt_dscnt 0x0
	s_barrier_signal -1
	s_barrier_wait -1
	s_and_saveexec_b32 s10, s91
	s_cbranch_execz .LBB126_687
; %bb.686:                              ;   in Loop: Header=BB126_3 Depth=1
	ds_load_b64 v[42:43], v1 offset:10912
	ds_load_b64 v[94:95], v3
	s_wait_dscnt 0x0
	v_fma_f64 v[40:41], -v[42:43], v[94:95], v[40:41]
.LBB126_687:                            ;   in Loop: Header=BB126_3 Depth=1
	s_or_b32 exec_lo, exec_lo, s10
	s_barrier_signal -1
	s_barrier_wait -1
	s_and_saveexec_b32 s10, s91
	s_cbranch_execz .LBB126_689
; %bb.688:                              ;   in Loop: Header=BB126_3 Depth=1
	ds_load_b64 v[42:43], v1 offset:10400
	s_wait_dscnt 0x0
	v_mul_f64_e32 v[40:41], v[40:41], v[42:43]
	s_delay_alu instid0(VALU_DEP_1) | instskip(NEXT) | instid1(VALU_DEP_2)
	v_xor_b32_e32 v43, 0x80000000, v41
	v_mov_b32_e32 v42, v40
	ds_store_b64 v3, v[42:43]
.LBB126_689:                            ;   in Loop: Header=BB126_3 Depth=1
	s_or_b32 exec_lo, exec_lo, s10
	s_wait_dscnt 0x0
	s_barrier_signal -1
	s_barrier_wait -1
	s_barrier_signal -1
	s_barrier_wait -1
	s_and_saveexec_b32 s10, s1
; %bb.690:                              ;   in Loop: Header=BB126_3 Depth=1
	ds_store_b64 v49, v[40:41] offset:11936
; %bb.691:                              ;   in Loop: Header=BB126_3 Depth=1
	s_or_b32 exec_lo, exec_lo, s10
	s_wait_dscnt 0x0
	s_barrier_signal -1
	s_barrier_wait -1
	s_barrier_signal -1
	s_barrier_wait -1
	s_and_saveexec_b32 s10, s92
	s_cbranch_execz .LBB126_693
; %bb.692:                              ;   in Loop: Header=BB126_3 Depth=1
	ds_load_b64 v[40:41], v76 offset:11424
	s_wait_dscnt 0x0
	ds_store_b64 v75, v[40:41] offset:10416
	ds_load_b64 v[40:41], v76 offset:11432
	s_wait_dscnt 0x0
	ds_store_b64 v75, v[40:41] offset:10928
.LBB126_693:                            ;   in Loop: Header=BB126_3 Depth=1
	s_or_b32 exec_lo, exec_lo, s10
	s_wait_dscnt 0x0
	s_barrier_signal -1
	s_barrier_wait -1
	s_and_saveexec_b32 s10, s14
	s_cbranch_execz .LBB126_695
; %bb.694:                              ;   in Loop: Header=BB126_3 Depth=1
	ds_load_b128 v[40:43], v1 offset:10912
	ds_load_b64 v[94:95], v1 offset:10400
	v_add_nc_u32_e64 v0, 0x2800, 0
	s_wait_dscnt 0x0
	v_mul_f64_e32 v[42:43], v[94:95], v[42:43]
	s_delay_alu instid0(VALU_DEP_1)
	v_mul_f64_e32 v[40:41], v[40:41], v[42:43]
	ds_store_2addr_b64 v0, v[40:41], v[40:41] offset0:21 offset1:84
.LBB126_695:                            ;   in Loop: Header=BB126_3 Depth=1
	s_or_b32 exec_lo, exec_lo, s10
	v_mov_b64_e32 v[40:41], 0
	s_wait_dscnt 0x0
	s_barrier_signal -1
	s_barrier_wait -1
	global_wb scope:SCOPE_DEV
	s_wait_storecnt 0x0
	global_inv scope:SCOPE_DEV
	s_and_saveexec_b32 s10, s3
	s_cbranch_execz .LBB126_701
; %bb.696:                              ;   in Loop: Header=BB126_3 Depth=1
	ds_load_b64 v[40:41], v53 offset:10368
	ds_load_b64 v[42:43], v52 offset:11936
	s_wait_dscnt 0x0
	v_fma_f64 v[40:41], v[40:41], v[42:43], 0
	s_and_saveexec_b32 s11, s16
	s_cbranch_execnz .LBB126_1133
; %bb.697:                              ;   in Loop: Header=BB126_3 Depth=1
	s_or_b32 exec_lo, exec_lo, s11
	s_and_saveexec_b32 s11, s17
	s_cbranch_execnz .LBB126_1134
.LBB126_698:                            ;   in Loop: Header=BB126_3 Depth=1
	s_or_b32 exec_lo, exec_lo, s11
	s_and_saveexec_b32 s11, s1
	s_cbranch_execz .LBB126_700
.LBB126_699:                            ;   in Loop: Header=BB126_3 Depth=1
	ds_load_b64 v[42:43], v78 offset:11904
	ds_load_b64 v[94:95], v1 offset:11960
	s_wait_dscnt 0x0
	v_fmac_f64_e32 v[40:41], v[42:43], v[94:95]
.LBB126_700:                            ;   in Loop: Header=BB126_3 Depth=1
	s_or_b32 exec_lo, exec_lo, s11
.LBB126_701:                            ;   in Loop: Header=BB126_3 Depth=1
	s_delay_alu instid0(SALU_CYCLE_1)
	s_or_b32 exec_lo, exec_lo, s10
	s_and_saveexec_b32 s10, s93
	s_cbranch_execz .LBB126_703
; %bb.702:                              ;   in Loop: Header=BB126_3 Depth=1
	ds_load_b64 v[42:43], v1 offset:9880
	s_wait_dscnt 0x0
	v_mul_f64_e32 v[40:41], v[40:41], v[42:43]
	s_delay_alu instid0(VALU_DEP_1) | instskip(NEXT) | instid1(VALU_DEP_2)
	v_xor_b32_e32 v43, 0x80000000, v41
	v_mov_b32_e32 v42, v40
	ds_store_b64 v51, v[42:43]
.LBB126_703:                            ;   in Loop: Header=BB126_3 Depth=1
	s_or_b32 exec_lo, exec_lo, s10
	s_wait_loadcnt_dscnt 0x0
	s_barrier_signal -1
	s_barrier_wait -1
	s_and_saveexec_b32 s10, s94
	s_cbranch_execz .LBB126_705
; %bb.704:                              ;   in Loop: Header=BB126_3 Depth=1
	ds_load_b64 v[42:43], v53 offset:9856
	ds_load_b64 v[94:95], v51
	s_wait_dscnt 0x0
	v_fma_f64 v[40:41], -v[42:43], v[94:95], v[40:41]
.LBB126_705:                            ;   in Loop: Header=BB126_3 Depth=1
	s_or_b32 exec_lo, exec_lo, s10
	s_barrier_signal -1
	s_barrier_wait -1
	s_and_saveexec_b32 s10, s95
	s_cbranch_execz .LBB126_707
; %bb.706:                              ;   in Loop: Header=BB126_3 Depth=1
	ds_load_b64 v[42:43], v1 offset:9360
	s_wait_dscnt 0x0
	v_mul_f64_e32 v[40:41], v[40:41], v[42:43]
	s_delay_alu instid0(VALU_DEP_1) | instskip(NEXT) | instid1(VALU_DEP_2)
	v_xor_b32_e32 v43, 0x80000000, v41
	v_mov_b32_e32 v42, v40
	ds_store_b64 v51, v[42:43]
.LBB126_707:                            ;   in Loop: Header=BB126_3 Depth=1
	s_or_b32 exec_lo, exec_lo, s10
	s_wait_dscnt 0x0
	s_barrier_signal -1
	s_barrier_wait -1
	s_and_saveexec_b32 s10, s96
	s_cbranch_execz .LBB126_709
; %bb.708:                              ;   in Loop: Header=BB126_3 Depth=1
	ds_load_b64 v[42:43], v53 offset:9344
	ds_load_b64 v[94:95], v51
	s_wait_dscnt 0x0
	v_fma_f64 v[40:41], -v[42:43], v[94:95], v[40:41]
.LBB126_709:                            ;   in Loop: Header=BB126_3 Depth=1
	s_or_b32 exec_lo, exec_lo, s10
	s_barrier_signal -1
	s_barrier_wait -1
	s_and_saveexec_b32 s10, s97
	s_cbranch_execz .LBB126_711
; %bb.710:                              ;   in Loop: Header=BB126_3 Depth=1
	ds_load_b64 v[42:43], v1 offset:8840
	s_wait_dscnt 0x0
	v_mul_f64_e32 v[40:41], v[40:41], v[42:43]
	s_delay_alu instid0(VALU_DEP_1) | instskip(NEXT) | instid1(VALU_DEP_2)
	v_xor_b32_e32 v43, 0x80000000, v41
	v_mov_b32_e32 v42, v40
	ds_store_b64 v51, v[42:43]
.LBB126_711:                            ;   in Loop: Header=BB126_3 Depth=1
	s_or_b32 exec_lo, exec_lo, s10
	s_wait_dscnt 0x0
	;; [unrolled: 26-line block ×3, first 2 shown]
	s_barrier_signal -1
	s_barrier_wait -1
	s_barrier_signal -1
	s_barrier_wait -1
	s_and_saveexec_b32 s10, s3
; %bb.716:                              ;   in Loop: Header=BB126_3 Depth=1
	ds_store_b64 v55, v[40:41] offset:11904
; %bb.717:                              ;   in Loop: Header=BB126_3 Depth=1
	s_or_b32 exec_lo, exec_lo, s10
	s_wait_dscnt 0x0
	s_barrier_signal -1
	s_barrier_wait -1
	s_barrier_signal -1
	s_barrier_wait -1
	s_and_saveexec_b32 s10, s99
	s_cbranch_execz .LBB126_719
; %bb.718:                              ;   in Loop: Header=BB126_3 Depth=1
	ds_load_b64 v[40:41], v80 offset:10368
	s_wait_dscnt 0x0
	ds_store_b64 v83, v[40:41] offset:8352
	ds_load_b64 v[40:41], v80 offset:10376
	s_wait_dscnt 0x0
	ds_store_b64 v83, v[40:41] offset:8864
	;; [unrolled: 3-line block ×4, first 2 shown]
.LBB126_719:                            ;   in Loop: Header=BB126_3 Depth=1
	s_or_b32 exec_lo, exec_lo, s10
	s_wait_dscnt 0x0
	s_barrier_signal -1
	s_barrier_wait -1
	s_and_saveexec_b32 s10, s14
	s_cbranch_execz .LBB126_721
; %bb.720:                              ;   in Loop: Header=BB126_3 Depth=1
	ds_load_b128 v[40:43], v1 offset:9872
	ds_load_b64 v[94:95], v1 offset:9360
	v_add_nc_u32_e64 v0, 0x2000, 0
	s_wait_dscnt 0x0
	v_mul_f64_e32 v[42:43], v[94:95], v[42:43]
	s_delay_alu instid0(VALU_DEP_1)
	v_mul_f64_e32 v[40:41], v[40:41], v[42:43]
	ds_store_2addr_b64 v0, v[40:41], v[40:41] offset0:147 offset1:210
.LBB126_721:                            ;   in Loop: Header=BB126_3 Depth=1
	s_or_b32 exec_lo, exec_lo, s10
	v_mov_b64_e32 v[40:41], 0
	s_wait_dscnt 0x0
	s_barrier_signal -1
	s_barrier_wait -1
	global_wb scope:SCOPE_DEV
	s_wait_storecnt 0x0
	global_inv scope:SCOPE_DEV
	s_and_saveexec_b32 s10, s1
	s_cbranch_execz .LBB126_725
; %bb.722:                              ;   in Loop: Header=BB126_3 Depth=1
	ds_load_b64 v[40:41], v47 offset:9344
	ds_load_b64 v[42:43], v46 offset:9872
	s_wait_dscnt 0x0
	v_fma_f64 v[40:41], v[40:41], v[42:43], 0
	s_and_saveexec_b32 s11, s15
	s_cbranch_execz .LBB126_724
; %bb.723:                              ;   in Loop: Header=BB126_3 Depth=1
	ds_load_b64 v[42:43], v83 offset:9856
	ds_load_b64 v[94:95], v1 offset:9880
	s_wait_dscnt 0x0
	v_fmac_f64_e32 v[40:41], v[42:43], v[94:95]
.LBB126_724:                            ;   in Loop: Header=BB126_3 Depth=1
	s_or_b32 exec_lo, exec_lo, s11
.LBB126_725:                            ;   in Loop: Header=BB126_3 Depth=1
	s_delay_alu instid0(SALU_CYCLE_1)
	s_or_b32 exec_lo, exec_lo, s10
	s_and_saveexec_b32 s10, s90
	s_cbranch_execz .LBB126_727
; %bb.726:                              ;   in Loop: Header=BB126_3 Depth=1
	ds_load_b64 v[42:43], v1 offset:8840
	s_wait_dscnt 0x0
	v_mul_f64_e32 v[40:41], v[40:41], v[42:43]
	s_delay_alu instid0(VALU_DEP_1) | instskip(NEXT) | instid1(VALU_DEP_2)
	v_xor_b32_e32 v43, 0x80000000, v41
	v_mov_b32_e32 v42, v40
	ds_store_b64 v3, v[42:43]
.LBB126_727:                            ;   in Loop: Header=BB126_3 Depth=1
	s_or_b32 exec_lo, exec_lo, s10
	s_wait_loadcnt_dscnt 0x0
	s_barrier_signal -1
	s_barrier_wait -1
	s_and_saveexec_b32 s10, s91
	s_cbranch_execz .LBB126_729
; %bb.728:                              ;   in Loop: Header=BB126_3 Depth=1
	ds_load_b64 v[42:43], v1 offset:8832
	ds_load_b64 v[94:95], v3
	s_wait_dscnt 0x0
	v_fma_f64 v[40:41], -v[42:43], v[94:95], v[40:41]
.LBB126_729:                            ;   in Loop: Header=BB126_3 Depth=1
	s_or_b32 exec_lo, exec_lo, s10
	s_barrier_signal -1
	s_barrier_wait -1
	s_and_saveexec_b32 s10, s91
	s_cbranch_execz .LBB126_731
; %bb.730:                              ;   in Loop: Header=BB126_3 Depth=1
	ds_load_b64 v[42:43], v1 offset:8320
	s_wait_dscnt 0x0
	v_mul_f64_e32 v[40:41], v[40:41], v[42:43]
	s_delay_alu instid0(VALU_DEP_1) | instskip(NEXT) | instid1(VALU_DEP_2)
	v_xor_b32_e32 v43, 0x80000000, v41
	v_mov_b32_e32 v42, v40
	ds_store_b64 v3, v[42:43]
.LBB126_731:                            ;   in Loop: Header=BB126_3 Depth=1
	s_or_b32 exec_lo, exec_lo, s10
	s_wait_dscnt 0x0
	s_barrier_signal -1
	s_barrier_wait -1
	s_barrier_signal -1
	s_barrier_wait -1
	s_and_saveexec_b32 s10, s1
; %bb.732:                              ;   in Loop: Header=BB126_3 Depth=1
	ds_store_b64 v49, v[40:41] offset:9856
; %bb.733:                              ;   in Loop: Header=BB126_3 Depth=1
	s_or_b32 exec_lo, exec_lo, s10
	s_wait_dscnt 0x0
	s_barrier_signal -1
	s_barrier_wait -1
	s_barrier_signal -1
	s_barrier_wait -1
	s_and_saveexec_b32 s10, s92
	s_cbranch_execz .LBB126_735
; %bb.734:                              ;   in Loop: Header=BB126_3 Depth=1
	ds_load_b64 v[40:41], v85 offset:9344
	s_wait_dscnt 0x0
	ds_store_b64 v83, v[40:41] offset:8336
	ds_load_b64 v[40:41], v85 offset:9352
	s_wait_dscnt 0x0
	ds_store_b64 v83, v[40:41] offset:8848
.LBB126_735:                            ;   in Loop: Header=BB126_3 Depth=1
	s_or_b32 exec_lo, exec_lo, s10
	s_wait_dscnt 0x0
	s_barrier_signal -1
	s_barrier_wait -1
	s_and_saveexec_b32 s10, s14
	s_cbranch_execz .LBB126_737
; %bb.736:                              ;   in Loop: Header=BB126_3 Depth=1
	ds_load_b128 v[40:43], v1 offset:8832
	ds_load_b64 v[94:95], v1 offset:8320
	v_add_nc_u32_e64 v0, 0x2000, 0
	s_wait_dscnt 0x0
	v_mul_f64_e32 v[42:43], v[94:95], v[42:43]
	s_delay_alu instid0(VALU_DEP_1)
	v_mul_f64_e32 v[40:41], v[40:41], v[42:43]
	ds_store_2addr_b64 v0, v[40:41], v[40:41] offset0:17 offset1:80
.LBB126_737:                            ;   in Loop: Header=BB126_3 Depth=1
	s_or_b32 exec_lo, exec_lo, s10
	v_mov_b64_e32 v[40:41], 0
	s_wait_dscnt 0x0
	s_barrier_signal -1
	s_barrier_wait -1
	global_wb scope:SCOPE_DEV
	s_wait_storecnt 0x0
	global_inv scope:SCOPE_DEV
	s_and_saveexec_b32 s65, s5
	s_cbranch_execz .LBB126_765
; %bb.738:                              ;   in Loop: Header=BB126_3 Depth=1
	ds_load_b64 v[40:41], v63 offset:8192
	ds_load_b64 v[42:43], v62 offset:16000
	s_wait_dscnt 0x0
	v_fma_f64 v[40:41], v[40:41], v[42:43], 0
	s_mov_b32 s10, exec_lo
	v_readlane_b32 s11, v103, 23
	s_and_b32 s11, s10, s11
	s_delay_alu instid0(SALU_CYCLE_1)
	s_mov_b32 exec_lo, s11
	s_cbranch_execz .LBB126_740
; %bb.739:                              ;   in Loop: Header=BB126_3 Depth=1
	ds_load_b64 v[42:43], v63 offset:8704
	ds_load_b64 v[94:95], v62 offset:16008
	s_wait_dscnt 0x0
	v_fmac_f64_e32 v[40:41], v[42:43], v[94:95]
.LBB126_740:                            ;   in Loop: Header=BB126_3 Depth=1
	s_or_b32 exec_lo, exec_lo, s10
	s_delay_alu instid0(SALU_CYCLE_1) | instskip(SKIP_2) | instid1(SALU_CYCLE_1)
	s_mov_b32 s10, exec_lo
	v_readlane_b32 s11, v103, 24
	s_and_b32 s11, s10, s11
	s_mov_b32 exec_lo, s11
	s_cbranch_execz .LBB126_742
; %bb.741:                              ;   in Loop: Header=BB126_3 Depth=1
	ds_load_b64 v[42:43], v63 offset:9216
	ds_load_b64 v[94:95], v62 offset:16016
	s_wait_dscnt 0x0
	v_fmac_f64_e32 v[40:41], v[42:43], v[94:95]
.LBB126_742:                            ;   in Loop: Header=BB126_3 Depth=1
	s_or_b32 exec_lo, exec_lo, s10
	s_delay_alu instid0(SALU_CYCLE_1) | instskip(SKIP_2) | instid1(SALU_CYCLE_1)
	s_mov_b32 s10, exec_lo
	v_readlane_b32 s11, v103, 25
	s_and_b32 s11, s10, s11
	;; [unrolled: 13-line block ×10, first 2 shown]
	s_mov_b32 exec_lo, s11
	s_cbranch_execnz .LBB126_1135
; %bb.759:                              ;   in Loop: Header=BB126_3 Depth=1
	s_or_b32 exec_lo, exec_lo, s10
	s_and_saveexec_b32 s10, s4
	s_cbranch_execnz .LBB126_1136
.LBB126_760:                            ;   in Loop: Header=BB126_3 Depth=1
	s_or_b32 exec_lo, exec_lo, s10
	s_and_saveexec_b32 s10, s19
	s_cbranch_execnz .LBB126_1137
.LBB126_761:                            ;   in Loop: Header=BB126_3 Depth=1
	s_or_b32 exec_lo, exec_lo, s10
	s_and_saveexec_b32 s10, s21
	s_cbranch_execnz .LBB126_1138
.LBB126_762:                            ;   in Loop: Header=BB126_3 Depth=1
	s_or_b32 exec_lo, exec_lo, s10
	s_and_saveexec_b32 s10, s3
	s_cbranch_execz .LBB126_764
.LBB126_763:                            ;   in Loop: Header=BB126_3 Depth=1
	ds_load_b64 v[42:43], v48 offset:15872
	ds_load_b64 v[94:95], v1 offset:16120
	s_wait_dscnt 0x0
	v_fmac_f64_e32 v[40:41], v[42:43], v[94:95]
.LBB126_764:                            ;   in Loop: Header=BB126_3 Depth=1
	s_or_b32 exec_lo, exec_lo, s10
.LBB126_765:                            ;   in Loop: Header=BB126_3 Depth=1
	s_delay_alu instid0(SALU_CYCLE_1) | instskip(NEXT) | instid1(SALU_CYCLE_1)
	s_or_b32 exec_lo, exec_lo, s65
	s_mov_b32 s10, exec_lo
	v_readlane_b32 s11, v103, 2
	s_and_b32 s11, s10, s11
	s_delay_alu instid0(SALU_CYCLE_1)
	s_mov_b32 exec_lo, s11
	s_cbranch_execz .LBB126_767
; %bb.766:                              ;   in Loop: Header=BB126_3 Depth=1
	ds_load_b64 v[42:43], v1 offset:7800
	s_wait_dscnt 0x0
	v_mul_f64_e32 v[40:41], v[40:41], v[42:43]
	s_delay_alu instid0(VALU_DEP_1) | instskip(NEXT) | instid1(VALU_DEP_2)
	v_xor_b32_e32 v43, 0x80000000, v41
	v_mov_b32_e32 v42, v40
	ds_store_b64 v61, v[42:43]
.LBB126_767:                            ;   in Loop: Header=BB126_3 Depth=1
	s_or_b32 exec_lo, exec_lo, s10
	s_wait_loadcnt_dscnt 0x0
	s_barrier_signal -1
	s_barrier_wait -1
	s_mov_b32 s10, exec_lo
	v_readlane_b32 s11, v103, 3
	s_and_b32 s11, s10, s11
	s_delay_alu instid0(SALU_CYCLE_1)
	s_mov_b32 exec_lo, s11
	s_cbranch_execz .LBB126_769
; %bb.768:                              ;   in Loop: Header=BB126_3 Depth=1
	ds_load_b64 v[42:43], v63 offset:7680
	ds_load_b64 v[94:95], v61
	s_wait_dscnt 0x0
	v_fma_f64 v[40:41], -v[42:43], v[94:95], v[40:41]
.LBB126_769:                            ;   in Loop: Header=BB126_3 Depth=1
	s_or_b32 exec_lo, exec_lo, s10
	s_barrier_signal -1
	s_barrier_wait -1
	s_mov_b32 s10, exec_lo
	v_readlane_b32 s11, v103, 4
	s_and_b32 s11, s10, s11
	s_delay_alu instid0(SALU_CYCLE_1)
	s_mov_b32 exec_lo, s11
	s_cbranch_execz .LBB126_771
; %bb.770:                              ;   in Loop: Header=BB126_3 Depth=1
	ds_load_b64 v[42:43], v1 offset:7280
	s_wait_dscnt 0x0
	v_mul_f64_e32 v[40:41], v[40:41], v[42:43]
	s_delay_alu instid0(VALU_DEP_1) | instskip(NEXT) | instid1(VALU_DEP_2)
	v_xor_b32_e32 v43, 0x80000000, v41
	v_mov_b32_e32 v42, v40
	ds_store_b64 v61, v[42:43]
.LBB126_771:                            ;   in Loop: Header=BB126_3 Depth=1
	s_or_b32 exec_lo, exec_lo, s10
	s_wait_dscnt 0x0
	s_barrier_signal -1
	s_barrier_wait -1
	s_and_saveexec_b32 s10, s48
	s_cbranch_execz .LBB126_773
; %bb.772:                              ;   in Loop: Header=BB126_3 Depth=1
	ds_load_b64 v[42:43], v63 offset:7168
	ds_load_b64 v[94:95], v61
	s_wait_dscnt 0x0
	v_fma_f64 v[40:41], -v[42:43], v[94:95], v[40:41]
.LBB126_773:                            ;   in Loop: Header=BB126_3 Depth=1
	s_or_b32 exec_lo, exec_lo, s10
	s_barrier_signal -1
	s_barrier_wait -1
	s_and_saveexec_b32 s10, s49
	s_cbranch_execz .LBB126_775
; %bb.774:                              ;   in Loop: Header=BB126_3 Depth=1
	ds_load_b64 v[42:43], v1 offset:6760
	s_wait_dscnt 0x0
	v_mul_f64_e32 v[40:41], v[40:41], v[42:43]
	s_delay_alu instid0(VALU_DEP_1) | instskip(NEXT) | instid1(VALU_DEP_2)
	v_xor_b32_e32 v43, 0x80000000, v41
	v_mov_b32_e32 v42, v40
	ds_store_b64 v61, v[42:43]
.LBB126_775:                            ;   in Loop: Header=BB126_3 Depth=1
	s_or_b32 exec_lo, exec_lo, s10
	s_wait_dscnt 0x0
	s_barrier_signal -1
	s_barrier_wait -1
	s_and_saveexec_b32 s10, s50
	s_cbranch_execz .LBB126_777
; %bb.776:                              ;   in Loop: Header=BB126_3 Depth=1
	ds_load_b64 v[42:43], v63 offset:6656
	ds_load_b64 v[94:95], v61
	s_wait_dscnt 0x0
	v_fma_f64 v[40:41], -v[42:43], v[94:95], v[40:41]
.LBB126_777:                            ;   in Loop: Header=BB126_3 Depth=1
	s_or_b32 exec_lo, exec_lo, s10
	s_barrier_signal -1
	s_barrier_wait -1
	s_and_saveexec_b32 s10, s51
	;; [unrolled: 26-line block ×14, first 2 shown]
	s_cbranch_execz .LBB126_827
; %bb.826:                              ;   in Loop: Header=BB126_3 Depth=1
	ds_load_b64 v[42:43], v1
	s_wait_dscnt 0x0
	v_mul_f64_e32 v[40:41], v[40:41], v[42:43]
	s_delay_alu instid0(VALU_DEP_1) | instskip(NEXT) | instid1(VALU_DEP_2)
	v_xor_b32_e32 v43, 0x80000000, v41
	v_mov_b32_e32 v42, v40
	ds_store_b64 v61, v[42:43]
.LBB126_827:                            ;   in Loop: Header=BB126_3 Depth=1
	s_or_b32 exec_lo, exec_lo, s10
	s_wait_dscnt 0x0
	s_barrier_signal -1
	s_barrier_wait -1
	s_barrier_signal -1
	s_barrier_wait -1
	s_and_saveexec_b32 s10, s5
; %bb.828:                              ;   in Loop: Header=BB126_3 Depth=1
	ds_store_b64 v65, v[40:41] offset:15872
; %bb.829:                              ;   in Loop: Header=BB126_3 Depth=1
	s_or_b32 exec_lo, exec_lo, s10
	s_wait_dscnt 0x0
	s_barrier_signal -1
	s_barrier_wait -1
	s_barrier_signal -1
	s_barrier_wait -1
	s_and_saveexec_b32 s10, s84
	s_cbranch_execz .LBB126_831
; %bb.830:                              ;   in Loop: Header=BB126_3 Depth=1
	ds_load_b64 v[40:41], v50 offset:8192
	s_wait_dscnt 0x0
	ds_store_b64 v54, v[40:41] offset:128
	ds_load_b64 v[40:41], v50 offset:8200
	s_wait_dscnt 0x0
	ds_store_b64 v54, v[40:41] offset:640
	;; [unrolled: 3-line block ×16, first 2 shown]
.LBB126_831:                            ;   in Loop: Header=BB126_3 Depth=1
	s_or_b32 exec_lo, exec_lo, s10
	s_wait_dscnt 0x0
	s_barrier_signal -1
	s_barrier_wait -1
	s_and_saveexec_b32 s10, s14
	s_cbranch_execz .LBB126_833
; %bb.832:                              ;   in Loop: Header=BB126_3 Depth=1
	ds_load_b128 v[40:43], v1 offset:7792
	ds_load_b64 v[94:95], v1 offset:7280
	v_add_nc_u32_e64 v0, 0x1800, 0
	s_wait_dscnt 0x0
	v_mul_f64_e32 v[42:43], v[94:95], v[42:43]
	s_delay_alu instid0(VALU_DEP_1)
	v_mul_f64_e32 v[40:41], v[40:41], v[42:43]
	ds_store_2addr_b64 v0, v[40:41], v[40:41] offset0:143 offset1:206
.LBB126_833:                            ;   in Loop: Header=BB126_3 Depth=1
	s_or_b32 exec_lo, exec_lo, s10
	v_mov_b64_e32 v[40:41], 0
	s_wait_dscnt 0x0
	s_barrier_signal -1
	s_barrier_wait -1
	global_wb scope:SCOPE_DEV
	s_wait_storecnt 0x0
	global_inv scope:SCOPE_DEV
	s_and_saveexec_b32 s10, s1
	s_cbranch_execz .LBB126_837
; %bb.834:                              ;   in Loop: Header=BB126_3 Depth=1
	ds_load_b64 v[40:41], v47 offset:7264
	ds_load_b64 v[42:43], v46 offset:7792
	s_wait_dscnt 0x0
	v_fma_f64 v[40:41], v[40:41], v[42:43], 0
	s_and_saveexec_b32 s11, s15
	s_cbranch_execz .LBB126_836
; %bb.835:                              ;   in Loop: Header=BB126_3 Depth=1
	ds_load_b64 v[42:43], v48 offset:7776
	ds_load_b64 v[94:95], v1 offset:7800
	s_wait_dscnt 0x0
	v_fmac_f64_e32 v[40:41], v[42:43], v[94:95]
.LBB126_836:                            ;   in Loop: Header=BB126_3 Depth=1
	s_or_b32 exec_lo, exec_lo, s11
.LBB126_837:                            ;   in Loop: Header=BB126_3 Depth=1
	s_delay_alu instid0(SALU_CYCLE_1)
	s_or_b32 exec_lo, exec_lo, s10
	s_and_saveexec_b32 s10, s90
	s_cbranch_execz .LBB126_839
; %bb.838:                              ;   in Loop: Header=BB126_3 Depth=1
	ds_load_b64 v[42:43], v1 offset:6760
	s_wait_dscnt 0x0
	v_mul_f64_e32 v[40:41], v[40:41], v[42:43]
	s_delay_alu instid0(VALU_DEP_1) | instskip(NEXT) | instid1(VALU_DEP_2)
	v_xor_b32_e32 v43, 0x80000000, v41
	v_mov_b32_e32 v42, v40
	ds_store_b64 v3, v[42:43]
.LBB126_839:                            ;   in Loop: Header=BB126_3 Depth=1
	s_or_b32 exec_lo, exec_lo, s10
	s_wait_loadcnt_dscnt 0x0
	s_barrier_signal -1
	s_barrier_wait -1
	s_and_saveexec_b32 s10, s91
	s_cbranch_execz .LBB126_841
; %bb.840:                              ;   in Loop: Header=BB126_3 Depth=1
	ds_load_b64 v[42:43], v1 offset:6752
	ds_load_b64 v[94:95], v3
	s_wait_dscnt 0x0
	v_fma_f64 v[40:41], -v[42:43], v[94:95], v[40:41]
.LBB126_841:                            ;   in Loop: Header=BB126_3 Depth=1
	s_or_b32 exec_lo, exec_lo, s10
	s_barrier_signal -1
	s_barrier_wait -1
	s_and_saveexec_b32 s10, s91
	s_cbranch_execz .LBB126_843
; %bb.842:                              ;   in Loop: Header=BB126_3 Depth=1
	ds_load_b64 v[42:43], v1 offset:6240
	s_wait_dscnt 0x0
	v_mul_f64_e32 v[40:41], v[40:41], v[42:43]
	s_delay_alu instid0(VALU_DEP_1) | instskip(NEXT) | instid1(VALU_DEP_2)
	v_xor_b32_e32 v43, 0x80000000, v41
	v_mov_b32_e32 v42, v40
	ds_store_b64 v3, v[42:43]
.LBB126_843:                            ;   in Loop: Header=BB126_3 Depth=1
	s_or_b32 exec_lo, exec_lo, s10
	s_wait_dscnt 0x0
	s_barrier_signal -1
	s_barrier_wait -1
	s_barrier_signal -1
	s_barrier_wait -1
	s_and_saveexec_b32 s10, s1
; %bb.844:                              ;   in Loop: Header=BB126_3 Depth=1
	ds_store_b64 v49, v[40:41] offset:7776
; %bb.845:                              ;   in Loop: Header=BB126_3 Depth=1
	s_or_b32 exec_lo, exec_lo, s10
	s_wait_dscnt 0x0
	s_barrier_signal -1
	s_barrier_wait -1
	s_barrier_signal -1
	s_barrier_wait -1
	s_and_saveexec_b32 s10, s92
	s_cbranch_execz .LBB126_847
; %bb.846:                              ;   in Loop: Header=BB126_3 Depth=1
	ds_load_b64 v[40:41], v50 offset:7264
	s_wait_dscnt 0x0
	ds_store_b64 v48, v[40:41] offset:6256
	ds_load_b64 v[40:41], v50 offset:7272
	s_wait_dscnt 0x0
	ds_store_b64 v48, v[40:41] offset:6768
.LBB126_847:                            ;   in Loop: Header=BB126_3 Depth=1
	s_or_b32 exec_lo, exec_lo, s10
	s_wait_dscnt 0x0
	s_barrier_signal -1
	s_barrier_wait -1
	s_and_saveexec_b32 s10, s14
	s_cbranch_execz .LBB126_849
; %bb.848:                              ;   in Loop: Header=BB126_3 Depth=1
	ds_load_b128 v[40:43], v1 offset:6752
	ds_load_b64 v[94:95], v1 offset:6240
	v_add_nc_u32_e64 v0, 0x1800, 0
	s_wait_dscnt 0x0
	v_mul_f64_e32 v[42:43], v[94:95], v[42:43]
	s_delay_alu instid0(VALU_DEP_1)
	v_mul_f64_e32 v[40:41], v[40:41], v[42:43]
	ds_store_2addr_b64 v0, v[40:41], v[40:41] offset0:13 offset1:76
.LBB126_849:                            ;   in Loop: Header=BB126_3 Depth=1
	s_or_b32 exec_lo, exec_lo, s10
	v_mov_b64_e32 v[40:41], 0
	s_wait_dscnt 0x0
	s_barrier_signal -1
	s_barrier_wait -1
	global_wb scope:SCOPE_DEV
	s_wait_storecnt 0x0
	global_inv scope:SCOPE_DEV
	s_and_saveexec_b32 s10, s3
	s_cbranch_execz .LBB126_855
; %bb.850:                              ;   in Loop: Header=BB126_3 Depth=1
	ds_load_b64 v[40:41], v53 offset:6208
	ds_load_b64 v[42:43], v52 offset:7776
	s_wait_dscnt 0x0
	v_fma_f64 v[40:41], v[40:41], v[42:43], 0
	s_and_saveexec_b32 s11, s16
	s_cbranch_execnz .LBB126_1139
; %bb.851:                              ;   in Loop: Header=BB126_3 Depth=1
	s_or_b32 exec_lo, exec_lo, s11
	s_and_saveexec_b32 s11, s17
	s_cbranch_execnz .LBB126_1140
.LBB126_852:                            ;   in Loop: Header=BB126_3 Depth=1
	s_or_b32 exec_lo, exec_lo, s11
	s_and_saveexec_b32 s11, s1
	s_cbranch_execz .LBB126_854
.LBB126_853:                            ;   in Loop: Header=BB126_3 Depth=1
	ds_load_b64 v[42:43], v54 offset:7744
	ds_load_b64 v[94:95], v1 offset:7800
	s_wait_dscnt 0x0
	v_fmac_f64_e32 v[40:41], v[42:43], v[94:95]
.LBB126_854:                            ;   in Loop: Header=BB126_3 Depth=1
	s_or_b32 exec_lo, exec_lo, s11
.LBB126_855:                            ;   in Loop: Header=BB126_3 Depth=1
	s_delay_alu instid0(SALU_CYCLE_1)
	s_or_b32 exec_lo, exec_lo, s10
	s_and_saveexec_b32 s10, s93
	s_cbranch_execz .LBB126_857
; %bb.856:                              ;   in Loop: Header=BB126_3 Depth=1
	ds_load_b64 v[42:43], v1 offset:5720
	s_wait_dscnt 0x0
	v_mul_f64_e32 v[40:41], v[40:41], v[42:43]
	s_delay_alu instid0(VALU_DEP_1) | instskip(NEXT) | instid1(VALU_DEP_2)
	v_xor_b32_e32 v43, 0x80000000, v41
	v_mov_b32_e32 v42, v40
	ds_store_b64 v51, v[42:43]
.LBB126_857:                            ;   in Loop: Header=BB126_3 Depth=1
	s_or_b32 exec_lo, exec_lo, s10
	s_wait_loadcnt_dscnt 0x0
	s_barrier_signal -1
	s_barrier_wait -1
	s_and_saveexec_b32 s10, s94
	s_cbranch_execz .LBB126_859
; %bb.858:                              ;   in Loop: Header=BB126_3 Depth=1
	ds_load_b64 v[42:43], v53 offset:5696
	ds_load_b64 v[94:95], v51
	s_wait_dscnt 0x0
	v_fma_f64 v[40:41], -v[42:43], v[94:95], v[40:41]
.LBB126_859:                            ;   in Loop: Header=BB126_3 Depth=1
	s_or_b32 exec_lo, exec_lo, s10
	s_barrier_signal -1
	s_barrier_wait -1
	s_and_saveexec_b32 s10, s95
	s_cbranch_execz .LBB126_861
; %bb.860:                              ;   in Loop: Header=BB126_3 Depth=1
	ds_load_b64 v[42:43], v1 offset:5200
	s_wait_dscnt 0x0
	v_mul_f64_e32 v[40:41], v[40:41], v[42:43]
	s_delay_alu instid0(VALU_DEP_1) | instskip(NEXT) | instid1(VALU_DEP_2)
	v_xor_b32_e32 v43, 0x80000000, v41
	v_mov_b32_e32 v42, v40
	ds_store_b64 v51, v[42:43]
.LBB126_861:                            ;   in Loop: Header=BB126_3 Depth=1
	s_or_b32 exec_lo, exec_lo, s10
	s_wait_dscnt 0x0
	s_barrier_signal -1
	s_barrier_wait -1
	s_and_saveexec_b32 s10, s96
	s_cbranch_execz .LBB126_863
; %bb.862:                              ;   in Loop: Header=BB126_3 Depth=1
	ds_load_b64 v[42:43], v53 offset:5184
	ds_load_b64 v[94:95], v51
	s_wait_dscnt 0x0
	v_fma_f64 v[40:41], -v[42:43], v[94:95], v[40:41]
.LBB126_863:                            ;   in Loop: Header=BB126_3 Depth=1
	s_or_b32 exec_lo, exec_lo, s10
	s_barrier_signal -1
	s_barrier_wait -1
	s_and_saveexec_b32 s10, s97
	s_cbranch_execz .LBB126_865
; %bb.864:                              ;   in Loop: Header=BB126_3 Depth=1
	ds_load_b64 v[42:43], v1 offset:4680
	s_wait_dscnt 0x0
	v_mul_f64_e32 v[40:41], v[40:41], v[42:43]
	s_delay_alu instid0(VALU_DEP_1) | instskip(NEXT) | instid1(VALU_DEP_2)
	v_xor_b32_e32 v43, 0x80000000, v41
	v_mov_b32_e32 v42, v40
	ds_store_b64 v51, v[42:43]
.LBB126_865:                            ;   in Loop: Header=BB126_3 Depth=1
	s_or_b32 exec_lo, exec_lo, s10
	s_wait_dscnt 0x0
	;; [unrolled: 26-line block ×3, first 2 shown]
	s_barrier_signal -1
	s_barrier_wait -1
	s_barrier_signal -1
	s_barrier_wait -1
	s_and_saveexec_b32 s10, s3
; %bb.870:                              ;   in Loop: Header=BB126_3 Depth=1
	ds_store_b64 v55, v[40:41] offset:7744
; %bb.871:                              ;   in Loop: Header=BB126_3 Depth=1
	s_or_b32 exec_lo, exec_lo, s10
	s_wait_dscnt 0x0
	s_barrier_signal -1
	s_barrier_wait -1
	s_barrier_signal -1
	s_barrier_wait -1
	s_and_saveexec_b32 s10, s99
	s_cbranch_execz .LBB126_873
; %bb.872:                              ;   in Loop: Header=BB126_3 Depth=1
	ds_load_b64 v[40:41], v56 offset:6208
	s_wait_dscnt 0x0
	ds_store_b64 v5, v[40:41] offset:4192
	ds_load_b64 v[40:41], v56 offset:6216
	s_wait_dscnt 0x0
	ds_store_b64 v5, v[40:41] offset:4704
	;; [unrolled: 3-line block ×4, first 2 shown]
.LBB126_873:                            ;   in Loop: Header=BB126_3 Depth=1
	s_or_b32 exec_lo, exec_lo, s10
	s_wait_dscnt 0x0
	s_barrier_signal -1
	s_barrier_wait -1
	s_and_saveexec_b32 s10, s14
	s_cbranch_execz .LBB126_875
; %bb.874:                              ;   in Loop: Header=BB126_3 Depth=1
	ds_load_b128 v[40:43], v1 offset:5712
	ds_load_b64 v[94:95], v1 offset:5200
	v_add_nc_u32_e64 v0, 0x1000, 0
	s_wait_dscnt 0x0
	v_mul_f64_e32 v[42:43], v[94:95], v[42:43]
	s_delay_alu instid0(VALU_DEP_1)
	v_mul_f64_e32 v[40:41], v[40:41], v[42:43]
	ds_store_2addr_b64 v0, v[40:41], v[40:41] offset0:139 offset1:202
.LBB126_875:                            ;   in Loop: Header=BB126_3 Depth=1
	s_or_b32 exec_lo, exec_lo, s10
	v_mov_b64_e32 v[40:41], 0
	s_wait_dscnt 0x0
	s_barrier_signal -1
	s_barrier_wait -1
	global_wb scope:SCOPE_DEV
	s_wait_storecnt 0x0
	global_inv scope:SCOPE_DEV
	s_and_saveexec_b32 s10, s1
	s_cbranch_execz .LBB126_879
; %bb.876:                              ;   in Loop: Header=BB126_3 Depth=1
	ds_load_b64 v[40:41], v47 offset:5184
	ds_load_b64 v[42:43], v46 offset:5712
	s_wait_dscnt 0x0
	v_fma_f64 v[40:41], v[40:41], v[42:43], 0
	s_and_saveexec_b32 s11, s15
	s_cbranch_execz .LBB126_878
; %bb.877:                              ;   in Loop: Header=BB126_3 Depth=1
	ds_load_b64 v[42:43], v5 offset:5696
	ds_load_b64 v[94:95], v1 offset:5720
	s_wait_dscnt 0x0
	v_fmac_f64_e32 v[40:41], v[42:43], v[94:95]
.LBB126_878:                            ;   in Loop: Header=BB126_3 Depth=1
	s_or_b32 exec_lo, exec_lo, s11
.LBB126_879:                            ;   in Loop: Header=BB126_3 Depth=1
	s_delay_alu instid0(SALU_CYCLE_1)
	s_or_b32 exec_lo, exec_lo, s10
	s_and_saveexec_b32 s10, s90
	s_cbranch_execz .LBB126_881
; %bb.880:                              ;   in Loop: Header=BB126_3 Depth=1
	ds_load_b64 v[42:43], v1 offset:4680
	s_wait_dscnt 0x0
	v_mul_f64_e32 v[40:41], v[40:41], v[42:43]
	s_delay_alu instid0(VALU_DEP_1) | instskip(NEXT) | instid1(VALU_DEP_2)
	v_xor_b32_e32 v43, 0x80000000, v41
	v_mov_b32_e32 v42, v40
	ds_store_b64 v3, v[42:43]
.LBB126_881:                            ;   in Loop: Header=BB126_3 Depth=1
	s_or_b32 exec_lo, exec_lo, s10
	s_wait_loadcnt_dscnt 0x0
	s_barrier_signal -1
	s_barrier_wait -1
	s_and_saveexec_b32 s10, s91
	s_cbranch_execz .LBB126_883
; %bb.882:                              ;   in Loop: Header=BB126_3 Depth=1
	ds_load_b64 v[42:43], v1 offset:4672
	ds_load_b64 v[94:95], v3
	s_wait_dscnt 0x0
	v_fma_f64 v[40:41], -v[42:43], v[94:95], v[40:41]
.LBB126_883:                            ;   in Loop: Header=BB126_3 Depth=1
	s_or_b32 exec_lo, exec_lo, s10
	s_barrier_signal -1
	s_barrier_wait -1
	s_and_saveexec_b32 s10, s91
	s_cbranch_execz .LBB126_885
; %bb.884:                              ;   in Loop: Header=BB126_3 Depth=1
	ds_load_b64 v[42:43], v1 offset:4160
	s_wait_dscnt 0x0
	v_mul_f64_e32 v[40:41], v[40:41], v[42:43]
	s_delay_alu instid0(VALU_DEP_1) | instskip(NEXT) | instid1(VALU_DEP_2)
	v_xor_b32_e32 v43, 0x80000000, v41
	v_mov_b32_e32 v42, v40
	ds_store_b64 v3, v[42:43]
.LBB126_885:                            ;   in Loop: Header=BB126_3 Depth=1
	s_or_b32 exec_lo, exec_lo, s10
	s_wait_dscnt 0x0
	s_barrier_signal -1
	s_barrier_wait -1
	s_barrier_signal -1
	s_barrier_wait -1
	s_and_saveexec_b32 s10, s1
; %bb.886:                              ;   in Loop: Header=BB126_3 Depth=1
	ds_store_b64 v49, v[40:41] offset:5696
; %bb.887:                              ;   in Loop: Header=BB126_3 Depth=1
	s_or_b32 exec_lo, exec_lo, s10
	s_wait_dscnt 0x0
	s_barrier_signal -1
	s_barrier_wait -1
	s_barrier_signal -1
	s_barrier_wait -1
	s_and_saveexec_b32 s10, s92
	s_cbranch_execz .LBB126_889
; %bb.888:                              ;   in Loop: Header=BB126_3 Depth=1
	ds_load_b64 v[40:41], v71 offset:5184
	s_wait_dscnt 0x0
	ds_store_b64 v5, v[40:41] offset:4176
	ds_load_b64 v[40:41], v71 offset:5192
	s_wait_dscnt 0x0
	ds_store_b64 v5, v[40:41] offset:4688
.LBB126_889:                            ;   in Loop: Header=BB126_3 Depth=1
	s_or_b32 exec_lo, exec_lo, s10
	s_wait_dscnt 0x0
	s_barrier_signal -1
	s_barrier_wait -1
	s_and_saveexec_b32 s10, s14
	s_cbranch_execz .LBB126_891
; %bb.890:                              ;   in Loop: Header=BB126_3 Depth=1
	ds_load_b128 v[40:43], v1 offset:4672
	ds_load_b64 v[94:95], v1 offset:4160
	v_add_nc_u32_e64 v0, 0x1000, 0
	s_wait_dscnt 0x0
	v_mul_f64_e32 v[42:43], v[94:95], v[42:43]
	s_delay_alu instid0(VALU_DEP_1)
	v_mul_f64_e32 v[40:41], v[40:41], v[42:43]
	ds_store_2addr_b64 v0, v[40:41], v[40:41] offset0:9 offset1:72
.LBB126_891:                            ;   in Loop: Header=BB126_3 Depth=1
	s_or_b32 exec_lo, exec_lo, s10
	v_mov_b64_e32 v[40:41], 0
	s_wait_dscnt 0x0
	s_barrier_signal -1
	s_barrier_wait -1
	global_wb scope:SCOPE_DEV
	s_wait_storecnt 0x0
	global_inv scope:SCOPE_DEV
	s_and_saveexec_b32 s10, s4
	s_cbranch_execz .LBB126_901
; %bb.892:                              ;   in Loop: Header=BB126_3 Depth=1
	ds_load_b64 v[40:41], v59 offset:4096
	ds_load_b64 v[42:43], v58 offset:7744
	s_wait_dscnt 0x0
	v_fma_f64 v[40:41], v[40:41], v[42:43], 0
	s_and_saveexec_b32 s11, s18
	s_cbranch_execnz .LBB126_1141
; %bb.893:                              ;   in Loop: Header=BB126_3 Depth=1
	s_or_b32 exec_lo, exec_lo, s11
	s_and_saveexec_b32 s11, s19
	s_cbranch_execnz .LBB126_1142
.LBB126_894:                            ;   in Loop: Header=BB126_3 Depth=1
	s_or_b32 exec_lo, exec_lo, s11
	s_and_saveexec_b32 s11, s20
	s_cbranch_execnz .LBB126_1143
.LBB126_895:                            ;   in Loop: Header=BB126_3 Depth=1
	s_or_b32 exec_lo, exec_lo, s11
	s_and_saveexec_b32 s11, s21
	s_cbranch_execnz .LBB126_1144
.LBB126_896:                            ;   in Loop: Header=BB126_3 Depth=1
	s_or_b32 exec_lo, exec_lo, s11
	s_and_saveexec_b32 s11, s22
	s_cbranch_execnz .LBB126_1145
.LBB126_897:                            ;   in Loop: Header=BB126_3 Depth=1
	s_or_b32 exec_lo, exec_lo, s11
	s_and_saveexec_b32 s11, s3
	s_cbranch_execnz .LBB126_1146
.LBB126_898:                            ;   in Loop: Header=BB126_3 Depth=1
	s_or_b32 exec_lo, exec_lo, s11
	s_and_saveexec_b32 s11, s17
	s_cbranch_execz .LBB126_900
.LBB126_899:                            ;   in Loop: Header=BB126_3 Depth=1
	ds_load_b64 v[42:43], v72 offset:7680
	ds_load_b64 v[94:95], v1 offset:7800
	s_wait_dscnt 0x0
	v_fmac_f64_e32 v[40:41], v[42:43], v[94:95]
.LBB126_900:                            ;   in Loop: Header=BB126_3 Depth=1
	s_or_b32 exec_lo, exec_lo, s11
.LBB126_901:                            ;   in Loop: Header=BB126_3 Depth=1
	s_delay_alu instid0(SALU_CYCLE_1)
	s_or_b32 exec_lo, exec_lo, s10
	s_and_saveexec_b32 s10, s100
	s_cbranch_execz .LBB126_903
; %bb.902:                              ;   in Loop: Header=BB126_3 Depth=1
	ds_load_b64 v[42:43], v1 offset:3640
	s_wait_dscnt 0x0
	v_mul_f64_e32 v[40:41], v[40:41], v[42:43]
	s_delay_alu instid0(VALU_DEP_1) | instskip(NEXT) | instid1(VALU_DEP_2)
	v_xor_b32_e32 v43, 0x80000000, v41
	v_mov_b32_e32 v42, v40
	ds_store_b64 v57, v[42:43]
.LBB126_903:                            ;   in Loop: Header=BB126_3 Depth=1
	s_or_b32 exec_lo, exec_lo, s10
	s_wait_loadcnt_dscnt 0x0
	s_barrier_signal -1
	s_barrier_wait -1
	s_and_saveexec_b32 s10, s101
	s_cbranch_execz .LBB126_905
; %bb.904:                              ;   in Loop: Header=BB126_3 Depth=1
	ds_load_b64 v[42:43], v59 offset:3584
	ds_load_b64 v[94:95], v57
	s_wait_dscnt 0x0
	v_fma_f64 v[40:41], -v[42:43], v[94:95], v[40:41]
.LBB126_905:                            ;   in Loop: Header=BB126_3 Depth=1
	s_or_b32 exec_lo, exec_lo, s10
	s_barrier_signal -1
	s_barrier_wait -1
	s_and_saveexec_b32 s10, s102
	s_cbranch_execz .LBB126_907
; %bb.906:                              ;   in Loop: Header=BB126_3 Depth=1
	ds_load_b64 v[42:43], v1 offset:3120
	s_wait_dscnt 0x0
	v_mul_f64_e32 v[40:41], v[40:41], v[42:43]
	s_delay_alu instid0(VALU_DEP_1) | instskip(NEXT) | instid1(VALU_DEP_2)
	v_xor_b32_e32 v43, 0x80000000, v41
	v_mov_b32_e32 v42, v40
	ds_store_b64 v57, v[42:43]
.LBB126_907:                            ;   in Loop: Header=BB126_3 Depth=1
	s_or_b32 exec_lo, exec_lo, s10
	s_wait_dscnt 0x0
	s_barrier_signal -1
	s_barrier_wait -1
	s_and_saveexec_b32 s10, s103
	s_cbranch_execz .LBB126_909
; %bb.908:                              ;   in Loop: Header=BB126_3 Depth=1
	ds_load_b64 v[42:43], v59 offset:3072
	ds_load_b64 v[94:95], v57
	s_wait_dscnt 0x0
	v_fma_f64 v[40:41], -v[42:43], v[94:95], v[40:41]
.LBB126_909:                            ;   in Loop: Header=BB126_3 Depth=1
	s_or_b32 exec_lo, exec_lo, s10
	s_barrier_signal -1
	s_barrier_wait -1
	s_and_saveexec_b32 s10, s104
	s_cbranch_execz .LBB126_911
; %bb.910:                              ;   in Loop: Header=BB126_3 Depth=1
	ds_load_b64 v[42:43], v1 offset:2600
	s_wait_dscnt 0x0
	v_mul_f64_e32 v[40:41], v[40:41], v[42:43]
	s_delay_alu instid0(VALU_DEP_1) | instskip(NEXT) | instid1(VALU_DEP_2)
	v_xor_b32_e32 v43, 0x80000000, v41
	v_mov_b32_e32 v42, v40
	ds_store_b64 v57, v[42:43]
.LBB126_911:                            ;   in Loop: Header=BB126_3 Depth=1
	s_or_b32 exec_lo, exec_lo, s10
	s_wait_dscnt 0x0
	s_barrier_signal -1
	s_barrier_wait -1
	s_and_saveexec_b32 s10, vcc_hi
	s_cbranch_execz .LBB126_913
; %bb.912:                              ;   in Loop: Header=BB126_3 Depth=1
	ds_load_b64 v[42:43], v59 offset:2560
	ds_load_b64 v[94:95], v57
	s_wait_dscnt 0x0
	v_fma_f64 v[40:41], -v[42:43], v[94:95], v[40:41]
.LBB126_913:                            ;   in Loop: Header=BB126_3 Depth=1
	s_or_b32 exec_lo, exec_lo, s10
	s_barrier_signal -1
	s_barrier_wait -1
	s_and_saveexec_b32 s10, s36
	s_cbranch_execz .LBB126_915
; %bb.914:                              ;   in Loop: Header=BB126_3 Depth=1
	ds_load_b64 v[42:43], v1 offset:2080
	s_wait_dscnt 0x0
	v_mul_f64_e32 v[40:41], v[40:41], v[42:43]
	s_delay_alu instid0(VALU_DEP_1) | instskip(NEXT) | instid1(VALU_DEP_2)
	v_xor_b32_e32 v43, 0x80000000, v41
	v_mov_b32_e32 v42, v40
	ds_store_b64 v57, v[42:43]
.LBB126_915:                            ;   in Loop: Header=BB126_3 Depth=1
	s_or_b32 exec_lo, exec_lo, s10
	s_wait_dscnt 0x0
	s_barrier_signal -1
	s_barrier_wait -1
	s_and_saveexec_b32 s10, s37
	s_cbranch_execz .LBB126_917
; %bb.916:                              ;   in Loop: Header=BB126_3 Depth=1
	ds_load_b64 v[42:43], v59 offset:2048
	ds_load_b64 v[94:95], v57
	s_wait_dscnt 0x0
	v_fma_f64 v[40:41], -v[42:43], v[94:95], v[40:41]
.LBB126_917:                            ;   in Loop: Header=BB126_3 Depth=1
	s_or_b32 exec_lo, exec_lo, s10
	s_barrier_signal -1
	s_barrier_wait -1
	s_and_saveexec_b32 s10, s38
	s_cbranch_execz .LBB126_919
; %bb.918:                              ;   in Loop: Header=BB126_3 Depth=1
	ds_load_b64 v[42:43], v1 offset:1560
	s_wait_dscnt 0x0
	v_mul_f64_e32 v[40:41], v[40:41], v[42:43]
	s_delay_alu instid0(VALU_DEP_1) | instskip(NEXT) | instid1(VALU_DEP_2)
	v_xor_b32_e32 v43, 0x80000000, v41
	v_mov_b32_e32 v42, v40
	ds_store_b64 v57, v[42:43]
.LBB126_919:                            ;   in Loop: Header=BB126_3 Depth=1
	s_or_b32 exec_lo, exec_lo, s10
	s_wait_dscnt 0x0
	s_barrier_signal -1
	s_barrier_wait -1
	s_and_saveexec_b32 s10, s39
	;; [unrolled: 26-line block ×4, first 2 shown]
	s_cbranch_execz .LBB126_929
; %bb.928:                              ;   in Loop: Header=BB126_3 Depth=1
	ds_load_b64 v[42:43], v1 offset:512
	ds_load_b64 v[94:95], v57
	s_wait_dscnt 0x0
	v_fma_f64 v[40:41], -v[42:43], v[94:95], v[40:41]
.LBB126_929:                            ;   in Loop: Header=BB126_3 Depth=1
	s_or_b32 exec_lo, exec_lo, s10
	s_barrier_signal -1
	s_barrier_wait -1
	s_and_saveexec_b32 s10, s43
	s_cbranch_execz .LBB126_931
; %bb.930:                              ;   in Loop: Header=BB126_3 Depth=1
	ds_load_b64 v[42:43], v1
	s_wait_dscnt 0x0
	v_mul_f64_e32 v[40:41], v[40:41], v[42:43]
	s_delay_alu instid0(VALU_DEP_1) | instskip(NEXT) | instid1(VALU_DEP_2)
	v_xor_b32_e32 v43, 0x80000000, v41
	v_mov_b32_e32 v42, v40
	ds_store_b64 v57, v[42:43]
.LBB126_931:                            ;   in Loop: Header=BB126_3 Depth=1
	s_or_b32 exec_lo, exec_lo, s10
	s_wait_dscnt 0x0
	s_barrier_signal -1
	s_barrier_wait -1
	s_barrier_signal -1
	s_barrier_wait -1
	s_and_saveexec_b32 s10, s4
; %bb.932:                              ;   in Loop: Header=BB126_3 Depth=1
	ds_store_b64 v60, v[40:41] offset:7680
; %bb.933:                              ;   in Loop: Header=BB126_3 Depth=1
	s_or_b32 exec_lo, exec_lo, s10
	s_wait_dscnt 0x0
	s_barrier_signal -1
	s_barrier_wait -1
	s_barrier_signal -1
	s_barrier_wait -1
	s_and_saveexec_b32 s10, s44
	s_cbranch_execz .LBB126_935
; %bb.934:                              ;   in Loop: Header=BB126_3 Depth=1
	ds_load_b64 v[40:41], v74 offset:4096
	s_wait_dscnt 0x0
	ds_store_b64 v75, v[40:41] offset:64
	ds_load_b64 v[40:41], v74 offset:4104
	s_wait_dscnt 0x0
	ds_store_b64 v75, v[40:41] offset:576
	;; [unrolled: 3-line block ×8, first 2 shown]
.LBB126_935:                            ;   in Loop: Header=BB126_3 Depth=1
	s_or_b32 exec_lo, exec_lo, s10
	s_wait_dscnt 0x0
	s_barrier_signal -1
	s_barrier_wait -1
	s_and_saveexec_b32 s10, s14
	s_cbranch_execz .LBB126_937
; %bb.936:                              ;   in Loop: Header=BB126_3 Depth=1
	ds_load_b128 v[40:43], v1 offset:3632
	ds_load_b64 v[94:95], v1 offset:3120
	v_add_nc_u32_e64 v0, 0x800, 0
	s_wait_dscnt 0x0
	v_mul_f64_e32 v[42:43], v[94:95], v[42:43]
	s_delay_alu instid0(VALU_DEP_1)
	v_mul_f64_e32 v[40:41], v[40:41], v[42:43]
	ds_store_2addr_b64 v0, v[40:41], v[40:41] offset0:135 offset1:198
.LBB126_937:                            ;   in Loop: Header=BB126_3 Depth=1
	s_or_b32 exec_lo, exec_lo, s10
	v_mov_b64_e32 v[40:41], 0
	s_wait_dscnt 0x0
	s_barrier_signal -1
	s_barrier_wait -1
	global_wb scope:SCOPE_DEV
	s_wait_storecnt 0x0
	global_inv scope:SCOPE_DEV
	s_and_saveexec_b32 s10, s1
	s_cbranch_execz .LBB126_941
; %bb.938:                              ;   in Loop: Header=BB126_3 Depth=1
	ds_load_b64 v[40:41], v47 offset:3104
	ds_load_b64 v[42:43], v46 offset:3632
	s_wait_dscnt 0x0
	v_fma_f64 v[40:41], v[40:41], v[42:43], 0
	s_and_saveexec_b32 s11, s15
	s_cbranch_execz .LBB126_940
; %bb.939:                              ;   in Loop: Header=BB126_3 Depth=1
	ds_load_b64 v[42:43], v75 offset:3616
	ds_load_b64 v[94:95], v1 offset:3640
	s_wait_dscnt 0x0
	v_fmac_f64_e32 v[40:41], v[42:43], v[94:95]
.LBB126_940:                            ;   in Loop: Header=BB126_3 Depth=1
	s_or_b32 exec_lo, exec_lo, s11
.LBB126_941:                            ;   in Loop: Header=BB126_3 Depth=1
	s_delay_alu instid0(SALU_CYCLE_1)
	s_or_b32 exec_lo, exec_lo, s10
	s_and_saveexec_b32 s10, s90
	s_cbranch_execz .LBB126_943
; %bb.942:                              ;   in Loop: Header=BB126_3 Depth=1
	ds_load_b64 v[42:43], v1 offset:2600
	s_wait_dscnt 0x0
	v_mul_f64_e32 v[40:41], v[40:41], v[42:43]
	s_delay_alu instid0(VALU_DEP_1) | instskip(NEXT) | instid1(VALU_DEP_2)
	v_xor_b32_e32 v43, 0x80000000, v41
	v_mov_b32_e32 v42, v40
	ds_store_b64 v3, v[42:43]
.LBB126_943:                            ;   in Loop: Header=BB126_3 Depth=1
	s_or_b32 exec_lo, exec_lo, s10
	s_wait_loadcnt_dscnt 0x0
	s_barrier_signal -1
	s_barrier_wait -1
	s_and_saveexec_b32 s10, s91
	s_cbranch_execz .LBB126_945
; %bb.944:                              ;   in Loop: Header=BB126_3 Depth=1
	ds_load_b64 v[42:43], v1 offset:2592
	ds_load_b64 v[94:95], v3
	s_wait_dscnt 0x0
	v_fma_f64 v[40:41], -v[42:43], v[94:95], v[40:41]
.LBB126_945:                            ;   in Loop: Header=BB126_3 Depth=1
	s_or_b32 exec_lo, exec_lo, s10
	s_barrier_signal -1
	s_barrier_wait -1
	s_and_saveexec_b32 s10, s91
	s_cbranch_execz .LBB126_947
; %bb.946:                              ;   in Loop: Header=BB126_3 Depth=1
	ds_load_b64 v[42:43], v1 offset:2080
	s_wait_dscnt 0x0
	v_mul_f64_e32 v[40:41], v[40:41], v[42:43]
	s_delay_alu instid0(VALU_DEP_1) | instskip(NEXT) | instid1(VALU_DEP_2)
	v_xor_b32_e32 v43, 0x80000000, v41
	v_mov_b32_e32 v42, v40
	ds_store_b64 v3, v[42:43]
.LBB126_947:                            ;   in Loop: Header=BB126_3 Depth=1
	s_or_b32 exec_lo, exec_lo, s10
	s_wait_dscnt 0x0
	s_barrier_signal -1
	s_barrier_wait -1
	s_barrier_signal -1
	s_barrier_wait -1
	s_and_saveexec_b32 s10, s1
; %bb.948:                              ;   in Loop: Header=BB126_3 Depth=1
	ds_store_b64 v49, v[40:41] offset:3616
; %bb.949:                              ;   in Loop: Header=BB126_3 Depth=1
	s_or_b32 exec_lo, exec_lo, s10
	s_wait_dscnt 0x0
	s_barrier_signal -1
	s_barrier_wait -1
	s_barrier_signal -1
	s_barrier_wait -1
	s_and_saveexec_b32 s10, s92
	s_cbranch_execz .LBB126_951
; %bb.950:                              ;   in Loop: Header=BB126_3 Depth=1
	ds_load_b64 v[40:41], v76 offset:3104
	s_wait_dscnt 0x0
	ds_store_b64 v75, v[40:41] offset:2096
	ds_load_b64 v[40:41], v76 offset:3112
	s_wait_dscnt 0x0
	ds_store_b64 v75, v[40:41] offset:2608
.LBB126_951:                            ;   in Loop: Header=BB126_3 Depth=1
	s_or_b32 exec_lo, exec_lo, s10
	s_wait_dscnt 0x0
	s_barrier_signal -1
	s_barrier_wait -1
	s_and_saveexec_b32 s10, s14
	s_cbranch_execz .LBB126_953
; %bb.952:                              ;   in Loop: Header=BB126_3 Depth=1
	ds_load_b128 v[40:43], v1 offset:2592
	ds_load_b64 v[94:95], v1 offset:2080
	v_add_nc_u32_e64 v0, 0x800, 0
	s_wait_dscnt 0x0
	v_mul_f64_e32 v[42:43], v[94:95], v[42:43]
	s_delay_alu instid0(VALU_DEP_1)
	v_mul_f64_e32 v[40:41], v[40:41], v[42:43]
	ds_store_2addr_b64 v0, v[40:41], v[40:41] offset0:5 offset1:68
.LBB126_953:                            ;   in Loop: Header=BB126_3 Depth=1
	s_or_b32 exec_lo, exec_lo, s10
	v_mov_b64_e32 v[40:41], 0
	s_wait_dscnt 0x0
	s_barrier_signal -1
	s_barrier_wait -1
	global_wb scope:SCOPE_DEV
	s_wait_storecnt 0x0
	global_inv scope:SCOPE_DEV
	s_and_saveexec_b32 s10, s3
	s_cbranch_execz .LBB126_959
; %bb.954:                              ;   in Loop: Header=BB126_3 Depth=1
	ds_load_b64 v[40:41], v53 offset:2048
	ds_load_b64 v[42:43], v52 offset:3616
	s_wait_dscnt 0x0
	v_fma_f64 v[40:41], v[40:41], v[42:43], 0
	s_and_saveexec_b32 s11, s16
	s_cbranch_execnz .LBB126_1147
; %bb.955:                              ;   in Loop: Header=BB126_3 Depth=1
	s_or_b32 exec_lo, exec_lo, s11
	s_and_saveexec_b32 s11, s17
	s_cbranch_execnz .LBB126_1148
.LBB126_956:                            ;   in Loop: Header=BB126_3 Depth=1
	s_or_b32 exec_lo, exec_lo, s11
	s_and_saveexec_b32 s11, s1
	s_cbranch_execz .LBB126_958
.LBB126_957:                            ;   in Loop: Header=BB126_3 Depth=1
	ds_load_b64 v[42:43], v78 offset:3584
	ds_load_b64 v[94:95], v1 offset:3640
	s_wait_dscnt 0x0
	v_fmac_f64_e32 v[40:41], v[42:43], v[94:95]
.LBB126_958:                            ;   in Loop: Header=BB126_3 Depth=1
	s_or_b32 exec_lo, exec_lo, s11
.LBB126_959:                            ;   in Loop: Header=BB126_3 Depth=1
	s_delay_alu instid0(SALU_CYCLE_1)
	s_or_b32 exec_lo, exec_lo, s10
	s_and_saveexec_b32 s10, s93
	s_cbranch_execz .LBB126_961
; %bb.960:                              ;   in Loop: Header=BB126_3 Depth=1
	ds_load_b64 v[42:43], v1 offset:1560
	s_wait_dscnt 0x0
	v_mul_f64_e32 v[40:41], v[40:41], v[42:43]
	s_delay_alu instid0(VALU_DEP_1) | instskip(NEXT) | instid1(VALU_DEP_2)
	v_xor_b32_e32 v43, 0x80000000, v41
	v_mov_b32_e32 v42, v40
	ds_store_b64 v51, v[42:43]
.LBB126_961:                            ;   in Loop: Header=BB126_3 Depth=1
	s_or_b32 exec_lo, exec_lo, s10
	s_wait_loadcnt_dscnt 0x0
	s_barrier_signal -1
	s_barrier_wait -1
	s_and_saveexec_b32 s10, s94
	s_cbranch_execz .LBB126_963
; %bb.962:                              ;   in Loop: Header=BB126_3 Depth=1
	ds_load_b64 v[42:43], v53 offset:1536
	ds_load_b64 v[94:95], v51
	s_wait_dscnt 0x0
	v_fma_f64 v[40:41], -v[42:43], v[94:95], v[40:41]
.LBB126_963:                            ;   in Loop: Header=BB126_3 Depth=1
	s_or_b32 exec_lo, exec_lo, s10
	s_barrier_signal -1
	s_barrier_wait -1
	s_and_saveexec_b32 s10, s95
	s_cbranch_execz .LBB126_965
; %bb.964:                              ;   in Loop: Header=BB126_3 Depth=1
	ds_load_b64 v[42:43], v1 offset:1040
	s_wait_dscnt 0x0
	v_mul_f64_e32 v[40:41], v[40:41], v[42:43]
	s_delay_alu instid0(VALU_DEP_1) | instskip(NEXT) | instid1(VALU_DEP_2)
	v_xor_b32_e32 v43, 0x80000000, v41
	v_mov_b32_e32 v42, v40
	ds_store_b64 v51, v[42:43]
.LBB126_965:                            ;   in Loop: Header=BB126_3 Depth=1
	s_or_b32 exec_lo, exec_lo, s10
	s_wait_dscnt 0x0
	s_barrier_signal -1
	s_barrier_wait -1
	s_and_saveexec_b32 s10, s96
	s_cbranch_execz .LBB126_967
; %bb.966:                              ;   in Loop: Header=BB126_3 Depth=1
	ds_load_b64 v[42:43], v53 offset:1024
	ds_load_b64 v[94:95], v51
	s_wait_dscnt 0x0
	v_fma_f64 v[40:41], -v[42:43], v[94:95], v[40:41]
.LBB126_967:                            ;   in Loop: Header=BB126_3 Depth=1
	s_or_b32 exec_lo, exec_lo, s10
	s_barrier_signal -1
	s_barrier_wait -1
	s_and_saveexec_b32 s10, s97
	s_cbranch_execz .LBB126_969
; %bb.968:                              ;   in Loop: Header=BB126_3 Depth=1
	ds_load_b64 v[42:43], v1 offset:520
	s_wait_dscnt 0x0
	v_mul_f64_e32 v[40:41], v[40:41], v[42:43]
	s_delay_alu instid0(VALU_DEP_1) | instskip(NEXT) | instid1(VALU_DEP_2)
	v_xor_b32_e32 v43, 0x80000000, v41
	v_mov_b32_e32 v42, v40
	ds_store_b64 v51, v[42:43]
.LBB126_969:                            ;   in Loop: Header=BB126_3 Depth=1
	s_or_b32 exec_lo, exec_lo, s10
	s_wait_dscnt 0x0
	s_barrier_signal -1
	s_barrier_wait -1
	s_and_saveexec_b32 s10, s98
	s_cbranch_execz .LBB126_971
; %bb.970:                              ;   in Loop: Header=BB126_3 Depth=1
	ds_load_b64 v[42:43], v1 offset:512
	ds_load_b64 v[94:95], v51
	s_wait_dscnt 0x0
	v_fma_f64 v[40:41], -v[42:43], v[94:95], v[40:41]
.LBB126_971:                            ;   in Loop: Header=BB126_3 Depth=1
	s_or_b32 exec_lo, exec_lo, s10
	s_barrier_signal -1
	s_barrier_wait -1
	s_and_saveexec_b32 s10, s98
	s_cbranch_execz .LBB126_973
; %bb.972:                              ;   in Loop: Header=BB126_3 Depth=1
	ds_load_b64 v[42:43], v1
	s_wait_dscnt 0x0
	v_mul_f64_e32 v[40:41], v[40:41], v[42:43]
	s_delay_alu instid0(VALU_DEP_1) | instskip(NEXT) | instid1(VALU_DEP_2)
	v_xor_b32_e32 v43, 0x80000000, v41
	v_mov_b32_e32 v42, v40
	ds_store_b64 v51, v[42:43]
.LBB126_973:                            ;   in Loop: Header=BB126_3 Depth=1
	s_or_b32 exec_lo, exec_lo, s10
	s_wait_dscnt 0x0
	s_barrier_signal -1
	s_barrier_wait -1
	s_barrier_signal -1
	s_barrier_wait -1
	s_and_saveexec_b32 s10, s3
; %bb.974:                              ;   in Loop: Header=BB126_3 Depth=1
	ds_store_b64 v55, v[40:41] offset:3584
; %bb.975:                              ;   in Loop: Header=BB126_3 Depth=1
	s_or_b32 exec_lo, exec_lo, s10
	s_wait_dscnt 0x0
	s_barrier_signal -1
	s_barrier_wait -1
	s_barrier_signal -1
	s_barrier_wait -1
	s_and_saveexec_b32 s10, s99
	s_cbranch_execz .LBB126_977
; %bb.976:                              ;   in Loop: Header=BB126_3 Depth=1
	ds_load_b64 v[40:41], v80 offset:2048
	s_wait_dscnt 0x0
	ds_store_b64 v83, v[40:41] offset:32
	ds_load_b64 v[40:41], v80 offset:2056
	s_wait_dscnt 0x0
	ds_store_b64 v83, v[40:41] offset:544
	;; [unrolled: 3-line block ×4, first 2 shown]
.LBB126_977:                            ;   in Loop: Header=BB126_3 Depth=1
	s_or_b32 exec_lo, exec_lo, s10
	s_wait_dscnt 0x0
	s_barrier_signal -1
	s_barrier_wait -1
	s_and_saveexec_b32 s10, s14
	s_cbranch_execz .LBB126_979
; %bb.978:                              ;   in Loop: Header=BB126_3 Depth=1
	ds_load_b128 v[40:43], v1 offset:1552
	ds_load_b64 v[94:95], v1 offset:1040
	s_wait_dscnt 0x0
	v_mul_f64_e32 v[42:43], v[94:95], v[42:43]
	s_delay_alu instid0(VALU_DEP_1)
	v_mul_f64_e32 v[40:41], v[40:41], v[42:43]
	ds_store_2addr_b64 v1, v[40:41], v[40:41] offset0:131 offset1:194
.LBB126_979:                            ;   in Loop: Header=BB126_3 Depth=1
	s_or_b32 exec_lo, exec_lo, s10
	v_mov_b64_e32 v[40:41], 0
	s_wait_dscnt 0x0
	s_barrier_signal -1
	s_barrier_wait -1
	global_wb scope:SCOPE_DEV
	s_wait_storecnt 0x0
	global_inv scope:SCOPE_DEV
	s_and_saveexec_b32 s10, s1
	s_cbranch_execz .LBB126_983
; %bb.980:                              ;   in Loop: Header=BB126_3 Depth=1
	ds_load_b64 v[40:41], v47 offset:1024
	ds_load_b64 v[42:43], v46 offset:1552
	s_wait_dscnt 0x0
	v_fma_f64 v[40:41], v[40:41], v[42:43], 0
	s_and_saveexec_b32 s11, s15
	s_cbranch_execz .LBB126_982
; %bb.981:                              ;   in Loop: Header=BB126_3 Depth=1
	ds_load_b64 v[42:43], v83 offset:1536
	ds_load_b64 v[94:95], v1 offset:1560
	s_wait_dscnt 0x0
	v_fmac_f64_e32 v[40:41], v[42:43], v[94:95]
.LBB126_982:                            ;   in Loop: Header=BB126_3 Depth=1
	s_or_b32 exec_lo, exec_lo, s11
.LBB126_983:                            ;   in Loop: Header=BB126_3 Depth=1
	s_delay_alu instid0(SALU_CYCLE_1)
	s_or_b32 exec_lo, exec_lo, s10
	s_and_saveexec_b32 s10, s90
	s_cbranch_execz .LBB126_985
; %bb.984:                              ;   in Loop: Header=BB126_3 Depth=1
	ds_load_b64 v[42:43], v1 offset:520
	s_wait_dscnt 0x0
	v_mul_f64_e32 v[40:41], v[40:41], v[42:43]
	s_delay_alu instid0(VALU_DEP_1) | instskip(NEXT) | instid1(VALU_DEP_2)
	v_xor_b32_e32 v43, 0x80000000, v41
	v_mov_b32_e32 v42, v40
	ds_store_b64 v3, v[42:43]
.LBB126_985:                            ;   in Loop: Header=BB126_3 Depth=1
	s_or_b32 exec_lo, exec_lo, s10
	s_wait_loadcnt_dscnt 0x0
	s_barrier_signal -1
	s_barrier_wait -1
	s_and_saveexec_b32 s10, s91
	s_cbranch_execz .LBB126_987
; %bb.986:                              ;   in Loop: Header=BB126_3 Depth=1
	ds_load_b64 v[42:43], v1 offset:512
	ds_load_b64 v[94:95], v3
	s_wait_dscnt 0x0
	v_fma_f64 v[40:41], -v[42:43], v[94:95], v[40:41]
.LBB126_987:                            ;   in Loop: Header=BB126_3 Depth=1
	s_or_b32 exec_lo, exec_lo, s10
	s_barrier_signal -1
	s_barrier_wait -1
	s_and_saveexec_b32 s10, s91
	s_cbranch_execz .LBB126_989
; %bb.988:                              ;   in Loop: Header=BB126_3 Depth=1
	ds_load_b64 v[42:43], v1
	s_wait_dscnt 0x0
	v_mul_f64_e32 v[40:41], v[40:41], v[42:43]
	s_delay_alu instid0(VALU_DEP_1) | instskip(NEXT) | instid1(VALU_DEP_2)
	v_xor_b32_e32 v43, 0x80000000, v41
	v_mov_b32_e32 v42, v40
	ds_store_b64 v3, v[42:43]
.LBB126_989:                            ;   in Loop: Header=BB126_3 Depth=1
	s_or_b32 exec_lo, exec_lo, s10
	s_wait_dscnt 0x0
	s_barrier_signal -1
	s_barrier_wait -1
	s_barrier_signal -1
	s_barrier_wait -1
	s_and_saveexec_b32 s10, s1
; %bb.990:                              ;   in Loop: Header=BB126_3 Depth=1
	ds_store_b64 v49, v[40:41] offset:1536
; %bb.991:                              ;   in Loop: Header=BB126_3 Depth=1
	s_or_b32 exec_lo, exec_lo, s10
	s_wait_dscnt 0x0
	s_barrier_signal -1
	s_barrier_wait -1
	s_barrier_signal -1
	s_barrier_wait -1
	s_and_saveexec_b32 s10, s92
	s_cbranch_execz .LBB126_993
; %bb.992:                              ;   in Loop: Header=BB126_3 Depth=1
	ds_load_b64 v[40:41], v85 offset:1024
	s_wait_dscnt 0x0
	ds_store_b64 v83, v[40:41] offset:16
	ds_load_b64 v[40:41], v85 offset:1032
	s_wait_dscnt 0x0
	ds_store_b64 v83, v[40:41] offset:528
.LBB126_993:                            ;   in Loop: Header=BB126_3 Depth=1
	s_or_b32 exec_lo, exec_lo, s10
	s_wait_dscnt 0x0
	s_barrier_signal -1
	s_barrier_wait -1
	s_and_saveexec_b32 s10, s14
	s_cbranch_execz .LBB126_995
; %bb.994:                              ;   in Loop: Header=BB126_3 Depth=1
	ds_load_b128 v[40:43], v1 offset:512
	ds_load_b64 v[94:95], v1
	s_wait_dscnt 0x0
	v_mul_f64_e32 v[42:43], v[94:95], v[42:43]
	s_delay_alu instid0(VALU_DEP_1)
	v_mul_f64_e32 v[40:41], v[40:41], v[42:43]
	ds_store_2addr_b64 v1, v[40:41], v[40:41] offset0:1 offset1:64
.LBB126_995:                            ;   in Loop: Header=BB126_3 Depth=1
	s_or_b32 exec_lo, exec_lo, s10
.LBB126_996:                            ;   in Loop: Header=BB126_3 Depth=1
	v_add_nc_u64_e32 v[38:39], s[72:73], v[38:39]
	v_mov_b64_e32 v[40:41], 0
	s_wait_dscnt 0x0
	s_barrier_signal -1
	s_barrier_wait -1
	s_wait_xcnt 0x0
	s_and_saveexec_b32 s10, s46
	s_cbranch_execz .LBB126_998
; %bb.997:                              ;   in Loop: Header=BB126_3 Depth=1
	v_lshl_add_u64 v[40:41], v[10:11], 3, v[38:39]
	flat_load_b64 v[40:41], v[40:41]
	s_wait_loadcnt_dscnt 0x0
	v_mul_f64_e64 v[40:41], v[40:41], -v[36:37]
.LBB126_998:                            ;   in Loop: Header=BB126_3 Depth=1
	s_or_b32 exec_lo, exec_lo, s10
	s_delay_alu instid0(SALU_CYCLE_1)
	s_and_not1_b32 vcc_lo, exec_lo, s47
	s_cbranch_vccnz .LBB126_1024
; %bb.999:                              ;   in Loop: Header=BB126_3 Depth=1
	v_mov_b32_e32 v94, -1
	s_lshl_b64 s[10:11], s[66:67], 2
	s_delay_alu instid0(SALU_CYCLE_1)
	s_add_nc_u64 s[82:83], s[80:81], s[10:11]
	s_mov_b32 s10, 0
	s_branch .LBB126_1002
.LBB126_1000:                           ;   in Loop: Header=BB126_1002 Depth=2
	s_wait_xcnt 0x0
	ds_load_b64 v[36:37], v86 offset:384
	s_wait_loadcnt_dscnt 0x0
	v_fmac_f64_e32 v[40:41], v[42:43], v[36:37]
.LBB126_1001:                           ;   in Loop: Header=BB126_1002 Depth=2
	s_or_b32 exec_lo, exec_lo, s11
	s_add_co_i32 s10, s10, 1
	s_delay_alu instid0(SALU_CYCLE_1)
	s_cmp_eq_u32 s10, s86
	s_cbranch_scc1 .LBB126_1024
.LBB126_1002:                           ;   Parent Loop BB126_3 Depth=1
                                        ; =>  This Loop Header: Depth=2
                                        ;       Child Loop BB126_1004 Depth 3
	v_cmp_gt_i32_e32 vcc_lo, s10, v94
	s_and_b32 s12, s59, vcc_lo
	s_delay_alu instid0(SALU_CYCLE_1)
	s_and_saveexec_b32 s11, s12
	s_cbranch_execz .LBB126_1005
; %bb.1003:                             ;   in Loop: Header=BB126_1002 Depth=2
	global_load_b32 v94, v1, s[82:83]
	s_wait_loadcnt 0x0
	v_cmp_le_i32_e32 vcc_lo, s10, v94
	s_cbranch_vccnz .LBB126_1005
.LBB126_1004:                           ;   Parent Loop BB126_3 Depth=1
                                        ;     Parent Loop BB126_1002 Depth=2
                                        ; =>    This Inner Loop Header: Depth=3
	global_wb scope:SCOPE_DEV
	s_wait_storecnt 0x0
	global_inv scope:SCOPE_DEV
	global_load_b32 v94, v1, s[82:83]
	s_wait_loadcnt 0x0
	v_cmp_gt_i32_e32 vcc_lo, s10, v94
	s_cbranch_vccnz .LBB126_1004
.LBB126_1005:                           ;   in Loop: Header=BB126_1002 Depth=2
	s_or_b32 exec_lo, exec_lo, s11
	s_lshl_b32 s65, s10, 6
	global_wb scope:SCOPE_DEV
	s_wait_storecnt 0x0
	global_inv scope:SCOPE_DEV
	s_wait_loadcnt 0x0
	s_barrier_signal -1
	s_barrier_wait -1
	s_and_saveexec_b32 s11, s60
	s_cbranch_execz .LBB126_1009
; %bb.1006:                             ;   in Loop: Header=BB126_1002 Depth=2
	v_mov_b64_e32 v[36:37], 0
	v_or_b32_e32 v0, s65, v4
	s_mov_b32 s12, exec_lo
	s_delay_alu instid0(VALU_DEP_1)
	v_cmpx_gt_i32_e64 s85, v0
	s_cbranch_execz .LBB126_1008
; %bb.1007:                             ;   in Loop: Header=BB126_1002 Depth=2
	v_mul_u64_e32 v[36:37], s[74:75], v[0:1]
	s_delay_alu instid0(VALU_DEP_1)
	v_lshl_add_u64 v[36:37], v[36:37], 3, v[38:39]
	flat_load_b64 v[36:37], v[36:37]
.LBB126_1008:                           ;   in Loop: Header=BB126_1002 Depth=2
	s_wait_xcnt 0x0
	s_or_b32 exec_lo, exec_lo, s12
	s_wait_loadcnt_dscnt 0x0
	ds_store_b64 v89, v[36:37]
.LBB126_1009:                           ;   in Loop: Header=BB126_1002 Depth=2
	s_or_b32 exec_lo, exec_lo, s11
	v_add_nc_u32_e32 v0, s65, v44
	v_cmp_ne_u32_e32 vcc_lo, s10, v45
	s_wait_dscnt 0x0
	s_barrier_signal -1
	s_barrier_wait -1
	v_cmp_gt_i32_e64 s65, s85, v0
	v_lshl_add_u64 v[36:37], v[0:1], 3, v[34:35]
	v_cndmask_b32_e64 v95, 0, 1, vcc_lo
	s_and_b32 s12, s65, s0
	s_delay_alu instid0(SALU_CYCLE_1)
	s_and_saveexec_b32 s11, s12
	s_cbranch_execz .LBB126_1013
; %bb.1010:                             ;   in Loop: Header=BB126_1002 Depth=2
	v_mov_b64_e32 v[42:43], v[26:27]
	s_and_not1_b32 vcc_lo, exec_lo, vcc_lo
	s_cbranch_vccnz .LBB126_1012
; %bb.1011:                             ;   in Loop: Header=BB126_1002 Depth=2
	flat_load_b64 v[42:43], v[36:37]
.LBB126_1012:                           ;   in Loop: Header=BB126_1002 Depth=2
	ds_load_b64 v[96:97], v86
	s_wait_loadcnt_dscnt 0x0
	v_fmac_f64_e32 v[40:41], v[42:43], v[96:97]
.LBB126_1013:                           ;   in Loop: Header=BB126_1002 Depth=2
	s_or_b32 exec_lo, exec_lo, s11
	v_add_nc_u32_e32 v42, 16, v0
	s_delay_alu instid0(VALU_DEP_1) | instskip(SKIP_1) | instid1(SALU_CYCLE_1)
	v_cmp_gt_i32_e32 vcc_lo, s85, v42
	s_and_b32 s12, vcc_lo, s0
	s_and_saveexec_b32 s11, s12
	s_cbranch_execz .LBB126_1017
; %bb.1014:                             ;   in Loop: Header=BB126_1002 Depth=2
	v_cmp_ne_u32_e32 vcc_lo, 1, v95
	v_mov_b64_e32 v[42:43], v[28:29]
	s_cbranch_vccnz .LBB126_1016
; %bb.1015:                             ;   in Loop: Header=BB126_1002 Depth=2
	flat_load_b64 v[42:43], v[36:37] offset:128
.LBB126_1016:                           ;   in Loop: Header=BB126_1002 Depth=2
	ds_load_b64 v[96:97], v86 offset:128
	s_wait_loadcnt_dscnt 0x0
	v_fmac_f64_e32 v[40:41], v[42:43], v[96:97]
.LBB126_1017:                           ;   in Loop: Header=BB126_1002 Depth=2
	s_or_b32 exec_lo, exec_lo, s11
	v_add_nc_u32_e32 v42, 32, v0
	s_delay_alu instid0(VALU_DEP_1) | instskip(SKIP_1) | instid1(SALU_CYCLE_1)
	v_cmp_gt_i32_e32 vcc_lo, s85, v42
	s_and_b32 s12, vcc_lo, s0
	s_and_saveexec_b32 s11, s12
	s_cbranch_execz .LBB126_1021
; %bb.1018:                             ;   in Loop: Header=BB126_1002 Depth=2
	v_cmp_ne_u32_e32 vcc_lo, 1, v95
	v_mov_b64_e32 v[42:43], v[30:31]
	s_cbranch_vccnz .LBB126_1020
; %bb.1019:                             ;   in Loop: Header=BB126_1002 Depth=2
	flat_load_b64 v[42:43], v[36:37] offset:256
.LBB126_1020:                           ;   in Loop: Header=BB126_1002 Depth=2
	ds_load_b64 v[96:97], v86 offset:256
	s_wait_loadcnt_dscnt 0x0
	v_fmac_f64_e32 v[40:41], v[42:43], v[96:97]
.LBB126_1021:                           ;   in Loop: Header=BB126_1002 Depth=2
	s_or_b32 exec_lo, exec_lo, s11
	v_add_nc_u32_e32 v0, 48, v0
	s_delay_alu instid0(VALU_DEP_1) | instskip(SKIP_1) | instid1(SALU_CYCLE_1)
	v_cmp_gt_i32_e32 vcc_lo, s85, v0
	s_and_b32 s12, vcc_lo, s0
	s_and_saveexec_b32 s11, s12
	s_cbranch_execz .LBB126_1001
; %bb.1022:                             ;   in Loop: Header=BB126_1002 Depth=2
	v_cmp_ne_u32_e32 vcc_lo, 1, v95
	v_mov_b64_e32 v[42:43], v[32:33]
	s_cbranch_vccnz .LBB126_1000
; %bb.1023:                             ;   in Loop: Header=BB126_1002 Depth=2
	flat_load_b64 v[42:43], v[36:37] offset:384
	s_branch .LBB126_1000
.LBB126_1024:                           ;   in Loop: Header=BB126_3 Depth=1
	ds_store_b64 v90, v[40:41]
	s_wait_dscnt 0x0
	s_barrier_signal -1
	s_barrier_wait -1
	s_and_saveexec_b32 s10, s2
	s_cbranch_execz .LBB126_1026
; %bb.1025:                             ;   in Loop: Header=BB126_3 Depth=1
	ds_load_2addr_stride64_b64 v[34:37], v91 offset0:1 offset1:2
	ds_load_2addr_stride64_b64 v[94:97], v91 offset0:3 offset1:4
	s_wait_dscnt 0x1
	v_add_f64_e32 v[34:35], v[40:41], v[34:35]
	s_delay_alu instid0(VALU_DEP_1) | instskip(SKIP_1) | instid1(VALU_DEP_1)
	v_add_f64_e32 v[34:35], v[34:35], v[36:37]
	s_wait_dscnt 0x0
	v_add_f64_e32 v[34:35], v[34:35], v[94:95]
	s_delay_alu instid0(VALU_DEP_1) | instskip(SKIP_4) | instid1(VALU_DEP_1)
	v_add_f64_e32 v[94:95], v[34:35], v[96:97]
	ds_load_2addr_stride64_b64 v[34:37], v91 offset0:5 offset1:6
	ds_load_2addr_stride64_b64 v[40:43], v91 offset0:7 offset1:8
	s_wait_dscnt 0x1
	v_add_f64_e32 v[34:35], v[94:95], v[34:35]
	v_add_f64_e32 v[34:35], v[34:35], v[36:37]
	s_wait_dscnt 0x0
	s_delay_alu instid0(VALU_DEP_1) | instskip(NEXT) | instid1(VALU_DEP_1)
	v_add_f64_e32 v[34:35], v[34:35], v[40:41]
	v_add_f64_e32 v[94:95], v[34:35], v[42:43]
	ds_load_2addr_stride64_b64 v[34:37], v91 offset0:9 offset1:10
	ds_load_2addr_stride64_b64 v[40:43], v91 offset0:11 offset1:12
	s_wait_dscnt 0x1
	v_add_f64_e32 v[34:35], v[94:95], v[34:35]
	s_delay_alu instid0(VALU_DEP_1) | instskip(SKIP_1) | instid1(VALU_DEP_1)
	v_add_f64_e32 v[34:35], v[34:35], v[36:37]
	s_wait_dscnt 0x0
	v_add_f64_e32 v[34:35], v[34:35], v[40:41]
	s_delay_alu instid0(VALU_DEP_1) | instskip(SKIP_4) | instid1(VALU_DEP_1)
	v_add_f64_e32 v[40:41], v[34:35], v[42:43]
	ds_load_2addr_stride64_b64 v[34:37], v91 offset0:13 offset1:14
	ds_load_b64 v[42:43], v91 offset:7680
	s_wait_dscnt 0x1
	v_add_f64_e32 v[34:35], v[40:41], v[34:35]
	v_add_f64_e32 v[34:35], v[34:35], v[36:37]
	s_wait_dscnt 0x0
	s_delay_alu instid0(VALU_DEP_1) | instskip(NEXT) | instid1(VALU_DEP_1)
	v_add_f64_e32 v[34:35], v[34:35], v[42:43]
	v_xor_b32_e32 v0, 0x80000000, v35
	s_delay_alu instid0(VALU_DEP_2) | instskip(NEXT) | instid1(VALU_DEP_2)
	v_cndmask_b32_e64 v40, v34, 0, s45
	v_cndmask_b32_e64 v41, v0, 0, s45
.LBB126_1026:                           ;   in Loop: Header=BB126_3 Depth=1
	s_or_b32 exec_lo, exec_lo, s10
	s_delay_alu instid0(SALU_CYCLE_1)
	s_and_not1_b32 vcc_lo, exec_lo, s89
	s_cbranch_vccnz .LBB126_1036
; %bb.1027:                             ;   in Loop: Header=BB126_3 Depth=1
	s_and_saveexec_b32 s10, s2
; %bb.1028:                             ;   in Loop: Header=BB126_3 Depth=1
	ds_store_b64 v93, v[40:41]
; %bb.1029:                             ;   in Loop: Header=BB126_3 Depth=1
	s_or_b32 exec_lo, exec_lo, s10
	v_mov_b64_e32 v[34:35], 0
	s_wait_dscnt 0x0
	s_barrier_signal -1
	s_barrier_wait -1
	s_and_saveexec_b32 s10, s6
	s_cbranch_execnz .LBB126_1091
; %bb.1030:                             ;   in Loop: Header=BB126_3 Depth=1
	s_or_b32 exec_lo, exec_lo, s10
	s_and_saveexec_b32 s10, s7
	s_cbranch_execnz .LBB126_1092
.LBB126_1031:                           ;   in Loop: Header=BB126_3 Depth=1
	s_or_b32 exec_lo, exec_lo, s10
	s_and_saveexec_b32 s10, s8
	s_cbranch_execnz .LBB126_1093
.LBB126_1032:                           ;   in Loop: Header=BB126_3 Depth=1
	s_or_b32 exec_lo, exec_lo, s10
	s_and_saveexec_b32 s10, s9
	s_cbranch_execz .LBB126_1034
.LBB126_1033:                           ;   in Loop: Header=BB126_3 Depth=1
	ds_load_b64 v[36:37], v92 offset:24576
	ds_load_b64 v[42:43], v86 offset:384
	s_wait_dscnt 0x0
	v_fmac_f64_e32 v[34:35], v[36:37], v[42:43]
.LBB126_1034:                           ;   in Loop: Header=BB126_3 Depth=1
	s_or_b32 exec_lo, exec_lo, s10
	s_mov_b32 s10, 0
	s_mov_b32 s65, 0
	ds_store_b64 v90, v[34:35]
	s_wait_dscnt 0x0
	s_barrier_signal -1
	s_barrier_wait -1
                                        ; implicit-def: $vgpr36_vgpr37
	s_and_saveexec_b32 s82, s2
	s_cbranch_execz .LBB126_1094
; %bb.1035:                             ;   in Loop: Header=BB126_3 Depth=1
	ds_load_2addr_stride64_b64 v[94:97], v91 offset0:1 offset1:2
	ds_load_2addr_stride64_b64 v[98:101], v91 offset0:3 offset1:4
	s_mov_b32 s65, exec_lo
	s_wait_dscnt 0x1
	v_add_f64_e32 v[34:35], v[34:35], v[94:95]
	s_delay_alu instid0(VALU_DEP_1) | instskip(SKIP_1) | instid1(VALU_DEP_1)
	v_add_f64_e32 v[34:35], v[96:97], v[34:35]
	s_wait_dscnt 0x0
	v_add_f64_e32 v[34:35], v[98:99], v[34:35]
	s_delay_alu instid0(VALU_DEP_1) | instskip(SKIP_4) | instid1(VALU_DEP_1)
	v_add_f64_e32 v[42:43], v[100:101], v[34:35]
	ds_load_2addr_stride64_b64 v[34:37], v91 offset0:5 offset1:6
	ds_load_2addr_stride64_b64 v[94:97], v91 offset0:7 offset1:8
	s_wait_dscnt 0x1
	v_add_f64_e32 v[34:35], v[34:35], v[42:43]
	v_add_f64_e32 v[34:35], v[36:37], v[34:35]
	s_wait_dscnt 0x0
	s_delay_alu instid0(VALU_DEP_1) | instskip(NEXT) | instid1(VALU_DEP_1)
	v_add_f64_e32 v[34:35], v[94:95], v[34:35]
	v_add_f64_e32 v[42:43], v[96:97], v[34:35]
	ds_load_2addr_stride64_b64 v[34:37], v91 offset0:9 offset1:10
	ds_load_2addr_stride64_b64 v[94:97], v91 offset0:11 offset1:12
	s_wait_dscnt 0x1
	v_add_f64_e32 v[34:35], v[34:35], v[42:43]
	s_delay_alu instid0(VALU_DEP_1) | instskip(SKIP_1) | instid1(VALU_DEP_1)
	v_add_f64_e32 v[34:35], v[36:37], v[34:35]
	s_wait_dscnt 0x0
	v_add_f64_e32 v[34:35], v[94:95], v[34:35]
	s_delay_alu instid0(VALU_DEP_1) | instskip(SKIP_4) | instid1(VALU_DEP_1)
	v_add_f64_e32 v[42:43], v[96:97], v[34:35]
	ds_load_2addr_stride64_b64 v[34:37], v91 offset0:13 offset1:14
	ds_load_b64 v[94:95], v91 offset:7680
	s_wait_dscnt 0x1
	v_add_f64_e32 v[34:35], v[34:35], v[42:43]
	v_add_f64_e32 v[34:35], v[36:37], v[34:35]
	s_wait_dscnt 0x0
	s_delay_alu instid0(VALU_DEP_1) | instskip(SKIP_1) | instid1(SALU_CYCLE_1)
	v_add_f64_e32 v[36:37], v[94:95], v[34:35]
	s_or_b32 exec_lo, exec_lo, s82
	s_and_b32 vcc_lo, exec_lo, s10
	s_cbranch_vccnz .LBB126_1037
	s_branch .LBB126_1095
.LBB126_1036:                           ;   in Loop: Header=BB126_3 Depth=1
	s_mov_b32 s65, 0
                                        ; implicit-def: $vgpr36_vgpr37
	s_cbranch_execz .LBB126_1095
.LBB126_1037:                           ;   in Loop: Header=BB126_3 Depth=1
	v_dual_mov_b32 v0, v2 :: v_dual_mov_b32 v34, v73
	s_mov_b32 s10, 0
	s_branch .LBB126_1039
.LBB126_1038:                           ;   in Loop: Header=BB126_1039 Depth=2
	s_or_b32 exec_lo, exec_lo, s11
	v_add_nc_u32_e32 v34, 0x800, v34
	v_add_nc_u32_e32 v0, -4, v0
	s_add_co_i32 s10, s10, 4
	s_delay_alu instid0(SALU_CYCLE_1)
	s_cmp_lg_u32 s10, 64
	s_barrier_signal -1
	s_barrier_wait -1
	s_cbranch_scc0 .LBB126_1055
.LBB126_1039:                           ;   Parent Loop BB126_3 Depth=1
                                        ; =>  This Inner Loop Header: Depth=2
	s_delay_alu instid0(VALU_DEP_1) | instskip(SKIP_2) | instid1(SALU_CYCLE_1)
	v_cmp_eq_u32_e32 vcc_lo, 0, v0
	v_add_nc_u32_e32 v35, v85, v48
	s_and_b32 s12, s2, vcc_lo
	s_and_saveexec_b32 s11, s12
	s_cbranch_execz .LBB126_1041
; %bb.1040:                             ;   in Loop: Header=BB126_1039 Depth=2
	ds_load_b64 v[36:37], v35
	s_wait_dscnt 0x0
	v_mul_f64_e32 v[40:41], v[40:41], v[36:37]
	ds_store_b64 v1, v[40:41] offset:41472
.LBB126_1041:                           ;   in Loop: Header=BB126_1039 Depth=2
	s_or_b32 exec_lo, exec_lo, s11
	v_cmp_lt_u32_e32 vcc_lo, s10, v2
	s_wait_dscnt 0x0
	s_barrier_signal -1
	s_barrier_wait -1
	s_and_b32 s12, s2, vcc_lo
	s_delay_alu instid0(SALU_CYCLE_1)
	s_and_saveexec_b32 s11, s12
	s_cbranch_execz .LBB126_1043
; %bb.1042:                             ;   in Loop: Header=BB126_1039 Depth=2
	ds_load_b64 v[36:37], v34
	ds_load_b64 v[42:43], v1 offset:41472
	s_wait_dscnt 0x0
	v_fmac_f64_e32 v[40:41], v[36:37], v[42:43]
.LBB126_1043:                           ;   in Loop: Header=BB126_1039 Depth=2
	s_or_b32 exec_lo, exec_lo, s11
	s_or_b32 s11, s10, 1
	s_delay_alu instid0(SALU_CYCLE_1) | instskip(SKIP_3) | instid1(SALU_CYCLE_1)
	v_cmp_eq_u32_e32 vcc_lo, s11, v2
	s_barrier_signal -1
	s_barrier_wait -1
	s_and_b32 s82, s2, vcc_lo
	s_and_saveexec_b32 s12, s82
	s_cbranch_execz .LBB126_1045
; %bb.1044:                             ;   in Loop: Header=BB126_1039 Depth=2
	ds_load_b64 v[36:37], v35
	s_wait_dscnt 0x0
	v_mul_f64_e32 v[40:41], v[40:41], v[36:37]
	ds_store_b64 v1, v[40:41] offset:41472
.LBB126_1045:                           ;   in Loop: Header=BB126_1039 Depth=2
	s_or_b32 exec_lo, exec_lo, s12
	v_cmp_lt_u32_e32 vcc_lo, s11, v2
	s_wait_dscnt 0x0
	s_barrier_signal -1
	s_barrier_wait -1
	s_and_b32 s12, s2, vcc_lo
	s_delay_alu instid0(SALU_CYCLE_1)
	s_and_saveexec_b32 s11, s12
	s_cbranch_execz .LBB126_1047
; %bb.1046:                             ;   in Loop: Header=BB126_1039 Depth=2
	ds_load_b64 v[36:37], v34 offset:512
	ds_load_b64 v[42:43], v1 offset:41472
	s_wait_dscnt 0x0
	v_fmac_f64_e32 v[40:41], v[36:37], v[42:43]
.LBB126_1047:                           ;   in Loop: Header=BB126_1039 Depth=2
	s_or_b32 exec_lo, exec_lo, s11
	s_or_b32 s11, s10, 2
	s_delay_alu instid0(SALU_CYCLE_1) | instskip(SKIP_3) | instid1(SALU_CYCLE_1)
	v_cmp_eq_u32_e32 vcc_lo, s11, v2
	s_barrier_signal -1
	s_barrier_wait -1
	s_and_b32 s82, s2, vcc_lo
	s_and_saveexec_b32 s12, s82
	s_cbranch_execz .LBB126_1049
; %bb.1048:                             ;   in Loop: Header=BB126_1039 Depth=2
	ds_load_b64 v[36:37], v35
	s_wait_dscnt 0x0
	v_mul_f64_e32 v[40:41], v[40:41], v[36:37]
	ds_store_b64 v1, v[40:41] offset:41472
.LBB126_1049:                           ;   in Loop: Header=BB126_1039 Depth=2
	s_or_b32 exec_lo, exec_lo, s12
	v_cmp_lt_u32_e32 vcc_lo, s11, v2
	s_wait_dscnt 0x0
	s_barrier_signal -1
	s_barrier_wait -1
	s_and_b32 s12, s2, vcc_lo
	s_delay_alu instid0(SALU_CYCLE_1)
	s_and_saveexec_b32 s11, s12
	s_cbranch_execz .LBB126_1051
; %bb.1050:                             ;   in Loop: Header=BB126_1039 Depth=2
	ds_load_b64 v[36:37], v34 offset:1024
	ds_load_b64 v[42:43], v1 offset:41472
	s_wait_dscnt 0x0
	v_fmac_f64_e32 v[40:41], v[36:37], v[42:43]
.LBB126_1051:                           ;   in Loop: Header=BB126_1039 Depth=2
	s_or_b32 exec_lo, exec_lo, s11
	s_or_b32 s11, s10, 3
	s_delay_alu instid0(SALU_CYCLE_1) | instskip(SKIP_3) | instid1(SALU_CYCLE_1)
	v_cmp_eq_u32_e32 vcc_lo, s11, v2
	s_barrier_signal -1
	s_barrier_wait -1
	s_and_b32 s82, s2, vcc_lo
	s_and_saveexec_b32 s12, s82
	s_cbranch_execz .LBB126_1053
; %bb.1052:                             ;   in Loop: Header=BB126_1039 Depth=2
	ds_load_b64 v[36:37], v35
	s_wait_dscnt 0x0
	v_mul_f64_e32 v[40:41], v[40:41], v[36:37]
	ds_store_b64 v1, v[40:41] offset:41472
.LBB126_1053:                           ;   in Loop: Header=BB126_1039 Depth=2
	s_or_b32 exec_lo, exec_lo, s12
	v_cmp_lt_u32_e32 vcc_lo, s11, v2
	s_wait_dscnt 0x0
	s_barrier_signal -1
	s_barrier_wait -1
	s_and_b32 s12, s2, vcc_lo
	s_delay_alu instid0(SALU_CYCLE_1)
	s_and_saveexec_b32 s11, s12
	s_cbranch_execz .LBB126_1038
; %bb.1054:                             ;   in Loop: Header=BB126_1039 Depth=2
	ds_load_b64 v[36:37], v34 offset:1536
	ds_load_b64 v[42:43], v1 offset:41472
	s_wait_dscnt 0x0
	v_fmac_f64_e32 v[40:41], v[36:37], v[42:43]
	s_branch .LBB126_1038
.LBB126_1055:                           ;   in Loop: Header=BB126_3 Depth=1
	s_and_b32 vcc_lo, exec_lo, s88
	s_mov_b32 s10, -1
	s_cbranch_vccz .LBB126_1057
; %bb.1056:                             ;   in Loop: Header=BB126_3 Depth=1
	s_and_not1_b32 s11, s65, exec_lo
	s_and_b32 s12, s2, exec_lo
	s_mov_b32 s10, 0
	s_or_b32 s65, s11, s12
.LBB126_1057:                           ;   in Loop: Header=BB126_3 Depth=1
	s_and_not1_b32 vcc_lo, exec_lo, s10
	s_cbranch_vccnz .LBB126_1059
; %bb.1058:                             ;   in Loop: Header=BB126_3 Depth=1
	v_readlane_b32 s11, v103, 6
	s_and_not1_b32 s10, s65, exec_lo
	s_and_b32 s11, s11, exec_lo
	s_delay_alu instid0(SALU_CYCLE_1)
	s_or_b32 s65, s10, s11
.LBB126_1059:                           ;   in Loop: Header=BB126_3 Depth=1
	v_mov_b64_e32 v[34:35], v[20:21]
	s_and_saveexec_b32 s10, s65
	s_cbranch_execnz .LBB126_1096
	s_branch .LBB126_1097
.LBB126_1060:                           ;   in Loop: Header=BB126_3 Depth=1
	s_mov_b32 s11, exec_lo
	v_readlane_b32 s12, v103, 15
	s_and_b32 s12, s11, s12
	s_delay_alu instid0(SALU_CYCLE_1)
	s_xor_b32 s11, s12, s11
	s_mov_b32 exec_lo, s12
	s_cbranch_execz .LBB126_1064
; %bb.1061:                             ;   in Loop: Header=BB126_3 Depth=1
	s_mov_b32 s12, exec_lo
	v_readlane_b32 s65, v102, 25
	s_and_b32 s65, s12, s65
	s_delay_alu instid0(SALU_CYCLE_1)
	s_mov_b32 exec_lo, s65
; %bb.1062:                             ;   in Loop: Header=BB126_3 Depth=1
	ds_store_b64 v77, v[24:25]
; %bb.1063:                             ;   in Loop: Header=BB126_3 Depth=1
	s_or_b32 exec_lo, exec_lo, s12
.LBB126_1064:                           ;   in Loop: Header=BB126_3 Depth=1
	s_and_not1_saveexec_b32 s11, s11
	s_cbranch_execz .LBB126_1066
; %bb.1065:                             ;   in Loop: Header=BB126_3 Depth=1
	v_lshl_add_u64 v[42:43], v[12:13], 3, v[40:41]
	flat_load_b64 v[42:43], v[42:43]
	s_wait_loadcnt_dscnt 0x0
	v_div_scale_f64 v[94:95], null, v[42:43], v[42:43], 1.0
	s_delay_alu instid0(VALU_DEP_1) | instskip(SKIP_1) | instid1(TRANS32_DEP_1)
	v_rcp_f64_e32 v[96:97], v[94:95]
	v_nop
	v_fma_f64 v[98:99], -v[94:95], v[96:97], 1.0
	s_delay_alu instid0(VALU_DEP_1) | instskip(NEXT) | instid1(VALU_DEP_1)
	v_fmac_f64_e32 v[96:97], v[96:97], v[98:99]
	v_fma_f64 v[98:99], -v[94:95], v[96:97], 1.0
	s_delay_alu instid0(VALU_DEP_1) | instskip(SKIP_1) | instid1(VALU_DEP_1)
	v_fmac_f64_e32 v[96:97], v[96:97], v[98:99]
	v_div_scale_f64 v[98:99], vcc_lo, 1.0, v[42:43], 1.0
	v_mul_f64_e32 v[100:101], v[98:99], v[96:97]
	s_delay_alu instid0(VALU_DEP_1) | instskip(NEXT) | instid1(VALU_DEP_1)
	v_fma_f64 v[94:95], -v[94:95], v[100:101], v[98:99]
	v_div_fmas_f64 v[94:95], v[94:95], v[96:97], v[100:101]
	s_delay_alu instid0(VALU_DEP_1)
	v_div_fixup_f64 v[42:43], v[94:95], v[42:43], 1.0
	ds_store_b64 v77, v[42:43]
.LBB126_1066:                           ;   in Loop: Header=BB126_3 Depth=1
	s_or_b32 exec_lo, exec_lo, s11
	s_and_not1_saveexec_b32 s10, s10
	s_cbranch_execz .LBB126_17
.LBB126_1067:                           ;   in Loop: Header=BB126_3 Depth=1
	v_lshl_add_u64 v[42:43], v[12:13], 3, v[40:41]
	flat_load_b64 v[42:43], v[42:43]
	s_wait_loadcnt_dscnt 0x0
	v_xor_b32_e32 v43, 0x80000000, v43
	ds_store_b64 v77, v[42:43]
	s_or_b32 exec_lo, exec_lo, s10
	s_and_saveexec_b32 s10, s7
	s_delay_alu instid0(SALU_CYCLE_1)
	s_xor_b32 s10, exec_lo, s10
	s_cbranch_execz .LBB126_18
.LBB126_1068:                           ;   in Loop: Header=BB126_3 Depth=1
	s_mov_b32 s11, exec_lo
	v_readlane_b32 s12, v103, 17
	s_and_b32 s12, s11, s12
	s_delay_alu instid0(SALU_CYCLE_1)
	s_xor_b32 s11, s12, s11
	s_mov_b32 exec_lo, s12
	s_cbranch_execz .LBB126_1072
; %bb.1069:                             ;   in Loop: Header=BB126_3 Depth=1
	s_mov_b32 s12, exec_lo
	v_readlane_b32 s65, v102, 26
	s_and_b32 s65, s12, s65
	s_delay_alu instid0(SALU_CYCLE_1)
	s_mov_b32 exec_lo, s65
; %bb.1070:                             ;   in Loop: Header=BB126_3 Depth=1
	ds_store_b64 v81, v[24:25]
; %bb.1071:                             ;   in Loop: Header=BB126_3 Depth=1
	s_or_b32 exec_lo, exec_lo, s12
.LBB126_1072:                           ;   in Loop: Header=BB126_3 Depth=1
	s_and_not1_saveexec_b32 s11, s11
	s_cbranch_execz .LBB126_1074
; %bb.1073:                             ;   in Loop: Header=BB126_3 Depth=1
	v_lshl_add_u64 v[42:43], v[14:15], 3, v[40:41]
	flat_load_b64 v[42:43], v[42:43]
	s_wait_loadcnt_dscnt 0x0
	v_div_scale_f64 v[94:95], null, v[42:43], v[42:43], 1.0
	s_delay_alu instid0(VALU_DEP_1) | instskip(SKIP_1) | instid1(TRANS32_DEP_1)
	v_rcp_f64_e32 v[96:97], v[94:95]
	v_nop
	v_fma_f64 v[98:99], -v[94:95], v[96:97], 1.0
	s_delay_alu instid0(VALU_DEP_1) | instskip(NEXT) | instid1(VALU_DEP_1)
	v_fmac_f64_e32 v[96:97], v[96:97], v[98:99]
	v_fma_f64 v[98:99], -v[94:95], v[96:97], 1.0
	s_delay_alu instid0(VALU_DEP_1) | instskip(SKIP_1) | instid1(VALU_DEP_1)
	v_fmac_f64_e32 v[96:97], v[96:97], v[98:99]
	v_div_scale_f64 v[98:99], vcc_lo, 1.0, v[42:43], 1.0
	v_mul_f64_e32 v[100:101], v[98:99], v[96:97]
	s_delay_alu instid0(VALU_DEP_1) | instskip(NEXT) | instid1(VALU_DEP_1)
	v_fma_f64 v[94:95], -v[94:95], v[100:101], v[98:99]
	v_div_fmas_f64 v[94:95], v[94:95], v[96:97], v[100:101]
	s_delay_alu instid0(VALU_DEP_1)
	v_div_fixup_f64 v[42:43], v[94:95], v[42:43], 1.0
	ds_store_b64 v81, v[42:43]
.LBB126_1074:                           ;   in Loop: Header=BB126_3 Depth=1
	s_or_b32 exec_lo, exec_lo, s11
	s_and_not1_saveexec_b32 s10, s10
	s_cbranch_execz .LBB126_19
.LBB126_1075:                           ;   in Loop: Header=BB126_3 Depth=1
	v_lshl_add_u64 v[42:43], v[14:15], 3, v[40:41]
	flat_load_b64 v[42:43], v[42:43]
	s_wait_loadcnt_dscnt 0x0
	v_xor_b32_e32 v43, 0x80000000, v43
	ds_store_b64 v81, v[42:43]
	s_or_b32 exec_lo, exec_lo, s10
	s_and_saveexec_b32 s10, s8
	s_delay_alu instid0(SALU_CYCLE_1)
	s_xor_b32 s10, exec_lo, s10
	s_cbranch_execz .LBB126_20
.LBB126_1076:                           ;   in Loop: Header=BB126_3 Depth=1
	s_mov_b32 s11, exec_lo
	v_readlane_b32 s12, v103, 19
	s_and_b32 s12, s11, s12
	s_delay_alu instid0(SALU_CYCLE_1)
	s_xor_b32 s11, s12, s11
	s_mov_b32 exec_lo, s12
	s_cbranch_execz .LBB126_1080
; %bb.1077:                             ;   in Loop: Header=BB126_3 Depth=1
	s_mov_b32 s12, exec_lo
	v_readlane_b32 s65, v102, 27
	s_and_b32 s65, s12, s65
	s_delay_alu instid0(SALU_CYCLE_1)
	s_mov_b32 exec_lo, s65
; %bb.1078:                             ;   in Loop: Header=BB126_3 Depth=1
	ds_store_b64 v82, v[24:25]
; %bb.1079:                             ;   in Loop: Header=BB126_3 Depth=1
	s_or_b32 exec_lo, exec_lo, s12
.LBB126_1080:                           ;   in Loop: Header=BB126_3 Depth=1
	s_and_not1_saveexec_b32 s11, s11
	s_cbranch_execz .LBB126_1082
; %bb.1081:                             ;   in Loop: Header=BB126_3 Depth=1
	v_lshl_add_u64 v[42:43], v[16:17], 3, v[40:41]
	flat_load_b64 v[42:43], v[42:43]
	s_wait_loadcnt_dscnt 0x0
	v_div_scale_f64 v[94:95], null, v[42:43], v[42:43], 1.0
	s_delay_alu instid0(VALU_DEP_1) | instskip(SKIP_1) | instid1(TRANS32_DEP_1)
	v_rcp_f64_e32 v[96:97], v[94:95]
	v_nop
	v_fma_f64 v[98:99], -v[94:95], v[96:97], 1.0
	s_delay_alu instid0(VALU_DEP_1) | instskip(NEXT) | instid1(VALU_DEP_1)
	v_fmac_f64_e32 v[96:97], v[96:97], v[98:99]
	v_fma_f64 v[98:99], -v[94:95], v[96:97], 1.0
	s_delay_alu instid0(VALU_DEP_1) | instskip(SKIP_1) | instid1(VALU_DEP_1)
	v_fmac_f64_e32 v[96:97], v[96:97], v[98:99]
	v_div_scale_f64 v[98:99], vcc_lo, 1.0, v[42:43], 1.0
	v_mul_f64_e32 v[100:101], v[98:99], v[96:97]
	s_delay_alu instid0(VALU_DEP_1) | instskip(NEXT) | instid1(VALU_DEP_1)
	v_fma_f64 v[94:95], -v[94:95], v[100:101], v[98:99]
	v_div_fmas_f64 v[94:95], v[94:95], v[96:97], v[100:101]
	s_delay_alu instid0(VALU_DEP_1)
	v_div_fixup_f64 v[42:43], v[94:95], v[42:43], 1.0
	ds_store_b64 v82, v[42:43]
.LBB126_1082:                           ;   in Loop: Header=BB126_3 Depth=1
	s_or_b32 exec_lo, exec_lo, s11
	s_and_not1_saveexec_b32 s10, s10
	s_cbranch_execz .LBB126_21
.LBB126_1083:                           ;   in Loop: Header=BB126_3 Depth=1
	v_lshl_add_u64 v[42:43], v[16:17], 3, v[40:41]
	flat_load_b64 v[42:43], v[42:43]
	s_wait_loadcnt_dscnt 0x0
	v_xor_b32_e32 v43, 0x80000000, v43
	ds_store_b64 v82, v[42:43]
	s_or_b32 exec_lo, exec_lo, s10
	s_and_saveexec_b32 s10, s9
	s_delay_alu instid0(SALU_CYCLE_1)
	s_xor_b32 s10, exec_lo, s10
	s_cbranch_execz .LBB126_22
.LBB126_1084:                           ;   in Loop: Header=BB126_3 Depth=1
	s_mov_b32 s11, exec_lo
	v_readlane_b32 s12, v103, 21
	s_and_b32 s12, s11, s12
	s_delay_alu instid0(SALU_CYCLE_1)
	s_xor_b32 s11, s12, s11
	s_mov_b32 exec_lo, s12
	s_cbranch_execz .LBB126_1088
; %bb.1085:                             ;   in Loop: Header=BB126_3 Depth=1
	s_mov_b32 s12, exec_lo
	v_readlane_b32 s65, v102, 28
	s_and_b32 s65, s12, s65
	s_delay_alu instid0(SALU_CYCLE_1)
	s_mov_b32 exec_lo, s65
; %bb.1086:                             ;   in Loop: Header=BB126_3 Depth=1
	ds_store_b64 v84, v[24:25]
; %bb.1087:                             ;   in Loop: Header=BB126_3 Depth=1
	s_or_b32 exec_lo, exec_lo, s12
.LBB126_1088:                           ;   in Loop: Header=BB126_3 Depth=1
	s_and_not1_saveexec_b32 s11, s11
	s_cbranch_execz .LBB126_1090
; %bb.1089:                             ;   in Loop: Header=BB126_3 Depth=1
	v_lshl_add_u64 v[42:43], v[18:19], 3, v[40:41]
	flat_load_b64 v[42:43], v[42:43]
	s_wait_loadcnt_dscnt 0x0
	v_div_scale_f64 v[94:95], null, v[42:43], v[42:43], 1.0
	s_delay_alu instid0(VALU_DEP_1) | instskip(SKIP_1) | instid1(TRANS32_DEP_1)
	v_rcp_f64_e32 v[96:97], v[94:95]
	v_nop
	v_fma_f64 v[98:99], -v[94:95], v[96:97], 1.0
	s_delay_alu instid0(VALU_DEP_1) | instskip(NEXT) | instid1(VALU_DEP_1)
	v_fmac_f64_e32 v[96:97], v[96:97], v[98:99]
	v_fma_f64 v[98:99], -v[94:95], v[96:97], 1.0
	s_delay_alu instid0(VALU_DEP_1) | instskip(SKIP_1) | instid1(VALU_DEP_1)
	v_fmac_f64_e32 v[96:97], v[96:97], v[98:99]
	v_div_scale_f64 v[98:99], vcc_lo, 1.0, v[42:43], 1.0
	v_mul_f64_e32 v[100:101], v[98:99], v[96:97]
	s_delay_alu instid0(VALU_DEP_1) | instskip(NEXT) | instid1(VALU_DEP_1)
	v_fma_f64 v[94:95], -v[94:95], v[100:101], v[98:99]
	v_div_fmas_f64 v[94:95], v[94:95], v[96:97], v[100:101]
	s_delay_alu instid0(VALU_DEP_1)
	v_div_fixup_f64 v[42:43], v[94:95], v[42:43], 1.0
	ds_store_b64 v84, v[42:43]
.LBB126_1090:                           ;   in Loop: Header=BB126_3 Depth=1
	s_or_b32 exec_lo, exec_lo, s11
	s_and_not1_saveexec_b32 s10, s10
	s_cbranch_execnz .LBB126_23
	s_branch .LBB126_24
.LBB126_1091:                           ;   in Loop: Header=BB126_3 Depth=1
	ds_load_b64 v[34:35], v92
	ds_load_b64 v[36:37], v86
	s_wait_dscnt 0x0
	v_fma_f64 v[34:35], v[34:35], v[36:37], 0
	s_or_b32 exec_lo, exec_lo, s10
	s_and_saveexec_b32 s10, s7
	s_cbranch_execz .LBB126_1031
.LBB126_1092:                           ;   in Loop: Header=BB126_3 Depth=1
	ds_load_b64 v[36:37], v92 offset:8192
	ds_load_b64 v[42:43], v86 offset:128
	s_wait_dscnt 0x0
	v_fmac_f64_e32 v[34:35], v[36:37], v[42:43]
	s_or_b32 exec_lo, exec_lo, s10
	s_and_saveexec_b32 s10, s8
	s_cbranch_execz .LBB126_1032
.LBB126_1093:                           ;   in Loop: Header=BB126_3 Depth=1
	ds_load_b64 v[36:37], v92 offset:16384
	ds_load_b64 v[42:43], v86 offset:256
	s_wait_dscnt 0x0
	v_fmac_f64_e32 v[34:35], v[36:37], v[42:43]
	s_or_b32 exec_lo, exec_lo, s10
	s_and_saveexec_b32 s10, s9
	s_cbranch_execnz .LBB126_1033
	s_branch .LBB126_1034
.LBB126_1094:                           ;   in Loop: Header=BB126_3 Depth=1
	s_or_b32 exec_lo, exec_lo, s82
	s_delay_alu instid0(SALU_CYCLE_1)
	s_and_b32 vcc_lo, exec_lo, s10
	s_cbranch_vccnz .LBB126_1037
.LBB126_1095:                           ;   in Loop: Header=BB126_3 Depth=1
	s_delay_alu instid0(VALU_DEP_1)
	v_mov_b64_e32 v[40:41], v[36:37]
	v_mov_b64_e32 v[34:35], v[22:23]
	s_and_saveexec_b32 s10, s65
	s_cbranch_execz .LBB126_1097
.LBB126_1096:                           ;   in Loop: Header=BB126_3 Depth=1
	s_delay_alu instid0(VALU_DEP_1)
	v_lshl_add_u64 v[34:35], v[34:35], 3, v[38:39]
	flat_store_b64 v[34:35], v[40:41]
.LBB126_1097:                           ;   in Loop: Header=BB126_3 Depth=1
	s_wait_xcnt 0x0
	s_or_b32 exec_lo, exec_lo, s10
	global_wb scope:SCOPE_DEV
	s_wait_storecnt_dscnt 0x0
	global_inv scope:SCOPE_DEV
	s_wait_loadcnt 0x0
	s_barrier_signal -1
	s_barrier_wait -1
	s_and_saveexec_b32 s10, s59
	s_cbranch_execz .LBB126_2
; %bb.1098:                             ;   in Loop: Header=BB126_3 Depth=1
	s_lshl_b64 s[82:83], s[66:67], 2
	s_delay_alu instid0(SALU_CYCLE_1)
	s_add_nc_u64 s[82:83], s[80:81], s[82:83]
	global_load_b32 v0, v1, s[82:83]
	s_wait_loadcnt 0x0
	v_add_nc_u32_e32 v0, 1, v0
	global_store_b32 v1, v0, s[82:83]
	s_branch .LBB126_2
.LBB126_1099:                           ;   in Loop: Header=BB126_3 Depth=1
	ds_load_b64 v[42:43], v53 offset:31680
	ds_load_b64 v[94:95], v52 offset:32744
	s_wait_dscnt 0x0
	v_fmac_f64_e32 v[40:41], v[42:43], v[94:95]
	s_or_b32 exec_lo, exec_lo, s11
	s_and_saveexec_b32 s11, s17
	s_cbranch_execz .LBB126_88
.LBB126_1100:                           ;   in Loop: Header=BB126_3 Depth=1
	ds_load_b64 v[42:43], v53 offset:32192
	ds_load_b64 v[94:95], v52 offset:32752
	s_wait_dscnt 0x0
	v_fmac_f64_e32 v[40:41], v[42:43], v[94:95]
	s_or_b32 exec_lo, exec_lo, s11
	s_and_saveexec_b32 s11, s1
	s_cbranch_execnz .LBB126_89
	s_branch .LBB126_90
.LBB126_1101:                           ;   in Loop: Header=BB126_3 Depth=1
	ds_load_b64 v[42:43], v59 offset:29568
	ds_load_b64 v[94:95], v58 offset:32712
	s_wait_dscnt 0x0
	v_fmac_f64_e32 v[40:41], v[42:43], v[94:95]
	s_or_b32 exec_lo, exec_lo, s11
	s_and_saveexec_b32 s11, s19
	s_cbranch_execz .LBB126_130
.LBB126_1102:                           ;   in Loop: Header=BB126_3 Depth=1
	ds_load_b64 v[42:43], v59 offset:30080
	ds_load_b64 v[94:95], v58 offset:32720
	s_wait_dscnt 0x0
	v_fmac_f64_e32 v[40:41], v[42:43], v[94:95]
	s_or_b32 exec_lo, exec_lo, s11
	s_and_saveexec_b32 s11, s20
	s_cbranch_execz .LBB126_131
.LBB126_1103:                           ;   in Loop: Header=BB126_3 Depth=1
	ds_load_b64 v[42:43], v59 offset:30592
	ds_load_b64 v[94:95], v58 offset:32728
	s_wait_dscnt 0x0
	v_fmac_f64_e32 v[40:41], v[42:43], v[94:95]
	s_or_b32 exec_lo, exec_lo, s11
	s_and_saveexec_b32 s11, s21
	s_cbranch_execz .LBB126_132
.LBB126_1104:                           ;   in Loop: Header=BB126_3 Depth=1
	ds_load_b64 v[42:43], v59 offset:31104
	ds_load_b64 v[94:95], v58 offset:32736
	s_wait_dscnt 0x0
	v_fmac_f64_e32 v[40:41], v[42:43], v[94:95]
	s_or_b32 exec_lo, exec_lo, s11
	s_and_saveexec_b32 s11, s22
	s_cbranch_execz .LBB126_133
.LBB126_1105:                           ;   in Loop: Header=BB126_3 Depth=1
	ds_load_b64 v[42:43], v59 offset:31616
	ds_load_b64 v[94:95], v58 offset:32744
	s_wait_dscnt 0x0
	v_fmac_f64_e32 v[40:41], v[42:43], v[94:95]
	s_or_b32 exec_lo, exec_lo, s11
	s_and_saveexec_b32 s11, s3
	s_cbranch_execz .LBB126_134
.LBB126_1106:                           ;   in Loop: Header=BB126_3 Depth=1
	ds_load_b64 v[42:43], v59 offset:32128
	ds_load_b64 v[94:95], v58 offset:32752
	s_wait_dscnt 0x0
	v_fmac_f64_e32 v[40:41], v[42:43], v[94:95]
	s_or_b32 exec_lo, exec_lo, s11
	s_and_saveexec_b32 s11, s17
	s_cbranch_execnz .LBB126_135
	s_branch .LBB126_136
.LBB126_1107:                           ;   in Loop: Header=BB126_3 Depth=1
	ds_load_b64 v[42:43], v53 offset:27520
	ds_load_b64 v[94:95], v52 offset:28584
	s_wait_dscnt 0x0
	v_fmac_f64_e32 v[40:41], v[42:43], v[94:95]
	s_or_b32 exec_lo, exec_lo, s11
	s_and_saveexec_b32 s11, s17
	s_cbranch_execz .LBB126_192
.LBB126_1108:                           ;   in Loop: Header=BB126_3 Depth=1
	ds_load_b64 v[42:43], v53 offset:28032
	ds_load_b64 v[94:95], v52 offset:28592
	s_wait_dscnt 0x0
	v_fmac_f64_e32 v[40:41], v[42:43], v[94:95]
	s_or_b32 exec_lo, exec_lo, s11
	s_and_saveexec_b32 s11, s1
	s_cbranch_execnz .LBB126_193
	s_branch .LBB126_194
.LBB126_1109:                           ;   in Loop: Header=BB126_3 Depth=1
	ds_load_b64 v[42:43], v63 offset:30464
	ds_load_b64 v[94:95], v62 offset:32728
	s_wait_dscnt 0x0
	v_fmac_f64_e32 v[40:41], v[42:43], v[94:95]
	s_or_b32 exec_lo, exec_lo, s10
	s_and_saveexec_b32 s10, s4
	s_cbranch_execz .LBB126_254
.LBB126_1110:                           ;   in Loop: Header=BB126_3 Depth=1
	ds_load_b64 v[42:43], v63 offset:30976
	ds_load_b64 v[94:95], v62 offset:32736
	s_wait_dscnt 0x0
	v_fmac_f64_e32 v[40:41], v[42:43], v[94:95]
	s_or_b32 exec_lo, exec_lo, s10
	s_and_saveexec_b32 s10, s19
	s_cbranch_execz .LBB126_255
.LBB126_1111:                           ;   in Loop: Header=BB126_3 Depth=1
	ds_load_b64 v[42:43], v63 offset:31488
	ds_load_b64 v[94:95], v62 offset:32744
	s_wait_dscnt 0x0
	v_fmac_f64_e32 v[40:41], v[42:43], v[94:95]
	s_or_b32 exec_lo, exec_lo, s10
	s_and_saveexec_b32 s10, s21
	s_cbranch_execz .LBB126_256
.LBB126_1112:                           ;   in Loop: Header=BB126_3 Depth=1
	ds_load_b64 v[42:43], v63 offset:32000
	ds_load_b64 v[94:95], v62 offset:32752
	s_wait_dscnt 0x0
	v_fmac_f64_e32 v[40:41], v[42:43], v[94:95]
	s_or_b32 exec_lo, exec_lo, s10
	s_and_saveexec_b32 s10, s3
	s_cbranch_execnz .LBB126_257
	s_branch .LBB126_258
.LBB126_1113:                           ;   in Loop: Header=BB126_3 Depth=1
	ds_load_b64 v[42:43], v53 offset:23360
	ds_load_b64 v[94:95], v52 offset:24424
	s_wait_dscnt 0x0
	v_fmac_f64_e32 v[40:41], v[42:43], v[94:95]
	s_or_b32 exec_lo, exec_lo, s11
	s_and_saveexec_b32 s11, s17
	s_cbranch_execz .LBB126_346
.LBB126_1114:                           ;   in Loop: Header=BB126_3 Depth=1
	ds_load_b64 v[42:43], v53 offset:23872
	ds_load_b64 v[94:95], v52 offset:24432
	s_wait_dscnt 0x0
	v_fmac_f64_e32 v[40:41], v[42:43], v[94:95]
	s_or_b32 exec_lo, exec_lo, s11
	s_and_saveexec_b32 s11, s1
	s_cbranch_execnz .LBB126_347
	s_branch .LBB126_348
.LBB126_1115:                           ;   in Loop: Header=BB126_3 Depth=1
	ds_load_b64 v[42:43], v59 offset:21248
	ds_load_b64 v[94:95], v58 offset:24392
	s_wait_dscnt 0x0
	v_fmac_f64_e32 v[40:41], v[42:43], v[94:95]
	s_or_b32 exec_lo, exec_lo, s11
	s_and_saveexec_b32 s11, s19
	s_cbranch_execz .LBB126_388
.LBB126_1116:                           ;   in Loop: Header=BB126_3 Depth=1
	ds_load_b64 v[42:43], v59 offset:21760
	ds_load_b64 v[94:95], v58 offset:24400
	s_wait_dscnt 0x0
	v_fmac_f64_e32 v[40:41], v[42:43], v[94:95]
	s_or_b32 exec_lo, exec_lo, s11
	s_and_saveexec_b32 s11, s20
	s_cbranch_execz .LBB126_389
.LBB126_1117:                           ;   in Loop: Header=BB126_3 Depth=1
	ds_load_b64 v[42:43], v59 offset:22272
	ds_load_b64 v[94:95], v58 offset:24408
	s_wait_dscnt 0x0
	v_fmac_f64_e32 v[40:41], v[42:43], v[94:95]
	s_or_b32 exec_lo, exec_lo, s11
	s_and_saveexec_b32 s11, s21
	s_cbranch_execz .LBB126_390
.LBB126_1118:                           ;   in Loop: Header=BB126_3 Depth=1
	ds_load_b64 v[42:43], v59 offset:22784
	ds_load_b64 v[94:95], v58 offset:24416
	s_wait_dscnt 0x0
	v_fmac_f64_e32 v[40:41], v[42:43], v[94:95]
	s_or_b32 exec_lo, exec_lo, s11
	s_and_saveexec_b32 s11, s22
	s_cbranch_execz .LBB126_391
.LBB126_1119:                           ;   in Loop: Header=BB126_3 Depth=1
	ds_load_b64 v[42:43], v59 offset:23296
	ds_load_b64 v[94:95], v58 offset:24424
	s_wait_dscnt 0x0
	v_fmac_f64_e32 v[40:41], v[42:43], v[94:95]
	s_or_b32 exec_lo, exec_lo, s11
	s_and_saveexec_b32 s11, s3
	s_cbranch_execz .LBB126_392
.LBB126_1120:                           ;   in Loop: Header=BB126_3 Depth=1
	ds_load_b64 v[42:43], v59 offset:23808
	ds_load_b64 v[94:95], v58 offset:24432
	s_wait_dscnt 0x0
	v_fmac_f64_e32 v[40:41], v[42:43], v[94:95]
	s_or_b32 exec_lo, exec_lo, s11
	s_and_saveexec_b32 s11, s17
	s_cbranch_execnz .LBB126_393
	s_branch .LBB126_394
.LBB126_1121:                           ;   in Loop: Header=BB126_3 Depth=1
	ds_load_b64 v[42:43], v53 offset:19200
	ds_load_b64 v[94:95], v52 offset:20264
	s_wait_dscnt 0x0
	v_fmac_f64_e32 v[40:41], v[42:43], v[94:95]
	s_or_b32 exec_lo, exec_lo, s11
	s_and_saveexec_b32 s11, s17
	s_cbranch_execz .LBB126_450
.LBB126_1122:                           ;   in Loop: Header=BB126_3 Depth=1
	ds_load_b64 v[42:43], v53 offset:19712
	ds_load_b64 v[94:95], v52 offset:20272
	s_wait_dscnt 0x0
	v_fmac_f64_e32 v[40:41], v[42:43], v[94:95]
	s_or_b32 exec_lo, exec_lo, s11
	s_and_saveexec_b32 s11, s1
	s_cbranch_execnz .LBB126_451
	s_branch .LBB126_452
.LBB126_1123:                           ;   in Loop: Header=BB126_3 Depth=1
	ds_load_b64 v[42:43], v67 offset:31232
	ds_load_b64 v[94:95], v68 offset:32744
	s_wait_dscnt 0x0
	v_fmac_f64_e32 v[40:41], v[42:43], v[94:95]
	s_or_b32 exec_lo, exec_lo, s10
	s_and_saveexec_b32 s10, s4
	s_cbranch_execz .LBB126_548
.LBB126_1124:                           ;   in Loop: Header=BB126_3 Depth=1
	ds_load_b64 v[42:43], v67 offset:31744
	ds_load_b64 v[94:95], v68 offset:32752
	s_wait_dscnt 0x0
	v_fmac_f64_e32 v[40:41], v[42:43], v[94:95]
	s_or_b32 exec_lo, exec_lo, s10
	s_and_saveexec_b32 s10, s21
	s_delay_alu instid0(SALU_CYCLE_1)
	s_xor_b32 s10, exec_lo, s10
	s_cbranch_execnz .LBB126_549
	s_branch .LBB126_550
.LBB126_1125:                           ;   in Loop: Header=BB126_3 Depth=1
	ds_load_b64 v[42:43], v53 offset:15040
	ds_load_b64 v[94:95], v52 offset:16104
	s_wait_dscnt 0x0
	v_fmac_f64_e32 v[40:41], v[42:43], v[94:95]
	s_or_b32 exec_lo, exec_lo, s11
	s_and_saveexec_b32 s11, s17
	s_cbranch_execz .LBB126_594
.LBB126_1126:                           ;   in Loop: Header=BB126_3 Depth=1
	ds_load_b64 v[42:43], v53 offset:15552
	ds_load_b64 v[94:95], v52 offset:16112
	s_wait_dscnt 0x0
	v_fmac_f64_e32 v[40:41], v[42:43], v[94:95]
	s_or_b32 exec_lo, exec_lo, s11
	s_and_saveexec_b32 s11, s1
	s_cbranch_execnz .LBB126_595
	s_branch .LBB126_596
.LBB126_1127:                           ;   in Loop: Header=BB126_3 Depth=1
	ds_load_b64 v[42:43], v59 offset:12928
	ds_load_b64 v[94:95], v58 offset:16072
	s_wait_dscnt 0x0
	v_fmac_f64_e32 v[40:41], v[42:43], v[94:95]
	s_or_b32 exec_lo, exec_lo, s11
	s_and_saveexec_b32 s11, s19
	s_cbranch_execz .LBB126_636
.LBB126_1128:                           ;   in Loop: Header=BB126_3 Depth=1
	ds_load_b64 v[42:43], v59 offset:13440
	ds_load_b64 v[94:95], v58 offset:16080
	s_wait_dscnt 0x0
	v_fmac_f64_e32 v[40:41], v[42:43], v[94:95]
	s_or_b32 exec_lo, exec_lo, s11
	s_and_saveexec_b32 s11, s20
	s_cbranch_execz .LBB126_637
.LBB126_1129:                           ;   in Loop: Header=BB126_3 Depth=1
	ds_load_b64 v[42:43], v59 offset:13952
	ds_load_b64 v[94:95], v58 offset:16088
	s_wait_dscnt 0x0
	v_fmac_f64_e32 v[40:41], v[42:43], v[94:95]
	s_or_b32 exec_lo, exec_lo, s11
	s_and_saveexec_b32 s11, s21
	s_cbranch_execz .LBB126_638
.LBB126_1130:                           ;   in Loop: Header=BB126_3 Depth=1
	ds_load_b64 v[42:43], v59 offset:14464
	ds_load_b64 v[94:95], v58 offset:16096
	s_wait_dscnt 0x0
	v_fmac_f64_e32 v[40:41], v[42:43], v[94:95]
	s_or_b32 exec_lo, exec_lo, s11
	s_and_saveexec_b32 s11, s22
	s_cbranch_execz .LBB126_639
.LBB126_1131:                           ;   in Loop: Header=BB126_3 Depth=1
	ds_load_b64 v[42:43], v59 offset:14976
	ds_load_b64 v[94:95], v58 offset:16104
	s_wait_dscnt 0x0
	v_fmac_f64_e32 v[40:41], v[42:43], v[94:95]
	s_or_b32 exec_lo, exec_lo, s11
	s_and_saveexec_b32 s11, s3
	s_cbranch_execz .LBB126_640
.LBB126_1132:                           ;   in Loop: Header=BB126_3 Depth=1
	ds_load_b64 v[42:43], v59 offset:15488
	ds_load_b64 v[94:95], v58 offset:16112
	s_wait_dscnt 0x0
	v_fmac_f64_e32 v[40:41], v[42:43], v[94:95]
	s_or_b32 exec_lo, exec_lo, s11
	s_and_saveexec_b32 s11, s17
	s_cbranch_execnz .LBB126_641
	s_branch .LBB126_642
.LBB126_1133:                           ;   in Loop: Header=BB126_3 Depth=1
	ds_load_b64 v[42:43], v53 offset:10880
	ds_load_b64 v[94:95], v52 offset:11944
	s_wait_dscnt 0x0
	v_fmac_f64_e32 v[40:41], v[42:43], v[94:95]
	s_or_b32 exec_lo, exec_lo, s11
	s_and_saveexec_b32 s11, s17
	s_cbranch_execz .LBB126_698
.LBB126_1134:                           ;   in Loop: Header=BB126_3 Depth=1
	ds_load_b64 v[42:43], v53 offset:11392
	ds_load_b64 v[94:95], v52 offset:11952
	s_wait_dscnt 0x0
	v_fmac_f64_e32 v[40:41], v[42:43], v[94:95]
	s_or_b32 exec_lo, exec_lo, s11
	s_and_saveexec_b32 s11, s1
	s_cbranch_execnz .LBB126_699
	s_branch .LBB126_700
.LBB126_1135:                           ;   in Loop: Header=BB126_3 Depth=1
	ds_load_b64 v[42:43], v63 offset:13824
	ds_load_b64 v[94:95], v62 offset:16088
	s_wait_dscnt 0x0
	v_fmac_f64_e32 v[40:41], v[42:43], v[94:95]
	s_or_b32 exec_lo, exec_lo, s10
	s_and_saveexec_b32 s10, s4
	s_cbranch_execz .LBB126_760
.LBB126_1136:                           ;   in Loop: Header=BB126_3 Depth=1
	ds_load_b64 v[42:43], v63 offset:14336
	ds_load_b64 v[94:95], v62 offset:16096
	s_wait_dscnt 0x0
	v_fmac_f64_e32 v[40:41], v[42:43], v[94:95]
	s_or_b32 exec_lo, exec_lo, s10
	s_and_saveexec_b32 s10, s19
	s_cbranch_execz .LBB126_761
.LBB126_1137:                           ;   in Loop: Header=BB126_3 Depth=1
	ds_load_b64 v[42:43], v63 offset:14848
	ds_load_b64 v[94:95], v62 offset:16104
	s_wait_dscnt 0x0
	v_fmac_f64_e32 v[40:41], v[42:43], v[94:95]
	s_or_b32 exec_lo, exec_lo, s10
	s_and_saveexec_b32 s10, s21
	s_cbranch_execz .LBB126_762
.LBB126_1138:                           ;   in Loop: Header=BB126_3 Depth=1
	ds_load_b64 v[42:43], v63 offset:15360
	ds_load_b64 v[94:95], v62 offset:16112
	s_wait_dscnt 0x0
	v_fmac_f64_e32 v[40:41], v[42:43], v[94:95]
	s_or_b32 exec_lo, exec_lo, s10
	s_and_saveexec_b32 s10, s3
	s_cbranch_execnz .LBB126_763
	s_branch .LBB126_764
.LBB126_1139:                           ;   in Loop: Header=BB126_3 Depth=1
	ds_load_b64 v[42:43], v53 offset:6720
	ds_load_b64 v[94:95], v52 offset:7784
	s_wait_dscnt 0x0
	v_fmac_f64_e32 v[40:41], v[42:43], v[94:95]
	s_or_b32 exec_lo, exec_lo, s11
	s_and_saveexec_b32 s11, s17
	s_cbranch_execz .LBB126_852
.LBB126_1140:                           ;   in Loop: Header=BB126_3 Depth=1
	ds_load_b64 v[42:43], v53 offset:7232
	ds_load_b64 v[94:95], v52 offset:7792
	s_wait_dscnt 0x0
	v_fmac_f64_e32 v[40:41], v[42:43], v[94:95]
	s_or_b32 exec_lo, exec_lo, s11
	s_and_saveexec_b32 s11, s1
	s_cbranch_execnz .LBB126_853
	s_branch .LBB126_854
.LBB126_1141:                           ;   in Loop: Header=BB126_3 Depth=1
	ds_load_b64 v[42:43], v59 offset:4608
	ds_load_b64 v[94:95], v58 offset:7752
	s_wait_dscnt 0x0
	v_fmac_f64_e32 v[40:41], v[42:43], v[94:95]
	s_or_b32 exec_lo, exec_lo, s11
	s_and_saveexec_b32 s11, s19
	s_cbranch_execz .LBB126_894
.LBB126_1142:                           ;   in Loop: Header=BB126_3 Depth=1
	ds_load_b64 v[42:43], v59 offset:5120
	ds_load_b64 v[94:95], v58 offset:7760
	s_wait_dscnt 0x0
	v_fmac_f64_e32 v[40:41], v[42:43], v[94:95]
	s_or_b32 exec_lo, exec_lo, s11
	s_and_saveexec_b32 s11, s20
	s_cbranch_execz .LBB126_895
.LBB126_1143:                           ;   in Loop: Header=BB126_3 Depth=1
	ds_load_b64 v[42:43], v59 offset:5632
	ds_load_b64 v[94:95], v58 offset:7768
	s_wait_dscnt 0x0
	v_fmac_f64_e32 v[40:41], v[42:43], v[94:95]
	s_or_b32 exec_lo, exec_lo, s11
	s_and_saveexec_b32 s11, s21
	s_cbranch_execz .LBB126_896
.LBB126_1144:                           ;   in Loop: Header=BB126_3 Depth=1
	ds_load_b64 v[42:43], v59 offset:6144
	ds_load_b64 v[94:95], v58 offset:7776
	s_wait_dscnt 0x0
	v_fmac_f64_e32 v[40:41], v[42:43], v[94:95]
	s_or_b32 exec_lo, exec_lo, s11
	s_and_saveexec_b32 s11, s22
	s_cbranch_execz .LBB126_897
.LBB126_1145:                           ;   in Loop: Header=BB126_3 Depth=1
	ds_load_b64 v[42:43], v59 offset:6656
	ds_load_b64 v[94:95], v58 offset:7784
	s_wait_dscnt 0x0
	v_fmac_f64_e32 v[40:41], v[42:43], v[94:95]
	s_or_b32 exec_lo, exec_lo, s11
	s_and_saveexec_b32 s11, s3
	s_cbranch_execz .LBB126_898
.LBB126_1146:                           ;   in Loop: Header=BB126_3 Depth=1
	ds_load_b64 v[42:43], v59 offset:7168
	ds_load_b64 v[94:95], v58 offset:7792
	s_wait_dscnt 0x0
	v_fmac_f64_e32 v[40:41], v[42:43], v[94:95]
	s_or_b32 exec_lo, exec_lo, s11
	s_and_saveexec_b32 s11, s17
	s_cbranch_execnz .LBB126_899
	s_branch .LBB126_900
.LBB126_1147:                           ;   in Loop: Header=BB126_3 Depth=1
	ds_load_b64 v[42:43], v53 offset:2560
	ds_load_b64 v[94:95], v52 offset:3624
	s_wait_dscnt 0x0
	v_fmac_f64_e32 v[40:41], v[42:43], v[94:95]
	s_or_b32 exec_lo, exec_lo, s11
	s_and_saveexec_b32 s11, s17
	s_cbranch_execz .LBB126_956
.LBB126_1148:                           ;   in Loop: Header=BB126_3 Depth=1
	ds_load_b64 v[42:43], v53 offset:3072
	ds_load_b64 v[94:95], v52 offset:3632
	s_wait_dscnt 0x0
	v_fmac_f64_e32 v[40:41], v[42:43], v[94:95]
	s_or_b32 exec_lo, exec_lo, s11
	s_and_saveexec_b32 s11, s1
	s_cbranch_execnz .LBB126_957
	s_branch .LBB126_958
.LBB126_1149:
	s_endpgm
	.section	.rodata,"a",@progbits
	.p2align	6, 0x0
	.amdhsa_kernel _ZL19rocblas_trsv_deviceILi64ELi16ELb0ELb1ELb1ELb0EdPKdPKS1_PKPdEviT7_lllT6_T8_lllPii
		.amdhsa_group_segment_fixed_size 41480
		.amdhsa_private_segment_fixed_size 0
		.amdhsa_kernarg_size 352
		.amdhsa_user_sgpr_count 2
		.amdhsa_user_sgpr_dispatch_ptr 0
		.amdhsa_user_sgpr_queue_ptr 0
		.amdhsa_user_sgpr_kernarg_segment_ptr 1
		.amdhsa_user_sgpr_dispatch_id 0
		.amdhsa_user_sgpr_kernarg_preload_length 0
		.amdhsa_user_sgpr_kernarg_preload_offset 0
		.amdhsa_user_sgpr_private_segment_size 0
		.amdhsa_wavefront_size32 1
		.amdhsa_uses_dynamic_stack 0
		.amdhsa_enable_private_segment 0
		.amdhsa_system_sgpr_workgroup_id_x 1
		.amdhsa_system_sgpr_workgroup_id_y 0
		.amdhsa_system_sgpr_workgroup_id_z 1
		.amdhsa_system_sgpr_workgroup_info 0
		.amdhsa_system_vgpr_workitem_id 1
		.amdhsa_next_free_vgpr 104
		.amdhsa_next_free_sgpr 105
		.amdhsa_named_barrier_count 0
		.amdhsa_reserve_vcc 1
		.amdhsa_float_round_mode_32 0
		.amdhsa_float_round_mode_16_64 0
		.amdhsa_float_denorm_mode_32 3
		.amdhsa_float_denorm_mode_16_64 3
		.amdhsa_fp16_overflow 0
		.amdhsa_memory_ordered 1
		.amdhsa_forward_progress 1
		.amdhsa_inst_pref_size 255
		.amdhsa_round_robin_scheduling 0
		.amdhsa_exception_fp_ieee_invalid_op 0
		.amdhsa_exception_fp_denorm_src 0
		.amdhsa_exception_fp_ieee_div_zero 0
		.amdhsa_exception_fp_ieee_overflow 0
		.amdhsa_exception_fp_ieee_underflow 0
		.amdhsa_exception_fp_ieee_inexact 0
		.amdhsa_exception_int_div_zero 0
	.end_amdhsa_kernel
	.section	.text._ZL19rocblas_trsv_deviceILi64ELi16ELb0ELb1ELb1ELb0EdPKdPKS1_PKPdEviT7_lllT6_T8_lllPii,"axG",@progbits,_ZL19rocblas_trsv_deviceILi64ELi16ELb0ELb1ELb1ELb0EdPKdPKS1_PKPdEviT7_lllT6_T8_lllPii,comdat
.Lfunc_end126:
	.size	_ZL19rocblas_trsv_deviceILi64ELi16ELb0ELb1ELb1ELb0EdPKdPKS1_PKPdEviT7_lllT6_T8_lllPii, .Lfunc_end126-_ZL19rocblas_trsv_deviceILi64ELi16ELb0ELb1ELb1ELb0EdPKdPKS1_PKPdEviT7_lllT6_T8_lllPii
                                        ; -- End function
	.set _ZL19rocblas_trsv_deviceILi64ELi16ELb0ELb1ELb1ELb0EdPKdPKS1_PKPdEviT7_lllT6_T8_lllPii.num_vgpr, 104
	.set _ZL19rocblas_trsv_deviceILi64ELi16ELb0ELb1ELb1ELb0EdPKdPKS1_PKPdEviT7_lllT6_T8_lllPii.num_agpr, 0
	.set _ZL19rocblas_trsv_deviceILi64ELi16ELb0ELb1ELb1ELb0EdPKdPKS1_PKPdEviT7_lllT6_T8_lllPii.numbered_sgpr, 105
	.set _ZL19rocblas_trsv_deviceILi64ELi16ELb0ELb1ELb1ELb0EdPKdPKS1_PKPdEviT7_lllT6_T8_lllPii.num_named_barrier, 0
	.set _ZL19rocblas_trsv_deviceILi64ELi16ELb0ELb1ELb1ELb0EdPKdPKS1_PKPdEviT7_lllT6_T8_lllPii.private_seg_size, 0
	.set _ZL19rocblas_trsv_deviceILi64ELi16ELb0ELb1ELb1ELb0EdPKdPKS1_PKPdEviT7_lllT6_T8_lllPii.uses_vcc, 1
	.set _ZL19rocblas_trsv_deviceILi64ELi16ELb0ELb1ELb1ELb0EdPKdPKS1_PKPdEviT7_lllT6_T8_lllPii.uses_flat_scratch, 0
	.set _ZL19rocblas_trsv_deviceILi64ELi16ELb0ELb1ELb1ELb0EdPKdPKS1_PKPdEviT7_lllT6_T8_lllPii.has_dyn_sized_stack, 0
	.set _ZL19rocblas_trsv_deviceILi64ELi16ELb0ELb1ELb1ELb0EdPKdPKS1_PKPdEviT7_lllT6_T8_lllPii.has_recursion, 0
	.set _ZL19rocblas_trsv_deviceILi64ELi16ELb0ELb1ELb1ELb0EdPKdPKS1_PKPdEviT7_lllT6_T8_lllPii.has_indirect_call, 0
	.section	.AMDGPU.csdata,"",@progbits
; Kernel info:
; codeLenInByte = 38272
; TotalNumSgprs: 107
; NumVgprs: 104
; ScratchSize: 0
; MemoryBound: 0
; FloatMode: 240
; IeeeMode: 1
; LDSByteSize: 41480 bytes/workgroup (compile time only)
; SGPRBlocks: 0
; VGPRBlocks: 6
; NumSGPRsForWavesPerEU: 107
; NumVGPRsForWavesPerEU: 104
; NamedBarCnt: 0
; Occupancy: 9
; WaveLimiterHint : 1
; COMPUTE_PGM_RSRC2:SCRATCH_EN: 0
; COMPUTE_PGM_RSRC2:USER_SGPR: 2
; COMPUTE_PGM_RSRC2:TRAP_HANDLER: 0
; COMPUTE_PGM_RSRC2:TGID_X_EN: 1
; COMPUTE_PGM_RSRC2:TGID_Y_EN: 0
; COMPUTE_PGM_RSRC2:TGID_Z_EN: 1
; COMPUTE_PGM_RSRC2:TIDIG_COMP_CNT: 1
	.section	.text._ZL19rocblas_trsv_deviceILi64ELi16ELb1ELb0ELb0ELb1EdPKdPKS1_PKPdEviT7_lllT6_T8_lllPii,"axG",@progbits,_ZL19rocblas_trsv_deviceILi64ELi16ELb1ELb0ELb0ELb1EdPKdPKS1_PKPdEviT7_lllT6_T8_lllPii,comdat
	.globl	_ZL19rocblas_trsv_deviceILi64ELi16ELb1ELb0ELb0ELb1EdPKdPKS1_PKPdEviT7_lllT6_T8_lllPii ; -- Begin function _ZL19rocblas_trsv_deviceILi64ELi16ELb1ELb0ELb0ELb1EdPKdPKS1_PKPdEviT7_lllT6_T8_lllPii
	.p2align	8
	.type	_ZL19rocblas_trsv_deviceILi64ELi16ELb1ELb0ELb0ELb1EdPKdPKS1_PKPdEviT7_lllT6_T8_lllPii,@function
_ZL19rocblas_trsv_deviceILi64ELi16ELb1ELb0ELb0ELb1EdPKdPKS1_PKPdEviT7_lllT6_T8_lllPii: ; @_ZL19rocblas_trsv_deviceILi64ELi16ELb1ELb0ELb0ELb1EdPKdPKS1_PKPdEviT7_lllT6_T8_lllPii
; %bb.0:
	s_load_b32 s6, s[0:1], 0x58
	s_bfe_u32 s2, ttmp6, 0x40014
	s_lshr_b32 s3, ttmp7, 16
	s_add_co_i32 s2, s2, 1
	s_bfe_u32 s5, ttmp6, 0x40008
	s_mul_i32 s4, s3, s2
	s_getreg_b32 s2, hwreg(HW_REG_IB_STS2, 6, 4)
	s_add_co_i32 s5, s5, s4
	s_cmp_eq_u32 s2, 0
	s_mov_b32 s67, 0
	s_cselect_b32 s66, s3, s5
                                        ; implicit-def: $vgpr93 : SGPR spill to VGPR lane
	s_wait_kmcnt 0x0
	s_cmp_ge_u32 s66, s6
	v_writelane_b32 v93, s6, 0
	s_cbranch_scc1 .LBB127_1055
; %bb.1:
	s_clause 0x3
	s_load_b32 s3, s[0:1], 0x6c
	s_load_b32 s95, s[0:1], 0x0
	s_load_b64 s[80:81], s[0:1], 0x18
	s_load_b256 s[68:75], s[0:1], 0x28
	s_bfe_u32 s5, ttmp6, 0x4000c
	s_and_b32 s4, ttmp6, 15
	s_add_co_i32 s5, s5, 1
	s_clause 0x1
	s_load_b64 s[82:83], s[0:1], 0x50
	s_load_b128 s[76:79], s[0:1], 0x8
	s_mul_i32 s5, ttmp9, s5
	v_bfe_u32 v2, v0, 10, 10
	s_add_co_i32 s4, s4, s5
	s_cmp_eq_u32 s2, 0
	v_and_b32_e32 v4, 0x3ff, v0
	s_cselect_b32 s96, ttmp9, s4
	v_dual_mov_b32 v1, 0 :: v_dual_lshrrev_b32 v3, 10, v0
	s_delay_alu instid0(VALU_DEP_2)
	v_dual_lshlrev_b32 v14, 6, v2 :: v_dual_lshlrev_b32 v53, 3, v4
	v_sub_co_u32 v5, s5, s96, 1
	s_wait_kmcnt 0x0
	s_add_co_i32 s0, s95, -1
	s_ashr_i32 s1, s95, 31
	s_and_b32 s2, s3, 0xffff
	s_ashr_i32 s3, s0, 31
	s_lshr_b32 s1, s1, 26
	s_lshr_b32 s3, s3, 26
	s_add_co_i32 s1, s95, s1
	s_add_co_i32 s0, s0, s3
	s_and_not1_b32 s1, s1, 63
	s_ashr_i32 s0, s0, 6
	s_sub_co_i32 s16, s95, s1
	s_cmp_eq_u32 s0, s96
	v_mov_b32_e32 v7, v1
	s_cselect_b32 s3, -1, 0
	s_cmp_lg_u32 s16, 0
	v_add_nc_u32_e32 v47, v14, v4
	s_cselect_b32 s4, -1, 0
	s_lshl_b32 s12, s96, 6
	s_delay_alu instid0(SALU_CYCLE_1) | instskip(SKIP_2) | instid1(VALU_DEP_3)
	v_dual_add_nc_u32 v16, s12, v2 :: v_dual_bitop2_b32 v6, v14, v4 bitop3:0x14
	v_dual_add_nc_u32 v8, s12, v4 :: v_dual_bitop2_b32 v15, v14, v4 bitop3:0x40
	v_and_b32_e32 v14, 3, v0
	v_lshrrev_b16 v17, 1, v6
	s_delay_alu instid0(VALU_DEP_4)
	v_subrev_nc_u32_e32 v12, 64, v16
	v_bitop3_b32 v46, v0, v3, 0x3ff bitop3:0xa8
	s_and_b32 s9, s4, s3
	v_lshlrev_b32_e32 v56, 3, v14
	v_mad_u32_u24 v6, v2, s2, v4
	v_ashrrev_i32_e32 v13, 31, v12
	s_xor_b32 s2, s5, -1
	s_ashr_i32 s13, s12, 31
	s_xor_b32 s98, s9, -1
	s_add_nc_u64 s[0:1], s[80:81], 1
	v_mul_u64_e32 v[10:11], s[80:81], v[12:13]
	v_add_nc_u16 v13, v15, v17
	v_and_b32_e32 v15, 1, v0
	v_ashrrev_i32_e32 v9, 31, v8
	s_cmp_gt_i32 s96, 4
	v_writelane_b32 v93, s2, 1
	v_and_b32_e32 v3, 0xffff, v13
	v_lshlrev_b32_e32 v13, 3, v15
	s_mul_u64 s[14:15], s[0:1], s[12:13]
	s_cselect_b32 s1, -1, 0
	v_cmp_gt_i32_e32 vcc_lo, s16, v4
	s_and_b32 s99, s1, s98
	v_lshl_or_b32 v51, v3, 9, v13
	v_lshrrev_b32_e32 v13, 2, v47
	v_cmp_eq_u32_e64 s2, 1, v15
	v_cmp_gt_u32_e64 s1, 4, v47
	v_lshl_add_u32 v50, v3, 3, 0x8000
	v_mul_u32_u24_e32 v52, 0x208, v3
	v_lshlrev_b32_e32 v3, 3, v13
	v_mul_u32_u24_e32 v54, 0x208, v13
	s_xor_b32 s3, s2, -1
	s_and_b32 s101, s2, s1
	s_and_b32 s100, s3, s1
	v_cmp_gt_u32_e64 s2, 16, v47
	v_lshl_or_b32 v57, v13, 9, v56
	v_and_b32_e32 v13, 7, v0
	v_add_nc_u32_e32 v55, 0x8000, v3
	v_sub_nc_u32_e32 v3, v54, v3
	v_cmp_eq_u32_e64 s3, 0, v14
	v_cmp_ne_u32_e64 s4, 0, v14
	v_cmp_eq_u32_e64 s5, 1, v14
	v_cmp_lt_u32_e64 s6, 1, v13
	v_dual_add_nc_u32 v58, v3, v56 :: v_dual_lshrrev_b32 v3, 3, v47
	s_and_b32 s102, s3, s2
	s_and_b32 s103, s4, s2
	v_cmp_lt_u32_e64 s3, 1, v14
	v_cmp_eq_u32_e64 s4, 2, v14
	s_and_b32 s104, s5, s2
	v_cmp_eq_u32_e64 s5, 3, v14
	v_and_b32_e32 v14, 0x1fff8, v47
	s_and_b32 vcc_hi, s3, s2
	s_and_b32 s31, s4, s2
	v_cmp_gt_u32_e64 s3, 64, v47
	v_cmp_eq_u32_e64 s4, 0, v13
	v_mul_u32_u24_e32 v59, 0x208, v3
	s_and_b32 s33, s5, s2
	v_cmp_ne_u32_e64 s5, 0, v13
	v_lshlrev_b32_e32 v60, 3, v13
	s_and_b32 s34, s4, s3
	v_cmp_eq_u32_e64 s4, 1, v13
	v_sub_nc_u32_e32 v15, v59, v14
	v_cmp_eq_u32_e64 s7, 2, v13
	v_cmp_lt_u32_e64 s8, 2, v13
	s_and_b32 s35, s5, s3
	s_and_b32 s36, s4, s3
	;; [unrolled: 1-line block ×3, first 2 shown]
	v_cmp_eq_u32_e64 s4, 3, v13
	v_cmp_lt_u32_e64 s5, 3, v13
	v_cmp_eq_u32_e64 s6, 4, v13
	v_lshl_or_b32 v62, v3, 9, v60
	v_dual_add_nc_u32 v63, v15, v60 :: v_dual_lshrrev_b32 v3, 4, v47
	s_and_b32 s38, s7, s3
	s_and_b32 s39, s8, s3
	v_cmp_lt_u32_e64 s7, 4, v13
	v_cmp_eq_u32_e64 s8, 5, v13
	s_and_b32 s40, s4, s3
	s_and_b32 s41, s5, s3
	;; [unrolled: 1-line block ×3, first 2 shown]
	v_cmp_lt_u32_e64 s4, 5, v13
	v_cmp_eq_u32_e64 s5, 6, v13
	v_cmp_eq_u32_e64 s6, 7, v13
	v_and_b32_e32 v13, 15, v0
	v_add_nc_u32_e32 v61, 0x8000, v14
	v_lshlrev_b32_e32 v14, 3, v3
	s_and_b32 s45, s4, s3
	s_and_b32 s46, s5, s3
	v_cmp_gt_u32_e64 s4, 0x100, v47
	v_cmp_eq_u32_e64 s5, 0, v13
	s_and_b32 s47, s6, s3
	v_cmp_ne_u32_e64 s6, 0, v13
	s_and_b32 s43, s7, s3
	v_cmp_eq_u32_e64 s7, 1, v13
	s_and_b32 s5, s5, s4
	s_and_b32 s44, s8, s3
	v_writelane_b32 v93, s5, 2
	s_and_b32 s6, s6, s4
	v_cmp_lt_u32_e64 s8, 1, v13
	v_cmp_eq_u32_e64 s5, 2, v13
	v_mul_u32_u24_e32 v64, 0x208, v3
	v_writelane_b32 v93, s6, 3
	s_and_b32 s6, s7, s4
	v_cmp_lt_u32_e64 s7, 3, v13
	s_and_b32 s5, s5, s4
	v_dual_lshlrev_b32 v65, 3, v13 :: v_dual_sub_nc_u32 v15, v64, v14
	v_writelane_b32 v93, s6, 4
	s_and_b32 s6, s8, s4
	v_cmp_eq_u32_e64 s8, 4, v13
	s_and_b32 s19, s7, s4
	v_cmp_eq_u32_e64 s7, 6, v13
	v_writelane_b32 v93, s6, 5
	v_cmp_lt_u32_e64 s6, 2, v13
	s_and_b32 s21, s8, s4
	v_cmp_lt_u32_e64 s8, 6, v13
	s_and_b32 s29, s7, s4
	v_writelane_b32 v93, s5, 6
	v_cmp_eq_u32_e64 s5, 3, v13
	s_and_b32 s53, s6, s4
	v_cmp_lt_u32_e64 s6, 4, v13
	s_and_b32 s57, s8, s4
	v_cmp_eq_u32_e64 s8, 9, v13
	s_and_b32 s54, s5, s4
	v_cmp_eq_u32_e64 s5, 5, v13
	s_and_b32 s23, s6, s4
	v_cmp_lt_u32_e64 s6, 5, v13
	s_and_b32 s62, s8, s4
	v_cmp_lt_u32_e64 s8, 11, v13
	s_and_b32 s25, s5, s4
	v_cmp_eq_u32_e64 s5, 7, v13
	s_and_b32 s27, s6, s4
	v_cmp_lt_u32_e64 s6, 7, v13
	v_cmp_lt_u32_e64 s7, 8, v13
	s_and_b32 s24, s8, s4
	s_and_b32 s58, s5, s4
	v_cmp_eq_u32_e64 s5, 8, v13
	s_and_b32 s59, s6, s4
	v_cmp_lt_u32_e64 s6, 9, v13
	v_cmp_eq_u32_e64 s8, 14, v13
	s_and_b32 s61, s7, s4
	s_and_b32 s60, s5, s4
	v_cmp_eq_u32_e64 s5, 10, v13
	s_and_b32 s63, s6, s4
	v_cmp_lt_u32_e64 s6, 10, v13
	v_cmp_eq_u32_e64 s7, 11, v13
	s_and_b32 s48, s8, s4
	s_and_b32 s64, s5, s4
	v_cmp_eq_u32_e64 s5, 12, v13
	s_and_b32 s20, s6, s4
	v_cmp_lt_u32_e64 s6, 12, v13
	v_cmp_le_i32_e64 s8, s16, v4
	s_and_b32 s22, s7, s4
	s_and_b32 s26, s5, s4
	v_cmp_eq_u32_e64 s5, 13, v13
	s_and_b32 s28, s6, s4
	v_cmp_eq_u32_e64 s6, 15, v13
	v_cmp_lt_u32_e64 s7, 13, v13
	s_and_b32 s50, s8, s9
	s_and_b32 s97, s5, s4
	v_cmp_eq_u32_e64 s5, 0, v2
	v_lshl_or_b32 v67, v3, 9, v65
	v_dual_add_nc_u32 v68, v15, v65 :: v_dual_lshrrev_b32 v3, 5, v47
	s_and_b32 s49, s6, s4
	s_xor_b32 s6, s50, -1
	s_and_b32 s94, s7, s4
	s_and_b32 s51, s5, s6
	s_cmp_gt_i32 s96, 0
	v_cmp_gt_i32_e64 s0, s95, v8
	v_dual_lshlrev_b32 v70, 3, v3 :: v_dual_bitop2_b32 v69, 31, v0 bitop3:0x40
	v_lshlrev_b32_e32 v71, 9, v3
	s_cselect_b32 s52, -1, 0
	v_subrev_nc_u32_e32 v3, 48, v16
	s_and_b32 s6, s5, vcc_lo
	v_cmp_gt_i32_e32 vcc_lo, s95, v12
	v_writelane_b32 v93, s6, 7
	v_add_nc_u32_e32 v66, 0x8000, v14
	v_add_nc_u64_e32 v[14:15], s[12:13], v[6:7]
	v_subrev_nc_u32_e32 v7, 32, v16
	v_cmp_gt_i32_e64 s6, s95, v3
	s_and_b32 s11, s0, vcc_lo
	v_dual_add_nc_u32 v40, 48, v2 :: v_dual_add_nc_u32 v13, -16, v16
	v_writelane_b32 v93, s11, 8
	v_cmp_gt_i32_e64 s7, s95, v7
	s_and_b32 s6, s0, s6
	v_lshlrev_b32_e32 v17, 3, v69
	v_cmp_gt_i32_e64 s9, s95, v13
	v_writelane_b32 v93, s6, 9
	s_and_b32 s6, s0, s7
	v_cmp_le_u32_e64 s13, v4, v2
	v_cmp_le_i32_e32 vcc_lo, s16, v2
	v_dual_add_nc_u32 v44, 16, v2 :: v_dual_bitop2_b32 v73, v71, v17 bitop3:0x54
	v_writelane_b32 v93, s6, 10
	s_and_b32 s6, s0, s9
	v_lshl_add_u32 v74, v2, 3, 0xa000
	v_add_nc_u32_e32 v42, 32, v2
	v_cmp_le_u32_e64 s17, v4, v44
	v_writelane_b32 v93, s6, 11
	s_or_b32 s6, vcc_lo, s8
	v_add_nc_u32_e32 v79, v74, v53
	s_or_b32 s6, s6, s13
	v_cmp_le_i32_e64 s9, s16, v44
	v_writelane_b32 v93, s13, 12
	v_cmp_le_i32_e64 s11, s16, v42
	v_dual_add_nc_u32 v0, s12, v6 :: v_dual_bitop2_b32 v48, v44, v4 bitop3:0x54
	s_or_b32 s7, s9, s8
	v_writelane_b32 v93, s6, 13
	s_or_b32 s6, s7, s17
	s_or_b32 s9, s11, s8
	v_cmp_le_u32_e64 s11, v4, v42
	v_cmp_le_i32_e64 s12, s16, v40
	v_writelane_b32 v93, s17, 14
                                        ; implicit-def: $vgpr92 : SGPR spill to VGPR lane
	v_dual_mov_b32 v45, v1 :: v_dual_add_nc_u32 v72, 0x8000, v70
	v_mov_b32_e32 v3, v1
	s_or_b32 s8, s12, s8
	v_writelane_b32 v93, s6, 15
	s_or_b32 s6, s9, s11
	v_cmp_le_u32_e64 s12, v4, v40
	v_dual_mov_b32 v43, v1 :: v_dual_bitop2_b32 v49, v42, v4 bitop3:0x54
	v_writelane_b32 v93, s11, 16
	v_mov_b32_e32 v41, v1
	v_mul_u64_e32 v[12:13], s[74:75], v[14:15]
	v_or_b32_e32 v80, 0x4100, v17
	v_lshlrev_b32_e32 v14, 3, v4
	v_writelane_b32 v93, s6, 17
	s_or_b32 s6, s8, s12
	v_mul_u64_e32 v[16:17], s[74:75], v[8:9]
	v_mul_u64_e32 v[18:19], s[74:75], v[0:1]
	;; [unrolled: 1-line block ×3, first 2 shown]
	v_writelane_b32 v93, s12, 18
	v_mul_u64_e32 v[22:23], s[80:81], v[44:45]
	v_mul_u64_e32 v[24:25], s[80:81], v[42:43]
	;; [unrolled: 1-line block ×3, first 2 shown]
	v_cmp_lt_u32_e64 s10, 0x3ff, v47
	v_writelane_b32 v93, s6, 19
	v_cmp_gt_u32_e64 s6, 0xf0, v47
	v_dual_mov_b32 v15, v1 :: v_dual_bitop2_b32 v83, v40, v4 bitop3:0x54
	v_mov_b64_e32 v[28:29], 0
	v_mov_b64_e32 v[30:31], 1.0
	s_delay_alu instid0(VALU_DEP_4)
	v_writelane_b32 v93, s6, 20
	v_cmp_gt_u32_e64 s6, 0xe0, v47
	v_lshl_add_u32 v75, v6, 3, 0xa000
	v_lshl_add_u32 v76, v47, 3, 0x8000
	v_add_nc_u32_e32 v77, 0x8000, v53
	v_lshl_add_u32 v78, v2, 9, v53
	v_writelane_b32 v93, s6, 21
	v_cmp_gt_u32_e64 s6, 0xd0, v47
	v_lshl_add_u32 v7, v44, 9, v53
	s_lshl_b64 s[84:85], s[14:15], 3
	s_xor_b32 s7, s10, -1
	v_lshl_add_u32 v81, v42, 9, v53
	v_writelane_b32 v93, s6, 22
	v_cmp_gt_u32_e64 s6, 0xc0, v47
	v_lshl_add_u32 v82, v40, 9, v53
	v_cmp_eq_u32_e64 s10, 0, v46
	v_cmp_gt_u32_e64 s11, 2, v47
	v_cmp_gt_u32_e64 s12, 12, v47
	v_writelane_b32 v93, s6, 23
	v_cmp_gt_u32_e64 s6, 0xb0, v47
	v_cmp_gt_u32_e64 s13, 8, v47
	;; [unrolled: 1-line block ×5, first 2 shown]
	v_writelane_b32 v93, s6, 24
	v_cmp_gt_u32_e64 s6, 0xa0, v47
	v_cmp_gt_u32_e64 s17, 32, v47
	;; [unrolled: 1-line block ×4, first 2 shown]
	v_cmp_eq_u32_e64 s55, 0, v6
	v_writelane_b32 v93, s6, 25
	v_cmp_gt_u32_e64 s6, 0x90, v47
	v_cmp_gt_u32_e64 s56, 64, v6
	s_lshl_b64 s[86:87], s[80:81], 7
	s_lshl_b64 s[88:89], s[80:81], 8
	s_mul_u64 s[90:91], s[80:81], 0x180
	v_writelane_b32 v93, s6, 26
	v_cmp_gt_u32_e64 s6, 0x80, v47
	s_lshl_b64 s[78:79], s[78:79], 3
	s_lshl_b64 s[72:73], s[72:73], 3
                                        ; implicit-def: $vgpr32_vgpr33
                                        ; implicit-def: $vgpr34_vgpr35
                                        ; implicit-def: $vgpr36_vgpr37
                                        ; implicit-def: $vgpr38_vgpr39
	v_writelane_b32 v93, s6, 27
	v_cmp_gt_u32_e64 s6, 0x70, v47
	s_delay_alu instid0(VALU_DEP_1) | instskip(SKIP_1) | instid1(VALU_DEP_1)
	v_writelane_b32 v93, s6, 28
	v_cmp_gt_u32_e64 s6, 0x60, v47
	v_writelane_b32 v93, s6, 29
	v_cmp_gt_u32_e64 s6, 0x50, v47
	s_delay_alu instid0(VALU_DEP_1) | instskip(SKIP_1) | instid1(VALU_DEP_1)
	v_writelane_b32 v93, s6, 30
	v_cmp_gt_u32_e64 s6, 0x3e0, v47
	v_writelane_b32 v93, s6, 31
	v_cmp_gt_u32_e64 s6, 0x3c0, v47
	s_delay_alu instid0(VALU_DEP_1) | instskip(SKIP_1) | instid1(VALU_DEP_1)
	v_writelane_b32 v92, s6, 0
	v_cmp_gt_u32_e64 s6, 0x3a0, v47
	v_writelane_b32 v92, s6, 1
	v_cmp_gt_u32_e64 s6, 0x380, v47
	s_delay_alu instid0(VALU_DEP_1) | instskip(SKIP_1) | instid1(VALU_DEP_1)
	v_writelane_b32 v92, s6, 2
	v_cmp_gt_u32_e64 s6, 0x360, v47
	v_writelane_b32 v92, s6, 3
	v_cmp_gt_u32_e64 s6, 0x340, v47
	s_delay_alu instid0(VALU_DEP_1) | instskip(SKIP_1) | instid1(VALU_DEP_1)
	v_writelane_b32 v92, s6, 4
	v_cmp_gt_u32_e64 s6, 0x320, v47
	v_writelane_b32 v92, s6, 5
	v_cmp_gt_u32_e64 s6, 0x300, v47
	s_delay_alu instid0(VALU_DEP_1) | instskip(SKIP_1) | instid1(VALU_DEP_1)
	v_writelane_b32 v92, s6, 6
	v_cmp_gt_u32_e64 s6, 0x2e0, v47
	v_writelane_b32 v92, s6, 7
	v_cmp_gt_u32_e64 s6, 0x2c0, v47
	s_delay_alu instid0(VALU_DEP_1) | instskip(SKIP_1) | instid1(VALU_DEP_1)
	v_writelane_b32 v92, s6, 8
	v_cmp_gt_u32_e64 s6, 0x2a0, v47
	v_writelane_b32 v92, s6, 9
	v_cmp_gt_u32_e64 s6, 0x280, v47
	s_delay_alu instid0(VALU_DEP_1) | instskip(SKIP_1) | instid1(VALU_DEP_1)
	v_writelane_b32 v92, s6, 10
	v_cmp_gt_u32_e64 s6, 0x260, v47
	v_writelane_b32 v92, s6, 11
	v_cmp_gt_u32_e64 s6, 0x240, v47
	s_delay_alu instid0(VALU_DEP_1) | instskip(SKIP_1) | instid1(VALU_DEP_1)
	v_writelane_b32 v92, s6, 12
	v_cmp_gt_u32_e64 s6, 0x220, v47
	v_writelane_b32 v92, s6, 13
	v_cmp_gt_u32_e64 s6, 0x200, v47
	s_delay_alu instid0(VALU_DEP_1) | instskip(SKIP_1) | instid1(VALU_DEP_1)
	v_writelane_b32 v92, s6, 14
	v_cmp_gt_u32_e64 s6, 0x1e0, v47
	v_writelane_b32 v92, s6, 15
	v_cmp_gt_u32_e64 s6, 0x1c0, v47
	s_delay_alu instid0(VALU_DEP_1) | instskip(SKIP_1) | instid1(VALU_DEP_1)
	v_writelane_b32 v92, s6, 16
	v_cmp_gt_u32_e64 s6, 0x1a0, v47
	v_writelane_b32 v92, s6, 17
	v_cmp_gt_u32_e64 s6, 0x180, v47
	s_delay_alu instid0(VALU_DEP_1) | instskip(SKIP_1) | instid1(VALU_DEP_1)
	v_writelane_b32 v92, s6, 18
	v_cmp_gt_u32_e64 s6, 0x160, v47
	v_writelane_b32 v92, s6, 19
	v_cmp_gt_u32_e64 s6, 0x140, v47
	s_delay_alu instid0(VALU_DEP_1) | instskip(SKIP_1) | instid1(VALU_DEP_1)
	v_writelane_b32 v92, s6, 20
	v_cmp_gt_u32_e64 s6, 0x120, v47
	v_writelane_b32 v92, s6, 21
	v_cmp_ge_u32_e64 s6, v4, v2
	s_delay_alu instid0(VALU_DEP_1) | instskip(SKIP_1) | instid1(VALU_DEP_1)
	v_writelane_b32 v92, s6, 22
	v_cmp_ge_u32_e64 s6, v4, v44
	v_writelane_b32 v92, s6, 23
	v_cmp_ge_u32_e64 s6, v4, v42
	s_delay_alu instid0(VALU_DEP_1) | instskip(SKIP_1) | instid1(VALU_DEP_1)
	v_writelane_b32 v92, s6, 24
	v_cmp_ge_u32_e64 s6, v4, v40
	v_writelane_b32 v92, s6, 25
	v_cmp_gt_u32_e64 s6, 64, v46
	s_delay_alu instid0(VALU_DEP_1) | instskip(SKIP_1) | instid1(VALU_DEP_1)
	v_writelane_b32 v92, s6, 26
	v_cmp_gt_u32_e64 s6, 64, v48
	v_writelane_b32 v92, s6, 27
	v_cmp_gt_u32_e64 s6, 64, v49
	s_delay_alu instid0(VALU_DEP_1) | instskip(SKIP_1) | instid1(VALU_DEP_1)
	v_writelane_b32 v92, s6, 28
	v_cmp_gt_u32_e64 s6, 64, v83
	v_writelane_b32 v92, s6, 29
	s_branch .LBB127_3
.LBB127_2:                              ;   in Loop: Header=BB127_3 Depth=1
	s_wait_xcnt 0x0
	s_or_b32 exec_lo, exec_lo, s6
	v_readlane_b32 s6, v93, 0
	s_add_co_i32 s66, s66, 0x10000
	global_wb scope:SCOPE_DEV
	s_wait_storecnt 0x0
	global_inv scope:SCOPE_DEV
	s_cmp_lt_u32 s66, s6
	s_cbranch_scc0 .LBB127_1055
.LBB127_3:                              ; =>This Loop Header: Depth=1
                                        ;     Child Loop BB127_518 Depth 2
                                        ;     Child Loop BB127_935 Depth 2
                                        ;       Child Loop BB127_937 Depth 3
                                        ;     Child Loop BB127_975 Depth 2
	v_mov_b32_e32 v0, s66
	v_readlane_b32 s6, v93, 1
	s_clause 0x1
	global_load_b64 v[40:41], v0, s[76:77] scale_offset
	global_load_b64 v[44:45], v0, s[70:71] scale_offset
	global_load_b64 v[42:43], v1, s[68:69]
	s_and_not1_b32 vcc_lo, exec_lo, s6
	s_wait_loadcnt 0x2
	v_add_nc_u64_e32 v[40:41], s[78:79], v[40:41]
	s_cbranch_vccnz .LBB127_13
; %bb.4:                                ;   in Loop: Header=BB127_3 Depth=1
	s_delay_alu instid0(VALU_DEP_1)
	v_lshl_add_u64 v[36:37], v[10:11], 3, v[40:41]
	v_mov_b64_e32 v[34:35], 0
	v_mov_b64_e32 v[32:33], 0
	s_wait_loadcnt 0x0
	s_barrier_signal -1
	v_lshl_add_u64 v[46:47], v[8:9], 3, v[36:37]
	s_barrier_wait -1
	s_wait_xcnt 0x0
	s_mov_b32 s6, exec_lo
	v_readlane_b32 s8, v93, 8
	s_and_b32 s8, s6, s8
	s_delay_alu instid0(SALU_CYCLE_1)
	s_mov_b32 exec_lo, s8
	s_cbranch_execz .LBB127_6
; %bb.5:                                ;   in Loop: Header=BB127_3 Depth=1
	flat_load_b64 v[32:33], v[46:47]
.LBB127_6:                              ;   in Loop: Header=BB127_3 Depth=1
	s_wait_xcnt 0x0
	s_or_b32 exec_lo, exec_lo, s6
	s_wait_loadcnt_dscnt 0x0
	s_barrier_signal -1
	s_barrier_wait -1
	s_mov_b32 s6, exec_lo
	v_readlane_b32 s8, v93, 9
	s_and_b32 s8, s6, s8
	s_delay_alu instid0(SALU_CYCLE_1)
	s_mov_b32 exec_lo, s8
	s_cbranch_execz .LBB127_8
; %bb.7:                                ;   in Loop: Header=BB127_3 Depth=1
	v_add_nc_u64_e32 v[34:35], s[86:87], v[46:47]
	flat_load_b64 v[34:35], v[34:35]
.LBB127_8:                              ;   in Loop: Header=BB127_3 Depth=1
	s_wait_xcnt 0x0
	s_or_b32 exec_lo, exec_lo, s6
	v_mov_b64_e32 v[38:39], 0
	v_mov_b64_e32 v[36:37], 0
	s_wait_loadcnt_dscnt 0x0
	s_barrier_signal -1
	s_barrier_wait -1
	s_mov_b32 s6, exec_lo
	v_readlane_b32 s8, v93, 10
	s_and_b32 s8, s6, s8
	s_delay_alu instid0(SALU_CYCLE_1)
	s_mov_b32 exec_lo, s8
	s_cbranch_execz .LBB127_10
; %bb.9:                                ;   in Loop: Header=BB127_3 Depth=1
	v_add_nc_u64_e32 v[36:37], s[88:89], v[46:47]
	flat_load_b64 v[36:37], v[36:37]
.LBB127_10:                             ;   in Loop: Header=BB127_3 Depth=1
	s_wait_xcnt 0x0
	s_or_b32 exec_lo, exec_lo, s6
	s_wait_loadcnt_dscnt 0x0
	s_barrier_signal -1
	s_barrier_wait -1
	s_mov_b32 s6, exec_lo
	v_readlane_b32 s8, v93, 11
	s_and_b32 s8, s6, s8
	s_delay_alu instid0(SALU_CYCLE_1)
	s_mov_b32 exec_lo, s8
	s_cbranch_execz .LBB127_12
; %bb.11:                               ;   in Loop: Header=BB127_3 Depth=1
	v_add_nc_u64_e32 v[38:39], s[90:91], v[46:47]
	flat_load_b64 v[38:39], v[38:39]
.LBB127_12:                             ;   in Loop: Header=BB127_3 Depth=1
	s_wait_xcnt 0x0
	s_or_b32 exec_lo, exec_lo, s6
.LBB127_13:                             ;   in Loop: Header=BB127_3 Depth=1
	s_delay_alu instid0(VALU_DEP_1) | instskip(SKIP_2) | instid1(VALU_DEP_1)
	v_add_nc_u64_e32 v[46:47], s[84:85], v[40:41]
	s_and_not1_b32 vcc_lo, exec_lo, s98
	s_mov_b32 s6, -1
	v_add_nc_u64_e32 v[46:47], v[46:47], v[14:15]
	s_cbranch_vccnz .LBB127_37
; %bb.14:                               ;   in Loop: Header=BB127_3 Depth=1
	s_mov_b32 s8, 0
	s_wait_xcnt 0x0
	s_mov_b32 s6, exec_lo
	v_readlane_b32 s9, v93, 12
	s_and_b32 s9, s6, s9
	s_delay_alu instid0(SALU_CYCLE_1)
	s_xor_b32 s6, s9, s6
	s_mov_b32 exec_lo, s9
	s_cbranch_execnz .LBB127_996
; %bb.15:                               ;   in Loop: Header=BB127_3 Depth=1
	s_or_saveexec_b32 s9, s6
	v_mov_b64_e32 v[48:49], 0
	s_xor_b32 exec_lo, exec_lo, s9
	s_cbranch_execnz .LBB127_997
.LBB127_16:                             ;   in Loop: Header=BB127_3 Depth=1
	s_or_b32 exec_lo, exec_lo, s9
	s_and_saveexec_b32 s6, s8
.LBB127_17:                             ;   in Loop: Header=BB127_3 Depth=1
	ds_store_b64 v78, v[48:49]
.LBB127_18:                             ;   in Loop: Header=BB127_3 Depth=1
	s_or_b32 exec_lo, exec_lo, s6
	v_readlane_b32 s8, v93, 14
	s_and_saveexec_b32 s6, s8
	s_delay_alu instid0(SALU_CYCLE_1)
	s_xor_b32 s8, exec_lo, s6
	s_cbranch_execz .LBB127_22
; %bb.19:                               ;   in Loop: Header=BB127_3 Depth=1
	s_mov_b32 s6, exec_lo
	v_readlane_b32 s9, v92, 27
	s_and_b32 s9, s6, s9
	s_delay_alu instid0(SALU_CYCLE_1)
	s_mov_b32 exec_lo, s9
; %bb.20:                               ;   in Loop: Header=BB127_3 Depth=1
	ds_store_b64 v7, v[28:29]
; %bb.21:                               ;   in Loop: Header=BB127_3 Depth=1
	s_or_b32 exec_lo, exec_lo, s6
.LBB127_22:                             ;   in Loop: Header=BB127_3 Depth=1
	s_and_not1_saveexec_b32 s8, s8
	s_cbranch_execz .LBB127_24
; %bb.23:                               ;   in Loop: Header=BB127_3 Depth=1
	v_lshl_add_u64 v[48:49], v[22:23], 3, v[46:47]
	flat_load_b64 v[48:49], v[48:49]
	s_wait_loadcnt_dscnt 0x0
	v_xor_b32_e32 v49, 0x80000000, v49
	ds_store_b64 v7, v[48:49]
.LBB127_24:                             ;   in Loop: Header=BB127_3 Depth=1
	s_or_b32 exec_lo, exec_lo, s8
	v_readlane_b32 s8, v93, 16
	s_and_saveexec_b32 s6, s8
	s_delay_alu instid0(SALU_CYCLE_1)
	s_xor_b32 s8, exec_lo, s6
	s_cbranch_execz .LBB127_28
; %bb.25:                               ;   in Loop: Header=BB127_3 Depth=1
	s_mov_b32 s6, exec_lo
	v_readlane_b32 s9, v92, 28
	s_and_b32 s9, s6, s9
	s_delay_alu instid0(SALU_CYCLE_1)
	s_mov_b32 exec_lo, s9
; %bb.26:                               ;   in Loop: Header=BB127_3 Depth=1
	ds_store_b64 v81, v[28:29]
; %bb.27:                               ;   in Loop: Header=BB127_3 Depth=1
	s_or_b32 exec_lo, exec_lo, s6
.LBB127_28:                             ;   in Loop: Header=BB127_3 Depth=1
	s_and_not1_saveexec_b32 s8, s8
	s_cbranch_execz .LBB127_30
; %bb.29:                               ;   in Loop: Header=BB127_3 Depth=1
	v_lshl_add_u64 v[48:49], v[24:25], 3, v[46:47]
	flat_load_b64 v[48:49], v[48:49]
	s_wait_loadcnt_dscnt 0x0
	v_xor_b32_e32 v49, 0x80000000, v49
	ds_store_b64 v81, v[48:49]
.LBB127_30:                             ;   in Loop: Header=BB127_3 Depth=1
	;; [unrolled: 26-line block ×3, first 2 shown]
	s_or_b32 exec_lo, exec_lo, s8
	s_mov_b32 s6, 0
.LBB127_37:                             ;   in Loop: Header=BB127_3 Depth=1
	s_delay_alu instid0(SALU_CYCLE_1)
	s_and_b32 vcc_lo, exec_lo, s6
	s_cbranch_vccz .LBB127_61
; %bb.38:                               ;   in Loop: Header=BB127_3 Depth=1
	s_mov_b32 s8, 0
	s_wait_xcnt 0x0
	s_mov_b32 s6, exec_lo
	v_readlane_b32 s9, v93, 13
	s_and_b32 s9, s6, s9
	s_delay_alu instid0(SALU_CYCLE_1)
	s_xor_b32 s6, s9, s6
	s_mov_b32 exec_lo, s9
	s_cbranch_execnz .LBB127_998
; %bb.39:                               ;   in Loop: Header=BB127_3 Depth=1
	s_or_saveexec_b32 s9, s6
	v_mov_b64_e32 v[48:49], 0
	s_xor_b32 exec_lo, exec_lo, s9
	s_cbranch_execnz .LBB127_999
.LBB127_40:                             ;   in Loop: Header=BB127_3 Depth=1
	s_or_b32 exec_lo, exec_lo, s9
	s_and_saveexec_b32 s6, s8
.LBB127_41:                             ;   in Loop: Header=BB127_3 Depth=1
	ds_store_b64 v78, v[48:49]
.LBB127_42:                             ;   in Loop: Header=BB127_3 Depth=1
	s_or_b32 exec_lo, exec_lo, s6
	v_readlane_b32 s8, v93, 15
	s_and_saveexec_b32 s6, s8
	s_delay_alu instid0(SALU_CYCLE_1)
	s_xor_b32 s8, exec_lo, s6
	s_cbranch_execz .LBB127_46
; %bb.43:                               ;   in Loop: Header=BB127_3 Depth=1
	s_mov_b32 s6, exec_lo
	v_readlane_b32 s9, v92, 27
	s_and_b32 s9, s6, s9
	s_delay_alu instid0(SALU_CYCLE_1)
	s_mov_b32 exec_lo, s9
; %bb.44:                               ;   in Loop: Header=BB127_3 Depth=1
	ds_store_b64 v7, v[28:29]
; %bb.45:                               ;   in Loop: Header=BB127_3 Depth=1
	s_or_b32 exec_lo, exec_lo, s6
.LBB127_46:                             ;   in Loop: Header=BB127_3 Depth=1
	s_and_not1_saveexec_b32 s8, s8
	s_cbranch_execz .LBB127_48
; %bb.47:                               ;   in Loop: Header=BB127_3 Depth=1
	v_lshl_add_u64 v[48:49], v[22:23], 3, v[46:47]
	flat_load_b64 v[48:49], v[48:49]
	s_wait_loadcnt_dscnt 0x0
	v_xor_b32_e32 v49, 0x80000000, v49
	ds_store_b64 v7, v[48:49]
.LBB127_48:                             ;   in Loop: Header=BB127_3 Depth=1
	s_or_b32 exec_lo, exec_lo, s8
	v_readlane_b32 s8, v93, 17
	s_and_saveexec_b32 s6, s8
	s_delay_alu instid0(SALU_CYCLE_1)
	s_xor_b32 s8, exec_lo, s6
	s_cbranch_execz .LBB127_52
; %bb.49:                               ;   in Loop: Header=BB127_3 Depth=1
	s_mov_b32 s6, exec_lo
	v_readlane_b32 s9, v92, 28
	s_and_b32 s9, s6, s9
	s_delay_alu instid0(SALU_CYCLE_1)
	s_mov_b32 exec_lo, s9
; %bb.50:                               ;   in Loop: Header=BB127_3 Depth=1
	ds_store_b64 v81, v[28:29]
; %bb.51:                               ;   in Loop: Header=BB127_3 Depth=1
	s_or_b32 exec_lo, exec_lo, s6
.LBB127_52:                             ;   in Loop: Header=BB127_3 Depth=1
	s_and_not1_saveexec_b32 s8, s8
	s_cbranch_execz .LBB127_54
; %bb.53:                               ;   in Loop: Header=BB127_3 Depth=1
	v_lshl_add_u64 v[48:49], v[24:25], 3, v[46:47]
	flat_load_b64 v[48:49], v[48:49]
	s_wait_loadcnt_dscnt 0x0
	v_xor_b32_e32 v49, 0x80000000, v49
	ds_store_b64 v81, v[48:49]
.LBB127_54:                             ;   in Loop: Header=BB127_3 Depth=1
	s_or_b32 exec_lo, exec_lo, s8
	v_readlane_b32 s8, v93, 19
	s_and_saveexec_b32 s6, s8
	s_delay_alu instid0(SALU_CYCLE_1)
	s_xor_b32 s8, exec_lo, s6
	s_cbranch_execz .LBB127_58
; %bb.55:                               ;   in Loop: Header=BB127_3 Depth=1
	s_mov_b32 s6, exec_lo
	v_readlane_b32 s9, v92, 29
	s_and_b32 s9, s6, s9
	s_delay_alu instid0(SALU_CYCLE_1)
	s_mov_b32 exec_lo, s9
; %bb.56:                               ;   in Loop: Header=BB127_3 Depth=1
	ds_store_b64 v82, v[28:29]
; %bb.57:                               ;   in Loop: Header=BB127_3 Depth=1
	s_or_b32 exec_lo, exec_lo, s6
                                        ; implicit-def: $vgpr46_vgpr47
.LBB127_58:                             ;   in Loop: Header=BB127_3 Depth=1
	s_and_not1_saveexec_b32 s8, s8
	s_cbranch_execz .LBB127_60
; %bb.59:                               ;   in Loop: Header=BB127_3 Depth=1
	v_lshl_add_u64 v[46:47], v[26:27], 3, v[46:47]
	flat_load_b64 v[46:47], v[46:47]
	s_wait_loadcnt_dscnt 0x0
	v_xor_b32_e32 v47, 0x80000000, v47
	ds_store_b64 v82, v[46:47]
.LBB127_60:                             ;   in Loop: Header=BB127_3 Depth=1
	s_or_b32 exec_lo, exec_lo, s8
.LBB127_61:                             ;   in Loop: Header=BB127_3 Depth=1
	s_delay_alu instid0(SALU_CYCLE_1)
	s_and_not1_b32 vcc_lo, exec_lo, s99
	s_wait_loadcnt_dscnt 0x0
	s_barrier_signal -1
	s_barrier_wait -1
	s_cbranch_vccnz .LBB127_929
; %bb.62:                               ;   in Loop: Header=BB127_3 Depth=1
	s_wait_xcnt 0x0
	s_and_saveexec_b32 s6, s10
; %bb.63:                               ;   in Loop: Header=BB127_3 Depth=1
	ds_store_2addr_b64 v1, v[30:31], v[30:31] offset1:65
; %bb.64:                               ;   in Loop: Header=BB127_3 Depth=1
	s_or_b32 exec_lo, exec_lo, s6
	v_mov_b64_e32 v[46:47], 0
	s_wait_dscnt 0x0
	s_barrier_signal -1
	s_barrier_wait -1
	s_and_saveexec_b32 s8, s1
	s_cbranch_execz .LBB127_68
; %bb.65:                               ;   in Loop: Header=BB127_3 Depth=1
	ds_load_b64 v[46:47], v51 offset:16
	ds_load_b64 v[48:49], v52
	s_wait_dscnt 0x0
	v_fma_f64 v[46:47], v[46:47], v[48:49], 0
	s_and_saveexec_b32 s6, s11
	s_cbranch_execz .LBB127_67
; %bb.66:                               ;   in Loop: Header=BB127_3 Depth=1
	ds_load_b64 v[48:49], v53 offset:528
	ds_load_b64 v[84:85], v1 offset:8
	s_wait_dscnt 0x0
	v_fmac_f64_e32 v[46:47], v[48:49], v[84:85]
.LBB127_67:                             ;   in Loop: Header=BB127_3 Depth=1
	s_or_b32 exec_lo, exec_lo, s6
	s_delay_alu instid0(VALU_DEP_1)
	v_xor_b32_e32 v47, 0x80000000, v47
.LBB127_68:                             ;   in Loop: Header=BB127_3 Depth=1
	s_or_b32 exec_lo, exec_lo, s8
	s_and_saveexec_b32 s6, s100
; %bb.69:                               ;   in Loop: Header=BB127_3 Depth=1
	ds_store_b64 v50, v[46:47]
; %bb.70:                               ;   in Loop: Header=BB127_3 Depth=1
	s_or_b32 exec_lo, exec_lo, s6
	s_wait_dscnt 0x0
	s_barrier_signal -1
	s_barrier_wait -1
	s_and_saveexec_b32 s6, s101
	s_cbranch_execz .LBB127_72
; %bb.71:                               ;   in Loop: Header=BB127_3 Depth=1
	ds_load_b64 v[48:49], v1 offset:1048
	ds_load_b64 v[84:85], v50
	s_wait_dscnt 0x0
	v_fmac_f64_e32 v[46:47], v[48:49], v[84:85]
.LBB127_72:                             ;   in Loop: Header=BB127_3 Depth=1
	s_or_b32 exec_lo, exec_lo, s6
	s_barrier_signal -1
	s_barrier_wait -1
	s_and_saveexec_b32 s6, s101
; %bb.73:                               ;   in Loop: Header=BB127_3 Depth=1
	ds_store_b64 v50, v[46:47]
; %bb.74:                               ;   in Loop: Header=BB127_3 Depth=1
	s_or_b32 exec_lo, exec_lo, s6
	s_wait_dscnt 0x0
	s_barrier_signal -1
	s_barrier_wait -1
	s_barrier_signal -1
	s_barrier_wait -1
	s_and_saveexec_b32 s6, s1
; %bb.75:                               ;   in Loop: Header=BB127_3 Depth=1
	v_xor_b32_e32 v47, 0x80000000, v47
	ds_store_b64 v51, v[46:47] offset:16
; %bb.76:                               ;   in Loop: Header=BB127_3 Depth=1
	s_or_b32 exec_lo, exec_lo, s6
	s_wait_dscnt 0x0
	s_barrier_signal -1
	s_barrier_wait -1
	s_barrier_signal -1
	s_barrier_wait -1
	s_and_saveexec_b32 s6, s10
; %bb.77:                               ;   in Loop: Header=BB127_3 Depth=1
	ds_store_2addr_b64 v1, v[30:31], v[30:31] offset0:130 offset1:195
; %bb.78:                               ;   in Loop: Header=BB127_3 Depth=1
	s_or_b32 exec_lo, exec_lo, s6
	v_mov_b64_e32 v[46:47], 0
	s_wait_dscnt 0x0
	s_barrier_signal -1
	s_barrier_wait -1
	s_and_saveexec_b32 s8, s2
	s_cbranch_execz .LBB127_84
; %bb.79:                               ;   in Loop: Header=BB127_3 Depth=1
	ds_load_b64 v[46:47], v57 offset:32
	ds_load_b64 v[48:49], v54
	s_wait_dscnt 0x0
	v_fma_f64 v[46:47], v[46:47], v[48:49], 0
	s_and_saveexec_b32 s6, s12
	s_cbranch_execnz .LBB127_1005
; %bb.80:                               ;   in Loop: Header=BB127_3 Depth=1
	s_or_b32 exec_lo, exec_lo, s6
	s_and_saveexec_b32 s6, s13
	s_cbranch_execnz .LBB127_1006
.LBB127_81:                             ;   in Loop: Header=BB127_3 Depth=1
	s_or_b32 exec_lo, exec_lo, s6
	s_and_saveexec_b32 s6, s1
	s_cbranch_execz .LBB127_83
.LBB127_82:                             ;   in Loop: Header=BB127_3 Depth=1
	ds_load_b64 v[48:49], v53 offset:1568
	ds_load_b64 v[84:85], v1 offset:24
	s_wait_dscnt 0x0
	v_fmac_f64_e32 v[46:47], v[48:49], v[84:85]
.LBB127_83:                             ;   in Loop: Header=BB127_3 Depth=1
	s_or_b32 exec_lo, exec_lo, s6
	s_delay_alu instid0(VALU_DEP_1)
	v_xor_b32_e32 v47, 0x80000000, v47
.LBB127_84:                             ;   in Loop: Header=BB127_3 Depth=1
	s_or_b32 exec_lo, exec_lo, s8
	s_and_saveexec_b32 s6, s102
; %bb.85:                               ;   in Loop: Header=BB127_3 Depth=1
	ds_store_b64 v55, v[46:47]
; %bb.86:                               ;   in Loop: Header=BB127_3 Depth=1
	s_or_b32 exec_lo, exec_lo, s6
	s_wait_dscnt 0x0
	s_barrier_signal -1
	s_barrier_wait -1
	s_and_saveexec_b32 s6, s103
	s_cbranch_execz .LBB127_88
; %bb.87:                               ;   in Loop: Header=BB127_3 Depth=1
	ds_load_b64 v[48:49], v56 offset:2080
	ds_load_b64 v[84:85], v55
	s_wait_dscnt 0x0
	v_fmac_f64_e32 v[46:47], v[48:49], v[84:85]
.LBB127_88:                             ;   in Loop: Header=BB127_3 Depth=1
	s_or_b32 exec_lo, exec_lo, s6
	s_barrier_signal -1
	s_barrier_wait -1
	s_and_saveexec_b32 s6, s104
; %bb.89:                               ;   in Loop: Header=BB127_3 Depth=1
	ds_store_b64 v55, v[46:47]
; %bb.90:                               ;   in Loop: Header=BB127_3 Depth=1
	s_or_b32 exec_lo, exec_lo, s6
	s_wait_dscnt 0x0
	s_barrier_signal -1
	s_barrier_wait -1
	s_and_saveexec_b32 s6, vcc_hi
	s_cbranch_execz .LBB127_92
; %bb.91:                               ;   in Loop: Header=BB127_3 Depth=1
	ds_load_b64 v[48:49], v56 offset:2592
	ds_load_b64 v[84:85], v55
	s_wait_dscnt 0x0
	v_fmac_f64_e32 v[46:47], v[48:49], v[84:85]
.LBB127_92:                             ;   in Loop: Header=BB127_3 Depth=1
	s_or_b32 exec_lo, exec_lo, s6
	s_barrier_signal -1
	s_barrier_wait -1
	s_and_saveexec_b32 s6, s31
; %bb.93:                               ;   in Loop: Header=BB127_3 Depth=1
	ds_store_b64 v55, v[46:47]
; %bb.94:                               ;   in Loop: Header=BB127_3 Depth=1
	s_or_b32 exec_lo, exec_lo, s6
	s_wait_dscnt 0x0
	s_barrier_signal -1
	s_barrier_wait -1
	s_and_saveexec_b32 s6, s33
	s_cbranch_execz .LBB127_96
; %bb.95:                               ;   in Loop: Header=BB127_3 Depth=1
	ds_load_b64 v[48:49], v1 offset:3128
	ds_load_b64 v[84:85], v55
	s_wait_dscnt 0x0
	v_fmac_f64_e32 v[46:47], v[48:49], v[84:85]
.LBB127_96:                             ;   in Loop: Header=BB127_3 Depth=1
	s_or_b32 exec_lo, exec_lo, s6
	s_barrier_signal -1
	s_barrier_wait -1
	s_and_saveexec_b32 s6, s33
; %bb.97:                               ;   in Loop: Header=BB127_3 Depth=1
	ds_store_b64 v55, v[46:47]
; %bb.98:                               ;   in Loop: Header=BB127_3 Depth=1
	s_or_b32 exec_lo, exec_lo, s6
	s_wait_dscnt 0x0
	s_barrier_signal -1
	s_barrier_wait -1
	s_barrier_signal -1
	s_barrier_wait -1
	s_and_saveexec_b32 s6, s2
; %bb.99:                               ;   in Loop: Header=BB127_3 Depth=1
	v_xor_b32_e32 v47, 0x80000000, v47
	ds_store_b64 v57, v[46:47] offset:32
; %bb.100:                              ;   in Loop: Header=BB127_3 Depth=1
	s_or_b32 exec_lo, exec_lo, s6
	s_wait_dscnt 0x0
	s_barrier_signal -1
	s_barrier_wait -1
	s_barrier_signal -1
	s_barrier_wait -1
	s_and_saveexec_b32 s6, s10
; %bb.101:                              ;   in Loop: Header=BB127_3 Depth=1
	v_add_nc_u32_e64 v0, 0x800, 0
	ds_store_2addr_b64 v0, v[30:31], v[30:31] offset0:4 offset1:69
; %bb.102:                              ;   in Loop: Header=BB127_3 Depth=1
	s_or_b32 exec_lo, exec_lo, s6
	v_mov_b64_e32 v[46:47], 0
	s_wait_dscnt 0x0
	s_barrier_signal -1
	s_barrier_wait -1
	s_and_saveexec_b32 s8, s1
	s_cbranch_execz .LBB127_106
; %bb.103:                              ;   in Loop: Header=BB127_3 Depth=1
	ds_load_b64 v[46:47], v51 offset:2096
	ds_load_b64 v[48:49], v52 offset:2080
	s_wait_dscnt 0x0
	v_fma_f64 v[46:47], v[46:47], v[48:49], 0
	s_and_saveexec_b32 s6, s11
	s_cbranch_execz .LBB127_105
; %bb.104:                              ;   in Loop: Header=BB127_3 Depth=1
	ds_load_b64 v[48:49], v53 offset:2608
	ds_load_b64 v[84:85], v1 offset:2088
	s_wait_dscnt 0x0
	v_fmac_f64_e32 v[46:47], v[48:49], v[84:85]
.LBB127_105:                            ;   in Loop: Header=BB127_3 Depth=1
	s_or_b32 exec_lo, exec_lo, s6
	s_delay_alu instid0(VALU_DEP_1)
	v_xor_b32_e32 v47, 0x80000000, v47
.LBB127_106:                            ;   in Loop: Header=BB127_3 Depth=1
	s_or_b32 exec_lo, exec_lo, s8
	s_and_saveexec_b32 s6, s100
; %bb.107:                              ;   in Loop: Header=BB127_3 Depth=1
	ds_store_b64 v50, v[46:47]
; %bb.108:                              ;   in Loop: Header=BB127_3 Depth=1
	s_or_b32 exec_lo, exec_lo, s6
	s_wait_dscnt 0x0
	s_barrier_signal -1
	s_barrier_wait -1
	s_and_saveexec_b32 s6, s101
	s_cbranch_execz .LBB127_110
; %bb.109:                              ;   in Loop: Header=BB127_3 Depth=1
	ds_load_b64 v[48:49], v1 offset:3128
	ds_load_b64 v[84:85], v50
	s_wait_dscnt 0x0
	v_fmac_f64_e32 v[46:47], v[48:49], v[84:85]
.LBB127_110:                            ;   in Loop: Header=BB127_3 Depth=1
	s_or_b32 exec_lo, exec_lo, s6
	s_barrier_signal -1
	s_barrier_wait -1
	s_and_saveexec_b32 s6, s101
; %bb.111:                              ;   in Loop: Header=BB127_3 Depth=1
	ds_store_b64 v50, v[46:47]
; %bb.112:                              ;   in Loop: Header=BB127_3 Depth=1
	s_or_b32 exec_lo, exec_lo, s6
	s_wait_dscnt 0x0
	s_barrier_signal -1
	s_barrier_wait -1
	s_barrier_signal -1
	s_barrier_wait -1
	s_and_saveexec_b32 s6, s1
; %bb.113:                              ;   in Loop: Header=BB127_3 Depth=1
	v_xor_b32_e32 v47, 0x80000000, v47
	ds_store_b64 v51, v[46:47] offset:2096
; %bb.114:                              ;   in Loop: Header=BB127_3 Depth=1
	s_or_b32 exec_lo, exec_lo, s6
	s_wait_dscnt 0x0
	s_barrier_signal -1
	s_barrier_wait -1
	s_barrier_signal -1
	s_barrier_wait -1
	s_and_saveexec_b32 s6, s10
; %bb.115:                              ;   in Loop: Header=BB127_3 Depth=1
	v_add_nc_u32_e64 v0, 0x800, 0
	ds_store_2addr_b64 v0, v[30:31], v[30:31] offset0:134 offset1:199
; %bb.116:                              ;   in Loop: Header=BB127_3 Depth=1
	s_or_b32 exec_lo, exec_lo, s6
	v_mov_b64_e32 v[46:47], 0
	s_wait_dscnt 0x0
	s_barrier_signal -1
	s_barrier_wait -1
	s_and_saveexec_b32 s8, s3
	s_cbranch_execz .LBB127_126
; %bb.117:                              ;   in Loop: Header=BB127_3 Depth=1
	ds_load_b64 v[46:47], v62 offset:64
	ds_load_b64 v[48:49], v59
	s_wait_dscnt 0x0
	v_fma_f64 v[46:47], v[46:47], v[48:49], 0
	s_and_saveexec_b32 s6, s14
	s_cbranch_execnz .LBB127_1007
; %bb.118:                              ;   in Loop: Header=BB127_3 Depth=1
	s_or_b32 exec_lo, exec_lo, s6
	s_and_saveexec_b32 s6, s15
	s_cbranch_execnz .LBB127_1008
.LBB127_119:                            ;   in Loop: Header=BB127_3 Depth=1
	s_or_b32 exec_lo, exec_lo, s6
	s_and_saveexec_b32 s6, s16
	s_cbranch_execnz .LBB127_1009
.LBB127_120:                            ;   in Loop: Header=BB127_3 Depth=1
	s_or_b32 exec_lo, exec_lo, s6
	s_and_saveexec_b32 s6, s17
	s_cbranch_execnz .LBB127_1010
.LBB127_121:                            ;   in Loop: Header=BB127_3 Depth=1
	s_or_b32 exec_lo, exec_lo, s6
	s_and_saveexec_b32 s6, s18
	s_cbranch_execnz .LBB127_1011
.LBB127_122:                            ;   in Loop: Header=BB127_3 Depth=1
	s_or_b32 exec_lo, exec_lo, s6
	s_and_saveexec_b32 s6, s2
	s_cbranch_execnz .LBB127_1012
.LBB127_123:                            ;   in Loop: Header=BB127_3 Depth=1
	s_or_b32 exec_lo, exec_lo, s6
	s_and_saveexec_b32 s6, s13
	s_cbranch_execz .LBB127_125
.LBB127_124:                            ;   in Loop: Header=BB127_3 Depth=1
	ds_load_b64 v[48:49], v53 offset:3648
	ds_load_b64 v[84:85], v1 offset:56
	s_wait_dscnt 0x0
	v_fmac_f64_e32 v[46:47], v[48:49], v[84:85]
.LBB127_125:                            ;   in Loop: Header=BB127_3 Depth=1
	s_or_b32 exec_lo, exec_lo, s6
	s_delay_alu instid0(VALU_DEP_1)
	v_xor_b32_e32 v47, 0x80000000, v47
.LBB127_126:                            ;   in Loop: Header=BB127_3 Depth=1
	s_or_b32 exec_lo, exec_lo, s8
	s_and_saveexec_b32 s6, s34
; %bb.127:                              ;   in Loop: Header=BB127_3 Depth=1
	ds_store_b64 v61, v[46:47]
; %bb.128:                              ;   in Loop: Header=BB127_3 Depth=1
	s_or_b32 exec_lo, exec_lo, s6
	s_wait_dscnt 0x0
	s_barrier_signal -1
	s_barrier_wait -1
	s_and_saveexec_b32 s6, s35
	s_cbranch_execz .LBB127_130
; %bb.129:                              ;   in Loop: Header=BB127_3 Depth=1
	ds_load_b64 v[48:49], v60 offset:4160
	ds_load_b64 v[84:85], v61
	s_wait_dscnt 0x0
	v_fmac_f64_e32 v[46:47], v[48:49], v[84:85]
.LBB127_130:                            ;   in Loop: Header=BB127_3 Depth=1
	s_or_b32 exec_lo, exec_lo, s6
	s_barrier_signal -1
	s_barrier_wait -1
	s_and_saveexec_b32 s6, s36
; %bb.131:                              ;   in Loop: Header=BB127_3 Depth=1
	ds_store_b64 v61, v[46:47]
; %bb.132:                              ;   in Loop: Header=BB127_3 Depth=1
	s_or_b32 exec_lo, exec_lo, s6
	s_wait_dscnt 0x0
	s_barrier_signal -1
	s_barrier_wait -1
	s_and_saveexec_b32 s6, s37
	s_cbranch_execz .LBB127_134
; %bb.133:                              ;   in Loop: Header=BB127_3 Depth=1
	ds_load_b64 v[48:49], v60 offset:4672
	ds_load_b64 v[84:85], v61
	s_wait_dscnt 0x0
	v_fmac_f64_e32 v[46:47], v[48:49], v[84:85]
.LBB127_134:                            ;   in Loop: Header=BB127_3 Depth=1
	s_or_b32 exec_lo, exec_lo, s6
	s_barrier_signal -1
	s_barrier_wait -1
	;; [unrolled: 19-line block ×7, first 2 shown]
	s_and_saveexec_b32 s6, s47
; %bb.155:                              ;   in Loop: Header=BB127_3 Depth=1
	ds_store_b64 v61, v[46:47]
; %bb.156:                              ;   in Loop: Header=BB127_3 Depth=1
	s_or_b32 exec_lo, exec_lo, s6
	s_wait_dscnt 0x0
	s_barrier_signal -1
	s_barrier_wait -1
	s_barrier_signal -1
	s_barrier_wait -1
	s_and_saveexec_b32 s6, s3
; %bb.157:                              ;   in Loop: Header=BB127_3 Depth=1
	v_xor_b32_e32 v47, 0x80000000, v47
	ds_store_b64 v62, v[46:47] offset:64
; %bb.158:                              ;   in Loop: Header=BB127_3 Depth=1
	s_or_b32 exec_lo, exec_lo, s6
	s_wait_dscnt 0x0
	s_barrier_signal -1
	s_barrier_wait -1
	s_barrier_signal -1
	s_barrier_wait -1
	s_and_saveexec_b32 s6, s10
; %bb.159:                              ;   in Loop: Header=BB127_3 Depth=1
	v_add_nc_u32_e64 v0, 0x1000, 0
	ds_store_2addr_b64 v0, v[30:31], v[30:31] offset0:8 offset1:73
; %bb.160:                              ;   in Loop: Header=BB127_3 Depth=1
	s_or_b32 exec_lo, exec_lo, s6
	v_mov_b64_e32 v[46:47], 0
	s_wait_dscnt 0x0
	s_barrier_signal -1
	s_barrier_wait -1
	s_and_saveexec_b32 s8, s1
	s_cbranch_execz .LBB127_164
; %bb.161:                              ;   in Loop: Header=BB127_3 Depth=1
	ds_load_b64 v[46:47], v51 offset:4176
	ds_load_b64 v[48:49], v52 offset:4160
	s_wait_dscnt 0x0
	v_fma_f64 v[46:47], v[46:47], v[48:49], 0
	s_and_saveexec_b32 s6, s11
	s_cbranch_execz .LBB127_163
; %bb.162:                              ;   in Loop: Header=BB127_3 Depth=1
	ds_load_b64 v[48:49], v53 offset:4688
	ds_load_b64 v[84:85], v1 offset:4168
	s_wait_dscnt 0x0
	v_fmac_f64_e32 v[46:47], v[48:49], v[84:85]
.LBB127_163:                            ;   in Loop: Header=BB127_3 Depth=1
	s_or_b32 exec_lo, exec_lo, s6
	s_delay_alu instid0(VALU_DEP_1)
	v_xor_b32_e32 v47, 0x80000000, v47
.LBB127_164:                            ;   in Loop: Header=BB127_3 Depth=1
	s_or_b32 exec_lo, exec_lo, s8
	s_and_saveexec_b32 s6, s100
; %bb.165:                              ;   in Loop: Header=BB127_3 Depth=1
	ds_store_b64 v50, v[46:47]
; %bb.166:                              ;   in Loop: Header=BB127_3 Depth=1
	s_or_b32 exec_lo, exec_lo, s6
	s_wait_dscnt 0x0
	s_barrier_signal -1
	s_barrier_wait -1
	s_and_saveexec_b32 s6, s101
	s_cbranch_execz .LBB127_168
; %bb.167:                              ;   in Loop: Header=BB127_3 Depth=1
	ds_load_b64 v[48:49], v1 offset:5208
	ds_load_b64 v[84:85], v50
	s_wait_dscnt 0x0
	v_fmac_f64_e32 v[46:47], v[48:49], v[84:85]
.LBB127_168:                            ;   in Loop: Header=BB127_3 Depth=1
	s_or_b32 exec_lo, exec_lo, s6
	s_barrier_signal -1
	s_barrier_wait -1
	s_and_saveexec_b32 s6, s101
; %bb.169:                              ;   in Loop: Header=BB127_3 Depth=1
	ds_store_b64 v50, v[46:47]
; %bb.170:                              ;   in Loop: Header=BB127_3 Depth=1
	s_or_b32 exec_lo, exec_lo, s6
	s_wait_dscnt 0x0
	s_barrier_signal -1
	s_barrier_wait -1
	s_barrier_signal -1
	s_barrier_wait -1
	s_and_saveexec_b32 s6, s1
; %bb.171:                              ;   in Loop: Header=BB127_3 Depth=1
	v_xor_b32_e32 v47, 0x80000000, v47
	ds_store_b64 v51, v[46:47] offset:4176
; %bb.172:                              ;   in Loop: Header=BB127_3 Depth=1
	s_or_b32 exec_lo, exec_lo, s6
	s_wait_dscnt 0x0
	s_barrier_signal -1
	s_barrier_wait -1
	s_barrier_signal -1
	s_barrier_wait -1
	s_and_saveexec_b32 s6, s10
; %bb.173:                              ;   in Loop: Header=BB127_3 Depth=1
	v_add_nc_u32_e64 v0, 0x1000, 0
	ds_store_2addr_b64 v0, v[30:31], v[30:31] offset0:138 offset1:203
; %bb.174:                              ;   in Loop: Header=BB127_3 Depth=1
	s_or_b32 exec_lo, exec_lo, s6
	v_mov_b64_e32 v[46:47], 0
	s_wait_dscnt 0x0
	s_barrier_signal -1
	s_barrier_wait -1
	s_and_saveexec_b32 s8, s2
	s_cbranch_execz .LBB127_180
; %bb.175:                              ;   in Loop: Header=BB127_3 Depth=1
	ds_load_b64 v[46:47], v57 offset:4192
	ds_load_b64 v[48:49], v54 offset:4160
	s_wait_dscnt 0x0
	v_fma_f64 v[46:47], v[46:47], v[48:49], 0
	s_and_saveexec_b32 s6, s12
	s_cbranch_execnz .LBB127_1013
; %bb.176:                              ;   in Loop: Header=BB127_3 Depth=1
	s_or_b32 exec_lo, exec_lo, s6
	s_and_saveexec_b32 s6, s13
	s_cbranch_execnz .LBB127_1014
.LBB127_177:                            ;   in Loop: Header=BB127_3 Depth=1
	s_or_b32 exec_lo, exec_lo, s6
	s_and_saveexec_b32 s6, s1
	s_cbranch_execz .LBB127_179
.LBB127_178:                            ;   in Loop: Header=BB127_3 Depth=1
	ds_load_b64 v[48:49], v53 offset:5728
	ds_load_b64 v[84:85], v1 offset:4184
	s_wait_dscnt 0x0
	v_fmac_f64_e32 v[46:47], v[48:49], v[84:85]
.LBB127_179:                            ;   in Loop: Header=BB127_3 Depth=1
	s_or_b32 exec_lo, exec_lo, s6
	s_delay_alu instid0(VALU_DEP_1)
	v_xor_b32_e32 v47, 0x80000000, v47
.LBB127_180:                            ;   in Loop: Header=BB127_3 Depth=1
	s_or_b32 exec_lo, exec_lo, s8
	s_and_saveexec_b32 s6, s102
; %bb.181:                              ;   in Loop: Header=BB127_3 Depth=1
	ds_store_b64 v55, v[46:47]
; %bb.182:                              ;   in Loop: Header=BB127_3 Depth=1
	s_or_b32 exec_lo, exec_lo, s6
	s_wait_dscnt 0x0
	s_barrier_signal -1
	s_barrier_wait -1
	s_and_saveexec_b32 s6, s103
	s_cbranch_execz .LBB127_184
; %bb.183:                              ;   in Loop: Header=BB127_3 Depth=1
	ds_load_b64 v[48:49], v56 offset:6240
	ds_load_b64 v[84:85], v55
	s_wait_dscnt 0x0
	v_fmac_f64_e32 v[46:47], v[48:49], v[84:85]
.LBB127_184:                            ;   in Loop: Header=BB127_3 Depth=1
	s_or_b32 exec_lo, exec_lo, s6
	s_barrier_signal -1
	s_barrier_wait -1
	s_and_saveexec_b32 s6, s104
; %bb.185:                              ;   in Loop: Header=BB127_3 Depth=1
	ds_store_b64 v55, v[46:47]
; %bb.186:                              ;   in Loop: Header=BB127_3 Depth=1
	s_or_b32 exec_lo, exec_lo, s6
	s_wait_dscnt 0x0
	s_barrier_signal -1
	s_barrier_wait -1
	s_and_saveexec_b32 s6, vcc_hi
	s_cbranch_execz .LBB127_188
; %bb.187:                              ;   in Loop: Header=BB127_3 Depth=1
	ds_load_b64 v[48:49], v56 offset:6752
	ds_load_b64 v[84:85], v55
	s_wait_dscnt 0x0
	v_fmac_f64_e32 v[46:47], v[48:49], v[84:85]
.LBB127_188:                            ;   in Loop: Header=BB127_3 Depth=1
	s_or_b32 exec_lo, exec_lo, s6
	s_barrier_signal -1
	s_barrier_wait -1
	s_and_saveexec_b32 s6, s31
; %bb.189:                              ;   in Loop: Header=BB127_3 Depth=1
	ds_store_b64 v55, v[46:47]
; %bb.190:                              ;   in Loop: Header=BB127_3 Depth=1
	s_or_b32 exec_lo, exec_lo, s6
	s_wait_dscnt 0x0
	s_barrier_signal -1
	s_barrier_wait -1
	s_and_saveexec_b32 s6, s33
	s_cbranch_execz .LBB127_192
; %bb.191:                              ;   in Loop: Header=BB127_3 Depth=1
	ds_load_b64 v[48:49], v1 offset:7288
	ds_load_b64 v[84:85], v55
	s_wait_dscnt 0x0
	v_fmac_f64_e32 v[46:47], v[48:49], v[84:85]
.LBB127_192:                            ;   in Loop: Header=BB127_3 Depth=1
	s_or_b32 exec_lo, exec_lo, s6
	s_barrier_signal -1
	s_barrier_wait -1
	s_and_saveexec_b32 s6, s33
; %bb.193:                              ;   in Loop: Header=BB127_3 Depth=1
	ds_store_b64 v55, v[46:47]
; %bb.194:                              ;   in Loop: Header=BB127_3 Depth=1
	s_or_b32 exec_lo, exec_lo, s6
	s_wait_dscnt 0x0
	s_barrier_signal -1
	s_barrier_wait -1
	s_barrier_signal -1
	s_barrier_wait -1
	s_and_saveexec_b32 s6, s2
; %bb.195:                              ;   in Loop: Header=BB127_3 Depth=1
	v_xor_b32_e32 v47, 0x80000000, v47
	ds_store_b64 v57, v[46:47] offset:4192
; %bb.196:                              ;   in Loop: Header=BB127_3 Depth=1
	s_or_b32 exec_lo, exec_lo, s6
	s_wait_dscnt 0x0
	s_barrier_signal -1
	s_barrier_wait -1
	s_barrier_signal -1
	s_barrier_wait -1
	s_and_saveexec_b32 s6, s10
; %bb.197:                              ;   in Loop: Header=BB127_3 Depth=1
	v_add_nc_u32_e64 v0, 0x1800, 0
	ds_store_2addr_b64 v0, v[30:31], v[30:31] offset0:12 offset1:77
; %bb.198:                              ;   in Loop: Header=BB127_3 Depth=1
	s_or_b32 exec_lo, exec_lo, s6
	v_mov_b64_e32 v[46:47], 0
	s_wait_dscnt 0x0
	s_barrier_signal -1
	s_barrier_wait -1
	s_and_saveexec_b32 s8, s1
	s_cbranch_execz .LBB127_202
; %bb.199:                              ;   in Loop: Header=BB127_3 Depth=1
	ds_load_b64 v[46:47], v51 offset:6256
	ds_load_b64 v[48:49], v52 offset:6240
	s_wait_dscnt 0x0
	v_fma_f64 v[46:47], v[46:47], v[48:49], 0
	s_and_saveexec_b32 s6, s11
	s_cbranch_execz .LBB127_201
; %bb.200:                              ;   in Loop: Header=BB127_3 Depth=1
	ds_load_b64 v[48:49], v53 offset:6768
	ds_load_b64 v[84:85], v1 offset:6248
	s_wait_dscnt 0x0
	v_fmac_f64_e32 v[46:47], v[48:49], v[84:85]
.LBB127_201:                            ;   in Loop: Header=BB127_3 Depth=1
	s_or_b32 exec_lo, exec_lo, s6
	s_delay_alu instid0(VALU_DEP_1)
	v_xor_b32_e32 v47, 0x80000000, v47
.LBB127_202:                            ;   in Loop: Header=BB127_3 Depth=1
	s_or_b32 exec_lo, exec_lo, s8
	s_and_saveexec_b32 s6, s100
; %bb.203:                              ;   in Loop: Header=BB127_3 Depth=1
	ds_store_b64 v50, v[46:47]
; %bb.204:                              ;   in Loop: Header=BB127_3 Depth=1
	s_or_b32 exec_lo, exec_lo, s6
	s_wait_dscnt 0x0
	s_barrier_signal -1
	s_barrier_wait -1
	s_and_saveexec_b32 s6, s101
	s_cbranch_execz .LBB127_206
; %bb.205:                              ;   in Loop: Header=BB127_3 Depth=1
	ds_load_b64 v[48:49], v1 offset:7288
	ds_load_b64 v[84:85], v50
	s_wait_dscnt 0x0
	v_fmac_f64_e32 v[46:47], v[48:49], v[84:85]
.LBB127_206:                            ;   in Loop: Header=BB127_3 Depth=1
	s_or_b32 exec_lo, exec_lo, s6
	s_barrier_signal -1
	s_barrier_wait -1
	s_and_saveexec_b32 s6, s101
; %bb.207:                              ;   in Loop: Header=BB127_3 Depth=1
	ds_store_b64 v50, v[46:47]
; %bb.208:                              ;   in Loop: Header=BB127_3 Depth=1
	s_or_b32 exec_lo, exec_lo, s6
	s_wait_dscnt 0x0
	s_barrier_signal -1
	s_barrier_wait -1
	s_barrier_signal -1
	s_barrier_wait -1
	s_and_saveexec_b32 s6, s1
; %bb.209:                              ;   in Loop: Header=BB127_3 Depth=1
	v_xor_b32_e32 v47, 0x80000000, v47
	ds_store_b64 v51, v[46:47] offset:6256
; %bb.210:                              ;   in Loop: Header=BB127_3 Depth=1
	s_or_b32 exec_lo, exec_lo, s6
	s_wait_dscnt 0x0
	s_barrier_signal -1
	s_barrier_wait -1
	s_barrier_signal -1
	s_barrier_wait -1
	s_and_saveexec_b32 s6, s10
; %bb.211:                              ;   in Loop: Header=BB127_3 Depth=1
	v_add_nc_u32_e64 v0, 0x1800, 0
	ds_store_2addr_b64 v0, v[30:31], v[30:31] offset0:142 offset1:207
; %bb.212:                              ;   in Loop: Header=BB127_3 Depth=1
	s_or_b32 exec_lo, exec_lo, s6
	v_mov_b64_e32 v[46:47], 0
	s_wait_dscnt 0x0
	s_barrier_signal -1
	s_barrier_wait -1
	s_and_saveexec_b32 s65, s4
	s_cbranch_execz .LBB127_240
; %bb.213:                              ;   in Loop: Header=BB127_3 Depth=1
	ds_load_b64 v[46:47], v67 offset:128
	ds_load_b64 v[48:49], v64
	s_wait_dscnt 0x0
	v_fma_f64 v[46:47], v[46:47], v[48:49], 0
	s_mov_b32 s6, exec_lo
	v_readlane_b32 s8, v93, 20
	s_and_b32 s8, s6, s8
	s_delay_alu instid0(SALU_CYCLE_1)
	s_mov_b32 exec_lo, s8
	s_cbranch_execz .LBB127_215
; %bb.214:                              ;   in Loop: Header=BB127_3 Depth=1
	ds_load_b64 v[48:49], v68 offset:640
	ds_load_b64 v[84:85], v64 offset:8
	s_wait_dscnt 0x0
	v_fmac_f64_e32 v[46:47], v[48:49], v[84:85]
.LBB127_215:                            ;   in Loop: Header=BB127_3 Depth=1
	s_or_b32 exec_lo, exec_lo, s6
	s_delay_alu instid0(SALU_CYCLE_1) | instskip(SKIP_2) | instid1(SALU_CYCLE_1)
	s_mov_b32 s6, exec_lo
	v_readlane_b32 s8, v93, 21
	s_and_b32 s8, s6, s8
	s_mov_b32 exec_lo, s8
	s_cbranch_execz .LBB127_217
; %bb.216:                              ;   in Loop: Header=BB127_3 Depth=1
	ds_load_b64 v[48:49], v68 offset:1152
	ds_load_b64 v[84:85], v64 offset:16
	s_wait_dscnt 0x0
	v_fmac_f64_e32 v[46:47], v[48:49], v[84:85]
.LBB127_217:                            ;   in Loop: Header=BB127_3 Depth=1
	s_or_b32 exec_lo, exec_lo, s6
	s_delay_alu instid0(SALU_CYCLE_1) | instskip(SKIP_2) | instid1(SALU_CYCLE_1)
	s_mov_b32 s6, exec_lo
	v_readlane_b32 s8, v93, 22
	s_and_b32 s8, s6, s8
	;; [unrolled: 13-line block ×10, first 2 shown]
	s_mov_b32 exec_lo, s8
	s_cbranch_execnz .LBB127_1015
; %bb.234:                              ;   in Loop: Header=BB127_3 Depth=1
	s_or_b32 exec_lo, exec_lo, s6
	s_and_saveexec_b32 s6, s3
	s_cbranch_execnz .LBB127_1016
.LBB127_235:                            ;   in Loop: Header=BB127_3 Depth=1
	s_or_b32 exec_lo, exec_lo, s6
	s_and_saveexec_b32 s6, s15
	s_cbranch_execnz .LBB127_1017
.LBB127_236:                            ;   in Loop: Header=BB127_3 Depth=1
	s_or_b32 exec_lo, exec_lo, s6
	s_and_saveexec_b32 s6, s17
	s_cbranch_execnz .LBB127_1018
.LBB127_237:                            ;   in Loop: Header=BB127_3 Depth=1
	s_or_b32 exec_lo, exec_lo, s6
	s_and_saveexec_b32 s6, s2
	s_cbranch_execz .LBB127_239
.LBB127_238:                            ;   in Loop: Header=BB127_3 Depth=1
	ds_load_b64 v[48:49], v53 offset:7808
	ds_load_b64 v[84:85], v1 offset:120
	s_wait_dscnt 0x0
	v_fmac_f64_e32 v[46:47], v[48:49], v[84:85]
.LBB127_239:                            ;   in Loop: Header=BB127_3 Depth=1
	s_or_b32 exec_lo, exec_lo, s6
	s_delay_alu instid0(VALU_DEP_1)
	v_xor_b32_e32 v47, 0x80000000, v47
.LBB127_240:                            ;   in Loop: Header=BB127_3 Depth=1
	s_or_b32 exec_lo, exec_lo, s65
	s_delay_alu instid0(SALU_CYCLE_1) | instskip(SKIP_2) | instid1(SALU_CYCLE_1)
	s_mov_b32 s6, exec_lo
	v_readlane_b32 s8, v93, 2
	s_and_b32 s8, s6, s8
	s_mov_b32 exec_lo, s8
; %bb.241:                              ;   in Loop: Header=BB127_3 Depth=1
	ds_store_b64 v66, v[46:47]
; %bb.242:                              ;   in Loop: Header=BB127_3 Depth=1
	s_or_b32 exec_lo, exec_lo, s6
	s_wait_dscnt 0x0
	s_barrier_signal -1
	s_barrier_wait -1
	s_mov_b32 s6, exec_lo
	v_readlane_b32 s8, v93, 3
	s_and_b32 s8, s6, s8
	s_delay_alu instid0(SALU_CYCLE_1)
	s_mov_b32 exec_lo, s8
	s_cbranch_execz .LBB127_244
; %bb.243:                              ;   in Loop: Header=BB127_3 Depth=1
	ds_load_b64 v[48:49], v65 offset:8320
	ds_load_b64 v[84:85], v66
	s_wait_dscnt 0x0
	v_fmac_f64_e32 v[46:47], v[48:49], v[84:85]
.LBB127_244:                            ;   in Loop: Header=BB127_3 Depth=1
	s_or_b32 exec_lo, exec_lo, s6
	s_barrier_signal -1
	s_barrier_wait -1
	s_mov_b32 s6, exec_lo
	v_readlane_b32 s8, v93, 4
	s_and_b32 s8, s6, s8
	s_delay_alu instid0(SALU_CYCLE_1)
	s_mov_b32 exec_lo, s8
; %bb.245:                              ;   in Loop: Header=BB127_3 Depth=1
	ds_store_b64 v66, v[46:47]
; %bb.246:                              ;   in Loop: Header=BB127_3 Depth=1
	s_or_b32 exec_lo, exec_lo, s6
	s_wait_dscnt 0x0
	s_barrier_signal -1
	s_barrier_wait -1
	s_mov_b32 s6, exec_lo
	v_readlane_b32 s8, v93, 5
	s_and_b32 s8, s6, s8
	s_delay_alu instid0(SALU_CYCLE_1)
	s_mov_b32 exec_lo, s8
	s_cbranch_execz .LBB127_248
; %bb.247:                              ;   in Loop: Header=BB127_3 Depth=1
	ds_load_b64 v[48:49], v65 offset:8832
	ds_load_b64 v[84:85], v66
	s_wait_dscnt 0x0
	v_fmac_f64_e32 v[46:47], v[48:49], v[84:85]
.LBB127_248:                            ;   in Loop: Header=BB127_3 Depth=1
	s_or_b32 exec_lo, exec_lo, s6
	s_barrier_signal -1
	s_barrier_wait -1
	s_mov_b32 s6, exec_lo
	v_readlane_b32 s8, v93, 6
	s_and_b32 s8, s6, s8
	s_delay_alu instid0(SALU_CYCLE_1)
	s_mov_b32 exec_lo, s8
; %bb.249:                              ;   in Loop: Header=BB127_3 Depth=1
	ds_store_b64 v66, v[46:47]
; %bb.250:                              ;   in Loop: Header=BB127_3 Depth=1
	s_or_b32 exec_lo, exec_lo, s6
	s_wait_dscnt 0x0
	s_barrier_signal -1
	s_barrier_wait -1
	s_and_saveexec_b32 s6, s53
	s_cbranch_execz .LBB127_252
; %bb.251:                              ;   in Loop: Header=BB127_3 Depth=1
	ds_load_b64 v[48:49], v65 offset:9344
	ds_load_b64 v[84:85], v66
	s_wait_dscnt 0x0
	v_fmac_f64_e32 v[46:47], v[48:49], v[84:85]
.LBB127_252:                            ;   in Loop: Header=BB127_3 Depth=1
	s_or_b32 exec_lo, exec_lo, s6
	s_barrier_signal -1
	s_barrier_wait -1
	s_and_saveexec_b32 s6, s54
; %bb.253:                              ;   in Loop: Header=BB127_3 Depth=1
	ds_store_b64 v66, v[46:47]
; %bb.254:                              ;   in Loop: Header=BB127_3 Depth=1
	s_or_b32 exec_lo, exec_lo, s6
	s_wait_dscnt 0x0
	s_barrier_signal -1
	s_barrier_wait -1
	s_and_saveexec_b32 s6, s19
	s_cbranch_execz .LBB127_256
; %bb.255:                              ;   in Loop: Header=BB127_3 Depth=1
	ds_load_b64 v[48:49], v65 offset:9856
	ds_load_b64 v[84:85], v66
	s_wait_dscnt 0x0
	v_fmac_f64_e32 v[46:47], v[48:49], v[84:85]
.LBB127_256:                            ;   in Loop: Header=BB127_3 Depth=1
	s_or_b32 exec_lo, exec_lo, s6
	s_barrier_signal -1
	s_barrier_wait -1
	s_and_saveexec_b32 s6, s21
	;; [unrolled: 19-line block ×13, first 2 shown]
; %bb.301:                              ;   in Loop: Header=BB127_3 Depth=1
	ds_store_b64 v66, v[46:47]
; %bb.302:                              ;   in Loop: Header=BB127_3 Depth=1
	s_or_b32 exec_lo, exec_lo, s6
	s_wait_dscnt 0x0
	s_barrier_signal -1
	s_barrier_wait -1
	s_barrier_signal -1
	s_barrier_wait -1
	s_and_saveexec_b32 s6, s4
; %bb.303:                              ;   in Loop: Header=BB127_3 Depth=1
	v_xor_b32_e32 v47, 0x80000000, v47
	ds_store_b64 v67, v[46:47] offset:128
; %bb.304:                              ;   in Loop: Header=BB127_3 Depth=1
	s_or_b32 exec_lo, exec_lo, s6
	s_wait_dscnt 0x0
	s_barrier_signal -1
	s_barrier_wait -1
	s_barrier_signal -1
	s_barrier_wait -1
	s_and_saveexec_b32 s6, s10
; %bb.305:                              ;   in Loop: Header=BB127_3 Depth=1
	v_add_nc_u32_e64 v0, 0x2000, 0
	ds_store_2addr_b64 v0, v[30:31], v[30:31] offset0:16 offset1:81
; %bb.306:                              ;   in Loop: Header=BB127_3 Depth=1
	s_or_b32 exec_lo, exec_lo, s6
	v_mov_b64_e32 v[46:47], 0
	s_wait_dscnt 0x0
	s_barrier_signal -1
	s_barrier_wait -1
	s_and_saveexec_b32 s8, s1
	s_cbranch_execz .LBB127_310
; %bb.307:                              ;   in Loop: Header=BB127_3 Depth=1
	ds_load_b64 v[46:47], v51 offset:8336
	ds_load_b64 v[48:49], v52 offset:8320
	s_wait_dscnt 0x0
	v_fma_f64 v[46:47], v[46:47], v[48:49], 0
	s_and_saveexec_b32 s6, s11
	s_cbranch_execz .LBB127_309
; %bb.308:                              ;   in Loop: Header=BB127_3 Depth=1
	ds_load_b64 v[48:49], v53 offset:8848
	ds_load_b64 v[84:85], v1 offset:8328
	s_wait_dscnt 0x0
	v_fmac_f64_e32 v[46:47], v[48:49], v[84:85]
.LBB127_309:                            ;   in Loop: Header=BB127_3 Depth=1
	s_or_b32 exec_lo, exec_lo, s6
	s_delay_alu instid0(VALU_DEP_1)
	v_xor_b32_e32 v47, 0x80000000, v47
.LBB127_310:                            ;   in Loop: Header=BB127_3 Depth=1
	s_or_b32 exec_lo, exec_lo, s8
	s_and_saveexec_b32 s6, s100
; %bb.311:                              ;   in Loop: Header=BB127_3 Depth=1
	ds_store_b64 v50, v[46:47]
; %bb.312:                              ;   in Loop: Header=BB127_3 Depth=1
	s_or_b32 exec_lo, exec_lo, s6
	s_wait_dscnt 0x0
	s_barrier_signal -1
	s_barrier_wait -1
	s_and_saveexec_b32 s6, s101
	s_cbranch_execz .LBB127_314
; %bb.313:                              ;   in Loop: Header=BB127_3 Depth=1
	ds_load_b64 v[48:49], v1 offset:9368
	ds_load_b64 v[84:85], v50
	s_wait_dscnt 0x0
	v_fmac_f64_e32 v[46:47], v[48:49], v[84:85]
.LBB127_314:                            ;   in Loop: Header=BB127_3 Depth=1
	s_or_b32 exec_lo, exec_lo, s6
	s_barrier_signal -1
	s_barrier_wait -1
	s_and_saveexec_b32 s6, s101
; %bb.315:                              ;   in Loop: Header=BB127_3 Depth=1
	ds_store_b64 v50, v[46:47]
; %bb.316:                              ;   in Loop: Header=BB127_3 Depth=1
	s_or_b32 exec_lo, exec_lo, s6
	s_wait_dscnt 0x0
	s_barrier_signal -1
	s_barrier_wait -1
	s_barrier_signal -1
	s_barrier_wait -1
	s_and_saveexec_b32 s6, s1
; %bb.317:                              ;   in Loop: Header=BB127_3 Depth=1
	v_xor_b32_e32 v47, 0x80000000, v47
	ds_store_b64 v51, v[46:47] offset:8336
; %bb.318:                              ;   in Loop: Header=BB127_3 Depth=1
	s_or_b32 exec_lo, exec_lo, s6
	s_wait_dscnt 0x0
	s_barrier_signal -1
	s_barrier_wait -1
	s_barrier_signal -1
	s_barrier_wait -1
	s_and_saveexec_b32 s6, s10
; %bb.319:                              ;   in Loop: Header=BB127_3 Depth=1
	v_add_nc_u32_e64 v0, 0x2000, 0
	ds_store_2addr_b64 v0, v[30:31], v[30:31] offset0:146 offset1:211
; %bb.320:                              ;   in Loop: Header=BB127_3 Depth=1
	s_or_b32 exec_lo, exec_lo, s6
	v_mov_b64_e32 v[46:47], 0
	s_wait_dscnt 0x0
	s_barrier_signal -1
	s_barrier_wait -1
	s_and_saveexec_b32 s8, s2
	s_cbranch_execz .LBB127_326
; %bb.321:                              ;   in Loop: Header=BB127_3 Depth=1
	ds_load_b64 v[46:47], v57 offset:8352
	ds_load_b64 v[48:49], v54 offset:8320
	s_wait_dscnt 0x0
	v_fma_f64 v[46:47], v[46:47], v[48:49], 0
	s_and_saveexec_b32 s6, s12
	s_cbranch_execnz .LBB127_1019
; %bb.322:                              ;   in Loop: Header=BB127_3 Depth=1
	s_or_b32 exec_lo, exec_lo, s6
	s_and_saveexec_b32 s6, s13
	s_cbranch_execnz .LBB127_1020
.LBB127_323:                            ;   in Loop: Header=BB127_3 Depth=1
	s_or_b32 exec_lo, exec_lo, s6
	s_and_saveexec_b32 s6, s1
	s_cbranch_execz .LBB127_325
.LBB127_324:                            ;   in Loop: Header=BB127_3 Depth=1
	ds_load_b64 v[48:49], v53 offset:9888
	ds_load_b64 v[84:85], v1 offset:8344
	s_wait_dscnt 0x0
	v_fmac_f64_e32 v[46:47], v[48:49], v[84:85]
.LBB127_325:                            ;   in Loop: Header=BB127_3 Depth=1
	s_or_b32 exec_lo, exec_lo, s6
	s_delay_alu instid0(VALU_DEP_1)
	v_xor_b32_e32 v47, 0x80000000, v47
.LBB127_326:                            ;   in Loop: Header=BB127_3 Depth=1
	s_or_b32 exec_lo, exec_lo, s8
	s_and_saveexec_b32 s6, s102
; %bb.327:                              ;   in Loop: Header=BB127_3 Depth=1
	ds_store_b64 v55, v[46:47]
; %bb.328:                              ;   in Loop: Header=BB127_3 Depth=1
	s_or_b32 exec_lo, exec_lo, s6
	s_wait_dscnt 0x0
	s_barrier_signal -1
	s_barrier_wait -1
	s_and_saveexec_b32 s6, s103
	s_cbranch_execz .LBB127_330
; %bb.329:                              ;   in Loop: Header=BB127_3 Depth=1
	ds_load_b64 v[48:49], v56 offset:10400
	ds_load_b64 v[84:85], v55
	s_wait_dscnt 0x0
	v_fmac_f64_e32 v[46:47], v[48:49], v[84:85]
.LBB127_330:                            ;   in Loop: Header=BB127_3 Depth=1
	s_or_b32 exec_lo, exec_lo, s6
	s_barrier_signal -1
	s_barrier_wait -1
	s_and_saveexec_b32 s6, s104
; %bb.331:                              ;   in Loop: Header=BB127_3 Depth=1
	ds_store_b64 v55, v[46:47]
; %bb.332:                              ;   in Loop: Header=BB127_3 Depth=1
	s_or_b32 exec_lo, exec_lo, s6
	s_wait_dscnt 0x0
	s_barrier_signal -1
	s_barrier_wait -1
	s_and_saveexec_b32 s6, vcc_hi
	s_cbranch_execz .LBB127_334
; %bb.333:                              ;   in Loop: Header=BB127_3 Depth=1
	ds_load_b64 v[48:49], v56 offset:10912
	ds_load_b64 v[84:85], v55
	s_wait_dscnt 0x0
	v_fmac_f64_e32 v[46:47], v[48:49], v[84:85]
.LBB127_334:                            ;   in Loop: Header=BB127_3 Depth=1
	s_or_b32 exec_lo, exec_lo, s6
	s_barrier_signal -1
	s_barrier_wait -1
	s_and_saveexec_b32 s6, s31
; %bb.335:                              ;   in Loop: Header=BB127_3 Depth=1
	ds_store_b64 v55, v[46:47]
; %bb.336:                              ;   in Loop: Header=BB127_3 Depth=1
	s_or_b32 exec_lo, exec_lo, s6
	s_wait_dscnt 0x0
	s_barrier_signal -1
	s_barrier_wait -1
	s_and_saveexec_b32 s6, s33
	s_cbranch_execz .LBB127_338
; %bb.337:                              ;   in Loop: Header=BB127_3 Depth=1
	ds_load_b64 v[48:49], v1 offset:11448
	ds_load_b64 v[84:85], v55
	s_wait_dscnt 0x0
	v_fmac_f64_e32 v[46:47], v[48:49], v[84:85]
.LBB127_338:                            ;   in Loop: Header=BB127_3 Depth=1
	s_or_b32 exec_lo, exec_lo, s6
	s_barrier_signal -1
	s_barrier_wait -1
	s_and_saveexec_b32 s6, s33
; %bb.339:                              ;   in Loop: Header=BB127_3 Depth=1
	ds_store_b64 v55, v[46:47]
; %bb.340:                              ;   in Loop: Header=BB127_3 Depth=1
	s_or_b32 exec_lo, exec_lo, s6
	s_wait_dscnt 0x0
	s_barrier_signal -1
	s_barrier_wait -1
	s_barrier_signal -1
	s_barrier_wait -1
	s_and_saveexec_b32 s6, s2
; %bb.341:                              ;   in Loop: Header=BB127_3 Depth=1
	v_xor_b32_e32 v47, 0x80000000, v47
	ds_store_b64 v57, v[46:47] offset:8352
; %bb.342:                              ;   in Loop: Header=BB127_3 Depth=1
	s_or_b32 exec_lo, exec_lo, s6
	s_wait_dscnt 0x0
	s_barrier_signal -1
	s_barrier_wait -1
	s_barrier_signal -1
	s_barrier_wait -1
	s_and_saveexec_b32 s6, s10
; %bb.343:                              ;   in Loop: Header=BB127_3 Depth=1
	v_add_nc_u32_e64 v0, 0x2800, 0
	ds_store_2addr_b64 v0, v[30:31], v[30:31] offset0:20 offset1:85
; %bb.344:                              ;   in Loop: Header=BB127_3 Depth=1
	s_or_b32 exec_lo, exec_lo, s6
	v_mov_b64_e32 v[46:47], 0
	s_wait_dscnt 0x0
	s_barrier_signal -1
	s_barrier_wait -1
	s_and_saveexec_b32 s8, s1
	s_cbranch_execz .LBB127_348
; %bb.345:                              ;   in Loop: Header=BB127_3 Depth=1
	ds_load_b64 v[46:47], v51 offset:10416
	ds_load_b64 v[48:49], v52 offset:10400
	s_wait_dscnt 0x0
	v_fma_f64 v[46:47], v[46:47], v[48:49], 0
	s_and_saveexec_b32 s6, s11
	s_cbranch_execz .LBB127_347
; %bb.346:                              ;   in Loop: Header=BB127_3 Depth=1
	ds_load_b64 v[48:49], v53 offset:10928
	ds_load_b64 v[84:85], v1 offset:10408
	s_wait_dscnt 0x0
	v_fmac_f64_e32 v[46:47], v[48:49], v[84:85]
.LBB127_347:                            ;   in Loop: Header=BB127_3 Depth=1
	s_or_b32 exec_lo, exec_lo, s6
	s_delay_alu instid0(VALU_DEP_1)
	v_xor_b32_e32 v47, 0x80000000, v47
.LBB127_348:                            ;   in Loop: Header=BB127_3 Depth=1
	s_or_b32 exec_lo, exec_lo, s8
	s_and_saveexec_b32 s6, s100
; %bb.349:                              ;   in Loop: Header=BB127_3 Depth=1
	ds_store_b64 v50, v[46:47]
; %bb.350:                              ;   in Loop: Header=BB127_3 Depth=1
	s_or_b32 exec_lo, exec_lo, s6
	s_wait_dscnt 0x0
	s_barrier_signal -1
	s_barrier_wait -1
	s_and_saveexec_b32 s6, s101
	s_cbranch_execz .LBB127_352
; %bb.351:                              ;   in Loop: Header=BB127_3 Depth=1
	ds_load_b64 v[48:49], v1 offset:11448
	ds_load_b64 v[84:85], v50
	s_wait_dscnt 0x0
	v_fmac_f64_e32 v[46:47], v[48:49], v[84:85]
.LBB127_352:                            ;   in Loop: Header=BB127_3 Depth=1
	s_or_b32 exec_lo, exec_lo, s6
	s_barrier_signal -1
	s_barrier_wait -1
	s_and_saveexec_b32 s6, s101
; %bb.353:                              ;   in Loop: Header=BB127_3 Depth=1
	ds_store_b64 v50, v[46:47]
; %bb.354:                              ;   in Loop: Header=BB127_3 Depth=1
	s_or_b32 exec_lo, exec_lo, s6
	s_wait_dscnt 0x0
	s_barrier_signal -1
	s_barrier_wait -1
	s_barrier_signal -1
	s_barrier_wait -1
	s_and_saveexec_b32 s6, s1
; %bb.355:                              ;   in Loop: Header=BB127_3 Depth=1
	v_xor_b32_e32 v47, 0x80000000, v47
	ds_store_b64 v51, v[46:47] offset:10416
; %bb.356:                              ;   in Loop: Header=BB127_3 Depth=1
	s_or_b32 exec_lo, exec_lo, s6
	s_wait_dscnt 0x0
	s_barrier_signal -1
	s_barrier_wait -1
	s_barrier_signal -1
	s_barrier_wait -1
	s_and_saveexec_b32 s6, s10
; %bb.357:                              ;   in Loop: Header=BB127_3 Depth=1
	v_add_nc_u32_e64 v0, 0x2800, 0
	ds_store_2addr_b64 v0, v[30:31], v[30:31] offset0:150 offset1:215
; %bb.358:                              ;   in Loop: Header=BB127_3 Depth=1
	s_or_b32 exec_lo, exec_lo, s6
	v_mov_b64_e32 v[46:47], 0
	s_wait_dscnt 0x0
	s_barrier_signal -1
	s_barrier_wait -1
	s_and_saveexec_b32 s8, s3
	s_cbranch_execz .LBB127_368
; %bb.359:                              ;   in Loop: Header=BB127_3 Depth=1
	ds_load_b64 v[46:47], v62 offset:8384
	ds_load_b64 v[48:49], v59 offset:8320
	s_wait_dscnt 0x0
	v_fma_f64 v[46:47], v[46:47], v[48:49], 0
	s_and_saveexec_b32 s6, s14
	s_cbranch_execnz .LBB127_1021
; %bb.360:                              ;   in Loop: Header=BB127_3 Depth=1
	s_or_b32 exec_lo, exec_lo, s6
	s_and_saveexec_b32 s6, s15
	s_cbranch_execnz .LBB127_1022
.LBB127_361:                            ;   in Loop: Header=BB127_3 Depth=1
	s_or_b32 exec_lo, exec_lo, s6
	s_and_saveexec_b32 s6, s16
	s_cbranch_execnz .LBB127_1023
.LBB127_362:                            ;   in Loop: Header=BB127_3 Depth=1
	s_or_b32 exec_lo, exec_lo, s6
	s_and_saveexec_b32 s6, s17
	s_cbranch_execnz .LBB127_1024
.LBB127_363:                            ;   in Loop: Header=BB127_3 Depth=1
	s_or_b32 exec_lo, exec_lo, s6
	s_and_saveexec_b32 s6, s18
	s_cbranch_execnz .LBB127_1025
.LBB127_364:                            ;   in Loop: Header=BB127_3 Depth=1
	s_or_b32 exec_lo, exec_lo, s6
	s_and_saveexec_b32 s6, s2
	s_cbranch_execnz .LBB127_1026
.LBB127_365:                            ;   in Loop: Header=BB127_3 Depth=1
	s_or_b32 exec_lo, exec_lo, s6
	s_and_saveexec_b32 s6, s13
	s_cbranch_execz .LBB127_367
.LBB127_366:                            ;   in Loop: Header=BB127_3 Depth=1
	ds_load_b64 v[48:49], v53 offset:11968
	ds_load_b64 v[84:85], v1 offset:8376
	s_wait_dscnt 0x0
	v_fmac_f64_e32 v[46:47], v[48:49], v[84:85]
.LBB127_367:                            ;   in Loop: Header=BB127_3 Depth=1
	s_or_b32 exec_lo, exec_lo, s6
	s_delay_alu instid0(VALU_DEP_1)
	v_xor_b32_e32 v47, 0x80000000, v47
.LBB127_368:                            ;   in Loop: Header=BB127_3 Depth=1
	s_or_b32 exec_lo, exec_lo, s8
	s_and_saveexec_b32 s6, s34
; %bb.369:                              ;   in Loop: Header=BB127_3 Depth=1
	ds_store_b64 v61, v[46:47]
; %bb.370:                              ;   in Loop: Header=BB127_3 Depth=1
	s_or_b32 exec_lo, exec_lo, s6
	s_wait_dscnt 0x0
	s_barrier_signal -1
	s_barrier_wait -1
	s_and_saveexec_b32 s6, s35
	s_cbranch_execz .LBB127_372
; %bb.371:                              ;   in Loop: Header=BB127_3 Depth=1
	ds_load_b64 v[48:49], v60 offset:12480
	ds_load_b64 v[84:85], v61
	s_wait_dscnt 0x0
	v_fmac_f64_e32 v[46:47], v[48:49], v[84:85]
.LBB127_372:                            ;   in Loop: Header=BB127_3 Depth=1
	s_or_b32 exec_lo, exec_lo, s6
	s_barrier_signal -1
	s_barrier_wait -1
	s_and_saveexec_b32 s6, s36
; %bb.373:                              ;   in Loop: Header=BB127_3 Depth=1
	ds_store_b64 v61, v[46:47]
; %bb.374:                              ;   in Loop: Header=BB127_3 Depth=1
	s_or_b32 exec_lo, exec_lo, s6
	s_wait_dscnt 0x0
	s_barrier_signal -1
	s_barrier_wait -1
	s_and_saveexec_b32 s6, s37
	s_cbranch_execz .LBB127_376
; %bb.375:                              ;   in Loop: Header=BB127_3 Depth=1
	ds_load_b64 v[48:49], v60 offset:12992
	ds_load_b64 v[84:85], v61
	s_wait_dscnt 0x0
	v_fmac_f64_e32 v[46:47], v[48:49], v[84:85]
.LBB127_376:                            ;   in Loop: Header=BB127_3 Depth=1
	s_or_b32 exec_lo, exec_lo, s6
	s_barrier_signal -1
	s_barrier_wait -1
	;; [unrolled: 19-line block ×7, first 2 shown]
	s_and_saveexec_b32 s6, s47
; %bb.397:                              ;   in Loop: Header=BB127_3 Depth=1
	ds_store_b64 v61, v[46:47]
; %bb.398:                              ;   in Loop: Header=BB127_3 Depth=1
	s_or_b32 exec_lo, exec_lo, s6
	s_wait_dscnt 0x0
	s_barrier_signal -1
	s_barrier_wait -1
	s_barrier_signal -1
	s_barrier_wait -1
	s_and_saveexec_b32 s6, s3
; %bb.399:                              ;   in Loop: Header=BB127_3 Depth=1
	v_xor_b32_e32 v47, 0x80000000, v47
	ds_store_b64 v62, v[46:47] offset:8384
; %bb.400:                              ;   in Loop: Header=BB127_3 Depth=1
	s_or_b32 exec_lo, exec_lo, s6
	s_wait_dscnt 0x0
	s_barrier_signal -1
	s_barrier_wait -1
	s_barrier_signal -1
	s_barrier_wait -1
	s_and_saveexec_b32 s6, s10
; %bb.401:                              ;   in Loop: Header=BB127_3 Depth=1
	v_add_nc_u32_e64 v0, 0x3000, 0
	ds_store_2addr_b64 v0, v[30:31], v[30:31] offset0:24 offset1:89
; %bb.402:                              ;   in Loop: Header=BB127_3 Depth=1
	s_or_b32 exec_lo, exec_lo, s6
	v_mov_b64_e32 v[46:47], 0
	s_wait_dscnt 0x0
	s_barrier_signal -1
	s_barrier_wait -1
	s_and_saveexec_b32 s8, s1
	s_cbranch_execz .LBB127_406
; %bb.403:                              ;   in Loop: Header=BB127_3 Depth=1
	ds_load_b64 v[46:47], v51 offset:12496
	ds_load_b64 v[48:49], v52 offset:12480
	s_wait_dscnt 0x0
	v_fma_f64 v[46:47], v[46:47], v[48:49], 0
	s_and_saveexec_b32 s6, s11
	s_cbranch_execz .LBB127_405
; %bb.404:                              ;   in Loop: Header=BB127_3 Depth=1
	ds_load_b64 v[48:49], v53 offset:13008
	ds_load_b64 v[84:85], v1 offset:12488
	s_wait_dscnt 0x0
	v_fmac_f64_e32 v[46:47], v[48:49], v[84:85]
.LBB127_405:                            ;   in Loop: Header=BB127_3 Depth=1
	s_or_b32 exec_lo, exec_lo, s6
	s_delay_alu instid0(VALU_DEP_1)
	v_xor_b32_e32 v47, 0x80000000, v47
.LBB127_406:                            ;   in Loop: Header=BB127_3 Depth=1
	s_or_b32 exec_lo, exec_lo, s8
	s_and_saveexec_b32 s6, s100
; %bb.407:                              ;   in Loop: Header=BB127_3 Depth=1
	ds_store_b64 v50, v[46:47]
; %bb.408:                              ;   in Loop: Header=BB127_3 Depth=1
	s_or_b32 exec_lo, exec_lo, s6
	s_wait_dscnt 0x0
	s_barrier_signal -1
	s_barrier_wait -1
	s_and_saveexec_b32 s6, s101
	s_cbranch_execz .LBB127_410
; %bb.409:                              ;   in Loop: Header=BB127_3 Depth=1
	ds_load_b64 v[48:49], v1 offset:13528
	ds_load_b64 v[84:85], v50
	s_wait_dscnt 0x0
	v_fmac_f64_e32 v[46:47], v[48:49], v[84:85]
.LBB127_410:                            ;   in Loop: Header=BB127_3 Depth=1
	s_or_b32 exec_lo, exec_lo, s6
	s_barrier_signal -1
	s_barrier_wait -1
	s_and_saveexec_b32 s6, s101
; %bb.411:                              ;   in Loop: Header=BB127_3 Depth=1
	ds_store_b64 v50, v[46:47]
; %bb.412:                              ;   in Loop: Header=BB127_3 Depth=1
	s_or_b32 exec_lo, exec_lo, s6
	s_wait_dscnt 0x0
	s_barrier_signal -1
	s_barrier_wait -1
	s_barrier_signal -1
	s_barrier_wait -1
	s_and_saveexec_b32 s6, s1
; %bb.413:                              ;   in Loop: Header=BB127_3 Depth=1
	v_xor_b32_e32 v47, 0x80000000, v47
	ds_store_b64 v51, v[46:47] offset:12496
; %bb.414:                              ;   in Loop: Header=BB127_3 Depth=1
	s_or_b32 exec_lo, exec_lo, s6
	s_wait_dscnt 0x0
	s_barrier_signal -1
	s_barrier_wait -1
	s_barrier_signal -1
	s_barrier_wait -1
	s_and_saveexec_b32 s6, s10
; %bb.415:                              ;   in Loop: Header=BB127_3 Depth=1
	v_add_nc_u32_e64 v0, 0x3000, 0
	ds_store_2addr_b64 v0, v[30:31], v[30:31] offset0:154 offset1:219
; %bb.416:                              ;   in Loop: Header=BB127_3 Depth=1
	s_or_b32 exec_lo, exec_lo, s6
	v_mov_b64_e32 v[46:47], 0
	s_wait_dscnt 0x0
	s_barrier_signal -1
	s_barrier_wait -1
	s_and_saveexec_b32 s8, s2
	s_cbranch_execz .LBB127_422
; %bb.417:                              ;   in Loop: Header=BB127_3 Depth=1
	ds_load_b64 v[46:47], v57 offset:12512
	ds_load_b64 v[48:49], v54 offset:12480
	s_wait_dscnt 0x0
	v_fma_f64 v[46:47], v[46:47], v[48:49], 0
	s_and_saveexec_b32 s6, s12
	s_cbranch_execnz .LBB127_1027
; %bb.418:                              ;   in Loop: Header=BB127_3 Depth=1
	s_or_b32 exec_lo, exec_lo, s6
	s_and_saveexec_b32 s6, s13
	s_cbranch_execnz .LBB127_1028
.LBB127_419:                            ;   in Loop: Header=BB127_3 Depth=1
	s_or_b32 exec_lo, exec_lo, s6
	s_and_saveexec_b32 s6, s1
	s_cbranch_execz .LBB127_421
.LBB127_420:                            ;   in Loop: Header=BB127_3 Depth=1
	ds_load_b64 v[48:49], v53 offset:14048
	ds_load_b64 v[84:85], v1 offset:12504
	s_wait_dscnt 0x0
	v_fmac_f64_e32 v[46:47], v[48:49], v[84:85]
.LBB127_421:                            ;   in Loop: Header=BB127_3 Depth=1
	s_or_b32 exec_lo, exec_lo, s6
	s_delay_alu instid0(VALU_DEP_1)
	v_xor_b32_e32 v47, 0x80000000, v47
.LBB127_422:                            ;   in Loop: Header=BB127_3 Depth=1
	s_or_b32 exec_lo, exec_lo, s8
	s_and_saveexec_b32 s6, s102
; %bb.423:                              ;   in Loop: Header=BB127_3 Depth=1
	ds_store_b64 v55, v[46:47]
; %bb.424:                              ;   in Loop: Header=BB127_3 Depth=1
	s_or_b32 exec_lo, exec_lo, s6
	s_wait_dscnt 0x0
	s_barrier_signal -1
	s_barrier_wait -1
	s_and_saveexec_b32 s6, s103
	s_cbranch_execz .LBB127_426
; %bb.425:                              ;   in Loop: Header=BB127_3 Depth=1
	ds_load_b64 v[48:49], v56 offset:14560
	ds_load_b64 v[84:85], v55
	s_wait_dscnt 0x0
	v_fmac_f64_e32 v[46:47], v[48:49], v[84:85]
.LBB127_426:                            ;   in Loop: Header=BB127_3 Depth=1
	s_or_b32 exec_lo, exec_lo, s6
	s_barrier_signal -1
	s_barrier_wait -1
	s_and_saveexec_b32 s6, s104
; %bb.427:                              ;   in Loop: Header=BB127_3 Depth=1
	ds_store_b64 v55, v[46:47]
; %bb.428:                              ;   in Loop: Header=BB127_3 Depth=1
	s_or_b32 exec_lo, exec_lo, s6
	s_wait_dscnt 0x0
	s_barrier_signal -1
	s_barrier_wait -1
	s_and_saveexec_b32 s6, vcc_hi
	s_cbranch_execz .LBB127_430
; %bb.429:                              ;   in Loop: Header=BB127_3 Depth=1
	ds_load_b64 v[48:49], v56 offset:15072
	ds_load_b64 v[84:85], v55
	s_wait_dscnt 0x0
	v_fmac_f64_e32 v[46:47], v[48:49], v[84:85]
.LBB127_430:                            ;   in Loop: Header=BB127_3 Depth=1
	s_or_b32 exec_lo, exec_lo, s6
	s_barrier_signal -1
	s_barrier_wait -1
	s_and_saveexec_b32 s6, s31
; %bb.431:                              ;   in Loop: Header=BB127_3 Depth=1
	ds_store_b64 v55, v[46:47]
; %bb.432:                              ;   in Loop: Header=BB127_3 Depth=1
	s_or_b32 exec_lo, exec_lo, s6
	s_wait_dscnt 0x0
	s_barrier_signal -1
	s_barrier_wait -1
	s_and_saveexec_b32 s6, s33
	s_cbranch_execz .LBB127_434
; %bb.433:                              ;   in Loop: Header=BB127_3 Depth=1
	ds_load_b64 v[48:49], v1 offset:15608
	ds_load_b64 v[84:85], v55
	s_wait_dscnt 0x0
	v_fmac_f64_e32 v[46:47], v[48:49], v[84:85]
.LBB127_434:                            ;   in Loop: Header=BB127_3 Depth=1
	s_or_b32 exec_lo, exec_lo, s6
	s_barrier_signal -1
	s_barrier_wait -1
	s_and_saveexec_b32 s6, s33
; %bb.435:                              ;   in Loop: Header=BB127_3 Depth=1
	ds_store_b64 v55, v[46:47]
; %bb.436:                              ;   in Loop: Header=BB127_3 Depth=1
	s_or_b32 exec_lo, exec_lo, s6
	s_wait_dscnt 0x0
	s_barrier_signal -1
	s_barrier_wait -1
	s_barrier_signal -1
	s_barrier_wait -1
	s_and_saveexec_b32 s6, s2
; %bb.437:                              ;   in Loop: Header=BB127_3 Depth=1
	v_xor_b32_e32 v47, 0x80000000, v47
	ds_store_b64 v57, v[46:47] offset:12512
; %bb.438:                              ;   in Loop: Header=BB127_3 Depth=1
	s_or_b32 exec_lo, exec_lo, s6
	s_wait_dscnt 0x0
	s_barrier_signal -1
	s_barrier_wait -1
	s_barrier_signal -1
	s_barrier_wait -1
	s_and_saveexec_b32 s6, s10
; %bb.439:                              ;   in Loop: Header=BB127_3 Depth=1
	v_add_nc_u32_e64 v0, 0x3800, 0
	ds_store_2addr_b64 v0, v[30:31], v[30:31] offset0:28 offset1:93
; %bb.440:                              ;   in Loop: Header=BB127_3 Depth=1
	s_or_b32 exec_lo, exec_lo, s6
	v_mov_b64_e32 v[46:47], 0
	s_wait_dscnt 0x0
	s_barrier_signal -1
	s_barrier_wait -1
	s_and_saveexec_b32 s8, s1
	s_cbranch_execz .LBB127_444
; %bb.441:                              ;   in Loop: Header=BB127_3 Depth=1
	ds_load_b64 v[46:47], v51 offset:14576
	ds_load_b64 v[48:49], v52 offset:14560
	s_wait_dscnt 0x0
	v_fma_f64 v[46:47], v[46:47], v[48:49], 0
	s_and_saveexec_b32 s6, s11
	s_cbranch_execz .LBB127_443
; %bb.442:                              ;   in Loop: Header=BB127_3 Depth=1
	ds_load_b64 v[48:49], v53 offset:15088
	ds_load_b64 v[84:85], v1 offset:14568
	s_wait_dscnt 0x0
	v_fmac_f64_e32 v[46:47], v[48:49], v[84:85]
.LBB127_443:                            ;   in Loop: Header=BB127_3 Depth=1
	s_or_b32 exec_lo, exec_lo, s6
	s_delay_alu instid0(VALU_DEP_1)
	v_xor_b32_e32 v47, 0x80000000, v47
.LBB127_444:                            ;   in Loop: Header=BB127_3 Depth=1
	s_or_b32 exec_lo, exec_lo, s8
	s_and_saveexec_b32 s6, s100
; %bb.445:                              ;   in Loop: Header=BB127_3 Depth=1
	ds_store_b64 v50, v[46:47]
; %bb.446:                              ;   in Loop: Header=BB127_3 Depth=1
	s_or_b32 exec_lo, exec_lo, s6
	s_wait_dscnt 0x0
	s_barrier_signal -1
	s_barrier_wait -1
	s_and_saveexec_b32 s6, s101
	s_cbranch_execz .LBB127_448
; %bb.447:                              ;   in Loop: Header=BB127_3 Depth=1
	ds_load_b64 v[48:49], v1 offset:15608
	ds_load_b64 v[84:85], v50
	s_wait_dscnt 0x0
	v_fmac_f64_e32 v[46:47], v[48:49], v[84:85]
.LBB127_448:                            ;   in Loop: Header=BB127_3 Depth=1
	s_or_b32 exec_lo, exec_lo, s6
	s_barrier_signal -1
	s_barrier_wait -1
	s_and_saveexec_b32 s6, s101
; %bb.449:                              ;   in Loop: Header=BB127_3 Depth=1
	ds_store_b64 v50, v[46:47]
; %bb.450:                              ;   in Loop: Header=BB127_3 Depth=1
	s_or_b32 exec_lo, exec_lo, s6
	s_wait_dscnt 0x0
	s_barrier_signal -1
	s_barrier_wait -1
	s_barrier_signal -1
	s_barrier_wait -1
	s_and_saveexec_b32 s6, s1
; %bb.451:                              ;   in Loop: Header=BB127_3 Depth=1
	v_xor_b32_e32 v47, 0x80000000, v47
	ds_store_b64 v51, v[46:47] offset:14576
; %bb.452:                              ;   in Loop: Header=BB127_3 Depth=1
	s_or_b32 exec_lo, exec_lo, s6
	s_wait_dscnt 0x0
	s_barrier_signal -1
	s_barrier_wait -1
	s_barrier_signal -1
	s_barrier_wait -1
	s_and_saveexec_b32 s6, s10
; %bb.453:                              ;   in Loop: Header=BB127_3 Depth=1
	v_add_nc_u32_e64 v0, 0x3800, 0
	ds_store_2addr_b64 v0, v[30:31], v[30:31] offset0:158 offset1:223
; %bb.454:                              ;   in Loop: Header=BB127_3 Depth=1
	s_or_b32 exec_lo, exec_lo, s6
	v_mov_b64_e32 v[46:47], 0
	s_wait_dscnt 0x0
	s_barrier_signal -1
	s_barrier_wait -1
	s_and_saveexec_b32 s65, s30
	s_cbranch_execz .LBB127_516
; %bb.455:                              ;   in Loop: Header=BB127_3 Depth=1
	v_add_nc_u32_e32 v0, v71, v70
	ds_load_b64 v[46:47], v73 offset:256
	ds_load_b64 v[48:49], v0
	s_wait_dscnt 0x0
	v_fma_f64 v[46:47], v[46:47], v[48:49], 0
	s_mov_b32 s6, exec_lo
	v_readlane_b32 s8, v93, 31
	s_and_b32 s8, s6, s8
	s_delay_alu instid0(SALU_CYCLE_1)
	s_mov_b32 exec_lo, s8
	s_cbranch_execz .LBB127_457
; %bb.456:                              ;   in Loop: Header=BB127_3 Depth=1
	ds_load_b64 v[48:49], v73 offset:768
	ds_load_b64 v[84:85], v0 offset:8
	s_wait_dscnt 0x0
	v_fmac_f64_e32 v[46:47], v[48:49], v[84:85]
.LBB127_457:                            ;   in Loop: Header=BB127_3 Depth=1
	s_or_b32 exec_lo, exec_lo, s6
	s_delay_alu instid0(SALU_CYCLE_1) | instskip(SKIP_2) | instid1(SALU_CYCLE_1)
	s_mov_b32 s6, exec_lo
	v_readlane_b32 s8, v92, 0
	s_and_b32 s8, s6, s8
	s_mov_b32 exec_lo, s8
	s_cbranch_execz .LBB127_459
; %bb.458:                              ;   in Loop: Header=BB127_3 Depth=1
	ds_load_b64 v[48:49], v73 offset:1280
	ds_load_b64 v[84:85], v0 offset:16
	s_wait_dscnt 0x0
	v_fmac_f64_e32 v[46:47], v[48:49], v[84:85]
.LBB127_459:                            ;   in Loop: Header=BB127_3 Depth=1
	s_or_b32 exec_lo, exec_lo, s6
	s_delay_alu instid0(SALU_CYCLE_1) | instskip(SKIP_2) | instid1(SALU_CYCLE_1)
	s_mov_b32 s6, exec_lo
	v_readlane_b32 s8, v92, 1
	s_and_b32 s8, s6, s8
	;; [unrolled: 13-line block ×22, first 2 shown]
	s_mov_b32 exec_lo, s8
	s_cbranch_execz .LBB127_501
; %bb.500:                              ;   in Loop: Header=BB127_3 Depth=1
	ds_load_b64 v[48:49], v73 offset:12032
	ds_load_b64 v[84:85], v0 offset:184
	s_wait_dscnt 0x0
	v_fmac_f64_e32 v[46:47], v[48:49], v[84:85]
.LBB127_501:                            ;   in Loop: Header=BB127_3 Depth=1
	s_or_b32 exec_lo, exec_lo, s6
	s_and_saveexec_b32 s6, s4
	s_cbranch_execz .LBB127_503
; %bb.502:                              ;   in Loop: Header=BB127_3 Depth=1
	ds_load_b64 v[48:49], v73 offset:12544
	ds_load_b64 v[84:85], v0 offset:192
	s_wait_dscnt 0x0
	v_fmac_f64_e32 v[46:47], v[48:49], v[84:85]
.LBB127_503:                            ;   in Loop: Header=BB127_3 Depth=1
	s_or_b32 exec_lo, exec_lo, s6
	s_delay_alu instid0(SALU_CYCLE_1) | instskip(SKIP_2) | instid1(SALU_CYCLE_1)
	s_mov_b32 s6, exec_lo
	v_readlane_b32 s8, v93, 21
	s_and_b32 s8, s6, s8
	s_mov_b32 exec_lo, s8
	s_cbranch_execz .LBB127_505
; %bb.504:                              ;   in Loop: Header=BB127_3 Depth=1
	ds_load_b64 v[48:49], v73 offset:13056
	ds_load_b64 v[84:85], v0 offset:200
	s_wait_dscnt 0x0
	v_fmac_f64_e32 v[46:47], v[48:49], v[84:85]
.LBB127_505:                            ;   in Loop: Header=BB127_3 Depth=1
	s_or_b32 exec_lo, exec_lo, s6
	s_delay_alu instid0(SALU_CYCLE_1) | instskip(SKIP_2) | instid1(SALU_CYCLE_1)
	s_mov_b32 s6, exec_lo
	v_readlane_b32 s8, v93, 23
	s_and_b32 s8, s6, s8
	s_mov_b32 exec_lo, s8
	;; [unrolled: 13-line block ×5, first 2 shown]
	s_cbranch_execnz .LBB127_1029
; %bb.512:                              ;   in Loop: Header=BB127_3 Depth=1
	s_or_b32 exec_lo, exec_lo, s6
	s_and_saveexec_b32 s6, s3
	s_cbranch_execnz .LBB127_1030
.LBB127_513:                            ;   in Loop: Header=BB127_3 Depth=1
	s_or_b32 exec_lo, exec_lo, s6
	s_and_saveexec_b32 s6, s17
	s_cbranch_execz .LBB127_515
.LBB127_514:                            ;   in Loop: Header=BB127_3 Depth=1
	ds_load_b64 v[48:49], v53 offset:16128
	ds_load_b64 v[84:85], v1 offset:248
	s_wait_dscnt 0x0
	v_fmac_f64_e32 v[46:47], v[48:49], v[84:85]
.LBB127_515:                            ;   in Loop: Header=BB127_3 Depth=1
	s_or_b32 exec_lo, exec_lo, s6
	s_delay_alu instid0(VALU_DEP_1)
	v_xor_b32_e32 v47, 0x80000000, v47
.LBB127_516:                            ;   in Loop: Header=BB127_3 Depth=1
	s_or_b32 exec_lo, exec_lo, s65
	v_dual_mov_b32 v0, v69 :: v_dual_mov_b32 v3, v80
	s_mov_b32 s8, 0
	s_branch .LBB127_518
.LBB127_517:                            ;   in Loop: Header=BB127_518 Depth=2
	s_or_b32 exec_lo, exec_lo, s6
	v_add_nc_u32_e32 v3, 0x800, v3
	v_add_nc_u32_e32 v0, -4, v0
	s_add_co_i32 s8, s8, 4
	s_delay_alu instid0(SALU_CYCLE_1)
	s_cmp_eq_u32 s8, 32
	s_barrier_signal -1
	s_barrier_wait -1
	s_cbranch_scc1 .LBB127_534
.LBB127_518:                            ;   Parent Loop BB127_3 Depth=1
                                        ; =>  This Inner Loop Header: Depth=2
	s_delay_alu instid0(VALU_DEP_1) | instskip(SKIP_1) | instid1(SALU_CYCLE_1)
	v_cmp_eq_u32_e32 vcc_lo, 0, v0
	s_and_b32 s9, s7, vcc_lo
	s_and_saveexec_b32 s6, s9
; %bb.519:                              ;   in Loop: Header=BB127_518 Depth=2
	ds_store_b64 v72, v[46:47]
; %bb.520:                              ;   in Loop: Header=BB127_518 Depth=2
	s_or_b32 exec_lo, exec_lo, s6
	v_cmp_lt_u32_e32 vcc_lo, s8, v69
	s_wait_dscnt 0x0
	s_barrier_signal -1
	s_barrier_wait -1
	s_and_b32 s9, s7, vcc_lo
	s_delay_alu instid0(SALU_CYCLE_1)
	s_and_saveexec_b32 s6, s9
	s_cbranch_execz .LBB127_522
; %bb.521:                              ;   in Loop: Header=BB127_518 Depth=2
	ds_load_b64 v[48:49], v3
	ds_load_b64 v[84:85], v72
	s_wait_dscnt 0x0
	v_fmac_f64_e32 v[46:47], v[48:49], v[84:85]
.LBB127_522:                            ;   in Loop: Header=BB127_518 Depth=2
	s_or_b32 exec_lo, exec_lo, s6
	s_or_b32 s9, s8, 1
	s_delay_alu instid0(SALU_CYCLE_1) | instskip(SKIP_3) | instid1(SALU_CYCLE_1)
	v_cmp_eq_u32_e32 vcc_lo, s9, v69
	s_barrier_signal -1
	s_barrier_wait -1
	s_and_b32 s65, s7, vcc_lo
	s_and_saveexec_b32 s6, s65
; %bb.523:                              ;   in Loop: Header=BB127_518 Depth=2
	ds_store_b64 v72, v[46:47]
; %bb.524:                              ;   in Loop: Header=BB127_518 Depth=2
	s_or_b32 exec_lo, exec_lo, s6
	v_cmp_lt_u32_e32 vcc_lo, s9, v69
	s_wait_dscnt 0x0
	s_barrier_signal -1
	s_barrier_wait -1
	s_and_b32 s9, s7, vcc_lo
	s_delay_alu instid0(SALU_CYCLE_1)
	s_and_saveexec_b32 s6, s9
	s_cbranch_execz .LBB127_526
; %bb.525:                              ;   in Loop: Header=BB127_518 Depth=2
	ds_load_b64 v[48:49], v3 offset:512
	ds_load_b64 v[84:85], v72
	s_wait_dscnt 0x0
	v_fmac_f64_e32 v[46:47], v[48:49], v[84:85]
.LBB127_526:                            ;   in Loop: Header=BB127_518 Depth=2
	s_or_b32 exec_lo, exec_lo, s6
	s_or_b32 s9, s8, 2
	s_delay_alu instid0(SALU_CYCLE_1) | instskip(SKIP_3) | instid1(SALU_CYCLE_1)
	v_cmp_eq_u32_e32 vcc_lo, s9, v69
	s_barrier_signal -1
	s_barrier_wait -1
	s_and_b32 s65, s7, vcc_lo
	s_and_saveexec_b32 s6, s65
; %bb.527:                              ;   in Loop: Header=BB127_518 Depth=2
	ds_store_b64 v72, v[46:47]
; %bb.528:                              ;   in Loop: Header=BB127_518 Depth=2
	s_or_b32 exec_lo, exec_lo, s6
	v_cmp_lt_u32_e32 vcc_lo, s9, v69
	s_wait_dscnt 0x0
	s_barrier_signal -1
	s_barrier_wait -1
	s_and_b32 s9, s7, vcc_lo
	s_delay_alu instid0(SALU_CYCLE_1)
	s_and_saveexec_b32 s6, s9
	s_cbranch_execz .LBB127_530
; %bb.529:                              ;   in Loop: Header=BB127_518 Depth=2
	ds_load_b64 v[48:49], v3 offset:1024
	ds_load_b64 v[84:85], v72
	s_wait_dscnt 0x0
	v_fmac_f64_e32 v[46:47], v[48:49], v[84:85]
.LBB127_530:                            ;   in Loop: Header=BB127_518 Depth=2
	s_or_b32 exec_lo, exec_lo, s6
	s_or_b32 s9, s8, 3
	s_delay_alu instid0(SALU_CYCLE_1) | instskip(SKIP_3) | instid1(SALU_CYCLE_1)
	v_cmp_eq_u32_e32 vcc_lo, s9, v69
	s_barrier_signal -1
	s_barrier_wait -1
	s_and_b32 s65, s7, vcc_lo
	s_and_saveexec_b32 s6, s65
; %bb.531:                              ;   in Loop: Header=BB127_518 Depth=2
	ds_store_b64 v72, v[46:47]
; %bb.532:                              ;   in Loop: Header=BB127_518 Depth=2
	s_or_b32 exec_lo, exec_lo, s6
	v_cmp_lt_u32_e32 vcc_lo, s9, v69
	s_wait_dscnt 0x0
	s_barrier_signal -1
	s_barrier_wait -1
	s_and_b32 s9, s7, vcc_lo
	s_delay_alu instid0(SALU_CYCLE_1)
	s_and_saveexec_b32 s6, s9
	s_cbranch_execz .LBB127_517
; %bb.533:                              ;   in Loop: Header=BB127_518 Depth=2
	ds_load_b64 v[48:49], v3 offset:1536
	ds_load_b64 v[84:85], v72
	s_wait_dscnt 0x0
	v_fmac_f64_e32 v[46:47], v[48:49], v[84:85]
	s_branch .LBB127_517
.LBB127_534:                            ;   in Loop: Header=BB127_3 Depth=1
	s_and_saveexec_b32 s6, s30
; %bb.535:                              ;   in Loop: Header=BB127_3 Depth=1
	s_delay_alu instid0(VALU_DEP_3)
	v_xor_b32_e32 v47, 0x80000000, v47
	ds_store_b64 v73, v[46:47] offset:256
; %bb.536:                              ;   in Loop: Header=BB127_3 Depth=1
	s_or_b32 exec_lo, exec_lo, s6
	s_wait_dscnt 0x0
	s_barrier_signal -1
	s_barrier_wait -1
	s_barrier_signal -1
	s_barrier_wait -1
	s_and_saveexec_b32 s6, s10
; %bb.537:                              ;   in Loop: Header=BB127_3 Depth=1
	v_add_nc_u32_e64 v0, 0x4000, 0
	ds_store_2addr_b64 v0, v[30:31], v[30:31] offset0:32 offset1:97
; %bb.538:                              ;   in Loop: Header=BB127_3 Depth=1
	s_or_b32 exec_lo, exec_lo, s6
	v_mov_b64_e32 v[46:47], 0
	s_wait_dscnt 0x0
	s_barrier_signal -1
	s_barrier_wait -1
	s_and_saveexec_b32 s8, s1
	s_cbranch_execz .LBB127_542
; %bb.539:                              ;   in Loop: Header=BB127_3 Depth=1
	ds_load_b64 v[46:47], v51 offset:16656
	ds_load_b64 v[48:49], v52 offset:16640
	s_wait_dscnt 0x0
	v_fma_f64 v[46:47], v[46:47], v[48:49], 0
	s_and_saveexec_b32 s6, s11
	s_cbranch_execz .LBB127_541
; %bb.540:                              ;   in Loop: Header=BB127_3 Depth=1
	ds_load_b64 v[48:49], v53 offset:17168
	ds_load_b64 v[84:85], v1 offset:16648
	s_wait_dscnt 0x0
	v_fmac_f64_e32 v[46:47], v[48:49], v[84:85]
.LBB127_541:                            ;   in Loop: Header=BB127_3 Depth=1
	s_or_b32 exec_lo, exec_lo, s6
	s_delay_alu instid0(VALU_DEP_1)
	v_xor_b32_e32 v47, 0x80000000, v47
.LBB127_542:                            ;   in Loop: Header=BB127_3 Depth=1
	s_or_b32 exec_lo, exec_lo, s8
	s_and_saveexec_b32 s6, s100
; %bb.543:                              ;   in Loop: Header=BB127_3 Depth=1
	ds_store_b64 v50, v[46:47]
; %bb.544:                              ;   in Loop: Header=BB127_3 Depth=1
	s_or_b32 exec_lo, exec_lo, s6
	s_wait_dscnt 0x0
	s_barrier_signal -1
	s_barrier_wait -1
	s_and_saveexec_b32 s6, s101
	s_cbranch_execz .LBB127_546
; %bb.545:                              ;   in Loop: Header=BB127_3 Depth=1
	ds_load_b64 v[48:49], v1 offset:17688
	ds_load_b64 v[84:85], v50
	s_wait_dscnt 0x0
	v_fmac_f64_e32 v[46:47], v[48:49], v[84:85]
.LBB127_546:                            ;   in Loop: Header=BB127_3 Depth=1
	s_or_b32 exec_lo, exec_lo, s6
	s_barrier_signal -1
	s_barrier_wait -1
	s_and_saveexec_b32 s6, s101
; %bb.547:                              ;   in Loop: Header=BB127_3 Depth=1
	ds_store_b64 v50, v[46:47]
; %bb.548:                              ;   in Loop: Header=BB127_3 Depth=1
	s_or_b32 exec_lo, exec_lo, s6
	s_wait_dscnt 0x0
	s_barrier_signal -1
	s_barrier_wait -1
	s_barrier_signal -1
	s_barrier_wait -1
	s_and_saveexec_b32 s6, s1
; %bb.549:                              ;   in Loop: Header=BB127_3 Depth=1
	v_xor_b32_e32 v47, 0x80000000, v47
	ds_store_b64 v51, v[46:47] offset:16656
; %bb.550:                              ;   in Loop: Header=BB127_3 Depth=1
	s_or_b32 exec_lo, exec_lo, s6
	s_wait_dscnt 0x0
	s_barrier_signal -1
	s_barrier_wait -1
	s_barrier_signal -1
	s_barrier_wait -1
	s_and_saveexec_b32 s6, s10
; %bb.551:                              ;   in Loop: Header=BB127_3 Depth=1
	v_add_nc_u32_e64 v0, 0x4000, 0
	ds_store_2addr_b64 v0, v[30:31], v[30:31] offset0:162 offset1:227
; %bb.552:                              ;   in Loop: Header=BB127_3 Depth=1
	s_or_b32 exec_lo, exec_lo, s6
	v_mov_b64_e32 v[46:47], 0
	s_wait_dscnt 0x0
	s_barrier_signal -1
	s_barrier_wait -1
	s_and_saveexec_b32 s8, s2
	s_cbranch_execz .LBB127_558
; %bb.553:                              ;   in Loop: Header=BB127_3 Depth=1
	ds_load_b64 v[46:47], v57 offset:16672
	ds_load_b64 v[48:49], v54 offset:16640
	s_wait_dscnt 0x0
	v_fma_f64 v[46:47], v[46:47], v[48:49], 0
	s_and_saveexec_b32 s6, s12
	s_cbranch_execnz .LBB127_1031
; %bb.554:                              ;   in Loop: Header=BB127_3 Depth=1
	s_or_b32 exec_lo, exec_lo, s6
	s_and_saveexec_b32 s6, s13
	s_cbranch_execnz .LBB127_1032
.LBB127_555:                            ;   in Loop: Header=BB127_3 Depth=1
	s_or_b32 exec_lo, exec_lo, s6
	s_and_saveexec_b32 s6, s1
	s_cbranch_execz .LBB127_557
.LBB127_556:                            ;   in Loop: Header=BB127_3 Depth=1
	ds_load_b64 v[48:49], v53 offset:18208
	ds_load_b64 v[84:85], v1 offset:16664
	s_wait_dscnt 0x0
	v_fmac_f64_e32 v[46:47], v[48:49], v[84:85]
.LBB127_557:                            ;   in Loop: Header=BB127_3 Depth=1
	s_or_b32 exec_lo, exec_lo, s6
	s_delay_alu instid0(VALU_DEP_1)
	v_xor_b32_e32 v47, 0x80000000, v47
.LBB127_558:                            ;   in Loop: Header=BB127_3 Depth=1
	s_or_b32 exec_lo, exec_lo, s8
	s_and_saveexec_b32 s6, s102
; %bb.559:                              ;   in Loop: Header=BB127_3 Depth=1
	ds_store_b64 v55, v[46:47]
; %bb.560:                              ;   in Loop: Header=BB127_3 Depth=1
	s_or_b32 exec_lo, exec_lo, s6
	s_wait_dscnt 0x0
	s_barrier_signal -1
	s_barrier_wait -1
	s_and_saveexec_b32 s6, s103
	s_cbranch_execz .LBB127_562
; %bb.561:                              ;   in Loop: Header=BB127_3 Depth=1
	ds_load_b64 v[48:49], v56 offset:18720
	ds_load_b64 v[84:85], v55
	s_wait_dscnt 0x0
	v_fmac_f64_e32 v[46:47], v[48:49], v[84:85]
.LBB127_562:                            ;   in Loop: Header=BB127_3 Depth=1
	s_or_b32 exec_lo, exec_lo, s6
	s_barrier_signal -1
	s_barrier_wait -1
	s_and_saveexec_b32 s6, s104
; %bb.563:                              ;   in Loop: Header=BB127_3 Depth=1
	ds_store_b64 v55, v[46:47]
; %bb.564:                              ;   in Loop: Header=BB127_3 Depth=1
	s_or_b32 exec_lo, exec_lo, s6
	s_wait_dscnt 0x0
	s_barrier_signal -1
	s_barrier_wait -1
	s_and_saveexec_b32 s6, vcc_hi
	s_cbranch_execz .LBB127_566
; %bb.565:                              ;   in Loop: Header=BB127_3 Depth=1
	ds_load_b64 v[48:49], v56 offset:19232
	ds_load_b64 v[84:85], v55
	s_wait_dscnt 0x0
	v_fmac_f64_e32 v[46:47], v[48:49], v[84:85]
.LBB127_566:                            ;   in Loop: Header=BB127_3 Depth=1
	s_or_b32 exec_lo, exec_lo, s6
	s_barrier_signal -1
	s_barrier_wait -1
	s_and_saveexec_b32 s6, s31
; %bb.567:                              ;   in Loop: Header=BB127_3 Depth=1
	ds_store_b64 v55, v[46:47]
; %bb.568:                              ;   in Loop: Header=BB127_3 Depth=1
	s_or_b32 exec_lo, exec_lo, s6
	s_wait_dscnt 0x0
	s_barrier_signal -1
	s_barrier_wait -1
	s_and_saveexec_b32 s6, s33
	s_cbranch_execz .LBB127_570
; %bb.569:                              ;   in Loop: Header=BB127_3 Depth=1
	ds_load_b64 v[48:49], v1 offset:19768
	ds_load_b64 v[84:85], v55
	s_wait_dscnt 0x0
	v_fmac_f64_e32 v[46:47], v[48:49], v[84:85]
.LBB127_570:                            ;   in Loop: Header=BB127_3 Depth=1
	s_or_b32 exec_lo, exec_lo, s6
	s_barrier_signal -1
	s_barrier_wait -1
	s_and_saveexec_b32 s6, s33
; %bb.571:                              ;   in Loop: Header=BB127_3 Depth=1
	ds_store_b64 v55, v[46:47]
; %bb.572:                              ;   in Loop: Header=BB127_3 Depth=1
	s_or_b32 exec_lo, exec_lo, s6
	s_wait_dscnt 0x0
	s_barrier_signal -1
	s_barrier_wait -1
	s_barrier_signal -1
	s_barrier_wait -1
	s_and_saveexec_b32 s6, s2
; %bb.573:                              ;   in Loop: Header=BB127_3 Depth=1
	v_xor_b32_e32 v47, 0x80000000, v47
	ds_store_b64 v57, v[46:47] offset:16672
; %bb.574:                              ;   in Loop: Header=BB127_3 Depth=1
	s_or_b32 exec_lo, exec_lo, s6
	s_wait_dscnt 0x0
	s_barrier_signal -1
	s_barrier_wait -1
	s_barrier_signal -1
	s_barrier_wait -1
	s_and_saveexec_b32 s6, s10
; %bb.575:                              ;   in Loop: Header=BB127_3 Depth=1
	v_add_nc_u32_e64 v0, 0x4800, 0
	ds_store_2addr_b64 v0, v[30:31], v[30:31] offset0:36 offset1:101
; %bb.576:                              ;   in Loop: Header=BB127_3 Depth=1
	s_or_b32 exec_lo, exec_lo, s6
	v_mov_b64_e32 v[46:47], 0
	s_wait_dscnt 0x0
	s_barrier_signal -1
	s_barrier_wait -1
	s_and_saveexec_b32 s8, s1
	s_cbranch_execz .LBB127_580
; %bb.577:                              ;   in Loop: Header=BB127_3 Depth=1
	ds_load_b64 v[46:47], v51 offset:18736
	ds_load_b64 v[48:49], v52 offset:18720
	s_wait_dscnt 0x0
	v_fma_f64 v[46:47], v[46:47], v[48:49], 0
	s_and_saveexec_b32 s6, s11
	s_cbranch_execz .LBB127_579
; %bb.578:                              ;   in Loop: Header=BB127_3 Depth=1
	ds_load_b64 v[48:49], v53 offset:19248
	ds_load_b64 v[84:85], v1 offset:18728
	s_wait_dscnt 0x0
	v_fmac_f64_e32 v[46:47], v[48:49], v[84:85]
.LBB127_579:                            ;   in Loop: Header=BB127_3 Depth=1
	s_or_b32 exec_lo, exec_lo, s6
	s_delay_alu instid0(VALU_DEP_1)
	v_xor_b32_e32 v47, 0x80000000, v47
.LBB127_580:                            ;   in Loop: Header=BB127_3 Depth=1
	s_or_b32 exec_lo, exec_lo, s8
	s_and_saveexec_b32 s6, s100
; %bb.581:                              ;   in Loop: Header=BB127_3 Depth=1
	ds_store_b64 v50, v[46:47]
; %bb.582:                              ;   in Loop: Header=BB127_3 Depth=1
	s_or_b32 exec_lo, exec_lo, s6
	s_wait_dscnt 0x0
	s_barrier_signal -1
	s_barrier_wait -1
	s_and_saveexec_b32 s6, s101
	s_cbranch_execz .LBB127_584
; %bb.583:                              ;   in Loop: Header=BB127_3 Depth=1
	ds_load_b64 v[48:49], v1 offset:19768
	ds_load_b64 v[84:85], v50
	s_wait_dscnt 0x0
	v_fmac_f64_e32 v[46:47], v[48:49], v[84:85]
.LBB127_584:                            ;   in Loop: Header=BB127_3 Depth=1
	s_or_b32 exec_lo, exec_lo, s6
	s_barrier_signal -1
	s_barrier_wait -1
	s_and_saveexec_b32 s6, s101
; %bb.585:                              ;   in Loop: Header=BB127_3 Depth=1
	ds_store_b64 v50, v[46:47]
; %bb.586:                              ;   in Loop: Header=BB127_3 Depth=1
	s_or_b32 exec_lo, exec_lo, s6
	s_wait_dscnt 0x0
	s_barrier_signal -1
	s_barrier_wait -1
	s_barrier_signal -1
	s_barrier_wait -1
	s_and_saveexec_b32 s6, s1
; %bb.587:                              ;   in Loop: Header=BB127_3 Depth=1
	v_xor_b32_e32 v47, 0x80000000, v47
	ds_store_b64 v51, v[46:47] offset:18736
; %bb.588:                              ;   in Loop: Header=BB127_3 Depth=1
	s_or_b32 exec_lo, exec_lo, s6
	s_wait_dscnt 0x0
	s_barrier_signal -1
	s_barrier_wait -1
	s_barrier_signal -1
	s_barrier_wait -1
	s_and_saveexec_b32 s6, s10
; %bb.589:                              ;   in Loop: Header=BB127_3 Depth=1
	v_add_nc_u32_e64 v0, 0x4800, 0
	ds_store_2addr_b64 v0, v[30:31], v[30:31] offset0:166 offset1:231
; %bb.590:                              ;   in Loop: Header=BB127_3 Depth=1
	s_or_b32 exec_lo, exec_lo, s6
	v_mov_b64_e32 v[46:47], 0
	s_wait_dscnt 0x0
	s_barrier_signal -1
	s_barrier_wait -1
	s_and_saveexec_b32 s8, s3
	s_cbranch_execz .LBB127_600
; %bb.591:                              ;   in Loop: Header=BB127_3 Depth=1
	ds_load_b64 v[46:47], v62 offset:16704
	ds_load_b64 v[48:49], v59 offset:16640
	s_wait_dscnt 0x0
	v_fma_f64 v[46:47], v[46:47], v[48:49], 0
	s_and_saveexec_b32 s6, s14
	s_cbranch_execnz .LBB127_1033
; %bb.592:                              ;   in Loop: Header=BB127_3 Depth=1
	s_or_b32 exec_lo, exec_lo, s6
	s_and_saveexec_b32 s6, s15
	s_cbranch_execnz .LBB127_1034
.LBB127_593:                            ;   in Loop: Header=BB127_3 Depth=1
	s_or_b32 exec_lo, exec_lo, s6
	s_and_saveexec_b32 s6, s16
	s_cbranch_execnz .LBB127_1035
.LBB127_594:                            ;   in Loop: Header=BB127_3 Depth=1
	s_or_b32 exec_lo, exec_lo, s6
	s_and_saveexec_b32 s6, s17
	s_cbranch_execnz .LBB127_1036
.LBB127_595:                            ;   in Loop: Header=BB127_3 Depth=1
	s_or_b32 exec_lo, exec_lo, s6
	s_and_saveexec_b32 s6, s18
	s_cbranch_execnz .LBB127_1037
.LBB127_596:                            ;   in Loop: Header=BB127_3 Depth=1
	s_or_b32 exec_lo, exec_lo, s6
	s_and_saveexec_b32 s6, s2
	s_cbranch_execnz .LBB127_1038
.LBB127_597:                            ;   in Loop: Header=BB127_3 Depth=1
	s_or_b32 exec_lo, exec_lo, s6
	s_and_saveexec_b32 s6, s13
	s_cbranch_execz .LBB127_599
.LBB127_598:                            ;   in Loop: Header=BB127_3 Depth=1
	ds_load_b64 v[48:49], v53 offset:20288
	ds_load_b64 v[84:85], v1 offset:16696
	s_wait_dscnt 0x0
	v_fmac_f64_e32 v[46:47], v[48:49], v[84:85]
.LBB127_599:                            ;   in Loop: Header=BB127_3 Depth=1
	s_or_b32 exec_lo, exec_lo, s6
	s_delay_alu instid0(VALU_DEP_1)
	v_xor_b32_e32 v47, 0x80000000, v47
.LBB127_600:                            ;   in Loop: Header=BB127_3 Depth=1
	s_or_b32 exec_lo, exec_lo, s8
	s_and_saveexec_b32 s6, s34
; %bb.601:                              ;   in Loop: Header=BB127_3 Depth=1
	ds_store_b64 v61, v[46:47]
; %bb.602:                              ;   in Loop: Header=BB127_3 Depth=1
	s_or_b32 exec_lo, exec_lo, s6
	s_wait_dscnt 0x0
	s_barrier_signal -1
	s_barrier_wait -1
	s_and_saveexec_b32 s6, s35
	s_cbranch_execz .LBB127_604
; %bb.603:                              ;   in Loop: Header=BB127_3 Depth=1
	ds_load_b64 v[48:49], v60 offset:20800
	ds_load_b64 v[84:85], v61
	s_wait_dscnt 0x0
	v_fmac_f64_e32 v[46:47], v[48:49], v[84:85]
.LBB127_604:                            ;   in Loop: Header=BB127_3 Depth=1
	s_or_b32 exec_lo, exec_lo, s6
	s_barrier_signal -1
	s_barrier_wait -1
	s_and_saveexec_b32 s6, s36
; %bb.605:                              ;   in Loop: Header=BB127_3 Depth=1
	ds_store_b64 v61, v[46:47]
; %bb.606:                              ;   in Loop: Header=BB127_3 Depth=1
	s_or_b32 exec_lo, exec_lo, s6
	s_wait_dscnt 0x0
	s_barrier_signal -1
	s_barrier_wait -1
	s_and_saveexec_b32 s6, s37
	s_cbranch_execz .LBB127_608
; %bb.607:                              ;   in Loop: Header=BB127_3 Depth=1
	ds_load_b64 v[48:49], v60 offset:21312
	ds_load_b64 v[84:85], v61
	s_wait_dscnt 0x0
	v_fmac_f64_e32 v[46:47], v[48:49], v[84:85]
.LBB127_608:                            ;   in Loop: Header=BB127_3 Depth=1
	s_or_b32 exec_lo, exec_lo, s6
	s_barrier_signal -1
	s_barrier_wait -1
	;; [unrolled: 19-line block ×7, first 2 shown]
	s_and_saveexec_b32 s6, s47
; %bb.629:                              ;   in Loop: Header=BB127_3 Depth=1
	ds_store_b64 v61, v[46:47]
; %bb.630:                              ;   in Loop: Header=BB127_3 Depth=1
	s_or_b32 exec_lo, exec_lo, s6
	s_wait_dscnt 0x0
	s_barrier_signal -1
	s_barrier_wait -1
	s_barrier_signal -1
	s_barrier_wait -1
	s_and_saveexec_b32 s6, s3
; %bb.631:                              ;   in Loop: Header=BB127_3 Depth=1
	v_xor_b32_e32 v47, 0x80000000, v47
	ds_store_b64 v62, v[46:47] offset:16704
; %bb.632:                              ;   in Loop: Header=BB127_3 Depth=1
	s_or_b32 exec_lo, exec_lo, s6
	s_wait_dscnt 0x0
	s_barrier_signal -1
	s_barrier_wait -1
	s_barrier_signal -1
	s_barrier_wait -1
	s_and_saveexec_b32 s6, s10
; %bb.633:                              ;   in Loop: Header=BB127_3 Depth=1
	v_add_nc_u32_e64 v0, 0x5000, 0
	ds_store_2addr_b64 v0, v[30:31], v[30:31] offset0:40 offset1:105
; %bb.634:                              ;   in Loop: Header=BB127_3 Depth=1
	s_or_b32 exec_lo, exec_lo, s6
	v_mov_b64_e32 v[46:47], 0
	s_wait_dscnt 0x0
	s_barrier_signal -1
	s_barrier_wait -1
	s_and_saveexec_b32 s8, s1
	s_cbranch_execz .LBB127_638
; %bb.635:                              ;   in Loop: Header=BB127_3 Depth=1
	ds_load_b64 v[46:47], v51 offset:20816
	ds_load_b64 v[48:49], v52 offset:20800
	s_wait_dscnt 0x0
	v_fma_f64 v[46:47], v[46:47], v[48:49], 0
	s_and_saveexec_b32 s6, s11
	s_cbranch_execz .LBB127_637
; %bb.636:                              ;   in Loop: Header=BB127_3 Depth=1
	ds_load_b64 v[48:49], v53 offset:21328
	ds_load_b64 v[84:85], v1 offset:20808
	s_wait_dscnt 0x0
	v_fmac_f64_e32 v[46:47], v[48:49], v[84:85]
.LBB127_637:                            ;   in Loop: Header=BB127_3 Depth=1
	s_or_b32 exec_lo, exec_lo, s6
	s_delay_alu instid0(VALU_DEP_1)
	v_xor_b32_e32 v47, 0x80000000, v47
.LBB127_638:                            ;   in Loop: Header=BB127_3 Depth=1
	s_or_b32 exec_lo, exec_lo, s8
	s_and_saveexec_b32 s6, s100
; %bb.639:                              ;   in Loop: Header=BB127_3 Depth=1
	ds_store_b64 v50, v[46:47]
; %bb.640:                              ;   in Loop: Header=BB127_3 Depth=1
	s_or_b32 exec_lo, exec_lo, s6
	s_wait_dscnt 0x0
	s_barrier_signal -1
	s_barrier_wait -1
	s_and_saveexec_b32 s6, s101
	s_cbranch_execz .LBB127_642
; %bb.641:                              ;   in Loop: Header=BB127_3 Depth=1
	ds_load_b64 v[48:49], v1 offset:21848
	ds_load_b64 v[84:85], v50
	s_wait_dscnt 0x0
	v_fmac_f64_e32 v[46:47], v[48:49], v[84:85]
.LBB127_642:                            ;   in Loop: Header=BB127_3 Depth=1
	s_or_b32 exec_lo, exec_lo, s6
	s_barrier_signal -1
	s_barrier_wait -1
	s_and_saveexec_b32 s6, s101
; %bb.643:                              ;   in Loop: Header=BB127_3 Depth=1
	ds_store_b64 v50, v[46:47]
; %bb.644:                              ;   in Loop: Header=BB127_3 Depth=1
	s_or_b32 exec_lo, exec_lo, s6
	s_wait_dscnt 0x0
	s_barrier_signal -1
	s_barrier_wait -1
	s_barrier_signal -1
	s_barrier_wait -1
	s_and_saveexec_b32 s6, s1
; %bb.645:                              ;   in Loop: Header=BB127_3 Depth=1
	v_xor_b32_e32 v47, 0x80000000, v47
	ds_store_b64 v51, v[46:47] offset:20816
; %bb.646:                              ;   in Loop: Header=BB127_3 Depth=1
	s_or_b32 exec_lo, exec_lo, s6
	s_wait_dscnt 0x0
	s_barrier_signal -1
	s_barrier_wait -1
	s_barrier_signal -1
	s_barrier_wait -1
	s_and_saveexec_b32 s6, s10
; %bb.647:                              ;   in Loop: Header=BB127_3 Depth=1
	v_add_nc_u32_e64 v0, 0x5000, 0
	ds_store_2addr_b64 v0, v[30:31], v[30:31] offset0:170 offset1:235
; %bb.648:                              ;   in Loop: Header=BB127_3 Depth=1
	s_or_b32 exec_lo, exec_lo, s6
	v_mov_b64_e32 v[46:47], 0
	s_wait_dscnt 0x0
	s_barrier_signal -1
	s_barrier_wait -1
	s_and_saveexec_b32 s8, s2
	s_cbranch_execz .LBB127_654
; %bb.649:                              ;   in Loop: Header=BB127_3 Depth=1
	ds_load_b64 v[46:47], v57 offset:20832
	ds_load_b64 v[48:49], v54 offset:20800
	s_wait_dscnt 0x0
	v_fma_f64 v[46:47], v[46:47], v[48:49], 0
	s_and_saveexec_b32 s6, s12
	s_cbranch_execnz .LBB127_1039
; %bb.650:                              ;   in Loop: Header=BB127_3 Depth=1
	s_or_b32 exec_lo, exec_lo, s6
	s_and_saveexec_b32 s6, s13
	s_cbranch_execnz .LBB127_1040
.LBB127_651:                            ;   in Loop: Header=BB127_3 Depth=1
	s_or_b32 exec_lo, exec_lo, s6
	s_and_saveexec_b32 s6, s1
	s_cbranch_execz .LBB127_653
.LBB127_652:                            ;   in Loop: Header=BB127_3 Depth=1
	ds_load_b64 v[48:49], v53 offset:22368
	ds_load_b64 v[84:85], v1 offset:20824
	s_wait_dscnt 0x0
	v_fmac_f64_e32 v[46:47], v[48:49], v[84:85]
.LBB127_653:                            ;   in Loop: Header=BB127_3 Depth=1
	s_or_b32 exec_lo, exec_lo, s6
	s_delay_alu instid0(VALU_DEP_1)
	v_xor_b32_e32 v47, 0x80000000, v47
.LBB127_654:                            ;   in Loop: Header=BB127_3 Depth=1
	s_or_b32 exec_lo, exec_lo, s8
	s_and_saveexec_b32 s6, s102
; %bb.655:                              ;   in Loop: Header=BB127_3 Depth=1
	ds_store_b64 v55, v[46:47]
; %bb.656:                              ;   in Loop: Header=BB127_3 Depth=1
	s_or_b32 exec_lo, exec_lo, s6
	s_wait_dscnt 0x0
	s_barrier_signal -1
	s_barrier_wait -1
	s_and_saveexec_b32 s6, s103
	s_cbranch_execz .LBB127_658
; %bb.657:                              ;   in Loop: Header=BB127_3 Depth=1
	ds_load_b64 v[48:49], v56 offset:22880
	ds_load_b64 v[84:85], v55
	s_wait_dscnt 0x0
	v_fmac_f64_e32 v[46:47], v[48:49], v[84:85]
.LBB127_658:                            ;   in Loop: Header=BB127_3 Depth=1
	s_or_b32 exec_lo, exec_lo, s6
	s_barrier_signal -1
	s_barrier_wait -1
	s_and_saveexec_b32 s6, s104
; %bb.659:                              ;   in Loop: Header=BB127_3 Depth=1
	ds_store_b64 v55, v[46:47]
; %bb.660:                              ;   in Loop: Header=BB127_3 Depth=1
	s_or_b32 exec_lo, exec_lo, s6
	s_wait_dscnt 0x0
	s_barrier_signal -1
	s_barrier_wait -1
	s_and_saveexec_b32 s6, vcc_hi
	s_cbranch_execz .LBB127_662
; %bb.661:                              ;   in Loop: Header=BB127_3 Depth=1
	ds_load_b64 v[48:49], v56 offset:23392
	ds_load_b64 v[84:85], v55
	s_wait_dscnt 0x0
	v_fmac_f64_e32 v[46:47], v[48:49], v[84:85]
.LBB127_662:                            ;   in Loop: Header=BB127_3 Depth=1
	s_or_b32 exec_lo, exec_lo, s6
	s_barrier_signal -1
	s_barrier_wait -1
	s_and_saveexec_b32 s6, s31
; %bb.663:                              ;   in Loop: Header=BB127_3 Depth=1
	ds_store_b64 v55, v[46:47]
; %bb.664:                              ;   in Loop: Header=BB127_3 Depth=1
	s_or_b32 exec_lo, exec_lo, s6
	s_wait_dscnt 0x0
	s_barrier_signal -1
	s_barrier_wait -1
	s_and_saveexec_b32 s6, s33
	s_cbranch_execz .LBB127_666
; %bb.665:                              ;   in Loop: Header=BB127_3 Depth=1
	ds_load_b64 v[48:49], v1 offset:23928
	ds_load_b64 v[84:85], v55
	s_wait_dscnt 0x0
	v_fmac_f64_e32 v[46:47], v[48:49], v[84:85]
.LBB127_666:                            ;   in Loop: Header=BB127_3 Depth=1
	s_or_b32 exec_lo, exec_lo, s6
	s_barrier_signal -1
	s_barrier_wait -1
	s_and_saveexec_b32 s6, s33
; %bb.667:                              ;   in Loop: Header=BB127_3 Depth=1
	ds_store_b64 v55, v[46:47]
; %bb.668:                              ;   in Loop: Header=BB127_3 Depth=1
	s_or_b32 exec_lo, exec_lo, s6
	s_wait_dscnt 0x0
	s_barrier_signal -1
	s_barrier_wait -1
	s_barrier_signal -1
	s_barrier_wait -1
	s_and_saveexec_b32 s6, s2
; %bb.669:                              ;   in Loop: Header=BB127_3 Depth=1
	v_xor_b32_e32 v47, 0x80000000, v47
	ds_store_b64 v57, v[46:47] offset:20832
; %bb.670:                              ;   in Loop: Header=BB127_3 Depth=1
	s_or_b32 exec_lo, exec_lo, s6
	s_wait_dscnt 0x0
	s_barrier_signal -1
	s_barrier_wait -1
	s_barrier_signal -1
	s_barrier_wait -1
	s_and_saveexec_b32 s6, s10
; %bb.671:                              ;   in Loop: Header=BB127_3 Depth=1
	v_add_nc_u32_e64 v0, 0x5800, 0
	ds_store_2addr_b64 v0, v[30:31], v[30:31] offset0:44 offset1:109
; %bb.672:                              ;   in Loop: Header=BB127_3 Depth=1
	s_or_b32 exec_lo, exec_lo, s6
	v_mov_b64_e32 v[46:47], 0
	s_wait_dscnt 0x0
	s_barrier_signal -1
	s_barrier_wait -1
	s_and_saveexec_b32 s8, s1
	s_cbranch_execz .LBB127_676
; %bb.673:                              ;   in Loop: Header=BB127_3 Depth=1
	ds_load_b64 v[46:47], v51 offset:22896
	ds_load_b64 v[48:49], v52 offset:22880
	s_wait_dscnt 0x0
	v_fma_f64 v[46:47], v[46:47], v[48:49], 0
	s_and_saveexec_b32 s6, s11
	s_cbranch_execz .LBB127_675
; %bb.674:                              ;   in Loop: Header=BB127_3 Depth=1
	ds_load_b64 v[48:49], v53 offset:23408
	ds_load_b64 v[84:85], v1 offset:22888
	s_wait_dscnt 0x0
	v_fmac_f64_e32 v[46:47], v[48:49], v[84:85]
.LBB127_675:                            ;   in Loop: Header=BB127_3 Depth=1
	s_or_b32 exec_lo, exec_lo, s6
	s_delay_alu instid0(VALU_DEP_1)
	v_xor_b32_e32 v47, 0x80000000, v47
.LBB127_676:                            ;   in Loop: Header=BB127_3 Depth=1
	s_or_b32 exec_lo, exec_lo, s8
	s_and_saveexec_b32 s6, s100
; %bb.677:                              ;   in Loop: Header=BB127_3 Depth=1
	ds_store_b64 v50, v[46:47]
; %bb.678:                              ;   in Loop: Header=BB127_3 Depth=1
	s_or_b32 exec_lo, exec_lo, s6
	s_wait_dscnt 0x0
	s_barrier_signal -1
	s_barrier_wait -1
	s_and_saveexec_b32 s6, s101
	s_cbranch_execz .LBB127_680
; %bb.679:                              ;   in Loop: Header=BB127_3 Depth=1
	ds_load_b64 v[48:49], v1 offset:23928
	ds_load_b64 v[84:85], v50
	s_wait_dscnt 0x0
	v_fmac_f64_e32 v[46:47], v[48:49], v[84:85]
.LBB127_680:                            ;   in Loop: Header=BB127_3 Depth=1
	s_or_b32 exec_lo, exec_lo, s6
	s_barrier_signal -1
	s_barrier_wait -1
	s_and_saveexec_b32 s6, s101
; %bb.681:                              ;   in Loop: Header=BB127_3 Depth=1
	ds_store_b64 v50, v[46:47]
; %bb.682:                              ;   in Loop: Header=BB127_3 Depth=1
	s_or_b32 exec_lo, exec_lo, s6
	s_wait_dscnt 0x0
	s_barrier_signal -1
	s_barrier_wait -1
	s_barrier_signal -1
	s_barrier_wait -1
	s_and_saveexec_b32 s6, s1
; %bb.683:                              ;   in Loop: Header=BB127_3 Depth=1
	v_xor_b32_e32 v47, 0x80000000, v47
	ds_store_b64 v51, v[46:47] offset:22896
; %bb.684:                              ;   in Loop: Header=BB127_3 Depth=1
	s_or_b32 exec_lo, exec_lo, s6
	s_wait_dscnt 0x0
	s_barrier_signal -1
	s_barrier_wait -1
	s_barrier_signal -1
	s_barrier_wait -1
	s_and_saveexec_b32 s6, s10
; %bb.685:                              ;   in Loop: Header=BB127_3 Depth=1
	v_add_nc_u32_e64 v0, 0x5800, 0
	ds_store_2addr_b64 v0, v[30:31], v[30:31] offset0:174 offset1:239
; %bb.686:                              ;   in Loop: Header=BB127_3 Depth=1
	s_or_b32 exec_lo, exec_lo, s6
	v_mov_b64_e32 v[46:47], 0
	s_wait_dscnt 0x0
	s_barrier_signal -1
	s_barrier_wait -1
	s_and_saveexec_b32 s65, s4
	s_cbranch_execz .LBB127_714
; %bb.687:                              ;   in Loop: Header=BB127_3 Depth=1
	ds_load_b64 v[46:47], v67 offset:16768
	ds_load_b64 v[48:49], v64 offset:16640
	s_wait_dscnt 0x0
	v_fma_f64 v[46:47], v[46:47], v[48:49], 0
	s_mov_b32 s6, exec_lo
	v_readlane_b32 s8, v93, 20
	s_and_b32 s8, s6, s8
	s_delay_alu instid0(SALU_CYCLE_1)
	s_mov_b32 exec_lo, s8
	s_cbranch_execz .LBB127_689
; %bb.688:                              ;   in Loop: Header=BB127_3 Depth=1
	ds_load_b64 v[48:49], v68 offset:17280
	ds_load_b64 v[84:85], v64 offset:16648
	s_wait_dscnt 0x0
	v_fmac_f64_e32 v[46:47], v[48:49], v[84:85]
.LBB127_689:                            ;   in Loop: Header=BB127_3 Depth=1
	s_or_b32 exec_lo, exec_lo, s6
	s_delay_alu instid0(SALU_CYCLE_1) | instskip(SKIP_2) | instid1(SALU_CYCLE_1)
	s_mov_b32 s6, exec_lo
	v_readlane_b32 s8, v93, 21
	s_and_b32 s8, s6, s8
	s_mov_b32 exec_lo, s8
	s_cbranch_execz .LBB127_691
; %bb.690:                              ;   in Loop: Header=BB127_3 Depth=1
	ds_load_b64 v[48:49], v68 offset:17792
	ds_load_b64 v[84:85], v64 offset:16656
	s_wait_dscnt 0x0
	v_fmac_f64_e32 v[46:47], v[48:49], v[84:85]
.LBB127_691:                            ;   in Loop: Header=BB127_3 Depth=1
	s_or_b32 exec_lo, exec_lo, s6
	s_delay_alu instid0(SALU_CYCLE_1) | instskip(SKIP_2) | instid1(SALU_CYCLE_1)
	s_mov_b32 s6, exec_lo
	v_readlane_b32 s8, v93, 22
	s_and_b32 s8, s6, s8
	;; [unrolled: 13-line block ×10, first 2 shown]
	s_mov_b32 exec_lo, s8
	s_cbranch_execnz .LBB127_1041
; %bb.708:                              ;   in Loop: Header=BB127_3 Depth=1
	s_or_b32 exec_lo, exec_lo, s6
	s_and_saveexec_b32 s6, s3
	s_cbranch_execnz .LBB127_1042
.LBB127_709:                            ;   in Loop: Header=BB127_3 Depth=1
	s_or_b32 exec_lo, exec_lo, s6
	s_and_saveexec_b32 s6, s15
	s_cbranch_execnz .LBB127_1043
.LBB127_710:                            ;   in Loop: Header=BB127_3 Depth=1
	s_or_b32 exec_lo, exec_lo, s6
	s_and_saveexec_b32 s6, s17
	s_cbranch_execnz .LBB127_1044
.LBB127_711:                            ;   in Loop: Header=BB127_3 Depth=1
	s_or_b32 exec_lo, exec_lo, s6
	s_and_saveexec_b32 s6, s2
	s_cbranch_execz .LBB127_713
.LBB127_712:                            ;   in Loop: Header=BB127_3 Depth=1
	ds_load_b64 v[48:49], v53 offset:24448
	ds_load_b64 v[84:85], v1 offset:16760
	s_wait_dscnt 0x0
	v_fmac_f64_e32 v[46:47], v[48:49], v[84:85]
.LBB127_713:                            ;   in Loop: Header=BB127_3 Depth=1
	s_or_b32 exec_lo, exec_lo, s6
	s_delay_alu instid0(VALU_DEP_1)
	v_xor_b32_e32 v47, 0x80000000, v47
.LBB127_714:                            ;   in Loop: Header=BB127_3 Depth=1
	s_or_b32 exec_lo, exec_lo, s65
	s_delay_alu instid0(SALU_CYCLE_1) | instskip(SKIP_2) | instid1(SALU_CYCLE_1)
	s_mov_b32 s6, exec_lo
	v_readlane_b32 s8, v93, 2
	s_and_b32 s8, s6, s8
	s_mov_b32 exec_lo, s8
; %bb.715:                              ;   in Loop: Header=BB127_3 Depth=1
	ds_store_b64 v66, v[46:47]
; %bb.716:                              ;   in Loop: Header=BB127_3 Depth=1
	s_or_b32 exec_lo, exec_lo, s6
	s_wait_dscnt 0x0
	s_barrier_signal -1
	s_barrier_wait -1
	s_mov_b32 s6, exec_lo
	v_readlane_b32 s8, v93, 3
	s_and_b32 s8, s6, s8
	s_delay_alu instid0(SALU_CYCLE_1)
	s_mov_b32 exec_lo, s8
	s_cbranch_execz .LBB127_718
; %bb.717:                              ;   in Loop: Header=BB127_3 Depth=1
	ds_load_b64 v[48:49], v65 offset:24960
	ds_load_b64 v[84:85], v66
	s_wait_dscnt 0x0
	v_fmac_f64_e32 v[46:47], v[48:49], v[84:85]
.LBB127_718:                            ;   in Loop: Header=BB127_3 Depth=1
	s_or_b32 exec_lo, exec_lo, s6
	s_barrier_signal -1
	s_barrier_wait -1
	s_mov_b32 s6, exec_lo
	v_readlane_b32 s8, v93, 4
	s_and_b32 s8, s6, s8
	s_delay_alu instid0(SALU_CYCLE_1)
	s_mov_b32 exec_lo, s8
; %bb.719:                              ;   in Loop: Header=BB127_3 Depth=1
	ds_store_b64 v66, v[46:47]
; %bb.720:                              ;   in Loop: Header=BB127_3 Depth=1
	s_or_b32 exec_lo, exec_lo, s6
	s_wait_dscnt 0x0
	s_barrier_signal -1
	s_barrier_wait -1
	s_mov_b32 s6, exec_lo
	v_readlane_b32 s8, v93, 5
	s_and_b32 s8, s6, s8
	s_delay_alu instid0(SALU_CYCLE_1)
	s_mov_b32 exec_lo, s8
	s_cbranch_execz .LBB127_722
; %bb.721:                              ;   in Loop: Header=BB127_3 Depth=1
	ds_load_b64 v[48:49], v65 offset:25472
	ds_load_b64 v[84:85], v66
	s_wait_dscnt 0x0
	v_fmac_f64_e32 v[46:47], v[48:49], v[84:85]
.LBB127_722:                            ;   in Loop: Header=BB127_3 Depth=1
	s_or_b32 exec_lo, exec_lo, s6
	s_barrier_signal -1
	s_barrier_wait -1
	s_mov_b32 s6, exec_lo
	v_readlane_b32 s8, v93, 6
	s_and_b32 s8, s6, s8
	s_delay_alu instid0(SALU_CYCLE_1)
	s_mov_b32 exec_lo, s8
; %bb.723:                              ;   in Loop: Header=BB127_3 Depth=1
	ds_store_b64 v66, v[46:47]
; %bb.724:                              ;   in Loop: Header=BB127_3 Depth=1
	s_or_b32 exec_lo, exec_lo, s6
	s_wait_dscnt 0x0
	s_barrier_signal -1
	s_barrier_wait -1
	s_and_saveexec_b32 s6, s53
	s_cbranch_execz .LBB127_726
; %bb.725:                              ;   in Loop: Header=BB127_3 Depth=1
	ds_load_b64 v[48:49], v65 offset:25984
	ds_load_b64 v[84:85], v66
	s_wait_dscnt 0x0
	v_fmac_f64_e32 v[46:47], v[48:49], v[84:85]
.LBB127_726:                            ;   in Loop: Header=BB127_3 Depth=1
	s_or_b32 exec_lo, exec_lo, s6
	s_barrier_signal -1
	s_barrier_wait -1
	s_and_saveexec_b32 s6, s54
; %bb.727:                              ;   in Loop: Header=BB127_3 Depth=1
	ds_store_b64 v66, v[46:47]
; %bb.728:                              ;   in Loop: Header=BB127_3 Depth=1
	s_or_b32 exec_lo, exec_lo, s6
	s_wait_dscnt 0x0
	s_barrier_signal -1
	s_barrier_wait -1
	s_and_saveexec_b32 s6, s19
	s_cbranch_execz .LBB127_730
; %bb.729:                              ;   in Loop: Header=BB127_3 Depth=1
	ds_load_b64 v[48:49], v65 offset:26496
	ds_load_b64 v[84:85], v66
	s_wait_dscnt 0x0
	v_fmac_f64_e32 v[46:47], v[48:49], v[84:85]
.LBB127_730:                            ;   in Loop: Header=BB127_3 Depth=1
	s_or_b32 exec_lo, exec_lo, s6
	s_barrier_signal -1
	s_barrier_wait -1
	s_and_saveexec_b32 s6, s21
	;; [unrolled: 19-line block ×13, first 2 shown]
; %bb.775:                              ;   in Loop: Header=BB127_3 Depth=1
	ds_store_b64 v66, v[46:47]
; %bb.776:                              ;   in Loop: Header=BB127_3 Depth=1
	s_or_b32 exec_lo, exec_lo, s6
	s_wait_dscnt 0x0
	s_barrier_signal -1
	s_barrier_wait -1
	s_barrier_signal -1
	s_barrier_wait -1
	s_and_saveexec_b32 s6, s4
; %bb.777:                              ;   in Loop: Header=BB127_3 Depth=1
	v_xor_b32_e32 v47, 0x80000000, v47
	ds_store_b64 v67, v[46:47] offset:16768
; %bb.778:                              ;   in Loop: Header=BB127_3 Depth=1
	s_or_b32 exec_lo, exec_lo, s6
	s_wait_dscnt 0x0
	s_barrier_signal -1
	s_barrier_wait -1
	s_barrier_signal -1
	s_barrier_wait -1
	s_and_saveexec_b32 s6, s10
; %bb.779:                              ;   in Loop: Header=BB127_3 Depth=1
	v_add_nc_u32_e64 v0, 0x6000, 0
	ds_store_2addr_b64 v0, v[30:31], v[30:31] offset0:48 offset1:113
; %bb.780:                              ;   in Loop: Header=BB127_3 Depth=1
	s_or_b32 exec_lo, exec_lo, s6
	v_mov_b64_e32 v[46:47], 0
	s_wait_dscnt 0x0
	s_barrier_signal -1
	s_barrier_wait -1
	s_and_saveexec_b32 s8, s1
	s_cbranch_execz .LBB127_784
; %bb.781:                              ;   in Loop: Header=BB127_3 Depth=1
	ds_load_b64 v[46:47], v51 offset:24976
	ds_load_b64 v[48:49], v52 offset:24960
	s_wait_dscnt 0x0
	v_fma_f64 v[46:47], v[46:47], v[48:49], 0
	s_and_saveexec_b32 s6, s11
	s_cbranch_execz .LBB127_783
; %bb.782:                              ;   in Loop: Header=BB127_3 Depth=1
	ds_load_b64 v[48:49], v53 offset:25488
	ds_load_b64 v[84:85], v1 offset:24968
	s_wait_dscnt 0x0
	v_fmac_f64_e32 v[46:47], v[48:49], v[84:85]
.LBB127_783:                            ;   in Loop: Header=BB127_3 Depth=1
	s_or_b32 exec_lo, exec_lo, s6
	s_delay_alu instid0(VALU_DEP_1)
	v_xor_b32_e32 v47, 0x80000000, v47
.LBB127_784:                            ;   in Loop: Header=BB127_3 Depth=1
	s_or_b32 exec_lo, exec_lo, s8
	s_and_saveexec_b32 s6, s100
; %bb.785:                              ;   in Loop: Header=BB127_3 Depth=1
	ds_store_b64 v50, v[46:47]
; %bb.786:                              ;   in Loop: Header=BB127_3 Depth=1
	s_or_b32 exec_lo, exec_lo, s6
	s_wait_dscnt 0x0
	s_barrier_signal -1
	s_barrier_wait -1
	s_and_saveexec_b32 s6, s101
	s_cbranch_execz .LBB127_788
; %bb.787:                              ;   in Loop: Header=BB127_3 Depth=1
	ds_load_b64 v[48:49], v1 offset:26008
	ds_load_b64 v[84:85], v50
	s_wait_dscnt 0x0
	v_fmac_f64_e32 v[46:47], v[48:49], v[84:85]
.LBB127_788:                            ;   in Loop: Header=BB127_3 Depth=1
	s_or_b32 exec_lo, exec_lo, s6
	s_barrier_signal -1
	s_barrier_wait -1
	s_and_saveexec_b32 s6, s101
; %bb.789:                              ;   in Loop: Header=BB127_3 Depth=1
	ds_store_b64 v50, v[46:47]
; %bb.790:                              ;   in Loop: Header=BB127_3 Depth=1
	s_or_b32 exec_lo, exec_lo, s6
	s_wait_dscnt 0x0
	s_barrier_signal -1
	s_barrier_wait -1
	s_barrier_signal -1
	s_barrier_wait -1
	s_and_saveexec_b32 s6, s1
; %bb.791:                              ;   in Loop: Header=BB127_3 Depth=1
	v_xor_b32_e32 v47, 0x80000000, v47
	ds_store_b64 v51, v[46:47] offset:24976
; %bb.792:                              ;   in Loop: Header=BB127_3 Depth=1
	s_or_b32 exec_lo, exec_lo, s6
	s_wait_dscnt 0x0
	s_barrier_signal -1
	s_barrier_wait -1
	s_barrier_signal -1
	s_barrier_wait -1
	s_and_saveexec_b32 s6, s10
; %bb.793:                              ;   in Loop: Header=BB127_3 Depth=1
	v_add_nc_u32_e64 v0, 0x6000, 0
	ds_store_2addr_b64 v0, v[30:31], v[30:31] offset0:178 offset1:243
; %bb.794:                              ;   in Loop: Header=BB127_3 Depth=1
	s_or_b32 exec_lo, exec_lo, s6
	v_mov_b64_e32 v[46:47], 0
	s_wait_dscnt 0x0
	s_barrier_signal -1
	s_barrier_wait -1
	s_and_saveexec_b32 s8, s2
	s_cbranch_execz .LBB127_800
; %bb.795:                              ;   in Loop: Header=BB127_3 Depth=1
	ds_load_b64 v[46:47], v57 offset:24992
	ds_load_b64 v[48:49], v54 offset:24960
	s_wait_dscnt 0x0
	v_fma_f64 v[46:47], v[46:47], v[48:49], 0
	s_and_saveexec_b32 s6, s12
	s_cbranch_execnz .LBB127_1045
; %bb.796:                              ;   in Loop: Header=BB127_3 Depth=1
	s_or_b32 exec_lo, exec_lo, s6
	s_and_saveexec_b32 s6, s13
	s_cbranch_execnz .LBB127_1046
.LBB127_797:                            ;   in Loop: Header=BB127_3 Depth=1
	s_or_b32 exec_lo, exec_lo, s6
	s_and_saveexec_b32 s6, s1
	s_cbranch_execz .LBB127_799
.LBB127_798:                            ;   in Loop: Header=BB127_3 Depth=1
	ds_load_b64 v[48:49], v53 offset:26528
	ds_load_b64 v[84:85], v1 offset:24984
	s_wait_dscnt 0x0
	v_fmac_f64_e32 v[46:47], v[48:49], v[84:85]
.LBB127_799:                            ;   in Loop: Header=BB127_3 Depth=1
	s_or_b32 exec_lo, exec_lo, s6
	s_delay_alu instid0(VALU_DEP_1)
	v_xor_b32_e32 v47, 0x80000000, v47
.LBB127_800:                            ;   in Loop: Header=BB127_3 Depth=1
	s_or_b32 exec_lo, exec_lo, s8
	s_and_saveexec_b32 s6, s102
; %bb.801:                              ;   in Loop: Header=BB127_3 Depth=1
	ds_store_b64 v55, v[46:47]
; %bb.802:                              ;   in Loop: Header=BB127_3 Depth=1
	s_or_b32 exec_lo, exec_lo, s6
	s_wait_dscnt 0x0
	s_barrier_signal -1
	s_barrier_wait -1
	s_and_saveexec_b32 s6, s103
	s_cbranch_execz .LBB127_804
; %bb.803:                              ;   in Loop: Header=BB127_3 Depth=1
	ds_load_b64 v[48:49], v56 offset:27040
	ds_load_b64 v[84:85], v55
	s_wait_dscnt 0x0
	v_fmac_f64_e32 v[46:47], v[48:49], v[84:85]
.LBB127_804:                            ;   in Loop: Header=BB127_3 Depth=1
	s_or_b32 exec_lo, exec_lo, s6
	s_barrier_signal -1
	s_barrier_wait -1
	s_and_saveexec_b32 s6, s104
; %bb.805:                              ;   in Loop: Header=BB127_3 Depth=1
	ds_store_b64 v55, v[46:47]
; %bb.806:                              ;   in Loop: Header=BB127_3 Depth=1
	s_or_b32 exec_lo, exec_lo, s6
	s_wait_dscnt 0x0
	s_barrier_signal -1
	s_barrier_wait -1
	s_and_saveexec_b32 s6, vcc_hi
	s_cbranch_execz .LBB127_808
; %bb.807:                              ;   in Loop: Header=BB127_3 Depth=1
	ds_load_b64 v[48:49], v56 offset:27552
	ds_load_b64 v[84:85], v55
	s_wait_dscnt 0x0
	v_fmac_f64_e32 v[46:47], v[48:49], v[84:85]
.LBB127_808:                            ;   in Loop: Header=BB127_3 Depth=1
	s_or_b32 exec_lo, exec_lo, s6
	s_barrier_signal -1
	s_barrier_wait -1
	s_and_saveexec_b32 s6, s31
; %bb.809:                              ;   in Loop: Header=BB127_3 Depth=1
	ds_store_b64 v55, v[46:47]
; %bb.810:                              ;   in Loop: Header=BB127_3 Depth=1
	s_or_b32 exec_lo, exec_lo, s6
	s_wait_dscnt 0x0
	s_barrier_signal -1
	s_barrier_wait -1
	s_and_saveexec_b32 s6, s33
	s_cbranch_execz .LBB127_812
; %bb.811:                              ;   in Loop: Header=BB127_3 Depth=1
	ds_load_b64 v[48:49], v1 offset:28088
	ds_load_b64 v[84:85], v55
	s_wait_dscnt 0x0
	v_fmac_f64_e32 v[46:47], v[48:49], v[84:85]
.LBB127_812:                            ;   in Loop: Header=BB127_3 Depth=1
	s_or_b32 exec_lo, exec_lo, s6
	s_barrier_signal -1
	s_barrier_wait -1
	s_and_saveexec_b32 s6, s33
; %bb.813:                              ;   in Loop: Header=BB127_3 Depth=1
	ds_store_b64 v55, v[46:47]
; %bb.814:                              ;   in Loop: Header=BB127_3 Depth=1
	s_or_b32 exec_lo, exec_lo, s6
	s_wait_dscnt 0x0
	s_barrier_signal -1
	s_barrier_wait -1
	s_barrier_signal -1
	s_barrier_wait -1
	s_and_saveexec_b32 s6, s2
; %bb.815:                              ;   in Loop: Header=BB127_3 Depth=1
	v_xor_b32_e32 v47, 0x80000000, v47
	ds_store_b64 v57, v[46:47] offset:24992
; %bb.816:                              ;   in Loop: Header=BB127_3 Depth=1
	s_or_b32 exec_lo, exec_lo, s6
	s_wait_dscnt 0x0
	s_barrier_signal -1
	s_barrier_wait -1
	s_barrier_signal -1
	s_barrier_wait -1
	s_and_saveexec_b32 s6, s10
; %bb.817:                              ;   in Loop: Header=BB127_3 Depth=1
	v_add_nc_u32_e64 v0, 0x6800, 0
	ds_store_2addr_b64 v0, v[30:31], v[30:31] offset0:52 offset1:117
; %bb.818:                              ;   in Loop: Header=BB127_3 Depth=1
	s_or_b32 exec_lo, exec_lo, s6
	v_mov_b64_e32 v[46:47], 0
	s_wait_dscnt 0x0
	s_barrier_signal -1
	s_barrier_wait -1
	s_and_saveexec_b32 s8, s1
	s_cbranch_execz .LBB127_822
; %bb.819:                              ;   in Loop: Header=BB127_3 Depth=1
	ds_load_b64 v[46:47], v51 offset:27056
	ds_load_b64 v[48:49], v52 offset:27040
	s_wait_dscnt 0x0
	v_fma_f64 v[46:47], v[46:47], v[48:49], 0
	s_and_saveexec_b32 s6, s11
	s_cbranch_execz .LBB127_821
; %bb.820:                              ;   in Loop: Header=BB127_3 Depth=1
	ds_load_b64 v[48:49], v53 offset:27568
	ds_load_b64 v[84:85], v1 offset:27048
	s_wait_dscnt 0x0
	v_fmac_f64_e32 v[46:47], v[48:49], v[84:85]
.LBB127_821:                            ;   in Loop: Header=BB127_3 Depth=1
	s_or_b32 exec_lo, exec_lo, s6
	s_delay_alu instid0(VALU_DEP_1)
	v_xor_b32_e32 v47, 0x80000000, v47
.LBB127_822:                            ;   in Loop: Header=BB127_3 Depth=1
	s_or_b32 exec_lo, exec_lo, s8
	s_and_saveexec_b32 s6, s100
; %bb.823:                              ;   in Loop: Header=BB127_3 Depth=1
	ds_store_b64 v50, v[46:47]
; %bb.824:                              ;   in Loop: Header=BB127_3 Depth=1
	s_or_b32 exec_lo, exec_lo, s6
	s_wait_dscnt 0x0
	s_barrier_signal -1
	s_barrier_wait -1
	s_and_saveexec_b32 s6, s101
	s_cbranch_execz .LBB127_826
; %bb.825:                              ;   in Loop: Header=BB127_3 Depth=1
	ds_load_b64 v[48:49], v1 offset:28088
	ds_load_b64 v[84:85], v50
	s_wait_dscnt 0x0
	v_fmac_f64_e32 v[46:47], v[48:49], v[84:85]
.LBB127_826:                            ;   in Loop: Header=BB127_3 Depth=1
	s_or_b32 exec_lo, exec_lo, s6
	s_barrier_signal -1
	s_barrier_wait -1
	s_and_saveexec_b32 s6, s101
; %bb.827:                              ;   in Loop: Header=BB127_3 Depth=1
	ds_store_b64 v50, v[46:47]
; %bb.828:                              ;   in Loop: Header=BB127_3 Depth=1
	s_or_b32 exec_lo, exec_lo, s6
	s_wait_dscnt 0x0
	s_barrier_signal -1
	s_barrier_wait -1
	s_barrier_signal -1
	s_barrier_wait -1
	s_and_saveexec_b32 s6, s1
; %bb.829:                              ;   in Loop: Header=BB127_3 Depth=1
	v_xor_b32_e32 v47, 0x80000000, v47
	ds_store_b64 v51, v[46:47] offset:27056
; %bb.830:                              ;   in Loop: Header=BB127_3 Depth=1
	s_or_b32 exec_lo, exec_lo, s6
	s_wait_dscnt 0x0
	s_barrier_signal -1
	s_barrier_wait -1
	s_barrier_signal -1
	s_barrier_wait -1
	s_and_saveexec_b32 s6, s10
; %bb.831:                              ;   in Loop: Header=BB127_3 Depth=1
	v_add_nc_u32_e64 v0, 0x6800, 0
	ds_store_2addr_b64 v0, v[30:31], v[30:31] offset0:182 offset1:247
; %bb.832:                              ;   in Loop: Header=BB127_3 Depth=1
	s_or_b32 exec_lo, exec_lo, s6
	v_mov_b64_e32 v[46:47], 0
	s_wait_dscnt 0x0
	s_barrier_signal -1
	s_barrier_wait -1
	s_and_saveexec_b32 s8, s3
	s_cbranch_execz .LBB127_842
; %bb.833:                              ;   in Loop: Header=BB127_3 Depth=1
	ds_load_b64 v[46:47], v62 offset:25024
	ds_load_b64 v[48:49], v59 offset:24960
	s_wait_dscnt 0x0
	v_fma_f64 v[46:47], v[46:47], v[48:49], 0
	s_and_saveexec_b32 s6, s14
	s_cbranch_execnz .LBB127_1047
; %bb.834:                              ;   in Loop: Header=BB127_3 Depth=1
	s_or_b32 exec_lo, exec_lo, s6
	s_and_saveexec_b32 s6, s15
	s_cbranch_execnz .LBB127_1048
.LBB127_835:                            ;   in Loop: Header=BB127_3 Depth=1
	s_or_b32 exec_lo, exec_lo, s6
	s_and_saveexec_b32 s6, s16
	s_cbranch_execnz .LBB127_1049
.LBB127_836:                            ;   in Loop: Header=BB127_3 Depth=1
	s_or_b32 exec_lo, exec_lo, s6
	s_and_saveexec_b32 s6, s17
	s_cbranch_execnz .LBB127_1050
.LBB127_837:                            ;   in Loop: Header=BB127_3 Depth=1
	s_or_b32 exec_lo, exec_lo, s6
	s_and_saveexec_b32 s6, s18
	s_cbranch_execnz .LBB127_1051
.LBB127_838:                            ;   in Loop: Header=BB127_3 Depth=1
	s_or_b32 exec_lo, exec_lo, s6
	s_and_saveexec_b32 s6, s2
	s_cbranch_execnz .LBB127_1052
.LBB127_839:                            ;   in Loop: Header=BB127_3 Depth=1
	s_or_b32 exec_lo, exec_lo, s6
	s_and_saveexec_b32 s6, s13
	s_cbranch_execz .LBB127_841
.LBB127_840:                            ;   in Loop: Header=BB127_3 Depth=1
	ds_load_b64 v[48:49], v53 offset:28608
	ds_load_b64 v[84:85], v1 offset:25016
	s_wait_dscnt 0x0
	v_fmac_f64_e32 v[46:47], v[48:49], v[84:85]
.LBB127_841:                            ;   in Loop: Header=BB127_3 Depth=1
	s_or_b32 exec_lo, exec_lo, s6
	s_delay_alu instid0(VALU_DEP_1)
	v_xor_b32_e32 v47, 0x80000000, v47
.LBB127_842:                            ;   in Loop: Header=BB127_3 Depth=1
	s_or_b32 exec_lo, exec_lo, s8
	s_and_saveexec_b32 s6, s34
; %bb.843:                              ;   in Loop: Header=BB127_3 Depth=1
	ds_store_b64 v61, v[46:47]
; %bb.844:                              ;   in Loop: Header=BB127_3 Depth=1
	s_or_b32 exec_lo, exec_lo, s6
	s_wait_dscnt 0x0
	s_barrier_signal -1
	s_barrier_wait -1
	s_and_saveexec_b32 s6, s35
	s_cbranch_execz .LBB127_846
; %bb.845:                              ;   in Loop: Header=BB127_3 Depth=1
	ds_load_b64 v[48:49], v60 offset:29120
	ds_load_b64 v[84:85], v61
	s_wait_dscnt 0x0
	v_fmac_f64_e32 v[46:47], v[48:49], v[84:85]
.LBB127_846:                            ;   in Loop: Header=BB127_3 Depth=1
	s_or_b32 exec_lo, exec_lo, s6
	s_barrier_signal -1
	s_barrier_wait -1
	s_and_saveexec_b32 s6, s36
; %bb.847:                              ;   in Loop: Header=BB127_3 Depth=1
	ds_store_b64 v61, v[46:47]
; %bb.848:                              ;   in Loop: Header=BB127_3 Depth=1
	s_or_b32 exec_lo, exec_lo, s6
	s_wait_dscnt 0x0
	s_barrier_signal -1
	s_barrier_wait -1
	s_and_saveexec_b32 s6, s37
	s_cbranch_execz .LBB127_850
; %bb.849:                              ;   in Loop: Header=BB127_3 Depth=1
	ds_load_b64 v[48:49], v60 offset:29632
	ds_load_b64 v[84:85], v61
	s_wait_dscnt 0x0
	v_fmac_f64_e32 v[46:47], v[48:49], v[84:85]
.LBB127_850:                            ;   in Loop: Header=BB127_3 Depth=1
	s_or_b32 exec_lo, exec_lo, s6
	s_barrier_signal -1
	s_barrier_wait -1
	;; [unrolled: 19-line block ×7, first 2 shown]
	s_and_saveexec_b32 s6, s47
; %bb.871:                              ;   in Loop: Header=BB127_3 Depth=1
	ds_store_b64 v61, v[46:47]
; %bb.872:                              ;   in Loop: Header=BB127_3 Depth=1
	s_or_b32 exec_lo, exec_lo, s6
	s_wait_dscnt 0x0
	s_barrier_signal -1
	s_barrier_wait -1
	s_barrier_signal -1
	s_barrier_wait -1
	s_and_saveexec_b32 s6, s3
; %bb.873:                              ;   in Loop: Header=BB127_3 Depth=1
	v_xor_b32_e32 v47, 0x80000000, v47
	ds_store_b64 v62, v[46:47] offset:25024
; %bb.874:                              ;   in Loop: Header=BB127_3 Depth=1
	s_or_b32 exec_lo, exec_lo, s6
	s_wait_dscnt 0x0
	s_barrier_signal -1
	s_barrier_wait -1
	s_barrier_signal -1
	s_barrier_wait -1
	s_and_saveexec_b32 s6, s10
; %bb.875:                              ;   in Loop: Header=BB127_3 Depth=1
	v_add_nc_u32_e64 v0, 0x7000, 0
	ds_store_2addr_b64 v0, v[30:31], v[30:31] offset0:56 offset1:121
; %bb.876:                              ;   in Loop: Header=BB127_3 Depth=1
	s_or_b32 exec_lo, exec_lo, s6
	v_mov_b64_e32 v[46:47], 0
	s_wait_dscnt 0x0
	s_barrier_signal -1
	s_barrier_wait -1
	s_and_saveexec_b32 s8, s1
	s_cbranch_execz .LBB127_880
; %bb.877:                              ;   in Loop: Header=BB127_3 Depth=1
	ds_load_b64 v[46:47], v51 offset:29136
	ds_load_b64 v[48:49], v52 offset:29120
	s_wait_dscnt 0x0
	v_fma_f64 v[46:47], v[46:47], v[48:49], 0
	s_and_saveexec_b32 s6, s11
	s_cbranch_execz .LBB127_879
; %bb.878:                              ;   in Loop: Header=BB127_3 Depth=1
	ds_load_b64 v[48:49], v53 offset:29648
	ds_load_b64 v[84:85], v1 offset:29128
	s_wait_dscnt 0x0
	v_fmac_f64_e32 v[46:47], v[48:49], v[84:85]
.LBB127_879:                            ;   in Loop: Header=BB127_3 Depth=1
	s_or_b32 exec_lo, exec_lo, s6
	s_delay_alu instid0(VALU_DEP_1)
	v_xor_b32_e32 v47, 0x80000000, v47
.LBB127_880:                            ;   in Loop: Header=BB127_3 Depth=1
	s_or_b32 exec_lo, exec_lo, s8
	s_and_saveexec_b32 s6, s100
; %bb.881:                              ;   in Loop: Header=BB127_3 Depth=1
	ds_store_b64 v50, v[46:47]
; %bb.882:                              ;   in Loop: Header=BB127_3 Depth=1
	s_or_b32 exec_lo, exec_lo, s6
	s_wait_dscnt 0x0
	s_barrier_signal -1
	s_barrier_wait -1
	s_and_saveexec_b32 s6, s101
	s_cbranch_execz .LBB127_884
; %bb.883:                              ;   in Loop: Header=BB127_3 Depth=1
	ds_load_b64 v[48:49], v1 offset:30168
	ds_load_b64 v[84:85], v50
	s_wait_dscnt 0x0
	v_fmac_f64_e32 v[46:47], v[48:49], v[84:85]
.LBB127_884:                            ;   in Loop: Header=BB127_3 Depth=1
	s_or_b32 exec_lo, exec_lo, s6
	s_barrier_signal -1
	s_barrier_wait -1
	s_and_saveexec_b32 s6, s101
; %bb.885:                              ;   in Loop: Header=BB127_3 Depth=1
	ds_store_b64 v50, v[46:47]
; %bb.886:                              ;   in Loop: Header=BB127_3 Depth=1
	s_or_b32 exec_lo, exec_lo, s6
	s_wait_dscnt 0x0
	s_barrier_signal -1
	s_barrier_wait -1
	s_barrier_signal -1
	s_barrier_wait -1
	s_and_saveexec_b32 s6, s1
; %bb.887:                              ;   in Loop: Header=BB127_3 Depth=1
	v_xor_b32_e32 v47, 0x80000000, v47
	ds_store_b64 v51, v[46:47] offset:29136
; %bb.888:                              ;   in Loop: Header=BB127_3 Depth=1
	s_or_b32 exec_lo, exec_lo, s6
	s_wait_dscnt 0x0
	s_barrier_signal -1
	s_barrier_wait -1
	s_barrier_signal -1
	s_barrier_wait -1
	s_and_saveexec_b32 s6, s10
; %bb.889:                              ;   in Loop: Header=BB127_3 Depth=1
	v_add_nc_u32_e64 v0, 0x7000, 0
	ds_store_2addr_b64 v0, v[30:31], v[30:31] offset0:186 offset1:251
; %bb.890:                              ;   in Loop: Header=BB127_3 Depth=1
	s_or_b32 exec_lo, exec_lo, s6
	v_mov_b64_e32 v[46:47], 0
	s_wait_dscnt 0x0
	s_barrier_signal -1
	s_barrier_wait -1
	s_and_saveexec_b32 s8, s2
	s_cbranch_execz .LBB127_896
; %bb.891:                              ;   in Loop: Header=BB127_3 Depth=1
	ds_load_b64 v[46:47], v57 offset:29152
	ds_load_b64 v[48:49], v54 offset:29120
	s_wait_dscnt 0x0
	v_fma_f64 v[46:47], v[46:47], v[48:49], 0
	s_and_saveexec_b32 s6, s12
	s_cbranch_execnz .LBB127_1053
; %bb.892:                              ;   in Loop: Header=BB127_3 Depth=1
	s_or_b32 exec_lo, exec_lo, s6
	s_and_saveexec_b32 s6, s13
	s_cbranch_execnz .LBB127_1054
.LBB127_893:                            ;   in Loop: Header=BB127_3 Depth=1
	s_or_b32 exec_lo, exec_lo, s6
	s_and_saveexec_b32 s6, s1
	s_cbranch_execz .LBB127_895
.LBB127_894:                            ;   in Loop: Header=BB127_3 Depth=1
	ds_load_b64 v[48:49], v53 offset:30688
	ds_load_b64 v[84:85], v1 offset:29144
	s_wait_dscnt 0x0
	v_fmac_f64_e32 v[46:47], v[48:49], v[84:85]
.LBB127_895:                            ;   in Loop: Header=BB127_3 Depth=1
	s_or_b32 exec_lo, exec_lo, s6
	s_delay_alu instid0(VALU_DEP_1)
	v_xor_b32_e32 v47, 0x80000000, v47
.LBB127_896:                            ;   in Loop: Header=BB127_3 Depth=1
	s_or_b32 exec_lo, exec_lo, s8
	s_and_saveexec_b32 s6, s102
; %bb.897:                              ;   in Loop: Header=BB127_3 Depth=1
	ds_store_b64 v55, v[46:47]
; %bb.898:                              ;   in Loop: Header=BB127_3 Depth=1
	s_or_b32 exec_lo, exec_lo, s6
	s_wait_dscnt 0x0
	s_barrier_signal -1
	s_barrier_wait -1
	s_and_saveexec_b32 s6, s103
	s_cbranch_execz .LBB127_900
; %bb.899:                              ;   in Loop: Header=BB127_3 Depth=1
	ds_load_b64 v[48:49], v56 offset:31200
	ds_load_b64 v[84:85], v55
	s_wait_dscnt 0x0
	v_fmac_f64_e32 v[46:47], v[48:49], v[84:85]
.LBB127_900:                            ;   in Loop: Header=BB127_3 Depth=1
	s_or_b32 exec_lo, exec_lo, s6
	s_barrier_signal -1
	s_barrier_wait -1
	s_and_saveexec_b32 s6, s104
; %bb.901:                              ;   in Loop: Header=BB127_3 Depth=1
	ds_store_b64 v55, v[46:47]
; %bb.902:                              ;   in Loop: Header=BB127_3 Depth=1
	s_or_b32 exec_lo, exec_lo, s6
	s_wait_dscnt 0x0
	s_barrier_signal -1
	s_barrier_wait -1
	s_and_saveexec_b32 s6, vcc_hi
	s_cbranch_execz .LBB127_904
; %bb.903:                              ;   in Loop: Header=BB127_3 Depth=1
	ds_load_b64 v[48:49], v56 offset:31712
	ds_load_b64 v[84:85], v55
	s_wait_dscnt 0x0
	v_fmac_f64_e32 v[46:47], v[48:49], v[84:85]
.LBB127_904:                            ;   in Loop: Header=BB127_3 Depth=1
	s_or_b32 exec_lo, exec_lo, s6
	s_barrier_signal -1
	s_barrier_wait -1
	s_and_saveexec_b32 s6, s31
; %bb.905:                              ;   in Loop: Header=BB127_3 Depth=1
	ds_store_b64 v55, v[46:47]
; %bb.906:                              ;   in Loop: Header=BB127_3 Depth=1
	s_or_b32 exec_lo, exec_lo, s6
	s_wait_dscnt 0x0
	s_barrier_signal -1
	s_barrier_wait -1
	s_and_saveexec_b32 s6, s33
	s_cbranch_execz .LBB127_908
; %bb.907:                              ;   in Loop: Header=BB127_3 Depth=1
	ds_load_b64 v[48:49], v1 offset:32248
	ds_load_b64 v[84:85], v55
	s_wait_dscnt 0x0
	v_fmac_f64_e32 v[46:47], v[48:49], v[84:85]
.LBB127_908:                            ;   in Loop: Header=BB127_3 Depth=1
	s_or_b32 exec_lo, exec_lo, s6
	s_barrier_signal -1
	s_barrier_wait -1
	s_and_saveexec_b32 s6, s33
; %bb.909:                              ;   in Loop: Header=BB127_3 Depth=1
	ds_store_b64 v55, v[46:47]
; %bb.910:                              ;   in Loop: Header=BB127_3 Depth=1
	s_or_b32 exec_lo, exec_lo, s6
	s_wait_dscnt 0x0
	s_barrier_signal -1
	s_barrier_wait -1
	s_barrier_signal -1
	s_barrier_wait -1
	s_and_saveexec_b32 s6, s2
; %bb.911:                              ;   in Loop: Header=BB127_3 Depth=1
	v_xor_b32_e32 v47, 0x80000000, v47
	ds_store_b64 v57, v[46:47] offset:29152
; %bb.912:                              ;   in Loop: Header=BB127_3 Depth=1
	s_or_b32 exec_lo, exec_lo, s6
	s_wait_dscnt 0x0
	s_barrier_signal -1
	s_barrier_wait -1
	s_barrier_signal -1
	s_barrier_wait -1
	s_and_saveexec_b32 s6, s10
; %bb.913:                              ;   in Loop: Header=BB127_3 Depth=1
	v_add_nc_u32_e64 v0, 0x7800, 0
	ds_store_2addr_b64 v0, v[30:31], v[30:31] offset0:60 offset1:125
; %bb.914:                              ;   in Loop: Header=BB127_3 Depth=1
	s_or_b32 exec_lo, exec_lo, s6
	v_mov_b64_e32 v[46:47], 0
	s_wait_dscnt 0x0
	s_barrier_signal -1
	s_barrier_wait -1
	s_and_saveexec_b32 s8, s1
	s_cbranch_execz .LBB127_918
; %bb.915:                              ;   in Loop: Header=BB127_3 Depth=1
	ds_load_b64 v[46:47], v51 offset:31216
	ds_load_b64 v[48:49], v52 offset:31200
	s_wait_dscnt 0x0
	v_fma_f64 v[46:47], v[46:47], v[48:49], 0
	s_and_saveexec_b32 s6, s11
	s_cbranch_execz .LBB127_917
; %bb.916:                              ;   in Loop: Header=BB127_3 Depth=1
	ds_load_b64 v[48:49], v53 offset:31728
	ds_load_b64 v[84:85], v1 offset:31208
	s_wait_dscnt 0x0
	v_fmac_f64_e32 v[46:47], v[48:49], v[84:85]
.LBB127_917:                            ;   in Loop: Header=BB127_3 Depth=1
	s_or_b32 exec_lo, exec_lo, s6
	s_delay_alu instid0(VALU_DEP_1)
	v_xor_b32_e32 v47, 0x80000000, v47
.LBB127_918:                            ;   in Loop: Header=BB127_3 Depth=1
	s_or_b32 exec_lo, exec_lo, s8
	s_and_saveexec_b32 s6, s100
; %bb.919:                              ;   in Loop: Header=BB127_3 Depth=1
	ds_store_b64 v50, v[46:47]
; %bb.920:                              ;   in Loop: Header=BB127_3 Depth=1
	s_or_b32 exec_lo, exec_lo, s6
	s_wait_dscnt 0x0
	s_barrier_signal -1
	s_barrier_wait -1
	s_and_saveexec_b32 s6, s101
	s_cbranch_execz .LBB127_922
; %bb.921:                              ;   in Loop: Header=BB127_3 Depth=1
	ds_load_b64 v[48:49], v1 offset:32248
	ds_load_b64 v[84:85], v50
	s_wait_dscnt 0x0
	v_fmac_f64_e32 v[46:47], v[48:49], v[84:85]
.LBB127_922:                            ;   in Loop: Header=BB127_3 Depth=1
	s_or_b32 exec_lo, exec_lo, s6
	s_barrier_signal -1
	s_barrier_wait -1
	s_and_saveexec_b32 s6, s101
; %bb.923:                              ;   in Loop: Header=BB127_3 Depth=1
	ds_store_b64 v50, v[46:47]
; %bb.924:                              ;   in Loop: Header=BB127_3 Depth=1
	s_or_b32 exec_lo, exec_lo, s6
	s_wait_dscnt 0x0
	s_barrier_signal -1
	s_barrier_wait -1
	s_barrier_signal -1
	s_barrier_wait -1
	s_and_saveexec_b32 s6, s1
; %bb.925:                              ;   in Loop: Header=BB127_3 Depth=1
	v_xor_b32_e32 v47, 0x80000000, v47
	ds_store_b64 v51, v[46:47] offset:31216
; %bb.926:                              ;   in Loop: Header=BB127_3 Depth=1
	s_or_b32 exec_lo, exec_lo, s6
	s_wait_dscnt 0x0
	s_barrier_signal -1
	s_barrier_wait -1
	s_barrier_signal -1
	s_barrier_wait -1
	s_and_saveexec_b32 s6, s10
; %bb.927:                              ;   in Loop: Header=BB127_3 Depth=1
	v_add_nc_u32_e64 v0, 0x7800, 0
	ds_store_2addr_b64 v0, v[30:31], v[30:31] offset0:190 offset1:255
; %bb.928:                              ;   in Loop: Header=BB127_3 Depth=1
	s_or_b32 exec_lo, exec_lo, s6
.LBB127_929:                            ;   in Loop: Header=BB127_3 Depth=1
	v_add_nc_u64_e32 v[44:45], s[72:73], v[44:45]
	v_mov_b64_e32 v[46:47], 0
	s_wait_dscnt 0x0
	s_barrier_signal -1
	s_barrier_wait -1
	s_wait_xcnt 0x0
	s_and_saveexec_b32 s6, s51
	s_cbranch_execz .LBB127_931
; %bb.930:                              ;   in Loop: Header=BB127_3 Depth=1
	v_lshl_add_u64 v[46:47], v[16:17], 3, v[44:45]
	flat_load_b64 v[46:47], v[46:47]
	s_wait_loadcnt_dscnt 0x0
	v_mul_f64_e64 v[46:47], v[46:47], -v[42:43]
.LBB127_931:                            ;   in Loop: Header=BB127_3 Depth=1
	s_or_b32 exec_lo, exec_lo, s6
	s_delay_alu instid0(SALU_CYCLE_1)
	s_and_not1_b32 vcc_lo, exec_lo, s52
	s_cbranch_vccnz .LBB127_957
; %bb.932:                              ;   in Loop: Header=BB127_3 Depth=1
	v_lshl_add_u64 v[40:41], v[8:9], 3, v[40:41]
	v_mov_b32_e32 v3, -1
	s_lshl_b64 s[8:9], s[66:67], 2
	s_delay_alu instid0(SALU_CYCLE_1)
	s_add_nc_u64 s[92:93], s[82:83], s[8:9]
	s_mov_b32 s8, 0
	s_branch .LBB127_935
.LBB127_933:                            ;   in Loop: Header=BB127_935 Depth=2
	s_wait_xcnt 0x0
	ds_load_b64 v[42:43], v74 offset:384
	s_wait_loadcnt_dscnt 0x0
	v_fmac_f64_e32 v[46:47], v[48:49], v[42:43]
.LBB127_934:                            ;   in Loop: Header=BB127_935 Depth=2
	s_or_b32 exec_lo, exec_lo, s9
	s_add_co_i32 s8, s8, 1
	s_delay_alu instid0(SALU_CYCLE_1)
	s_cmp_eq_u32 s8, s96
	s_cbranch_scc1 .LBB127_957
.LBB127_935:                            ;   Parent Loop BB127_3 Depth=1
                                        ; =>  This Loop Header: Depth=2
                                        ;       Child Loop BB127_937 Depth 3
	v_cmp_gt_i32_e32 vcc_lo, s8, v3
	s_and_b32 s6, s55, vcc_lo
	s_delay_alu instid0(SALU_CYCLE_1)
	s_and_saveexec_b32 s9, s6
	s_cbranch_execz .LBB127_938
; %bb.936:                              ;   in Loop: Header=BB127_935 Depth=2
	global_load_b32 v3, v1, s[92:93]
	s_wait_loadcnt 0x0
	v_cmp_le_i32_e32 vcc_lo, s8, v3
	s_cbranch_vccnz .LBB127_938
.LBB127_937:                            ;   Parent Loop BB127_3 Depth=1
                                        ;     Parent Loop BB127_935 Depth=2
                                        ; =>    This Inner Loop Header: Depth=3
	global_wb scope:SCOPE_DEV
	s_wait_storecnt 0x0
	global_inv scope:SCOPE_DEV
	global_load_b32 v3, v1, s[92:93]
	s_wait_loadcnt 0x0
	v_cmp_gt_i32_e32 vcc_lo, s8, v3
	s_cbranch_vccnz .LBB127_937
.LBB127_938:                            ;   in Loop: Header=BB127_935 Depth=2
	s_or_b32 exec_lo, exec_lo, s9
	s_lshl_b32 s65, s8, 6
	global_wb scope:SCOPE_DEV
	s_wait_storecnt 0x0
	global_inv scope:SCOPE_DEV
	s_wait_loadcnt 0x0
	s_barrier_signal -1
	s_barrier_wait -1
	s_and_saveexec_b32 s9, s56
	s_cbranch_execz .LBB127_942
; %bb.939:                              ;   in Loop: Header=BB127_935 Depth=2
	v_mov_b64_e32 v[42:43], 0
	v_or_b32_e32 v0, s65, v6
	s_mov_b32 s6, exec_lo
	s_delay_alu instid0(VALU_DEP_1)
	v_cmpx_gt_i32_e64 s95, v0
	s_cbranch_execz .LBB127_941
; %bb.940:                              ;   in Loop: Header=BB127_935 Depth=2
	v_mul_u64_e32 v[42:43], s[74:75], v[0:1]
	s_delay_alu instid0(VALU_DEP_1)
	v_lshl_add_u64 v[42:43], v[42:43], 3, v[44:45]
	flat_load_b64 v[42:43], v[42:43]
.LBB127_941:                            ;   in Loop: Header=BB127_935 Depth=2
	s_wait_xcnt 0x0
	s_or_b32 exec_lo, exec_lo, s6
	s_wait_loadcnt_dscnt 0x0
	ds_store_b64 v75, v[42:43]
.LBB127_942:                            ;   in Loop: Header=BB127_935 Depth=2
	s_or_b32 exec_lo, exec_lo, s9
	v_add_nc_u32_e32 v0, s65, v2
	v_cmp_ne_u32_e32 vcc_lo, s8, v5
	s_wait_dscnt 0x0
	s_barrier_signal -1
	s_barrier_wait -1
	v_mul_u64_e32 v[42:43], s[80:81], v[0:1]
	v_cmp_gt_i32_e64 s65, s95, v0
	v_cndmask_b32_e64 v83, 0, 1, vcc_lo
	s_and_b32 s6, s0, s65
	v_lshl_add_u64 v[42:43], v[42:43], 3, v[40:41]
	s_and_saveexec_b32 s9, s6
	s_cbranch_execz .LBB127_946
; %bb.943:                              ;   in Loop: Header=BB127_935 Depth=2
	v_mov_b64_e32 v[48:49], v[32:33]
	s_and_not1_b32 vcc_lo, exec_lo, vcc_lo
	s_cbranch_vccnz .LBB127_945
; %bb.944:                              ;   in Loop: Header=BB127_935 Depth=2
	flat_load_b64 v[48:49], v[42:43]
.LBB127_945:                            ;   in Loop: Header=BB127_935 Depth=2
	ds_load_b64 v[84:85], v74
	s_wait_loadcnt_dscnt 0x0
	v_fmac_f64_e32 v[46:47], v[48:49], v[84:85]
.LBB127_946:                            ;   in Loop: Header=BB127_935 Depth=2
	s_or_b32 exec_lo, exec_lo, s9
	v_add_nc_u32_e32 v48, 16, v0
	s_delay_alu instid0(VALU_DEP_1) | instskip(SKIP_1) | instid1(SALU_CYCLE_1)
	v_cmp_gt_i32_e32 vcc_lo, s95, v48
	s_and_b32 s6, s0, vcc_lo
	s_and_saveexec_b32 s9, s6
	s_cbranch_execz .LBB127_950
; %bb.947:                              ;   in Loop: Header=BB127_935 Depth=2
	v_cmp_ne_u32_e32 vcc_lo, 1, v83
	v_mov_b64_e32 v[48:49], v[34:35]
	s_cbranch_vccnz .LBB127_949
; %bb.948:                              ;   in Loop: Header=BB127_935 Depth=2
	v_add_nc_u64_e32 v[48:49], s[86:87], v[42:43]
	flat_load_b64 v[48:49], v[48:49]
.LBB127_949:                            ;   in Loop: Header=BB127_935 Depth=2
	ds_load_b64 v[84:85], v74 offset:128
	s_wait_loadcnt_dscnt 0x0
	v_fmac_f64_e32 v[46:47], v[48:49], v[84:85]
.LBB127_950:                            ;   in Loop: Header=BB127_935 Depth=2
	s_or_b32 exec_lo, exec_lo, s9
	v_add_nc_u32_e32 v48, 32, v0
	s_delay_alu instid0(VALU_DEP_1) | instskip(SKIP_1) | instid1(SALU_CYCLE_1)
	v_cmp_gt_i32_e32 vcc_lo, s95, v48
	s_and_b32 s6, s0, vcc_lo
	s_and_saveexec_b32 s9, s6
	s_cbranch_execz .LBB127_954
; %bb.951:                              ;   in Loop: Header=BB127_935 Depth=2
	v_cmp_ne_u32_e32 vcc_lo, 1, v83
	v_mov_b64_e32 v[48:49], v[36:37]
	s_cbranch_vccnz .LBB127_953
; %bb.952:                              ;   in Loop: Header=BB127_935 Depth=2
	v_add_nc_u64_e32 v[48:49], s[88:89], v[42:43]
	flat_load_b64 v[48:49], v[48:49]
.LBB127_953:                            ;   in Loop: Header=BB127_935 Depth=2
	ds_load_b64 v[84:85], v74 offset:256
	s_wait_loadcnt_dscnt 0x0
	v_fmac_f64_e32 v[46:47], v[48:49], v[84:85]
.LBB127_954:                            ;   in Loop: Header=BB127_935 Depth=2
	s_or_b32 exec_lo, exec_lo, s9
	v_add_nc_u32_e32 v0, 48, v0
	s_delay_alu instid0(VALU_DEP_1) | instskip(SKIP_1) | instid1(SALU_CYCLE_1)
	v_cmp_gt_i32_e32 vcc_lo, s95, v0
	s_and_b32 s6, s0, vcc_lo
	s_and_saveexec_b32 s9, s6
	s_cbranch_execz .LBB127_934
; %bb.955:                              ;   in Loop: Header=BB127_935 Depth=2
	v_cmp_ne_u32_e32 vcc_lo, 1, v83
	v_mov_b64_e32 v[48:49], v[38:39]
	s_cbranch_vccnz .LBB127_933
; %bb.956:                              ;   in Loop: Header=BB127_935 Depth=2
	v_add_nc_u64_e32 v[42:43], s[90:91], v[42:43]
	flat_load_b64 v[48:49], v[42:43]
	s_branch .LBB127_933
.LBB127_957:                            ;   in Loop: Header=BB127_3 Depth=1
	ds_store_b64 v76, v[46:47]
	s_wait_dscnt 0x0
	s_barrier_signal -1
	s_barrier_wait -1
	s_and_saveexec_b32 s8, s5
	s_cbranch_execz .LBB127_959
; %bb.958:                              ;   in Loop: Header=BB127_3 Depth=1
	ds_load_2addr_stride64_b64 v[40:43], v77 offset0:1 offset1:2
	ds_load_2addr_stride64_b64 v[84:87], v77 offset0:3 offset1:4
	s_wait_dscnt 0x1
	v_add_f64_e32 v[40:41], v[46:47], v[40:41]
	s_delay_alu instid0(VALU_DEP_1) | instskip(SKIP_1) | instid1(VALU_DEP_1)
	v_add_f64_e32 v[40:41], v[40:41], v[42:43]
	s_wait_dscnt 0x0
	v_add_f64_e32 v[40:41], v[40:41], v[84:85]
	s_delay_alu instid0(VALU_DEP_1) | instskip(SKIP_4) | instid1(VALU_DEP_1)
	v_add_f64_e32 v[84:85], v[40:41], v[86:87]
	ds_load_2addr_stride64_b64 v[40:43], v77 offset0:5 offset1:6
	ds_load_2addr_stride64_b64 v[46:49], v77 offset0:7 offset1:8
	s_wait_dscnt 0x1
	v_add_f64_e32 v[40:41], v[84:85], v[40:41]
	v_add_f64_e32 v[40:41], v[40:41], v[42:43]
	s_wait_dscnt 0x0
	s_delay_alu instid0(VALU_DEP_1) | instskip(NEXT) | instid1(VALU_DEP_1)
	v_add_f64_e32 v[40:41], v[40:41], v[46:47]
	v_add_f64_e32 v[84:85], v[40:41], v[48:49]
	ds_load_2addr_stride64_b64 v[40:43], v77 offset0:9 offset1:10
	ds_load_2addr_stride64_b64 v[46:49], v77 offset0:11 offset1:12
	s_wait_dscnt 0x1
	v_add_f64_e32 v[40:41], v[84:85], v[40:41]
	s_delay_alu instid0(VALU_DEP_1) | instskip(SKIP_1) | instid1(VALU_DEP_1)
	v_add_f64_e32 v[40:41], v[40:41], v[42:43]
	s_wait_dscnt 0x0
	v_add_f64_e32 v[40:41], v[40:41], v[46:47]
	s_delay_alu instid0(VALU_DEP_1) | instskip(SKIP_4) | instid1(VALU_DEP_1)
	v_add_f64_e32 v[46:47], v[40:41], v[48:49]
	ds_load_2addr_stride64_b64 v[40:43], v77 offset0:13 offset1:14
	ds_load_b64 v[48:49], v77 offset:7680
	s_wait_dscnt 0x1
	v_add_f64_e32 v[40:41], v[46:47], v[40:41]
	v_add_f64_e32 v[40:41], v[40:41], v[42:43]
	s_wait_dscnt 0x0
	s_delay_alu instid0(VALU_DEP_1) | instskip(NEXT) | instid1(VALU_DEP_1)
	v_add_f64_e32 v[40:41], v[40:41], v[48:49]
	v_xor_b32_e32 v0, 0x80000000, v41
	s_delay_alu instid0(VALU_DEP_2) | instskip(NEXT) | instid1(VALU_DEP_2)
	v_cndmask_b32_e64 v46, v40, 0, s50
	v_cndmask_b32_e64 v47, v0, 0, s50
.LBB127_959:                            ;   in Loop: Header=BB127_3 Depth=1
	s_or_b32 exec_lo, exec_lo, s8
	s_delay_alu instid0(SALU_CYCLE_1)
	s_and_not1_b32 vcc_lo, exec_lo, s99
	s_cbranch_vccnz .LBB127_972
; %bb.960:                              ;   in Loop: Header=BB127_3 Depth=1
	s_and_saveexec_b32 s6, s5
; %bb.961:                              ;   in Loop: Header=BB127_3 Depth=1
	ds_store_b64 v79, v[46:47]
; %bb.962:                              ;   in Loop: Header=BB127_3 Depth=1
	s_or_b32 exec_lo, exec_lo, s6
	v_mov_b64_e32 v[40:41], 0
	s_wait_dscnt 0x0
	s_barrier_signal -1
	s_barrier_wait -1
	s_mov_b32 s6, exec_lo
	v_readlane_b32 s8, v92, 22
	s_and_b32 s8, s6, s8
	s_delay_alu instid0(SALU_CYCLE_1)
	s_mov_b32 exec_lo, s8
	s_cbranch_execz .LBB127_964
; %bb.963:                              ;   in Loop: Header=BB127_3 Depth=1
	ds_load_b64 v[40:41], v78
	ds_load_b64 v[42:43], v74
	s_wait_dscnt 0x0
	v_fma_f64 v[40:41], v[40:41], v[42:43], 0
.LBB127_964:                            ;   in Loop: Header=BB127_3 Depth=1
	s_or_b32 exec_lo, exec_lo, s6
	s_delay_alu instid0(SALU_CYCLE_1) | instskip(SKIP_2) | instid1(SALU_CYCLE_1)
	s_mov_b32 s6, exec_lo
	v_readlane_b32 s8, v92, 23
	s_and_b32 s8, s6, s8
	s_mov_b32 exec_lo, s8
	s_cbranch_execz .LBB127_966
; %bb.965:                              ;   in Loop: Header=BB127_3 Depth=1
	ds_load_b64 v[42:43], v78 offset:8192
	ds_load_b64 v[48:49], v74 offset:128
	s_wait_dscnt 0x0
	v_fmac_f64_e32 v[40:41], v[42:43], v[48:49]
.LBB127_966:                            ;   in Loop: Header=BB127_3 Depth=1
	s_or_b32 exec_lo, exec_lo, s6
	s_delay_alu instid0(SALU_CYCLE_1) | instskip(SKIP_2) | instid1(SALU_CYCLE_1)
	s_mov_b32 s6, exec_lo
	v_readlane_b32 s8, v92, 24
	s_and_b32 s8, s6, s8
	s_mov_b32 exec_lo, s8
	s_cbranch_execz .LBB127_968
; %bb.967:                              ;   in Loop: Header=BB127_3 Depth=1
	ds_load_b64 v[42:43], v78 offset:16384
	ds_load_b64 v[48:49], v74 offset:256
	s_wait_dscnt 0x0
	v_fmac_f64_e32 v[40:41], v[42:43], v[48:49]
.LBB127_968:                            ;   in Loop: Header=BB127_3 Depth=1
	;; [unrolled: 13-line block ×3, first 2 shown]
	s_or_b32 exec_lo, exec_lo, s6
	s_mov_b32 s8, 0
	s_mov_b32 s65, 0
	ds_store_b64 v76, v[40:41]
	s_wait_dscnt 0x0
	s_barrier_signal -1
	s_barrier_wait -1
                                        ; implicit-def: $vgpr42_vgpr43
	s_and_saveexec_b32 s92, s5
	s_cbranch_execz .LBB127_1000
; %bb.971:                              ;   in Loop: Header=BB127_3 Depth=1
	ds_load_2addr_stride64_b64 v[84:87], v77 offset0:1 offset1:2
	ds_load_2addr_stride64_b64 v[88:91], v77 offset0:3 offset1:4
	s_mov_b32 s65, exec_lo
	s_wait_dscnt 0x1
	v_add_f64_e32 v[40:41], v[40:41], v[84:85]
	s_delay_alu instid0(VALU_DEP_1) | instskip(SKIP_1) | instid1(VALU_DEP_1)
	v_add_f64_e32 v[40:41], v[86:87], v[40:41]
	s_wait_dscnt 0x0
	v_add_f64_e32 v[40:41], v[88:89], v[40:41]
	s_delay_alu instid0(VALU_DEP_1) | instskip(SKIP_4) | instid1(VALU_DEP_1)
	v_add_f64_e32 v[48:49], v[90:91], v[40:41]
	ds_load_2addr_stride64_b64 v[40:43], v77 offset0:5 offset1:6
	ds_load_2addr_stride64_b64 v[84:87], v77 offset0:7 offset1:8
	s_wait_dscnt 0x1
	v_add_f64_e32 v[40:41], v[40:41], v[48:49]
	v_add_f64_e32 v[40:41], v[42:43], v[40:41]
	s_wait_dscnt 0x0
	s_delay_alu instid0(VALU_DEP_1) | instskip(NEXT) | instid1(VALU_DEP_1)
	v_add_f64_e32 v[40:41], v[84:85], v[40:41]
	v_add_f64_e32 v[48:49], v[86:87], v[40:41]
	ds_load_2addr_stride64_b64 v[40:43], v77 offset0:9 offset1:10
	ds_load_2addr_stride64_b64 v[84:87], v77 offset0:11 offset1:12
	s_wait_dscnt 0x1
	v_add_f64_e32 v[40:41], v[40:41], v[48:49]
	s_delay_alu instid0(VALU_DEP_1) | instskip(SKIP_1) | instid1(VALU_DEP_1)
	v_add_f64_e32 v[40:41], v[42:43], v[40:41]
	s_wait_dscnt 0x0
	v_add_f64_e32 v[40:41], v[84:85], v[40:41]
	s_delay_alu instid0(VALU_DEP_1) | instskip(SKIP_4) | instid1(VALU_DEP_1)
	v_add_f64_e32 v[48:49], v[86:87], v[40:41]
	ds_load_2addr_stride64_b64 v[40:43], v77 offset0:13 offset1:14
	ds_load_b64 v[84:85], v77 offset:7680
	s_wait_dscnt 0x1
	v_add_f64_e32 v[40:41], v[40:41], v[48:49]
	v_add_f64_e32 v[40:41], v[42:43], v[40:41]
	s_wait_dscnt 0x0
	s_delay_alu instid0(VALU_DEP_1) | instskip(SKIP_1) | instid1(SALU_CYCLE_1)
	v_add_f64_e32 v[42:43], v[84:85], v[40:41]
	s_or_b32 exec_lo, exec_lo, s92
	s_and_b32 vcc_lo, exec_lo, s8
	s_cbranch_vccnz .LBB127_973
	s_branch .LBB127_1001
.LBB127_972:                            ;   in Loop: Header=BB127_3 Depth=1
	s_mov_b32 s65, 0
                                        ; implicit-def: $vgpr42_vgpr43
	s_cbranch_execz .LBB127_1001
.LBB127_973:                            ;   in Loop: Header=BB127_3 Depth=1
	v_dual_mov_b32 v0, v4 :: v_dual_mov_b32 v3, v53
	s_mov_b32 s8, 0
	s_branch .LBB127_975
.LBB127_974:                            ;   in Loop: Header=BB127_975 Depth=2
	s_or_b32 exec_lo, exec_lo, s6
	v_add_nc_u32_e32 v3, 0x800, v3
	v_add_nc_u32_e32 v0, -4, v0
	s_add_co_i32 s8, s8, 4
	s_delay_alu instid0(SALU_CYCLE_1)
	s_cmp_lg_u32 s8, 64
	s_barrier_signal -1
	s_barrier_wait -1
	s_cbranch_scc0 .LBB127_991
.LBB127_975:                            ;   Parent Loop BB127_3 Depth=1
                                        ; =>  This Inner Loop Header: Depth=2
	s_delay_alu instid0(VALU_DEP_1) | instskip(SKIP_1) | instid1(SALU_CYCLE_1)
	v_cmp_eq_u32_e32 vcc_lo, 0, v0
	s_and_b32 s9, s5, vcc_lo
	s_and_saveexec_b32 s6, s9
; %bb.976:                              ;   in Loop: Header=BB127_975 Depth=2
	ds_store_b64 v1, v[46:47] offset:41472
; %bb.977:                              ;   in Loop: Header=BB127_975 Depth=2
	s_or_b32 exec_lo, exec_lo, s6
	v_cmp_lt_u32_e32 vcc_lo, s8, v4
	s_wait_dscnt 0x0
	s_barrier_signal -1
	s_barrier_wait -1
	s_and_b32 s9, s5, vcc_lo
	s_delay_alu instid0(SALU_CYCLE_1)
	s_and_saveexec_b32 s6, s9
	s_cbranch_execz .LBB127_979
; %bb.978:                              ;   in Loop: Header=BB127_975 Depth=2
	ds_load_b64 v[40:41], v3
	ds_load_b64 v[42:43], v1 offset:41472
	s_wait_dscnt 0x0
	v_fmac_f64_e32 v[46:47], v[40:41], v[42:43]
.LBB127_979:                            ;   in Loop: Header=BB127_975 Depth=2
	s_or_b32 exec_lo, exec_lo, s6
	s_or_b32 s9, s8, 1
	s_delay_alu instid0(SALU_CYCLE_1) | instskip(SKIP_3) | instid1(SALU_CYCLE_1)
	v_cmp_eq_u32_e32 vcc_lo, s9, v4
	s_barrier_signal -1
	s_barrier_wait -1
	s_and_b32 s92, s5, vcc_lo
	s_and_saveexec_b32 s6, s92
; %bb.980:                              ;   in Loop: Header=BB127_975 Depth=2
	ds_store_b64 v1, v[46:47] offset:41472
; %bb.981:                              ;   in Loop: Header=BB127_975 Depth=2
	s_or_b32 exec_lo, exec_lo, s6
	v_cmp_lt_u32_e32 vcc_lo, s9, v4
	s_wait_dscnt 0x0
	s_barrier_signal -1
	s_barrier_wait -1
	s_and_b32 s9, s5, vcc_lo
	s_delay_alu instid0(SALU_CYCLE_1)
	s_and_saveexec_b32 s6, s9
	s_cbranch_execz .LBB127_983
; %bb.982:                              ;   in Loop: Header=BB127_975 Depth=2
	ds_load_b64 v[40:41], v3 offset:512
	ds_load_b64 v[42:43], v1 offset:41472
	s_wait_dscnt 0x0
	v_fmac_f64_e32 v[46:47], v[40:41], v[42:43]
.LBB127_983:                            ;   in Loop: Header=BB127_975 Depth=2
	s_or_b32 exec_lo, exec_lo, s6
	s_or_b32 s9, s8, 2
	s_delay_alu instid0(SALU_CYCLE_1) | instskip(SKIP_3) | instid1(SALU_CYCLE_1)
	v_cmp_eq_u32_e32 vcc_lo, s9, v4
	s_barrier_signal -1
	s_barrier_wait -1
	s_and_b32 s92, s5, vcc_lo
	s_and_saveexec_b32 s6, s92
; %bb.984:                              ;   in Loop: Header=BB127_975 Depth=2
	ds_store_b64 v1, v[46:47] offset:41472
; %bb.985:                              ;   in Loop: Header=BB127_975 Depth=2
	s_or_b32 exec_lo, exec_lo, s6
	v_cmp_lt_u32_e32 vcc_lo, s9, v4
	s_wait_dscnt 0x0
	s_barrier_signal -1
	s_barrier_wait -1
	s_and_b32 s9, s5, vcc_lo
	s_delay_alu instid0(SALU_CYCLE_1)
	s_and_saveexec_b32 s6, s9
	s_cbranch_execz .LBB127_987
; %bb.986:                              ;   in Loop: Header=BB127_975 Depth=2
	ds_load_b64 v[40:41], v3 offset:1024
	ds_load_b64 v[42:43], v1 offset:41472
	s_wait_dscnt 0x0
	v_fmac_f64_e32 v[46:47], v[40:41], v[42:43]
.LBB127_987:                            ;   in Loop: Header=BB127_975 Depth=2
	s_or_b32 exec_lo, exec_lo, s6
	s_or_b32 s9, s8, 3
	s_delay_alu instid0(SALU_CYCLE_1) | instskip(SKIP_3) | instid1(SALU_CYCLE_1)
	v_cmp_eq_u32_e32 vcc_lo, s9, v4
	s_barrier_signal -1
	s_barrier_wait -1
	s_and_b32 s92, s5, vcc_lo
	s_and_saveexec_b32 s6, s92
; %bb.988:                              ;   in Loop: Header=BB127_975 Depth=2
	ds_store_b64 v1, v[46:47] offset:41472
; %bb.989:                              ;   in Loop: Header=BB127_975 Depth=2
	s_or_b32 exec_lo, exec_lo, s6
	v_cmp_lt_u32_e32 vcc_lo, s9, v4
	s_wait_dscnt 0x0
	s_barrier_signal -1
	s_barrier_wait -1
	s_and_b32 s9, s5, vcc_lo
	s_delay_alu instid0(SALU_CYCLE_1)
	s_and_saveexec_b32 s6, s9
	s_cbranch_execz .LBB127_974
; %bb.990:                              ;   in Loop: Header=BB127_975 Depth=2
	ds_load_b64 v[40:41], v3 offset:1536
	ds_load_b64 v[42:43], v1 offset:41472
	s_wait_dscnt 0x0
	v_fmac_f64_e32 v[46:47], v[40:41], v[42:43]
	s_branch .LBB127_974
.LBB127_991:                            ;   in Loop: Header=BB127_3 Depth=1
	s_and_b32 vcc_lo, exec_lo, s98
	s_mov_b32 s8, -1
	s_cbranch_vccz .LBB127_993
; %bb.992:                              ;   in Loop: Header=BB127_3 Depth=1
	s_and_not1_b32 s6, s65, exec_lo
	s_and_b32 s9, s5, exec_lo
	s_mov_b32 s8, 0
	s_or_b32 s65, s6, s9
.LBB127_993:                            ;   in Loop: Header=BB127_3 Depth=1
	s_and_not1_b32 vcc_lo, exec_lo, s8
	s_cbranch_vccnz .LBB127_995
; %bb.994:                              ;   in Loop: Header=BB127_3 Depth=1
	v_readlane_b32 s8, v93, 7
	s_and_not1_b32 s6, s65, exec_lo
	s_and_b32 s8, s8, exec_lo
	s_delay_alu instid0(SALU_CYCLE_1)
	s_or_b32 s65, s6, s8
.LBB127_995:                            ;   in Loop: Header=BB127_3 Depth=1
	v_mov_b64_e32 v[40:41], v[12:13]
	s_and_saveexec_b32 s6, s65
	s_cbranch_execnz .LBB127_1002
	s_branch .LBB127_1003
.LBB127_996:                            ;   in Loop: Header=BB127_3 Depth=1
	v_readlane_b32 s8, v92, 26
	s_and_b32 s8, s8, exec_lo
	s_or_saveexec_b32 s9, s6
	v_mov_b64_e32 v[48:49], 0
	s_xor_b32 exec_lo, exec_lo, s9
	s_cbranch_execz .LBB127_16
.LBB127_997:                            ;   in Loop: Header=BB127_3 Depth=1
	v_lshl_add_u64 v[48:49], v[20:21], 3, v[46:47]
	s_or_b32 s8, s8, exec_lo
	flat_load_b64 v[48:49], v[48:49]
	s_wait_loadcnt_dscnt 0x0
	v_xor_b32_e32 v49, 0x80000000, v49
	s_or_b32 exec_lo, exec_lo, s9
	s_and_saveexec_b32 s6, s8
	s_cbranch_execnz .LBB127_17
	s_branch .LBB127_18
.LBB127_998:                            ;   in Loop: Header=BB127_3 Depth=1
	v_readlane_b32 s8, v92, 26
	s_and_b32 s8, s8, exec_lo
	s_or_saveexec_b32 s9, s6
	v_mov_b64_e32 v[48:49], 0
	s_xor_b32 exec_lo, exec_lo, s9
	s_cbranch_execz .LBB127_40
.LBB127_999:                            ;   in Loop: Header=BB127_3 Depth=1
	v_lshl_add_u64 v[48:49], v[20:21], 3, v[46:47]
	s_or_b32 s8, s8, exec_lo
	flat_load_b64 v[48:49], v[48:49]
	s_wait_loadcnt_dscnt 0x0
	v_xor_b32_e32 v49, 0x80000000, v49
	s_or_b32 exec_lo, exec_lo, s9
	s_and_saveexec_b32 s6, s8
	s_cbranch_execnz .LBB127_41
	s_branch .LBB127_42
.LBB127_1000:                           ;   in Loop: Header=BB127_3 Depth=1
	s_or_b32 exec_lo, exec_lo, s92
	s_delay_alu instid0(SALU_CYCLE_1)
	s_and_b32 vcc_lo, exec_lo, s8
	s_cbranch_vccnz .LBB127_973
.LBB127_1001:                           ;   in Loop: Header=BB127_3 Depth=1
	s_delay_alu instid0(VALU_DEP_1)
	v_mov_b64_e32 v[46:47], v[42:43]
	v_mov_b64_e32 v[40:41], v[18:19]
	s_and_saveexec_b32 s6, s65
	s_cbranch_execz .LBB127_1003
.LBB127_1002:                           ;   in Loop: Header=BB127_3 Depth=1
	s_delay_alu instid0(VALU_DEP_1)
	v_lshl_add_u64 v[40:41], v[40:41], 3, v[44:45]
	flat_store_b64 v[40:41], v[46:47]
.LBB127_1003:                           ;   in Loop: Header=BB127_3 Depth=1
	s_wait_xcnt 0x0
	s_or_b32 exec_lo, exec_lo, s6
	global_wb scope:SCOPE_DEV
	s_wait_storecnt_dscnt 0x0
	global_inv scope:SCOPE_DEV
	s_wait_loadcnt 0x0
	s_barrier_signal -1
	s_barrier_wait -1
	s_and_saveexec_b32 s6, s55
	s_cbranch_execz .LBB127_2
; %bb.1004:                             ;   in Loop: Header=BB127_3 Depth=1
	s_lshl_b64 s[8:9], s[66:67], 2
	s_delay_alu instid0(SALU_CYCLE_1)
	s_add_nc_u64 s[8:9], s[82:83], s[8:9]
	global_load_b32 v0, v1, s[8:9]
	s_wait_loadcnt 0x0
	v_add_nc_u32_e32 v0, 1, v0
	global_store_b32 v1, v0, s[8:9]
	s_branch .LBB127_2
.LBB127_1005:                           ;   in Loop: Header=BB127_3 Depth=1
	ds_load_b64 v[48:49], v58 offset:544
	ds_load_b64 v[84:85], v54 offset:8
	s_wait_dscnt 0x0
	v_fmac_f64_e32 v[46:47], v[48:49], v[84:85]
	s_or_b32 exec_lo, exec_lo, s6
	s_and_saveexec_b32 s6, s13
	s_cbranch_execz .LBB127_81
.LBB127_1006:                           ;   in Loop: Header=BB127_3 Depth=1
	ds_load_b64 v[48:49], v57 offset:1056
	ds_load_b64 v[84:85], v54 offset:16
	s_wait_dscnt 0x0
	v_fmac_f64_e32 v[46:47], v[48:49], v[84:85]
	s_or_b32 exec_lo, exec_lo, s6
	s_and_saveexec_b32 s6, s1
	s_cbranch_execnz .LBB127_82
	s_branch .LBB127_83
.LBB127_1007:                           ;   in Loop: Header=BB127_3 Depth=1
	ds_load_b64 v[48:49], v63 offset:576
	ds_load_b64 v[84:85], v59 offset:8
	s_wait_dscnt 0x0
	v_fmac_f64_e32 v[46:47], v[48:49], v[84:85]
	s_or_b32 exec_lo, exec_lo, s6
	s_and_saveexec_b32 s6, s15
	s_cbranch_execz .LBB127_119
.LBB127_1008:                           ;   in Loop: Header=BB127_3 Depth=1
	ds_load_b64 v[48:49], v63 offset:1088
	ds_load_b64 v[84:85], v59 offset:16
	s_wait_dscnt 0x0
	v_fmac_f64_e32 v[46:47], v[48:49], v[84:85]
	s_or_b32 exec_lo, exec_lo, s6
	s_and_saveexec_b32 s6, s16
	s_cbranch_execz .LBB127_120
.LBB127_1009:                           ;   in Loop: Header=BB127_3 Depth=1
	ds_load_b64 v[48:49], v63 offset:1600
	ds_load_b64 v[84:85], v59 offset:24
	s_wait_dscnt 0x0
	v_fmac_f64_e32 v[46:47], v[48:49], v[84:85]
	s_or_b32 exec_lo, exec_lo, s6
	s_and_saveexec_b32 s6, s17
	s_cbranch_execz .LBB127_121
.LBB127_1010:                           ;   in Loop: Header=BB127_3 Depth=1
	ds_load_b64 v[48:49], v62 offset:2112
	ds_load_b64 v[84:85], v59 offset:32
	s_wait_dscnt 0x0
	v_fmac_f64_e32 v[46:47], v[48:49], v[84:85]
	s_or_b32 exec_lo, exec_lo, s6
	s_and_saveexec_b32 s6, s18
	s_cbranch_execz .LBB127_122
.LBB127_1011:                           ;   in Loop: Header=BB127_3 Depth=1
	ds_load_b64 v[48:49], v63 offset:2624
	ds_load_b64 v[84:85], v59 offset:40
	s_wait_dscnt 0x0
	v_fmac_f64_e32 v[46:47], v[48:49], v[84:85]
	s_or_b32 exec_lo, exec_lo, s6
	s_and_saveexec_b32 s6, s2
	s_cbranch_execz .LBB127_123
.LBB127_1012:                           ;   in Loop: Header=BB127_3 Depth=1
	ds_load_b64 v[48:49], v62 offset:3136
	ds_load_b64 v[84:85], v59 offset:48
	s_wait_dscnt 0x0
	v_fmac_f64_e32 v[46:47], v[48:49], v[84:85]
	s_or_b32 exec_lo, exec_lo, s6
	s_and_saveexec_b32 s6, s13
	s_cbranch_execnz .LBB127_124
	s_branch .LBB127_125
.LBB127_1013:                           ;   in Loop: Header=BB127_3 Depth=1
	ds_load_b64 v[48:49], v58 offset:4704
	ds_load_b64 v[84:85], v54 offset:4168
	s_wait_dscnt 0x0
	v_fmac_f64_e32 v[46:47], v[48:49], v[84:85]
	s_or_b32 exec_lo, exec_lo, s6
	s_and_saveexec_b32 s6, s13
	s_cbranch_execz .LBB127_177
.LBB127_1014:                           ;   in Loop: Header=BB127_3 Depth=1
	ds_load_b64 v[48:49], v57 offset:5216
	ds_load_b64 v[84:85], v54 offset:4176
	s_wait_dscnt 0x0
	v_fmac_f64_e32 v[46:47], v[48:49], v[84:85]
	s_or_b32 exec_lo, exec_lo, s6
	s_and_saveexec_b32 s6, s1
	s_cbranch_execnz .LBB127_178
	s_branch .LBB127_179
.LBB127_1015:                           ;   in Loop: Header=BB127_3 Depth=1
	ds_load_b64 v[48:49], v68 offset:5760
	ds_load_b64 v[84:85], v64 offset:88
	s_wait_dscnt 0x0
	v_fmac_f64_e32 v[46:47], v[48:49], v[84:85]
	s_or_b32 exec_lo, exec_lo, s6
	s_and_saveexec_b32 s6, s3
	s_cbranch_execz .LBB127_235
.LBB127_1016:                           ;   in Loop: Header=BB127_3 Depth=1
	ds_load_b64 v[48:49], v67 offset:6272
	ds_load_b64 v[84:85], v64 offset:96
	s_wait_dscnt 0x0
	v_fmac_f64_e32 v[46:47], v[48:49], v[84:85]
	s_or_b32 exec_lo, exec_lo, s6
	s_and_saveexec_b32 s6, s15
	s_cbranch_execz .LBB127_236
.LBB127_1017:                           ;   in Loop: Header=BB127_3 Depth=1
	ds_load_b64 v[48:49], v68 offset:6784
	ds_load_b64 v[84:85], v64 offset:104
	s_wait_dscnt 0x0
	v_fmac_f64_e32 v[46:47], v[48:49], v[84:85]
	s_or_b32 exec_lo, exec_lo, s6
	s_and_saveexec_b32 s6, s17
	s_cbranch_execz .LBB127_237
.LBB127_1018:                           ;   in Loop: Header=BB127_3 Depth=1
	ds_load_b64 v[48:49], v67 offset:7296
	ds_load_b64 v[84:85], v64 offset:112
	s_wait_dscnt 0x0
	v_fmac_f64_e32 v[46:47], v[48:49], v[84:85]
	s_or_b32 exec_lo, exec_lo, s6
	s_and_saveexec_b32 s6, s2
	s_cbranch_execnz .LBB127_238
	s_branch .LBB127_239
.LBB127_1019:                           ;   in Loop: Header=BB127_3 Depth=1
	ds_load_b64 v[48:49], v58 offset:8864
	ds_load_b64 v[84:85], v54 offset:8328
	s_wait_dscnt 0x0
	v_fmac_f64_e32 v[46:47], v[48:49], v[84:85]
	s_or_b32 exec_lo, exec_lo, s6
	s_and_saveexec_b32 s6, s13
	s_cbranch_execz .LBB127_323
.LBB127_1020:                           ;   in Loop: Header=BB127_3 Depth=1
	ds_load_b64 v[48:49], v57 offset:9376
	ds_load_b64 v[84:85], v54 offset:8336
	s_wait_dscnt 0x0
	v_fmac_f64_e32 v[46:47], v[48:49], v[84:85]
	s_or_b32 exec_lo, exec_lo, s6
	s_and_saveexec_b32 s6, s1
	s_cbranch_execnz .LBB127_324
	s_branch .LBB127_325
.LBB127_1021:                           ;   in Loop: Header=BB127_3 Depth=1
	ds_load_b64 v[48:49], v63 offset:8896
	ds_load_b64 v[84:85], v59 offset:8328
	s_wait_dscnt 0x0
	v_fmac_f64_e32 v[46:47], v[48:49], v[84:85]
	s_or_b32 exec_lo, exec_lo, s6
	s_and_saveexec_b32 s6, s15
	s_cbranch_execz .LBB127_361
.LBB127_1022:                           ;   in Loop: Header=BB127_3 Depth=1
	ds_load_b64 v[48:49], v63 offset:9408
	ds_load_b64 v[84:85], v59 offset:8336
	s_wait_dscnt 0x0
	v_fmac_f64_e32 v[46:47], v[48:49], v[84:85]
	s_or_b32 exec_lo, exec_lo, s6
	s_and_saveexec_b32 s6, s16
	s_cbranch_execz .LBB127_362
.LBB127_1023:                           ;   in Loop: Header=BB127_3 Depth=1
	ds_load_b64 v[48:49], v63 offset:9920
	ds_load_b64 v[84:85], v59 offset:8344
	s_wait_dscnt 0x0
	v_fmac_f64_e32 v[46:47], v[48:49], v[84:85]
	s_or_b32 exec_lo, exec_lo, s6
	s_and_saveexec_b32 s6, s17
	s_cbranch_execz .LBB127_363
.LBB127_1024:                           ;   in Loop: Header=BB127_3 Depth=1
	ds_load_b64 v[48:49], v62 offset:10432
	ds_load_b64 v[84:85], v59 offset:8352
	s_wait_dscnt 0x0
	v_fmac_f64_e32 v[46:47], v[48:49], v[84:85]
	s_or_b32 exec_lo, exec_lo, s6
	s_and_saveexec_b32 s6, s18
	s_cbranch_execz .LBB127_364
.LBB127_1025:                           ;   in Loop: Header=BB127_3 Depth=1
	ds_load_b64 v[48:49], v63 offset:10944
	ds_load_b64 v[84:85], v59 offset:8360
	s_wait_dscnt 0x0
	v_fmac_f64_e32 v[46:47], v[48:49], v[84:85]
	s_or_b32 exec_lo, exec_lo, s6
	s_and_saveexec_b32 s6, s2
	s_cbranch_execz .LBB127_365
.LBB127_1026:                           ;   in Loop: Header=BB127_3 Depth=1
	ds_load_b64 v[48:49], v62 offset:11456
	ds_load_b64 v[84:85], v59 offset:8368
	s_wait_dscnt 0x0
	v_fmac_f64_e32 v[46:47], v[48:49], v[84:85]
	s_or_b32 exec_lo, exec_lo, s6
	s_and_saveexec_b32 s6, s13
	s_cbranch_execnz .LBB127_366
	s_branch .LBB127_367
.LBB127_1027:                           ;   in Loop: Header=BB127_3 Depth=1
	ds_load_b64 v[48:49], v58 offset:13024
	ds_load_b64 v[84:85], v54 offset:12488
	s_wait_dscnt 0x0
	v_fmac_f64_e32 v[46:47], v[48:49], v[84:85]
	s_or_b32 exec_lo, exec_lo, s6
	s_and_saveexec_b32 s6, s13
	s_cbranch_execz .LBB127_419
.LBB127_1028:                           ;   in Loop: Header=BB127_3 Depth=1
	ds_load_b64 v[48:49], v57 offset:13536
	ds_load_b64 v[84:85], v54 offset:12496
	s_wait_dscnt 0x0
	v_fmac_f64_e32 v[46:47], v[48:49], v[84:85]
	s_or_b32 exec_lo, exec_lo, s6
	s_and_saveexec_b32 s6, s1
	s_cbranch_execnz .LBB127_420
	s_branch .LBB127_421
.LBB127_1029:                           ;   in Loop: Header=BB127_3 Depth=1
	ds_load_b64 v[48:49], v73 offset:15104
	ds_load_b64 v[84:85], v0 offset:232
	s_wait_dscnt 0x0
	v_fmac_f64_e32 v[46:47], v[48:49], v[84:85]
	s_or_b32 exec_lo, exec_lo, s6
	s_and_saveexec_b32 s6, s3
	s_cbranch_execz .LBB127_513
.LBB127_1030:                           ;   in Loop: Header=BB127_3 Depth=1
	ds_load_b64 v[48:49], v73 offset:15616
	ds_load_b64 v[84:85], v0 offset:240
	s_wait_dscnt 0x0
	v_fmac_f64_e32 v[46:47], v[48:49], v[84:85]
	s_or_b32 exec_lo, exec_lo, s6
	s_and_saveexec_b32 s6, s17
	s_cbranch_execnz .LBB127_514
	s_branch .LBB127_515
.LBB127_1031:                           ;   in Loop: Header=BB127_3 Depth=1
	ds_load_b64 v[48:49], v58 offset:17184
	ds_load_b64 v[84:85], v54 offset:16648
	s_wait_dscnt 0x0
	v_fmac_f64_e32 v[46:47], v[48:49], v[84:85]
	s_or_b32 exec_lo, exec_lo, s6
	s_and_saveexec_b32 s6, s13
	s_cbranch_execz .LBB127_555
.LBB127_1032:                           ;   in Loop: Header=BB127_3 Depth=1
	ds_load_b64 v[48:49], v57 offset:17696
	ds_load_b64 v[84:85], v54 offset:16656
	s_wait_dscnt 0x0
	v_fmac_f64_e32 v[46:47], v[48:49], v[84:85]
	s_or_b32 exec_lo, exec_lo, s6
	s_and_saveexec_b32 s6, s1
	s_cbranch_execnz .LBB127_556
	s_branch .LBB127_557
.LBB127_1033:                           ;   in Loop: Header=BB127_3 Depth=1
	ds_load_b64 v[48:49], v63 offset:17216
	ds_load_b64 v[84:85], v59 offset:16648
	s_wait_dscnt 0x0
	v_fmac_f64_e32 v[46:47], v[48:49], v[84:85]
	s_or_b32 exec_lo, exec_lo, s6
	s_and_saveexec_b32 s6, s15
	s_cbranch_execz .LBB127_593
.LBB127_1034:                           ;   in Loop: Header=BB127_3 Depth=1
	ds_load_b64 v[48:49], v63 offset:17728
	ds_load_b64 v[84:85], v59 offset:16656
	s_wait_dscnt 0x0
	v_fmac_f64_e32 v[46:47], v[48:49], v[84:85]
	s_or_b32 exec_lo, exec_lo, s6
	s_and_saveexec_b32 s6, s16
	s_cbranch_execz .LBB127_594
.LBB127_1035:                           ;   in Loop: Header=BB127_3 Depth=1
	ds_load_b64 v[48:49], v63 offset:18240
	ds_load_b64 v[84:85], v59 offset:16664
	s_wait_dscnt 0x0
	v_fmac_f64_e32 v[46:47], v[48:49], v[84:85]
	s_or_b32 exec_lo, exec_lo, s6
	s_and_saveexec_b32 s6, s17
	s_cbranch_execz .LBB127_595
.LBB127_1036:                           ;   in Loop: Header=BB127_3 Depth=1
	ds_load_b64 v[48:49], v62 offset:18752
	ds_load_b64 v[84:85], v59 offset:16672
	s_wait_dscnt 0x0
	v_fmac_f64_e32 v[46:47], v[48:49], v[84:85]
	s_or_b32 exec_lo, exec_lo, s6
	s_and_saveexec_b32 s6, s18
	s_cbranch_execz .LBB127_596
.LBB127_1037:                           ;   in Loop: Header=BB127_3 Depth=1
	ds_load_b64 v[48:49], v63 offset:19264
	ds_load_b64 v[84:85], v59 offset:16680
	s_wait_dscnt 0x0
	v_fmac_f64_e32 v[46:47], v[48:49], v[84:85]
	s_or_b32 exec_lo, exec_lo, s6
	s_and_saveexec_b32 s6, s2
	s_cbranch_execz .LBB127_597
.LBB127_1038:                           ;   in Loop: Header=BB127_3 Depth=1
	ds_load_b64 v[48:49], v62 offset:19776
	ds_load_b64 v[84:85], v59 offset:16688
	s_wait_dscnt 0x0
	v_fmac_f64_e32 v[46:47], v[48:49], v[84:85]
	s_or_b32 exec_lo, exec_lo, s6
	s_and_saveexec_b32 s6, s13
	s_cbranch_execnz .LBB127_598
	s_branch .LBB127_599
.LBB127_1039:                           ;   in Loop: Header=BB127_3 Depth=1
	ds_load_b64 v[48:49], v58 offset:21344
	ds_load_b64 v[84:85], v54 offset:20808
	s_wait_dscnt 0x0
	v_fmac_f64_e32 v[46:47], v[48:49], v[84:85]
	s_or_b32 exec_lo, exec_lo, s6
	s_and_saveexec_b32 s6, s13
	s_cbranch_execz .LBB127_651
.LBB127_1040:                           ;   in Loop: Header=BB127_3 Depth=1
	ds_load_b64 v[48:49], v57 offset:21856
	ds_load_b64 v[84:85], v54 offset:20816
	s_wait_dscnt 0x0
	v_fmac_f64_e32 v[46:47], v[48:49], v[84:85]
	s_or_b32 exec_lo, exec_lo, s6
	s_and_saveexec_b32 s6, s1
	s_cbranch_execnz .LBB127_652
	s_branch .LBB127_653
.LBB127_1041:                           ;   in Loop: Header=BB127_3 Depth=1
	ds_load_b64 v[48:49], v68 offset:22400
	ds_load_b64 v[84:85], v64 offset:16728
	s_wait_dscnt 0x0
	v_fmac_f64_e32 v[46:47], v[48:49], v[84:85]
	s_or_b32 exec_lo, exec_lo, s6
	s_and_saveexec_b32 s6, s3
	s_cbranch_execz .LBB127_709
.LBB127_1042:                           ;   in Loop: Header=BB127_3 Depth=1
	ds_load_b64 v[48:49], v67 offset:22912
	ds_load_b64 v[84:85], v64 offset:16736
	s_wait_dscnt 0x0
	v_fmac_f64_e32 v[46:47], v[48:49], v[84:85]
	s_or_b32 exec_lo, exec_lo, s6
	s_and_saveexec_b32 s6, s15
	s_cbranch_execz .LBB127_710
.LBB127_1043:                           ;   in Loop: Header=BB127_3 Depth=1
	ds_load_b64 v[48:49], v68 offset:23424
	ds_load_b64 v[84:85], v64 offset:16744
	s_wait_dscnt 0x0
	v_fmac_f64_e32 v[46:47], v[48:49], v[84:85]
	s_or_b32 exec_lo, exec_lo, s6
	s_and_saveexec_b32 s6, s17
	s_cbranch_execz .LBB127_711
.LBB127_1044:                           ;   in Loop: Header=BB127_3 Depth=1
	ds_load_b64 v[48:49], v67 offset:23936
	ds_load_b64 v[84:85], v64 offset:16752
	s_wait_dscnt 0x0
	v_fmac_f64_e32 v[46:47], v[48:49], v[84:85]
	s_or_b32 exec_lo, exec_lo, s6
	s_and_saveexec_b32 s6, s2
	s_cbranch_execnz .LBB127_712
	s_branch .LBB127_713
.LBB127_1045:                           ;   in Loop: Header=BB127_3 Depth=1
	ds_load_b64 v[48:49], v58 offset:25504
	ds_load_b64 v[84:85], v54 offset:24968
	s_wait_dscnt 0x0
	v_fmac_f64_e32 v[46:47], v[48:49], v[84:85]
	s_or_b32 exec_lo, exec_lo, s6
	s_and_saveexec_b32 s6, s13
	s_cbranch_execz .LBB127_797
.LBB127_1046:                           ;   in Loop: Header=BB127_3 Depth=1
	ds_load_b64 v[48:49], v57 offset:26016
	ds_load_b64 v[84:85], v54 offset:24976
	s_wait_dscnt 0x0
	v_fmac_f64_e32 v[46:47], v[48:49], v[84:85]
	s_or_b32 exec_lo, exec_lo, s6
	s_and_saveexec_b32 s6, s1
	s_cbranch_execnz .LBB127_798
	s_branch .LBB127_799
.LBB127_1047:                           ;   in Loop: Header=BB127_3 Depth=1
	ds_load_b64 v[48:49], v63 offset:25536
	ds_load_b64 v[84:85], v59 offset:24968
	s_wait_dscnt 0x0
	v_fmac_f64_e32 v[46:47], v[48:49], v[84:85]
	s_or_b32 exec_lo, exec_lo, s6
	s_and_saveexec_b32 s6, s15
	s_cbranch_execz .LBB127_835
.LBB127_1048:                           ;   in Loop: Header=BB127_3 Depth=1
	ds_load_b64 v[48:49], v63 offset:26048
	ds_load_b64 v[84:85], v59 offset:24976
	s_wait_dscnt 0x0
	v_fmac_f64_e32 v[46:47], v[48:49], v[84:85]
	s_or_b32 exec_lo, exec_lo, s6
	s_and_saveexec_b32 s6, s16
	s_cbranch_execz .LBB127_836
.LBB127_1049:                           ;   in Loop: Header=BB127_3 Depth=1
	ds_load_b64 v[48:49], v63 offset:26560
	ds_load_b64 v[84:85], v59 offset:24984
	s_wait_dscnt 0x0
	v_fmac_f64_e32 v[46:47], v[48:49], v[84:85]
	s_or_b32 exec_lo, exec_lo, s6
	s_and_saveexec_b32 s6, s17
	s_cbranch_execz .LBB127_837
.LBB127_1050:                           ;   in Loop: Header=BB127_3 Depth=1
	ds_load_b64 v[48:49], v62 offset:27072
	ds_load_b64 v[84:85], v59 offset:24992
	s_wait_dscnt 0x0
	v_fmac_f64_e32 v[46:47], v[48:49], v[84:85]
	s_or_b32 exec_lo, exec_lo, s6
	s_and_saveexec_b32 s6, s18
	s_cbranch_execz .LBB127_838
.LBB127_1051:                           ;   in Loop: Header=BB127_3 Depth=1
	ds_load_b64 v[48:49], v63 offset:27584
	ds_load_b64 v[84:85], v59 offset:25000
	s_wait_dscnt 0x0
	v_fmac_f64_e32 v[46:47], v[48:49], v[84:85]
	s_or_b32 exec_lo, exec_lo, s6
	s_and_saveexec_b32 s6, s2
	s_cbranch_execz .LBB127_839
.LBB127_1052:                           ;   in Loop: Header=BB127_3 Depth=1
	ds_load_b64 v[48:49], v62 offset:28096
	ds_load_b64 v[84:85], v59 offset:25008
	s_wait_dscnt 0x0
	v_fmac_f64_e32 v[46:47], v[48:49], v[84:85]
	s_or_b32 exec_lo, exec_lo, s6
	s_and_saveexec_b32 s6, s13
	s_cbranch_execnz .LBB127_840
	s_branch .LBB127_841
.LBB127_1053:                           ;   in Loop: Header=BB127_3 Depth=1
	ds_load_b64 v[48:49], v58 offset:29664
	ds_load_b64 v[84:85], v54 offset:29128
	s_wait_dscnt 0x0
	v_fmac_f64_e32 v[46:47], v[48:49], v[84:85]
	s_or_b32 exec_lo, exec_lo, s6
	s_and_saveexec_b32 s6, s13
	s_cbranch_execz .LBB127_893
.LBB127_1054:                           ;   in Loop: Header=BB127_3 Depth=1
	ds_load_b64 v[48:49], v57 offset:30176
	ds_load_b64 v[84:85], v54 offset:29136
	s_wait_dscnt 0x0
	v_fmac_f64_e32 v[46:47], v[48:49], v[84:85]
	s_or_b32 exec_lo, exec_lo, s6
	s_and_saveexec_b32 s6, s1
	s_cbranch_execnz .LBB127_894
	s_branch .LBB127_895
.LBB127_1055:
	s_endpgm
	.section	.rodata,"a",@progbits
	.p2align	6, 0x0
	.amdhsa_kernel _ZL19rocblas_trsv_deviceILi64ELi16ELb1ELb0ELb0ELb1EdPKdPKS1_PKPdEviT7_lllT6_T8_lllPii
		.amdhsa_group_segment_fixed_size 41480
		.amdhsa_private_segment_fixed_size 0
		.amdhsa_kernarg_size 352
		.amdhsa_user_sgpr_count 2
		.amdhsa_user_sgpr_dispatch_ptr 0
		.amdhsa_user_sgpr_queue_ptr 0
		.amdhsa_user_sgpr_kernarg_segment_ptr 1
		.amdhsa_user_sgpr_dispatch_id 0
		.amdhsa_user_sgpr_kernarg_preload_length 0
		.amdhsa_user_sgpr_kernarg_preload_offset 0
		.amdhsa_user_sgpr_private_segment_size 0
		.amdhsa_wavefront_size32 1
		.amdhsa_uses_dynamic_stack 0
		.amdhsa_enable_private_segment 0
		.amdhsa_system_sgpr_workgroup_id_x 1
		.amdhsa_system_sgpr_workgroup_id_y 0
		.amdhsa_system_sgpr_workgroup_id_z 1
		.amdhsa_system_sgpr_workgroup_info 0
		.amdhsa_system_vgpr_workitem_id 1
		.amdhsa_next_free_vgpr 94
		.amdhsa_next_free_sgpr 105
		.amdhsa_named_barrier_count 0
		.amdhsa_reserve_vcc 1
		.amdhsa_float_round_mode_32 0
		.amdhsa_float_round_mode_16_64 0
		.amdhsa_float_denorm_mode_32 3
		.amdhsa_float_denorm_mode_16_64 3
		.amdhsa_fp16_overflow 0
		.amdhsa_memory_ordered 1
		.amdhsa_forward_progress 1
		.amdhsa_inst_pref_size 203
		.amdhsa_round_robin_scheduling 0
		.amdhsa_exception_fp_ieee_invalid_op 0
		.amdhsa_exception_fp_denorm_src 0
		.amdhsa_exception_fp_ieee_div_zero 0
		.amdhsa_exception_fp_ieee_overflow 0
		.amdhsa_exception_fp_ieee_underflow 0
		.amdhsa_exception_fp_ieee_inexact 0
		.amdhsa_exception_int_div_zero 0
	.end_amdhsa_kernel
	.section	.text._ZL19rocblas_trsv_deviceILi64ELi16ELb1ELb0ELb0ELb1EdPKdPKS1_PKPdEviT7_lllT6_T8_lllPii,"axG",@progbits,_ZL19rocblas_trsv_deviceILi64ELi16ELb1ELb0ELb0ELb1EdPKdPKS1_PKPdEviT7_lllT6_T8_lllPii,comdat
.Lfunc_end127:
	.size	_ZL19rocblas_trsv_deviceILi64ELi16ELb1ELb0ELb0ELb1EdPKdPKS1_PKPdEviT7_lllT6_T8_lllPii, .Lfunc_end127-_ZL19rocblas_trsv_deviceILi64ELi16ELb1ELb0ELb0ELb1EdPKdPKS1_PKPdEviT7_lllT6_T8_lllPii
                                        ; -- End function
	.set _ZL19rocblas_trsv_deviceILi64ELi16ELb1ELb0ELb0ELb1EdPKdPKS1_PKPdEviT7_lllT6_T8_lllPii.num_vgpr, 94
	.set _ZL19rocblas_trsv_deviceILi64ELi16ELb1ELb0ELb0ELb1EdPKdPKS1_PKPdEviT7_lllT6_T8_lllPii.num_agpr, 0
	.set _ZL19rocblas_trsv_deviceILi64ELi16ELb1ELb0ELb0ELb1EdPKdPKS1_PKPdEviT7_lllT6_T8_lllPii.numbered_sgpr, 105
	.set _ZL19rocblas_trsv_deviceILi64ELi16ELb1ELb0ELb0ELb1EdPKdPKS1_PKPdEviT7_lllT6_T8_lllPii.num_named_barrier, 0
	.set _ZL19rocblas_trsv_deviceILi64ELi16ELb1ELb0ELb0ELb1EdPKdPKS1_PKPdEviT7_lllT6_T8_lllPii.private_seg_size, 0
	.set _ZL19rocblas_trsv_deviceILi64ELi16ELb1ELb0ELb0ELb1EdPKdPKS1_PKPdEviT7_lllT6_T8_lllPii.uses_vcc, 1
	.set _ZL19rocblas_trsv_deviceILi64ELi16ELb1ELb0ELb0ELb1EdPKdPKS1_PKPdEviT7_lllT6_T8_lllPii.uses_flat_scratch, 0
	.set _ZL19rocblas_trsv_deviceILi64ELi16ELb1ELb0ELb0ELb1EdPKdPKS1_PKPdEviT7_lllT6_T8_lllPii.has_dyn_sized_stack, 0
	.set _ZL19rocblas_trsv_deviceILi64ELi16ELb1ELb0ELb0ELb1EdPKdPKS1_PKPdEviT7_lllT6_T8_lllPii.has_recursion, 0
	.set _ZL19rocblas_trsv_deviceILi64ELi16ELb1ELb0ELb0ELb1EdPKdPKS1_PKPdEviT7_lllT6_T8_lllPii.has_indirect_call, 0
	.section	.AMDGPU.csdata,"",@progbits
; Kernel info:
; codeLenInByte = 25936
; TotalNumSgprs: 107
; NumVgprs: 94
; ScratchSize: 0
; MemoryBound: 0
; FloatMode: 240
; IeeeMode: 1
; LDSByteSize: 41480 bytes/workgroup (compile time only)
; SGPRBlocks: 0
; VGPRBlocks: 5
; NumSGPRsForWavesPerEU: 107
; NumVGPRsForWavesPerEU: 94
; NamedBarCnt: 0
; Occupancy: 10
; WaveLimiterHint : 1
; COMPUTE_PGM_RSRC2:SCRATCH_EN: 0
; COMPUTE_PGM_RSRC2:USER_SGPR: 2
; COMPUTE_PGM_RSRC2:TRAP_HANDLER: 0
; COMPUTE_PGM_RSRC2:TGID_X_EN: 1
; COMPUTE_PGM_RSRC2:TGID_Y_EN: 0
; COMPUTE_PGM_RSRC2:TGID_Z_EN: 1
; COMPUTE_PGM_RSRC2:TIDIG_COMP_CNT: 1
	.section	.text._ZL19rocblas_trsv_deviceILi64ELi16ELb1ELb1ELb0ELb1EdPKdPKS1_PKPdEviT7_lllT6_T8_lllPii,"axG",@progbits,_ZL19rocblas_trsv_deviceILi64ELi16ELb1ELb1ELb0ELb1EdPKdPKS1_PKPdEviT7_lllT6_T8_lllPii,comdat
	.globl	_ZL19rocblas_trsv_deviceILi64ELi16ELb1ELb1ELb0ELb1EdPKdPKS1_PKPdEviT7_lllT6_T8_lllPii ; -- Begin function _ZL19rocblas_trsv_deviceILi64ELi16ELb1ELb1ELb0ELb1EdPKdPKS1_PKPdEviT7_lllT6_T8_lllPii
	.p2align	8
	.type	_ZL19rocblas_trsv_deviceILi64ELi16ELb1ELb1ELb0ELb1EdPKdPKS1_PKPdEviT7_lllT6_T8_lllPii,@function
_ZL19rocblas_trsv_deviceILi64ELi16ELb1ELb1ELb0ELb1EdPKdPKS1_PKPdEviT7_lllT6_T8_lllPii: ; @_ZL19rocblas_trsv_deviceILi64ELi16ELb1ELb1ELb0ELb1EdPKdPKS1_PKPdEviT7_lllT6_T8_lllPii
; %bb.0:
	s_load_b32 s6, s[0:1], 0x58
	s_bfe_u32 s2, ttmp6, 0x40014
	s_lshr_b32 s3, ttmp7, 16
	s_add_co_i32 s2, s2, 1
	s_bfe_u32 s5, ttmp6, 0x40008
	s_mul_i32 s4, s3, s2
	s_getreg_b32 s2, hwreg(HW_REG_IB_STS2, 6, 4)
	s_add_co_i32 s5, s5, s4
	s_cmp_eq_u32 s2, 0
	s_mov_b32 s63, 0
	s_cselect_b32 s62, s3, s5
                                        ; implicit-def: $vgpr103 : SGPR spill to VGPR lane
	s_wait_kmcnt 0x0
	s_cmp_ge_u32 s62, s6
	v_writelane_b32 v103, s6, 0
	s_cbranch_scc1 .LBB128_1117
; %bb.1:
	s_clause 0x2
	s_load_b32 s3, s[0:1], 0x6c
	s_load_b32 s85, s[0:1], 0x60
	;; [unrolled: 1-line block ×3, first 2 shown]
	s_bfe_u32 s5, ttmp6, 0x4000c
	s_and_b32 s4, ttmp6, 15
	s_add_co_i32 s5, s5, 1
	s_clause 0x1
	s_load_b64 s[12:13], s[0:1], 0x18
	s_load_b256 s[64:71], s[0:1], 0x28
	s_mul_i32 s5, ttmp9, s5
	s_clause 0x1
	s_load_b64 s[78:79], s[0:1], 0x50
	s_load_b128 s[72:75], s[0:1], 0x8
	s_add_co_i32 s4, s4, s5
	s_cmp_eq_u32 s2, 0
	v_and_b32_e32 v6, 0x3ff, v0
	s_cselect_b32 s84, ttmp9, s4
	v_bfe_u32 v8, v0, 10, 10
	v_mov_b32_e32 v5, 0
                                        ; implicit-def: $vgpr102 : SGPR spill to VGPR lane
	v_mov_b64_e32 v[30:31], 1.0
	v_lshlrev_b32_e32 v9, 6, v6
	v_cmp_gt_u32_e64 s4, 2, v6
	s_delay_alu instid0(VALU_DEP_4)
	v_dual_mov_b32 v11, v5 :: v_dual_add_nc_u32 v4, 16, v8
	s_wait_kmcnt 0x0
	s_and_b32 s0, s3, 0xffff
	s_add_co_i32 s1, s76, -1
	s_ashr_i32 s77, s76, 31
	s_ashr_i32 s2, s1, 31
	s_lshr_b32 s3, s77, 26
	s_lshr_b32 s2, s2, 26
	s_add_co_i32 s3, s76, s3
	s_add_co_i32 s85, s85, -1
	s_add_co_i32 s1, s1, s2
	s_and_not1_b32 s3, s3, 63
	s_sub_co_i32 s42, s85, s84
	s_ashr_i32 s1, s1, 6
	s_sub_co_i32 s11, s76, s3
	s_cmp_eq_u32 s1, s42
	v_lshl_add_u32 v1, v8, 6, v6
	s_cselect_b32 s1, -1, 0
	s_cmp_lg_u32 s11, 0
	v_lshl_add_u32 v17, v4, 6, v6
	s_cselect_b32 s2, -1, 0
	v_cmp_gt_u32_e64 s44, 0x3e0, v1
	s_and_b32 s18, s2, s1
	s_add_nc_u64 s[2:3], s[12:13], 1
	s_xor_b32 s86, s18, -1
	s_cmp_lg_u32 s84, 0
	v_dual_add_nc_u32 v36, 32, v8 :: v_dual_add_nc_u32 v38, 48, v8
	s_cselect_b32 s1, -1, 0
	s_lshl_b32 s16, s42, 6
	s_cmp_lt_i32 s84, 5
	v_dual_add_nc_u32 v24, s16, v8 :: v_dual_add_nc_u32 v2, s16, v6
	v_add_nc_u32_e32 v7, v8, v9
	v_add_nc_u32_e32 v16, v4, v9
	s_cselect_b32 vcc_lo, -1, 0
	s_delay_alu instid0(VALU_DEP_3) | instskip(NEXT) | instid1(VALU_DEP_3)
	v_dual_add_nc_u32 v12, 64, v24 :: v_dual_ashrrev_i32 v3, 31, v2
	v_cndmask_b32_e32 v34, v1, v7, vcc_lo
	s_or_b32 vcc_lo, vcc_lo, s18
	s_ashr_i32 s17, s16, 31
	s_delay_alu instid0(VALU_DEP_2)
	v_ashrrev_i32_e32 v13, 31, v12
	v_dual_cndmask_b32 v35, v17, v16, vcc_lo :: v_dual_lshrrev_b32 v17, 1, v1
	v_dual_lshrrev_b32 v7, 10, v0 :: v_dual_bitop2_b32 v16, 1, v0 bitop3:0x40
	s_mul_u64 s[14:15], s[2:3], s[16:17]
	v_writelane_b32 v103, s1, 1
	v_cmp_gt_u32_e64 s1, 4, v1
	s_delay_alu instid0(VALU_DEP_3)
	v_dual_lshlrev_b32 v18, 3, v16 :: v_dual_lshlrev_b32 v52, 3, v6
	v_cmp_eq_u32_e64 s3, 1, v16
	v_lshrrev_b32_e32 v16, 2, v1
	v_bitop3_b32 v40, v0, v7, 0x3ff bitop3:0xa8
	v_lshl_add_u32 v7, v17, 3, 0x8000
	v_lshl_or_b32 v50, v17, 9, v18
	v_mul_u32_u24_e32 v51, 0x208, v17
	v_cmp_eq_u32_e64 s2, 0, v8
	v_and_b32_e32 v17, 3, v0
	v_lshlrev_b32_e32 v18, 3, v16
	v_mul_u32_u24_e32 v53, 0x208, v16
	s_xor_b32 s5, s3, -1
	s_and_b32 s90, s3, s1
	s_and_b32 s89, s5, s1
	;; [unrolled: 1-line block ×3, first 2 shown]
	v_dual_lshlrev_b32 v54, 3, v17 :: v_dual_sub_nc_u32 v19, v53, v18
	v_cmp_gt_u32_e64 s3, 16, v1
	v_cmp_eq_u32_e64 s4, 0, v17
	v_cmp_ne_u32_e64 s5, 0, v17
	s_delay_alu instid0(VALU_DEP_4)
	v_lshl_or_b32 v57, v16, 9, v54
	v_cmp_eq_u32_e64 s7, 1, v17
	v_cmp_lt_u32_e64 s8, 1, v17
	v_cmp_eq_u32_e64 s9, 2, v17
	s_and_b32 s92, s4, s3
	s_and_b32 s93, s5, s3
	v_cmp_eq_u32_e64 s4, 3, v17
	v_dual_lshrrev_b32 v16, 3, v1 :: v_dual_add_nc_u32 v58, v19, v54
	v_and_b32_e32 v17, 7, v0
	v_cmp_gt_u32_e64 s5, 4, v6
	s_and_b32 s97, s4, s3
	v_cmp_gt_u32_e64 s4, 64, v1
	s_and_b32 s94, s7, s3
	v_cmp_ne_u32_e64 s7, 0, v17
	s_and_b32 s98, s2, s5
	v_cmp_eq_u32_e64 s5, 0, v17
	s_and_b32 s95, s8, s3
	s_and_b32 s96, s9, s3
	v_cmp_eq_u32_e64 s8, 1, v17
	v_cmp_lt_u32_e64 s9, 1, v17
	s_and_b32 s99, s5, s4
	v_cmp_eq_u32_e64 s5, 2, v17
	s_and_b32 s100, s7, s4
	v_cmp_lt_u32_e64 s7, 2, v17
	s_and_b32 s101, s8, s4
	s_and_b32 s102, s9, s4
	s_and_b32 s103, s5, s4
	v_cmp_eq_u32_e64 s5, 4, v17
	v_cmp_eq_u32_e64 s8, 3, v17
	v_cmp_lt_u32_e64 s9, 3, v17
	s_and_b32 s104, s7, s4
	v_cmp_eq_u32_e64 s7, 5, v17
	s_and_b32 s33, s5, s4
	v_cmp_lt_u32_e64 s5, 4, v17
	v_mul_u32_u24_e32 v61, 0x208, v16
	v_lshlrev_b32_e32 v63, 3, v17
	s_and_b32 vcc_hi, s8, s4
	s_and_b32 s31, s9, s4
	v_cmp_lt_u32_e64 s8, 5, v17
	v_cmp_eq_u32_e64 s9, 6, v17
	s_and_b32 s34, s5, s4
	s_and_b32 s35, s7, s4
	v_cmp_eq_u32_e64 s5, 7, v17
	v_cmp_gt_u32_e64 s7, 8, v6
	v_and_b32_e32 v17, 15, v0
	s_and_b32 s36, s8, s4
	s_and_b32 s37, s9, s4
	;; [unrolled: 1-line block ×4, first 2 shown]
	v_cmp_gt_u32_e64 s5, 0x100, v1
	v_cmp_eq_u32_e64 s7, 0, v17
	v_cmp_ne_u32_e64 s8, 0, v17
	v_cmp_eq_u32_e64 s9, 1, v17
	v_cmp_lt_u32_e64 s10, 1, v17
	v_writelane_b32 v102, s44, 0
	s_and_b32 s7, s7, s5
	s_and_b32 s8, s8, s5
	v_writelane_b32 v103, s7, 2
	v_cmp_eq_u32_e64 s7, 2, v17
	v_cmp_gt_u32_e64 s44, 0x3c0, v1
	v_dual_lshlrev_b32 v74, 3, v17 :: v_dual_bitop2_b32 v79, 31, v0 bitop3:0x40
	v_writelane_b32 v103, s8, 3
	s_and_b32 s8, s9, s5
	s_and_b32 s7, s7, s5
	v_cmp_lt_u32_e64 s9, 3, v17
	v_dual_add_nc_u32 v0, v36, v9 :: v_dual_add_nc_u32 v9, v38, v9
	v_writelane_b32 v103, s8, 4
	s_and_b32 s8, s10, s5
	v_cmp_eq_u32_e64 s10, 4, v17
	v_writelane_b32 v102, s44, 1
	v_cmp_gt_u32_e64 s44, 0x3a0, v1
	v_writelane_b32 v103, s8, 5
	v_cmp_lt_u32_e64 s8, 2, v17
	v_cmp_gt_i32_e64 s6, s11, v6
	s_xor_b32 s88, vcc_lo, -1
	v_writelane_b32 v102, s44, 2
	v_writelane_b32 v103, s7, 6
	v_cmp_eq_u32_e64 s7, 3, v17
	s_and_b32 s8, s8, s5
	v_cmp_gt_u32_e64 s44, 0x380, v1
	v_mad_u32_u24 v10, v8, s0, v6
	v_writelane_b32 v103, s8, 7
	s_and_b32 s7, s7, s5
	v_cmp_lt_u32_e64 s8, 4, v17
	v_writelane_b32 v102, s44, 3
	v_cmp_gt_u32_e64 s44, 0x360, v1
	v_writelane_b32 v103, s7, 8
	s_and_b32 s7, s9, s5
	s_and_b32 s49, s8, s5
	v_cmp_lt_u32_e64 s8, 5, v17
	v_cmp_eq_u32_e64 s9, 6, v17
	v_writelane_b32 v103, s7, 9
	s_and_b32 s7, s10, s5
	v_cmp_lt_u32_e64 s10, 6, v17
	s_and_b32 s51, s8, s5
	v_cmp_lt_u32_e64 s8, 7, v17
	v_writelane_b32 v103, s7, 10
	v_cmp_eq_u32_e64 s7, 5, v17
	s_and_b32 s52, s9, s5
	s_and_b32 s53, s10, s5
	;; [unrolled: 1-line block ×3, first 2 shown]
	v_cmp_lt_u32_e64 s8, 9, v17
	s_and_b32 s50, s7, s5
	v_cmp_eq_u32_e64 s7, 7, v17
	v_cmp_lt_u32_e64 s9, 8, v17
	v_cmp_eq_u32_e64 s10, 9, v17
	s_and_b32 s27, s8, s5
	v_cmp_lt_u32_e64 s8, 10, v17
	s_and_b32 s54, s7, s5
	v_cmp_eq_u32_e64 s7, 8, v17
	s_and_b32 s23, s9, s5
	s_and_b32 s25, s10, s5
	v_cmp_eq_u32_e64 s9, 11, v17
	v_cmp_lt_u32_e64 s10, 11, v17
	s_and_b32 s21, s7, s5
	v_cmp_eq_u32_e64 s7, 10, v17
	s_and_b32 s57, s8, s5
	v_cmp_lt_u32_e64 s8, 12, v17
	s_and_b32 s58, s9, s5
	s_and_b32 s59, s10, s5
	;; [unrolled: 1-line block ×3, first 2 shown]
	v_cmp_eq_u32_e64 s7, 12, v17
	v_cmp_lt_u32_e64 s9, 13, v17
	v_cmp_eq_u32_e64 s10, 14, v17
	s_and_b32 s20, s8, s5
	v_cmp_eq_u32_e64 s8, 15, v17
	s_and_b32 s60, s7, s5
	v_cmp_eq_u32_e64 s7, 13, v17
	v_lshl_add_u32 v17, v38, 6, v6
	v_add_nc_u32_e32 v56, 0x8000, v18
	v_and_b32_e32 v18, -8, v1
	s_and_b32 s24, s9, s5
	s_and_b32 s22, s7, s5
	v_cmp_gt_u32_e64 s7, 16, v6
	s_and_b32 s28, s8, s5
	v_sub_nc_u32_e32 v19, v61, v18
	v_lshl_or_b32 v66, v16, 9, v63
	v_lshrrev_b32_e32 v16, 4, v1
	v_cmp_le_i32_e64 s8, s11, v6
	v_cmp_gt_u32_e64 s9, 32, v6
	v_add_nc_u32_e32 v67, v19, v63
	v_add_nc_u32_e32 v65, 0x8000, v18
	v_dual_lshlrev_b32 v18, 3, v16 :: v_dual_lshrrev_b32 v25, 5, v1
	v_mul_u32_u24_e32 v73, 0x208, v16
	s_and_b32 s87, s2, s7
	s_and_b32 s61, s8, s18
	;; [unrolled: 1-line block ×3, first 2 shown]
	v_add_nc_u32_e32 v76, 0x8000, v18
	v_writelane_b32 v103, s7, 11
	s_xor_b32 s7, s61, -1
	v_sub_nc_u32_e32 v19, v73, v18
	v_lshl_or_b32 v77, v16, 9, v74
	s_and_b32 s26, s10, s5
	v_dual_mov_b32 v37, v5 :: v_dual_lshlrev_b32 v80, 3, v25
	v_lshl_add_u32 v16, v36, 6, v6
	v_dual_mov_b32 v39, v5 :: v_dual_add_nc_u32 v18, 0x50, v24
	s_and_b32 s40, s2, s7
	v_cndmask_b32_e32 v41, v17, v9, vcc_lo
	v_mov_b32_e32 v9, v5
	v_cmp_le_i32_e64 s7, s11, v8
	v_cmp_le_i32_e64 s9, s11, v4
	;; [unrolled: 1-line block ×4, first 2 shown]
	s_cmp_gt_i32 s84, 0
	v_writelane_b32 v102, s44, 4
	v_cmp_gt_u32_e64 s44, 0x340, v1
	v_cmp_gt_i32_e64 s0, s76, v2
	v_mul_u64_e32 v[14:15], s[12:13], v[2:3]
	v_dual_add_nc_u32 v78, v19, v74 :: v_dual_cndmask_b32 v0, v16, v0, vcc_lo
	v_cmp_gt_i32_e32 vcc_lo, s76, v18
	v_mul_u64_e32 v[16:17], s[12:13], v[8:9]
	v_mul_u64_e32 v[18:19], s[12:13], v[4:5]
	v_mul_u64_e32 v[20:21], s[12:13], v[36:37]
	v_mul_u64_e32 v[22:23], s[12:13], v[38:39]
	s_cselect_b32 s41, -1, 0
	s_or_b32 s12, s7, s8
	s_or_b32 s9, s9, s8
	;; [unrolled: 1-line block ×4, first 2 shown]
	v_cmp_gt_i32_e64 s8, s76, v12
	s_and_b32 s6, s2, s6
	v_writelane_b32 v102, s44, 5
	v_writelane_b32 v103, s6, 12
	v_cmp_gt_u32_e64 s44, 0x320, v1
	v_add_nc_u32_e32 v28, 0x60, v24
	s_and_b32 s6, s8, s0
	v_mad_u32_u24 v55, 0x1f8, v6, v52
	v_writelane_b32 v103, s6, 13
	v_writelane_b32 v102, s44, 6
	v_cmp_gt_u32_e64 s44, 0x300, v1
	v_cmp_gt_i32_e64 s7, s76, v28
	v_add_nc_u32_e32 v28, 0x70, v24
	s_and_b32 s6, vcc_lo, s0
	v_mad_i32_i24 v59, 0xfffffe08, v6, v55
	v_writelane_b32 v103, s6, 14
	v_writelane_b32 v102, s44, 7
	v_cmp_gt_u32_e64 s44, 0x2e0, v1
	s_and_b32 s6, s7, s0
	v_cmp_gt_i32_e32 vcc_lo, s76, v28
	v_writelane_b32 v103, s6, 15
	v_cmp_le_u32_e64 s7, v6, v4
	v_writelane_b32 v102, s44, 8
	v_cmp_gt_u32_e64 s44, 0x2c0, v1
	s_and_b32 s6, vcc_lo, s0
	v_mad_u32_u24 v60, 0x1f8, v6, v59
	v_writelane_b32 v103, s6, 16
	v_cmp_le_u32_e64 s6, v6, v8
	v_writelane_b32 v102, s44, 9
	v_cmp_gt_u32_e64 s44, 0x2a0, v1
	v_cmp_gt_u32_e64 s30, 0xf0, v1
	v_mad_i32_i24 v62, 0xfffffe08, v6, v60
	s_or_b32 s8, s12, s6
	v_add_nc_u64_e32 v[26:27], s[16:17], v[10:11]
	v_writelane_b32 v102, s44, 10
	v_cmp_gt_u32_e64 s44, 0x280, v1
	v_writelane_b32 v103, s8, 17
	s_or_b32 s8, s9, s7
	v_mad_u32_u24 v64, 0x1f8, v6, v62
	v_lshlrev_b32_e32 v9, 9, v25
	v_writelane_b32 v102, s44, 11
	v_cmp_gt_u32_e64 s44, 0x260, v1
	v_writelane_b32 v103, s8, 18
	v_cmp_le_u32_e64 s8, v6, v36
	v_mad_i32_i24 v68, 0xfffffe08, v6, v64
	v_mul_u64_e32 v[24:25], s[70:71], v[2:3]
	v_writelane_b32 v102, s44, 12
	v_cmp_gt_u32_e64 s44, 0x240, v1
	s_or_b32 s9, s10, s8
	v_mad_u32_u24 v69, 0x1f8, v6, v68
	v_writelane_b32 v103, s9, 19
	v_cmp_le_u32_e64 s9, v6, v38
	v_writelane_b32 v102, s44, 13
	v_cmp_gt_u32_e64 s44, 0x220, v1
	v_mad_i32_i24 v70, 0xfffffe08, v6, v69
	v_mul_u64_e32 v[26:27], s[70:71], v[26:27]
	s_or_b32 s10, s11, s9
	v_mul_i32_i24_e32 v37, 0xfffffe08, v6
	v_writelane_b32 v103, s10, 20
	v_writelane_b32 v102, s44, 14
	v_cmp_gt_u32_e64 s44, 0x200, v1
	v_mad_u32_u24 v71, 0x1f8, v6, v70
	v_dual_lshlrev_b32 v88, 3, v0 :: v_dual_bitop2_b32 v44, v4, v6 bitop3:0x54
	v_writelane_b32 v103, s30, 21
	v_cmp_gt_u32_e64 s30, 0xe0, v1
	v_writelane_b32 v102, s44, 15
	v_cmp_gt_u32_e64 s44, 0x1e0, v1
	v_mad_i32_i24 v72, 0xfffffe08, v6, v71
	v_mad_u32_u24 v0, 0x1f8, v6, v37
	v_writelane_b32 v103, s30, 22
	v_cmp_gt_u32_e64 s30, 0xd0, v1
	v_writelane_b32 v102, s44, 16
	v_cmp_gt_u32_e64 s44, 0x1c0, v1
	v_mad_u32_u24 v75, 0x1f8, v6, v72
	v_mul_lo_u32 v0, v0, 7
	v_writelane_b32 v103, s30, 23
	v_cmp_gt_u32_e64 s30, 0xc0, v1
	v_writelane_b32 v102, s44, 17
	v_cmp_gt_u32_e64 s44, 0x1a0, v1
	v_mad_i32_i24 v11, 0xfffffe08, v6, v75
	v_lshlrev_b32_e32 v2, 3, v8
	v_writelane_b32 v103, s30, 24
	v_cmp_gt_u32_e64 s30, 0xb0, v1
	v_writelane_b32 v102, s44, 18
	v_cmp_gt_u32_e64 s44, 0x180, v1
	v_dual_lshlrev_b32 v3, 3, v79 :: v_dual_bitop2_b32 v42, v36, v6 bitop3:0x54
	s_delay_alu instid0(VALU_DEP_4) | instskip(SKIP_1) | instid1(VALU_DEP_4)
	v_writelane_b32 v103, s30, 25
	v_cmp_gt_u32_e64 s30, 0xa0, v1
	v_writelane_b32 v102, s44, 19
	v_cmp_gt_u32_e64 s44, 0x160, v1
	v_mad_u32_u24 v81, 0x1f8, v6, v11
	v_or_b32_e32 v82, 0xa000, v2
	v_writelane_b32 v103, s30, 26
	v_cmp_gt_u32_e64 s30, 0x90, v1
	v_writelane_b32 v102, s44, 20
	v_cmp_gt_u32_e64 s44, 0x140, v1
	v_dual_lshlrev_b32 v87, 3, v35 :: v_dual_bitop2_b32 v43, v38, v6 bitop3:0x54
	s_delay_alu instid0(VALU_DEP_4) | instskip(SKIP_1) | instid1(VALU_DEP_4)
	v_writelane_b32 v103, s30, 27
	v_cmp_gt_u32_e64 s30, 0x80, v1
	v_writelane_b32 v102, s44, 21
	v_cmp_gt_u32_e64 s44, 0x120, v1
	v_mov_b64_e32 v[28:29], 0
	v_cmp_lt_u32_e32 vcc_lo, 0x3ff, v1
	v_writelane_b32 v103, s30, 28
	v_cmp_gt_u32_e64 s30, 0x70, v1
	v_writelane_b32 v102, s44, 22
	v_cmp_gt_u32_e64 s44, 64, v40
	v_dual_lshlrev_b32 v86, 3, v34 :: v_dual_bitop2_b32 v83, v9, v3 bitop3:0x54
	s_delay_alu instid0(VALU_DEP_4) | instskip(SKIP_1) | instid1(VALU_DEP_4)
	v_writelane_b32 v103, s30, 29
	v_cmp_gt_u32_e64 s30, 0x60, v1
	v_writelane_b32 v102, s44, 23
	v_cmp_gt_u32_e64 s44, 64, v44
	v_add_nc_u32_e32 v84, 0x8000, v80
	v_lshl_add_u32 v85, v10, 3, 0xa000
	v_writelane_b32 v103, s30, 30
	v_cmp_gt_u32_e64 s30, 0x50, v1
	v_writelane_b32 v102, s44, 24
	v_cmp_gt_u32_e64 s44, 64, v42
	v_dual_lshlrev_b32 v89, 3, v41 :: v_dual_add_nc_u32 v91, v81, v2
	v_lshl_add_u32 v90, v1, 3, 0x8000
	v_add_nc_u32_e32 v92, 0x8000, v52
	v_lshl_add_u32 v93, v8, 9, v72
	v_dual_add_nc_u32 v94, v82, v52 :: v_dual_lshlrev_b32 v4, 3, v6
	v_or_b32_e32 v95, 0x4100, v3
	v_add3_u32 v96, v52, v0, 0x7800
	s_lshl_b64 s[80:81], s[14:15], 3
	v_subrev_nc_u32_e32 v97, 63, v6
	v_mov_b32_e32 v3, 0x3ff00000
	v_cmp_eq_u32_e64 s10, 0, v40
	v_cmp_gt_u32_e64 s11, 2, v1
	v_cmp_gt_u32_e64 s12, 12, v1
	;; [unrolled: 1-line block ×8, first 2 shown]
	v_writelane_b32 v103, s30, 31
	v_cmp_gt_u32_e64 s30, 0x400, v1
	v_cmp_eq_u32_e64 s55, 0, v10
	v_cmp_gt_u32_e64 s56, 64, v10
	v_writelane_b32 v102, s44, 25
	v_cmp_gt_u32_e64 s44, 64, v43
	s_add_co_i32 s42, s42, 1
	s_xor_b32 s43, vcc_lo, -1
	s_lshl_b64 s[74:75], s[74:75], 3
	s_lshl_b64 s[68:69], s[68:69], 3
                                        ; implicit-def: $vgpr32_vgpr33
                                        ; implicit-def: $vgpr34_vgpr35
                                        ; implicit-def: $vgpr36_vgpr37
                                        ; implicit-def: $vgpr38_vgpr39
	v_writelane_b32 v102, s44, 26
	s_branch .LBB128_3
.LBB128_2:                              ;   in Loop: Header=BB128_3 Depth=1
	s_wait_xcnt 0x0
	s_or_b32 exec_lo, exec_lo, s44
	v_readlane_b32 s44, v103, 0
	s_add_co_i32 s62, s62, 0x10000
	global_wb scope:SCOPE_DEV
	s_wait_storecnt 0x0
	global_inv scope:SCOPE_DEV
	s_cmp_lt_u32 s62, s44
	s_cbranch_scc0 .LBB128_1117
.LBB128_3:                              ; =>This Loop Header: Depth=1
                                        ;     Child Loop BB128_537 Depth 2
                                        ;     Child Loop BB128_986 Depth 2
                                        ;       Child Loop BB128_988 Depth 3
                                        ;     Child Loop BB128_1023 Depth 2
	v_mov_b32_e32 v2, s62
	v_readlane_b32 s44, v103, 1
	s_clause 0x1
	global_load_b64 v[0:1], v2, s[72:73] scale_offset
	global_load_b64 v[44:45], v2, s[66:67] scale_offset
	global_load_b64 v[42:43], v5, s[64:65]
	s_and_not1_b32 vcc_lo, exec_lo, s44
	s_wait_loadcnt 0x2
	v_add_nc_u64_e32 v[0:1], s[74:75], v[0:1]
	s_delay_alu instid0(VALU_DEP_1)
	v_lshl_add_u64 v[40:41], v[14:15], 3, v[0:1]
	s_cbranch_vccnz .LBB128_13
; %bb.4:                                ;   in Loop: Header=BB128_3 Depth=1
	v_mov_b64_e32 v[34:35], 0
	v_mov_b64_e32 v[32:33], 0
	s_delay_alu instid0(VALU_DEP_3)
	v_lshl_add_u64 v[46:47], v[12:13], 3, v[40:41]
	s_wait_loadcnt 0x0
	s_barrier_signal -1
	s_barrier_wait -1
	s_wait_xcnt 0x0
	s_mov_b32 s44, exec_lo
	v_readlane_b32 s45, v103, 13
	s_and_b32 s45, s44, s45
	s_delay_alu instid0(SALU_CYCLE_1)
	s_mov_b32 exec_lo, s45
	s_cbranch_execz .LBB128_6
; %bb.5:                                ;   in Loop: Header=BB128_3 Depth=1
	flat_load_b64 v[32:33], v[46:47]
.LBB128_6:                              ;   in Loop: Header=BB128_3 Depth=1
	s_wait_xcnt 0x0
	s_or_b32 exec_lo, exec_lo, s44
	s_wait_loadcnt_dscnt 0x0
	s_barrier_signal -1
	s_barrier_wait -1
	s_mov_b32 s44, exec_lo
	v_readlane_b32 s45, v103, 14
	s_and_b32 s45, s44, s45
	s_delay_alu instid0(SALU_CYCLE_1)
	s_mov_b32 exec_lo, s45
	s_cbranch_execz .LBB128_8
; %bb.7:                                ;   in Loop: Header=BB128_3 Depth=1
	flat_load_b64 v[34:35], v[46:47] offset:128
.LBB128_8:                              ;   in Loop: Header=BB128_3 Depth=1
	s_wait_xcnt 0x0
	s_or_b32 exec_lo, exec_lo, s44
	v_mov_b64_e32 v[38:39], 0
	v_mov_b64_e32 v[36:37], 0
	s_wait_loadcnt_dscnt 0x0
	s_barrier_signal -1
	s_barrier_wait -1
	s_mov_b32 s44, exec_lo
	v_readlane_b32 s45, v103, 15
	s_and_b32 s45, s44, s45
	s_delay_alu instid0(SALU_CYCLE_1)
	s_mov_b32 exec_lo, s45
	s_cbranch_execz .LBB128_10
; %bb.9:                                ;   in Loop: Header=BB128_3 Depth=1
	flat_load_b64 v[36:37], v[46:47] offset:256
.LBB128_10:                             ;   in Loop: Header=BB128_3 Depth=1
	s_wait_xcnt 0x0
	s_or_b32 exec_lo, exec_lo, s44
	s_wait_loadcnt_dscnt 0x0
	s_barrier_signal -1
	s_barrier_wait -1
	s_mov_b32 s44, exec_lo
	v_readlane_b32 s45, v103, 16
	s_and_b32 s45, s44, s45
	s_delay_alu instid0(SALU_CYCLE_1)
	s_mov_b32 exec_lo, s45
	s_cbranch_execz .LBB128_12
; %bb.11:                               ;   in Loop: Header=BB128_3 Depth=1
	flat_load_b64 v[38:39], v[46:47] offset:384
.LBB128_12:                             ;   in Loop: Header=BB128_3 Depth=1
	s_wait_xcnt 0x0
	s_or_b32 exec_lo, exec_lo, s44
.LBB128_13:                             ;   in Loop: Header=BB128_3 Depth=1
	v_add_nc_u64_e32 v[0:1], s[80:81], v[0:1]
	s_and_not1_b32 vcc_lo, exec_lo, s86
	s_mov_b32 s44, -1
	s_delay_alu instid0(VALU_DEP_1)
	v_add_nc_u64_e32 v[0:1], v[0:1], v[4:5]
	s_cbranch_vccnz .LBB128_24
; %bb.14:                               ;   in Loop: Header=BB128_3 Depth=1
	s_wait_xcnt 0x0
	s_and_saveexec_b32 s44, s6
	s_delay_alu instid0(SALU_CYCLE_1)
	s_xor_b32 s44, exec_lo, s44
	s_cbranch_execnz .LBB128_1045
; %bb.15:                               ;   in Loop: Header=BB128_3 Depth=1
	s_and_not1_saveexec_b32 s44, s44
	s_cbranch_execnz .LBB128_1048
.LBB128_16:                             ;   in Loop: Header=BB128_3 Depth=1
	s_or_b32 exec_lo, exec_lo, s44
	s_and_saveexec_b32 s44, s7
	s_delay_alu instid0(SALU_CYCLE_1)
	s_xor_b32 s44, exec_lo, s44
	s_cbranch_execnz .LBB128_1049
.LBB128_17:                             ;   in Loop: Header=BB128_3 Depth=1
	s_and_not1_saveexec_b32 s44, s44
	s_cbranch_execnz .LBB128_1052
.LBB128_18:                             ;   in Loop: Header=BB128_3 Depth=1
	s_or_b32 exec_lo, exec_lo, s44
	s_and_saveexec_b32 s44, s8
	s_delay_alu instid0(SALU_CYCLE_1)
	s_xor_b32 s44, exec_lo, s44
	s_cbranch_execnz .LBB128_1053
.LBB128_19:                             ;   in Loop: Header=BB128_3 Depth=1
	s_and_not1_saveexec_b32 s44, s44
	s_cbranch_execnz .LBB128_1056
.LBB128_20:                             ;   in Loop: Header=BB128_3 Depth=1
	s_or_b32 exec_lo, exec_lo, s44
	s_and_saveexec_b32 s44, s9
	s_delay_alu instid0(SALU_CYCLE_1)
	s_xor_b32 s44, exec_lo, s44
	s_cbranch_execnz .LBB128_1057
.LBB128_21:                             ;   in Loop: Header=BB128_3 Depth=1
	s_and_not1_saveexec_b32 s44, s44
	s_cbranch_execz .LBB128_23
.LBB128_22:                             ;   in Loop: Header=BB128_3 Depth=1
	v_lshl_add_u64 v[46:47], v[22:23], 3, v[0:1]
	flat_load_b64 v[46:47], v[46:47]
	s_wait_loadcnt_dscnt 0x0
	v_xor_b32_e32 v47, 0x80000000, v47
	ds_store_b64 v89, v[46:47]
.LBB128_23:                             ;   in Loop: Header=BB128_3 Depth=1
	s_or_b32 exec_lo, exec_lo, s44
	s_mov_b32 s44, 0
.LBB128_24:                             ;   in Loop: Header=BB128_3 Depth=1
	s_delay_alu instid0(SALU_CYCLE_1)
	s_and_b32 vcc_lo, exec_lo, s44
	s_cbranch_vccz .LBB128_50
; %bb.25:                               ;   in Loop: Header=BB128_3 Depth=1
	s_wait_xcnt 0x0
	s_mov_b32 s44, exec_lo
	v_readlane_b32 s45, v103, 17
	s_and_b32 s45, s44, s45
	s_delay_alu instid0(SALU_CYCLE_1)
	s_xor_b32 s44, s45, s44
	s_mov_b32 exec_lo, s45
	s_cbranch_execz .LBB128_29
; %bb.26:                               ;   in Loop: Header=BB128_3 Depth=1
	s_mov_b32 s45, exec_lo
	v_readlane_b32 s46, v102, 23
	s_and_b32 s46, s45, s46
	s_delay_alu instid0(SALU_CYCLE_1)
	s_mov_b32 exec_lo, s46
; %bb.27:                               ;   in Loop: Header=BB128_3 Depth=1
	ds_store_b64 v91, v[28:29]
; %bb.28:                               ;   in Loop: Header=BB128_3 Depth=1
	s_or_b32 exec_lo, exec_lo, s45
.LBB128_29:                             ;   in Loop: Header=BB128_3 Depth=1
	s_and_not1_saveexec_b32 s44, s44
	s_cbranch_execz .LBB128_31
; %bb.30:                               ;   in Loop: Header=BB128_3 Depth=1
	v_lshl_add_u64 v[46:47], v[16:17], 3, v[0:1]
	flat_load_b64 v[46:47], v[46:47]
	s_wait_loadcnt_dscnt 0x0
	v_xor_b32_e32 v47, 0x80000000, v47
	ds_store_b64 v91, v[46:47]
.LBB128_31:                             ;   in Loop: Header=BB128_3 Depth=1
	s_or_b32 exec_lo, exec_lo, s44
	s_delay_alu instid0(SALU_CYCLE_1) | instskip(SKIP_2) | instid1(SALU_CYCLE_1)
	s_mov_b32 s44, exec_lo
	v_readlane_b32 s45, v103, 18
	s_and_b32 s45, s44, s45
	s_xor_b32 s44, s45, s44
	s_mov_b32 exec_lo, s45
	s_cbranch_execz .LBB128_35
; %bb.32:                               ;   in Loop: Header=BB128_3 Depth=1
	s_mov_b32 s45, exec_lo
	v_readlane_b32 s46, v102, 24
	s_and_b32 s46, s45, s46
	s_delay_alu instid0(SALU_CYCLE_1)
	s_mov_b32 exec_lo, s46
; %bb.33:                               ;   in Loop: Header=BB128_3 Depth=1
	ds_store_b64 v87, v[28:29]
; %bb.34:                               ;   in Loop: Header=BB128_3 Depth=1
	s_or_b32 exec_lo, exec_lo, s45
.LBB128_35:                             ;   in Loop: Header=BB128_3 Depth=1
	s_and_not1_saveexec_b32 s44, s44
	s_cbranch_execz .LBB128_37
; %bb.36:                               ;   in Loop: Header=BB128_3 Depth=1
	v_lshl_add_u64 v[46:47], v[18:19], 3, v[0:1]
	flat_load_b64 v[46:47], v[46:47]
	s_wait_loadcnt_dscnt 0x0
	v_xor_b32_e32 v47, 0x80000000, v47
	ds_store_b64 v87, v[46:47]
.LBB128_37:                             ;   in Loop: Header=BB128_3 Depth=1
	s_or_b32 exec_lo, exec_lo, s44
	s_delay_alu instid0(SALU_CYCLE_1) | instskip(SKIP_2) | instid1(SALU_CYCLE_1)
	s_mov_b32 s44, exec_lo
	v_readlane_b32 s45, v103, 19
	s_and_b32 s45, s44, s45
	;; [unrolled: 28-line block ×3, first 2 shown]
	s_xor_b32 s44, s45, s44
	s_mov_b32 exec_lo, s45
	s_cbranch_execz .LBB128_47
; %bb.44:                               ;   in Loop: Header=BB128_3 Depth=1
	s_mov_b32 s45, exec_lo
	v_readlane_b32 s46, v102, 26
	s_and_b32 s46, s45, s46
	s_delay_alu instid0(SALU_CYCLE_1)
	s_mov_b32 exec_lo, s46
; %bb.45:                               ;   in Loop: Header=BB128_3 Depth=1
	ds_store_b64 v89, v[28:29]
; %bb.46:                               ;   in Loop: Header=BB128_3 Depth=1
	s_or_b32 exec_lo, exec_lo, s45
                                        ; implicit-def: $vgpr0_vgpr1
.LBB128_47:                             ;   in Loop: Header=BB128_3 Depth=1
	s_and_not1_saveexec_b32 s44, s44
	s_cbranch_execz .LBB128_49
; %bb.48:                               ;   in Loop: Header=BB128_3 Depth=1
	v_lshl_add_u64 v[0:1], v[22:23], 3, v[0:1]
	flat_load_b64 v[0:1], v[0:1]
	s_wait_loadcnt_dscnt 0x0
	v_xor_b32_e32 v1, 0x80000000, v1
	ds_store_b64 v89, v[0:1]
.LBB128_49:                             ;   in Loop: Header=BB128_3 Depth=1
	s_or_b32 exec_lo, exec_lo, s44
.LBB128_50:                             ;   in Loop: Header=BB128_3 Depth=1
	s_delay_alu instid0(SALU_CYCLE_1)
	s_and_not1_b32 vcc_lo, exec_lo, s88
	s_wait_loadcnt_dscnt 0x0
	s_barrier_signal -1
	s_barrier_wait -1
	s_cbranch_vccnz .LBB128_980
; %bb.51:                               ;   in Loop: Header=BB128_3 Depth=1
	s_wait_xcnt 0x0
	s_and_saveexec_b32 s44, s10
	s_cbranch_execz .LBB128_53
; %bb.52:                               ;   in Loop: Header=BB128_3 Depth=1
	ds_load_b64 v[0:1], v5 offset:8
	v_mov_b32_e32 v2, v5
	ds_store_b64 v5, v[30:31]
	s_wait_dscnt 0x1
	ds_store_b128 v5, v[0:3] offset:512
.LBB128_53:                             ;   in Loop: Header=BB128_3 Depth=1
	s_or_b32 exec_lo, exec_lo, s44
	v_mov_b64_e32 v[0:1], 0
	s_wait_dscnt 0x0
	s_barrier_signal -1
	s_barrier_wait -1
	s_and_saveexec_b32 s44, s1
	s_cbranch_execz .LBB128_57
; %bb.54:                               ;   in Loop: Header=BB128_3 Depth=1
	ds_load_b64 v[0:1], v50 offset:16
	ds_load_b64 v[46:47], v51
	s_wait_dscnt 0x0
	v_fma_f64 v[0:1], v[0:1], v[46:47], 0
	s_and_saveexec_b32 s45, s11
	s_cbranch_execz .LBB128_56
; %bb.55:                               ;   in Loop: Header=BB128_3 Depth=1
	ds_load_b64 v[46:47], v52 offset:528
	ds_load_b64 v[48:49], v5 offset:8
	s_wait_dscnt 0x0
	v_fmac_f64_e32 v[0:1], v[46:47], v[48:49]
.LBB128_56:                             ;   in Loop: Header=BB128_3 Depth=1
	s_or_b32 exec_lo, exec_lo, s45
	s_delay_alu instid0(VALU_DEP_1)
	v_xor_b32_e32 v1, 0x80000000, v1
.LBB128_57:                             ;   in Loop: Header=BB128_3 Depth=1
	s_or_b32 exec_lo, exec_lo, s44
	s_and_saveexec_b32 s44, s89
; %bb.58:                               ;   in Loop: Header=BB128_3 Depth=1
	ds_store_b64 v7, v[0:1]
; %bb.59:                               ;   in Loop: Header=BB128_3 Depth=1
	s_or_b32 exec_lo, exec_lo, s44
	s_wait_dscnt 0x0
	s_barrier_signal -1
	s_barrier_wait -1
	s_and_saveexec_b32 s44, s90
	s_cbranch_execz .LBB128_61
; %bb.60:                               ;   in Loop: Header=BB128_3 Depth=1
	ds_load_b64 v[46:47], v5 offset:1048
	ds_load_b64 v[48:49], v7
	s_wait_dscnt 0x0
	v_fmac_f64_e32 v[0:1], v[46:47], v[48:49]
.LBB128_61:                             ;   in Loop: Header=BB128_3 Depth=1
	s_or_b32 exec_lo, exec_lo, s44
	s_barrier_signal -1
	s_barrier_wait -1
	s_and_saveexec_b32 s44, s90
; %bb.62:                               ;   in Loop: Header=BB128_3 Depth=1
	ds_store_b64 v7, v[0:1]
; %bb.63:                               ;   in Loop: Header=BB128_3 Depth=1
	s_or_b32 exec_lo, exec_lo, s44
	s_wait_dscnt 0x0
	s_barrier_signal -1
	s_barrier_wait -1
	s_barrier_signal -1
	s_barrier_wait -1
	s_and_saveexec_b32 s44, s1
; %bb.64:                               ;   in Loop: Header=BB128_3 Depth=1
	v_xor_b32_e32 v1, 0x80000000, v1
	ds_store_b64 v50, v[0:1] offset:16
; %bb.65:                               ;   in Loop: Header=BB128_3 Depth=1
	s_or_b32 exec_lo, exec_lo, s44
	s_wait_dscnt 0x0
	s_barrier_signal -1
	s_barrier_wait -1
	s_barrier_signal -1
	s_barrier_wait -1
	s_and_saveexec_b32 s44, s91
	s_cbranch_execz .LBB128_67
; %bb.66:                               ;   in Loop: Header=BB128_3 Depth=1
	ds_load_b64 v[0:1], v55 offset:16
	s_wait_dscnt 0x0
	ds_store_b64 v52, v[0:1] offset:1024
	ds_load_b64 v[0:1], v55 offset:24
	s_wait_dscnt 0x0
	ds_store_b64 v52, v[0:1] offset:1536
.LBB128_67:                             ;   in Loop: Header=BB128_3 Depth=1
	s_or_b32 exec_lo, exec_lo, s44
	s_wait_dscnt 0x0
	s_barrier_signal -1
	s_barrier_wait -1
	s_and_saveexec_b32 s44, s10
	s_cbranch_execz .LBB128_69
; %bb.68:                               ;   in Loop: Header=BB128_3 Depth=1
	ds_load_b64 v[0:1], v5 offset:1048
	v_mov_b32_e32 v2, v5
	ds_store_b64 v5, v[30:31] offset:1040
	s_wait_dscnt 0x1
	ds_store_b128 v5, v[0:3] offset:1552
.LBB128_69:                             ;   in Loop: Header=BB128_3 Depth=1
	s_or_b32 exec_lo, exec_lo, s44
	v_mov_b64_e32 v[0:1], 0
	s_wait_dscnt 0x0
	s_barrier_signal -1
	s_barrier_wait -1
	s_and_saveexec_b32 s44, s3
	s_cbranch_execz .LBB128_75
; %bb.70:                               ;   in Loop: Header=BB128_3 Depth=1
	ds_load_b64 v[0:1], v57 offset:32
	ds_load_b64 v[46:47], v53
	s_wait_dscnt 0x0
	v_fma_f64 v[0:1], v[0:1], v[46:47], 0
	s_and_saveexec_b32 s45, s12
	s_cbranch_execnz .LBB128_1067
; %bb.71:                               ;   in Loop: Header=BB128_3 Depth=1
	s_or_b32 exec_lo, exec_lo, s45
	s_and_saveexec_b32 s45, s13
	s_cbranch_execnz .LBB128_1068
.LBB128_72:                             ;   in Loop: Header=BB128_3 Depth=1
	s_or_b32 exec_lo, exec_lo, s45
	s_and_saveexec_b32 s45, s1
	s_cbranch_execz .LBB128_74
.LBB128_73:                             ;   in Loop: Header=BB128_3 Depth=1
	ds_load_b64 v[46:47], v59 offset:1568
	ds_load_b64 v[48:49], v5 offset:24
	s_wait_dscnt 0x0
	v_fmac_f64_e32 v[0:1], v[46:47], v[48:49]
.LBB128_74:                             ;   in Loop: Header=BB128_3 Depth=1
	s_or_b32 exec_lo, exec_lo, s45
	s_delay_alu instid0(VALU_DEP_1)
	v_xor_b32_e32 v1, 0x80000000, v1
.LBB128_75:                             ;   in Loop: Header=BB128_3 Depth=1
	s_or_b32 exec_lo, exec_lo, s44
	s_and_saveexec_b32 s44, s92
; %bb.76:                               ;   in Loop: Header=BB128_3 Depth=1
	ds_store_b64 v56, v[0:1]
; %bb.77:                               ;   in Loop: Header=BB128_3 Depth=1
	s_or_b32 exec_lo, exec_lo, s44
	s_wait_dscnt 0x0
	s_barrier_signal -1
	s_barrier_wait -1
	s_and_saveexec_b32 s44, s93
	s_cbranch_execz .LBB128_79
; %bb.78:                               ;   in Loop: Header=BB128_3 Depth=1
	ds_load_b64 v[46:47], v54 offset:2080
	ds_load_b64 v[48:49], v56
	s_wait_dscnt 0x0
	v_fmac_f64_e32 v[0:1], v[46:47], v[48:49]
.LBB128_79:                             ;   in Loop: Header=BB128_3 Depth=1
	s_or_b32 exec_lo, exec_lo, s44
	s_barrier_signal -1
	s_barrier_wait -1
	s_and_saveexec_b32 s44, s94
; %bb.80:                               ;   in Loop: Header=BB128_3 Depth=1
	ds_store_b64 v56, v[0:1]
; %bb.81:                               ;   in Loop: Header=BB128_3 Depth=1
	s_or_b32 exec_lo, exec_lo, s44
	s_wait_dscnt 0x0
	s_barrier_signal -1
	s_barrier_wait -1
	s_and_saveexec_b32 s44, s95
	s_cbranch_execz .LBB128_83
; %bb.82:                               ;   in Loop: Header=BB128_3 Depth=1
	ds_load_b64 v[46:47], v54 offset:2592
	ds_load_b64 v[48:49], v56
	s_wait_dscnt 0x0
	v_fmac_f64_e32 v[0:1], v[46:47], v[48:49]
.LBB128_83:                             ;   in Loop: Header=BB128_3 Depth=1
	s_or_b32 exec_lo, exec_lo, s44
	s_barrier_signal -1
	s_barrier_wait -1
	;; [unrolled: 19-line block ×3, first 2 shown]
	s_and_saveexec_b32 s44, s97
; %bb.88:                               ;   in Loop: Header=BB128_3 Depth=1
	ds_store_b64 v56, v[0:1]
; %bb.89:                               ;   in Loop: Header=BB128_3 Depth=1
	s_or_b32 exec_lo, exec_lo, s44
	s_wait_dscnt 0x0
	s_barrier_signal -1
	s_barrier_wait -1
	s_barrier_signal -1
	s_barrier_wait -1
	s_and_saveexec_b32 s44, s3
; %bb.90:                               ;   in Loop: Header=BB128_3 Depth=1
	v_xor_b32_e32 v1, 0x80000000, v1
	ds_store_b64 v57, v[0:1] offset:32
; %bb.91:                               ;   in Loop: Header=BB128_3 Depth=1
	s_or_b32 exec_lo, exec_lo, s44
	s_wait_dscnt 0x0
	s_barrier_signal -1
	s_barrier_wait -1
	s_barrier_signal -1
	s_barrier_wait -1
	s_and_saveexec_b32 s44, s98
	s_cbranch_execz .LBB128_93
; %bb.92:                               ;   in Loop: Header=BB128_3 Depth=1
	ds_load_b64 v[0:1], v60 offset:32
	s_wait_dscnt 0x0
	ds_store_b64 v62, v[0:1] offset:2048
	ds_load_b64 v[0:1], v60 offset:40
	s_wait_dscnt 0x0
	ds_store_b64 v62, v[0:1] offset:2560
	;; [unrolled: 3-line block ×4, first 2 shown]
.LBB128_93:                             ;   in Loop: Header=BB128_3 Depth=1
	s_or_b32 exec_lo, exec_lo, s44
	s_wait_dscnt 0x0
	s_barrier_signal -1
	s_barrier_wait -1
	s_and_saveexec_b32 s44, s10
	s_cbranch_execz .LBB128_95
; %bb.94:                               ;   in Loop: Header=BB128_3 Depth=1
	ds_load_b64 v[0:1], v5 offset:2088
	v_mov_b32_e32 v2, v5
	ds_store_b64 v5, v[30:31] offset:2080
	s_wait_dscnt 0x1
	ds_store_b128 v5, v[0:3] offset:2592
.LBB128_95:                             ;   in Loop: Header=BB128_3 Depth=1
	s_or_b32 exec_lo, exec_lo, s44
	v_mov_b64_e32 v[0:1], 0
	s_wait_dscnt 0x0
	s_barrier_signal -1
	s_barrier_wait -1
	s_and_saveexec_b32 s44, s1
	s_cbranch_execz .LBB128_99
; %bb.96:                               ;   in Loop: Header=BB128_3 Depth=1
	ds_load_b64 v[0:1], v50 offset:2096
	ds_load_b64 v[46:47], v51 offset:2080
	s_wait_dscnt 0x0
	v_fma_f64 v[0:1], v[0:1], v[46:47], 0
	s_and_saveexec_b32 s45, s11
	s_cbranch_execz .LBB128_98
; %bb.97:                               ;   in Loop: Header=BB128_3 Depth=1
	ds_load_b64 v[46:47], v62 offset:2608
	ds_load_b64 v[48:49], v5 offset:2088
	s_wait_dscnt 0x0
	v_fmac_f64_e32 v[0:1], v[46:47], v[48:49]
.LBB128_98:                             ;   in Loop: Header=BB128_3 Depth=1
	s_or_b32 exec_lo, exec_lo, s45
	s_delay_alu instid0(VALU_DEP_1)
	v_xor_b32_e32 v1, 0x80000000, v1
.LBB128_99:                             ;   in Loop: Header=BB128_3 Depth=1
	s_or_b32 exec_lo, exec_lo, s44
	s_and_saveexec_b32 s44, s89
; %bb.100:                              ;   in Loop: Header=BB128_3 Depth=1
	ds_store_b64 v7, v[0:1]
; %bb.101:                              ;   in Loop: Header=BB128_3 Depth=1
	s_or_b32 exec_lo, exec_lo, s44
	s_wait_dscnt 0x0
	s_barrier_signal -1
	s_barrier_wait -1
	s_and_saveexec_b32 s44, s90
	s_cbranch_execz .LBB128_103
; %bb.102:                              ;   in Loop: Header=BB128_3 Depth=1
	ds_load_b64 v[46:47], v5 offset:3128
	ds_load_b64 v[48:49], v7
	s_wait_dscnt 0x0
	v_fmac_f64_e32 v[0:1], v[46:47], v[48:49]
.LBB128_103:                            ;   in Loop: Header=BB128_3 Depth=1
	s_or_b32 exec_lo, exec_lo, s44
	s_barrier_signal -1
	s_barrier_wait -1
	s_and_saveexec_b32 s44, s90
; %bb.104:                              ;   in Loop: Header=BB128_3 Depth=1
	ds_store_b64 v7, v[0:1]
; %bb.105:                              ;   in Loop: Header=BB128_3 Depth=1
	s_or_b32 exec_lo, exec_lo, s44
	s_wait_dscnt 0x0
	s_barrier_signal -1
	s_barrier_wait -1
	s_barrier_signal -1
	s_barrier_wait -1
	s_and_saveexec_b32 s44, s1
; %bb.106:                              ;   in Loop: Header=BB128_3 Depth=1
	v_xor_b32_e32 v1, 0x80000000, v1
	ds_store_b64 v50, v[0:1] offset:2096
; %bb.107:                              ;   in Loop: Header=BB128_3 Depth=1
	s_or_b32 exec_lo, exec_lo, s44
	s_wait_dscnt 0x0
	s_barrier_signal -1
	s_barrier_wait -1
	s_barrier_signal -1
	s_barrier_wait -1
	s_and_saveexec_b32 s44, s91
	s_cbranch_execz .LBB128_109
; %bb.108:                              ;   in Loop: Header=BB128_3 Depth=1
	ds_load_b64 v[0:1], v64 offset:2096
	s_wait_dscnt 0x0
	ds_store_b64 v62, v[0:1] offset:3104
	ds_load_b64 v[0:1], v64 offset:2104
	s_wait_dscnt 0x0
	ds_store_b64 v62, v[0:1] offset:3616
.LBB128_109:                            ;   in Loop: Header=BB128_3 Depth=1
	s_or_b32 exec_lo, exec_lo, s44
	s_wait_dscnt 0x0
	s_barrier_signal -1
	s_barrier_wait -1
	s_and_saveexec_b32 s44, s10
	s_cbranch_execz .LBB128_111
; %bb.110:                              ;   in Loop: Header=BB128_3 Depth=1
	ds_load_b64 v[0:1], v5 offset:3128
	v_mov_b32_e32 v2, v5
	ds_store_b64 v5, v[30:31] offset:3120
	s_wait_dscnt 0x1
	ds_store_b128 v5, v[0:3] offset:3632
.LBB128_111:                            ;   in Loop: Header=BB128_3 Depth=1
	s_or_b32 exec_lo, exec_lo, s44
	v_mov_b64_e32 v[0:1], 0
	s_wait_dscnt 0x0
	s_barrier_signal -1
	s_barrier_wait -1
	s_and_saveexec_b32 s44, s4
	s_cbranch_execz .LBB128_121
; %bb.112:                              ;   in Loop: Header=BB128_3 Depth=1
	ds_load_b64 v[0:1], v66 offset:64
	ds_load_b64 v[46:47], v61
	s_wait_dscnt 0x0
	v_fma_f64 v[0:1], v[0:1], v[46:47], 0
	s_and_saveexec_b32 s45, s14
	s_cbranch_execnz .LBB128_1069
; %bb.113:                              ;   in Loop: Header=BB128_3 Depth=1
	s_or_b32 exec_lo, exec_lo, s45
	s_and_saveexec_b32 s45, s15
	s_cbranch_execnz .LBB128_1070
.LBB128_114:                            ;   in Loop: Header=BB128_3 Depth=1
	s_or_b32 exec_lo, exec_lo, s45
	s_and_saveexec_b32 s45, s16
	s_cbranch_execnz .LBB128_1071
.LBB128_115:                            ;   in Loop: Header=BB128_3 Depth=1
	s_or_b32 exec_lo, exec_lo, s45
	s_and_saveexec_b32 s45, s17
	s_cbranch_execnz .LBB128_1072
.LBB128_116:                            ;   in Loop: Header=BB128_3 Depth=1
	s_or_b32 exec_lo, exec_lo, s45
	s_and_saveexec_b32 s45, s18
	s_cbranch_execnz .LBB128_1073
.LBB128_117:                            ;   in Loop: Header=BB128_3 Depth=1
	s_or_b32 exec_lo, exec_lo, s45
	s_and_saveexec_b32 s45, s3
	s_cbranch_execnz .LBB128_1074
.LBB128_118:                            ;   in Loop: Header=BB128_3 Depth=1
	s_or_b32 exec_lo, exec_lo, s45
	s_and_saveexec_b32 s45, s13
	s_cbranch_execz .LBB128_120
.LBB128_119:                            ;   in Loop: Header=BB128_3 Depth=1
	ds_load_b64 v[46:47], v68 offset:3648
	ds_load_b64 v[48:49], v5 offset:56
	s_wait_dscnt 0x0
	v_fmac_f64_e32 v[0:1], v[46:47], v[48:49]
.LBB128_120:                            ;   in Loop: Header=BB128_3 Depth=1
	s_or_b32 exec_lo, exec_lo, s45
	s_delay_alu instid0(VALU_DEP_1)
	v_xor_b32_e32 v1, 0x80000000, v1
.LBB128_121:                            ;   in Loop: Header=BB128_3 Depth=1
	s_or_b32 exec_lo, exec_lo, s44
	s_and_saveexec_b32 s44, s99
; %bb.122:                              ;   in Loop: Header=BB128_3 Depth=1
	ds_store_b64 v65, v[0:1]
; %bb.123:                              ;   in Loop: Header=BB128_3 Depth=1
	s_or_b32 exec_lo, exec_lo, s44
	s_wait_dscnt 0x0
	s_barrier_signal -1
	s_barrier_wait -1
	s_and_saveexec_b32 s44, s100
	s_cbranch_execz .LBB128_125
; %bb.124:                              ;   in Loop: Header=BB128_3 Depth=1
	ds_load_b64 v[46:47], v63 offset:4160
	ds_load_b64 v[48:49], v65
	s_wait_dscnt 0x0
	v_fmac_f64_e32 v[0:1], v[46:47], v[48:49]
.LBB128_125:                            ;   in Loop: Header=BB128_3 Depth=1
	s_or_b32 exec_lo, exec_lo, s44
	s_barrier_signal -1
	s_barrier_wait -1
	s_and_saveexec_b32 s44, s101
; %bb.126:                              ;   in Loop: Header=BB128_3 Depth=1
	ds_store_b64 v65, v[0:1]
; %bb.127:                              ;   in Loop: Header=BB128_3 Depth=1
	s_or_b32 exec_lo, exec_lo, s44
	s_wait_dscnt 0x0
	s_barrier_signal -1
	s_barrier_wait -1
	s_and_saveexec_b32 s44, s102
	s_cbranch_execz .LBB128_129
; %bb.128:                              ;   in Loop: Header=BB128_3 Depth=1
	ds_load_b64 v[46:47], v63 offset:4672
	ds_load_b64 v[48:49], v65
	s_wait_dscnt 0x0
	v_fmac_f64_e32 v[0:1], v[46:47], v[48:49]
.LBB128_129:                            ;   in Loop: Header=BB128_3 Depth=1
	s_or_b32 exec_lo, exec_lo, s44
	s_barrier_signal -1
	s_barrier_wait -1
	s_and_saveexec_b32 s44, s103
; %bb.130:                              ;   in Loop: Header=BB128_3 Depth=1
	ds_store_b64 v65, v[0:1]
; %bb.131:                              ;   in Loop: Header=BB128_3 Depth=1
	s_or_b32 exec_lo, exec_lo, s44
	s_wait_dscnt 0x0
	s_barrier_signal -1
	s_barrier_wait -1
	s_and_saveexec_b32 s44, s104
	s_cbranch_execz .LBB128_133
; %bb.132:                              ;   in Loop: Header=BB128_3 Depth=1
	ds_load_b64 v[46:47], v63 offset:5184
	ds_load_b64 v[48:49], v65
	s_wait_dscnt 0x0
	v_fmac_f64_e32 v[0:1], v[46:47], v[48:49]
.LBB128_133:                            ;   in Loop: Header=BB128_3 Depth=1
	s_or_b32 exec_lo, exec_lo, s44
	s_barrier_signal -1
	s_barrier_wait -1
	s_and_saveexec_b32 s44, vcc_hi
; %bb.134:                              ;   in Loop: Header=BB128_3 Depth=1
	ds_store_b64 v65, v[0:1]
; %bb.135:                              ;   in Loop: Header=BB128_3 Depth=1
	s_or_b32 exec_lo, exec_lo, s44
	s_wait_dscnt 0x0
	s_barrier_signal -1
	s_barrier_wait -1
	s_and_saveexec_b32 s44, s31
	s_cbranch_execz .LBB128_137
; %bb.136:                              ;   in Loop: Header=BB128_3 Depth=1
	ds_load_b64 v[46:47], v63 offset:5696
	ds_load_b64 v[48:49], v65
	s_wait_dscnt 0x0
	v_fmac_f64_e32 v[0:1], v[46:47], v[48:49]
.LBB128_137:                            ;   in Loop: Header=BB128_3 Depth=1
	s_or_b32 exec_lo, exec_lo, s44
	s_barrier_signal -1
	s_barrier_wait -1
	s_and_saveexec_b32 s44, s33
; %bb.138:                              ;   in Loop: Header=BB128_3 Depth=1
	ds_store_b64 v65, v[0:1]
; %bb.139:                              ;   in Loop: Header=BB128_3 Depth=1
	s_or_b32 exec_lo, exec_lo, s44
	s_wait_dscnt 0x0
	s_barrier_signal -1
	s_barrier_wait -1
	s_and_saveexec_b32 s44, s34
	s_cbranch_execz .LBB128_141
; %bb.140:                              ;   in Loop: Header=BB128_3 Depth=1
	ds_load_b64 v[46:47], v63 offset:6208
	ds_load_b64 v[48:49], v65
	s_wait_dscnt 0x0
	v_fmac_f64_e32 v[0:1], v[46:47], v[48:49]
.LBB128_141:                            ;   in Loop: Header=BB128_3 Depth=1
	s_or_b32 exec_lo, exec_lo, s44
	s_barrier_signal -1
	s_barrier_wait -1
	s_and_saveexec_b32 s44, s35
	;; [unrolled: 19-line block ×4, first 2 shown]
; %bb.150:                              ;   in Loop: Header=BB128_3 Depth=1
	ds_store_b64 v65, v[0:1]
; %bb.151:                              ;   in Loop: Header=BB128_3 Depth=1
	s_or_b32 exec_lo, exec_lo, s44
	s_wait_dscnt 0x0
	s_barrier_signal -1
	s_barrier_wait -1
	s_barrier_signal -1
	s_barrier_wait -1
	s_and_saveexec_b32 s44, s4
; %bb.152:                              ;   in Loop: Header=BB128_3 Depth=1
	v_xor_b32_e32 v1, 0x80000000, v1
	ds_store_b64 v66, v[0:1] offset:64
; %bb.153:                              ;   in Loop: Header=BB128_3 Depth=1
	s_or_b32 exec_lo, exec_lo, s44
	s_wait_dscnt 0x0
	s_barrier_signal -1
	s_barrier_wait -1
	s_barrier_signal -1
	s_barrier_wait -1
	s_and_saveexec_b32 s44, s39
	s_cbranch_execz .LBB128_155
; %bb.154:                              ;   in Loop: Header=BB128_3 Depth=1
	ds_load_b64 v[0:1], v69 offset:64
	s_wait_dscnt 0x0
	ds_store_b64 v70, v[0:1] offset:4096
	ds_load_b64 v[0:1], v69 offset:72
	s_wait_dscnt 0x0
	ds_store_b64 v70, v[0:1] offset:4608
	;; [unrolled: 3-line block ×8, first 2 shown]
.LBB128_155:                            ;   in Loop: Header=BB128_3 Depth=1
	s_or_b32 exec_lo, exec_lo, s44
	s_wait_dscnt 0x0
	s_barrier_signal -1
	s_barrier_wait -1
	s_and_saveexec_b32 s44, s10
	s_cbranch_execz .LBB128_157
; %bb.156:                              ;   in Loop: Header=BB128_3 Depth=1
	ds_load_b64 v[0:1], v5 offset:4168
	v_mov_b32_e32 v2, v5
	ds_store_b64 v5, v[30:31] offset:4160
	s_wait_dscnt 0x1
	ds_store_b128 v5, v[0:3] offset:4672
.LBB128_157:                            ;   in Loop: Header=BB128_3 Depth=1
	s_or_b32 exec_lo, exec_lo, s44
	v_mov_b64_e32 v[0:1], 0
	s_wait_dscnt 0x0
	s_barrier_signal -1
	s_barrier_wait -1
	s_and_saveexec_b32 s44, s1
	s_cbranch_execz .LBB128_161
; %bb.158:                              ;   in Loop: Header=BB128_3 Depth=1
	ds_load_b64 v[0:1], v50 offset:4176
	ds_load_b64 v[46:47], v51 offset:4160
	s_wait_dscnt 0x0
	v_fma_f64 v[0:1], v[0:1], v[46:47], 0
	s_and_saveexec_b32 s45, s11
	s_cbranch_execz .LBB128_160
; %bb.159:                              ;   in Loop: Header=BB128_3 Depth=1
	ds_load_b64 v[46:47], v70 offset:4688
	ds_load_b64 v[48:49], v5 offset:4168
	s_wait_dscnt 0x0
	v_fmac_f64_e32 v[0:1], v[46:47], v[48:49]
.LBB128_160:                            ;   in Loop: Header=BB128_3 Depth=1
	s_or_b32 exec_lo, exec_lo, s45
	s_delay_alu instid0(VALU_DEP_1)
	v_xor_b32_e32 v1, 0x80000000, v1
.LBB128_161:                            ;   in Loop: Header=BB128_3 Depth=1
	s_or_b32 exec_lo, exec_lo, s44
	s_and_saveexec_b32 s44, s89
; %bb.162:                              ;   in Loop: Header=BB128_3 Depth=1
	ds_store_b64 v7, v[0:1]
; %bb.163:                              ;   in Loop: Header=BB128_3 Depth=1
	s_or_b32 exec_lo, exec_lo, s44
	s_wait_dscnt 0x0
	s_barrier_signal -1
	s_barrier_wait -1
	s_and_saveexec_b32 s44, s90
	s_cbranch_execz .LBB128_165
; %bb.164:                              ;   in Loop: Header=BB128_3 Depth=1
	ds_load_b64 v[46:47], v5 offset:5208
	ds_load_b64 v[48:49], v7
	s_wait_dscnt 0x0
	v_fmac_f64_e32 v[0:1], v[46:47], v[48:49]
.LBB128_165:                            ;   in Loop: Header=BB128_3 Depth=1
	s_or_b32 exec_lo, exec_lo, s44
	s_barrier_signal -1
	s_barrier_wait -1
	s_and_saveexec_b32 s44, s90
; %bb.166:                              ;   in Loop: Header=BB128_3 Depth=1
	ds_store_b64 v7, v[0:1]
; %bb.167:                              ;   in Loop: Header=BB128_3 Depth=1
	s_or_b32 exec_lo, exec_lo, s44
	s_wait_dscnt 0x0
	s_barrier_signal -1
	s_barrier_wait -1
	s_barrier_signal -1
	s_barrier_wait -1
	s_and_saveexec_b32 s44, s1
; %bb.168:                              ;   in Loop: Header=BB128_3 Depth=1
	v_xor_b32_e32 v1, 0x80000000, v1
	ds_store_b64 v50, v[0:1] offset:4176
; %bb.169:                              ;   in Loop: Header=BB128_3 Depth=1
	s_or_b32 exec_lo, exec_lo, s44
	s_wait_dscnt 0x0
	s_barrier_signal -1
	s_barrier_wait -1
	s_barrier_signal -1
	s_barrier_wait -1
	s_and_saveexec_b32 s44, s91
	s_cbranch_execz .LBB128_171
; %bb.170:                              ;   in Loop: Header=BB128_3 Depth=1
	ds_load_b64 v[0:1], v71 offset:4176
	s_wait_dscnt 0x0
	ds_store_b64 v70, v[0:1] offset:5184
	ds_load_b64 v[0:1], v71 offset:4184
	s_wait_dscnt 0x0
	ds_store_b64 v70, v[0:1] offset:5696
.LBB128_171:                            ;   in Loop: Header=BB128_3 Depth=1
	s_or_b32 exec_lo, exec_lo, s44
	s_wait_dscnt 0x0
	s_barrier_signal -1
	s_barrier_wait -1
	s_and_saveexec_b32 s44, s10
	s_cbranch_execz .LBB128_173
; %bb.172:                              ;   in Loop: Header=BB128_3 Depth=1
	ds_load_b64 v[0:1], v5 offset:5208
	v_mov_b32_e32 v2, v5
	ds_store_b64 v5, v[30:31] offset:5200
	s_wait_dscnt 0x1
	ds_store_b128 v5, v[0:3] offset:5712
.LBB128_173:                            ;   in Loop: Header=BB128_3 Depth=1
	s_or_b32 exec_lo, exec_lo, s44
	v_mov_b64_e32 v[0:1], 0
	s_wait_dscnt 0x0
	s_barrier_signal -1
	s_barrier_wait -1
	s_and_saveexec_b32 s44, s3
	s_cbranch_execz .LBB128_179
; %bb.174:                              ;   in Loop: Header=BB128_3 Depth=1
	ds_load_b64 v[0:1], v57 offset:4192
	ds_load_b64 v[46:47], v53 offset:4160
	s_wait_dscnt 0x0
	v_fma_f64 v[0:1], v[0:1], v[46:47], 0
	s_and_saveexec_b32 s45, s12
	s_cbranch_execnz .LBB128_1075
; %bb.175:                              ;   in Loop: Header=BB128_3 Depth=1
	s_or_b32 exec_lo, exec_lo, s45
	s_and_saveexec_b32 s45, s13
	s_cbranch_execnz .LBB128_1076
.LBB128_176:                            ;   in Loop: Header=BB128_3 Depth=1
	s_or_b32 exec_lo, exec_lo, s45
	s_and_saveexec_b32 s45, s1
	s_cbranch_execz .LBB128_178
.LBB128_177:                            ;   in Loop: Header=BB128_3 Depth=1
	ds_load_b64 v[46:47], v72 offset:5728
	ds_load_b64 v[48:49], v5 offset:4184
	s_wait_dscnt 0x0
	v_fmac_f64_e32 v[0:1], v[46:47], v[48:49]
.LBB128_178:                            ;   in Loop: Header=BB128_3 Depth=1
	s_or_b32 exec_lo, exec_lo, s45
	s_delay_alu instid0(VALU_DEP_1)
	v_xor_b32_e32 v1, 0x80000000, v1
.LBB128_179:                            ;   in Loop: Header=BB128_3 Depth=1
	s_or_b32 exec_lo, exec_lo, s44
	s_and_saveexec_b32 s44, s92
; %bb.180:                              ;   in Loop: Header=BB128_3 Depth=1
	ds_store_b64 v56, v[0:1]
; %bb.181:                              ;   in Loop: Header=BB128_3 Depth=1
	s_or_b32 exec_lo, exec_lo, s44
	s_wait_dscnt 0x0
	s_barrier_signal -1
	s_barrier_wait -1
	s_and_saveexec_b32 s44, s93
	s_cbranch_execz .LBB128_183
; %bb.182:                              ;   in Loop: Header=BB128_3 Depth=1
	ds_load_b64 v[46:47], v54 offset:6240
	ds_load_b64 v[48:49], v56
	s_wait_dscnt 0x0
	v_fmac_f64_e32 v[0:1], v[46:47], v[48:49]
.LBB128_183:                            ;   in Loop: Header=BB128_3 Depth=1
	s_or_b32 exec_lo, exec_lo, s44
	s_barrier_signal -1
	s_barrier_wait -1
	s_and_saveexec_b32 s44, s94
; %bb.184:                              ;   in Loop: Header=BB128_3 Depth=1
	ds_store_b64 v56, v[0:1]
; %bb.185:                              ;   in Loop: Header=BB128_3 Depth=1
	s_or_b32 exec_lo, exec_lo, s44
	s_wait_dscnt 0x0
	s_barrier_signal -1
	s_barrier_wait -1
	s_and_saveexec_b32 s44, s95
	s_cbranch_execz .LBB128_187
; %bb.186:                              ;   in Loop: Header=BB128_3 Depth=1
	ds_load_b64 v[46:47], v54 offset:6752
	ds_load_b64 v[48:49], v56
	s_wait_dscnt 0x0
	v_fmac_f64_e32 v[0:1], v[46:47], v[48:49]
.LBB128_187:                            ;   in Loop: Header=BB128_3 Depth=1
	s_or_b32 exec_lo, exec_lo, s44
	s_barrier_signal -1
	s_barrier_wait -1
	;; [unrolled: 19-line block ×3, first 2 shown]
	s_and_saveexec_b32 s44, s97
; %bb.192:                              ;   in Loop: Header=BB128_3 Depth=1
	ds_store_b64 v56, v[0:1]
; %bb.193:                              ;   in Loop: Header=BB128_3 Depth=1
	s_or_b32 exec_lo, exec_lo, s44
	s_wait_dscnt 0x0
	s_barrier_signal -1
	s_barrier_wait -1
	s_barrier_signal -1
	s_barrier_wait -1
	s_and_saveexec_b32 s44, s3
; %bb.194:                              ;   in Loop: Header=BB128_3 Depth=1
	v_xor_b32_e32 v1, 0x80000000, v1
	ds_store_b64 v57, v[0:1] offset:4192
; %bb.195:                              ;   in Loop: Header=BB128_3 Depth=1
	s_or_b32 exec_lo, exec_lo, s44
	s_wait_dscnt 0x0
	s_barrier_signal -1
	s_barrier_wait -1
	s_barrier_signal -1
	s_barrier_wait -1
	s_and_saveexec_b32 s44, s98
	s_cbranch_execz .LBB128_197
; %bb.196:                              ;   in Loop: Header=BB128_3 Depth=1
	ds_load_b64 v[0:1], v75 offset:4192
	s_wait_dscnt 0x0
	ds_store_b64 v11, v[0:1] offset:6208
	ds_load_b64 v[0:1], v75 offset:4200
	s_wait_dscnt 0x0
	ds_store_b64 v11, v[0:1] offset:6720
	ds_load_b64 v[0:1], v75 offset:4208
	s_wait_dscnt 0x0
	ds_store_b64 v11, v[0:1] offset:7232
	ds_load_b64 v[0:1], v75 offset:4216
	s_wait_dscnt 0x0
	ds_store_b64 v11, v[0:1] offset:7744
.LBB128_197:                            ;   in Loop: Header=BB128_3 Depth=1
	s_or_b32 exec_lo, exec_lo, s44
	s_wait_dscnt 0x0
	s_barrier_signal -1
	s_barrier_wait -1
	s_and_saveexec_b32 s44, s10
	s_cbranch_execz .LBB128_199
; %bb.198:                              ;   in Loop: Header=BB128_3 Depth=1
	ds_load_b64 v[0:1], v5 offset:6248
	v_mov_b32_e32 v2, v5
	ds_store_b64 v5, v[30:31] offset:6240
	s_wait_dscnt 0x1
	ds_store_b128 v5, v[0:3] offset:6752
.LBB128_199:                            ;   in Loop: Header=BB128_3 Depth=1
	s_or_b32 exec_lo, exec_lo, s44
	v_mov_b64_e32 v[0:1], 0
	s_wait_dscnt 0x0
	s_barrier_signal -1
	s_barrier_wait -1
	s_and_saveexec_b32 s44, s1
	s_cbranch_execz .LBB128_203
; %bb.200:                              ;   in Loop: Header=BB128_3 Depth=1
	ds_load_b64 v[0:1], v50 offset:6256
	ds_load_b64 v[46:47], v51 offset:6240
	s_wait_dscnt 0x0
	v_fma_f64 v[0:1], v[0:1], v[46:47], 0
	s_and_saveexec_b32 s45, s11
	s_cbranch_execz .LBB128_202
; %bb.201:                              ;   in Loop: Header=BB128_3 Depth=1
	ds_load_b64 v[46:47], v11 offset:6768
	ds_load_b64 v[48:49], v5 offset:6248
	s_wait_dscnt 0x0
	v_fmac_f64_e32 v[0:1], v[46:47], v[48:49]
.LBB128_202:                            ;   in Loop: Header=BB128_3 Depth=1
	s_or_b32 exec_lo, exec_lo, s45
	s_delay_alu instid0(VALU_DEP_1)
	v_xor_b32_e32 v1, 0x80000000, v1
.LBB128_203:                            ;   in Loop: Header=BB128_3 Depth=1
	s_or_b32 exec_lo, exec_lo, s44
	s_and_saveexec_b32 s44, s89
; %bb.204:                              ;   in Loop: Header=BB128_3 Depth=1
	ds_store_b64 v7, v[0:1]
; %bb.205:                              ;   in Loop: Header=BB128_3 Depth=1
	s_or_b32 exec_lo, exec_lo, s44
	s_wait_dscnt 0x0
	s_barrier_signal -1
	s_barrier_wait -1
	s_and_saveexec_b32 s44, s90
	s_cbranch_execz .LBB128_207
; %bb.206:                              ;   in Loop: Header=BB128_3 Depth=1
	ds_load_b64 v[46:47], v5 offset:7288
	ds_load_b64 v[48:49], v7
	s_wait_dscnt 0x0
	v_fmac_f64_e32 v[0:1], v[46:47], v[48:49]
.LBB128_207:                            ;   in Loop: Header=BB128_3 Depth=1
	s_or_b32 exec_lo, exec_lo, s44
	s_barrier_signal -1
	s_barrier_wait -1
	s_and_saveexec_b32 s44, s90
; %bb.208:                              ;   in Loop: Header=BB128_3 Depth=1
	ds_store_b64 v7, v[0:1]
; %bb.209:                              ;   in Loop: Header=BB128_3 Depth=1
	s_or_b32 exec_lo, exec_lo, s44
	s_wait_dscnt 0x0
	s_barrier_signal -1
	s_barrier_wait -1
	s_barrier_signal -1
	s_barrier_wait -1
	s_and_saveexec_b32 s44, s1
; %bb.210:                              ;   in Loop: Header=BB128_3 Depth=1
	v_xor_b32_e32 v1, 0x80000000, v1
	ds_store_b64 v50, v[0:1] offset:6256
; %bb.211:                              ;   in Loop: Header=BB128_3 Depth=1
	s_or_b32 exec_lo, exec_lo, s44
	s_wait_dscnt 0x0
	s_barrier_signal -1
	s_barrier_wait -1
	s_barrier_signal -1
	s_barrier_wait -1
	s_and_saveexec_b32 s44, s91
	s_cbranch_execz .LBB128_213
; %bb.212:                              ;   in Loop: Header=BB128_3 Depth=1
	ds_load_b64 v[0:1], v81 offset:6256
	s_wait_dscnt 0x0
	ds_store_b64 v11, v[0:1] offset:7264
	ds_load_b64 v[0:1], v81 offset:6264
	s_wait_dscnt 0x0
	ds_store_b64 v11, v[0:1] offset:7776
.LBB128_213:                            ;   in Loop: Header=BB128_3 Depth=1
	s_or_b32 exec_lo, exec_lo, s44
	s_wait_dscnt 0x0
	s_barrier_signal -1
	s_barrier_wait -1
	s_and_saveexec_b32 s44, s10
	s_cbranch_execz .LBB128_215
; %bb.214:                              ;   in Loop: Header=BB128_3 Depth=1
	ds_load_b64 v[0:1], v5 offset:7288
	v_mov_b32_e32 v2, v5
	ds_store_b64 v5, v[30:31] offset:7280
	s_wait_dscnt 0x1
	ds_store_b128 v5, v[0:3] offset:7792
.LBB128_215:                            ;   in Loop: Header=BB128_3 Depth=1
	s_or_b32 exec_lo, exec_lo, s44
	v_mov_b64_e32 v[0:1], 0
	s_wait_dscnt 0x0
	s_barrier_signal -1
	s_barrier_wait -1
	s_and_saveexec_b32 s82, s5
	s_cbranch_execz .LBB128_243
; %bb.216:                              ;   in Loop: Header=BB128_3 Depth=1
	ds_load_b64 v[0:1], v77 offset:128
	ds_load_b64 v[46:47], v73
	s_wait_dscnt 0x0
	v_fma_f64 v[0:1], v[0:1], v[46:47], 0
	s_mov_b32 s44, exec_lo
	v_readlane_b32 s45, v103, 21
	s_and_b32 s45, s44, s45
	s_delay_alu instid0(SALU_CYCLE_1)
	s_mov_b32 exec_lo, s45
	s_cbranch_execz .LBB128_218
; %bb.217:                              ;   in Loop: Header=BB128_3 Depth=1
	ds_load_b64 v[46:47], v78 offset:640
	ds_load_b64 v[48:49], v73 offset:8
	s_wait_dscnt 0x0
	v_fmac_f64_e32 v[0:1], v[46:47], v[48:49]
.LBB128_218:                            ;   in Loop: Header=BB128_3 Depth=1
	s_or_b32 exec_lo, exec_lo, s44
	s_delay_alu instid0(SALU_CYCLE_1) | instskip(SKIP_2) | instid1(SALU_CYCLE_1)
	s_mov_b32 s44, exec_lo
	v_readlane_b32 s45, v103, 22
	s_and_b32 s45, s44, s45
	s_mov_b32 exec_lo, s45
	s_cbranch_execz .LBB128_220
; %bb.219:                              ;   in Loop: Header=BB128_3 Depth=1
	ds_load_b64 v[46:47], v78 offset:1152
	ds_load_b64 v[48:49], v73 offset:16
	s_wait_dscnt 0x0
	v_fmac_f64_e32 v[0:1], v[46:47], v[48:49]
.LBB128_220:                            ;   in Loop: Header=BB128_3 Depth=1
	s_or_b32 exec_lo, exec_lo, s44
	s_delay_alu instid0(SALU_CYCLE_1) | instskip(SKIP_2) | instid1(SALU_CYCLE_1)
	s_mov_b32 s44, exec_lo
	v_readlane_b32 s45, v103, 23
	s_and_b32 s45, s44, s45
	;; [unrolled: 13-line block ×10, first 2 shown]
	s_mov_b32 exec_lo, s45
	s_cbranch_execnz .LBB128_1077
; %bb.237:                              ;   in Loop: Header=BB128_3 Depth=1
	s_or_b32 exec_lo, exec_lo, s44
	s_and_saveexec_b32 s44, s4
	s_cbranch_execnz .LBB128_1078
.LBB128_238:                            ;   in Loop: Header=BB128_3 Depth=1
	s_or_b32 exec_lo, exec_lo, s44
	s_and_saveexec_b32 s44, s15
	s_cbranch_execnz .LBB128_1079
.LBB128_239:                            ;   in Loop: Header=BB128_3 Depth=1
	s_or_b32 exec_lo, exec_lo, s44
	s_and_saveexec_b32 s44, s17
	s_cbranch_execnz .LBB128_1080
.LBB128_240:                            ;   in Loop: Header=BB128_3 Depth=1
	s_or_b32 exec_lo, exec_lo, s44
	s_and_saveexec_b32 s44, s3
	s_cbranch_execz .LBB128_242
.LBB128_241:                            ;   in Loop: Header=BB128_3 Depth=1
	ds_load_b64 v[46:47], v52 offset:7808
	ds_load_b64 v[48:49], v5 offset:120
	s_wait_dscnt 0x0
	v_fmac_f64_e32 v[0:1], v[46:47], v[48:49]
.LBB128_242:                            ;   in Loop: Header=BB128_3 Depth=1
	s_or_b32 exec_lo, exec_lo, s44
	s_delay_alu instid0(VALU_DEP_1)
	v_xor_b32_e32 v1, 0x80000000, v1
.LBB128_243:                            ;   in Loop: Header=BB128_3 Depth=1
	s_or_b32 exec_lo, exec_lo, s82
	s_delay_alu instid0(SALU_CYCLE_1) | instskip(SKIP_2) | instid1(SALU_CYCLE_1)
	s_mov_b32 s44, exec_lo
	v_readlane_b32 s45, v103, 2
	s_and_b32 s45, s44, s45
	s_mov_b32 exec_lo, s45
; %bb.244:                              ;   in Loop: Header=BB128_3 Depth=1
	ds_store_b64 v76, v[0:1]
; %bb.245:                              ;   in Loop: Header=BB128_3 Depth=1
	s_or_b32 exec_lo, exec_lo, s44
	s_wait_dscnt 0x0
	s_barrier_signal -1
	s_barrier_wait -1
	s_mov_b32 s44, exec_lo
	v_readlane_b32 s45, v103, 3
	s_and_b32 s45, s44, s45
	s_delay_alu instid0(SALU_CYCLE_1)
	s_mov_b32 exec_lo, s45
	s_cbranch_execz .LBB128_247
; %bb.246:                              ;   in Loop: Header=BB128_3 Depth=1
	ds_load_b64 v[46:47], v74 offset:8320
	ds_load_b64 v[48:49], v76
	s_wait_dscnt 0x0
	v_fmac_f64_e32 v[0:1], v[46:47], v[48:49]
.LBB128_247:                            ;   in Loop: Header=BB128_3 Depth=1
	s_or_b32 exec_lo, exec_lo, s44
	s_barrier_signal -1
	s_barrier_wait -1
	s_mov_b32 s44, exec_lo
	v_readlane_b32 s45, v103, 4
	s_and_b32 s45, s44, s45
	s_delay_alu instid0(SALU_CYCLE_1)
	s_mov_b32 exec_lo, s45
; %bb.248:                              ;   in Loop: Header=BB128_3 Depth=1
	ds_store_b64 v76, v[0:1]
; %bb.249:                              ;   in Loop: Header=BB128_3 Depth=1
	s_or_b32 exec_lo, exec_lo, s44
	s_wait_dscnt 0x0
	s_barrier_signal -1
	s_barrier_wait -1
	s_mov_b32 s44, exec_lo
	v_readlane_b32 s45, v103, 5
	s_and_b32 s45, s44, s45
	s_delay_alu instid0(SALU_CYCLE_1)
	s_mov_b32 exec_lo, s45
	s_cbranch_execz .LBB128_251
; %bb.250:                              ;   in Loop: Header=BB128_3 Depth=1
	ds_load_b64 v[46:47], v74 offset:8832
	ds_load_b64 v[48:49], v76
	s_wait_dscnt 0x0
	v_fmac_f64_e32 v[0:1], v[46:47], v[48:49]
.LBB128_251:                            ;   in Loop: Header=BB128_3 Depth=1
	s_or_b32 exec_lo, exec_lo, s44
	s_barrier_signal -1
	s_barrier_wait -1
	s_mov_b32 s44, exec_lo
	v_readlane_b32 s45, v103, 6
	s_and_b32 s45, s44, s45
	s_delay_alu instid0(SALU_CYCLE_1)
	;; [unrolled: 27-line block ×4, first 2 shown]
	s_mov_b32 exec_lo, s45
; %bb.260:                              ;   in Loop: Header=BB128_3 Depth=1
	ds_store_b64 v76, v[0:1]
; %bb.261:                              ;   in Loop: Header=BB128_3 Depth=1
	s_or_b32 exec_lo, exec_lo, s44
	s_wait_dscnt 0x0
	s_barrier_signal -1
	s_barrier_wait -1
	s_and_saveexec_b32 s44, s49
	s_cbranch_execz .LBB128_263
; %bb.262:                              ;   in Loop: Header=BB128_3 Depth=1
	ds_load_b64 v[46:47], v74 offset:10368
	ds_load_b64 v[48:49], v76
	s_wait_dscnt 0x0
	v_fmac_f64_e32 v[0:1], v[46:47], v[48:49]
.LBB128_263:                            ;   in Loop: Header=BB128_3 Depth=1
	s_or_b32 exec_lo, exec_lo, s44
	s_barrier_signal -1
	s_barrier_wait -1
	s_and_saveexec_b32 s44, s50
; %bb.264:                              ;   in Loop: Header=BB128_3 Depth=1
	ds_store_b64 v76, v[0:1]
; %bb.265:                              ;   in Loop: Header=BB128_3 Depth=1
	s_or_b32 exec_lo, exec_lo, s44
	s_wait_dscnt 0x0
	s_barrier_signal -1
	s_barrier_wait -1
	s_and_saveexec_b32 s44, s51
	s_cbranch_execz .LBB128_267
; %bb.266:                              ;   in Loop: Header=BB128_3 Depth=1
	ds_load_b64 v[46:47], v74 offset:10880
	ds_load_b64 v[48:49], v76
	s_wait_dscnt 0x0
	v_fmac_f64_e32 v[0:1], v[46:47], v[48:49]
.LBB128_267:                            ;   in Loop: Header=BB128_3 Depth=1
	s_or_b32 exec_lo, exec_lo, s44
	s_barrier_signal -1
	s_barrier_wait -1
	s_and_saveexec_b32 s44, s52
	;; [unrolled: 19-line block ×11, first 2 shown]
; %bb.304:                              ;   in Loop: Header=BB128_3 Depth=1
	ds_store_b64 v76, v[0:1]
; %bb.305:                              ;   in Loop: Header=BB128_3 Depth=1
	s_or_b32 exec_lo, exec_lo, s44
	s_wait_dscnt 0x0
	s_barrier_signal -1
	s_barrier_wait -1
	s_barrier_signal -1
	s_barrier_wait -1
	s_and_saveexec_b32 s44, s5
; %bb.306:                              ;   in Loop: Header=BB128_3 Depth=1
	v_xor_b32_e32 v1, 0x80000000, v1
	ds_store_b64 v77, v[0:1] offset:128
; %bb.307:                              ;   in Loop: Header=BB128_3 Depth=1
	s_or_b32 exec_lo, exec_lo, s44
	s_wait_dscnt 0x0
	s_barrier_signal -1
	s_barrier_wait -1
	s_barrier_signal -1
	s_barrier_wait -1
	s_and_saveexec_b32 s44, s87
	s_cbranch_execz .LBB128_309
; %bb.308:                              ;   in Loop: Header=BB128_3 Depth=1
	ds_load_b64 v[0:1], v55 offset:128
	s_wait_dscnt 0x0
	ds_store_b64 v59, v[0:1] offset:8192
	ds_load_b64 v[0:1], v55 offset:136
	s_wait_dscnt 0x0
	ds_store_b64 v59, v[0:1] offset:8704
	;; [unrolled: 3-line block ×16, first 2 shown]
.LBB128_309:                            ;   in Loop: Header=BB128_3 Depth=1
	s_or_b32 exec_lo, exec_lo, s44
	s_wait_dscnt 0x0
	s_barrier_signal -1
	s_barrier_wait -1
	s_and_saveexec_b32 s44, s10
	s_cbranch_execz .LBB128_311
; %bb.310:                              ;   in Loop: Header=BB128_3 Depth=1
	ds_load_b64 v[0:1], v5 offset:8328
	v_mov_b32_e32 v2, v5
	ds_store_b64 v5, v[30:31] offset:8320
	s_wait_dscnt 0x1
	ds_store_b128 v5, v[0:3] offset:8832
.LBB128_311:                            ;   in Loop: Header=BB128_3 Depth=1
	s_or_b32 exec_lo, exec_lo, s44
	v_mov_b64_e32 v[0:1], 0
	s_wait_dscnt 0x0
	s_barrier_signal -1
	s_barrier_wait -1
	s_and_saveexec_b32 s44, s1
	s_cbranch_execz .LBB128_315
; %bb.312:                              ;   in Loop: Header=BB128_3 Depth=1
	ds_load_b64 v[0:1], v50 offset:8336
	ds_load_b64 v[46:47], v51 offset:8320
	s_wait_dscnt 0x0
	v_fma_f64 v[0:1], v[0:1], v[46:47], 0
	s_and_saveexec_b32 s45, s11
	s_cbranch_execz .LBB128_314
; %bb.313:                              ;   in Loop: Header=BB128_3 Depth=1
	ds_load_b64 v[46:47], v52 offset:8848
	ds_load_b64 v[48:49], v5 offset:8328
	s_wait_dscnt 0x0
	v_fmac_f64_e32 v[0:1], v[46:47], v[48:49]
.LBB128_314:                            ;   in Loop: Header=BB128_3 Depth=1
	s_or_b32 exec_lo, exec_lo, s45
	s_delay_alu instid0(VALU_DEP_1)
	v_xor_b32_e32 v1, 0x80000000, v1
.LBB128_315:                            ;   in Loop: Header=BB128_3 Depth=1
	s_or_b32 exec_lo, exec_lo, s44
	s_and_saveexec_b32 s44, s89
; %bb.316:                              ;   in Loop: Header=BB128_3 Depth=1
	ds_store_b64 v7, v[0:1]
; %bb.317:                              ;   in Loop: Header=BB128_3 Depth=1
	s_or_b32 exec_lo, exec_lo, s44
	s_wait_dscnt 0x0
	s_barrier_signal -1
	s_barrier_wait -1
	s_and_saveexec_b32 s44, s90
	s_cbranch_execz .LBB128_319
; %bb.318:                              ;   in Loop: Header=BB128_3 Depth=1
	ds_load_b64 v[46:47], v5 offset:9368
	ds_load_b64 v[48:49], v7
	s_wait_dscnt 0x0
	v_fmac_f64_e32 v[0:1], v[46:47], v[48:49]
.LBB128_319:                            ;   in Loop: Header=BB128_3 Depth=1
	s_or_b32 exec_lo, exec_lo, s44
	s_barrier_signal -1
	s_barrier_wait -1
	s_and_saveexec_b32 s44, s90
; %bb.320:                              ;   in Loop: Header=BB128_3 Depth=1
	ds_store_b64 v7, v[0:1]
; %bb.321:                              ;   in Loop: Header=BB128_3 Depth=1
	s_or_b32 exec_lo, exec_lo, s44
	s_wait_dscnt 0x0
	s_barrier_signal -1
	s_barrier_wait -1
	s_barrier_signal -1
	s_barrier_wait -1
	s_and_saveexec_b32 s44, s1
; %bb.322:                              ;   in Loop: Header=BB128_3 Depth=1
	v_xor_b32_e32 v1, 0x80000000, v1
	ds_store_b64 v50, v[0:1] offset:8336
; %bb.323:                              ;   in Loop: Header=BB128_3 Depth=1
	s_or_b32 exec_lo, exec_lo, s44
	s_wait_dscnt 0x0
	s_barrier_signal -1
	s_barrier_wait -1
	s_barrier_signal -1
	s_barrier_wait -1
	s_and_saveexec_b32 s44, s91
	s_cbranch_execz .LBB128_325
; %bb.324:                              ;   in Loop: Header=BB128_3 Depth=1
	ds_load_b64 v[0:1], v55 offset:8336
	s_wait_dscnt 0x0
	ds_store_b64 v52, v[0:1] offset:9344
	ds_load_b64 v[0:1], v55 offset:8344
	s_wait_dscnt 0x0
	ds_store_b64 v52, v[0:1] offset:9856
.LBB128_325:                            ;   in Loop: Header=BB128_3 Depth=1
	s_or_b32 exec_lo, exec_lo, s44
	s_wait_dscnt 0x0
	s_barrier_signal -1
	s_barrier_wait -1
	s_and_saveexec_b32 s44, s10
	s_cbranch_execz .LBB128_327
; %bb.326:                              ;   in Loop: Header=BB128_3 Depth=1
	ds_load_b64 v[0:1], v5 offset:9368
	v_mov_b32_e32 v2, v5
	ds_store_b64 v5, v[30:31] offset:9360
	s_wait_dscnt 0x1
	ds_store_b128 v5, v[0:3] offset:9872
.LBB128_327:                            ;   in Loop: Header=BB128_3 Depth=1
	s_or_b32 exec_lo, exec_lo, s44
	v_mov_b64_e32 v[0:1], 0
	s_wait_dscnt 0x0
	s_barrier_signal -1
	s_barrier_wait -1
	s_and_saveexec_b32 s44, s3
	s_cbranch_execz .LBB128_333
; %bb.328:                              ;   in Loop: Header=BB128_3 Depth=1
	ds_load_b64 v[0:1], v57 offset:8352
	ds_load_b64 v[46:47], v53 offset:8320
	s_wait_dscnt 0x0
	v_fma_f64 v[0:1], v[0:1], v[46:47], 0
	s_and_saveexec_b32 s45, s12
	s_cbranch_execnz .LBB128_1081
; %bb.329:                              ;   in Loop: Header=BB128_3 Depth=1
	s_or_b32 exec_lo, exec_lo, s45
	s_and_saveexec_b32 s45, s13
	s_cbranch_execnz .LBB128_1082
.LBB128_330:                            ;   in Loop: Header=BB128_3 Depth=1
	s_or_b32 exec_lo, exec_lo, s45
	s_and_saveexec_b32 s45, s1
	s_cbranch_execz .LBB128_332
.LBB128_331:                            ;   in Loop: Header=BB128_3 Depth=1
	ds_load_b64 v[46:47], v59 offset:9888
	ds_load_b64 v[48:49], v5 offset:8344
	s_wait_dscnt 0x0
	v_fmac_f64_e32 v[0:1], v[46:47], v[48:49]
.LBB128_332:                            ;   in Loop: Header=BB128_3 Depth=1
	s_or_b32 exec_lo, exec_lo, s45
	s_delay_alu instid0(VALU_DEP_1)
	v_xor_b32_e32 v1, 0x80000000, v1
.LBB128_333:                            ;   in Loop: Header=BB128_3 Depth=1
	s_or_b32 exec_lo, exec_lo, s44
	s_and_saveexec_b32 s44, s92
; %bb.334:                              ;   in Loop: Header=BB128_3 Depth=1
	ds_store_b64 v56, v[0:1]
; %bb.335:                              ;   in Loop: Header=BB128_3 Depth=1
	s_or_b32 exec_lo, exec_lo, s44
	s_wait_dscnt 0x0
	s_barrier_signal -1
	s_barrier_wait -1
	s_and_saveexec_b32 s44, s93
	s_cbranch_execz .LBB128_337
; %bb.336:                              ;   in Loop: Header=BB128_3 Depth=1
	ds_load_b64 v[46:47], v54 offset:10400
	ds_load_b64 v[48:49], v56
	s_wait_dscnt 0x0
	v_fmac_f64_e32 v[0:1], v[46:47], v[48:49]
.LBB128_337:                            ;   in Loop: Header=BB128_3 Depth=1
	s_or_b32 exec_lo, exec_lo, s44
	s_barrier_signal -1
	s_barrier_wait -1
	s_and_saveexec_b32 s44, s94
; %bb.338:                              ;   in Loop: Header=BB128_3 Depth=1
	ds_store_b64 v56, v[0:1]
; %bb.339:                              ;   in Loop: Header=BB128_3 Depth=1
	s_or_b32 exec_lo, exec_lo, s44
	s_wait_dscnt 0x0
	s_barrier_signal -1
	s_barrier_wait -1
	s_and_saveexec_b32 s44, s95
	s_cbranch_execz .LBB128_341
; %bb.340:                              ;   in Loop: Header=BB128_3 Depth=1
	ds_load_b64 v[46:47], v54 offset:10912
	ds_load_b64 v[48:49], v56
	s_wait_dscnt 0x0
	v_fmac_f64_e32 v[0:1], v[46:47], v[48:49]
.LBB128_341:                            ;   in Loop: Header=BB128_3 Depth=1
	s_or_b32 exec_lo, exec_lo, s44
	s_barrier_signal -1
	s_barrier_wait -1
	;; [unrolled: 19-line block ×3, first 2 shown]
	s_and_saveexec_b32 s44, s97
; %bb.346:                              ;   in Loop: Header=BB128_3 Depth=1
	ds_store_b64 v56, v[0:1]
; %bb.347:                              ;   in Loop: Header=BB128_3 Depth=1
	s_or_b32 exec_lo, exec_lo, s44
	s_wait_dscnt 0x0
	s_barrier_signal -1
	s_barrier_wait -1
	s_barrier_signal -1
	s_barrier_wait -1
	s_and_saveexec_b32 s44, s3
; %bb.348:                              ;   in Loop: Header=BB128_3 Depth=1
	v_xor_b32_e32 v1, 0x80000000, v1
	ds_store_b64 v57, v[0:1] offset:8352
; %bb.349:                              ;   in Loop: Header=BB128_3 Depth=1
	s_or_b32 exec_lo, exec_lo, s44
	s_wait_dscnt 0x0
	s_barrier_signal -1
	s_barrier_wait -1
	s_barrier_signal -1
	s_barrier_wait -1
	s_and_saveexec_b32 s44, s98
	s_cbranch_execz .LBB128_351
; %bb.350:                              ;   in Loop: Header=BB128_3 Depth=1
	ds_load_b64 v[0:1], v60 offset:8352
	s_wait_dscnt 0x0
	ds_store_b64 v62, v[0:1] offset:10368
	ds_load_b64 v[0:1], v60 offset:8360
	s_wait_dscnt 0x0
	ds_store_b64 v62, v[0:1] offset:10880
	;; [unrolled: 3-line block ×4, first 2 shown]
.LBB128_351:                            ;   in Loop: Header=BB128_3 Depth=1
	s_or_b32 exec_lo, exec_lo, s44
	s_wait_dscnt 0x0
	s_barrier_signal -1
	s_barrier_wait -1
	s_and_saveexec_b32 s44, s10
	s_cbranch_execz .LBB128_353
; %bb.352:                              ;   in Loop: Header=BB128_3 Depth=1
	ds_load_b64 v[0:1], v5 offset:10408
	v_mov_b32_e32 v2, v5
	ds_store_b64 v5, v[30:31] offset:10400
	s_wait_dscnt 0x1
	ds_store_b128 v5, v[0:3] offset:10912
.LBB128_353:                            ;   in Loop: Header=BB128_3 Depth=1
	s_or_b32 exec_lo, exec_lo, s44
	v_mov_b64_e32 v[0:1], 0
	s_wait_dscnt 0x0
	s_barrier_signal -1
	s_barrier_wait -1
	s_and_saveexec_b32 s44, s1
	s_cbranch_execz .LBB128_357
; %bb.354:                              ;   in Loop: Header=BB128_3 Depth=1
	ds_load_b64 v[0:1], v50 offset:10416
	ds_load_b64 v[46:47], v51 offset:10400
	s_wait_dscnt 0x0
	v_fma_f64 v[0:1], v[0:1], v[46:47], 0
	s_and_saveexec_b32 s45, s11
	s_cbranch_execz .LBB128_356
; %bb.355:                              ;   in Loop: Header=BB128_3 Depth=1
	ds_load_b64 v[46:47], v62 offset:10928
	ds_load_b64 v[48:49], v5 offset:10408
	s_wait_dscnt 0x0
	v_fmac_f64_e32 v[0:1], v[46:47], v[48:49]
.LBB128_356:                            ;   in Loop: Header=BB128_3 Depth=1
	s_or_b32 exec_lo, exec_lo, s45
	s_delay_alu instid0(VALU_DEP_1)
	v_xor_b32_e32 v1, 0x80000000, v1
.LBB128_357:                            ;   in Loop: Header=BB128_3 Depth=1
	s_or_b32 exec_lo, exec_lo, s44
	s_and_saveexec_b32 s44, s89
; %bb.358:                              ;   in Loop: Header=BB128_3 Depth=1
	ds_store_b64 v7, v[0:1]
; %bb.359:                              ;   in Loop: Header=BB128_3 Depth=1
	s_or_b32 exec_lo, exec_lo, s44
	s_wait_dscnt 0x0
	s_barrier_signal -1
	s_barrier_wait -1
	s_and_saveexec_b32 s44, s90
	s_cbranch_execz .LBB128_361
; %bb.360:                              ;   in Loop: Header=BB128_3 Depth=1
	ds_load_b64 v[46:47], v5 offset:11448
	ds_load_b64 v[48:49], v7
	s_wait_dscnt 0x0
	v_fmac_f64_e32 v[0:1], v[46:47], v[48:49]
.LBB128_361:                            ;   in Loop: Header=BB128_3 Depth=1
	s_or_b32 exec_lo, exec_lo, s44
	s_barrier_signal -1
	s_barrier_wait -1
	s_and_saveexec_b32 s44, s90
; %bb.362:                              ;   in Loop: Header=BB128_3 Depth=1
	ds_store_b64 v7, v[0:1]
; %bb.363:                              ;   in Loop: Header=BB128_3 Depth=1
	s_or_b32 exec_lo, exec_lo, s44
	s_wait_dscnt 0x0
	s_barrier_signal -1
	s_barrier_wait -1
	s_barrier_signal -1
	s_barrier_wait -1
	s_and_saveexec_b32 s44, s1
; %bb.364:                              ;   in Loop: Header=BB128_3 Depth=1
	v_xor_b32_e32 v1, 0x80000000, v1
	ds_store_b64 v50, v[0:1] offset:10416
; %bb.365:                              ;   in Loop: Header=BB128_3 Depth=1
	s_or_b32 exec_lo, exec_lo, s44
	s_wait_dscnt 0x0
	s_barrier_signal -1
	s_barrier_wait -1
	s_barrier_signal -1
	s_barrier_wait -1
	s_and_saveexec_b32 s44, s91
	s_cbranch_execz .LBB128_367
; %bb.366:                              ;   in Loop: Header=BB128_3 Depth=1
	ds_load_b64 v[0:1], v64 offset:10416
	s_wait_dscnt 0x0
	ds_store_b64 v62, v[0:1] offset:11424
	ds_load_b64 v[0:1], v64 offset:10424
	s_wait_dscnt 0x0
	ds_store_b64 v62, v[0:1] offset:11936
.LBB128_367:                            ;   in Loop: Header=BB128_3 Depth=1
	s_or_b32 exec_lo, exec_lo, s44
	s_wait_dscnt 0x0
	s_barrier_signal -1
	s_barrier_wait -1
	s_and_saveexec_b32 s44, s10
	s_cbranch_execz .LBB128_369
; %bb.368:                              ;   in Loop: Header=BB128_3 Depth=1
	ds_load_b64 v[0:1], v5 offset:11448
	v_mov_b32_e32 v2, v5
	ds_store_b64 v5, v[30:31] offset:11440
	s_wait_dscnt 0x1
	ds_store_b128 v5, v[0:3] offset:11952
.LBB128_369:                            ;   in Loop: Header=BB128_3 Depth=1
	s_or_b32 exec_lo, exec_lo, s44
	v_mov_b64_e32 v[0:1], 0
	s_wait_dscnt 0x0
	s_barrier_signal -1
	s_barrier_wait -1
	s_and_saveexec_b32 s44, s4
	s_cbranch_execz .LBB128_379
; %bb.370:                              ;   in Loop: Header=BB128_3 Depth=1
	ds_load_b64 v[0:1], v66 offset:8384
	ds_load_b64 v[46:47], v61 offset:8320
	s_wait_dscnt 0x0
	v_fma_f64 v[0:1], v[0:1], v[46:47], 0
	s_and_saveexec_b32 s45, s14
	s_cbranch_execnz .LBB128_1083
; %bb.371:                              ;   in Loop: Header=BB128_3 Depth=1
	s_or_b32 exec_lo, exec_lo, s45
	s_and_saveexec_b32 s45, s15
	s_cbranch_execnz .LBB128_1084
.LBB128_372:                            ;   in Loop: Header=BB128_3 Depth=1
	s_or_b32 exec_lo, exec_lo, s45
	s_and_saveexec_b32 s45, s16
	s_cbranch_execnz .LBB128_1085
.LBB128_373:                            ;   in Loop: Header=BB128_3 Depth=1
	s_or_b32 exec_lo, exec_lo, s45
	s_and_saveexec_b32 s45, s17
	s_cbranch_execnz .LBB128_1086
.LBB128_374:                            ;   in Loop: Header=BB128_3 Depth=1
	s_or_b32 exec_lo, exec_lo, s45
	s_and_saveexec_b32 s45, s18
	s_cbranch_execnz .LBB128_1087
.LBB128_375:                            ;   in Loop: Header=BB128_3 Depth=1
	s_or_b32 exec_lo, exec_lo, s45
	s_and_saveexec_b32 s45, s3
	s_cbranch_execnz .LBB128_1088
.LBB128_376:                            ;   in Loop: Header=BB128_3 Depth=1
	s_or_b32 exec_lo, exec_lo, s45
	s_and_saveexec_b32 s45, s13
	s_cbranch_execz .LBB128_378
.LBB128_377:                            ;   in Loop: Header=BB128_3 Depth=1
	ds_load_b64 v[46:47], v68 offset:11968
	ds_load_b64 v[48:49], v5 offset:8376
	s_wait_dscnt 0x0
	v_fmac_f64_e32 v[0:1], v[46:47], v[48:49]
.LBB128_378:                            ;   in Loop: Header=BB128_3 Depth=1
	s_or_b32 exec_lo, exec_lo, s45
	s_delay_alu instid0(VALU_DEP_1)
	v_xor_b32_e32 v1, 0x80000000, v1
.LBB128_379:                            ;   in Loop: Header=BB128_3 Depth=1
	s_or_b32 exec_lo, exec_lo, s44
	s_and_saveexec_b32 s44, s99
; %bb.380:                              ;   in Loop: Header=BB128_3 Depth=1
	ds_store_b64 v65, v[0:1]
; %bb.381:                              ;   in Loop: Header=BB128_3 Depth=1
	s_or_b32 exec_lo, exec_lo, s44
	s_wait_dscnt 0x0
	s_barrier_signal -1
	s_barrier_wait -1
	s_and_saveexec_b32 s44, s100
	s_cbranch_execz .LBB128_383
; %bb.382:                              ;   in Loop: Header=BB128_3 Depth=1
	ds_load_b64 v[46:47], v63 offset:12480
	ds_load_b64 v[48:49], v65
	s_wait_dscnt 0x0
	v_fmac_f64_e32 v[0:1], v[46:47], v[48:49]
.LBB128_383:                            ;   in Loop: Header=BB128_3 Depth=1
	s_or_b32 exec_lo, exec_lo, s44
	s_barrier_signal -1
	s_barrier_wait -1
	s_and_saveexec_b32 s44, s101
; %bb.384:                              ;   in Loop: Header=BB128_3 Depth=1
	ds_store_b64 v65, v[0:1]
; %bb.385:                              ;   in Loop: Header=BB128_3 Depth=1
	s_or_b32 exec_lo, exec_lo, s44
	s_wait_dscnt 0x0
	s_barrier_signal -1
	s_barrier_wait -1
	s_and_saveexec_b32 s44, s102
	s_cbranch_execz .LBB128_387
; %bb.386:                              ;   in Loop: Header=BB128_3 Depth=1
	ds_load_b64 v[46:47], v63 offset:12992
	ds_load_b64 v[48:49], v65
	s_wait_dscnt 0x0
	v_fmac_f64_e32 v[0:1], v[46:47], v[48:49]
.LBB128_387:                            ;   in Loop: Header=BB128_3 Depth=1
	s_or_b32 exec_lo, exec_lo, s44
	s_barrier_signal -1
	s_barrier_wait -1
	;; [unrolled: 19-line block ×3, first 2 shown]
	s_and_saveexec_b32 s44, vcc_hi
; %bb.392:                              ;   in Loop: Header=BB128_3 Depth=1
	ds_store_b64 v65, v[0:1]
; %bb.393:                              ;   in Loop: Header=BB128_3 Depth=1
	s_or_b32 exec_lo, exec_lo, s44
	s_wait_dscnt 0x0
	s_barrier_signal -1
	s_barrier_wait -1
	s_and_saveexec_b32 s44, s31
	s_cbranch_execz .LBB128_395
; %bb.394:                              ;   in Loop: Header=BB128_3 Depth=1
	ds_load_b64 v[46:47], v63 offset:14016
	ds_load_b64 v[48:49], v65
	s_wait_dscnt 0x0
	v_fmac_f64_e32 v[0:1], v[46:47], v[48:49]
.LBB128_395:                            ;   in Loop: Header=BB128_3 Depth=1
	s_or_b32 exec_lo, exec_lo, s44
	s_barrier_signal -1
	s_barrier_wait -1
	s_and_saveexec_b32 s44, s33
; %bb.396:                              ;   in Loop: Header=BB128_3 Depth=1
	ds_store_b64 v65, v[0:1]
; %bb.397:                              ;   in Loop: Header=BB128_3 Depth=1
	s_or_b32 exec_lo, exec_lo, s44
	s_wait_dscnt 0x0
	s_barrier_signal -1
	s_barrier_wait -1
	s_and_saveexec_b32 s44, s34
	s_cbranch_execz .LBB128_399
; %bb.398:                              ;   in Loop: Header=BB128_3 Depth=1
	ds_load_b64 v[46:47], v63 offset:14528
	ds_load_b64 v[48:49], v65
	s_wait_dscnt 0x0
	v_fmac_f64_e32 v[0:1], v[46:47], v[48:49]
.LBB128_399:                            ;   in Loop: Header=BB128_3 Depth=1
	s_or_b32 exec_lo, exec_lo, s44
	s_barrier_signal -1
	s_barrier_wait -1
	s_and_saveexec_b32 s44, s35
	;; [unrolled: 19-line block ×4, first 2 shown]
; %bb.408:                              ;   in Loop: Header=BB128_3 Depth=1
	ds_store_b64 v65, v[0:1]
; %bb.409:                              ;   in Loop: Header=BB128_3 Depth=1
	s_or_b32 exec_lo, exec_lo, s44
	s_wait_dscnt 0x0
	s_barrier_signal -1
	s_barrier_wait -1
	s_barrier_signal -1
	s_barrier_wait -1
	s_and_saveexec_b32 s44, s4
; %bb.410:                              ;   in Loop: Header=BB128_3 Depth=1
	v_xor_b32_e32 v1, 0x80000000, v1
	ds_store_b64 v66, v[0:1] offset:8384
; %bb.411:                              ;   in Loop: Header=BB128_3 Depth=1
	s_or_b32 exec_lo, exec_lo, s44
	s_wait_dscnt 0x0
	s_barrier_signal -1
	s_barrier_wait -1
	s_barrier_signal -1
	s_barrier_wait -1
	s_and_saveexec_b32 s44, s39
	s_cbranch_execz .LBB128_413
; %bb.412:                              ;   in Loop: Header=BB128_3 Depth=1
	ds_load_b64 v[0:1], v69 offset:8384
	s_wait_dscnt 0x0
	ds_store_b64 v70, v[0:1] offset:12416
	ds_load_b64 v[0:1], v69 offset:8392
	s_wait_dscnt 0x0
	ds_store_b64 v70, v[0:1] offset:12928
	;; [unrolled: 3-line block ×8, first 2 shown]
.LBB128_413:                            ;   in Loop: Header=BB128_3 Depth=1
	s_or_b32 exec_lo, exec_lo, s44
	s_wait_dscnt 0x0
	s_barrier_signal -1
	s_barrier_wait -1
	s_and_saveexec_b32 s44, s10
	s_cbranch_execz .LBB128_415
; %bb.414:                              ;   in Loop: Header=BB128_3 Depth=1
	ds_load_b64 v[0:1], v5 offset:12488
	v_mov_b32_e32 v2, v5
	ds_store_b64 v5, v[30:31] offset:12480
	s_wait_dscnt 0x1
	ds_store_b128 v5, v[0:3] offset:12992
.LBB128_415:                            ;   in Loop: Header=BB128_3 Depth=1
	s_or_b32 exec_lo, exec_lo, s44
	v_mov_b64_e32 v[0:1], 0
	s_wait_dscnt 0x0
	s_barrier_signal -1
	s_barrier_wait -1
	s_and_saveexec_b32 s44, s1
	s_cbranch_execz .LBB128_419
; %bb.416:                              ;   in Loop: Header=BB128_3 Depth=1
	ds_load_b64 v[0:1], v50 offset:12496
	ds_load_b64 v[46:47], v51 offset:12480
	s_wait_dscnt 0x0
	v_fma_f64 v[0:1], v[0:1], v[46:47], 0
	s_and_saveexec_b32 s45, s11
	s_cbranch_execz .LBB128_418
; %bb.417:                              ;   in Loop: Header=BB128_3 Depth=1
	ds_load_b64 v[46:47], v70 offset:13008
	ds_load_b64 v[48:49], v5 offset:12488
	s_wait_dscnt 0x0
	v_fmac_f64_e32 v[0:1], v[46:47], v[48:49]
.LBB128_418:                            ;   in Loop: Header=BB128_3 Depth=1
	s_or_b32 exec_lo, exec_lo, s45
	s_delay_alu instid0(VALU_DEP_1)
	v_xor_b32_e32 v1, 0x80000000, v1
.LBB128_419:                            ;   in Loop: Header=BB128_3 Depth=1
	s_or_b32 exec_lo, exec_lo, s44
	s_and_saveexec_b32 s44, s89
; %bb.420:                              ;   in Loop: Header=BB128_3 Depth=1
	ds_store_b64 v7, v[0:1]
; %bb.421:                              ;   in Loop: Header=BB128_3 Depth=1
	s_or_b32 exec_lo, exec_lo, s44
	s_wait_dscnt 0x0
	s_barrier_signal -1
	s_barrier_wait -1
	s_and_saveexec_b32 s44, s90
	s_cbranch_execz .LBB128_423
; %bb.422:                              ;   in Loop: Header=BB128_3 Depth=1
	ds_load_b64 v[46:47], v5 offset:13528
	ds_load_b64 v[48:49], v7
	s_wait_dscnt 0x0
	v_fmac_f64_e32 v[0:1], v[46:47], v[48:49]
.LBB128_423:                            ;   in Loop: Header=BB128_3 Depth=1
	s_or_b32 exec_lo, exec_lo, s44
	s_barrier_signal -1
	s_barrier_wait -1
	s_and_saveexec_b32 s44, s90
; %bb.424:                              ;   in Loop: Header=BB128_3 Depth=1
	ds_store_b64 v7, v[0:1]
; %bb.425:                              ;   in Loop: Header=BB128_3 Depth=1
	s_or_b32 exec_lo, exec_lo, s44
	s_wait_dscnt 0x0
	s_barrier_signal -1
	s_barrier_wait -1
	s_barrier_signal -1
	s_barrier_wait -1
	s_and_saveexec_b32 s44, s1
; %bb.426:                              ;   in Loop: Header=BB128_3 Depth=1
	v_xor_b32_e32 v1, 0x80000000, v1
	ds_store_b64 v50, v[0:1] offset:12496
; %bb.427:                              ;   in Loop: Header=BB128_3 Depth=1
	s_or_b32 exec_lo, exec_lo, s44
	s_wait_dscnt 0x0
	s_barrier_signal -1
	s_barrier_wait -1
	s_barrier_signal -1
	s_barrier_wait -1
	s_and_saveexec_b32 s44, s91
	s_cbranch_execz .LBB128_429
; %bb.428:                              ;   in Loop: Header=BB128_3 Depth=1
	ds_load_b64 v[0:1], v71 offset:12496
	s_wait_dscnt 0x0
	ds_store_b64 v70, v[0:1] offset:13504
	ds_load_b64 v[0:1], v71 offset:12504
	s_wait_dscnt 0x0
	ds_store_b64 v70, v[0:1] offset:14016
.LBB128_429:                            ;   in Loop: Header=BB128_3 Depth=1
	s_or_b32 exec_lo, exec_lo, s44
	s_wait_dscnt 0x0
	s_barrier_signal -1
	s_barrier_wait -1
	s_and_saveexec_b32 s44, s10
	s_cbranch_execz .LBB128_431
; %bb.430:                              ;   in Loop: Header=BB128_3 Depth=1
	ds_load_b64 v[0:1], v5 offset:13528
	v_mov_b32_e32 v2, v5
	ds_store_b64 v5, v[30:31] offset:13520
	s_wait_dscnt 0x1
	ds_store_b128 v5, v[0:3] offset:14032
.LBB128_431:                            ;   in Loop: Header=BB128_3 Depth=1
	s_or_b32 exec_lo, exec_lo, s44
	v_mov_b64_e32 v[0:1], 0
	s_wait_dscnt 0x0
	s_barrier_signal -1
	s_barrier_wait -1
	s_and_saveexec_b32 s44, s3
	s_cbranch_execz .LBB128_437
; %bb.432:                              ;   in Loop: Header=BB128_3 Depth=1
	ds_load_b64 v[0:1], v57 offset:12512
	ds_load_b64 v[46:47], v53 offset:12480
	s_wait_dscnt 0x0
	v_fma_f64 v[0:1], v[0:1], v[46:47], 0
	s_and_saveexec_b32 s45, s12
	s_cbranch_execnz .LBB128_1089
; %bb.433:                              ;   in Loop: Header=BB128_3 Depth=1
	s_or_b32 exec_lo, exec_lo, s45
	s_and_saveexec_b32 s45, s13
	s_cbranch_execnz .LBB128_1090
.LBB128_434:                            ;   in Loop: Header=BB128_3 Depth=1
	s_or_b32 exec_lo, exec_lo, s45
	s_and_saveexec_b32 s45, s1
	s_cbranch_execz .LBB128_436
.LBB128_435:                            ;   in Loop: Header=BB128_3 Depth=1
	ds_load_b64 v[46:47], v72 offset:14048
	ds_load_b64 v[48:49], v5 offset:12504
	s_wait_dscnt 0x0
	v_fmac_f64_e32 v[0:1], v[46:47], v[48:49]
.LBB128_436:                            ;   in Loop: Header=BB128_3 Depth=1
	s_or_b32 exec_lo, exec_lo, s45
	s_delay_alu instid0(VALU_DEP_1)
	v_xor_b32_e32 v1, 0x80000000, v1
.LBB128_437:                            ;   in Loop: Header=BB128_3 Depth=1
	s_or_b32 exec_lo, exec_lo, s44
	s_and_saveexec_b32 s44, s92
; %bb.438:                              ;   in Loop: Header=BB128_3 Depth=1
	ds_store_b64 v56, v[0:1]
; %bb.439:                              ;   in Loop: Header=BB128_3 Depth=1
	s_or_b32 exec_lo, exec_lo, s44
	s_wait_dscnt 0x0
	s_barrier_signal -1
	s_barrier_wait -1
	s_and_saveexec_b32 s44, s93
	s_cbranch_execz .LBB128_441
; %bb.440:                              ;   in Loop: Header=BB128_3 Depth=1
	ds_load_b64 v[46:47], v54 offset:14560
	ds_load_b64 v[48:49], v56
	s_wait_dscnt 0x0
	v_fmac_f64_e32 v[0:1], v[46:47], v[48:49]
.LBB128_441:                            ;   in Loop: Header=BB128_3 Depth=1
	s_or_b32 exec_lo, exec_lo, s44
	s_barrier_signal -1
	s_barrier_wait -1
	s_and_saveexec_b32 s44, s94
; %bb.442:                              ;   in Loop: Header=BB128_3 Depth=1
	ds_store_b64 v56, v[0:1]
; %bb.443:                              ;   in Loop: Header=BB128_3 Depth=1
	s_or_b32 exec_lo, exec_lo, s44
	s_wait_dscnt 0x0
	s_barrier_signal -1
	s_barrier_wait -1
	s_and_saveexec_b32 s44, s95
	s_cbranch_execz .LBB128_445
; %bb.444:                              ;   in Loop: Header=BB128_3 Depth=1
	ds_load_b64 v[46:47], v54 offset:15072
	ds_load_b64 v[48:49], v56
	s_wait_dscnt 0x0
	v_fmac_f64_e32 v[0:1], v[46:47], v[48:49]
.LBB128_445:                            ;   in Loop: Header=BB128_3 Depth=1
	s_or_b32 exec_lo, exec_lo, s44
	s_barrier_signal -1
	s_barrier_wait -1
	;; [unrolled: 19-line block ×3, first 2 shown]
	s_and_saveexec_b32 s44, s97
; %bb.450:                              ;   in Loop: Header=BB128_3 Depth=1
	ds_store_b64 v56, v[0:1]
; %bb.451:                              ;   in Loop: Header=BB128_3 Depth=1
	s_or_b32 exec_lo, exec_lo, s44
	s_wait_dscnt 0x0
	s_barrier_signal -1
	s_barrier_wait -1
	s_barrier_signal -1
	s_barrier_wait -1
	s_and_saveexec_b32 s44, s3
; %bb.452:                              ;   in Loop: Header=BB128_3 Depth=1
	v_xor_b32_e32 v1, 0x80000000, v1
	ds_store_b64 v57, v[0:1] offset:12512
; %bb.453:                              ;   in Loop: Header=BB128_3 Depth=1
	s_or_b32 exec_lo, exec_lo, s44
	s_wait_dscnt 0x0
	s_barrier_signal -1
	s_barrier_wait -1
	s_barrier_signal -1
	s_barrier_wait -1
	s_and_saveexec_b32 s44, s98
	s_cbranch_execz .LBB128_455
; %bb.454:                              ;   in Loop: Header=BB128_3 Depth=1
	ds_load_b64 v[0:1], v75 offset:12512
	s_wait_dscnt 0x0
	ds_store_b64 v11, v[0:1] offset:14528
	ds_load_b64 v[0:1], v75 offset:12520
	s_wait_dscnt 0x0
	ds_store_b64 v11, v[0:1] offset:15040
	;; [unrolled: 3-line block ×4, first 2 shown]
.LBB128_455:                            ;   in Loop: Header=BB128_3 Depth=1
	s_or_b32 exec_lo, exec_lo, s44
	s_wait_dscnt 0x0
	s_barrier_signal -1
	s_barrier_wait -1
	s_and_saveexec_b32 s44, s10
	s_cbranch_execz .LBB128_457
; %bb.456:                              ;   in Loop: Header=BB128_3 Depth=1
	ds_load_b64 v[0:1], v5 offset:14568
	v_mov_b32_e32 v2, v5
	ds_store_b64 v5, v[30:31] offset:14560
	s_wait_dscnt 0x1
	ds_store_b128 v5, v[0:3] offset:15072
.LBB128_457:                            ;   in Loop: Header=BB128_3 Depth=1
	s_or_b32 exec_lo, exec_lo, s44
	v_mov_b64_e32 v[0:1], 0
	s_wait_dscnt 0x0
	s_barrier_signal -1
	s_barrier_wait -1
	s_and_saveexec_b32 s44, s1
	s_cbranch_execz .LBB128_461
; %bb.458:                              ;   in Loop: Header=BB128_3 Depth=1
	ds_load_b64 v[0:1], v50 offset:14576
	ds_load_b64 v[46:47], v51 offset:14560
	s_wait_dscnt 0x0
	v_fma_f64 v[0:1], v[0:1], v[46:47], 0
	s_and_saveexec_b32 s45, s11
	s_cbranch_execz .LBB128_460
; %bb.459:                              ;   in Loop: Header=BB128_3 Depth=1
	ds_load_b64 v[46:47], v11 offset:15088
	ds_load_b64 v[48:49], v5 offset:14568
	s_wait_dscnt 0x0
	v_fmac_f64_e32 v[0:1], v[46:47], v[48:49]
.LBB128_460:                            ;   in Loop: Header=BB128_3 Depth=1
	s_or_b32 exec_lo, exec_lo, s45
	s_delay_alu instid0(VALU_DEP_1)
	v_xor_b32_e32 v1, 0x80000000, v1
.LBB128_461:                            ;   in Loop: Header=BB128_3 Depth=1
	s_or_b32 exec_lo, exec_lo, s44
	s_and_saveexec_b32 s44, s89
; %bb.462:                              ;   in Loop: Header=BB128_3 Depth=1
	ds_store_b64 v7, v[0:1]
; %bb.463:                              ;   in Loop: Header=BB128_3 Depth=1
	s_or_b32 exec_lo, exec_lo, s44
	s_wait_dscnt 0x0
	s_barrier_signal -1
	s_barrier_wait -1
	s_and_saveexec_b32 s44, s90
	s_cbranch_execz .LBB128_465
; %bb.464:                              ;   in Loop: Header=BB128_3 Depth=1
	ds_load_b64 v[46:47], v5 offset:15608
	ds_load_b64 v[48:49], v7
	s_wait_dscnt 0x0
	v_fmac_f64_e32 v[0:1], v[46:47], v[48:49]
.LBB128_465:                            ;   in Loop: Header=BB128_3 Depth=1
	s_or_b32 exec_lo, exec_lo, s44
	s_barrier_signal -1
	s_barrier_wait -1
	s_and_saveexec_b32 s44, s90
; %bb.466:                              ;   in Loop: Header=BB128_3 Depth=1
	ds_store_b64 v7, v[0:1]
; %bb.467:                              ;   in Loop: Header=BB128_3 Depth=1
	s_or_b32 exec_lo, exec_lo, s44
	s_wait_dscnt 0x0
	s_barrier_signal -1
	s_barrier_wait -1
	s_barrier_signal -1
	s_barrier_wait -1
	s_and_saveexec_b32 s44, s1
; %bb.468:                              ;   in Loop: Header=BB128_3 Depth=1
	v_xor_b32_e32 v1, 0x80000000, v1
	ds_store_b64 v50, v[0:1] offset:14576
; %bb.469:                              ;   in Loop: Header=BB128_3 Depth=1
	s_or_b32 exec_lo, exec_lo, s44
	s_wait_dscnt 0x0
	s_barrier_signal -1
	s_barrier_wait -1
	s_barrier_signal -1
	s_barrier_wait -1
	s_and_saveexec_b32 s44, s91
	s_cbranch_execz .LBB128_471
; %bb.470:                              ;   in Loop: Header=BB128_3 Depth=1
	ds_load_b64 v[0:1], v81 offset:14576
	s_wait_dscnt 0x0
	ds_store_b64 v11, v[0:1] offset:15584
	ds_load_b64 v[0:1], v81 offset:14584
	s_wait_dscnt 0x0
	ds_store_b64 v11, v[0:1] offset:16096
.LBB128_471:                            ;   in Loop: Header=BB128_3 Depth=1
	s_or_b32 exec_lo, exec_lo, s44
	s_wait_dscnt 0x0
	s_barrier_signal -1
	s_barrier_wait -1
	s_and_saveexec_b32 s44, s10
	s_cbranch_execz .LBB128_473
; %bb.472:                              ;   in Loop: Header=BB128_3 Depth=1
	ds_load_b64 v[0:1], v5 offset:15608
	v_mov_b32_e32 v2, v5
	ds_store_b64 v5, v[30:31] offset:15600
	s_wait_dscnt 0x1
	ds_store_b128 v5, v[0:3] offset:16112
.LBB128_473:                            ;   in Loop: Header=BB128_3 Depth=1
	s_or_b32 exec_lo, exec_lo, s44
	v_mov_b64_e32 v[0:1], 0
	s_wait_dscnt 0x0
	s_barrier_signal -1
	s_barrier_wait -1
	s_and_saveexec_b32 s82, s30
	s_cbranch_execz .LBB128_535
; %bb.474:                              ;   in Loop: Header=BB128_3 Depth=1
	v_add_nc_u32_e32 v2, v9, v80
	ds_load_b64 v[0:1], v83 offset:256
	ds_load_b64 v[46:47], v2
	s_wait_dscnt 0x0
	v_fma_f64 v[0:1], v[0:1], v[46:47], 0
	s_mov_b32 s44, exec_lo
	v_readlane_b32 s45, v102, 0
	s_and_b32 s45, s44, s45
	s_delay_alu instid0(SALU_CYCLE_1)
	s_mov_b32 exec_lo, s45
	s_cbranch_execz .LBB128_476
; %bb.475:                              ;   in Loop: Header=BB128_3 Depth=1
	ds_load_b64 v[46:47], v83 offset:768
	ds_load_b64 v[48:49], v2 offset:8
	s_wait_dscnt 0x0
	v_fmac_f64_e32 v[0:1], v[46:47], v[48:49]
.LBB128_476:                            ;   in Loop: Header=BB128_3 Depth=1
	s_or_b32 exec_lo, exec_lo, s44
	s_delay_alu instid0(SALU_CYCLE_1) | instskip(SKIP_2) | instid1(SALU_CYCLE_1)
	s_mov_b32 s44, exec_lo
	v_readlane_b32 s45, v102, 1
	s_and_b32 s45, s44, s45
	s_mov_b32 exec_lo, s45
	s_cbranch_execz .LBB128_478
; %bb.477:                              ;   in Loop: Header=BB128_3 Depth=1
	ds_load_b64 v[46:47], v83 offset:1280
	ds_load_b64 v[48:49], v2 offset:16
	s_wait_dscnt 0x0
	v_fmac_f64_e32 v[0:1], v[46:47], v[48:49]
.LBB128_478:                            ;   in Loop: Header=BB128_3 Depth=1
	s_or_b32 exec_lo, exec_lo, s44
	s_delay_alu instid0(SALU_CYCLE_1) | instskip(SKIP_2) | instid1(SALU_CYCLE_1)
	s_mov_b32 s44, exec_lo
	v_readlane_b32 s45, v102, 2
	s_and_b32 s45, s44, s45
	;; [unrolled: 13-line block ×22, first 2 shown]
	s_mov_b32 exec_lo, s45
	s_cbranch_execz .LBB128_520
; %bb.519:                              ;   in Loop: Header=BB128_3 Depth=1
	ds_load_b64 v[46:47], v83 offset:12032
	ds_load_b64 v[48:49], v2 offset:184
	s_wait_dscnt 0x0
	v_fmac_f64_e32 v[0:1], v[46:47], v[48:49]
.LBB128_520:                            ;   in Loop: Header=BB128_3 Depth=1
	s_or_b32 exec_lo, exec_lo, s44
	s_and_saveexec_b32 s44, s5
	s_cbranch_execz .LBB128_522
; %bb.521:                              ;   in Loop: Header=BB128_3 Depth=1
	ds_load_b64 v[46:47], v83 offset:12544
	ds_load_b64 v[48:49], v2 offset:192
	s_wait_dscnt 0x0
	v_fmac_f64_e32 v[0:1], v[46:47], v[48:49]
.LBB128_522:                            ;   in Loop: Header=BB128_3 Depth=1
	s_or_b32 exec_lo, exec_lo, s44
	s_delay_alu instid0(SALU_CYCLE_1) | instskip(SKIP_2) | instid1(SALU_CYCLE_1)
	s_mov_b32 s44, exec_lo
	v_readlane_b32 s45, v103, 22
	s_and_b32 s45, s44, s45
	s_mov_b32 exec_lo, s45
	s_cbranch_execz .LBB128_524
; %bb.523:                              ;   in Loop: Header=BB128_3 Depth=1
	ds_load_b64 v[46:47], v83 offset:13056
	ds_load_b64 v[48:49], v2 offset:200
	s_wait_dscnt 0x0
	v_fmac_f64_e32 v[0:1], v[46:47], v[48:49]
.LBB128_524:                            ;   in Loop: Header=BB128_3 Depth=1
	s_or_b32 exec_lo, exec_lo, s44
	s_delay_alu instid0(SALU_CYCLE_1) | instskip(SKIP_2) | instid1(SALU_CYCLE_1)
	s_mov_b32 s44, exec_lo
	v_readlane_b32 s45, v103, 24
	s_and_b32 s45, s44, s45
	s_mov_b32 exec_lo, s45
	;; [unrolled: 13-line block ×5, first 2 shown]
	s_cbranch_execnz .LBB128_1091
; %bb.531:                              ;   in Loop: Header=BB128_3 Depth=1
	s_or_b32 exec_lo, exec_lo, s44
	s_and_saveexec_b32 s44, s4
	s_cbranch_execnz .LBB128_1092
.LBB128_532:                            ;   in Loop: Header=BB128_3 Depth=1
	s_or_b32 exec_lo, exec_lo, s44
	s_and_saveexec_b32 s44, s17
	s_cbranch_execz .LBB128_534
.LBB128_533:                            ;   in Loop: Header=BB128_3 Depth=1
	ds_load_b64 v[46:47], v52 offset:16128
	ds_load_b64 v[48:49], v5 offset:248
	s_wait_dscnt 0x0
	v_fmac_f64_e32 v[0:1], v[46:47], v[48:49]
.LBB128_534:                            ;   in Loop: Header=BB128_3 Depth=1
	s_or_b32 exec_lo, exec_lo, s44
	s_delay_alu instid0(VALU_DEP_1)
	v_xor_b32_e32 v1, 0x80000000, v1
.LBB128_535:                            ;   in Loop: Header=BB128_3 Depth=1
	s_or_b32 exec_lo, exec_lo, s82
	v_dual_mov_b32 v2, v79 :: v_dual_mov_b32 v46, v95
	s_mov_b32 s44, 0
	s_branch .LBB128_537
.LBB128_536:                            ;   in Loop: Header=BB128_537 Depth=2
	s_or_b32 exec_lo, exec_lo, s45
	v_add_nc_u32_e32 v46, 0x800, v46
	v_add_nc_u32_e32 v2, -4, v2
	s_add_co_i32 s44, s44, 4
	s_delay_alu instid0(SALU_CYCLE_1)
	s_cmp_eq_u32 s44, 32
	s_barrier_signal -1
	s_barrier_wait -1
	s_cbranch_scc1 .LBB128_553
.LBB128_537:                            ;   Parent Loop BB128_3 Depth=1
                                        ; =>  This Inner Loop Header: Depth=2
	s_delay_alu instid0(VALU_DEP_1) | instskip(SKIP_1) | instid1(SALU_CYCLE_1)
	v_cmp_eq_u32_e32 vcc_lo, 0, v2
	s_and_b32 s46, s43, vcc_lo
	s_and_saveexec_b32 s45, s46
; %bb.538:                              ;   in Loop: Header=BB128_537 Depth=2
	ds_store_b64 v84, v[0:1]
; %bb.539:                              ;   in Loop: Header=BB128_537 Depth=2
	s_or_b32 exec_lo, exec_lo, s45
	v_cmp_lt_u32_e32 vcc_lo, s44, v79
	s_wait_dscnt 0x0
	s_barrier_signal -1
	s_barrier_wait -1
	s_and_b32 s46, s43, vcc_lo
	s_delay_alu instid0(SALU_CYCLE_1)
	s_and_saveexec_b32 s45, s46
	s_cbranch_execz .LBB128_541
; %bb.540:                              ;   in Loop: Header=BB128_537 Depth=2
	ds_load_b64 v[48:49], v46
	ds_load_b64 v[98:99], v84
	s_wait_dscnt 0x0
	v_fmac_f64_e32 v[0:1], v[48:49], v[98:99]
.LBB128_541:                            ;   in Loop: Header=BB128_537 Depth=2
	s_or_b32 exec_lo, exec_lo, s45
	s_or_b32 s45, s44, 1
	s_delay_alu instid0(SALU_CYCLE_1) | instskip(SKIP_3) | instid1(SALU_CYCLE_1)
	v_cmp_eq_u32_e32 vcc_lo, s45, v79
	s_barrier_signal -1
	s_barrier_wait -1
	s_and_b32 s47, s43, vcc_lo
	s_and_saveexec_b32 s46, s47
; %bb.542:                              ;   in Loop: Header=BB128_537 Depth=2
	ds_store_b64 v84, v[0:1]
; %bb.543:                              ;   in Loop: Header=BB128_537 Depth=2
	s_or_b32 exec_lo, exec_lo, s46
	v_cmp_lt_u32_e32 vcc_lo, s45, v79
	s_wait_dscnt 0x0
	s_barrier_signal -1
	s_barrier_wait -1
	s_and_b32 s46, s43, vcc_lo
	s_delay_alu instid0(SALU_CYCLE_1)
	s_and_saveexec_b32 s45, s46
	s_cbranch_execz .LBB128_545
; %bb.544:                              ;   in Loop: Header=BB128_537 Depth=2
	ds_load_b64 v[48:49], v46 offset:512
	ds_load_b64 v[98:99], v84
	s_wait_dscnt 0x0
	v_fmac_f64_e32 v[0:1], v[48:49], v[98:99]
.LBB128_545:                            ;   in Loop: Header=BB128_537 Depth=2
	s_or_b32 exec_lo, exec_lo, s45
	s_or_b32 s45, s44, 2
	s_delay_alu instid0(SALU_CYCLE_1) | instskip(SKIP_3) | instid1(SALU_CYCLE_1)
	v_cmp_eq_u32_e32 vcc_lo, s45, v79
	s_barrier_signal -1
	s_barrier_wait -1
	s_and_b32 s47, s43, vcc_lo
	s_and_saveexec_b32 s46, s47
; %bb.546:                              ;   in Loop: Header=BB128_537 Depth=2
	ds_store_b64 v84, v[0:1]
; %bb.547:                              ;   in Loop: Header=BB128_537 Depth=2
	s_or_b32 exec_lo, exec_lo, s46
	v_cmp_lt_u32_e32 vcc_lo, s45, v79
	s_wait_dscnt 0x0
	s_barrier_signal -1
	s_barrier_wait -1
	s_and_b32 s46, s43, vcc_lo
	s_delay_alu instid0(SALU_CYCLE_1)
	s_and_saveexec_b32 s45, s46
	s_cbranch_execz .LBB128_549
; %bb.548:                              ;   in Loop: Header=BB128_537 Depth=2
	ds_load_b64 v[48:49], v46 offset:1024
	ds_load_b64 v[98:99], v84
	s_wait_dscnt 0x0
	v_fmac_f64_e32 v[0:1], v[48:49], v[98:99]
.LBB128_549:                            ;   in Loop: Header=BB128_537 Depth=2
	s_or_b32 exec_lo, exec_lo, s45
	s_or_b32 s45, s44, 3
	s_delay_alu instid0(SALU_CYCLE_1) | instskip(SKIP_3) | instid1(SALU_CYCLE_1)
	v_cmp_eq_u32_e32 vcc_lo, s45, v79
	s_barrier_signal -1
	s_barrier_wait -1
	s_and_b32 s47, s43, vcc_lo
	s_and_saveexec_b32 s46, s47
; %bb.550:                              ;   in Loop: Header=BB128_537 Depth=2
	ds_store_b64 v84, v[0:1]
; %bb.551:                              ;   in Loop: Header=BB128_537 Depth=2
	s_or_b32 exec_lo, exec_lo, s46
	v_cmp_lt_u32_e32 vcc_lo, s45, v79
	s_wait_dscnt 0x0
	s_barrier_signal -1
	s_barrier_wait -1
	s_and_b32 s46, s43, vcc_lo
	s_delay_alu instid0(SALU_CYCLE_1)
	s_and_saveexec_b32 s45, s46
	s_cbranch_execz .LBB128_536
; %bb.552:                              ;   in Loop: Header=BB128_537 Depth=2
	ds_load_b64 v[48:49], v46 offset:1536
	ds_load_b64 v[98:99], v84
	s_wait_dscnt 0x0
	v_fmac_f64_e32 v[0:1], v[48:49], v[98:99]
	s_branch .LBB128_536
.LBB128_553:                            ;   in Loop: Header=BB128_3 Depth=1
	s_and_saveexec_b32 s44, s30
; %bb.554:                              ;   in Loop: Header=BB128_3 Depth=1
	s_delay_alu instid0(VALU_DEP_3)
	v_xor_b32_e32 v1, 0x80000000, v1
	ds_store_b64 v83, v[0:1] offset:256
; %bb.555:                              ;   in Loop: Header=BB128_3 Depth=1
	s_or_b32 exec_lo, exec_lo, s44
	s_wait_dscnt 0x0
	s_barrier_signal -1
	s_barrier_wait -1
	s_barrier_signal -1
	s_barrier_wait -1
	s_mov_b32 s44, exec_lo
	v_readlane_b32 s45, v103, 11
	s_and_b32 s45, s44, s45
	s_delay_alu instid0(SALU_CYCLE_1)
	s_mov_b32 exec_lo, s45
	s_cbranch_execz .LBB128_557
; %bb.556:                              ;   in Loop: Header=BB128_3 Depth=1
	ds_load_b64 v[0:1], v55 offset:256
	s_wait_dscnt 0x0
	ds_store_b64 v59, v[0:1] offset:16384
	ds_load_b64 v[0:1], v55 offset:264
	s_wait_dscnt 0x0
	ds_store_b64 v59, v[0:1] offset:16896
	;; [unrolled: 3-line block ×32, first 2 shown]
.LBB128_557:                            ;   in Loop: Header=BB128_3 Depth=1
	s_or_b32 exec_lo, exec_lo, s44
	s_wait_dscnt 0x0
	s_barrier_signal -1
	s_barrier_wait -1
	s_and_saveexec_b32 s44, s10
	s_cbranch_execz .LBB128_559
; %bb.558:                              ;   in Loop: Header=BB128_3 Depth=1
	ds_load_b64 v[0:1], v5 offset:16648
	v_mov_b32_e32 v2, v5
	ds_store_b64 v5, v[30:31] offset:16640
	s_wait_dscnt 0x1
	ds_store_b128 v5, v[0:3] offset:17152
.LBB128_559:                            ;   in Loop: Header=BB128_3 Depth=1
	s_or_b32 exec_lo, exec_lo, s44
	v_mov_b64_e32 v[0:1], 0
	s_wait_dscnt 0x0
	s_barrier_signal -1
	s_barrier_wait -1
	s_and_saveexec_b32 s44, s1
	s_cbranch_execz .LBB128_563
; %bb.560:                              ;   in Loop: Header=BB128_3 Depth=1
	ds_load_b64 v[0:1], v50 offset:16656
	ds_load_b64 v[46:47], v51 offset:16640
	s_wait_dscnt 0x0
	v_fma_f64 v[0:1], v[0:1], v[46:47], 0
	s_and_saveexec_b32 s45, s11
	s_cbranch_execz .LBB128_562
; %bb.561:                              ;   in Loop: Header=BB128_3 Depth=1
	ds_load_b64 v[46:47], v52 offset:17168
	ds_load_b64 v[48:49], v5 offset:16648
	s_wait_dscnt 0x0
	v_fmac_f64_e32 v[0:1], v[46:47], v[48:49]
.LBB128_562:                            ;   in Loop: Header=BB128_3 Depth=1
	s_or_b32 exec_lo, exec_lo, s45
	s_delay_alu instid0(VALU_DEP_1)
	v_xor_b32_e32 v1, 0x80000000, v1
.LBB128_563:                            ;   in Loop: Header=BB128_3 Depth=1
	s_or_b32 exec_lo, exec_lo, s44
	s_and_saveexec_b32 s44, s89
; %bb.564:                              ;   in Loop: Header=BB128_3 Depth=1
	ds_store_b64 v7, v[0:1]
; %bb.565:                              ;   in Loop: Header=BB128_3 Depth=1
	s_or_b32 exec_lo, exec_lo, s44
	s_wait_dscnt 0x0
	s_barrier_signal -1
	s_barrier_wait -1
	s_and_saveexec_b32 s44, s90
	s_cbranch_execz .LBB128_567
; %bb.566:                              ;   in Loop: Header=BB128_3 Depth=1
	ds_load_b64 v[46:47], v5 offset:17688
	ds_load_b64 v[48:49], v7
	s_wait_dscnt 0x0
	v_fmac_f64_e32 v[0:1], v[46:47], v[48:49]
.LBB128_567:                            ;   in Loop: Header=BB128_3 Depth=1
	s_or_b32 exec_lo, exec_lo, s44
	s_barrier_signal -1
	s_barrier_wait -1
	s_and_saveexec_b32 s44, s90
; %bb.568:                              ;   in Loop: Header=BB128_3 Depth=1
	ds_store_b64 v7, v[0:1]
; %bb.569:                              ;   in Loop: Header=BB128_3 Depth=1
	s_or_b32 exec_lo, exec_lo, s44
	s_wait_dscnt 0x0
	s_barrier_signal -1
	s_barrier_wait -1
	s_barrier_signal -1
	s_barrier_wait -1
	s_and_saveexec_b32 s44, s1
; %bb.570:                              ;   in Loop: Header=BB128_3 Depth=1
	v_xor_b32_e32 v1, 0x80000000, v1
	ds_store_b64 v50, v[0:1] offset:16656
; %bb.571:                              ;   in Loop: Header=BB128_3 Depth=1
	s_or_b32 exec_lo, exec_lo, s44
	s_wait_dscnt 0x0
	s_barrier_signal -1
	s_barrier_wait -1
	s_barrier_signal -1
	s_barrier_wait -1
	s_and_saveexec_b32 s44, s91
	s_cbranch_execz .LBB128_573
; %bb.572:                              ;   in Loop: Header=BB128_3 Depth=1
	ds_load_b64 v[0:1], v55 offset:16656
	s_wait_dscnt 0x0
	ds_store_b64 v52, v[0:1] offset:17664
	ds_load_b64 v[0:1], v55 offset:16664
	s_wait_dscnt 0x0
	ds_store_b64 v52, v[0:1] offset:18176
.LBB128_573:                            ;   in Loop: Header=BB128_3 Depth=1
	s_or_b32 exec_lo, exec_lo, s44
	s_wait_dscnt 0x0
	s_barrier_signal -1
	s_barrier_wait -1
	s_and_saveexec_b32 s44, s10
	s_cbranch_execz .LBB128_575
; %bb.574:                              ;   in Loop: Header=BB128_3 Depth=1
	ds_load_b64 v[0:1], v5 offset:17688
	v_mov_b32_e32 v2, v5
	ds_store_b64 v5, v[30:31] offset:17680
	s_wait_dscnt 0x1
	ds_store_b128 v5, v[0:3] offset:18192
.LBB128_575:                            ;   in Loop: Header=BB128_3 Depth=1
	s_or_b32 exec_lo, exec_lo, s44
	v_mov_b64_e32 v[0:1], 0
	s_wait_dscnt 0x0
	s_barrier_signal -1
	s_barrier_wait -1
	s_and_saveexec_b32 s44, s3
	s_cbranch_execz .LBB128_581
; %bb.576:                              ;   in Loop: Header=BB128_3 Depth=1
	ds_load_b64 v[0:1], v57 offset:16672
	ds_load_b64 v[46:47], v53 offset:16640
	s_wait_dscnt 0x0
	v_fma_f64 v[0:1], v[0:1], v[46:47], 0
	s_and_saveexec_b32 s45, s12
	s_cbranch_execnz .LBB128_1093
; %bb.577:                              ;   in Loop: Header=BB128_3 Depth=1
	s_or_b32 exec_lo, exec_lo, s45
	s_and_saveexec_b32 s45, s13
	s_cbranch_execnz .LBB128_1094
.LBB128_578:                            ;   in Loop: Header=BB128_3 Depth=1
	s_or_b32 exec_lo, exec_lo, s45
	s_and_saveexec_b32 s45, s1
	s_cbranch_execz .LBB128_580
.LBB128_579:                            ;   in Loop: Header=BB128_3 Depth=1
	ds_load_b64 v[46:47], v59 offset:18208
	ds_load_b64 v[48:49], v5 offset:16664
	s_wait_dscnt 0x0
	v_fmac_f64_e32 v[0:1], v[46:47], v[48:49]
.LBB128_580:                            ;   in Loop: Header=BB128_3 Depth=1
	s_or_b32 exec_lo, exec_lo, s45
	s_delay_alu instid0(VALU_DEP_1)
	v_xor_b32_e32 v1, 0x80000000, v1
.LBB128_581:                            ;   in Loop: Header=BB128_3 Depth=1
	s_or_b32 exec_lo, exec_lo, s44
	s_and_saveexec_b32 s44, s92
; %bb.582:                              ;   in Loop: Header=BB128_3 Depth=1
	ds_store_b64 v56, v[0:1]
; %bb.583:                              ;   in Loop: Header=BB128_3 Depth=1
	s_or_b32 exec_lo, exec_lo, s44
	s_wait_dscnt 0x0
	s_barrier_signal -1
	s_barrier_wait -1
	s_and_saveexec_b32 s44, s93
	s_cbranch_execz .LBB128_585
; %bb.584:                              ;   in Loop: Header=BB128_3 Depth=1
	ds_load_b64 v[46:47], v54 offset:18720
	ds_load_b64 v[48:49], v56
	s_wait_dscnt 0x0
	v_fmac_f64_e32 v[0:1], v[46:47], v[48:49]
.LBB128_585:                            ;   in Loop: Header=BB128_3 Depth=1
	s_or_b32 exec_lo, exec_lo, s44
	s_barrier_signal -1
	s_barrier_wait -1
	s_and_saveexec_b32 s44, s94
; %bb.586:                              ;   in Loop: Header=BB128_3 Depth=1
	ds_store_b64 v56, v[0:1]
; %bb.587:                              ;   in Loop: Header=BB128_3 Depth=1
	s_or_b32 exec_lo, exec_lo, s44
	s_wait_dscnt 0x0
	s_barrier_signal -1
	s_barrier_wait -1
	s_and_saveexec_b32 s44, s95
	s_cbranch_execz .LBB128_589
; %bb.588:                              ;   in Loop: Header=BB128_3 Depth=1
	ds_load_b64 v[46:47], v54 offset:19232
	ds_load_b64 v[48:49], v56
	s_wait_dscnt 0x0
	v_fmac_f64_e32 v[0:1], v[46:47], v[48:49]
.LBB128_589:                            ;   in Loop: Header=BB128_3 Depth=1
	s_or_b32 exec_lo, exec_lo, s44
	s_barrier_signal -1
	s_barrier_wait -1
	;; [unrolled: 19-line block ×3, first 2 shown]
	s_and_saveexec_b32 s44, s97
; %bb.594:                              ;   in Loop: Header=BB128_3 Depth=1
	ds_store_b64 v56, v[0:1]
; %bb.595:                              ;   in Loop: Header=BB128_3 Depth=1
	s_or_b32 exec_lo, exec_lo, s44
	s_wait_dscnt 0x0
	s_barrier_signal -1
	s_barrier_wait -1
	s_barrier_signal -1
	s_barrier_wait -1
	s_and_saveexec_b32 s44, s3
; %bb.596:                              ;   in Loop: Header=BB128_3 Depth=1
	v_xor_b32_e32 v1, 0x80000000, v1
	ds_store_b64 v57, v[0:1] offset:16672
; %bb.597:                              ;   in Loop: Header=BB128_3 Depth=1
	s_or_b32 exec_lo, exec_lo, s44
	s_wait_dscnt 0x0
	s_barrier_signal -1
	s_barrier_wait -1
	s_barrier_signal -1
	s_barrier_wait -1
	s_and_saveexec_b32 s44, s98
	s_cbranch_execz .LBB128_599
; %bb.598:                              ;   in Loop: Header=BB128_3 Depth=1
	ds_load_b64 v[0:1], v60 offset:16672
	s_wait_dscnt 0x0
	ds_store_b64 v62, v[0:1] offset:18688
	ds_load_b64 v[0:1], v60 offset:16680
	s_wait_dscnt 0x0
	ds_store_b64 v62, v[0:1] offset:19200
	;; [unrolled: 3-line block ×4, first 2 shown]
.LBB128_599:                            ;   in Loop: Header=BB128_3 Depth=1
	s_or_b32 exec_lo, exec_lo, s44
	s_wait_dscnt 0x0
	s_barrier_signal -1
	s_barrier_wait -1
	s_and_saveexec_b32 s44, s10
	s_cbranch_execz .LBB128_601
; %bb.600:                              ;   in Loop: Header=BB128_3 Depth=1
	ds_load_b64 v[0:1], v5 offset:18728
	v_mov_b32_e32 v2, v5
	ds_store_b64 v5, v[30:31] offset:18720
	s_wait_dscnt 0x1
	ds_store_b128 v5, v[0:3] offset:19232
.LBB128_601:                            ;   in Loop: Header=BB128_3 Depth=1
	s_or_b32 exec_lo, exec_lo, s44
	v_mov_b64_e32 v[0:1], 0
	s_wait_dscnt 0x0
	s_barrier_signal -1
	s_barrier_wait -1
	s_and_saveexec_b32 s44, s1
	s_cbranch_execz .LBB128_605
; %bb.602:                              ;   in Loop: Header=BB128_3 Depth=1
	ds_load_b64 v[0:1], v50 offset:18736
	ds_load_b64 v[46:47], v51 offset:18720
	s_wait_dscnt 0x0
	v_fma_f64 v[0:1], v[0:1], v[46:47], 0
	s_and_saveexec_b32 s45, s11
	s_cbranch_execz .LBB128_604
; %bb.603:                              ;   in Loop: Header=BB128_3 Depth=1
	ds_load_b64 v[46:47], v62 offset:19248
	ds_load_b64 v[48:49], v5 offset:18728
	s_wait_dscnt 0x0
	v_fmac_f64_e32 v[0:1], v[46:47], v[48:49]
.LBB128_604:                            ;   in Loop: Header=BB128_3 Depth=1
	s_or_b32 exec_lo, exec_lo, s45
	s_delay_alu instid0(VALU_DEP_1)
	v_xor_b32_e32 v1, 0x80000000, v1
.LBB128_605:                            ;   in Loop: Header=BB128_3 Depth=1
	s_or_b32 exec_lo, exec_lo, s44
	s_and_saveexec_b32 s44, s89
; %bb.606:                              ;   in Loop: Header=BB128_3 Depth=1
	ds_store_b64 v7, v[0:1]
; %bb.607:                              ;   in Loop: Header=BB128_3 Depth=1
	s_or_b32 exec_lo, exec_lo, s44
	s_wait_dscnt 0x0
	s_barrier_signal -1
	s_barrier_wait -1
	s_and_saveexec_b32 s44, s90
	s_cbranch_execz .LBB128_609
; %bb.608:                              ;   in Loop: Header=BB128_3 Depth=1
	ds_load_b64 v[46:47], v5 offset:19768
	ds_load_b64 v[48:49], v7
	s_wait_dscnt 0x0
	v_fmac_f64_e32 v[0:1], v[46:47], v[48:49]
.LBB128_609:                            ;   in Loop: Header=BB128_3 Depth=1
	s_or_b32 exec_lo, exec_lo, s44
	s_barrier_signal -1
	s_barrier_wait -1
	s_and_saveexec_b32 s44, s90
; %bb.610:                              ;   in Loop: Header=BB128_3 Depth=1
	ds_store_b64 v7, v[0:1]
; %bb.611:                              ;   in Loop: Header=BB128_3 Depth=1
	s_or_b32 exec_lo, exec_lo, s44
	s_wait_dscnt 0x0
	s_barrier_signal -1
	s_barrier_wait -1
	s_barrier_signal -1
	s_barrier_wait -1
	s_and_saveexec_b32 s44, s1
; %bb.612:                              ;   in Loop: Header=BB128_3 Depth=1
	v_xor_b32_e32 v1, 0x80000000, v1
	ds_store_b64 v50, v[0:1] offset:18736
; %bb.613:                              ;   in Loop: Header=BB128_3 Depth=1
	s_or_b32 exec_lo, exec_lo, s44
	s_wait_dscnt 0x0
	s_barrier_signal -1
	s_barrier_wait -1
	s_barrier_signal -1
	s_barrier_wait -1
	s_and_saveexec_b32 s44, s91
	s_cbranch_execz .LBB128_615
; %bb.614:                              ;   in Loop: Header=BB128_3 Depth=1
	ds_load_b64 v[0:1], v64 offset:18736
	s_wait_dscnt 0x0
	ds_store_b64 v62, v[0:1] offset:19744
	ds_load_b64 v[0:1], v64 offset:18744
	s_wait_dscnt 0x0
	ds_store_b64 v62, v[0:1] offset:20256
.LBB128_615:                            ;   in Loop: Header=BB128_3 Depth=1
	s_or_b32 exec_lo, exec_lo, s44
	s_wait_dscnt 0x0
	s_barrier_signal -1
	s_barrier_wait -1
	s_and_saveexec_b32 s44, s10
	s_cbranch_execz .LBB128_617
; %bb.616:                              ;   in Loop: Header=BB128_3 Depth=1
	ds_load_b64 v[0:1], v5 offset:19768
	v_mov_b32_e32 v2, v5
	ds_store_b64 v5, v[30:31] offset:19760
	s_wait_dscnt 0x1
	ds_store_b128 v5, v[0:3] offset:20272
.LBB128_617:                            ;   in Loop: Header=BB128_3 Depth=1
	s_or_b32 exec_lo, exec_lo, s44
	v_mov_b64_e32 v[0:1], 0
	s_wait_dscnt 0x0
	s_barrier_signal -1
	s_barrier_wait -1
	s_and_saveexec_b32 s44, s4
	s_cbranch_execz .LBB128_627
; %bb.618:                              ;   in Loop: Header=BB128_3 Depth=1
	ds_load_b64 v[0:1], v66 offset:16704
	ds_load_b64 v[46:47], v61 offset:16640
	s_wait_dscnt 0x0
	v_fma_f64 v[0:1], v[0:1], v[46:47], 0
	s_and_saveexec_b32 s45, s14
	s_cbranch_execnz .LBB128_1095
; %bb.619:                              ;   in Loop: Header=BB128_3 Depth=1
	s_or_b32 exec_lo, exec_lo, s45
	s_and_saveexec_b32 s45, s15
	s_cbranch_execnz .LBB128_1096
.LBB128_620:                            ;   in Loop: Header=BB128_3 Depth=1
	s_or_b32 exec_lo, exec_lo, s45
	s_and_saveexec_b32 s45, s16
	s_cbranch_execnz .LBB128_1097
.LBB128_621:                            ;   in Loop: Header=BB128_3 Depth=1
	s_or_b32 exec_lo, exec_lo, s45
	s_and_saveexec_b32 s45, s17
	s_cbranch_execnz .LBB128_1098
.LBB128_622:                            ;   in Loop: Header=BB128_3 Depth=1
	s_or_b32 exec_lo, exec_lo, s45
	s_and_saveexec_b32 s45, s18
	s_cbranch_execnz .LBB128_1099
.LBB128_623:                            ;   in Loop: Header=BB128_3 Depth=1
	s_or_b32 exec_lo, exec_lo, s45
	s_and_saveexec_b32 s45, s3
	s_cbranch_execnz .LBB128_1100
.LBB128_624:                            ;   in Loop: Header=BB128_3 Depth=1
	s_or_b32 exec_lo, exec_lo, s45
	s_and_saveexec_b32 s45, s13
	s_cbranch_execz .LBB128_626
.LBB128_625:                            ;   in Loop: Header=BB128_3 Depth=1
	ds_load_b64 v[46:47], v68 offset:20288
	ds_load_b64 v[48:49], v5 offset:16696
	s_wait_dscnt 0x0
	v_fmac_f64_e32 v[0:1], v[46:47], v[48:49]
.LBB128_626:                            ;   in Loop: Header=BB128_3 Depth=1
	s_or_b32 exec_lo, exec_lo, s45
	s_delay_alu instid0(VALU_DEP_1)
	v_xor_b32_e32 v1, 0x80000000, v1
.LBB128_627:                            ;   in Loop: Header=BB128_3 Depth=1
	s_or_b32 exec_lo, exec_lo, s44
	s_and_saveexec_b32 s44, s99
; %bb.628:                              ;   in Loop: Header=BB128_3 Depth=1
	ds_store_b64 v65, v[0:1]
; %bb.629:                              ;   in Loop: Header=BB128_3 Depth=1
	s_or_b32 exec_lo, exec_lo, s44
	s_wait_dscnt 0x0
	s_barrier_signal -1
	s_barrier_wait -1
	s_and_saveexec_b32 s44, s100
	s_cbranch_execz .LBB128_631
; %bb.630:                              ;   in Loop: Header=BB128_3 Depth=1
	ds_load_b64 v[46:47], v63 offset:20800
	ds_load_b64 v[48:49], v65
	s_wait_dscnt 0x0
	v_fmac_f64_e32 v[0:1], v[46:47], v[48:49]
.LBB128_631:                            ;   in Loop: Header=BB128_3 Depth=1
	s_or_b32 exec_lo, exec_lo, s44
	s_barrier_signal -1
	s_barrier_wait -1
	s_and_saveexec_b32 s44, s101
; %bb.632:                              ;   in Loop: Header=BB128_3 Depth=1
	ds_store_b64 v65, v[0:1]
; %bb.633:                              ;   in Loop: Header=BB128_3 Depth=1
	s_or_b32 exec_lo, exec_lo, s44
	s_wait_dscnt 0x0
	s_barrier_signal -1
	s_barrier_wait -1
	s_and_saveexec_b32 s44, s102
	s_cbranch_execz .LBB128_635
; %bb.634:                              ;   in Loop: Header=BB128_3 Depth=1
	ds_load_b64 v[46:47], v63 offset:21312
	ds_load_b64 v[48:49], v65
	s_wait_dscnt 0x0
	v_fmac_f64_e32 v[0:1], v[46:47], v[48:49]
.LBB128_635:                            ;   in Loop: Header=BB128_3 Depth=1
	s_or_b32 exec_lo, exec_lo, s44
	s_barrier_signal -1
	s_barrier_wait -1
	;; [unrolled: 19-line block ×3, first 2 shown]
	s_and_saveexec_b32 s44, vcc_hi
; %bb.640:                              ;   in Loop: Header=BB128_3 Depth=1
	ds_store_b64 v65, v[0:1]
; %bb.641:                              ;   in Loop: Header=BB128_3 Depth=1
	s_or_b32 exec_lo, exec_lo, s44
	s_wait_dscnt 0x0
	s_barrier_signal -1
	s_barrier_wait -1
	s_and_saveexec_b32 s44, s31
	s_cbranch_execz .LBB128_643
; %bb.642:                              ;   in Loop: Header=BB128_3 Depth=1
	ds_load_b64 v[46:47], v63 offset:22336
	ds_load_b64 v[48:49], v65
	s_wait_dscnt 0x0
	v_fmac_f64_e32 v[0:1], v[46:47], v[48:49]
.LBB128_643:                            ;   in Loop: Header=BB128_3 Depth=1
	s_or_b32 exec_lo, exec_lo, s44
	s_barrier_signal -1
	s_barrier_wait -1
	s_and_saveexec_b32 s44, s33
; %bb.644:                              ;   in Loop: Header=BB128_3 Depth=1
	ds_store_b64 v65, v[0:1]
; %bb.645:                              ;   in Loop: Header=BB128_3 Depth=1
	s_or_b32 exec_lo, exec_lo, s44
	s_wait_dscnt 0x0
	s_barrier_signal -1
	s_barrier_wait -1
	s_and_saveexec_b32 s44, s34
	s_cbranch_execz .LBB128_647
; %bb.646:                              ;   in Loop: Header=BB128_3 Depth=1
	ds_load_b64 v[46:47], v63 offset:22848
	ds_load_b64 v[48:49], v65
	s_wait_dscnt 0x0
	v_fmac_f64_e32 v[0:1], v[46:47], v[48:49]
.LBB128_647:                            ;   in Loop: Header=BB128_3 Depth=1
	s_or_b32 exec_lo, exec_lo, s44
	s_barrier_signal -1
	s_barrier_wait -1
	s_and_saveexec_b32 s44, s35
	;; [unrolled: 19-line block ×4, first 2 shown]
; %bb.656:                              ;   in Loop: Header=BB128_3 Depth=1
	ds_store_b64 v65, v[0:1]
; %bb.657:                              ;   in Loop: Header=BB128_3 Depth=1
	s_or_b32 exec_lo, exec_lo, s44
	s_wait_dscnt 0x0
	s_barrier_signal -1
	s_barrier_wait -1
	s_barrier_signal -1
	s_barrier_wait -1
	s_and_saveexec_b32 s44, s4
; %bb.658:                              ;   in Loop: Header=BB128_3 Depth=1
	v_xor_b32_e32 v1, 0x80000000, v1
	ds_store_b64 v66, v[0:1] offset:16704
; %bb.659:                              ;   in Loop: Header=BB128_3 Depth=1
	s_or_b32 exec_lo, exec_lo, s44
	s_wait_dscnt 0x0
	s_barrier_signal -1
	s_barrier_wait -1
	s_barrier_signal -1
	s_barrier_wait -1
	s_and_saveexec_b32 s44, s39
	s_cbranch_execz .LBB128_661
; %bb.660:                              ;   in Loop: Header=BB128_3 Depth=1
	ds_load_b64 v[0:1], v69 offset:16704
	s_wait_dscnt 0x0
	ds_store_b64 v70, v[0:1] offset:20736
	ds_load_b64 v[0:1], v69 offset:16712
	s_wait_dscnt 0x0
	ds_store_b64 v70, v[0:1] offset:21248
	;; [unrolled: 3-line block ×8, first 2 shown]
.LBB128_661:                            ;   in Loop: Header=BB128_3 Depth=1
	s_or_b32 exec_lo, exec_lo, s44
	s_wait_dscnt 0x0
	s_barrier_signal -1
	s_barrier_wait -1
	s_and_saveexec_b32 s44, s10
	s_cbranch_execz .LBB128_663
; %bb.662:                              ;   in Loop: Header=BB128_3 Depth=1
	ds_load_b64 v[0:1], v5 offset:20808
	v_mov_b32_e32 v2, v5
	ds_store_b64 v5, v[30:31] offset:20800
	s_wait_dscnt 0x1
	ds_store_b128 v5, v[0:3] offset:21312
.LBB128_663:                            ;   in Loop: Header=BB128_3 Depth=1
	s_or_b32 exec_lo, exec_lo, s44
	v_mov_b64_e32 v[0:1], 0
	s_wait_dscnt 0x0
	s_barrier_signal -1
	s_barrier_wait -1
	s_and_saveexec_b32 s44, s1
	s_cbranch_execz .LBB128_667
; %bb.664:                              ;   in Loop: Header=BB128_3 Depth=1
	ds_load_b64 v[0:1], v50 offset:20816
	ds_load_b64 v[46:47], v51 offset:20800
	s_wait_dscnt 0x0
	v_fma_f64 v[0:1], v[0:1], v[46:47], 0
	s_and_saveexec_b32 s45, s11
	s_cbranch_execz .LBB128_666
; %bb.665:                              ;   in Loop: Header=BB128_3 Depth=1
	ds_load_b64 v[46:47], v70 offset:21328
	ds_load_b64 v[48:49], v5 offset:20808
	s_wait_dscnt 0x0
	v_fmac_f64_e32 v[0:1], v[46:47], v[48:49]
.LBB128_666:                            ;   in Loop: Header=BB128_3 Depth=1
	s_or_b32 exec_lo, exec_lo, s45
	s_delay_alu instid0(VALU_DEP_1)
	v_xor_b32_e32 v1, 0x80000000, v1
.LBB128_667:                            ;   in Loop: Header=BB128_3 Depth=1
	s_or_b32 exec_lo, exec_lo, s44
	s_and_saveexec_b32 s44, s89
; %bb.668:                              ;   in Loop: Header=BB128_3 Depth=1
	ds_store_b64 v7, v[0:1]
; %bb.669:                              ;   in Loop: Header=BB128_3 Depth=1
	s_or_b32 exec_lo, exec_lo, s44
	s_wait_dscnt 0x0
	s_barrier_signal -1
	s_barrier_wait -1
	s_and_saveexec_b32 s44, s90
	s_cbranch_execz .LBB128_671
; %bb.670:                              ;   in Loop: Header=BB128_3 Depth=1
	ds_load_b64 v[46:47], v5 offset:21848
	ds_load_b64 v[48:49], v7
	s_wait_dscnt 0x0
	v_fmac_f64_e32 v[0:1], v[46:47], v[48:49]
.LBB128_671:                            ;   in Loop: Header=BB128_3 Depth=1
	s_or_b32 exec_lo, exec_lo, s44
	s_barrier_signal -1
	s_barrier_wait -1
	s_and_saveexec_b32 s44, s90
; %bb.672:                              ;   in Loop: Header=BB128_3 Depth=1
	ds_store_b64 v7, v[0:1]
; %bb.673:                              ;   in Loop: Header=BB128_3 Depth=1
	s_or_b32 exec_lo, exec_lo, s44
	s_wait_dscnt 0x0
	s_barrier_signal -1
	s_barrier_wait -1
	s_barrier_signal -1
	s_barrier_wait -1
	s_and_saveexec_b32 s44, s1
; %bb.674:                              ;   in Loop: Header=BB128_3 Depth=1
	v_xor_b32_e32 v1, 0x80000000, v1
	ds_store_b64 v50, v[0:1] offset:20816
; %bb.675:                              ;   in Loop: Header=BB128_3 Depth=1
	s_or_b32 exec_lo, exec_lo, s44
	s_wait_dscnt 0x0
	s_barrier_signal -1
	s_barrier_wait -1
	s_barrier_signal -1
	s_barrier_wait -1
	s_and_saveexec_b32 s44, s91
	s_cbranch_execz .LBB128_677
; %bb.676:                              ;   in Loop: Header=BB128_3 Depth=1
	ds_load_b64 v[0:1], v71 offset:20816
	s_wait_dscnt 0x0
	ds_store_b64 v70, v[0:1] offset:21824
	ds_load_b64 v[0:1], v71 offset:20824
	s_wait_dscnt 0x0
	ds_store_b64 v70, v[0:1] offset:22336
.LBB128_677:                            ;   in Loop: Header=BB128_3 Depth=1
	s_or_b32 exec_lo, exec_lo, s44
	s_wait_dscnt 0x0
	s_barrier_signal -1
	s_barrier_wait -1
	s_and_saveexec_b32 s44, s10
	s_cbranch_execz .LBB128_679
; %bb.678:                              ;   in Loop: Header=BB128_3 Depth=1
	ds_load_b64 v[0:1], v5 offset:21848
	v_mov_b32_e32 v2, v5
	ds_store_b64 v5, v[30:31] offset:21840
	s_wait_dscnt 0x1
	ds_store_b128 v5, v[0:3] offset:22352
.LBB128_679:                            ;   in Loop: Header=BB128_3 Depth=1
	s_or_b32 exec_lo, exec_lo, s44
	v_mov_b64_e32 v[0:1], 0
	s_wait_dscnt 0x0
	s_barrier_signal -1
	s_barrier_wait -1
	s_and_saveexec_b32 s44, s3
	s_cbranch_execz .LBB128_685
; %bb.680:                              ;   in Loop: Header=BB128_3 Depth=1
	ds_load_b64 v[0:1], v57 offset:20832
	ds_load_b64 v[46:47], v53 offset:20800
	s_wait_dscnt 0x0
	v_fma_f64 v[0:1], v[0:1], v[46:47], 0
	s_and_saveexec_b32 s45, s12
	s_cbranch_execnz .LBB128_1101
; %bb.681:                              ;   in Loop: Header=BB128_3 Depth=1
	s_or_b32 exec_lo, exec_lo, s45
	s_and_saveexec_b32 s45, s13
	s_cbranch_execnz .LBB128_1102
.LBB128_682:                            ;   in Loop: Header=BB128_3 Depth=1
	s_or_b32 exec_lo, exec_lo, s45
	s_and_saveexec_b32 s45, s1
	s_cbranch_execz .LBB128_684
.LBB128_683:                            ;   in Loop: Header=BB128_3 Depth=1
	ds_load_b64 v[46:47], v72 offset:22368
	ds_load_b64 v[48:49], v5 offset:20824
	s_wait_dscnt 0x0
	v_fmac_f64_e32 v[0:1], v[46:47], v[48:49]
.LBB128_684:                            ;   in Loop: Header=BB128_3 Depth=1
	s_or_b32 exec_lo, exec_lo, s45
	s_delay_alu instid0(VALU_DEP_1)
	v_xor_b32_e32 v1, 0x80000000, v1
.LBB128_685:                            ;   in Loop: Header=BB128_3 Depth=1
	s_or_b32 exec_lo, exec_lo, s44
	s_and_saveexec_b32 s44, s92
; %bb.686:                              ;   in Loop: Header=BB128_3 Depth=1
	ds_store_b64 v56, v[0:1]
; %bb.687:                              ;   in Loop: Header=BB128_3 Depth=1
	s_or_b32 exec_lo, exec_lo, s44
	s_wait_dscnt 0x0
	s_barrier_signal -1
	s_barrier_wait -1
	s_and_saveexec_b32 s44, s93
	s_cbranch_execz .LBB128_689
; %bb.688:                              ;   in Loop: Header=BB128_3 Depth=1
	ds_load_b64 v[46:47], v54 offset:22880
	ds_load_b64 v[48:49], v56
	s_wait_dscnt 0x0
	v_fmac_f64_e32 v[0:1], v[46:47], v[48:49]
.LBB128_689:                            ;   in Loop: Header=BB128_3 Depth=1
	s_or_b32 exec_lo, exec_lo, s44
	s_barrier_signal -1
	s_barrier_wait -1
	s_and_saveexec_b32 s44, s94
; %bb.690:                              ;   in Loop: Header=BB128_3 Depth=1
	ds_store_b64 v56, v[0:1]
; %bb.691:                              ;   in Loop: Header=BB128_3 Depth=1
	s_or_b32 exec_lo, exec_lo, s44
	s_wait_dscnt 0x0
	s_barrier_signal -1
	s_barrier_wait -1
	s_and_saveexec_b32 s44, s95
	s_cbranch_execz .LBB128_693
; %bb.692:                              ;   in Loop: Header=BB128_3 Depth=1
	ds_load_b64 v[46:47], v54 offset:23392
	ds_load_b64 v[48:49], v56
	s_wait_dscnt 0x0
	v_fmac_f64_e32 v[0:1], v[46:47], v[48:49]
.LBB128_693:                            ;   in Loop: Header=BB128_3 Depth=1
	s_or_b32 exec_lo, exec_lo, s44
	s_barrier_signal -1
	s_barrier_wait -1
	;; [unrolled: 19-line block ×3, first 2 shown]
	s_and_saveexec_b32 s44, s97
; %bb.698:                              ;   in Loop: Header=BB128_3 Depth=1
	ds_store_b64 v56, v[0:1]
; %bb.699:                              ;   in Loop: Header=BB128_3 Depth=1
	s_or_b32 exec_lo, exec_lo, s44
	s_wait_dscnt 0x0
	s_barrier_signal -1
	s_barrier_wait -1
	s_barrier_signal -1
	s_barrier_wait -1
	s_and_saveexec_b32 s44, s3
; %bb.700:                              ;   in Loop: Header=BB128_3 Depth=1
	v_xor_b32_e32 v1, 0x80000000, v1
	ds_store_b64 v57, v[0:1] offset:20832
; %bb.701:                              ;   in Loop: Header=BB128_3 Depth=1
	s_or_b32 exec_lo, exec_lo, s44
	s_wait_dscnt 0x0
	s_barrier_signal -1
	s_barrier_wait -1
	s_barrier_signal -1
	s_barrier_wait -1
	s_and_saveexec_b32 s44, s98
	s_cbranch_execz .LBB128_703
; %bb.702:                              ;   in Loop: Header=BB128_3 Depth=1
	ds_load_b64 v[0:1], v75 offset:20832
	s_wait_dscnt 0x0
	ds_store_b64 v11, v[0:1] offset:22848
	ds_load_b64 v[0:1], v75 offset:20840
	s_wait_dscnt 0x0
	ds_store_b64 v11, v[0:1] offset:23360
	;; [unrolled: 3-line block ×4, first 2 shown]
.LBB128_703:                            ;   in Loop: Header=BB128_3 Depth=1
	s_or_b32 exec_lo, exec_lo, s44
	s_wait_dscnt 0x0
	s_barrier_signal -1
	s_barrier_wait -1
	s_and_saveexec_b32 s44, s10
	s_cbranch_execz .LBB128_705
; %bb.704:                              ;   in Loop: Header=BB128_3 Depth=1
	ds_load_b64 v[0:1], v5 offset:22888
	v_mov_b32_e32 v2, v5
	ds_store_b64 v5, v[30:31] offset:22880
	s_wait_dscnt 0x1
	ds_store_b128 v5, v[0:3] offset:23392
.LBB128_705:                            ;   in Loop: Header=BB128_3 Depth=1
	s_or_b32 exec_lo, exec_lo, s44
	v_mov_b64_e32 v[0:1], 0
	s_wait_dscnt 0x0
	s_barrier_signal -1
	s_barrier_wait -1
	s_and_saveexec_b32 s44, s1
	s_cbranch_execz .LBB128_709
; %bb.706:                              ;   in Loop: Header=BB128_3 Depth=1
	ds_load_b64 v[0:1], v50 offset:22896
	ds_load_b64 v[46:47], v51 offset:22880
	s_wait_dscnt 0x0
	v_fma_f64 v[0:1], v[0:1], v[46:47], 0
	s_and_saveexec_b32 s45, s11
	s_cbranch_execz .LBB128_708
; %bb.707:                              ;   in Loop: Header=BB128_3 Depth=1
	ds_load_b64 v[46:47], v11 offset:23408
	ds_load_b64 v[48:49], v5 offset:22888
	s_wait_dscnt 0x0
	v_fmac_f64_e32 v[0:1], v[46:47], v[48:49]
.LBB128_708:                            ;   in Loop: Header=BB128_3 Depth=1
	s_or_b32 exec_lo, exec_lo, s45
	s_delay_alu instid0(VALU_DEP_1)
	v_xor_b32_e32 v1, 0x80000000, v1
.LBB128_709:                            ;   in Loop: Header=BB128_3 Depth=1
	s_or_b32 exec_lo, exec_lo, s44
	s_and_saveexec_b32 s44, s89
; %bb.710:                              ;   in Loop: Header=BB128_3 Depth=1
	ds_store_b64 v7, v[0:1]
; %bb.711:                              ;   in Loop: Header=BB128_3 Depth=1
	s_or_b32 exec_lo, exec_lo, s44
	s_wait_dscnt 0x0
	s_barrier_signal -1
	s_barrier_wait -1
	s_and_saveexec_b32 s44, s90
	s_cbranch_execz .LBB128_713
; %bb.712:                              ;   in Loop: Header=BB128_3 Depth=1
	ds_load_b64 v[46:47], v5 offset:23928
	ds_load_b64 v[48:49], v7
	s_wait_dscnt 0x0
	v_fmac_f64_e32 v[0:1], v[46:47], v[48:49]
.LBB128_713:                            ;   in Loop: Header=BB128_3 Depth=1
	s_or_b32 exec_lo, exec_lo, s44
	s_barrier_signal -1
	s_barrier_wait -1
	s_and_saveexec_b32 s44, s90
; %bb.714:                              ;   in Loop: Header=BB128_3 Depth=1
	ds_store_b64 v7, v[0:1]
; %bb.715:                              ;   in Loop: Header=BB128_3 Depth=1
	s_or_b32 exec_lo, exec_lo, s44
	s_wait_dscnt 0x0
	s_barrier_signal -1
	s_barrier_wait -1
	s_barrier_signal -1
	s_barrier_wait -1
	s_and_saveexec_b32 s44, s1
; %bb.716:                              ;   in Loop: Header=BB128_3 Depth=1
	v_xor_b32_e32 v1, 0x80000000, v1
	ds_store_b64 v50, v[0:1] offset:22896
; %bb.717:                              ;   in Loop: Header=BB128_3 Depth=1
	s_or_b32 exec_lo, exec_lo, s44
	s_wait_dscnt 0x0
	s_barrier_signal -1
	s_barrier_wait -1
	s_barrier_signal -1
	s_barrier_wait -1
	s_and_saveexec_b32 s44, s91
	s_cbranch_execz .LBB128_719
; %bb.718:                              ;   in Loop: Header=BB128_3 Depth=1
	ds_load_b64 v[0:1], v81 offset:22896
	s_wait_dscnt 0x0
	ds_store_b64 v11, v[0:1] offset:23904
	ds_load_b64 v[0:1], v81 offset:22904
	s_wait_dscnt 0x0
	ds_store_b64 v11, v[0:1] offset:24416
.LBB128_719:                            ;   in Loop: Header=BB128_3 Depth=1
	s_or_b32 exec_lo, exec_lo, s44
	s_wait_dscnt 0x0
	s_barrier_signal -1
	s_barrier_wait -1
	s_and_saveexec_b32 s44, s10
	s_cbranch_execz .LBB128_721
; %bb.720:                              ;   in Loop: Header=BB128_3 Depth=1
	ds_load_b64 v[0:1], v5 offset:23928
	v_mov_b32_e32 v2, v5
	ds_store_b64 v5, v[30:31] offset:23920
	s_wait_dscnt 0x1
	ds_store_b128 v5, v[0:3] offset:24432
.LBB128_721:                            ;   in Loop: Header=BB128_3 Depth=1
	s_or_b32 exec_lo, exec_lo, s44
	v_mov_b64_e32 v[0:1], 0
	s_wait_dscnt 0x0
	s_barrier_signal -1
	s_barrier_wait -1
	s_and_saveexec_b32 s82, s5
	s_cbranch_execz .LBB128_749
; %bb.722:                              ;   in Loop: Header=BB128_3 Depth=1
	ds_load_b64 v[0:1], v77 offset:16768
	ds_load_b64 v[46:47], v73 offset:16640
	s_wait_dscnt 0x0
	v_fma_f64 v[0:1], v[0:1], v[46:47], 0
	s_mov_b32 s44, exec_lo
	v_readlane_b32 s45, v103, 21
	s_and_b32 s45, s44, s45
	s_delay_alu instid0(SALU_CYCLE_1)
	s_mov_b32 exec_lo, s45
	s_cbranch_execz .LBB128_724
; %bb.723:                              ;   in Loop: Header=BB128_3 Depth=1
	ds_load_b64 v[46:47], v78 offset:17280
	ds_load_b64 v[48:49], v73 offset:16648
	s_wait_dscnt 0x0
	v_fmac_f64_e32 v[0:1], v[46:47], v[48:49]
.LBB128_724:                            ;   in Loop: Header=BB128_3 Depth=1
	s_or_b32 exec_lo, exec_lo, s44
	s_delay_alu instid0(SALU_CYCLE_1) | instskip(SKIP_2) | instid1(SALU_CYCLE_1)
	s_mov_b32 s44, exec_lo
	v_readlane_b32 s45, v103, 22
	s_and_b32 s45, s44, s45
	s_mov_b32 exec_lo, s45
	s_cbranch_execz .LBB128_726
; %bb.725:                              ;   in Loop: Header=BB128_3 Depth=1
	ds_load_b64 v[46:47], v78 offset:17792
	ds_load_b64 v[48:49], v73 offset:16656
	s_wait_dscnt 0x0
	v_fmac_f64_e32 v[0:1], v[46:47], v[48:49]
.LBB128_726:                            ;   in Loop: Header=BB128_3 Depth=1
	s_or_b32 exec_lo, exec_lo, s44
	s_delay_alu instid0(SALU_CYCLE_1) | instskip(SKIP_2) | instid1(SALU_CYCLE_1)
	s_mov_b32 s44, exec_lo
	v_readlane_b32 s45, v103, 23
	s_and_b32 s45, s44, s45
	s_mov_b32 exec_lo, s45
	s_cbranch_execz .LBB128_728
; %bb.727:                              ;   in Loop: Header=BB128_3 Depth=1
	ds_load_b64 v[46:47], v78 offset:18304
	ds_load_b64 v[48:49], v73 offset:16664
	s_wait_dscnt 0x0
	v_fmac_f64_e32 v[0:1], v[46:47], v[48:49]
.LBB128_728:                            ;   in Loop: Header=BB128_3 Depth=1
	s_or_b32 exec_lo, exec_lo, s44
	s_delay_alu instid0(SALU_CYCLE_1) | instskip(SKIP_2) | instid1(SALU_CYCLE_1)
	s_mov_b32 s44, exec_lo
	v_readlane_b32 s45, v103, 24
	s_and_b32 s45, s44, s45
	s_mov_b32 exec_lo, s45
	s_cbranch_execz .LBB128_730
; %bb.729:                              ;   in Loop: Header=BB128_3 Depth=1
	ds_load_b64 v[46:47], v78 offset:18816
	ds_load_b64 v[48:49], v73 offset:16672
	s_wait_dscnt 0x0
	v_fmac_f64_e32 v[0:1], v[46:47], v[48:49]
.LBB128_730:                            ;   in Loop: Header=BB128_3 Depth=1
	s_or_b32 exec_lo, exec_lo, s44
	s_delay_alu instid0(SALU_CYCLE_1) | instskip(SKIP_2) | instid1(SALU_CYCLE_1)
	s_mov_b32 s44, exec_lo
	v_readlane_b32 s45, v103, 25
	s_and_b32 s45, s44, s45
	s_mov_b32 exec_lo, s45
	s_cbranch_execz .LBB128_732
; %bb.731:                              ;   in Loop: Header=BB128_3 Depth=1
	ds_load_b64 v[46:47], v78 offset:19328
	ds_load_b64 v[48:49], v73 offset:16680
	s_wait_dscnt 0x0
	v_fmac_f64_e32 v[0:1], v[46:47], v[48:49]
.LBB128_732:                            ;   in Loop: Header=BB128_3 Depth=1
	s_or_b32 exec_lo, exec_lo, s44
	s_delay_alu instid0(SALU_CYCLE_1) | instskip(SKIP_2) | instid1(SALU_CYCLE_1)
	s_mov_b32 s44, exec_lo
	v_readlane_b32 s45, v103, 26
	s_and_b32 s45, s44, s45
	s_mov_b32 exec_lo, s45
	s_cbranch_execz .LBB128_734
; %bb.733:                              ;   in Loop: Header=BB128_3 Depth=1
	ds_load_b64 v[46:47], v78 offset:19840
	ds_load_b64 v[48:49], v73 offset:16688
	s_wait_dscnt 0x0
	v_fmac_f64_e32 v[0:1], v[46:47], v[48:49]
.LBB128_734:                            ;   in Loop: Header=BB128_3 Depth=1
	s_or_b32 exec_lo, exec_lo, s44
	s_delay_alu instid0(SALU_CYCLE_1) | instskip(SKIP_2) | instid1(SALU_CYCLE_1)
	s_mov_b32 s44, exec_lo
	v_readlane_b32 s45, v103, 27
	s_and_b32 s45, s44, s45
	s_mov_b32 exec_lo, s45
	s_cbranch_execz .LBB128_736
; %bb.735:                              ;   in Loop: Header=BB128_3 Depth=1
	ds_load_b64 v[46:47], v78 offset:20352
	ds_load_b64 v[48:49], v73 offset:16696
	s_wait_dscnt 0x0
	v_fmac_f64_e32 v[0:1], v[46:47], v[48:49]
.LBB128_736:                            ;   in Loop: Header=BB128_3 Depth=1
	s_or_b32 exec_lo, exec_lo, s44
	s_delay_alu instid0(SALU_CYCLE_1) | instskip(SKIP_2) | instid1(SALU_CYCLE_1)
	s_mov_b32 s44, exec_lo
	v_readlane_b32 s45, v103, 28
	s_and_b32 s45, s44, s45
	s_mov_b32 exec_lo, s45
	s_cbranch_execz .LBB128_738
; %bb.737:                              ;   in Loop: Header=BB128_3 Depth=1
	ds_load_b64 v[46:47], v77 offset:20864
	ds_load_b64 v[48:49], v73 offset:16704
	s_wait_dscnt 0x0
	v_fmac_f64_e32 v[0:1], v[46:47], v[48:49]
.LBB128_738:                            ;   in Loop: Header=BB128_3 Depth=1
	s_or_b32 exec_lo, exec_lo, s44
	s_delay_alu instid0(SALU_CYCLE_1) | instskip(SKIP_2) | instid1(SALU_CYCLE_1)
	s_mov_b32 s44, exec_lo
	v_readlane_b32 s45, v103, 29
	s_and_b32 s45, s44, s45
	s_mov_b32 exec_lo, s45
	s_cbranch_execz .LBB128_740
; %bb.739:                              ;   in Loop: Header=BB128_3 Depth=1
	ds_load_b64 v[46:47], v78 offset:21376
	ds_load_b64 v[48:49], v73 offset:16712
	s_wait_dscnt 0x0
	v_fmac_f64_e32 v[0:1], v[46:47], v[48:49]
.LBB128_740:                            ;   in Loop: Header=BB128_3 Depth=1
	s_or_b32 exec_lo, exec_lo, s44
	s_delay_alu instid0(SALU_CYCLE_1) | instskip(SKIP_2) | instid1(SALU_CYCLE_1)
	s_mov_b32 s44, exec_lo
	v_readlane_b32 s45, v103, 30
	s_and_b32 s45, s44, s45
	s_mov_b32 exec_lo, s45
	s_cbranch_execz .LBB128_742
; %bb.741:                              ;   in Loop: Header=BB128_3 Depth=1
	ds_load_b64 v[46:47], v78 offset:21888
	ds_load_b64 v[48:49], v73 offset:16720
	s_wait_dscnt 0x0
	v_fmac_f64_e32 v[0:1], v[46:47], v[48:49]
.LBB128_742:                            ;   in Loop: Header=BB128_3 Depth=1
	s_or_b32 exec_lo, exec_lo, s44
	s_delay_alu instid0(SALU_CYCLE_1) | instskip(SKIP_2) | instid1(SALU_CYCLE_1)
	s_mov_b32 s44, exec_lo
	v_readlane_b32 s45, v103, 31
	s_and_b32 s45, s44, s45
	s_mov_b32 exec_lo, s45
	s_cbranch_execnz .LBB128_1103
; %bb.743:                              ;   in Loop: Header=BB128_3 Depth=1
	s_or_b32 exec_lo, exec_lo, s44
	s_and_saveexec_b32 s44, s4
	s_cbranch_execnz .LBB128_1104
.LBB128_744:                            ;   in Loop: Header=BB128_3 Depth=1
	s_or_b32 exec_lo, exec_lo, s44
	s_and_saveexec_b32 s44, s15
	s_cbranch_execnz .LBB128_1105
.LBB128_745:                            ;   in Loop: Header=BB128_3 Depth=1
	s_or_b32 exec_lo, exec_lo, s44
	s_and_saveexec_b32 s44, s17
	s_cbranch_execnz .LBB128_1106
.LBB128_746:                            ;   in Loop: Header=BB128_3 Depth=1
	s_or_b32 exec_lo, exec_lo, s44
	s_and_saveexec_b32 s44, s3
	s_cbranch_execz .LBB128_748
.LBB128_747:                            ;   in Loop: Header=BB128_3 Depth=1
	ds_load_b64 v[46:47], v52 offset:24448
	ds_load_b64 v[48:49], v5 offset:16760
	s_wait_dscnt 0x0
	v_fmac_f64_e32 v[0:1], v[46:47], v[48:49]
.LBB128_748:                            ;   in Loop: Header=BB128_3 Depth=1
	s_or_b32 exec_lo, exec_lo, s44
	s_delay_alu instid0(VALU_DEP_1)
	v_xor_b32_e32 v1, 0x80000000, v1
.LBB128_749:                            ;   in Loop: Header=BB128_3 Depth=1
	s_or_b32 exec_lo, exec_lo, s82
	s_delay_alu instid0(SALU_CYCLE_1) | instskip(SKIP_2) | instid1(SALU_CYCLE_1)
	s_mov_b32 s44, exec_lo
	v_readlane_b32 s45, v103, 2
	s_and_b32 s45, s44, s45
	s_mov_b32 exec_lo, s45
; %bb.750:                              ;   in Loop: Header=BB128_3 Depth=1
	ds_store_b64 v76, v[0:1]
; %bb.751:                              ;   in Loop: Header=BB128_3 Depth=1
	s_or_b32 exec_lo, exec_lo, s44
	s_wait_dscnt 0x0
	s_barrier_signal -1
	s_barrier_wait -1
	s_mov_b32 s44, exec_lo
	v_readlane_b32 s45, v103, 3
	s_and_b32 s45, s44, s45
	s_delay_alu instid0(SALU_CYCLE_1)
	s_mov_b32 exec_lo, s45
	s_cbranch_execz .LBB128_753
; %bb.752:                              ;   in Loop: Header=BB128_3 Depth=1
	ds_load_b64 v[46:47], v74 offset:24960
	ds_load_b64 v[48:49], v76
	s_wait_dscnt 0x0
	v_fmac_f64_e32 v[0:1], v[46:47], v[48:49]
.LBB128_753:                            ;   in Loop: Header=BB128_3 Depth=1
	s_or_b32 exec_lo, exec_lo, s44
	s_barrier_signal -1
	s_barrier_wait -1
	s_mov_b32 s44, exec_lo
	v_readlane_b32 s45, v103, 4
	s_and_b32 s45, s44, s45
	s_delay_alu instid0(SALU_CYCLE_1)
	s_mov_b32 exec_lo, s45
; %bb.754:                              ;   in Loop: Header=BB128_3 Depth=1
	ds_store_b64 v76, v[0:1]
; %bb.755:                              ;   in Loop: Header=BB128_3 Depth=1
	s_or_b32 exec_lo, exec_lo, s44
	s_wait_dscnt 0x0
	s_barrier_signal -1
	s_barrier_wait -1
	s_mov_b32 s44, exec_lo
	v_readlane_b32 s45, v103, 5
	s_and_b32 s45, s44, s45
	s_delay_alu instid0(SALU_CYCLE_1)
	s_mov_b32 exec_lo, s45
	s_cbranch_execz .LBB128_757
; %bb.756:                              ;   in Loop: Header=BB128_3 Depth=1
	ds_load_b64 v[46:47], v74 offset:25472
	ds_load_b64 v[48:49], v76
	s_wait_dscnt 0x0
	v_fmac_f64_e32 v[0:1], v[46:47], v[48:49]
.LBB128_757:                            ;   in Loop: Header=BB128_3 Depth=1
	s_or_b32 exec_lo, exec_lo, s44
	s_barrier_signal -1
	s_barrier_wait -1
	s_mov_b32 s44, exec_lo
	v_readlane_b32 s45, v103, 6
	s_and_b32 s45, s44, s45
	s_delay_alu instid0(SALU_CYCLE_1)
	;; [unrolled: 27-line block ×4, first 2 shown]
	s_mov_b32 exec_lo, s45
; %bb.766:                              ;   in Loop: Header=BB128_3 Depth=1
	ds_store_b64 v76, v[0:1]
; %bb.767:                              ;   in Loop: Header=BB128_3 Depth=1
	s_or_b32 exec_lo, exec_lo, s44
	s_wait_dscnt 0x0
	s_barrier_signal -1
	s_barrier_wait -1
	s_and_saveexec_b32 s44, s49
	s_cbranch_execz .LBB128_769
; %bb.768:                              ;   in Loop: Header=BB128_3 Depth=1
	ds_load_b64 v[46:47], v74 offset:27008
	ds_load_b64 v[48:49], v76
	s_wait_dscnt 0x0
	v_fmac_f64_e32 v[0:1], v[46:47], v[48:49]
.LBB128_769:                            ;   in Loop: Header=BB128_3 Depth=1
	s_or_b32 exec_lo, exec_lo, s44
	s_barrier_signal -1
	s_barrier_wait -1
	s_and_saveexec_b32 s44, s50
; %bb.770:                              ;   in Loop: Header=BB128_3 Depth=1
	ds_store_b64 v76, v[0:1]
; %bb.771:                              ;   in Loop: Header=BB128_3 Depth=1
	s_or_b32 exec_lo, exec_lo, s44
	s_wait_dscnt 0x0
	s_barrier_signal -1
	s_barrier_wait -1
	s_and_saveexec_b32 s44, s51
	s_cbranch_execz .LBB128_773
; %bb.772:                              ;   in Loop: Header=BB128_3 Depth=1
	ds_load_b64 v[46:47], v74 offset:27520
	ds_load_b64 v[48:49], v76
	s_wait_dscnt 0x0
	v_fmac_f64_e32 v[0:1], v[46:47], v[48:49]
.LBB128_773:                            ;   in Loop: Header=BB128_3 Depth=1
	s_or_b32 exec_lo, exec_lo, s44
	s_barrier_signal -1
	s_barrier_wait -1
	s_and_saveexec_b32 s44, s52
	;; [unrolled: 19-line block ×11, first 2 shown]
; %bb.810:                              ;   in Loop: Header=BB128_3 Depth=1
	ds_store_b64 v76, v[0:1]
; %bb.811:                              ;   in Loop: Header=BB128_3 Depth=1
	s_or_b32 exec_lo, exec_lo, s44
	s_wait_dscnt 0x0
	s_barrier_signal -1
	s_barrier_wait -1
	s_barrier_signal -1
	s_barrier_wait -1
	s_and_saveexec_b32 s44, s5
; %bb.812:                              ;   in Loop: Header=BB128_3 Depth=1
	v_xor_b32_e32 v1, 0x80000000, v1
	ds_store_b64 v77, v[0:1] offset:16768
; %bb.813:                              ;   in Loop: Header=BB128_3 Depth=1
	s_or_b32 exec_lo, exec_lo, s44
	s_wait_dscnt 0x0
	s_barrier_signal -1
	s_barrier_wait -1
	s_barrier_signal -1
	s_barrier_wait -1
	s_and_saveexec_b32 s44, s87
	s_cbranch_execz .LBB128_815
; %bb.814:                              ;   in Loop: Header=BB128_3 Depth=1
	ds_load_b64 v[0:1], v55 offset:16768
	s_wait_dscnt 0x0
	ds_store_b64 v59, v[0:1] offset:24832
	ds_load_b64 v[0:1], v55 offset:16776
	s_wait_dscnt 0x0
	ds_store_b64 v59, v[0:1] offset:25344
	;; [unrolled: 3-line block ×16, first 2 shown]
.LBB128_815:                            ;   in Loop: Header=BB128_3 Depth=1
	s_or_b32 exec_lo, exec_lo, s44
	s_wait_dscnt 0x0
	s_barrier_signal -1
	s_barrier_wait -1
	s_and_saveexec_b32 s44, s10
	s_cbranch_execz .LBB128_817
; %bb.816:                              ;   in Loop: Header=BB128_3 Depth=1
	ds_load_b64 v[0:1], v5 offset:24968
	v_mov_b32_e32 v2, v5
	ds_store_b64 v5, v[30:31] offset:24960
	s_wait_dscnt 0x1
	ds_store_b128 v5, v[0:3] offset:25472
.LBB128_817:                            ;   in Loop: Header=BB128_3 Depth=1
	s_or_b32 exec_lo, exec_lo, s44
	v_mov_b64_e32 v[0:1], 0
	s_wait_dscnt 0x0
	s_barrier_signal -1
	s_barrier_wait -1
	s_and_saveexec_b32 s44, s1
	s_cbranch_execz .LBB128_821
; %bb.818:                              ;   in Loop: Header=BB128_3 Depth=1
	ds_load_b64 v[0:1], v50 offset:24976
	ds_load_b64 v[46:47], v51 offset:24960
	s_wait_dscnt 0x0
	v_fma_f64 v[0:1], v[0:1], v[46:47], 0
	s_and_saveexec_b32 s45, s11
	s_cbranch_execz .LBB128_820
; %bb.819:                              ;   in Loop: Header=BB128_3 Depth=1
	ds_load_b64 v[46:47], v52 offset:25488
	ds_load_b64 v[48:49], v5 offset:24968
	s_wait_dscnt 0x0
	v_fmac_f64_e32 v[0:1], v[46:47], v[48:49]
.LBB128_820:                            ;   in Loop: Header=BB128_3 Depth=1
	s_or_b32 exec_lo, exec_lo, s45
	s_delay_alu instid0(VALU_DEP_1)
	v_xor_b32_e32 v1, 0x80000000, v1
.LBB128_821:                            ;   in Loop: Header=BB128_3 Depth=1
	s_or_b32 exec_lo, exec_lo, s44
	s_and_saveexec_b32 s44, s89
; %bb.822:                              ;   in Loop: Header=BB128_3 Depth=1
	ds_store_b64 v7, v[0:1]
; %bb.823:                              ;   in Loop: Header=BB128_3 Depth=1
	s_or_b32 exec_lo, exec_lo, s44
	s_wait_dscnt 0x0
	s_barrier_signal -1
	s_barrier_wait -1
	s_and_saveexec_b32 s44, s90
	s_cbranch_execz .LBB128_825
; %bb.824:                              ;   in Loop: Header=BB128_3 Depth=1
	ds_load_b64 v[46:47], v5 offset:26008
	ds_load_b64 v[48:49], v7
	s_wait_dscnt 0x0
	v_fmac_f64_e32 v[0:1], v[46:47], v[48:49]
.LBB128_825:                            ;   in Loop: Header=BB128_3 Depth=1
	s_or_b32 exec_lo, exec_lo, s44
	s_barrier_signal -1
	s_barrier_wait -1
	s_and_saveexec_b32 s44, s90
; %bb.826:                              ;   in Loop: Header=BB128_3 Depth=1
	ds_store_b64 v7, v[0:1]
; %bb.827:                              ;   in Loop: Header=BB128_3 Depth=1
	s_or_b32 exec_lo, exec_lo, s44
	s_wait_dscnt 0x0
	s_barrier_signal -1
	s_barrier_wait -1
	s_barrier_signal -1
	s_barrier_wait -1
	s_and_saveexec_b32 s44, s1
; %bb.828:                              ;   in Loop: Header=BB128_3 Depth=1
	v_xor_b32_e32 v1, 0x80000000, v1
	ds_store_b64 v50, v[0:1] offset:24976
; %bb.829:                              ;   in Loop: Header=BB128_3 Depth=1
	s_or_b32 exec_lo, exec_lo, s44
	s_wait_dscnt 0x0
	s_barrier_signal -1
	s_barrier_wait -1
	s_barrier_signal -1
	s_barrier_wait -1
	s_and_saveexec_b32 s44, s91
	s_cbranch_execz .LBB128_831
; %bb.830:                              ;   in Loop: Header=BB128_3 Depth=1
	ds_load_b64 v[0:1], v55 offset:24976
	s_wait_dscnt 0x0
	ds_store_b64 v52, v[0:1] offset:25984
	ds_load_b64 v[0:1], v55 offset:24984
	s_wait_dscnt 0x0
	ds_store_b64 v52, v[0:1] offset:26496
.LBB128_831:                            ;   in Loop: Header=BB128_3 Depth=1
	s_or_b32 exec_lo, exec_lo, s44
	s_wait_dscnt 0x0
	s_barrier_signal -1
	s_barrier_wait -1
	s_and_saveexec_b32 s44, s10
	s_cbranch_execz .LBB128_833
; %bb.832:                              ;   in Loop: Header=BB128_3 Depth=1
	ds_load_b64 v[0:1], v5 offset:26008
	v_mov_b32_e32 v2, v5
	ds_store_b64 v5, v[30:31] offset:26000
	s_wait_dscnt 0x1
	ds_store_b128 v5, v[0:3] offset:26512
.LBB128_833:                            ;   in Loop: Header=BB128_3 Depth=1
	s_or_b32 exec_lo, exec_lo, s44
	v_mov_b64_e32 v[0:1], 0
	s_wait_dscnt 0x0
	s_barrier_signal -1
	s_barrier_wait -1
	s_and_saveexec_b32 s44, s3
	s_cbranch_execz .LBB128_839
; %bb.834:                              ;   in Loop: Header=BB128_3 Depth=1
	ds_load_b64 v[0:1], v57 offset:24992
	ds_load_b64 v[46:47], v53 offset:24960
	s_wait_dscnt 0x0
	v_fma_f64 v[0:1], v[0:1], v[46:47], 0
	s_and_saveexec_b32 s45, s12
	s_cbranch_execnz .LBB128_1107
; %bb.835:                              ;   in Loop: Header=BB128_3 Depth=1
	s_or_b32 exec_lo, exec_lo, s45
	s_and_saveexec_b32 s45, s13
	s_cbranch_execnz .LBB128_1108
.LBB128_836:                            ;   in Loop: Header=BB128_3 Depth=1
	s_or_b32 exec_lo, exec_lo, s45
	s_and_saveexec_b32 s45, s1
	s_cbranch_execz .LBB128_838
.LBB128_837:                            ;   in Loop: Header=BB128_3 Depth=1
	ds_load_b64 v[46:47], v59 offset:26528
	ds_load_b64 v[48:49], v5 offset:24984
	s_wait_dscnt 0x0
	v_fmac_f64_e32 v[0:1], v[46:47], v[48:49]
.LBB128_838:                            ;   in Loop: Header=BB128_3 Depth=1
	s_or_b32 exec_lo, exec_lo, s45
	s_delay_alu instid0(VALU_DEP_1)
	v_xor_b32_e32 v1, 0x80000000, v1
.LBB128_839:                            ;   in Loop: Header=BB128_3 Depth=1
	s_or_b32 exec_lo, exec_lo, s44
	s_and_saveexec_b32 s44, s92
; %bb.840:                              ;   in Loop: Header=BB128_3 Depth=1
	ds_store_b64 v56, v[0:1]
; %bb.841:                              ;   in Loop: Header=BB128_3 Depth=1
	s_or_b32 exec_lo, exec_lo, s44
	s_wait_dscnt 0x0
	s_barrier_signal -1
	s_barrier_wait -1
	s_and_saveexec_b32 s44, s93
	s_cbranch_execz .LBB128_843
; %bb.842:                              ;   in Loop: Header=BB128_3 Depth=1
	ds_load_b64 v[46:47], v54 offset:27040
	ds_load_b64 v[48:49], v56
	s_wait_dscnt 0x0
	v_fmac_f64_e32 v[0:1], v[46:47], v[48:49]
.LBB128_843:                            ;   in Loop: Header=BB128_3 Depth=1
	s_or_b32 exec_lo, exec_lo, s44
	s_barrier_signal -1
	s_barrier_wait -1
	s_and_saveexec_b32 s44, s94
; %bb.844:                              ;   in Loop: Header=BB128_3 Depth=1
	ds_store_b64 v56, v[0:1]
; %bb.845:                              ;   in Loop: Header=BB128_3 Depth=1
	s_or_b32 exec_lo, exec_lo, s44
	s_wait_dscnt 0x0
	s_barrier_signal -1
	s_barrier_wait -1
	s_and_saveexec_b32 s44, s95
	s_cbranch_execz .LBB128_847
; %bb.846:                              ;   in Loop: Header=BB128_3 Depth=1
	ds_load_b64 v[46:47], v54 offset:27552
	ds_load_b64 v[48:49], v56
	s_wait_dscnt 0x0
	v_fmac_f64_e32 v[0:1], v[46:47], v[48:49]
.LBB128_847:                            ;   in Loop: Header=BB128_3 Depth=1
	s_or_b32 exec_lo, exec_lo, s44
	s_barrier_signal -1
	s_barrier_wait -1
	;; [unrolled: 19-line block ×3, first 2 shown]
	s_and_saveexec_b32 s44, s97
; %bb.852:                              ;   in Loop: Header=BB128_3 Depth=1
	ds_store_b64 v56, v[0:1]
; %bb.853:                              ;   in Loop: Header=BB128_3 Depth=1
	s_or_b32 exec_lo, exec_lo, s44
	s_wait_dscnt 0x0
	s_barrier_signal -1
	s_barrier_wait -1
	s_barrier_signal -1
	s_barrier_wait -1
	s_and_saveexec_b32 s44, s3
; %bb.854:                              ;   in Loop: Header=BB128_3 Depth=1
	v_xor_b32_e32 v1, 0x80000000, v1
	ds_store_b64 v57, v[0:1] offset:24992
; %bb.855:                              ;   in Loop: Header=BB128_3 Depth=1
	s_or_b32 exec_lo, exec_lo, s44
	s_wait_dscnt 0x0
	s_barrier_signal -1
	s_barrier_wait -1
	s_barrier_signal -1
	s_barrier_wait -1
	s_and_saveexec_b32 s44, s98
	s_cbranch_execz .LBB128_857
; %bb.856:                              ;   in Loop: Header=BB128_3 Depth=1
	ds_load_b64 v[0:1], v60 offset:24992
	s_wait_dscnt 0x0
	ds_store_b64 v62, v[0:1] offset:27008
	ds_load_b64 v[0:1], v60 offset:25000
	s_wait_dscnt 0x0
	ds_store_b64 v62, v[0:1] offset:27520
	;; [unrolled: 3-line block ×4, first 2 shown]
.LBB128_857:                            ;   in Loop: Header=BB128_3 Depth=1
	s_or_b32 exec_lo, exec_lo, s44
	s_wait_dscnt 0x0
	s_barrier_signal -1
	s_barrier_wait -1
	s_and_saveexec_b32 s44, s10
	s_cbranch_execz .LBB128_859
; %bb.858:                              ;   in Loop: Header=BB128_3 Depth=1
	ds_load_b64 v[0:1], v5 offset:27048
	v_mov_b32_e32 v2, v5
	ds_store_b64 v5, v[30:31] offset:27040
	s_wait_dscnt 0x1
	ds_store_b128 v5, v[0:3] offset:27552
.LBB128_859:                            ;   in Loop: Header=BB128_3 Depth=1
	s_or_b32 exec_lo, exec_lo, s44
	v_mov_b64_e32 v[0:1], 0
	s_wait_dscnt 0x0
	s_barrier_signal -1
	s_barrier_wait -1
	s_and_saveexec_b32 s44, s1
	s_cbranch_execz .LBB128_863
; %bb.860:                              ;   in Loop: Header=BB128_3 Depth=1
	ds_load_b64 v[0:1], v50 offset:27056
	ds_load_b64 v[46:47], v51 offset:27040
	s_wait_dscnt 0x0
	v_fma_f64 v[0:1], v[0:1], v[46:47], 0
	s_and_saveexec_b32 s45, s11
	s_cbranch_execz .LBB128_862
; %bb.861:                              ;   in Loop: Header=BB128_3 Depth=1
	ds_load_b64 v[46:47], v62 offset:27568
	ds_load_b64 v[48:49], v5 offset:27048
	s_wait_dscnt 0x0
	v_fmac_f64_e32 v[0:1], v[46:47], v[48:49]
.LBB128_862:                            ;   in Loop: Header=BB128_3 Depth=1
	s_or_b32 exec_lo, exec_lo, s45
	s_delay_alu instid0(VALU_DEP_1)
	v_xor_b32_e32 v1, 0x80000000, v1
.LBB128_863:                            ;   in Loop: Header=BB128_3 Depth=1
	s_or_b32 exec_lo, exec_lo, s44
	s_and_saveexec_b32 s44, s89
; %bb.864:                              ;   in Loop: Header=BB128_3 Depth=1
	ds_store_b64 v7, v[0:1]
; %bb.865:                              ;   in Loop: Header=BB128_3 Depth=1
	s_or_b32 exec_lo, exec_lo, s44
	s_wait_dscnt 0x0
	s_barrier_signal -1
	s_barrier_wait -1
	s_and_saveexec_b32 s44, s90
	s_cbranch_execz .LBB128_867
; %bb.866:                              ;   in Loop: Header=BB128_3 Depth=1
	ds_load_b64 v[46:47], v5 offset:28088
	ds_load_b64 v[48:49], v7
	s_wait_dscnt 0x0
	v_fmac_f64_e32 v[0:1], v[46:47], v[48:49]
.LBB128_867:                            ;   in Loop: Header=BB128_3 Depth=1
	s_or_b32 exec_lo, exec_lo, s44
	s_barrier_signal -1
	s_barrier_wait -1
	s_and_saveexec_b32 s44, s90
; %bb.868:                              ;   in Loop: Header=BB128_3 Depth=1
	ds_store_b64 v7, v[0:1]
; %bb.869:                              ;   in Loop: Header=BB128_3 Depth=1
	s_or_b32 exec_lo, exec_lo, s44
	s_wait_dscnt 0x0
	s_barrier_signal -1
	s_barrier_wait -1
	s_barrier_signal -1
	s_barrier_wait -1
	s_and_saveexec_b32 s44, s1
; %bb.870:                              ;   in Loop: Header=BB128_3 Depth=1
	v_xor_b32_e32 v1, 0x80000000, v1
	ds_store_b64 v50, v[0:1] offset:27056
; %bb.871:                              ;   in Loop: Header=BB128_3 Depth=1
	s_or_b32 exec_lo, exec_lo, s44
	s_wait_dscnt 0x0
	s_barrier_signal -1
	s_barrier_wait -1
	s_barrier_signal -1
	s_barrier_wait -1
	s_and_saveexec_b32 s44, s91
	s_cbranch_execz .LBB128_873
; %bb.872:                              ;   in Loop: Header=BB128_3 Depth=1
	ds_load_b64 v[0:1], v64 offset:27056
	s_wait_dscnt 0x0
	ds_store_b64 v62, v[0:1] offset:28064
	ds_load_b64 v[0:1], v64 offset:27064
	s_wait_dscnt 0x0
	ds_store_b64 v62, v[0:1] offset:28576
.LBB128_873:                            ;   in Loop: Header=BB128_3 Depth=1
	s_or_b32 exec_lo, exec_lo, s44
	s_wait_dscnt 0x0
	s_barrier_signal -1
	s_barrier_wait -1
	s_and_saveexec_b32 s44, s10
	s_cbranch_execz .LBB128_875
; %bb.874:                              ;   in Loop: Header=BB128_3 Depth=1
	ds_load_b64 v[0:1], v5 offset:28088
	v_mov_b32_e32 v2, v5
	ds_store_b64 v5, v[30:31] offset:28080
	s_wait_dscnt 0x1
	ds_store_b128 v5, v[0:3] offset:28592
.LBB128_875:                            ;   in Loop: Header=BB128_3 Depth=1
	s_or_b32 exec_lo, exec_lo, s44
	v_mov_b64_e32 v[0:1], 0
	s_wait_dscnt 0x0
	s_barrier_signal -1
	s_barrier_wait -1
	s_and_saveexec_b32 s44, s4
	s_cbranch_execz .LBB128_885
; %bb.876:                              ;   in Loop: Header=BB128_3 Depth=1
	ds_load_b64 v[0:1], v66 offset:25024
	ds_load_b64 v[46:47], v61 offset:24960
	s_wait_dscnt 0x0
	v_fma_f64 v[0:1], v[0:1], v[46:47], 0
	s_and_saveexec_b32 s45, s14
	s_cbranch_execnz .LBB128_1109
; %bb.877:                              ;   in Loop: Header=BB128_3 Depth=1
	s_or_b32 exec_lo, exec_lo, s45
	s_and_saveexec_b32 s45, s15
	s_cbranch_execnz .LBB128_1110
.LBB128_878:                            ;   in Loop: Header=BB128_3 Depth=1
	s_or_b32 exec_lo, exec_lo, s45
	s_and_saveexec_b32 s45, s16
	s_cbranch_execnz .LBB128_1111
.LBB128_879:                            ;   in Loop: Header=BB128_3 Depth=1
	s_or_b32 exec_lo, exec_lo, s45
	s_and_saveexec_b32 s45, s17
	s_cbranch_execnz .LBB128_1112
.LBB128_880:                            ;   in Loop: Header=BB128_3 Depth=1
	s_or_b32 exec_lo, exec_lo, s45
	s_and_saveexec_b32 s45, s18
	s_cbranch_execnz .LBB128_1113
.LBB128_881:                            ;   in Loop: Header=BB128_3 Depth=1
	s_or_b32 exec_lo, exec_lo, s45
	s_and_saveexec_b32 s45, s3
	s_cbranch_execnz .LBB128_1114
.LBB128_882:                            ;   in Loop: Header=BB128_3 Depth=1
	s_or_b32 exec_lo, exec_lo, s45
	s_and_saveexec_b32 s45, s13
	s_cbranch_execz .LBB128_884
.LBB128_883:                            ;   in Loop: Header=BB128_3 Depth=1
	ds_load_b64 v[46:47], v68 offset:28608
	ds_load_b64 v[48:49], v5 offset:25016
	s_wait_dscnt 0x0
	v_fmac_f64_e32 v[0:1], v[46:47], v[48:49]
.LBB128_884:                            ;   in Loop: Header=BB128_3 Depth=1
	s_or_b32 exec_lo, exec_lo, s45
	s_delay_alu instid0(VALU_DEP_1)
	v_xor_b32_e32 v1, 0x80000000, v1
.LBB128_885:                            ;   in Loop: Header=BB128_3 Depth=1
	s_or_b32 exec_lo, exec_lo, s44
	s_and_saveexec_b32 s44, s99
; %bb.886:                              ;   in Loop: Header=BB128_3 Depth=1
	ds_store_b64 v65, v[0:1]
; %bb.887:                              ;   in Loop: Header=BB128_3 Depth=1
	s_or_b32 exec_lo, exec_lo, s44
	s_wait_dscnt 0x0
	s_barrier_signal -1
	s_barrier_wait -1
	s_and_saveexec_b32 s44, s100
	s_cbranch_execz .LBB128_889
; %bb.888:                              ;   in Loop: Header=BB128_3 Depth=1
	ds_load_b64 v[46:47], v63 offset:29120
	ds_load_b64 v[48:49], v65
	s_wait_dscnt 0x0
	v_fmac_f64_e32 v[0:1], v[46:47], v[48:49]
.LBB128_889:                            ;   in Loop: Header=BB128_3 Depth=1
	s_or_b32 exec_lo, exec_lo, s44
	s_barrier_signal -1
	s_barrier_wait -1
	s_and_saveexec_b32 s44, s101
; %bb.890:                              ;   in Loop: Header=BB128_3 Depth=1
	ds_store_b64 v65, v[0:1]
; %bb.891:                              ;   in Loop: Header=BB128_3 Depth=1
	s_or_b32 exec_lo, exec_lo, s44
	s_wait_dscnt 0x0
	s_barrier_signal -1
	s_barrier_wait -1
	s_and_saveexec_b32 s44, s102
	s_cbranch_execz .LBB128_893
; %bb.892:                              ;   in Loop: Header=BB128_3 Depth=1
	ds_load_b64 v[46:47], v63 offset:29632
	ds_load_b64 v[48:49], v65
	s_wait_dscnt 0x0
	v_fmac_f64_e32 v[0:1], v[46:47], v[48:49]
.LBB128_893:                            ;   in Loop: Header=BB128_3 Depth=1
	s_or_b32 exec_lo, exec_lo, s44
	s_barrier_signal -1
	s_barrier_wait -1
	;; [unrolled: 19-line block ×3, first 2 shown]
	s_and_saveexec_b32 s44, vcc_hi
; %bb.898:                              ;   in Loop: Header=BB128_3 Depth=1
	ds_store_b64 v65, v[0:1]
; %bb.899:                              ;   in Loop: Header=BB128_3 Depth=1
	s_or_b32 exec_lo, exec_lo, s44
	s_wait_dscnt 0x0
	s_barrier_signal -1
	s_barrier_wait -1
	s_and_saveexec_b32 s44, s31
	s_cbranch_execz .LBB128_901
; %bb.900:                              ;   in Loop: Header=BB128_3 Depth=1
	ds_load_b64 v[46:47], v63 offset:30656
	ds_load_b64 v[48:49], v65
	s_wait_dscnt 0x0
	v_fmac_f64_e32 v[0:1], v[46:47], v[48:49]
.LBB128_901:                            ;   in Loop: Header=BB128_3 Depth=1
	s_or_b32 exec_lo, exec_lo, s44
	s_barrier_signal -1
	s_barrier_wait -1
	s_and_saveexec_b32 s44, s33
; %bb.902:                              ;   in Loop: Header=BB128_3 Depth=1
	ds_store_b64 v65, v[0:1]
; %bb.903:                              ;   in Loop: Header=BB128_3 Depth=1
	s_or_b32 exec_lo, exec_lo, s44
	s_wait_dscnt 0x0
	s_barrier_signal -1
	s_barrier_wait -1
	s_and_saveexec_b32 s44, s34
	s_cbranch_execz .LBB128_905
; %bb.904:                              ;   in Loop: Header=BB128_3 Depth=1
	ds_load_b64 v[46:47], v63 offset:31168
	ds_load_b64 v[48:49], v65
	s_wait_dscnt 0x0
	v_fmac_f64_e32 v[0:1], v[46:47], v[48:49]
.LBB128_905:                            ;   in Loop: Header=BB128_3 Depth=1
	s_or_b32 exec_lo, exec_lo, s44
	s_barrier_signal -1
	s_barrier_wait -1
	s_and_saveexec_b32 s44, s35
	;; [unrolled: 19-line block ×4, first 2 shown]
; %bb.914:                              ;   in Loop: Header=BB128_3 Depth=1
	ds_store_b64 v65, v[0:1]
; %bb.915:                              ;   in Loop: Header=BB128_3 Depth=1
	s_or_b32 exec_lo, exec_lo, s44
	s_wait_dscnt 0x0
	s_barrier_signal -1
	s_barrier_wait -1
	s_barrier_signal -1
	s_barrier_wait -1
	s_and_saveexec_b32 s44, s4
; %bb.916:                              ;   in Loop: Header=BB128_3 Depth=1
	v_xor_b32_e32 v1, 0x80000000, v1
	ds_store_b64 v66, v[0:1] offset:25024
; %bb.917:                              ;   in Loop: Header=BB128_3 Depth=1
	s_or_b32 exec_lo, exec_lo, s44
	s_wait_dscnt 0x0
	s_barrier_signal -1
	s_barrier_wait -1
	s_barrier_signal -1
	s_barrier_wait -1
	s_and_saveexec_b32 s44, s39
	s_cbranch_execz .LBB128_919
; %bb.918:                              ;   in Loop: Header=BB128_3 Depth=1
	ds_load_b64 v[0:1], v69 offset:25024
	s_wait_dscnt 0x0
	ds_store_b64 v70, v[0:1] offset:29056
	ds_load_b64 v[0:1], v69 offset:25032
	s_wait_dscnt 0x0
	ds_store_b64 v70, v[0:1] offset:29568
	;; [unrolled: 3-line block ×8, first 2 shown]
.LBB128_919:                            ;   in Loop: Header=BB128_3 Depth=1
	s_or_b32 exec_lo, exec_lo, s44
	s_wait_dscnt 0x0
	s_barrier_signal -1
	s_barrier_wait -1
	s_and_saveexec_b32 s44, s10
	s_cbranch_execz .LBB128_921
; %bb.920:                              ;   in Loop: Header=BB128_3 Depth=1
	ds_load_b64 v[0:1], v5 offset:29128
	v_mov_b32_e32 v2, v5
	ds_store_b64 v5, v[30:31] offset:29120
	s_wait_dscnt 0x1
	ds_store_b128 v5, v[0:3] offset:29632
.LBB128_921:                            ;   in Loop: Header=BB128_3 Depth=1
	s_or_b32 exec_lo, exec_lo, s44
	v_mov_b64_e32 v[0:1], 0
	s_wait_dscnt 0x0
	s_barrier_signal -1
	s_barrier_wait -1
	s_and_saveexec_b32 s44, s1
	s_cbranch_execz .LBB128_925
; %bb.922:                              ;   in Loop: Header=BB128_3 Depth=1
	ds_load_b64 v[0:1], v50 offset:29136
	ds_load_b64 v[46:47], v51 offset:29120
	s_wait_dscnt 0x0
	v_fma_f64 v[0:1], v[0:1], v[46:47], 0
	s_and_saveexec_b32 s45, s11
	s_cbranch_execz .LBB128_924
; %bb.923:                              ;   in Loop: Header=BB128_3 Depth=1
	ds_load_b64 v[46:47], v70 offset:29648
	ds_load_b64 v[48:49], v5 offset:29128
	s_wait_dscnt 0x0
	v_fmac_f64_e32 v[0:1], v[46:47], v[48:49]
.LBB128_924:                            ;   in Loop: Header=BB128_3 Depth=1
	s_or_b32 exec_lo, exec_lo, s45
	s_delay_alu instid0(VALU_DEP_1)
	v_xor_b32_e32 v1, 0x80000000, v1
.LBB128_925:                            ;   in Loop: Header=BB128_3 Depth=1
	s_or_b32 exec_lo, exec_lo, s44
	s_and_saveexec_b32 s44, s89
; %bb.926:                              ;   in Loop: Header=BB128_3 Depth=1
	ds_store_b64 v7, v[0:1]
; %bb.927:                              ;   in Loop: Header=BB128_3 Depth=1
	s_or_b32 exec_lo, exec_lo, s44
	s_wait_dscnt 0x0
	s_barrier_signal -1
	s_barrier_wait -1
	s_and_saveexec_b32 s44, s90
	s_cbranch_execz .LBB128_929
; %bb.928:                              ;   in Loop: Header=BB128_3 Depth=1
	ds_load_b64 v[46:47], v5 offset:30168
	ds_load_b64 v[48:49], v7
	s_wait_dscnt 0x0
	v_fmac_f64_e32 v[0:1], v[46:47], v[48:49]
.LBB128_929:                            ;   in Loop: Header=BB128_3 Depth=1
	s_or_b32 exec_lo, exec_lo, s44
	s_barrier_signal -1
	s_barrier_wait -1
	s_and_saveexec_b32 s44, s90
; %bb.930:                              ;   in Loop: Header=BB128_3 Depth=1
	ds_store_b64 v7, v[0:1]
; %bb.931:                              ;   in Loop: Header=BB128_3 Depth=1
	s_or_b32 exec_lo, exec_lo, s44
	s_wait_dscnt 0x0
	s_barrier_signal -1
	s_barrier_wait -1
	s_barrier_signal -1
	s_barrier_wait -1
	s_and_saveexec_b32 s44, s1
; %bb.932:                              ;   in Loop: Header=BB128_3 Depth=1
	v_xor_b32_e32 v1, 0x80000000, v1
	ds_store_b64 v50, v[0:1] offset:29136
; %bb.933:                              ;   in Loop: Header=BB128_3 Depth=1
	s_or_b32 exec_lo, exec_lo, s44
	s_wait_dscnt 0x0
	s_barrier_signal -1
	s_barrier_wait -1
	s_barrier_signal -1
	s_barrier_wait -1
	s_and_saveexec_b32 s44, s91
	s_cbranch_execz .LBB128_935
; %bb.934:                              ;   in Loop: Header=BB128_3 Depth=1
	ds_load_b64 v[0:1], v71 offset:29136
	s_wait_dscnt 0x0
	ds_store_b64 v70, v[0:1] offset:30144
	ds_load_b64 v[0:1], v71 offset:29144
	s_wait_dscnt 0x0
	ds_store_b64 v70, v[0:1] offset:30656
.LBB128_935:                            ;   in Loop: Header=BB128_3 Depth=1
	s_or_b32 exec_lo, exec_lo, s44
	s_wait_dscnt 0x0
	s_barrier_signal -1
	s_barrier_wait -1
	s_and_saveexec_b32 s44, s10
	s_cbranch_execz .LBB128_937
; %bb.936:                              ;   in Loop: Header=BB128_3 Depth=1
	ds_load_b64 v[0:1], v5 offset:30168
	v_mov_b32_e32 v2, v5
	ds_store_b64 v5, v[30:31] offset:30160
	s_wait_dscnt 0x1
	ds_store_b128 v5, v[0:3] offset:30672
.LBB128_937:                            ;   in Loop: Header=BB128_3 Depth=1
	s_or_b32 exec_lo, exec_lo, s44
	v_mov_b64_e32 v[0:1], 0
	s_wait_dscnt 0x0
	s_barrier_signal -1
	s_barrier_wait -1
	s_and_saveexec_b32 s44, s3
	s_cbranch_execz .LBB128_943
; %bb.938:                              ;   in Loop: Header=BB128_3 Depth=1
	ds_load_b64 v[0:1], v57 offset:29152
	ds_load_b64 v[46:47], v53 offset:29120
	s_wait_dscnt 0x0
	v_fma_f64 v[0:1], v[0:1], v[46:47], 0
	s_and_saveexec_b32 s45, s12
	s_cbranch_execnz .LBB128_1115
; %bb.939:                              ;   in Loop: Header=BB128_3 Depth=1
	s_or_b32 exec_lo, exec_lo, s45
	s_and_saveexec_b32 s45, s13
	s_cbranch_execnz .LBB128_1116
.LBB128_940:                            ;   in Loop: Header=BB128_3 Depth=1
	s_or_b32 exec_lo, exec_lo, s45
	s_and_saveexec_b32 s45, s1
	s_cbranch_execz .LBB128_942
.LBB128_941:                            ;   in Loop: Header=BB128_3 Depth=1
	ds_load_b64 v[46:47], v72 offset:30688
	ds_load_b64 v[48:49], v5 offset:29144
	s_wait_dscnt 0x0
	v_fmac_f64_e32 v[0:1], v[46:47], v[48:49]
.LBB128_942:                            ;   in Loop: Header=BB128_3 Depth=1
	s_or_b32 exec_lo, exec_lo, s45
	s_delay_alu instid0(VALU_DEP_1)
	v_xor_b32_e32 v1, 0x80000000, v1
.LBB128_943:                            ;   in Loop: Header=BB128_3 Depth=1
	s_or_b32 exec_lo, exec_lo, s44
	s_and_saveexec_b32 s44, s92
; %bb.944:                              ;   in Loop: Header=BB128_3 Depth=1
	ds_store_b64 v56, v[0:1]
; %bb.945:                              ;   in Loop: Header=BB128_3 Depth=1
	s_or_b32 exec_lo, exec_lo, s44
	s_wait_dscnt 0x0
	s_barrier_signal -1
	s_barrier_wait -1
	s_and_saveexec_b32 s44, s93
	s_cbranch_execz .LBB128_947
; %bb.946:                              ;   in Loop: Header=BB128_3 Depth=1
	ds_load_b64 v[46:47], v54 offset:31200
	ds_load_b64 v[48:49], v56
	s_wait_dscnt 0x0
	v_fmac_f64_e32 v[0:1], v[46:47], v[48:49]
.LBB128_947:                            ;   in Loop: Header=BB128_3 Depth=1
	s_or_b32 exec_lo, exec_lo, s44
	s_barrier_signal -1
	s_barrier_wait -1
	s_and_saveexec_b32 s44, s94
; %bb.948:                              ;   in Loop: Header=BB128_3 Depth=1
	ds_store_b64 v56, v[0:1]
; %bb.949:                              ;   in Loop: Header=BB128_3 Depth=1
	s_or_b32 exec_lo, exec_lo, s44
	s_wait_dscnt 0x0
	s_barrier_signal -1
	s_barrier_wait -1
	s_and_saveexec_b32 s44, s95
	s_cbranch_execz .LBB128_951
; %bb.950:                              ;   in Loop: Header=BB128_3 Depth=1
	ds_load_b64 v[46:47], v54 offset:31712
	ds_load_b64 v[48:49], v56
	s_wait_dscnt 0x0
	v_fmac_f64_e32 v[0:1], v[46:47], v[48:49]
.LBB128_951:                            ;   in Loop: Header=BB128_3 Depth=1
	s_or_b32 exec_lo, exec_lo, s44
	s_barrier_signal -1
	s_barrier_wait -1
	;; [unrolled: 19-line block ×3, first 2 shown]
	s_and_saveexec_b32 s44, s97
; %bb.956:                              ;   in Loop: Header=BB128_3 Depth=1
	ds_store_b64 v56, v[0:1]
; %bb.957:                              ;   in Loop: Header=BB128_3 Depth=1
	s_or_b32 exec_lo, exec_lo, s44
	s_wait_dscnt 0x0
	s_barrier_signal -1
	s_barrier_wait -1
	s_barrier_signal -1
	s_barrier_wait -1
	s_and_saveexec_b32 s44, s3
; %bb.958:                              ;   in Loop: Header=BB128_3 Depth=1
	v_xor_b32_e32 v1, 0x80000000, v1
	ds_store_b64 v57, v[0:1] offset:29152
; %bb.959:                              ;   in Loop: Header=BB128_3 Depth=1
	s_or_b32 exec_lo, exec_lo, s44
	s_wait_dscnt 0x0
	s_barrier_signal -1
	s_barrier_wait -1
	s_barrier_signal -1
	s_barrier_wait -1
	s_and_saveexec_b32 s44, s98
	s_cbranch_execz .LBB128_961
; %bb.960:                              ;   in Loop: Header=BB128_3 Depth=1
	ds_load_b64 v[0:1], v75 offset:29152
	s_wait_dscnt 0x0
	ds_store_b64 v11, v[0:1] offset:31168
	ds_load_b64 v[0:1], v75 offset:29160
	s_wait_dscnt 0x0
	ds_store_b64 v11, v[0:1] offset:31680
	;; [unrolled: 3-line block ×4, first 2 shown]
.LBB128_961:                            ;   in Loop: Header=BB128_3 Depth=1
	s_or_b32 exec_lo, exec_lo, s44
	s_wait_dscnt 0x0
	s_barrier_signal -1
	s_barrier_wait -1
	s_and_saveexec_b32 s44, s10
	s_cbranch_execz .LBB128_963
; %bb.962:                              ;   in Loop: Header=BB128_3 Depth=1
	ds_load_b64 v[0:1], v5 offset:31208
	v_mov_b32_e32 v2, v5
	ds_store_b64 v5, v[30:31] offset:31200
	s_wait_dscnt 0x1
	ds_store_b128 v5, v[0:3] offset:31712
.LBB128_963:                            ;   in Loop: Header=BB128_3 Depth=1
	s_or_b32 exec_lo, exec_lo, s44
	v_mov_b64_e32 v[0:1], 0
	s_wait_dscnt 0x0
	s_barrier_signal -1
	s_barrier_wait -1
	s_and_saveexec_b32 s44, s1
	s_cbranch_execz .LBB128_967
; %bb.964:                              ;   in Loop: Header=BB128_3 Depth=1
	ds_load_b64 v[0:1], v50 offset:31216
	ds_load_b64 v[46:47], v51 offset:31200
	s_wait_dscnt 0x0
	v_fma_f64 v[0:1], v[0:1], v[46:47], 0
	s_and_saveexec_b32 s45, s11
	s_cbranch_execz .LBB128_966
; %bb.965:                              ;   in Loop: Header=BB128_3 Depth=1
	ds_load_b64 v[46:47], v11 offset:31728
	ds_load_b64 v[48:49], v5 offset:31208
	s_wait_dscnt 0x0
	v_fmac_f64_e32 v[0:1], v[46:47], v[48:49]
.LBB128_966:                            ;   in Loop: Header=BB128_3 Depth=1
	s_or_b32 exec_lo, exec_lo, s45
	s_delay_alu instid0(VALU_DEP_1)
	v_xor_b32_e32 v1, 0x80000000, v1
.LBB128_967:                            ;   in Loop: Header=BB128_3 Depth=1
	s_or_b32 exec_lo, exec_lo, s44
	s_and_saveexec_b32 s44, s89
; %bb.968:                              ;   in Loop: Header=BB128_3 Depth=1
	ds_store_b64 v7, v[0:1]
; %bb.969:                              ;   in Loop: Header=BB128_3 Depth=1
	s_or_b32 exec_lo, exec_lo, s44
	s_wait_dscnt 0x0
	s_barrier_signal -1
	s_barrier_wait -1
	s_and_saveexec_b32 s44, s90
	s_cbranch_execz .LBB128_971
; %bb.970:                              ;   in Loop: Header=BB128_3 Depth=1
	ds_load_b64 v[46:47], v5 offset:32248
	ds_load_b64 v[48:49], v7
	s_wait_dscnt 0x0
	v_fmac_f64_e32 v[0:1], v[46:47], v[48:49]
.LBB128_971:                            ;   in Loop: Header=BB128_3 Depth=1
	s_or_b32 exec_lo, exec_lo, s44
	s_barrier_signal -1
	s_barrier_wait -1
	s_and_saveexec_b32 s44, s90
; %bb.972:                              ;   in Loop: Header=BB128_3 Depth=1
	ds_store_b64 v7, v[0:1]
; %bb.973:                              ;   in Loop: Header=BB128_3 Depth=1
	s_or_b32 exec_lo, exec_lo, s44
	s_wait_dscnt 0x0
	s_barrier_signal -1
	s_barrier_wait -1
	s_barrier_signal -1
	s_barrier_wait -1
	s_and_saveexec_b32 s44, s1
; %bb.974:                              ;   in Loop: Header=BB128_3 Depth=1
	v_xor_b32_e32 v1, 0x80000000, v1
	ds_store_b64 v50, v[0:1] offset:31216
; %bb.975:                              ;   in Loop: Header=BB128_3 Depth=1
	s_or_b32 exec_lo, exec_lo, s44
	s_wait_dscnt 0x0
	s_barrier_signal -1
	s_barrier_wait -1
	s_barrier_signal -1
	s_barrier_wait -1
	s_and_saveexec_b32 s44, s91
	s_cbranch_execz .LBB128_977
; %bb.976:                              ;   in Loop: Header=BB128_3 Depth=1
	ds_load_b64 v[0:1], v81 offset:31216
	s_wait_dscnt 0x0
	ds_store_b64 v11, v[0:1] offset:32224
	ds_load_b64 v[0:1], v81 offset:31224
	s_wait_dscnt 0x0
	ds_store_b64 v11, v[0:1] offset:32736
.LBB128_977:                            ;   in Loop: Header=BB128_3 Depth=1
	s_or_b32 exec_lo, exec_lo, s44
	s_wait_dscnt 0x0
	s_barrier_signal -1
	s_barrier_wait -1
	s_and_saveexec_b32 s44, s10
	s_cbranch_execz .LBB128_979
; %bb.978:                              ;   in Loop: Header=BB128_3 Depth=1
	ds_load_b64 v[0:1], v5 offset:32248
	v_mov_b32_e32 v2, v5
	ds_store_b64 v5, v[30:31] offset:32240
	s_wait_dscnt 0x1
	ds_store_b128 v5, v[0:3] offset:32752
.LBB128_979:                            ;   in Loop: Header=BB128_3 Depth=1
	s_or_b32 exec_lo, exec_lo, s44
.LBB128_980:                            ;   in Loop: Header=BB128_3 Depth=1
	v_add_nc_u64_e32 v[0:1], s[68:69], v[44:45]
	v_mov_b64_e32 v[44:45], 0
	s_wait_dscnt 0x0
	s_barrier_signal -1
	s_barrier_wait -1
	s_wait_xcnt 0x0
	s_and_saveexec_b32 s44, s40
	s_cbranch_execz .LBB128_982
; %bb.981:                              ;   in Loop: Header=BB128_3 Depth=1
	v_lshl_add_u64 v[44:45], v[24:25], 3, v[0:1]
	flat_load_b64 v[44:45], v[44:45]
	s_wait_loadcnt_dscnt 0x0
	v_mul_f64_e64 v[44:45], v[44:45], -v[42:43]
.LBB128_982:                            ;   in Loop: Header=BB128_3 Depth=1
	s_or_b32 exec_lo, exec_lo, s44
	s_delay_alu instid0(SALU_CYCLE_1)
	s_and_not1_b32 vcc_lo, exec_lo, s41
	s_cbranch_vccnz .LBB128_1008
; %bb.983:                              ;   in Loop: Header=BB128_3 Depth=1
	v_mov_b32_e32 v2, -1
	s_lshl_b64 s[44:45], s[62:63], 2
	s_delay_alu instid0(SALU_CYCLE_1)
	s_add_nc_u64 s[82:83], s[78:79], s[44:45]
	s_mov_b32 s44, 0
	s_branch .LBB128_986
.LBB128_984:                            ;   in Loop: Header=BB128_986 Depth=2
	s_wait_xcnt 0x0
	ds_load_b64 v[42:43], v82 offset:384
	s_wait_loadcnt_dscnt 0x0
	v_fmac_f64_e32 v[44:45], v[46:47], v[42:43]
.LBB128_985:                            ;   in Loop: Header=BB128_986 Depth=2
	s_or_b32 exec_lo, exec_lo, s45
	s_add_co_i32 s44, s44, 1
	s_delay_alu instid0(SALU_CYCLE_1)
	s_cmp_eq_u32 s44, s84
	s_cbranch_scc1 .LBB128_1008
.LBB128_986:                            ;   Parent Loop BB128_3 Depth=1
                                        ; =>  This Loop Header: Depth=2
                                        ;       Child Loop BB128_988 Depth 3
	v_cmp_gt_i32_e32 vcc_lo, s44, v2
	s_and_b32 s46, s55, vcc_lo
	s_delay_alu instid0(SALU_CYCLE_1)
	s_and_saveexec_b32 s45, s46
	s_cbranch_execz .LBB128_989
; %bb.987:                              ;   in Loop: Header=BB128_986 Depth=2
	global_load_b32 v2, v5, s[82:83]
	s_wait_loadcnt 0x0
	v_cmp_le_i32_e32 vcc_lo, s44, v2
	s_cbranch_vccnz .LBB128_989
.LBB128_988:                            ;   Parent Loop BB128_3 Depth=1
                                        ;     Parent Loop BB128_986 Depth=2
                                        ; =>    This Inner Loop Header: Depth=3
	global_wb scope:SCOPE_DEV
	s_wait_storecnt 0x0
	global_inv scope:SCOPE_DEV
	global_load_b32 v2, v5, s[82:83]
	s_wait_loadcnt 0x0
	v_cmp_gt_i32_e32 vcc_lo, s44, v2
	s_cbranch_vccnz .LBB128_988
.LBB128_989:                            ;   in Loop: Header=BB128_986 Depth=2
	s_or_b32 exec_lo, exec_lo, s45
	s_sub_co_i32 s45, s85, s44
	global_wb scope:SCOPE_DEV
	s_wait_storecnt 0x0
	global_inv scope:SCOPE_DEV
	s_lshl_b32 s46, s45, 6
	s_wait_loadcnt 0x0
	s_barrier_signal -1
	s_barrier_wait -1
	s_and_saveexec_b32 s47, s56
	s_cbranch_execz .LBB128_993
; %bb.990:                              ;   in Loop: Header=BB128_986 Depth=2
	s_ashr_i32 s48, s46, 31
	v_mov_b64_e32 v[46:47], 0
	v_dual_mov_b32 v43, s48 :: v_dual_bitop2_b32 v42, s46, v10 bitop3:0x54
	s_mov_b32 s48, exec_lo
	s_delay_alu instid0(VALU_DEP_1)
	v_cmpx_gt_i64_e64 s[76:77], v[42:43]
	s_cbranch_execz .LBB128_992
; %bb.991:                              ;   in Loop: Header=BB128_986 Depth=2
	v_mul_u64_e32 v[42:43], s[70:71], v[42:43]
	s_delay_alu instid0(VALU_DEP_1)
	v_lshl_add_u64 v[42:43], v[42:43], 3, v[0:1]
	flat_load_b64 v[46:47], v[42:43]
.LBB128_992:                            ;   in Loop: Header=BB128_986 Depth=2
	s_wait_xcnt 0x0
	s_or_b32 exec_lo, exec_lo, s48
	s_wait_loadcnt_dscnt 0x0
	ds_store_b64 v85, v[46:47]
.LBB128_993:                            ;   in Loop: Header=BB128_986 Depth=2
	s_or_b32 exec_lo, exec_lo, s47
	v_add_nc_u32_e32 v46, s46, v8
	s_cmp_lg_u32 s45, s42
	s_wait_dscnt 0x0
	s_cselect_b32 s46, -1, 0
	s_barrier_signal -1
	v_ashrrev_i32_e32 v47, 31, v46
	v_cmp_gt_i32_e32 vcc_lo, s76, v46
	s_barrier_wait -1
	s_delay_alu instid0(VALU_DEP_2) | instskip(SKIP_2) | instid1(SALU_CYCLE_1)
	v_lshl_add_u64 v[42:43], v[46:47], 3, v[40:41]
	v_cndmask_b32_e64 v47, 0, 1, s46
	s_and_b32 s47, vcc_lo, s0
	s_and_saveexec_b32 s45, s47
	s_cbranch_execz .LBB128_997
; %bb.994:                              ;   in Loop: Header=BB128_986 Depth=2
	v_mov_b64_e32 v[48:49], v[32:33]
	s_and_not1_b32 vcc_lo, exec_lo, s46
	s_cbranch_vccnz .LBB128_996
; %bb.995:                              ;   in Loop: Header=BB128_986 Depth=2
	flat_load_b64 v[48:49], v[42:43]
.LBB128_996:                            ;   in Loop: Header=BB128_986 Depth=2
	ds_load_b64 v[98:99], v82
	s_wait_loadcnt_dscnt 0x0
	v_fmac_f64_e32 v[44:45], v[48:49], v[98:99]
.LBB128_997:                            ;   in Loop: Header=BB128_986 Depth=2
	s_or_b32 exec_lo, exec_lo, s45
	v_add_nc_u32_e32 v48, 16, v46
	s_delay_alu instid0(VALU_DEP_1) | instskip(SKIP_1) | instid1(SALU_CYCLE_1)
	v_cmp_gt_i32_e32 vcc_lo, s76, v48
	s_and_b32 s46, vcc_lo, s0
	s_and_saveexec_b32 s45, s46
	s_cbranch_execz .LBB128_1001
; %bb.998:                              ;   in Loop: Header=BB128_986 Depth=2
	v_cmp_ne_u32_e32 vcc_lo, 1, v47
	v_mov_b64_e32 v[48:49], v[34:35]
	s_cbranch_vccnz .LBB128_1000
; %bb.999:                              ;   in Loop: Header=BB128_986 Depth=2
	flat_load_b64 v[48:49], v[42:43] offset:128
.LBB128_1000:                           ;   in Loop: Header=BB128_986 Depth=2
	ds_load_b64 v[98:99], v82 offset:128
	s_wait_loadcnt_dscnt 0x0
	v_fmac_f64_e32 v[44:45], v[48:49], v[98:99]
.LBB128_1001:                           ;   in Loop: Header=BB128_986 Depth=2
	s_or_b32 exec_lo, exec_lo, s45
	v_add_nc_u32_e32 v48, 32, v46
	s_delay_alu instid0(VALU_DEP_1) | instskip(SKIP_1) | instid1(SALU_CYCLE_1)
	v_cmp_gt_i32_e32 vcc_lo, s76, v48
	s_and_b32 s46, vcc_lo, s0
	s_and_saveexec_b32 s45, s46
	s_cbranch_execz .LBB128_1005
; %bb.1002:                             ;   in Loop: Header=BB128_986 Depth=2
	v_cmp_ne_u32_e32 vcc_lo, 1, v47
	v_mov_b64_e32 v[48:49], v[36:37]
	s_cbranch_vccnz .LBB128_1004
; %bb.1003:                             ;   in Loop: Header=BB128_986 Depth=2
	flat_load_b64 v[48:49], v[42:43] offset:256
.LBB128_1004:                           ;   in Loop: Header=BB128_986 Depth=2
	ds_load_b64 v[98:99], v82 offset:256
	s_wait_loadcnt_dscnt 0x0
	v_fmac_f64_e32 v[44:45], v[48:49], v[98:99]
.LBB128_1005:                           ;   in Loop: Header=BB128_986 Depth=2
	s_or_b32 exec_lo, exec_lo, s45
	v_add_nc_u32_e32 v46, 48, v46
	s_delay_alu instid0(VALU_DEP_1) | instskip(SKIP_1) | instid1(SALU_CYCLE_1)
	v_cmp_gt_i32_e32 vcc_lo, s76, v46
	s_and_b32 s46, vcc_lo, s0
	s_and_saveexec_b32 s45, s46
	s_cbranch_execz .LBB128_985
; %bb.1006:                             ;   in Loop: Header=BB128_986 Depth=2
	v_cmp_ne_u32_e32 vcc_lo, 1, v47
	v_mov_b64_e32 v[46:47], v[38:39]
	s_cbranch_vccnz .LBB128_984
; %bb.1007:                             ;   in Loop: Header=BB128_986 Depth=2
	flat_load_b64 v[46:47], v[42:43] offset:384
	s_branch .LBB128_984
.LBB128_1008:                           ;   in Loop: Header=BB128_3 Depth=1
	ds_store_b64 v90, v[44:45]
	s_wait_dscnt 0x0
	s_barrier_signal -1
	s_barrier_wait -1
	s_and_saveexec_b32 s44, s2
	s_cbranch_execz .LBB128_1010
; %bb.1009:                             ;   in Loop: Header=BB128_3 Depth=1
	ds_load_2addr_stride64_b64 v[40:43], v92 offset0:1 offset1:2
	ds_load_2addr_stride64_b64 v[46:49], v92 offset0:3 offset1:4
	s_wait_dscnt 0x1
	v_add_f64_e32 v[40:41], v[44:45], v[40:41]
	s_delay_alu instid0(VALU_DEP_1) | instskip(SKIP_1) | instid1(VALU_DEP_1)
	v_add_f64_e32 v[40:41], v[40:41], v[42:43]
	s_wait_dscnt 0x0
	v_add_f64_e32 v[40:41], v[40:41], v[46:47]
	s_delay_alu instid0(VALU_DEP_1) | instskip(SKIP_4) | instid1(VALU_DEP_1)
	v_add_f64_e32 v[48:49], v[40:41], v[48:49]
	ds_load_2addr_stride64_b64 v[40:43], v92 offset0:5 offset1:6
	ds_load_2addr_stride64_b64 v[44:47], v92 offset0:7 offset1:8
	s_wait_dscnt 0x1
	v_add_f64_e32 v[40:41], v[48:49], v[40:41]
	v_add_f64_e32 v[40:41], v[40:41], v[42:43]
	s_wait_dscnt 0x0
	s_delay_alu instid0(VALU_DEP_1) | instskip(NEXT) | instid1(VALU_DEP_1)
	v_add_f64_e32 v[40:41], v[40:41], v[44:45]
	v_add_f64_e32 v[48:49], v[40:41], v[46:47]
	ds_load_2addr_stride64_b64 v[40:43], v92 offset0:9 offset1:10
	ds_load_2addr_stride64_b64 v[44:47], v92 offset0:11 offset1:12
	s_wait_dscnt 0x1
	v_add_f64_e32 v[40:41], v[48:49], v[40:41]
	s_delay_alu instid0(VALU_DEP_1) | instskip(SKIP_1) | instid1(VALU_DEP_1)
	v_add_f64_e32 v[40:41], v[40:41], v[42:43]
	s_wait_dscnt 0x0
	v_add_f64_e32 v[40:41], v[40:41], v[44:45]
	s_delay_alu instid0(VALU_DEP_1) | instskip(SKIP_4) | instid1(VALU_DEP_1)
	v_add_f64_e32 v[44:45], v[40:41], v[46:47]
	ds_load_2addr_stride64_b64 v[40:43], v92 offset0:13 offset1:14
	ds_load_b64 v[46:47], v92 offset:7680
	s_wait_dscnt 0x1
	v_add_f64_e32 v[40:41], v[44:45], v[40:41]
	v_add_f64_e32 v[40:41], v[40:41], v[42:43]
	s_wait_dscnt 0x0
	s_delay_alu instid0(VALU_DEP_1) | instskip(NEXT) | instid1(VALU_DEP_1)
	v_add_f64_e32 v[40:41], v[40:41], v[46:47]
	v_xor_b32_e32 v2, 0x80000000, v41
	s_delay_alu instid0(VALU_DEP_2) | instskip(NEXT) | instid1(VALU_DEP_2)
	v_cndmask_b32_e64 v44, v40, 0, s61
	v_cndmask_b32_e64 v45, v2, 0, s61
.LBB128_1010:                           ;   in Loop: Header=BB128_3 Depth=1
	s_or_b32 exec_lo, exec_lo, s44
	s_delay_alu instid0(SALU_CYCLE_1)
	s_and_not1_b32 vcc_lo, exec_lo, s88
	s_cbranch_vccnz .LBB128_1020
; %bb.1011:                             ;   in Loop: Header=BB128_3 Depth=1
	s_and_saveexec_b32 s44, s2
; %bb.1012:                             ;   in Loop: Header=BB128_3 Depth=1
	ds_store_b64 v94, v[44:45]
; %bb.1013:                             ;   in Loop: Header=BB128_3 Depth=1
	s_or_b32 exec_lo, exec_lo, s44
	v_mov_b64_e32 v[40:41], 0
	s_wait_dscnt 0x0
	s_barrier_signal -1
	s_barrier_wait -1
	s_and_saveexec_b32 s44, s6
	s_cbranch_execnz .LBB128_1060
; %bb.1014:                             ;   in Loop: Header=BB128_3 Depth=1
	s_or_b32 exec_lo, exec_lo, s44
	s_and_saveexec_b32 s44, s7
	s_cbranch_execnz .LBB128_1061
.LBB128_1015:                           ;   in Loop: Header=BB128_3 Depth=1
	s_or_b32 exec_lo, exec_lo, s44
	s_and_saveexec_b32 s44, s8
	s_cbranch_execnz .LBB128_1062
.LBB128_1016:                           ;   in Loop: Header=BB128_3 Depth=1
	s_or_b32 exec_lo, exec_lo, s44
	s_and_saveexec_b32 s44, s9
	s_cbranch_execz .LBB128_1018
.LBB128_1017:                           ;   in Loop: Header=BB128_3 Depth=1
	ds_load_b64 v[42:43], v93 offset:24576
	ds_load_b64 v[46:47], v82 offset:384
	s_wait_dscnt 0x0
	v_fmac_f64_e32 v[40:41], v[42:43], v[46:47]
.LBB128_1018:                           ;   in Loop: Header=BB128_3 Depth=1
	s_or_b32 exec_lo, exec_lo, s44
	s_mov_b32 s44, 0
	s_mov_b32 s82, 0
	ds_store_b64 v90, v[40:41]
	s_wait_dscnt 0x0
	s_barrier_signal -1
	s_barrier_wait -1
                                        ; implicit-def: $vgpr42_vgpr43
	s_and_saveexec_b32 s83, s2
	s_cbranch_execz .LBB128_1063
; %bb.1019:                             ;   in Loop: Header=BB128_3 Depth=1
	ds_load_2addr_stride64_b64 v[46:49], v92 offset0:1 offset1:2
	ds_load_2addr_stride64_b64 v[98:101], v92 offset0:3 offset1:4
	s_mov_b32 s82, exec_lo
	s_wait_dscnt 0x1
	v_add_f64_e32 v[40:41], v[40:41], v[46:47]
	s_delay_alu instid0(VALU_DEP_1) | instskip(SKIP_1) | instid1(VALU_DEP_1)
	v_add_f64_e32 v[40:41], v[48:49], v[40:41]
	s_wait_dscnt 0x0
	v_add_f64_e32 v[40:41], v[98:99], v[40:41]
	s_delay_alu instid0(VALU_DEP_1) | instskip(SKIP_4) | instid1(VALU_DEP_1)
	v_add_f64_e32 v[98:99], v[100:101], v[40:41]
	ds_load_2addr_stride64_b64 v[40:43], v92 offset0:5 offset1:6
	ds_load_2addr_stride64_b64 v[46:49], v92 offset0:7 offset1:8
	s_wait_dscnt 0x1
	v_add_f64_e32 v[40:41], v[40:41], v[98:99]
	v_add_f64_e32 v[40:41], v[42:43], v[40:41]
	s_wait_dscnt 0x0
	s_delay_alu instid0(VALU_DEP_1) | instskip(NEXT) | instid1(VALU_DEP_1)
	v_add_f64_e32 v[40:41], v[46:47], v[40:41]
	v_add_f64_e32 v[98:99], v[48:49], v[40:41]
	ds_load_2addr_stride64_b64 v[40:43], v92 offset0:9 offset1:10
	ds_load_2addr_stride64_b64 v[46:49], v92 offset0:11 offset1:12
	s_wait_dscnt 0x1
	v_add_f64_e32 v[40:41], v[40:41], v[98:99]
	s_delay_alu instid0(VALU_DEP_1) | instskip(SKIP_1) | instid1(VALU_DEP_1)
	v_add_f64_e32 v[40:41], v[42:43], v[40:41]
	s_wait_dscnt 0x0
	v_add_f64_e32 v[40:41], v[46:47], v[40:41]
	s_delay_alu instid0(VALU_DEP_1) | instskip(SKIP_4) | instid1(VALU_DEP_1)
	v_add_f64_e32 v[46:47], v[48:49], v[40:41]
	ds_load_2addr_stride64_b64 v[40:43], v92 offset0:13 offset1:14
	ds_load_b64 v[48:49], v92 offset:7680
	s_wait_dscnt 0x1
	v_add_f64_e32 v[40:41], v[40:41], v[46:47]
	v_add_f64_e32 v[40:41], v[42:43], v[40:41]
	s_wait_dscnt 0x0
	s_delay_alu instid0(VALU_DEP_1) | instskip(SKIP_1) | instid1(SALU_CYCLE_1)
	v_add_f64_e32 v[42:43], v[48:49], v[40:41]
	s_or_b32 exec_lo, exec_lo, s83
	s_and_b32 vcc_lo, exec_lo, s44
	s_cbranch_vccnz .LBB128_1021
	s_branch .LBB128_1064
.LBB128_1020:                           ;   in Loop: Header=BB128_3 Depth=1
	s_mov_b32 s82, 0
                                        ; implicit-def: $vgpr42_vgpr43
	s_cbranch_execz .LBB128_1064
.LBB128_1021:                           ;   in Loop: Header=BB128_3 Depth=1
	v_dual_mov_b32 v2, v97 :: v_dual_mov_b32 v40, v96
	s_mov_b32 s44, 63
	s_branch .LBB128_1023
.LBB128_1022:                           ;   in Loop: Header=BB128_1023 Depth=2
	s_or_b32 exec_lo, exec_lo, s46
	v_add_nc_u32_e32 v40, 0xfffff800, v40
	v_add_nc_u32_e32 v2, 4, v2
	s_add_co_i32 s44, s44, -4
	s_cmp_lg_u32 s45, 0
	s_barrier_signal -1
	s_barrier_wait -1
	s_cbranch_scc0 .LBB128_1039
.LBB128_1023:                           ;   Parent Loop BB128_3 Depth=1
                                        ; =>  This Inner Loop Header: Depth=2
	s_delay_alu instid0(VALU_DEP_1) | instskip(SKIP_1) | instid1(SALU_CYCLE_1)
	v_cmp_eq_u32_e32 vcc_lo, 0, v2
	s_and_b32 s46, s2, vcc_lo
	s_and_saveexec_b32 s45, s46
; %bb.1024:                             ;   in Loop: Header=BB128_1023 Depth=2
	ds_store_b64 v5, v[44:45] offset:41472
; %bb.1025:                             ;   in Loop: Header=BB128_1023 Depth=2
	s_or_b32 exec_lo, exec_lo, s45
	v_cmp_gt_u32_e32 vcc_lo, s44, v6
	s_wait_dscnt 0x0
	s_barrier_signal -1
	s_barrier_wait -1
	s_and_b32 s46, s2, vcc_lo
	s_delay_alu instid0(SALU_CYCLE_1)
	s_and_saveexec_b32 s45, s46
	s_cbranch_execz .LBB128_1027
; %bb.1026:                             ;   in Loop: Header=BB128_1023 Depth=2
	ds_load_b64 v[42:43], v40 offset:1536
	ds_load_b64 v[46:47], v5 offset:41472
	s_wait_dscnt 0x0
	v_fmac_f64_e32 v[44:45], v[42:43], v[46:47]
.LBB128_1027:                           ;   in Loop: Header=BB128_1023 Depth=2
	s_or_b32 exec_lo, exec_lo, s45
	s_add_co_i32 s45, s44, -1
	s_delay_alu instid0(SALU_CYCLE_1) | instskip(SKIP_3) | instid1(SALU_CYCLE_1)
	v_cmp_eq_u32_e32 vcc_lo, s45, v6
	s_barrier_signal -1
	s_barrier_wait -1
	s_and_b32 s47, s2, vcc_lo
	s_and_saveexec_b32 s46, s47
; %bb.1028:                             ;   in Loop: Header=BB128_1023 Depth=2
	ds_store_b64 v5, v[44:45] offset:41472
; %bb.1029:                             ;   in Loop: Header=BB128_1023 Depth=2
	s_or_b32 exec_lo, exec_lo, s46
	v_cmp_gt_u32_e32 vcc_lo, s45, v6
	s_wait_dscnt 0x0
	s_barrier_signal -1
	s_barrier_wait -1
	s_and_b32 s46, s2, vcc_lo
	s_delay_alu instid0(SALU_CYCLE_1)
	s_and_saveexec_b32 s45, s46
	s_cbranch_execz .LBB128_1031
; %bb.1030:                             ;   in Loop: Header=BB128_1023 Depth=2
	ds_load_b64 v[42:43], v40 offset:1024
	ds_load_b64 v[46:47], v5 offset:41472
	s_wait_dscnt 0x0
	v_fmac_f64_e32 v[44:45], v[42:43], v[46:47]
.LBB128_1031:                           ;   in Loop: Header=BB128_1023 Depth=2
	s_or_b32 exec_lo, exec_lo, s45
	s_add_co_i32 s45, s44, -2
	s_delay_alu instid0(SALU_CYCLE_1) | instskip(SKIP_3) | instid1(SALU_CYCLE_1)
	v_cmp_eq_u32_e32 vcc_lo, s45, v6
	s_barrier_signal -1
	s_barrier_wait -1
	;; [unrolled: 26-line block ×3, first 2 shown]
	s_and_b32 s47, s2, vcc_lo
	s_and_saveexec_b32 s46, s47
; %bb.1036:                             ;   in Loop: Header=BB128_1023 Depth=2
	ds_store_b64 v5, v[44:45] offset:41472
; %bb.1037:                             ;   in Loop: Header=BB128_1023 Depth=2
	s_or_b32 exec_lo, exec_lo, s46
	v_cmp_gt_u32_e32 vcc_lo, s45, v6
	s_wait_dscnt 0x0
	s_barrier_signal -1
	s_barrier_wait -1
	s_and_b32 s47, s2, vcc_lo
	s_delay_alu instid0(SALU_CYCLE_1)
	s_and_saveexec_b32 s46, s47
	s_cbranch_execz .LBB128_1022
; %bb.1038:                             ;   in Loop: Header=BB128_1023 Depth=2
	ds_load_b64 v[42:43], v40
	ds_load_b64 v[46:47], v5 offset:41472
	s_wait_dscnt 0x0
	v_fmac_f64_e32 v[44:45], v[42:43], v[46:47]
	s_branch .LBB128_1022
.LBB128_1039:                           ;   in Loop: Header=BB128_3 Depth=1
	s_and_b32 vcc_lo, exec_lo, s86
	s_mov_b32 s44, -1
	s_cbranch_vccnz .LBB128_1065
; %bb.1040:                             ;   in Loop: Header=BB128_3 Depth=1
	s_and_not1_b32 vcc_lo, exec_lo, s44
	s_cbranch_vccz .LBB128_1066
.LBB128_1041:                           ;   in Loop: Header=BB128_3 Depth=1
	s_and_saveexec_b32 s44, s82
	s_cbranch_execz .LBB128_1043
.LBB128_1042:                           ;   in Loop: Header=BB128_3 Depth=1
	v_lshl_add_u64 v[0:1], v[26:27], 3, v[0:1]
	flat_store_b64 v[0:1], v[44:45]
.LBB128_1043:                           ;   in Loop: Header=BB128_3 Depth=1
	s_wait_xcnt 0x0
	s_or_b32 exec_lo, exec_lo, s44
	global_wb scope:SCOPE_DEV
	s_wait_storecnt_dscnt 0x0
	global_inv scope:SCOPE_DEV
	s_wait_loadcnt 0x0
	s_barrier_signal -1
	s_barrier_wait -1
	s_and_saveexec_b32 s44, s55
	s_cbranch_execz .LBB128_2
; %bb.1044:                             ;   in Loop: Header=BB128_3 Depth=1
	s_lshl_b64 s[46:47], s[62:63], 2
	s_delay_alu instid0(SALU_CYCLE_1)
	s_add_nc_u64 s[46:47], s[78:79], s[46:47]
	global_load_b32 v0, v5, s[46:47]
	s_wait_loadcnt 0x0
	v_add_nc_u32_e32 v0, 1, v0
	global_store_b32 v5, v0, s[46:47]
	s_branch .LBB128_2
.LBB128_1045:                           ;   in Loop: Header=BB128_3 Depth=1
	s_mov_b32 s45, exec_lo
	v_readlane_b32 s46, v102, 23
	s_and_b32 s46, s45, s46
	s_delay_alu instid0(SALU_CYCLE_1)
	s_mov_b32 exec_lo, s46
; %bb.1046:                             ;   in Loop: Header=BB128_3 Depth=1
	ds_store_b64 v86, v[28:29]
; %bb.1047:                             ;   in Loop: Header=BB128_3 Depth=1
	s_or_b32 exec_lo, exec_lo, s45
	s_and_not1_saveexec_b32 s44, s44
	s_cbranch_execz .LBB128_16
.LBB128_1048:                           ;   in Loop: Header=BB128_3 Depth=1
	v_lshl_add_u64 v[46:47], v[16:17], 3, v[0:1]
	flat_load_b64 v[46:47], v[46:47]
	s_wait_loadcnt_dscnt 0x0
	v_xor_b32_e32 v47, 0x80000000, v47
	ds_store_b64 v86, v[46:47]
	s_or_b32 exec_lo, exec_lo, s44
	s_and_saveexec_b32 s44, s7
	s_delay_alu instid0(SALU_CYCLE_1)
	s_xor_b32 s44, exec_lo, s44
	s_cbranch_execz .LBB128_17
.LBB128_1049:                           ;   in Loop: Header=BB128_3 Depth=1
	s_mov_b32 s45, exec_lo
	v_readlane_b32 s46, v102, 24
	s_and_b32 s46, s45, s46
	s_delay_alu instid0(SALU_CYCLE_1)
	s_mov_b32 exec_lo, s46
; %bb.1050:                             ;   in Loop: Header=BB128_3 Depth=1
	ds_store_b64 v87, v[28:29]
; %bb.1051:                             ;   in Loop: Header=BB128_3 Depth=1
	s_or_b32 exec_lo, exec_lo, s45
	s_and_not1_saveexec_b32 s44, s44
	s_cbranch_execz .LBB128_18
.LBB128_1052:                           ;   in Loop: Header=BB128_3 Depth=1
	v_lshl_add_u64 v[46:47], v[18:19], 3, v[0:1]
	flat_load_b64 v[46:47], v[46:47]
	s_wait_loadcnt_dscnt 0x0
	v_xor_b32_e32 v47, 0x80000000, v47
	ds_store_b64 v87, v[46:47]
	s_or_b32 exec_lo, exec_lo, s44
	s_and_saveexec_b32 s44, s8
	s_delay_alu instid0(SALU_CYCLE_1)
	s_xor_b32 s44, exec_lo, s44
	s_cbranch_execz .LBB128_19
.LBB128_1053:                           ;   in Loop: Header=BB128_3 Depth=1
	s_mov_b32 s45, exec_lo
	v_readlane_b32 s46, v102, 25
	s_and_b32 s46, s45, s46
	s_delay_alu instid0(SALU_CYCLE_1)
	s_mov_b32 exec_lo, s46
; %bb.1054:                             ;   in Loop: Header=BB128_3 Depth=1
	ds_store_b64 v88, v[28:29]
; %bb.1055:                             ;   in Loop: Header=BB128_3 Depth=1
	s_or_b32 exec_lo, exec_lo, s45
	s_and_not1_saveexec_b32 s44, s44
	s_cbranch_execz .LBB128_20
.LBB128_1056:                           ;   in Loop: Header=BB128_3 Depth=1
	v_lshl_add_u64 v[46:47], v[20:21], 3, v[0:1]
	flat_load_b64 v[46:47], v[46:47]
	s_wait_loadcnt_dscnt 0x0
	v_xor_b32_e32 v47, 0x80000000, v47
	ds_store_b64 v88, v[46:47]
	s_or_b32 exec_lo, exec_lo, s44
	s_and_saveexec_b32 s44, s9
	s_delay_alu instid0(SALU_CYCLE_1)
	s_xor_b32 s44, exec_lo, s44
	s_cbranch_execz .LBB128_21
.LBB128_1057:                           ;   in Loop: Header=BB128_3 Depth=1
	s_mov_b32 s45, exec_lo
	v_readlane_b32 s46, v102, 26
	s_and_b32 s46, s45, s46
	s_delay_alu instid0(SALU_CYCLE_1)
	s_mov_b32 exec_lo, s46
; %bb.1058:                             ;   in Loop: Header=BB128_3 Depth=1
	ds_store_b64 v89, v[28:29]
; %bb.1059:                             ;   in Loop: Header=BB128_3 Depth=1
	s_or_b32 exec_lo, exec_lo, s45
	s_and_not1_saveexec_b32 s44, s44
	s_cbranch_execnz .LBB128_22
	s_branch .LBB128_23
.LBB128_1060:                           ;   in Loop: Header=BB128_3 Depth=1
	ds_load_b64 v[40:41], v93
	ds_load_b64 v[42:43], v82
	s_wait_dscnt 0x0
	v_fma_f64 v[40:41], v[40:41], v[42:43], 0
	s_or_b32 exec_lo, exec_lo, s44
	s_and_saveexec_b32 s44, s7
	s_cbranch_execz .LBB128_1015
.LBB128_1061:                           ;   in Loop: Header=BB128_3 Depth=1
	ds_load_b64 v[42:43], v93 offset:8192
	ds_load_b64 v[46:47], v82 offset:128
	s_wait_dscnt 0x0
	v_fmac_f64_e32 v[40:41], v[42:43], v[46:47]
	s_or_b32 exec_lo, exec_lo, s44
	s_and_saveexec_b32 s44, s8
	s_cbranch_execz .LBB128_1016
.LBB128_1062:                           ;   in Loop: Header=BB128_3 Depth=1
	ds_load_b64 v[42:43], v93 offset:16384
	ds_load_b64 v[46:47], v82 offset:256
	s_wait_dscnt 0x0
	v_fmac_f64_e32 v[40:41], v[42:43], v[46:47]
	s_or_b32 exec_lo, exec_lo, s44
	s_and_saveexec_b32 s44, s9
	s_cbranch_execnz .LBB128_1017
	s_branch .LBB128_1018
.LBB128_1063:                           ;   in Loop: Header=BB128_3 Depth=1
	s_or_b32 exec_lo, exec_lo, s83
	s_delay_alu instid0(SALU_CYCLE_1)
	s_and_b32 vcc_lo, exec_lo, s44
	s_cbranch_vccnz .LBB128_1021
.LBB128_1064:                           ;   in Loop: Header=BB128_3 Depth=1
	s_delay_alu instid0(VALU_DEP_1)
	v_mov_b64_e32 v[44:45], v[42:43]
	s_and_saveexec_b32 s44, s82
	s_cbranch_execnz .LBB128_1042
	s_branch .LBB128_1043
.LBB128_1065:                           ;   in Loop: Header=BB128_3 Depth=1
	s_and_not1_b32 s45, s82, exec_lo
	s_and_b32 s46, s2, exec_lo
	s_delay_alu instid0(SALU_CYCLE_1)
	s_or_b32 s82, s45, s46
	s_cbranch_execnz .LBB128_1041
.LBB128_1066:                           ;   in Loop: Header=BB128_3 Depth=1
	v_readlane_b32 s45, v103, 12
	s_and_not1_b32 s44, s82, exec_lo
	s_and_b32 s45, s45, exec_lo
	s_delay_alu instid0(SALU_CYCLE_1) | instskip(NEXT) | instid1(SALU_CYCLE_1)
	s_or_b32 s82, s44, s45
	s_and_saveexec_b32 s44, s82
	s_cbranch_execnz .LBB128_1042
	s_branch .LBB128_1043
.LBB128_1067:                           ;   in Loop: Header=BB128_3 Depth=1
	ds_load_b64 v[46:47], v58 offset:544
	ds_load_b64 v[48:49], v53 offset:8
	s_wait_dscnt 0x0
	v_fmac_f64_e32 v[0:1], v[46:47], v[48:49]
	s_or_b32 exec_lo, exec_lo, s45
	s_and_saveexec_b32 s45, s13
	s_cbranch_execz .LBB128_72
.LBB128_1068:                           ;   in Loop: Header=BB128_3 Depth=1
	ds_load_b64 v[46:47], v57 offset:1056
	ds_load_b64 v[48:49], v53 offset:16
	s_wait_dscnt 0x0
	v_fmac_f64_e32 v[0:1], v[46:47], v[48:49]
	s_or_b32 exec_lo, exec_lo, s45
	s_and_saveexec_b32 s45, s1
	s_cbranch_execnz .LBB128_73
	s_branch .LBB128_74
.LBB128_1069:                           ;   in Loop: Header=BB128_3 Depth=1
	ds_load_b64 v[46:47], v67 offset:576
	ds_load_b64 v[48:49], v61 offset:8
	s_wait_dscnt 0x0
	v_fmac_f64_e32 v[0:1], v[46:47], v[48:49]
	s_or_b32 exec_lo, exec_lo, s45
	s_and_saveexec_b32 s45, s15
	s_cbranch_execz .LBB128_114
.LBB128_1070:                           ;   in Loop: Header=BB128_3 Depth=1
	ds_load_b64 v[46:47], v67 offset:1088
	ds_load_b64 v[48:49], v61 offset:16
	s_wait_dscnt 0x0
	v_fmac_f64_e32 v[0:1], v[46:47], v[48:49]
	s_or_b32 exec_lo, exec_lo, s45
	s_and_saveexec_b32 s45, s16
	s_cbranch_execz .LBB128_115
.LBB128_1071:                           ;   in Loop: Header=BB128_3 Depth=1
	ds_load_b64 v[46:47], v67 offset:1600
	ds_load_b64 v[48:49], v61 offset:24
	s_wait_dscnt 0x0
	v_fmac_f64_e32 v[0:1], v[46:47], v[48:49]
	s_or_b32 exec_lo, exec_lo, s45
	s_and_saveexec_b32 s45, s17
	s_cbranch_execz .LBB128_116
.LBB128_1072:                           ;   in Loop: Header=BB128_3 Depth=1
	ds_load_b64 v[46:47], v66 offset:2112
	ds_load_b64 v[48:49], v61 offset:32
	s_wait_dscnt 0x0
	v_fmac_f64_e32 v[0:1], v[46:47], v[48:49]
	s_or_b32 exec_lo, exec_lo, s45
	s_and_saveexec_b32 s45, s18
	s_cbranch_execz .LBB128_117
.LBB128_1073:                           ;   in Loop: Header=BB128_3 Depth=1
	ds_load_b64 v[46:47], v67 offset:2624
	ds_load_b64 v[48:49], v61 offset:40
	s_wait_dscnt 0x0
	v_fmac_f64_e32 v[0:1], v[46:47], v[48:49]
	s_or_b32 exec_lo, exec_lo, s45
	s_and_saveexec_b32 s45, s3
	s_cbranch_execz .LBB128_118
.LBB128_1074:                           ;   in Loop: Header=BB128_3 Depth=1
	ds_load_b64 v[46:47], v66 offset:3136
	ds_load_b64 v[48:49], v61 offset:48
	s_wait_dscnt 0x0
	v_fmac_f64_e32 v[0:1], v[46:47], v[48:49]
	s_or_b32 exec_lo, exec_lo, s45
	s_and_saveexec_b32 s45, s13
	s_cbranch_execnz .LBB128_119
	s_branch .LBB128_120
.LBB128_1075:                           ;   in Loop: Header=BB128_3 Depth=1
	ds_load_b64 v[46:47], v58 offset:4704
	ds_load_b64 v[48:49], v53 offset:4168
	s_wait_dscnt 0x0
	v_fmac_f64_e32 v[0:1], v[46:47], v[48:49]
	s_or_b32 exec_lo, exec_lo, s45
	s_and_saveexec_b32 s45, s13
	s_cbranch_execz .LBB128_176
.LBB128_1076:                           ;   in Loop: Header=BB128_3 Depth=1
	ds_load_b64 v[46:47], v57 offset:5216
	ds_load_b64 v[48:49], v53 offset:4176
	s_wait_dscnt 0x0
	v_fmac_f64_e32 v[0:1], v[46:47], v[48:49]
	s_or_b32 exec_lo, exec_lo, s45
	s_and_saveexec_b32 s45, s1
	s_cbranch_execnz .LBB128_177
	s_branch .LBB128_178
.LBB128_1077:                           ;   in Loop: Header=BB128_3 Depth=1
	ds_load_b64 v[46:47], v78 offset:5760
	ds_load_b64 v[48:49], v73 offset:88
	s_wait_dscnt 0x0
	v_fmac_f64_e32 v[0:1], v[46:47], v[48:49]
	s_or_b32 exec_lo, exec_lo, s44
	s_and_saveexec_b32 s44, s4
	s_cbranch_execz .LBB128_238
.LBB128_1078:                           ;   in Loop: Header=BB128_3 Depth=1
	ds_load_b64 v[46:47], v77 offset:6272
	ds_load_b64 v[48:49], v73 offset:96
	s_wait_dscnt 0x0
	v_fmac_f64_e32 v[0:1], v[46:47], v[48:49]
	s_or_b32 exec_lo, exec_lo, s44
	s_and_saveexec_b32 s44, s15
	s_cbranch_execz .LBB128_239
.LBB128_1079:                           ;   in Loop: Header=BB128_3 Depth=1
	ds_load_b64 v[46:47], v78 offset:6784
	ds_load_b64 v[48:49], v73 offset:104
	s_wait_dscnt 0x0
	v_fmac_f64_e32 v[0:1], v[46:47], v[48:49]
	s_or_b32 exec_lo, exec_lo, s44
	s_and_saveexec_b32 s44, s17
	s_cbranch_execz .LBB128_240
.LBB128_1080:                           ;   in Loop: Header=BB128_3 Depth=1
	ds_load_b64 v[46:47], v77 offset:7296
	ds_load_b64 v[48:49], v73 offset:112
	s_wait_dscnt 0x0
	v_fmac_f64_e32 v[0:1], v[46:47], v[48:49]
	s_or_b32 exec_lo, exec_lo, s44
	s_and_saveexec_b32 s44, s3
	s_cbranch_execnz .LBB128_241
	s_branch .LBB128_242
.LBB128_1081:                           ;   in Loop: Header=BB128_3 Depth=1
	ds_load_b64 v[46:47], v58 offset:8864
	ds_load_b64 v[48:49], v53 offset:8328
	s_wait_dscnt 0x0
	v_fmac_f64_e32 v[0:1], v[46:47], v[48:49]
	s_or_b32 exec_lo, exec_lo, s45
	s_and_saveexec_b32 s45, s13
	s_cbranch_execz .LBB128_330
.LBB128_1082:                           ;   in Loop: Header=BB128_3 Depth=1
	ds_load_b64 v[46:47], v57 offset:9376
	ds_load_b64 v[48:49], v53 offset:8336
	s_wait_dscnt 0x0
	v_fmac_f64_e32 v[0:1], v[46:47], v[48:49]
	s_or_b32 exec_lo, exec_lo, s45
	s_and_saveexec_b32 s45, s1
	s_cbranch_execnz .LBB128_331
	s_branch .LBB128_332
.LBB128_1083:                           ;   in Loop: Header=BB128_3 Depth=1
	ds_load_b64 v[46:47], v67 offset:8896
	ds_load_b64 v[48:49], v61 offset:8328
	s_wait_dscnt 0x0
	v_fmac_f64_e32 v[0:1], v[46:47], v[48:49]
	s_or_b32 exec_lo, exec_lo, s45
	s_and_saveexec_b32 s45, s15
	s_cbranch_execz .LBB128_372
.LBB128_1084:                           ;   in Loop: Header=BB128_3 Depth=1
	ds_load_b64 v[46:47], v67 offset:9408
	ds_load_b64 v[48:49], v61 offset:8336
	s_wait_dscnt 0x0
	v_fmac_f64_e32 v[0:1], v[46:47], v[48:49]
	s_or_b32 exec_lo, exec_lo, s45
	s_and_saveexec_b32 s45, s16
	s_cbranch_execz .LBB128_373
.LBB128_1085:                           ;   in Loop: Header=BB128_3 Depth=1
	ds_load_b64 v[46:47], v67 offset:9920
	ds_load_b64 v[48:49], v61 offset:8344
	s_wait_dscnt 0x0
	v_fmac_f64_e32 v[0:1], v[46:47], v[48:49]
	s_or_b32 exec_lo, exec_lo, s45
	s_and_saveexec_b32 s45, s17
	s_cbranch_execz .LBB128_374
.LBB128_1086:                           ;   in Loop: Header=BB128_3 Depth=1
	ds_load_b64 v[46:47], v66 offset:10432
	ds_load_b64 v[48:49], v61 offset:8352
	s_wait_dscnt 0x0
	v_fmac_f64_e32 v[0:1], v[46:47], v[48:49]
	s_or_b32 exec_lo, exec_lo, s45
	s_and_saveexec_b32 s45, s18
	s_cbranch_execz .LBB128_375
.LBB128_1087:                           ;   in Loop: Header=BB128_3 Depth=1
	ds_load_b64 v[46:47], v67 offset:10944
	ds_load_b64 v[48:49], v61 offset:8360
	s_wait_dscnt 0x0
	v_fmac_f64_e32 v[0:1], v[46:47], v[48:49]
	s_or_b32 exec_lo, exec_lo, s45
	s_and_saveexec_b32 s45, s3
	s_cbranch_execz .LBB128_376
.LBB128_1088:                           ;   in Loop: Header=BB128_3 Depth=1
	ds_load_b64 v[46:47], v66 offset:11456
	ds_load_b64 v[48:49], v61 offset:8368
	s_wait_dscnt 0x0
	v_fmac_f64_e32 v[0:1], v[46:47], v[48:49]
	s_or_b32 exec_lo, exec_lo, s45
	s_and_saveexec_b32 s45, s13
	s_cbranch_execnz .LBB128_377
	s_branch .LBB128_378
.LBB128_1089:                           ;   in Loop: Header=BB128_3 Depth=1
	ds_load_b64 v[46:47], v58 offset:13024
	ds_load_b64 v[48:49], v53 offset:12488
	s_wait_dscnt 0x0
	v_fmac_f64_e32 v[0:1], v[46:47], v[48:49]
	s_or_b32 exec_lo, exec_lo, s45
	s_and_saveexec_b32 s45, s13
	s_cbranch_execz .LBB128_434
.LBB128_1090:                           ;   in Loop: Header=BB128_3 Depth=1
	ds_load_b64 v[46:47], v57 offset:13536
	ds_load_b64 v[48:49], v53 offset:12496
	s_wait_dscnt 0x0
	v_fmac_f64_e32 v[0:1], v[46:47], v[48:49]
	s_or_b32 exec_lo, exec_lo, s45
	s_and_saveexec_b32 s45, s1
	s_cbranch_execnz .LBB128_435
	s_branch .LBB128_436
.LBB128_1091:                           ;   in Loop: Header=BB128_3 Depth=1
	ds_load_b64 v[46:47], v83 offset:15104
	ds_load_b64 v[48:49], v2 offset:232
	s_wait_dscnt 0x0
	v_fmac_f64_e32 v[0:1], v[46:47], v[48:49]
	s_or_b32 exec_lo, exec_lo, s44
	s_and_saveexec_b32 s44, s4
	s_cbranch_execz .LBB128_532
.LBB128_1092:                           ;   in Loop: Header=BB128_3 Depth=1
	ds_load_b64 v[46:47], v83 offset:15616
	ds_load_b64 v[48:49], v2 offset:240
	s_wait_dscnt 0x0
	v_fmac_f64_e32 v[0:1], v[46:47], v[48:49]
	s_or_b32 exec_lo, exec_lo, s44
	s_and_saveexec_b32 s44, s17
	s_cbranch_execnz .LBB128_533
	s_branch .LBB128_534
.LBB128_1093:                           ;   in Loop: Header=BB128_3 Depth=1
	ds_load_b64 v[46:47], v58 offset:17184
	ds_load_b64 v[48:49], v53 offset:16648
	s_wait_dscnt 0x0
	v_fmac_f64_e32 v[0:1], v[46:47], v[48:49]
	s_or_b32 exec_lo, exec_lo, s45
	s_and_saveexec_b32 s45, s13
	s_cbranch_execz .LBB128_578
.LBB128_1094:                           ;   in Loop: Header=BB128_3 Depth=1
	ds_load_b64 v[46:47], v57 offset:17696
	ds_load_b64 v[48:49], v53 offset:16656
	s_wait_dscnt 0x0
	v_fmac_f64_e32 v[0:1], v[46:47], v[48:49]
	s_or_b32 exec_lo, exec_lo, s45
	s_and_saveexec_b32 s45, s1
	s_cbranch_execnz .LBB128_579
	s_branch .LBB128_580
.LBB128_1095:                           ;   in Loop: Header=BB128_3 Depth=1
	ds_load_b64 v[46:47], v67 offset:17216
	ds_load_b64 v[48:49], v61 offset:16648
	s_wait_dscnt 0x0
	v_fmac_f64_e32 v[0:1], v[46:47], v[48:49]
	s_or_b32 exec_lo, exec_lo, s45
	s_and_saveexec_b32 s45, s15
	s_cbranch_execz .LBB128_620
.LBB128_1096:                           ;   in Loop: Header=BB128_3 Depth=1
	ds_load_b64 v[46:47], v67 offset:17728
	ds_load_b64 v[48:49], v61 offset:16656
	s_wait_dscnt 0x0
	v_fmac_f64_e32 v[0:1], v[46:47], v[48:49]
	s_or_b32 exec_lo, exec_lo, s45
	s_and_saveexec_b32 s45, s16
	s_cbranch_execz .LBB128_621
.LBB128_1097:                           ;   in Loop: Header=BB128_3 Depth=1
	ds_load_b64 v[46:47], v67 offset:18240
	ds_load_b64 v[48:49], v61 offset:16664
	s_wait_dscnt 0x0
	v_fmac_f64_e32 v[0:1], v[46:47], v[48:49]
	s_or_b32 exec_lo, exec_lo, s45
	s_and_saveexec_b32 s45, s17
	s_cbranch_execz .LBB128_622
.LBB128_1098:                           ;   in Loop: Header=BB128_3 Depth=1
	ds_load_b64 v[46:47], v66 offset:18752
	ds_load_b64 v[48:49], v61 offset:16672
	s_wait_dscnt 0x0
	v_fmac_f64_e32 v[0:1], v[46:47], v[48:49]
	s_or_b32 exec_lo, exec_lo, s45
	s_and_saveexec_b32 s45, s18
	s_cbranch_execz .LBB128_623
.LBB128_1099:                           ;   in Loop: Header=BB128_3 Depth=1
	ds_load_b64 v[46:47], v67 offset:19264
	ds_load_b64 v[48:49], v61 offset:16680
	s_wait_dscnt 0x0
	v_fmac_f64_e32 v[0:1], v[46:47], v[48:49]
	s_or_b32 exec_lo, exec_lo, s45
	s_and_saveexec_b32 s45, s3
	s_cbranch_execz .LBB128_624
.LBB128_1100:                           ;   in Loop: Header=BB128_3 Depth=1
	ds_load_b64 v[46:47], v66 offset:19776
	ds_load_b64 v[48:49], v61 offset:16688
	s_wait_dscnt 0x0
	v_fmac_f64_e32 v[0:1], v[46:47], v[48:49]
	s_or_b32 exec_lo, exec_lo, s45
	s_and_saveexec_b32 s45, s13
	s_cbranch_execnz .LBB128_625
	s_branch .LBB128_626
.LBB128_1101:                           ;   in Loop: Header=BB128_3 Depth=1
	ds_load_b64 v[46:47], v58 offset:21344
	ds_load_b64 v[48:49], v53 offset:20808
	s_wait_dscnt 0x0
	v_fmac_f64_e32 v[0:1], v[46:47], v[48:49]
	s_or_b32 exec_lo, exec_lo, s45
	s_and_saveexec_b32 s45, s13
	s_cbranch_execz .LBB128_682
.LBB128_1102:                           ;   in Loop: Header=BB128_3 Depth=1
	ds_load_b64 v[46:47], v57 offset:21856
	ds_load_b64 v[48:49], v53 offset:20816
	s_wait_dscnt 0x0
	v_fmac_f64_e32 v[0:1], v[46:47], v[48:49]
	s_or_b32 exec_lo, exec_lo, s45
	s_and_saveexec_b32 s45, s1
	s_cbranch_execnz .LBB128_683
	s_branch .LBB128_684
.LBB128_1103:                           ;   in Loop: Header=BB128_3 Depth=1
	ds_load_b64 v[46:47], v78 offset:22400
	ds_load_b64 v[48:49], v73 offset:16728
	s_wait_dscnt 0x0
	v_fmac_f64_e32 v[0:1], v[46:47], v[48:49]
	s_or_b32 exec_lo, exec_lo, s44
	s_and_saveexec_b32 s44, s4
	s_cbranch_execz .LBB128_744
.LBB128_1104:                           ;   in Loop: Header=BB128_3 Depth=1
	ds_load_b64 v[46:47], v77 offset:22912
	ds_load_b64 v[48:49], v73 offset:16736
	s_wait_dscnt 0x0
	v_fmac_f64_e32 v[0:1], v[46:47], v[48:49]
	s_or_b32 exec_lo, exec_lo, s44
	s_and_saveexec_b32 s44, s15
	s_cbranch_execz .LBB128_745
.LBB128_1105:                           ;   in Loop: Header=BB128_3 Depth=1
	ds_load_b64 v[46:47], v78 offset:23424
	ds_load_b64 v[48:49], v73 offset:16744
	s_wait_dscnt 0x0
	v_fmac_f64_e32 v[0:1], v[46:47], v[48:49]
	s_or_b32 exec_lo, exec_lo, s44
	s_and_saveexec_b32 s44, s17
	s_cbranch_execz .LBB128_746
.LBB128_1106:                           ;   in Loop: Header=BB128_3 Depth=1
	ds_load_b64 v[46:47], v77 offset:23936
	ds_load_b64 v[48:49], v73 offset:16752
	s_wait_dscnt 0x0
	v_fmac_f64_e32 v[0:1], v[46:47], v[48:49]
	s_or_b32 exec_lo, exec_lo, s44
	s_and_saveexec_b32 s44, s3
	s_cbranch_execnz .LBB128_747
	s_branch .LBB128_748
.LBB128_1107:                           ;   in Loop: Header=BB128_3 Depth=1
	ds_load_b64 v[46:47], v58 offset:25504
	ds_load_b64 v[48:49], v53 offset:24968
	s_wait_dscnt 0x0
	v_fmac_f64_e32 v[0:1], v[46:47], v[48:49]
	s_or_b32 exec_lo, exec_lo, s45
	s_and_saveexec_b32 s45, s13
	s_cbranch_execz .LBB128_836
.LBB128_1108:                           ;   in Loop: Header=BB128_3 Depth=1
	ds_load_b64 v[46:47], v57 offset:26016
	ds_load_b64 v[48:49], v53 offset:24976
	s_wait_dscnt 0x0
	v_fmac_f64_e32 v[0:1], v[46:47], v[48:49]
	s_or_b32 exec_lo, exec_lo, s45
	s_and_saveexec_b32 s45, s1
	s_cbranch_execnz .LBB128_837
	s_branch .LBB128_838
.LBB128_1109:                           ;   in Loop: Header=BB128_3 Depth=1
	ds_load_b64 v[46:47], v67 offset:25536
	ds_load_b64 v[48:49], v61 offset:24968
	s_wait_dscnt 0x0
	v_fmac_f64_e32 v[0:1], v[46:47], v[48:49]
	s_or_b32 exec_lo, exec_lo, s45
	s_and_saveexec_b32 s45, s15
	s_cbranch_execz .LBB128_878
.LBB128_1110:                           ;   in Loop: Header=BB128_3 Depth=1
	ds_load_b64 v[46:47], v67 offset:26048
	ds_load_b64 v[48:49], v61 offset:24976
	s_wait_dscnt 0x0
	v_fmac_f64_e32 v[0:1], v[46:47], v[48:49]
	s_or_b32 exec_lo, exec_lo, s45
	s_and_saveexec_b32 s45, s16
	s_cbranch_execz .LBB128_879
.LBB128_1111:                           ;   in Loop: Header=BB128_3 Depth=1
	ds_load_b64 v[46:47], v67 offset:26560
	ds_load_b64 v[48:49], v61 offset:24984
	s_wait_dscnt 0x0
	v_fmac_f64_e32 v[0:1], v[46:47], v[48:49]
	s_or_b32 exec_lo, exec_lo, s45
	s_and_saveexec_b32 s45, s17
	s_cbranch_execz .LBB128_880
.LBB128_1112:                           ;   in Loop: Header=BB128_3 Depth=1
	ds_load_b64 v[46:47], v66 offset:27072
	ds_load_b64 v[48:49], v61 offset:24992
	s_wait_dscnt 0x0
	v_fmac_f64_e32 v[0:1], v[46:47], v[48:49]
	s_or_b32 exec_lo, exec_lo, s45
	s_and_saveexec_b32 s45, s18
	s_cbranch_execz .LBB128_881
.LBB128_1113:                           ;   in Loop: Header=BB128_3 Depth=1
	ds_load_b64 v[46:47], v67 offset:27584
	ds_load_b64 v[48:49], v61 offset:25000
	s_wait_dscnt 0x0
	v_fmac_f64_e32 v[0:1], v[46:47], v[48:49]
	s_or_b32 exec_lo, exec_lo, s45
	s_and_saveexec_b32 s45, s3
	s_cbranch_execz .LBB128_882
.LBB128_1114:                           ;   in Loop: Header=BB128_3 Depth=1
	ds_load_b64 v[46:47], v66 offset:28096
	ds_load_b64 v[48:49], v61 offset:25008
	s_wait_dscnt 0x0
	v_fmac_f64_e32 v[0:1], v[46:47], v[48:49]
	s_or_b32 exec_lo, exec_lo, s45
	s_and_saveexec_b32 s45, s13
	s_cbranch_execnz .LBB128_883
	s_branch .LBB128_884
.LBB128_1115:                           ;   in Loop: Header=BB128_3 Depth=1
	ds_load_b64 v[46:47], v58 offset:29664
	ds_load_b64 v[48:49], v53 offset:29128
	s_wait_dscnt 0x0
	v_fmac_f64_e32 v[0:1], v[46:47], v[48:49]
	s_or_b32 exec_lo, exec_lo, s45
	s_and_saveexec_b32 s45, s13
	s_cbranch_execz .LBB128_940
.LBB128_1116:                           ;   in Loop: Header=BB128_3 Depth=1
	ds_load_b64 v[46:47], v57 offset:30176
	ds_load_b64 v[48:49], v53 offset:29136
	s_wait_dscnt 0x0
	v_fmac_f64_e32 v[0:1], v[46:47], v[48:49]
	s_or_b32 exec_lo, exec_lo, s45
	s_and_saveexec_b32 s45, s1
	s_cbranch_execnz .LBB128_941
	s_branch .LBB128_942
.LBB128_1117:
	s_endpgm
	.section	.rodata,"a",@progbits
	.p2align	6, 0x0
	.amdhsa_kernel _ZL19rocblas_trsv_deviceILi64ELi16ELb1ELb1ELb0ELb1EdPKdPKS1_PKPdEviT7_lllT6_T8_lllPii
		.amdhsa_group_segment_fixed_size 41480
		.amdhsa_private_segment_fixed_size 0
		.amdhsa_kernarg_size 352
		.amdhsa_user_sgpr_count 2
		.amdhsa_user_sgpr_dispatch_ptr 0
		.amdhsa_user_sgpr_queue_ptr 0
		.amdhsa_user_sgpr_kernarg_segment_ptr 1
		.amdhsa_user_sgpr_dispatch_id 0
		.amdhsa_user_sgpr_kernarg_preload_length 0
		.amdhsa_user_sgpr_kernarg_preload_offset 0
		.amdhsa_user_sgpr_private_segment_size 0
		.amdhsa_wavefront_size32 1
		.amdhsa_uses_dynamic_stack 0
		.amdhsa_enable_private_segment 0
		.amdhsa_system_sgpr_workgroup_id_x 1
		.amdhsa_system_sgpr_workgroup_id_y 0
		.amdhsa_system_sgpr_workgroup_id_z 1
		.amdhsa_system_sgpr_workgroup_info 0
		.amdhsa_system_vgpr_workitem_id 1
		.amdhsa_next_free_vgpr 104
		.amdhsa_next_free_sgpr 105
		.amdhsa_named_barrier_count 0
		.amdhsa_reserve_vcc 1
		.amdhsa_float_round_mode_32 0
		.amdhsa_float_round_mode_16_64 0
		.amdhsa_float_denorm_mode_32 3
		.amdhsa_float_denorm_mode_16_64 3
		.amdhsa_fp16_overflow 0
		.amdhsa_memory_ordered 1
		.amdhsa_forward_progress 1
		.amdhsa_inst_pref_size 241
		.amdhsa_round_robin_scheduling 0
		.amdhsa_exception_fp_ieee_invalid_op 0
		.amdhsa_exception_fp_denorm_src 0
		.amdhsa_exception_fp_ieee_div_zero 0
		.amdhsa_exception_fp_ieee_overflow 0
		.amdhsa_exception_fp_ieee_underflow 0
		.amdhsa_exception_fp_ieee_inexact 0
		.amdhsa_exception_int_div_zero 0
	.end_amdhsa_kernel
	.section	.text._ZL19rocblas_trsv_deviceILi64ELi16ELb1ELb1ELb0ELb1EdPKdPKS1_PKPdEviT7_lllT6_T8_lllPii,"axG",@progbits,_ZL19rocblas_trsv_deviceILi64ELi16ELb1ELb1ELb0ELb1EdPKdPKS1_PKPdEviT7_lllT6_T8_lllPii,comdat
.Lfunc_end128:
	.size	_ZL19rocblas_trsv_deviceILi64ELi16ELb1ELb1ELb0ELb1EdPKdPKS1_PKPdEviT7_lllT6_T8_lllPii, .Lfunc_end128-_ZL19rocblas_trsv_deviceILi64ELi16ELb1ELb1ELb0ELb1EdPKdPKS1_PKPdEviT7_lllT6_T8_lllPii
                                        ; -- End function
	.set _ZL19rocblas_trsv_deviceILi64ELi16ELb1ELb1ELb0ELb1EdPKdPKS1_PKPdEviT7_lllT6_T8_lllPii.num_vgpr, 104
	.set _ZL19rocblas_trsv_deviceILi64ELi16ELb1ELb1ELb0ELb1EdPKdPKS1_PKPdEviT7_lllT6_T8_lllPii.num_agpr, 0
	.set _ZL19rocblas_trsv_deviceILi64ELi16ELb1ELb1ELb0ELb1EdPKdPKS1_PKPdEviT7_lllT6_T8_lllPii.numbered_sgpr, 105
	.set _ZL19rocblas_trsv_deviceILi64ELi16ELb1ELb1ELb0ELb1EdPKdPKS1_PKPdEviT7_lllT6_T8_lllPii.num_named_barrier, 0
	.set _ZL19rocblas_trsv_deviceILi64ELi16ELb1ELb1ELb0ELb1EdPKdPKS1_PKPdEviT7_lllT6_T8_lllPii.private_seg_size, 0
	.set _ZL19rocblas_trsv_deviceILi64ELi16ELb1ELb1ELb0ELb1EdPKdPKS1_PKPdEviT7_lllT6_T8_lllPii.uses_vcc, 1
	.set _ZL19rocblas_trsv_deviceILi64ELi16ELb1ELb1ELb0ELb1EdPKdPKS1_PKPdEviT7_lllT6_T8_lllPii.uses_flat_scratch, 0
	.set _ZL19rocblas_trsv_deviceILi64ELi16ELb1ELb1ELb0ELb1EdPKdPKS1_PKPdEviT7_lllT6_T8_lllPii.has_dyn_sized_stack, 0
	.set _ZL19rocblas_trsv_deviceILi64ELi16ELb1ELb1ELb0ELb1EdPKdPKS1_PKPdEviT7_lllT6_T8_lllPii.has_recursion, 0
	.set _ZL19rocblas_trsv_deviceILi64ELi16ELb1ELb1ELb0ELb1EdPKdPKS1_PKPdEviT7_lllT6_T8_lllPii.has_indirect_call, 0
	.section	.AMDGPU.csdata,"",@progbits
; Kernel info:
; codeLenInByte = 30776
; TotalNumSgprs: 107
; NumVgprs: 104
; ScratchSize: 0
; MemoryBound: 0
; FloatMode: 240
; IeeeMode: 1
; LDSByteSize: 41480 bytes/workgroup (compile time only)
; SGPRBlocks: 0
; VGPRBlocks: 6
; NumSGPRsForWavesPerEU: 107
; NumVGPRsForWavesPerEU: 104
; NamedBarCnt: 0
; Occupancy: 9
; WaveLimiterHint : 1
; COMPUTE_PGM_RSRC2:SCRATCH_EN: 0
; COMPUTE_PGM_RSRC2:USER_SGPR: 2
; COMPUTE_PGM_RSRC2:TRAP_HANDLER: 0
; COMPUTE_PGM_RSRC2:TGID_X_EN: 1
; COMPUTE_PGM_RSRC2:TGID_Y_EN: 0
; COMPUTE_PGM_RSRC2:TGID_Z_EN: 1
; COMPUTE_PGM_RSRC2:TIDIG_COMP_CNT: 1
	.section	.text._ZL19rocblas_trsv_deviceILi64ELi16ELb1ELb1ELb1ELb1EdPKdPKS1_PKPdEviT7_lllT6_T8_lllPii,"axG",@progbits,_ZL19rocblas_trsv_deviceILi64ELi16ELb1ELb1ELb1ELb1EdPKdPKS1_PKPdEviT7_lllT6_T8_lllPii,comdat
	.globl	_ZL19rocblas_trsv_deviceILi64ELi16ELb1ELb1ELb1ELb1EdPKdPKS1_PKPdEviT7_lllT6_T8_lllPii ; -- Begin function _ZL19rocblas_trsv_deviceILi64ELi16ELb1ELb1ELb1ELb1EdPKdPKS1_PKPdEviT7_lllT6_T8_lllPii
	.p2align	8
	.type	_ZL19rocblas_trsv_deviceILi64ELi16ELb1ELb1ELb1ELb1EdPKdPKS1_PKPdEviT7_lllT6_T8_lllPii,@function
_ZL19rocblas_trsv_deviceILi64ELi16ELb1ELb1ELb1ELb1EdPKdPKS1_PKPdEviT7_lllT6_T8_lllPii: ; @_ZL19rocblas_trsv_deviceILi64ELi16ELb1ELb1ELb1ELb1EdPKdPKS1_PKPdEviT7_lllT6_T8_lllPii
; %bb.0:
	s_load_b32 s6, s[0:1], 0x58
	s_bfe_u32 s2, ttmp6, 0x40014
	s_lshr_b32 s3, ttmp7, 16
	s_add_co_i32 s2, s2, 1
	s_bfe_u32 s5, ttmp6, 0x40008
	s_mul_i32 s4, s3, s2
	s_getreg_b32 s2, hwreg(HW_REG_IB_STS2, 6, 4)
	s_add_co_i32 s5, s5, s4
	s_cmp_eq_u32 s2, 0
	s_mov_b32 s63, 0
	s_cselect_b32 s62, s3, s5
                                        ; implicit-def: $vgpr103 : SGPR spill to VGPR lane
	s_wait_kmcnt 0x0
	s_cmp_ge_u32 s62, s6
	v_writelane_b32 v103, s6, 0
	s_cbranch_scc1 .LBB129_1117
; %bb.1:
	s_clause 0x2
	s_load_b32 s3, s[0:1], 0x6c
	s_load_b32 s85, s[0:1], 0x60
	;; [unrolled: 1-line block ×3, first 2 shown]
	s_bfe_u32 s5, ttmp6, 0x4000c
	s_and_b32 s4, ttmp6, 15
	s_add_co_i32 s5, s5, 1
	s_clause 0x1
	s_load_b64 s[12:13], s[0:1], 0x18
	s_load_b256 s[64:71], s[0:1], 0x28
	s_mul_i32 s5, ttmp9, s5
	s_clause 0x1
	s_load_b64 s[78:79], s[0:1], 0x50
	s_load_b128 s[72:75], s[0:1], 0x8
	s_add_co_i32 s4, s4, s5
	s_cmp_eq_u32 s2, 0
	v_and_b32_e32 v6, 0x3ff, v0
	s_cselect_b32 s84, ttmp9, s4
	v_bfe_u32 v8, v0, 10, 10
	v_mov_b32_e32 v5, 0
                                        ; implicit-def: $vgpr102 : SGPR spill to VGPR lane
	v_mov_b64_e32 v[30:31], 1.0
	v_lshlrev_b32_e32 v9, 6, v6
	v_cmp_gt_u32_e64 s4, 2, v6
	s_delay_alu instid0(VALU_DEP_4)
	v_dual_mov_b32 v11, v5 :: v_dual_add_nc_u32 v4, 16, v8
	s_wait_kmcnt 0x0
	s_and_b32 s0, s3, 0xffff
	s_add_co_i32 s1, s76, -1
	s_ashr_i32 s77, s76, 31
	s_ashr_i32 s2, s1, 31
	s_lshr_b32 s3, s77, 26
	s_lshr_b32 s2, s2, 26
	s_add_co_i32 s3, s76, s3
	s_add_co_i32 s85, s85, -1
	s_add_co_i32 s1, s1, s2
	s_and_not1_b32 s3, s3, 63
	s_sub_co_i32 s42, s85, s84
	s_ashr_i32 s1, s1, 6
	s_sub_co_i32 s11, s76, s3
	s_cmp_eq_u32 s1, s42
	v_lshl_add_u32 v1, v8, 6, v6
	s_cselect_b32 s1, -1, 0
	s_cmp_lg_u32 s11, 0
	v_lshl_add_u32 v17, v4, 6, v6
	s_cselect_b32 s2, -1, 0
	v_cmp_gt_u32_e64 s44, 0x3e0, v1
	s_and_b32 s18, s2, s1
	s_add_nc_u64 s[2:3], s[12:13], 1
	s_xor_b32 s86, s18, -1
	s_cmp_lg_u32 s84, 0
	v_dual_add_nc_u32 v36, 32, v8 :: v_dual_add_nc_u32 v38, 48, v8
	s_cselect_b32 s1, -1, 0
	s_lshl_b32 s16, s42, 6
	s_cmp_lt_i32 s84, 5
	v_dual_add_nc_u32 v24, s16, v8 :: v_dual_add_nc_u32 v2, s16, v6
	v_add_nc_u32_e32 v7, v8, v9
	v_add_nc_u32_e32 v16, v4, v9
	s_cselect_b32 vcc_lo, -1, 0
	s_delay_alu instid0(VALU_DEP_3) | instskip(NEXT) | instid1(VALU_DEP_3)
	v_dual_add_nc_u32 v12, 64, v24 :: v_dual_ashrrev_i32 v3, 31, v2
	v_cndmask_b32_e32 v34, v1, v7, vcc_lo
	s_or_b32 vcc_lo, vcc_lo, s18
	s_ashr_i32 s17, s16, 31
	s_delay_alu instid0(VALU_DEP_2)
	v_ashrrev_i32_e32 v13, 31, v12
	v_dual_cndmask_b32 v35, v17, v16, vcc_lo :: v_dual_lshrrev_b32 v17, 1, v1
	v_dual_lshrrev_b32 v7, 10, v0 :: v_dual_bitop2_b32 v16, 1, v0 bitop3:0x40
	s_mul_u64 s[14:15], s[2:3], s[16:17]
	v_writelane_b32 v103, s1, 1
	v_cmp_gt_u32_e64 s1, 4, v1
	s_delay_alu instid0(VALU_DEP_3)
	v_dual_lshlrev_b32 v18, 3, v16 :: v_dual_lshlrev_b32 v52, 3, v6
	v_cmp_eq_u32_e64 s3, 1, v16
	v_lshrrev_b32_e32 v16, 2, v1
	v_bitop3_b32 v40, v0, v7, 0x3ff bitop3:0xa8
	v_lshl_add_u32 v7, v17, 3, 0x8000
	v_lshl_or_b32 v50, v17, 9, v18
	v_mul_u32_u24_e32 v51, 0x208, v17
	v_cmp_eq_u32_e64 s2, 0, v8
	v_and_b32_e32 v17, 3, v0
	v_lshlrev_b32_e32 v18, 3, v16
	v_mul_u32_u24_e32 v53, 0x208, v16
	s_xor_b32 s5, s3, -1
	s_and_b32 s90, s3, s1
	s_and_b32 s89, s5, s1
	;; [unrolled: 1-line block ×3, first 2 shown]
	v_dual_lshlrev_b32 v54, 3, v17 :: v_dual_sub_nc_u32 v19, v53, v18
	v_cmp_gt_u32_e64 s3, 16, v1
	v_cmp_eq_u32_e64 s4, 0, v17
	v_cmp_ne_u32_e64 s5, 0, v17
	s_delay_alu instid0(VALU_DEP_4)
	v_lshl_or_b32 v57, v16, 9, v54
	v_cmp_eq_u32_e64 s7, 1, v17
	v_cmp_lt_u32_e64 s8, 1, v17
	v_cmp_eq_u32_e64 s9, 2, v17
	s_and_b32 s92, s4, s3
	s_and_b32 s93, s5, s3
	v_cmp_eq_u32_e64 s4, 3, v17
	v_dual_lshrrev_b32 v16, 3, v1 :: v_dual_add_nc_u32 v58, v19, v54
	v_and_b32_e32 v17, 7, v0
	v_cmp_gt_u32_e64 s5, 4, v6
	s_and_b32 s97, s4, s3
	v_cmp_gt_u32_e64 s4, 64, v1
	s_and_b32 s94, s7, s3
	v_cmp_ne_u32_e64 s7, 0, v17
	s_and_b32 s98, s2, s5
	v_cmp_eq_u32_e64 s5, 0, v17
	s_and_b32 s95, s8, s3
	s_and_b32 s96, s9, s3
	v_cmp_eq_u32_e64 s8, 1, v17
	v_cmp_lt_u32_e64 s9, 1, v17
	s_and_b32 s99, s5, s4
	v_cmp_eq_u32_e64 s5, 2, v17
	s_and_b32 s100, s7, s4
	v_cmp_lt_u32_e64 s7, 2, v17
	s_and_b32 s101, s8, s4
	s_and_b32 s102, s9, s4
	;; [unrolled: 1-line block ×3, first 2 shown]
	v_cmp_eq_u32_e64 s5, 4, v17
	v_cmp_eq_u32_e64 s8, 3, v17
	v_cmp_lt_u32_e64 s9, 3, v17
	s_and_b32 s104, s7, s4
	v_cmp_eq_u32_e64 s7, 5, v17
	s_and_b32 s33, s5, s4
	v_cmp_lt_u32_e64 s5, 4, v17
	v_mul_u32_u24_e32 v61, 0x208, v16
	v_lshlrev_b32_e32 v63, 3, v17
	s_and_b32 vcc_hi, s8, s4
	s_and_b32 s31, s9, s4
	v_cmp_lt_u32_e64 s8, 5, v17
	v_cmp_eq_u32_e64 s9, 6, v17
	s_and_b32 s34, s5, s4
	s_and_b32 s35, s7, s4
	v_cmp_eq_u32_e64 s5, 7, v17
	v_cmp_gt_u32_e64 s7, 8, v6
	v_and_b32_e32 v17, 15, v0
	s_and_b32 s36, s8, s4
	s_and_b32 s37, s9, s4
	;; [unrolled: 1-line block ×4, first 2 shown]
	v_cmp_gt_u32_e64 s5, 0x100, v1
	v_cmp_eq_u32_e64 s7, 0, v17
	v_cmp_ne_u32_e64 s8, 0, v17
	v_cmp_eq_u32_e64 s9, 1, v17
	v_cmp_lt_u32_e64 s10, 1, v17
	v_writelane_b32 v102, s44, 0
	s_and_b32 s7, s7, s5
	s_and_b32 s8, s8, s5
	v_writelane_b32 v103, s7, 2
	v_cmp_eq_u32_e64 s7, 2, v17
	v_cmp_gt_u32_e64 s44, 0x3c0, v1
	v_dual_lshlrev_b32 v74, 3, v17 :: v_dual_bitop2_b32 v79, 31, v0 bitop3:0x40
	v_writelane_b32 v103, s8, 3
	s_and_b32 s8, s9, s5
	s_and_b32 s7, s7, s5
	v_cmp_lt_u32_e64 s9, 3, v17
	v_dual_add_nc_u32 v0, v36, v9 :: v_dual_add_nc_u32 v9, v38, v9
	v_writelane_b32 v103, s8, 4
	s_and_b32 s8, s10, s5
	v_cmp_eq_u32_e64 s10, 4, v17
	v_writelane_b32 v102, s44, 1
	v_cmp_gt_u32_e64 s44, 0x3a0, v1
	v_writelane_b32 v103, s8, 5
	v_cmp_lt_u32_e64 s8, 2, v17
	v_cmp_gt_i32_e64 s6, s11, v6
	s_xor_b32 s88, vcc_lo, -1
	v_writelane_b32 v102, s44, 2
	v_writelane_b32 v103, s7, 6
	v_cmp_eq_u32_e64 s7, 3, v17
	s_and_b32 s8, s8, s5
	v_cmp_gt_u32_e64 s44, 0x380, v1
	v_mad_u32_u24 v10, v8, s0, v6
	v_writelane_b32 v103, s8, 7
	s_and_b32 s7, s7, s5
	v_cmp_lt_u32_e64 s8, 4, v17
	v_writelane_b32 v102, s44, 3
	v_cmp_gt_u32_e64 s44, 0x360, v1
	v_writelane_b32 v103, s7, 8
	s_and_b32 s7, s9, s5
	s_and_b32 s49, s8, s5
	v_cmp_lt_u32_e64 s8, 5, v17
	v_cmp_eq_u32_e64 s9, 6, v17
	v_writelane_b32 v103, s7, 9
	s_and_b32 s7, s10, s5
	v_cmp_lt_u32_e64 s10, 6, v17
	s_and_b32 s51, s8, s5
	v_cmp_lt_u32_e64 s8, 7, v17
	v_writelane_b32 v103, s7, 10
	v_cmp_eq_u32_e64 s7, 5, v17
	s_and_b32 s52, s9, s5
	s_and_b32 s53, s10, s5
	;; [unrolled: 1-line block ×3, first 2 shown]
	v_cmp_lt_u32_e64 s8, 9, v17
	s_and_b32 s50, s7, s5
	v_cmp_eq_u32_e64 s7, 7, v17
	v_cmp_lt_u32_e64 s9, 8, v17
	v_cmp_eq_u32_e64 s10, 9, v17
	s_and_b32 s27, s8, s5
	v_cmp_lt_u32_e64 s8, 10, v17
	s_and_b32 s54, s7, s5
	v_cmp_eq_u32_e64 s7, 8, v17
	s_and_b32 s23, s9, s5
	s_and_b32 s25, s10, s5
	v_cmp_eq_u32_e64 s9, 11, v17
	v_cmp_lt_u32_e64 s10, 11, v17
	s_and_b32 s21, s7, s5
	v_cmp_eq_u32_e64 s7, 10, v17
	s_and_b32 s57, s8, s5
	v_cmp_lt_u32_e64 s8, 12, v17
	s_and_b32 s58, s9, s5
	s_and_b32 s59, s10, s5
	;; [unrolled: 1-line block ×3, first 2 shown]
	v_cmp_eq_u32_e64 s7, 12, v17
	v_cmp_lt_u32_e64 s9, 13, v17
	v_cmp_eq_u32_e64 s10, 14, v17
	s_and_b32 s20, s8, s5
	v_cmp_eq_u32_e64 s8, 15, v17
	s_and_b32 s60, s7, s5
	v_cmp_eq_u32_e64 s7, 13, v17
	v_lshl_add_u32 v17, v38, 6, v6
	v_add_nc_u32_e32 v56, 0x8000, v18
	v_and_b32_e32 v18, -8, v1
	s_and_b32 s24, s9, s5
	s_and_b32 s22, s7, s5
	v_cmp_gt_u32_e64 s7, 16, v6
	s_and_b32 s28, s8, s5
	v_sub_nc_u32_e32 v19, v61, v18
	v_lshl_or_b32 v66, v16, 9, v63
	v_lshrrev_b32_e32 v16, 4, v1
	v_cmp_le_i32_e64 s8, s11, v6
	v_cmp_gt_u32_e64 s9, 32, v6
	v_add_nc_u32_e32 v67, v19, v63
	v_add_nc_u32_e32 v65, 0x8000, v18
	v_dual_lshlrev_b32 v18, 3, v16 :: v_dual_lshrrev_b32 v25, 5, v1
	v_mul_u32_u24_e32 v73, 0x208, v16
	s_and_b32 s87, s2, s7
	s_and_b32 s61, s8, s18
	s_and_b32 s7, s2, s9
	v_add_nc_u32_e32 v76, 0x8000, v18
	v_writelane_b32 v103, s7, 11
	s_xor_b32 s7, s61, -1
	v_sub_nc_u32_e32 v19, v73, v18
	v_lshl_or_b32 v77, v16, 9, v74
	s_and_b32 s26, s10, s5
	v_dual_mov_b32 v37, v5 :: v_dual_lshlrev_b32 v80, 3, v25
	v_lshl_add_u32 v16, v36, 6, v6
	v_dual_mov_b32 v39, v5 :: v_dual_add_nc_u32 v18, 0x50, v24
	s_and_b32 s40, s2, s7
	v_cndmask_b32_e32 v41, v17, v9, vcc_lo
	v_mov_b32_e32 v9, v5
	v_cmp_le_i32_e64 s7, s11, v8
	v_cmp_le_i32_e64 s9, s11, v4
	;; [unrolled: 1-line block ×4, first 2 shown]
	s_cmp_gt_i32 s84, 0
	v_writelane_b32 v102, s44, 4
	v_cmp_gt_u32_e64 s44, 0x340, v1
	v_cmp_gt_i32_e64 s0, s76, v2
	v_mul_u64_e32 v[14:15], s[12:13], v[2:3]
	v_dual_add_nc_u32 v78, v19, v74 :: v_dual_cndmask_b32 v0, v16, v0, vcc_lo
	v_cmp_gt_i32_e32 vcc_lo, s76, v18
	v_mul_u64_e32 v[16:17], s[12:13], v[8:9]
	v_mul_u64_e32 v[18:19], s[12:13], v[4:5]
	;; [unrolled: 1-line block ×4, first 2 shown]
	s_cselect_b32 s41, -1, 0
	s_or_b32 s12, s7, s8
	s_or_b32 s9, s9, s8
	;; [unrolled: 1-line block ×4, first 2 shown]
	v_cmp_gt_i32_e64 s8, s76, v12
	s_and_b32 s6, s2, s6
	v_writelane_b32 v102, s44, 5
	v_writelane_b32 v103, s6, 12
	v_cmp_gt_u32_e64 s44, 0x320, v1
	v_add_nc_u32_e32 v28, 0x60, v24
	s_and_b32 s6, s8, s0
	v_mad_u32_u24 v55, 0x1f8, v6, v52
	v_writelane_b32 v103, s6, 13
	v_writelane_b32 v102, s44, 6
	v_cmp_gt_u32_e64 s44, 0x300, v1
	v_cmp_gt_i32_e64 s7, s76, v28
	v_add_nc_u32_e32 v28, 0x70, v24
	s_and_b32 s6, vcc_lo, s0
	v_mad_i32_i24 v59, 0xfffffe08, v6, v55
	v_writelane_b32 v103, s6, 14
	v_writelane_b32 v102, s44, 7
	v_cmp_gt_u32_e64 s44, 0x2e0, v1
	s_and_b32 s6, s7, s0
	v_cmp_gt_i32_e32 vcc_lo, s76, v28
	v_writelane_b32 v103, s6, 15
	v_cmp_le_u32_e64 s7, v6, v4
	v_writelane_b32 v102, s44, 8
	v_cmp_gt_u32_e64 s44, 0x2c0, v1
	s_and_b32 s6, vcc_lo, s0
	v_mad_u32_u24 v60, 0x1f8, v6, v59
	v_writelane_b32 v103, s6, 16
	v_cmp_le_u32_e64 s6, v6, v8
	v_writelane_b32 v102, s44, 9
	v_cmp_gt_u32_e64 s44, 0x2a0, v1
	v_cmp_gt_u32_e64 s30, 0xf0, v1
	v_mad_i32_i24 v62, 0xfffffe08, v6, v60
	s_or_b32 s8, s12, s6
	v_add_nc_u64_e32 v[26:27], s[16:17], v[10:11]
	v_writelane_b32 v102, s44, 10
	v_cmp_gt_u32_e64 s44, 0x280, v1
	v_writelane_b32 v103, s8, 17
	s_or_b32 s8, s9, s7
	v_mad_u32_u24 v64, 0x1f8, v6, v62
	v_lshlrev_b32_e32 v9, 9, v25
	v_writelane_b32 v102, s44, 11
	v_cmp_gt_u32_e64 s44, 0x260, v1
	v_writelane_b32 v103, s8, 18
	v_cmp_le_u32_e64 s8, v6, v36
	v_mad_i32_i24 v68, 0xfffffe08, v6, v64
	v_mul_u64_e32 v[24:25], s[70:71], v[2:3]
	v_writelane_b32 v102, s44, 12
	v_cmp_gt_u32_e64 s44, 0x240, v1
	s_or_b32 s9, s10, s8
	v_mad_u32_u24 v69, 0x1f8, v6, v68
	v_writelane_b32 v103, s9, 19
	v_cmp_le_u32_e64 s9, v6, v38
	v_writelane_b32 v102, s44, 13
	v_cmp_gt_u32_e64 s44, 0x220, v1
	v_mad_i32_i24 v70, 0xfffffe08, v6, v69
	v_mul_u64_e32 v[26:27], s[70:71], v[26:27]
	s_or_b32 s10, s11, s9
	v_mul_i32_i24_e32 v37, 0xfffffe08, v6
	v_writelane_b32 v103, s10, 20
	v_writelane_b32 v102, s44, 14
	v_cmp_gt_u32_e64 s44, 0x200, v1
	v_mad_u32_u24 v71, 0x1f8, v6, v70
	v_dual_lshlrev_b32 v88, 3, v0 :: v_dual_bitop2_b32 v44, v4, v6 bitop3:0x54
	v_writelane_b32 v103, s30, 21
	v_cmp_gt_u32_e64 s30, 0xe0, v1
	v_writelane_b32 v102, s44, 15
	v_cmp_gt_u32_e64 s44, 0x1e0, v1
	v_mad_i32_i24 v72, 0xfffffe08, v6, v71
	v_mad_u32_u24 v0, 0x1f8, v6, v37
	v_writelane_b32 v103, s30, 22
	v_cmp_gt_u32_e64 s30, 0xd0, v1
	v_writelane_b32 v102, s44, 16
	v_cmp_gt_u32_e64 s44, 0x1c0, v1
	v_mad_u32_u24 v75, 0x1f8, v6, v72
	v_mul_lo_u32 v0, v0, 7
	v_writelane_b32 v103, s30, 23
	v_cmp_gt_u32_e64 s30, 0xc0, v1
	v_writelane_b32 v102, s44, 17
	v_cmp_gt_u32_e64 s44, 0x1a0, v1
	v_mad_i32_i24 v11, 0xfffffe08, v6, v75
	v_lshlrev_b32_e32 v2, 3, v8
	v_writelane_b32 v103, s30, 24
	v_cmp_gt_u32_e64 s30, 0xb0, v1
	v_writelane_b32 v102, s44, 18
	v_cmp_gt_u32_e64 s44, 0x180, v1
	v_dual_lshlrev_b32 v3, 3, v79 :: v_dual_bitop2_b32 v42, v36, v6 bitop3:0x54
	s_delay_alu instid0(VALU_DEP_4) | instskip(SKIP_1) | instid1(VALU_DEP_4)
	v_writelane_b32 v103, s30, 25
	v_cmp_gt_u32_e64 s30, 0xa0, v1
	v_writelane_b32 v102, s44, 19
	v_cmp_gt_u32_e64 s44, 0x160, v1
	v_mad_u32_u24 v81, 0x1f8, v6, v11
	v_or_b32_e32 v82, 0xa000, v2
	v_writelane_b32 v103, s30, 26
	v_cmp_gt_u32_e64 s30, 0x90, v1
	v_writelane_b32 v102, s44, 20
	v_cmp_gt_u32_e64 s44, 0x140, v1
	v_dual_lshlrev_b32 v87, 3, v35 :: v_dual_bitop2_b32 v43, v38, v6 bitop3:0x54
	s_delay_alu instid0(VALU_DEP_4) | instskip(SKIP_1) | instid1(VALU_DEP_4)
	v_writelane_b32 v103, s30, 27
	v_cmp_gt_u32_e64 s30, 0x80, v1
	v_writelane_b32 v102, s44, 21
	v_cmp_gt_u32_e64 s44, 0x120, v1
	v_mov_b64_e32 v[28:29], 0
	v_cmp_lt_u32_e32 vcc_lo, 0x3ff, v1
	v_writelane_b32 v103, s30, 28
	v_cmp_gt_u32_e64 s30, 0x70, v1
	v_writelane_b32 v102, s44, 22
	v_cmp_gt_u32_e64 s44, 64, v40
	v_dual_lshlrev_b32 v86, 3, v34 :: v_dual_bitop2_b32 v83, v9, v3 bitop3:0x54
	s_delay_alu instid0(VALU_DEP_4) | instskip(SKIP_1) | instid1(VALU_DEP_4)
	v_writelane_b32 v103, s30, 29
	v_cmp_gt_u32_e64 s30, 0x60, v1
	v_writelane_b32 v102, s44, 23
	v_cmp_gt_u32_e64 s44, 64, v44
	v_add_nc_u32_e32 v84, 0x8000, v80
	v_lshl_add_u32 v85, v10, 3, 0xa000
	v_writelane_b32 v103, s30, 30
	v_cmp_gt_u32_e64 s30, 0x50, v1
	v_writelane_b32 v102, s44, 24
	v_cmp_gt_u32_e64 s44, 64, v42
	v_dual_lshlrev_b32 v89, 3, v41 :: v_dual_add_nc_u32 v91, v81, v2
	v_lshl_add_u32 v90, v1, 3, 0x8000
	v_add_nc_u32_e32 v92, 0x8000, v52
	v_lshl_add_u32 v93, v8, 9, v72
	v_dual_add_nc_u32 v94, v82, v52 :: v_dual_lshlrev_b32 v4, 3, v6
	v_or_b32_e32 v95, 0x4100, v3
	v_add3_u32 v96, v52, v0, 0x7800
	s_lshl_b64 s[80:81], s[14:15], 3
	v_subrev_nc_u32_e32 v97, 63, v6
	v_mov_b32_e32 v3, 0x3ff00000
	v_cmp_eq_u32_e64 s10, 0, v40
	v_cmp_gt_u32_e64 s11, 2, v1
	v_cmp_gt_u32_e64 s12, 12, v1
	;; [unrolled: 1-line block ×8, first 2 shown]
	v_writelane_b32 v103, s30, 31
	v_cmp_gt_u32_e64 s30, 0x400, v1
	v_cmp_eq_u32_e64 s55, 0, v10
	v_cmp_gt_u32_e64 s56, 64, v10
	v_writelane_b32 v102, s44, 25
	v_cmp_gt_u32_e64 s44, 64, v43
	s_add_co_i32 s42, s42, 1
	s_xor_b32 s43, vcc_lo, -1
	s_lshl_b64 s[74:75], s[74:75], 3
	s_lshl_b64 s[68:69], s[68:69], 3
                                        ; implicit-def: $vgpr32_vgpr33
                                        ; implicit-def: $vgpr34_vgpr35
                                        ; implicit-def: $vgpr36_vgpr37
                                        ; implicit-def: $vgpr38_vgpr39
	v_writelane_b32 v102, s44, 26
	s_branch .LBB129_3
.LBB129_2:                              ;   in Loop: Header=BB129_3 Depth=1
	s_wait_xcnt 0x0
	s_or_b32 exec_lo, exec_lo, s44
	v_readlane_b32 s44, v103, 0
	s_add_co_i32 s62, s62, 0x10000
	global_wb scope:SCOPE_DEV
	s_wait_storecnt 0x0
	global_inv scope:SCOPE_DEV
	s_cmp_lt_u32 s62, s44
	s_cbranch_scc0 .LBB129_1117
.LBB129_3:                              ; =>This Loop Header: Depth=1
                                        ;     Child Loop BB129_537 Depth 2
                                        ;     Child Loop BB129_986 Depth 2
                                        ;       Child Loop BB129_988 Depth 3
                                        ;     Child Loop BB129_1023 Depth 2
	v_mov_b32_e32 v2, s62
	v_readlane_b32 s44, v103, 1
	s_clause 0x1
	global_load_b64 v[0:1], v2, s[72:73] scale_offset
	global_load_b64 v[44:45], v2, s[66:67] scale_offset
	global_load_b64 v[42:43], v5, s[64:65]
	s_and_not1_b32 vcc_lo, exec_lo, s44
	s_wait_loadcnt 0x2
	v_add_nc_u64_e32 v[0:1], s[74:75], v[0:1]
	s_delay_alu instid0(VALU_DEP_1)
	v_lshl_add_u64 v[40:41], v[14:15], 3, v[0:1]
	s_cbranch_vccnz .LBB129_13
; %bb.4:                                ;   in Loop: Header=BB129_3 Depth=1
	v_mov_b64_e32 v[34:35], 0
	v_mov_b64_e32 v[32:33], 0
	s_delay_alu instid0(VALU_DEP_3)
	v_lshl_add_u64 v[46:47], v[12:13], 3, v[40:41]
	s_wait_loadcnt 0x0
	s_barrier_signal -1
	s_barrier_wait -1
	s_wait_xcnt 0x0
	s_mov_b32 s44, exec_lo
	v_readlane_b32 s45, v103, 13
	s_and_b32 s45, s44, s45
	s_delay_alu instid0(SALU_CYCLE_1)
	s_mov_b32 exec_lo, s45
	s_cbranch_execz .LBB129_6
; %bb.5:                                ;   in Loop: Header=BB129_3 Depth=1
	flat_load_b64 v[32:33], v[46:47]
.LBB129_6:                              ;   in Loop: Header=BB129_3 Depth=1
	s_wait_xcnt 0x0
	s_or_b32 exec_lo, exec_lo, s44
	s_wait_loadcnt_dscnt 0x0
	s_barrier_signal -1
	s_barrier_wait -1
	s_mov_b32 s44, exec_lo
	v_readlane_b32 s45, v103, 14
	s_and_b32 s45, s44, s45
	s_delay_alu instid0(SALU_CYCLE_1)
	s_mov_b32 exec_lo, s45
	s_cbranch_execz .LBB129_8
; %bb.7:                                ;   in Loop: Header=BB129_3 Depth=1
	flat_load_b64 v[34:35], v[46:47] offset:128
.LBB129_8:                              ;   in Loop: Header=BB129_3 Depth=1
	s_wait_xcnt 0x0
	s_or_b32 exec_lo, exec_lo, s44
	v_mov_b64_e32 v[38:39], 0
	v_mov_b64_e32 v[36:37], 0
	s_wait_loadcnt_dscnt 0x0
	s_barrier_signal -1
	s_barrier_wait -1
	s_mov_b32 s44, exec_lo
	v_readlane_b32 s45, v103, 15
	s_and_b32 s45, s44, s45
	s_delay_alu instid0(SALU_CYCLE_1)
	s_mov_b32 exec_lo, s45
	s_cbranch_execz .LBB129_10
; %bb.9:                                ;   in Loop: Header=BB129_3 Depth=1
	flat_load_b64 v[36:37], v[46:47] offset:256
.LBB129_10:                             ;   in Loop: Header=BB129_3 Depth=1
	s_wait_xcnt 0x0
	s_or_b32 exec_lo, exec_lo, s44
	s_wait_loadcnt_dscnt 0x0
	s_barrier_signal -1
	s_barrier_wait -1
	s_mov_b32 s44, exec_lo
	v_readlane_b32 s45, v103, 16
	s_and_b32 s45, s44, s45
	s_delay_alu instid0(SALU_CYCLE_1)
	s_mov_b32 exec_lo, s45
	s_cbranch_execz .LBB129_12
; %bb.11:                               ;   in Loop: Header=BB129_3 Depth=1
	flat_load_b64 v[38:39], v[46:47] offset:384
.LBB129_12:                             ;   in Loop: Header=BB129_3 Depth=1
	s_wait_xcnt 0x0
	s_or_b32 exec_lo, exec_lo, s44
.LBB129_13:                             ;   in Loop: Header=BB129_3 Depth=1
	v_add_nc_u64_e32 v[0:1], s[80:81], v[0:1]
	s_and_not1_b32 vcc_lo, exec_lo, s86
	s_mov_b32 s44, -1
	s_delay_alu instid0(VALU_DEP_1)
	v_add_nc_u64_e32 v[0:1], v[0:1], v[4:5]
	s_cbranch_vccnz .LBB129_24
; %bb.14:                               ;   in Loop: Header=BB129_3 Depth=1
	s_wait_xcnt 0x0
	s_and_saveexec_b32 s44, s6
	s_delay_alu instid0(SALU_CYCLE_1)
	s_xor_b32 s44, exec_lo, s44
	s_cbranch_execnz .LBB129_1045
; %bb.15:                               ;   in Loop: Header=BB129_3 Depth=1
	s_and_not1_saveexec_b32 s44, s44
	s_cbranch_execnz .LBB129_1048
.LBB129_16:                             ;   in Loop: Header=BB129_3 Depth=1
	s_or_b32 exec_lo, exec_lo, s44
	s_and_saveexec_b32 s44, s7
	s_delay_alu instid0(SALU_CYCLE_1)
	s_xor_b32 s44, exec_lo, s44
	s_cbranch_execnz .LBB129_1049
.LBB129_17:                             ;   in Loop: Header=BB129_3 Depth=1
	s_and_not1_saveexec_b32 s44, s44
	s_cbranch_execnz .LBB129_1052
.LBB129_18:                             ;   in Loop: Header=BB129_3 Depth=1
	s_or_b32 exec_lo, exec_lo, s44
	s_and_saveexec_b32 s44, s8
	s_delay_alu instid0(SALU_CYCLE_1)
	s_xor_b32 s44, exec_lo, s44
	s_cbranch_execnz .LBB129_1053
.LBB129_19:                             ;   in Loop: Header=BB129_3 Depth=1
	s_and_not1_saveexec_b32 s44, s44
	s_cbranch_execnz .LBB129_1056
.LBB129_20:                             ;   in Loop: Header=BB129_3 Depth=1
	s_or_b32 exec_lo, exec_lo, s44
	s_and_saveexec_b32 s44, s9
	s_delay_alu instid0(SALU_CYCLE_1)
	s_xor_b32 s44, exec_lo, s44
	s_cbranch_execnz .LBB129_1057
.LBB129_21:                             ;   in Loop: Header=BB129_3 Depth=1
	s_and_not1_saveexec_b32 s44, s44
	s_cbranch_execz .LBB129_23
.LBB129_22:                             ;   in Loop: Header=BB129_3 Depth=1
	v_lshl_add_u64 v[46:47], v[22:23], 3, v[0:1]
	flat_load_b64 v[46:47], v[46:47]
	s_wait_loadcnt_dscnt 0x0
	v_xor_b32_e32 v47, 0x80000000, v47
	ds_store_b64 v89, v[46:47]
.LBB129_23:                             ;   in Loop: Header=BB129_3 Depth=1
	s_or_b32 exec_lo, exec_lo, s44
	s_mov_b32 s44, 0
.LBB129_24:                             ;   in Loop: Header=BB129_3 Depth=1
	s_delay_alu instid0(SALU_CYCLE_1)
	s_and_b32 vcc_lo, exec_lo, s44
	s_cbranch_vccz .LBB129_50
; %bb.25:                               ;   in Loop: Header=BB129_3 Depth=1
	s_wait_xcnt 0x0
	s_mov_b32 s44, exec_lo
	v_readlane_b32 s45, v103, 17
	s_and_b32 s45, s44, s45
	s_delay_alu instid0(SALU_CYCLE_1)
	s_xor_b32 s44, s45, s44
	s_mov_b32 exec_lo, s45
	s_cbranch_execz .LBB129_29
; %bb.26:                               ;   in Loop: Header=BB129_3 Depth=1
	s_mov_b32 s45, exec_lo
	v_readlane_b32 s46, v102, 23
	s_and_b32 s46, s45, s46
	s_delay_alu instid0(SALU_CYCLE_1)
	s_mov_b32 exec_lo, s46
; %bb.27:                               ;   in Loop: Header=BB129_3 Depth=1
	ds_store_b64 v91, v[28:29]
; %bb.28:                               ;   in Loop: Header=BB129_3 Depth=1
	s_or_b32 exec_lo, exec_lo, s45
.LBB129_29:                             ;   in Loop: Header=BB129_3 Depth=1
	s_and_not1_saveexec_b32 s44, s44
	s_cbranch_execz .LBB129_31
; %bb.30:                               ;   in Loop: Header=BB129_3 Depth=1
	v_lshl_add_u64 v[46:47], v[16:17], 3, v[0:1]
	flat_load_b64 v[46:47], v[46:47]
	s_wait_loadcnt_dscnt 0x0
	v_xor_b32_e32 v47, 0x80000000, v47
	ds_store_b64 v91, v[46:47]
.LBB129_31:                             ;   in Loop: Header=BB129_3 Depth=1
	s_or_b32 exec_lo, exec_lo, s44
	s_delay_alu instid0(SALU_CYCLE_1) | instskip(SKIP_2) | instid1(SALU_CYCLE_1)
	s_mov_b32 s44, exec_lo
	v_readlane_b32 s45, v103, 18
	s_and_b32 s45, s44, s45
	s_xor_b32 s44, s45, s44
	s_mov_b32 exec_lo, s45
	s_cbranch_execz .LBB129_35
; %bb.32:                               ;   in Loop: Header=BB129_3 Depth=1
	s_mov_b32 s45, exec_lo
	v_readlane_b32 s46, v102, 24
	s_and_b32 s46, s45, s46
	s_delay_alu instid0(SALU_CYCLE_1)
	s_mov_b32 exec_lo, s46
; %bb.33:                               ;   in Loop: Header=BB129_3 Depth=1
	ds_store_b64 v87, v[28:29]
; %bb.34:                               ;   in Loop: Header=BB129_3 Depth=1
	s_or_b32 exec_lo, exec_lo, s45
.LBB129_35:                             ;   in Loop: Header=BB129_3 Depth=1
	s_and_not1_saveexec_b32 s44, s44
	s_cbranch_execz .LBB129_37
; %bb.36:                               ;   in Loop: Header=BB129_3 Depth=1
	v_lshl_add_u64 v[46:47], v[18:19], 3, v[0:1]
	flat_load_b64 v[46:47], v[46:47]
	s_wait_loadcnt_dscnt 0x0
	v_xor_b32_e32 v47, 0x80000000, v47
	ds_store_b64 v87, v[46:47]
.LBB129_37:                             ;   in Loop: Header=BB129_3 Depth=1
	s_or_b32 exec_lo, exec_lo, s44
	s_delay_alu instid0(SALU_CYCLE_1) | instskip(SKIP_2) | instid1(SALU_CYCLE_1)
	s_mov_b32 s44, exec_lo
	v_readlane_b32 s45, v103, 19
	s_and_b32 s45, s44, s45
	;; [unrolled: 28-line block ×3, first 2 shown]
	s_xor_b32 s44, s45, s44
	s_mov_b32 exec_lo, s45
	s_cbranch_execz .LBB129_47
; %bb.44:                               ;   in Loop: Header=BB129_3 Depth=1
	s_mov_b32 s45, exec_lo
	v_readlane_b32 s46, v102, 26
	s_and_b32 s46, s45, s46
	s_delay_alu instid0(SALU_CYCLE_1)
	s_mov_b32 exec_lo, s46
; %bb.45:                               ;   in Loop: Header=BB129_3 Depth=1
	ds_store_b64 v89, v[28:29]
; %bb.46:                               ;   in Loop: Header=BB129_3 Depth=1
	s_or_b32 exec_lo, exec_lo, s45
                                        ; implicit-def: $vgpr0_vgpr1
.LBB129_47:                             ;   in Loop: Header=BB129_3 Depth=1
	s_and_not1_saveexec_b32 s44, s44
	s_cbranch_execz .LBB129_49
; %bb.48:                               ;   in Loop: Header=BB129_3 Depth=1
	v_lshl_add_u64 v[0:1], v[22:23], 3, v[0:1]
	flat_load_b64 v[0:1], v[0:1]
	s_wait_loadcnt_dscnt 0x0
	v_xor_b32_e32 v1, 0x80000000, v1
	ds_store_b64 v89, v[0:1]
.LBB129_49:                             ;   in Loop: Header=BB129_3 Depth=1
	s_or_b32 exec_lo, exec_lo, s44
.LBB129_50:                             ;   in Loop: Header=BB129_3 Depth=1
	s_delay_alu instid0(SALU_CYCLE_1)
	s_and_not1_b32 vcc_lo, exec_lo, s88
	s_wait_loadcnt_dscnt 0x0
	s_barrier_signal -1
	s_barrier_wait -1
	s_cbranch_vccnz .LBB129_980
; %bb.51:                               ;   in Loop: Header=BB129_3 Depth=1
	s_wait_xcnt 0x0
	s_and_saveexec_b32 s44, s10
	s_cbranch_execz .LBB129_53
; %bb.52:                               ;   in Loop: Header=BB129_3 Depth=1
	ds_load_b64 v[0:1], v5 offset:8
	v_mov_b32_e32 v2, v5
	ds_store_b64 v5, v[30:31]
	s_wait_dscnt 0x1
	ds_store_b128 v5, v[0:3] offset:512
.LBB129_53:                             ;   in Loop: Header=BB129_3 Depth=1
	s_or_b32 exec_lo, exec_lo, s44
	v_mov_b64_e32 v[0:1], 0
	s_wait_dscnt 0x0
	s_barrier_signal -1
	s_barrier_wait -1
	s_and_saveexec_b32 s44, s1
	s_cbranch_execz .LBB129_57
; %bb.54:                               ;   in Loop: Header=BB129_3 Depth=1
	ds_load_b64 v[0:1], v50 offset:16
	ds_load_b64 v[46:47], v51
	s_wait_dscnt 0x0
	v_fma_f64 v[0:1], v[0:1], v[46:47], 0
	s_and_saveexec_b32 s45, s11
	s_cbranch_execz .LBB129_56
; %bb.55:                               ;   in Loop: Header=BB129_3 Depth=1
	ds_load_b64 v[46:47], v52 offset:528
	ds_load_b64 v[48:49], v5 offset:8
	s_wait_dscnt 0x0
	v_fmac_f64_e32 v[0:1], v[46:47], v[48:49]
.LBB129_56:                             ;   in Loop: Header=BB129_3 Depth=1
	s_or_b32 exec_lo, exec_lo, s45
	s_delay_alu instid0(VALU_DEP_1)
	v_xor_b32_e32 v1, 0x80000000, v1
.LBB129_57:                             ;   in Loop: Header=BB129_3 Depth=1
	s_or_b32 exec_lo, exec_lo, s44
	s_and_saveexec_b32 s44, s89
; %bb.58:                               ;   in Loop: Header=BB129_3 Depth=1
	ds_store_b64 v7, v[0:1]
; %bb.59:                               ;   in Loop: Header=BB129_3 Depth=1
	s_or_b32 exec_lo, exec_lo, s44
	s_wait_dscnt 0x0
	s_barrier_signal -1
	s_barrier_wait -1
	s_and_saveexec_b32 s44, s90
	s_cbranch_execz .LBB129_61
; %bb.60:                               ;   in Loop: Header=BB129_3 Depth=1
	ds_load_b64 v[46:47], v5 offset:1048
	ds_load_b64 v[48:49], v7
	s_wait_dscnt 0x0
	v_fmac_f64_e32 v[0:1], v[46:47], v[48:49]
.LBB129_61:                             ;   in Loop: Header=BB129_3 Depth=1
	s_or_b32 exec_lo, exec_lo, s44
	s_barrier_signal -1
	s_barrier_wait -1
	s_and_saveexec_b32 s44, s90
; %bb.62:                               ;   in Loop: Header=BB129_3 Depth=1
	ds_store_b64 v7, v[0:1]
; %bb.63:                               ;   in Loop: Header=BB129_3 Depth=1
	s_or_b32 exec_lo, exec_lo, s44
	s_wait_dscnt 0x0
	s_barrier_signal -1
	s_barrier_wait -1
	s_barrier_signal -1
	s_barrier_wait -1
	s_and_saveexec_b32 s44, s1
; %bb.64:                               ;   in Loop: Header=BB129_3 Depth=1
	v_xor_b32_e32 v1, 0x80000000, v1
	ds_store_b64 v50, v[0:1] offset:16
; %bb.65:                               ;   in Loop: Header=BB129_3 Depth=1
	s_or_b32 exec_lo, exec_lo, s44
	s_wait_dscnt 0x0
	s_barrier_signal -1
	s_barrier_wait -1
	s_barrier_signal -1
	s_barrier_wait -1
	s_and_saveexec_b32 s44, s91
	s_cbranch_execz .LBB129_67
; %bb.66:                               ;   in Loop: Header=BB129_3 Depth=1
	ds_load_b64 v[0:1], v55 offset:16
	s_wait_dscnt 0x0
	ds_store_b64 v52, v[0:1] offset:1024
	ds_load_b64 v[0:1], v55 offset:24
	s_wait_dscnt 0x0
	ds_store_b64 v52, v[0:1] offset:1536
.LBB129_67:                             ;   in Loop: Header=BB129_3 Depth=1
	s_or_b32 exec_lo, exec_lo, s44
	s_wait_dscnt 0x0
	s_barrier_signal -1
	s_barrier_wait -1
	s_and_saveexec_b32 s44, s10
	s_cbranch_execz .LBB129_69
; %bb.68:                               ;   in Loop: Header=BB129_3 Depth=1
	ds_load_b64 v[0:1], v5 offset:1048
	v_mov_b32_e32 v2, v5
	ds_store_b64 v5, v[30:31] offset:1040
	s_wait_dscnt 0x1
	ds_store_b128 v5, v[0:3] offset:1552
.LBB129_69:                             ;   in Loop: Header=BB129_3 Depth=1
	s_or_b32 exec_lo, exec_lo, s44
	v_mov_b64_e32 v[0:1], 0
	s_wait_dscnt 0x0
	s_barrier_signal -1
	s_barrier_wait -1
	s_and_saveexec_b32 s44, s3
	s_cbranch_execz .LBB129_75
; %bb.70:                               ;   in Loop: Header=BB129_3 Depth=1
	ds_load_b64 v[0:1], v57 offset:32
	ds_load_b64 v[46:47], v53
	s_wait_dscnt 0x0
	v_fma_f64 v[0:1], v[0:1], v[46:47], 0
	s_and_saveexec_b32 s45, s12
	s_cbranch_execnz .LBB129_1067
; %bb.71:                               ;   in Loop: Header=BB129_3 Depth=1
	s_or_b32 exec_lo, exec_lo, s45
	s_and_saveexec_b32 s45, s13
	s_cbranch_execnz .LBB129_1068
.LBB129_72:                             ;   in Loop: Header=BB129_3 Depth=1
	s_or_b32 exec_lo, exec_lo, s45
	s_and_saveexec_b32 s45, s1
	s_cbranch_execz .LBB129_74
.LBB129_73:                             ;   in Loop: Header=BB129_3 Depth=1
	ds_load_b64 v[46:47], v59 offset:1568
	ds_load_b64 v[48:49], v5 offset:24
	s_wait_dscnt 0x0
	v_fmac_f64_e32 v[0:1], v[46:47], v[48:49]
.LBB129_74:                             ;   in Loop: Header=BB129_3 Depth=1
	s_or_b32 exec_lo, exec_lo, s45
	s_delay_alu instid0(VALU_DEP_1)
	v_xor_b32_e32 v1, 0x80000000, v1
.LBB129_75:                             ;   in Loop: Header=BB129_3 Depth=1
	s_or_b32 exec_lo, exec_lo, s44
	s_and_saveexec_b32 s44, s92
; %bb.76:                               ;   in Loop: Header=BB129_3 Depth=1
	ds_store_b64 v56, v[0:1]
; %bb.77:                               ;   in Loop: Header=BB129_3 Depth=1
	s_or_b32 exec_lo, exec_lo, s44
	s_wait_dscnt 0x0
	s_barrier_signal -1
	s_barrier_wait -1
	s_and_saveexec_b32 s44, s93
	s_cbranch_execz .LBB129_79
; %bb.78:                               ;   in Loop: Header=BB129_3 Depth=1
	ds_load_b64 v[46:47], v54 offset:2080
	ds_load_b64 v[48:49], v56
	s_wait_dscnt 0x0
	v_fmac_f64_e32 v[0:1], v[46:47], v[48:49]
.LBB129_79:                             ;   in Loop: Header=BB129_3 Depth=1
	s_or_b32 exec_lo, exec_lo, s44
	s_barrier_signal -1
	s_barrier_wait -1
	s_and_saveexec_b32 s44, s94
; %bb.80:                               ;   in Loop: Header=BB129_3 Depth=1
	ds_store_b64 v56, v[0:1]
; %bb.81:                               ;   in Loop: Header=BB129_3 Depth=1
	s_or_b32 exec_lo, exec_lo, s44
	s_wait_dscnt 0x0
	s_barrier_signal -1
	s_barrier_wait -1
	s_and_saveexec_b32 s44, s95
	s_cbranch_execz .LBB129_83
; %bb.82:                               ;   in Loop: Header=BB129_3 Depth=1
	ds_load_b64 v[46:47], v54 offset:2592
	ds_load_b64 v[48:49], v56
	s_wait_dscnt 0x0
	v_fmac_f64_e32 v[0:1], v[46:47], v[48:49]
.LBB129_83:                             ;   in Loop: Header=BB129_3 Depth=1
	s_or_b32 exec_lo, exec_lo, s44
	s_barrier_signal -1
	s_barrier_wait -1
	;; [unrolled: 19-line block ×3, first 2 shown]
	s_and_saveexec_b32 s44, s97
; %bb.88:                               ;   in Loop: Header=BB129_3 Depth=1
	ds_store_b64 v56, v[0:1]
; %bb.89:                               ;   in Loop: Header=BB129_3 Depth=1
	s_or_b32 exec_lo, exec_lo, s44
	s_wait_dscnt 0x0
	s_barrier_signal -1
	s_barrier_wait -1
	s_barrier_signal -1
	s_barrier_wait -1
	s_and_saveexec_b32 s44, s3
; %bb.90:                               ;   in Loop: Header=BB129_3 Depth=1
	v_xor_b32_e32 v1, 0x80000000, v1
	ds_store_b64 v57, v[0:1] offset:32
; %bb.91:                               ;   in Loop: Header=BB129_3 Depth=1
	s_or_b32 exec_lo, exec_lo, s44
	s_wait_dscnt 0x0
	s_barrier_signal -1
	s_barrier_wait -1
	s_barrier_signal -1
	s_barrier_wait -1
	s_and_saveexec_b32 s44, s98
	s_cbranch_execz .LBB129_93
; %bb.92:                               ;   in Loop: Header=BB129_3 Depth=1
	ds_load_b64 v[0:1], v60 offset:32
	s_wait_dscnt 0x0
	ds_store_b64 v62, v[0:1] offset:2048
	ds_load_b64 v[0:1], v60 offset:40
	s_wait_dscnt 0x0
	ds_store_b64 v62, v[0:1] offset:2560
	;; [unrolled: 3-line block ×4, first 2 shown]
.LBB129_93:                             ;   in Loop: Header=BB129_3 Depth=1
	s_or_b32 exec_lo, exec_lo, s44
	s_wait_dscnt 0x0
	s_barrier_signal -1
	s_barrier_wait -1
	s_and_saveexec_b32 s44, s10
	s_cbranch_execz .LBB129_95
; %bb.94:                               ;   in Loop: Header=BB129_3 Depth=1
	ds_load_b64 v[0:1], v5 offset:2088
	v_mov_b32_e32 v2, v5
	ds_store_b64 v5, v[30:31] offset:2080
	s_wait_dscnt 0x1
	ds_store_b128 v5, v[0:3] offset:2592
.LBB129_95:                             ;   in Loop: Header=BB129_3 Depth=1
	s_or_b32 exec_lo, exec_lo, s44
	v_mov_b64_e32 v[0:1], 0
	s_wait_dscnt 0x0
	s_barrier_signal -1
	s_barrier_wait -1
	s_and_saveexec_b32 s44, s1
	s_cbranch_execz .LBB129_99
; %bb.96:                               ;   in Loop: Header=BB129_3 Depth=1
	ds_load_b64 v[0:1], v50 offset:2096
	ds_load_b64 v[46:47], v51 offset:2080
	s_wait_dscnt 0x0
	v_fma_f64 v[0:1], v[0:1], v[46:47], 0
	s_and_saveexec_b32 s45, s11
	s_cbranch_execz .LBB129_98
; %bb.97:                               ;   in Loop: Header=BB129_3 Depth=1
	ds_load_b64 v[46:47], v62 offset:2608
	ds_load_b64 v[48:49], v5 offset:2088
	s_wait_dscnt 0x0
	v_fmac_f64_e32 v[0:1], v[46:47], v[48:49]
.LBB129_98:                             ;   in Loop: Header=BB129_3 Depth=1
	s_or_b32 exec_lo, exec_lo, s45
	s_delay_alu instid0(VALU_DEP_1)
	v_xor_b32_e32 v1, 0x80000000, v1
.LBB129_99:                             ;   in Loop: Header=BB129_3 Depth=1
	s_or_b32 exec_lo, exec_lo, s44
	s_and_saveexec_b32 s44, s89
; %bb.100:                              ;   in Loop: Header=BB129_3 Depth=1
	ds_store_b64 v7, v[0:1]
; %bb.101:                              ;   in Loop: Header=BB129_3 Depth=1
	s_or_b32 exec_lo, exec_lo, s44
	s_wait_dscnt 0x0
	s_barrier_signal -1
	s_barrier_wait -1
	s_and_saveexec_b32 s44, s90
	s_cbranch_execz .LBB129_103
; %bb.102:                              ;   in Loop: Header=BB129_3 Depth=1
	ds_load_b64 v[46:47], v5 offset:3128
	ds_load_b64 v[48:49], v7
	s_wait_dscnt 0x0
	v_fmac_f64_e32 v[0:1], v[46:47], v[48:49]
.LBB129_103:                            ;   in Loop: Header=BB129_3 Depth=1
	s_or_b32 exec_lo, exec_lo, s44
	s_barrier_signal -1
	s_barrier_wait -1
	s_and_saveexec_b32 s44, s90
; %bb.104:                              ;   in Loop: Header=BB129_3 Depth=1
	ds_store_b64 v7, v[0:1]
; %bb.105:                              ;   in Loop: Header=BB129_3 Depth=1
	s_or_b32 exec_lo, exec_lo, s44
	s_wait_dscnt 0x0
	s_barrier_signal -1
	s_barrier_wait -1
	s_barrier_signal -1
	s_barrier_wait -1
	s_and_saveexec_b32 s44, s1
; %bb.106:                              ;   in Loop: Header=BB129_3 Depth=1
	v_xor_b32_e32 v1, 0x80000000, v1
	ds_store_b64 v50, v[0:1] offset:2096
; %bb.107:                              ;   in Loop: Header=BB129_3 Depth=1
	s_or_b32 exec_lo, exec_lo, s44
	s_wait_dscnt 0x0
	s_barrier_signal -1
	s_barrier_wait -1
	s_barrier_signal -1
	s_barrier_wait -1
	s_and_saveexec_b32 s44, s91
	s_cbranch_execz .LBB129_109
; %bb.108:                              ;   in Loop: Header=BB129_3 Depth=1
	ds_load_b64 v[0:1], v64 offset:2096
	s_wait_dscnt 0x0
	ds_store_b64 v62, v[0:1] offset:3104
	ds_load_b64 v[0:1], v64 offset:2104
	s_wait_dscnt 0x0
	ds_store_b64 v62, v[0:1] offset:3616
.LBB129_109:                            ;   in Loop: Header=BB129_3 Depth=1
	s_or_b32 exec_lo, exec_lo, s44
	s_wait_dscnt 0x0
	s_barrier_signal -1
	s_barrier_wait -1
	s_and_saveexec_b32 s44, s10
	s_cbranch_execz .LBB129_111
; %bb.110:                              ;   in Loop: Header=BB129_3 Depth=1
	ds_load_b64 v[0:1], v5 offset:3128
	v_mov_b32_e32 v2, v5
	ds_store_b64 v5, v[30:31] offset:3120
	s_wait_dscnt 0x1
	ds_store_b128 v5, v[0:3] offset:3632
.LBB129_111:                            ;   in Loop: Header=BB129_3 Depth=1
	s_or_b32 exec_lo, exec_lo, s44
	v_mov_b64_e32 v[0:1], 0
	s_wait_dscnt 0x0
	s_barrier_signal -1
	s_barrier_wait -1
	s_and_saveexec_b32 s44, s4
	s_cbranch_execz .LBB129_121
; %bb.112:                              ;   in Loop: Header=BB129_3 Depth=1
	ds_load_b64 v[0:1], v66 offset:64
	ds_load_b64 v[46:47], v61
	s_wait_dscnt 0x0
	v_fma_f64 v[0:1], v[0:1], v[46:47], 0
	s_and_saveexec_b32 s45, s14
	s_cbranch_execnz .LBB129_1069
; %bb.113:                              ;   in Loop: Header=BB129_3 Depth=1
	s_or_b32 exec_lo, exec_lo, s45
	s_and_saveexec_b32 s45, s15
	s_cbranch_execnz .LBB129_1070
.LBB129_114:                            ;   in Loop: Header=BB129_3 Depth=1
	s_or_b32 exec_lo, exec_lo, s45
	s_and_saveexec_b32 s45, s16
	s_cbranch_execnz .LBB129_1071
.LBB129_115:                            ;   in Loop: Header=BB129_3 Depth=1
	s_or_b32 exec_lo, exec_lo, s45
	s_and_saveexec_b32 s45, s17
	s_cbranch_execnz .LBB129_1072
.LBB129_116:                            ;   in Loop: Header=BB129_3 Depth=1
	s_or_b32 exec_lo, exec_lo, s45
	s_and_saveexec_b32 s45, s18
	s_cbranch_execnz .LBB129_1073
.LBB129_117:                            ;   in Loop: Header=BB129_3 Depth=1
	s_or_b32 exec_lo, exec_lo, s45
	s_and_saveexec_b32 s45, s3
	s_cbranch_execnz .LBB129_1074
.LBB129_118:                            ;   in Loop: Header=BB129_3 Depth=1
	s_or_b32 exec_lo, exec_lo, s45
	s_and_saveexec_b32 s45, s13
	s_cbranch_execz .LBB129_120
.LBB129_119:                            ;   in Loop: Header=BB129_3 Depth=1
	ds_load_b64 v[46:47], v68 offset:3648
	ds_load_b64 v[48:49], v5 offset:56
	s_wait_dscnt 0x0
	v_fmac_f64_e32 v[0:1], v[46:47], v[48:49]
.LBB129_120:                            ;   in Loop: Header=BB129_3 Depth=1
	s_or_b32 exec_lo, exec_lo, s45
	s_delay_alu instid0(VALU_DEP_1)
	v_xor_b32_e32 v1, 0x80000000, v1
.LBB129_121:                            ;   in Loop: Header=BB129_3 Depth=1
	s_or_b32 exec_lo, exec_lo, s44
	s_and_saveexec_b32 s44, s99
; %bb.122:                              ;   in Loop: Header=BB129_3 Depth=1
	ds_store_b64 v65, v[0:1]
; %bb.123:                              ;   in Loop: Header=BB129_3 Depth=1
	s_or_b32 exec_lo, exec_lo, s44
	s_wait_dscnt 0x0
	s_barrier_signal -1
	s_barrier_wait -1
	s_and_saveexec_b32 s44, s100
	s_cbranch_execz .LBB129_125
; %bb.124:                              ;   in Loop: Header=BB129_3 Depth=1
	ds_load_b64 v[46:47], v63 offset:4160
	ds_load_b64 v[48:49], v65
	s_wait_dscnt 0x0
	v_fmac_f64_e32 v[0:1], v[46:47], v[48:49]
.LBB129_125:                            ;   in Loop: Header=BB129_3 Depth=1
	s_or_b32 exec_lo, exec_lo, s44
	s_barrier_signal -1
	s_barrier_wait -1
	s_and_saveexec_b32 s44, s101
; %bb.126:                              ;   in Loop: Header=BB129_3 Depth=1
	ds_store_b64 v65, v[0:1]
; %bb.127:                              ;   in Loop: Header=BB129_3 Depth=1
	s_or_b32 exec_lo, exec_lo, s44
	s_wait_dscnt 0x0
	s_barrier_signal -1
	s_barrier_wait -1
	s_and_saveexec_b32 s44, s102
	s_cbranch_execz .LBB129_129
; %bb.128:                              ;   in Loop: Header=BB129_3 Depth=1
	ds_load_b64 v[46:47], v63 offset:4672
	ds_load_b64 v[48:49], v65
	s_wait_dscnt 0x0
	v_fmac_f64_e32 v[0:1], v[46:47], v[48:49]
.LBB129_129:                            ;   in Loop: Header=BB129_3 Depth=1
	s_or_b32 exec_lo, exec_lo, s44
	s_barrier_signal -1
	s_barrier_wait -1
	;; [unrolled: 19-line block ×3, first 2 shown]
	s_and_saveexec_b32 s44, vcc_hi
; %bb.134:                              ;   in Loop: Header=BB129_3 Depth=1
	ds_store_b64 v65, v[0:1]
; %bb.135:                              ;   in Loop: Header=BB129_3 Depth=1
	s_or_b32 exec_lo, exec_lo, s44
	s_wait_dscnt 0x0
	s_barrier_signal -1
	s_barrier_wait -1
	s_and_saveexec_b32 s44, s31
	s_cbranch_execz .LBB129_137
; %bb.136:                              ;   in Loop: Header=BB129_3 Depth=1
	ds_load_b64 v[46:47], v63 offset:5696
	ds_load_b64 v[48:49], v65
	s_wait_dscnt 0x0
	v_fmac_f64_e32 v[0:1], v[46:47], v[48:49]
.LBB129_137:                            ;   in Loop: Header=BB129_3 Depth=1
	s_or_b32 exec_lo, exec_lo, s44
	s_barrier_signal -1
	s_barrier_wait -1
	s_and_saveexec_b32 s44, s33
; %bb.138:                              ;   in Loop: Header=BB129_3 Depth=1
	ds_store_b64 v65, v[0:1]
; %bb.139:                              ;   in Loop: Header=BB129_3 Depth=1
	s_or_b32 exec_lo, exec_lo, s44
	s_wait_dscnt 0x0
	s_barrier_signal -1
	s_barrier_wait -1
	s_and_saveexec_b32 s44, s34
	s_cbranch_execz .LBB129_141
; %bb.140:                              ;   in Loop: Header=BB129_3 Depth=1
	ds_load_b64 v[46:47], v63 offset:6208
	ds_load_b64 v[48:49], v65
	s_wait_dscnt 0x0
	v_fmac_f64_e32 v[0:1], v[46:47], v[48:49]
.LBB129_141:                            ;   in Loop: Header=BB129_3 Depth=1
	s_or_b32 exec_lo, exec_lo, s44
	s_barrier_signal -1
	s_barrier_wait -1
	s_and_saveexec_b32 s44, s35
	;; [unrolled: 19-line block ×4, first 2 shown]
; %bb.150:                              ;   in Loop: Header=BB129_3 Depth=1
	ds_store_b64 v65, v[0:1]
; %bb.151:                              ;   in Loop: Header=BB129_3 Depth=1
	s_or_b32 exec_lo, exec_lo, s44
	s_wait_dscnt 0x0
	s_barrier_signal -1
	s_barrier_wait -1
	s_barrier_signal -1
	s_barrier_wait -1
	s_and_saveexec_b32 s44, s4
; %bb.152:                              ;   in Loop: Header=BB129_3 Depth=1
	v_xor_b32_e32 v1, 0x80000000, v1
	ds_store_b64 v66, v[0:1] offset:64
; %bb.153:                              ;   in Loop: Header=BB129_3 Depth=1
	s_or_b32 exec_lo, exec_lo, s44
	s_wait_dscnt 0x0
	s_barrier_signal -1
	s_barrier_wait -1
	s_barrier_signal -1
	s_barrier_wait -1
	s_and_saveexec_b32 s44, s39
	s_cbranch_execz .LBB129_155
; %bb.154:                              ;   in Loop: Header=BB129_3 Depth=1
	ds_load_b64 v[0:1], v69 offset:64
	s_wait_dscnt 0x0
	ds_store_b64 v70, v[0:1] offset:4096
	ds_load_b64 v[0:1], v69 offset:72
	s_wait_dscnt 0x0
	ds_store_b64 v70, v[0:1] offset:4608
	;; [unrolled: 3-line block ×8, first 2 shown]
.LBB129_155:                            ;   in Loop: Header=BB129_3 Depth=1
	s_or_b32 exec_lo, exec_lo, s44
	s_wait_dscnt 0x0
	s_barrier_signal -1
	s_barrier_wait -1
	s_and_saveexec_b32 s44, s10
	s_cbranch_execz .LBB129_157
; %bb.156:                              ;   in Loop: Header=BB129_3 Depth=1
	ds_load_b64 v[0:1], v5 offset:4168
	v_mov_b32_e32 v2, v5
	ds_store_b64 v5, v[30:31] offset:4160
	s_wait_dscnt 0x1
	ds_store_b128 v5, v[0:3] offset:4672
.LBB129_157:                            ;   in Loop: Header=BB129_3 Depth=1
	s_or_b32 exec_lo, exec_lo, s44
	v_mov_b64_e32 v[0:1], 0
	s_wait_dscnt 0x0
	s_barrier_signal -1
	s_barrier_wait -1
	s_and_saveexec_b32 s44, s1
	s_cbranch_execz .LBB129_161
; %bb.158:                              ;   in Loop: Header=BB129_3 Depth=1
	ds_load_b64 v[0:1], v50 offset:4176
	ds_load_b64 v[46:47], v51 offset:4160
	s_wait_dscnt 0x0
	v_fma_f64 v[0:1], v[0:1], v[46:47], 0
	s_and_saveexec_b32 s45, s11
	s_cbranch_execz .LBB129_160
; %bb.159:                              ;   in Loop: Header=BB129_3 Depth=1
	ds_load_b64 v[46:47], v70 offset:4688
	ds_load_b64 v[48:49], v5 offset:4168
	s_wait_dscnt 0x0
	v_fmac_f64_e32 v[0:1], v[46:47], v[48:49]
.LBB129_160:                            ;   in Loop: Header=BB129_3 Depth=1
	s_or_b32 exec_lo, exec_lo, s45
	s_delay_alu instid0(VALU_DEP_1)
	v_xor_b32_e32 v1, 0x80000000, v1
.LBB129_161:                            ;   in Loop: Header=BB129_3 Depth=1
	s_or_b32 exec_lo, exec_lo, s44
	s_and_saveexec_b32 s44, s89
; %bb.162:                              ;   in Loop: Header=BB129_3 Depth=1
	ds_store_b64 v7, v[0:1]
; %bb.163:                              ;   in Loop: Header=BB129_3 Depth=1
	s_or_b32 exec_lo, exec_lo, s44
	s_wait_dscnt 0x0
	s_barrier_signal -1
	s_barrier_wait -1
	s_and_saveexec_b32 s44, s90
	s_cbranch_execz .LBB129_165
; %bb.164:                              ;   in Loop: Header=BB129_3 Depth=1
	ds_load_b64 v[46:47], v5 offset:5208
	ds_load_b64 v[48:49], v7
	s_wait_dscnt 0x0
	v_fmac_f64_e32 v[0:1], v[46:47], v[48:49]
.LBB129_165:                            ;   in Loop: Header=BB129_3 Depth=1
	s_or_b32 exec_lo, exec_lo, s44
	s_barrier_signal -1
	s_barrier_wait -1
	s_and_saveexec_b32 s44, s90
; %bb.166:                              ;   in Loop: Header=BB129_3 Depth=1
	ds_store_b64 v7, v[0:1]
; %bb.167:                              ;   in Loop: Header=BB129_3 Depth=1
	s_or_b32 exec_lo, exec_lo, s44
	s_wait_dscnt 0x0
	s_barrier_signal -1
	s_barrier_wait -1
	s_barrier_signal -1
	s_barrier_wait -1
	s_and_saveexec_b32 s44, s1
; %bb.168:                              ;   in Loop: Header=BB129_3 Depth=1
	v_xor_b32_e32 v1, 0x80000000, v1
	ds_store_b64 v50, v[0:1] offset:4176
; %bb.169:                              ;   in Loop: Header=BB129_3 Depth=1
	s_or_b32 exec_lo, exec_lo, s44
	s_wait_dscnt 0x0
	s_barrier_signal -1
	s_barrier_wait -1
	s_barrier_signal -1
	s_barrier_wait -1
	s_and_saveexec_b32 s44, s91
	s_cbranch_execz .LBB129_171
; %bb.170:                              ;   in Loop: Header=BB129_3 Depth=1
	ds_load_b64 v[0:1], v71 offset:4176
	s_wait_dscnt 0x0
	ds_store_b64 v70, v[0:1] offset:5184
	ds_load_b64 v[0:1], v71 offset:4184
	s_wait_dscnt 0x0
	ds_store_b64 v70, v[0:1] offset:5696
.LBB129_171:                            ;   in Loop: Header=BB129_3 Depth=1
	s_or_b32 exec_lo, exec_lo, s44
	s_wait_dscnt 0x0
	s_barrier_signal -1
	s_barrier_wait -1
	s_and_saveexec_b32 s44, s10
	s_cbranch_execz .LBB129_173
; %bb.172:                              ;   in Loop: Header=BB129_3 Depth=1
	ds_load_b64 v[0:1], v5 offset:5208
	v_mov_b32_e32 v2, v5
	ds_store_b64 v5, v[30:31] offset:5200
	s_wait_dscnt 0x1
	ds_store_b128 v5, v[0:3] offset:5712
.LBB129_173:                            ;   in Loop: Header=BB129_3 Depth=1
	s_or_b32 exec_lo, exec_lo, s44
	v_mov_b64_e32 v[0:1], 0
	s_wait_dscnt 0x0
	s_barrier_signal -1
	s_barrier_wait -1
	s_and_saveexec_b32 s44, s3
	s_cbranch_execz .LBB129_179
; %bb.174:                              ;   in Loop: Header=BB129_3 Depth=1
	ds_load_b64 v[0:1], v57 offset:4192
	ds_load_b64 v[46:47], v53 offset:4160
	s_wait_dscnt 0x0
	v_fma_f64 v[0:1], v[0:1], v[46:47], 0
	s_and_saveexec_b32 s45, s12
	s_cbranch_execnz .LBB129_1075
; %bb.175:                              ;   in Loop: Header=BB129_3 Depth=1
	s_or_b32 exec_lo, exec_lo, s45
	s_and_saveexec_b32 s45, s13
	s_cbranch_execnz .LBB129_1076
.LBB129_176:                            ;   in Loop: Header=BB129_3 Depth=1
	s_or_b32 exec_lo, exec_lo, s45
	s_and_saveexec_b32 s45, s1
	s_cbranch_execz .LBB129_178
.LBB129_177:                            ;   in Loop: Header=BB129_3 Depth=1
	ds_load_b64 v[46:47], v72 offset:5728
	ds_load_b64 v[48:49], v5 offset:4184
	s_wait_dscnt 0x0
	v_fmac_f64_e32 v[0:1], v[46:47], v[48:49]
.LBB129_178:                            ;   in Loop: Header=BB129_3 Depth=1
	s_or_b32 exec_lo, exec_lo, s45
	s_delay_alu instid0(VALU_DEP_1)
	v_xor_b32_e32 v1, 0x80000000, v1
.LBB129_179:                            ;   in Loop: Header=BB129_3 Depth=1
	s_or_b32 exec_lo, exec_lo, s44
	s_and_saveexec_b32 s44, s92
; %bb.180:                              ;   in Loop: Header=BB129_3 Depth=1
	ds_store_b64 v56, v[0:1]
; %bb.181:                              ;   in Loop: Header=BB129_3 Depth=1
	s_or_b32 exec_lo, exec_lo, s44
	s_wait_dscnt 0x0
	s_barrier_signal -1
	s_barrier_wait -1
	s_and_saveexec_b32 s44, s93
	s_cbranch_execz .LBB129_183
; %bb.182:                              ;   in Loop: Header=BB129_3 Depth=1
	ds_load_b64 v[46:47], v54 offset:6240
	ds_load_b64 v[48:49], v56
	s_wait_dscnt 0x0
	v_fmac_f64_e32 v[0:1], v[46:47], v[48:49]
.LBB129_183:                            ;   in Loop: Header=BB129_3 Depth=1
	s_or_b32 exec_lo, exec_lo, s44
	s_barrier_signal -1
	s_barrier_wait -1
	s_and_saveexec_b32 s44, s94
; %bb.184:                              ;   in Loop: Header=BB129_3 Depth=1
	ds_store_b64 v56, v[0:1]
; %bb.185:                              ;   in Loop: Header=BB129_3 Depth=1
	s_or_b32 exec_lo, exec_lo, s44
	s_wait_dscnt 0x0
	s_barrier_signal -1
	s_barrier_wait -1
	s_and_saveexec_b32 s44, s95
	s_cbranch_execz .LBB129_187
; %bb.186:                              ;   in Loop: Header=BB129_3 Depth=1
	ds_load_b64 v[46:47], v54 offset:6752
	ds_load_b64 v[48:49], v56
	s_wait_dscnt 0x0
	v_fmac_f64_e32 v[0:1], v[46:47], v[48:49]
.LBB129_187:                            ;   in Loop: Header=BB129_3 Depth=1
	s_or_b32 exec_lo, exec_lo, s44
	s_barrier_signal -1
	s_barrier_wait -1
	;; [unrolled: 19-line block ×3, first 2 shown]
	s_and_saveexec_b32 s44, s97
; %bb.192:                              ;   in Loop: Header=BB129_3 Depth=1
	ds_store_b64 v56, v[0:1]
; %bb.193:                              ;   in Loop: Header=BB129_3 Depth=1
	s_or_b32 exec_lo, exec_lo, s44
	s_wait_dscnt 0x0
	s_barrier_signal -1
	s_barrier_wait -1
	s_barrier_signal -1
	s_barrier_wait -1
	s_and_saveexec_b32 s44, s3
; %bb.194:                              ;   in Loop: Header=BB129_3 Depth=1
	v_xor_b32_e32 v1, 0x80000000, v1
	ds_store_b64 v57, v[0:1] offset:4192
; %bb.195:                              ;   in Loop: Header=BB129_3 Depth=1
	s_or_b32 exec_lo, exec_lo, s44
	s_wait_dscnt 0x0
	s_barrier_signal -1
	s_barrier_wait -1
	s_barrier_signal -1
	s_barrier_wait -1
	s_and_saveexec_b32 s44, s98
	s_cbranch_execz .LBB129_197
; %bb.196:                              ;   in Loop: Header=BB129_3 Depth=1
	ds_load_b64 v[0:1], v75 offset:4192
	s_wait_dscnt 0x0
	ds_store_b64 v11, v[0:1] offset:6208
	ds_load_b64 v[0:1], v75 offset:4200
	s_wait_dscnt 0x0
	ds_store_b64 v11, v[0:1] offset:6720
	;; [unrolled: 3-line block ×4, first 2 shown]
.LBB129_197:                            ;   in Loop: Header=BB129_3 Depth=1
	s_or_b32 exec_lo, exec_lo, s44
	s_wait_dscnt 0x0
	s_barrier_signal -1
	s_barrier_wait -1
	s_and_saveexec_b32 s44, s10
	s_cbranch_execz .LBB129_199
; %bb.198:                              ;   in Loop: Header=BB129_3 Depth=1
	ds_load_b64 v[0:1], v5 offset:6248
	v_mov_b32_e32 v2, v5
	ds_store_b64 v5, v[30:31] offset:6240
	s_wait_dscnt 0x1
	ds_store_b128 v5, v[0:3] offset:6752
.LBB129_199:                            ;   in Loop: Header=BB129_3 Depth=1
	s_or_b32 exec_lo, exec_lo, s44
	v_mov_b64_e32 v[0:1], 0
	s_wait_dscnt 0x0
	s_barrier_signal -1
	s_barrier_wait -1
	s_and_saveexec_b32 s44, s1
	s_cbranch_execz .LBB129_203
; %bb.200:                              ;   in Loop: Header=BB129_3 Depth=1
	ds_load_b64 v[0:1], v50 offset:6256
	ds_load_b64 v[46:47], v51 offset:6240
	s_wait_dscnt 0x0
	v_fma_f64 v[0:1], v[0:1], v[46:47], 0
	s_and_saveexec_b32 s45, s11
	s_cbranch_execz .LBB129_202
; %bb.201:                              ;   in Loop: Header=BB129_3 Depth=1
	ds_load_b64 v[46:47], v11 offset:6768
	ds_load_b64 v[48:49], v5 offset:6248
	s_wait_dscnt 0x0
	v_fmac_f64_e32 v[0:1], v[46:47], v[48:49]
.LBB129_202:                            ;   in Loop: Header=BB129_3 Depth=1
	s_or_b32 exec_lo, exec_lo, s45
	s_delay_alu instid0(VALU_DEP_1)
	v_xor_b32_e32 v1, 0x80000000, v1
.LBB129_203:                            ;   in Loop: Header=BB129_3 Depth=1
	s_or_b32 exec_lo, exec_lo, s44
	s_and_saveexec_b32 s44, s89
; %bb.204:                              ;   in Loop: Header=BB129_3 Depth=1
	ds_store_b64 v7, v[0:1]
; %bb.205:                              ;   in Loop: Header=BB129_3 Depth=1
	s_or_b32 exec_lo, exec_lo, s44
	s_wait_dscnt 0x0
	s_barrier_signal -1
	s_barrier_wait -1
	s_and_saveexec_b32 s44, s90
	s_cbranch_execz .LBB129_207
; %bb.206:                              ;   in Loop: Header=BB129_3 Depth=1
	ds_load_b64 v[46:47], v5 offset:7288
	ds_load_b64 v[48:49], v7
	s_wait_dscnt 0x0
	v_fmac_f64_e32 v[0:1], v[46:47], v[48:49]
.LBB129_207:                            ;   in Loop: Header=BB129_3 Depth=1
	s_or_b32 exec_lo, exec_lo, s44
	s_barrier_signal -1
	s_barrier_wait -1
	s_and_saveexec_b32 s44, s90
; %bb.208:                              ;   in Loop: Header=BB129_3 Depth=1
	ds_store_b64 v7, v[0:1]
; %bb.209:                              ;   in Loop: Header=BB129_3 Depth=1
	s_or_b32 exec_lo, exec_lo, s44
	s_wait_dscnt 0x0
	s_barrier_signal -1
	s_barrier_wait -1
	s_barrier_signal -1
	s_barrier_wait -1
	s_and_saveexec_b32 s44, s1
; %bb.210:                              ;   in Loop: Header=BB129_3 Depth=1
	v_xor_b32_e32 v1, 0x80000000, v1
	ds_store_b64 v50, v[0:1] offset:6256
; %bb.211:                              ;   in Loop: Header=BB129_3 Depth=1
	s_or_b32 exec_lo, exec_lo, s44
	s_wait_dscnt 0x0
	s_barrier_signal -1
	s_barrier_wait -1
	s_barrier_signal -1
	s_barrier_wait -1
	s_and_saveexec_b32 s44, s91
	s_cbranch_execz .LBB129_213
; %bb.212:                              ;   in Loop: Header=BB129_3 Depth=1
	ds_load_b64 v[0:1], v81 offset:6256
	s_wait_dscnt 0x0
	ds_store_b64 v11, v[0:1] offset:7264
	ds_load_b64 v[0:1], v81 offset:6264
	s_wait_dscnt 0x0
	ds_store_b64 v11, v[0:1] offset:7776
.LBB129_213:                            ;   in Loop: Header=BB129_3 Depth=1
	s_or_b32 exec_lo, exec_lo, s44
	s_wait_dscnt 0x0
	s_barrier_signal -1
	s_barrier_wait -1
	s_and_saveexec_b32 s44, s10
	s_cbranch_execz .LBB129_215
; %bb.214:                              ;   in Loop: Header=BB129_3 Depth=1
	ds_load_b64 v[0:1], v5 offset:7288
	v_mov_b32_e32 v2, v5
	ds_store_b64 v5, v[30:31] offset:7280
	s_wait_dscnt 0x1
	ds_store_b128 v5, v[0:3] offset:7792
.LBB129_215:                            ;   in Loop: Header=BB129_3 Depth=1
	s_or_b32 exec_lo, exec_lo, s44
	v_mov_b64_e32 v[0:1], 0
	s_wait_dscnt 0x0
	s_barrier_signal -1
	s_barrier_wait -1
	s_and_saveexec_b32 s82, s5
	s_cbranch_execz .LBB129_243
; %bb.216:                              ;   in Loop: Header=BB129_3 Depth=1
	ds_load_b64 v[0:1], v77 offset:128
	ds_load_b64 v[46:47], v73
	s_wait_dscnt 0x0
	v_fma_f64 v[0:1], v[0:1], v[46:47], 0
	s_mov_b32 s44, exec_lo
	v_readlane_b32 s45, v103, 21
	s_and_b32 s45, s44, s45
	s_delay_alu instid0(SALU_CYCLE_1)
	s_mov_b32 exec_lo, s45
	s_cbranch_execz .LBB129_218
; %bb.217:                              ;   in Loop: Header=BB129_3 Depth=1
	ds_load_b64 v[46:47], v78 offset:640
	ds_load_b64 v[48:49], v73 offset:8
	s_wait_dscnt 0x0
	v_fmac_f64_e32 v[0:1], v[46:47], v[48:49]
.LBB129_218:                            ;   in Loop: Header=BB129_3 Depth=1
	s_or_b32 exec_lo, exec_lo, s44
	s_delay_alu instid0(SALU_CYCLE_1) | instskip(SKIP_2) | instid1(SALU_CYCLE_1)
	s_mov_b32 s44, exec_lo
	v_readlane_b32 s45, v103, 22
	s_and_b32 s45, s44, s45
	s_mov_b32 exec_lo, s45
	s_cbranch_execz .LBB129_220
; %bb.219:                              ;   in Loop: Header=BB129_3 Depth=1
	ds_load_b64 v[46:47], v78 offset:1152
	ds_load_b64 v[48:49], v73 offset:16
	s_wait_dscnt 0x0
	v_fmac_f64_e32 v[0:1], v[46:47], v[48:49]
.LBB129_220:                            ;   in Loop: Header=BB129_3 Depth=1
	s_or_b32 exec_lo, exec_lo, s44
	s_delay_alu instid0(SALU_CYCLE_1) | instskip(SKIP_2) | instid1(SALU_CYCLE_1)
	s_mov_b32 s44, exec_lo
	v_readlane_b32 s45, v103, 23
	s_and_b32 s45, s44, s45
	;; [unrolled: 13-line block ×10, first 2 shown]
	s_mov_b32 exec_lo, s45
	s_cbranch_execnz .LBB129_1077
; %bb.237:                              ;   in Loop: Header=BB129_3 Depth=1
	s_or_b32 exec_lo, exec_lo, s44
	s_and_saveexec_b32 s44, s4
	s_cbranch_execnz .LBB129_1078
.LBB129_238:                            ;   in Loop: Header=BB129_3 Depth=1
	s_or_b32 exec_lo, exec_lo, s44
	s_and_saveexec_b32 s44, s15
	s_cbranch_execnz .LBB129_1079
.LBB129_239:                            ;   in Loop: Header=BB129_3 Depth=1
	s_or_b32 exec_lo, exec_lo, s44
	s_and_saveexec_b32 s44, s17
	s_cbranch_execnz .LBB129_1080
.LBB129_240:                            ;   in Loop: Header=BB129_3 Depth=1
	s_or_b32 exec_lo, exec_lo, s44
	s_and_saveexec_b32 s44, s3
	s_cbranch_execz .LBB129_242
.LBB129_241:                            ;   in Loop: Header=BB129_3 Depth=1
	ds_load_b64 v[46:47], v52 offset:7808
	ds_load_b64 v[48:49], v5 offset:120
	s_wait_dscnt 0x0
	v_fmac_f64_e32 v[0:1], v[46:47], v[48:49]
.LBB129_242:                            ;   in Loop: Header=BB129_3 Depth=1
	s_or_b32 exec_lo, exec_lo, s44
	s_delay_alu instid0(VALU_DEP_1)
	v_xor_b32_e32 v1, 0x80000000, v1
.LBB129_243:                            ;   in Loop: Header=BB129_3 Depth=1
	s_or_b32 exec_lo, exec_lo, s82
	s_delay_alu instid0(SALU_CYCLE_1) | instskip(SKIP_2) | instid1(SALU_CYCLE_1)
	s_mov_b32 s44, exec_lo
	v_readlane_b32 s45, v103, 2
	s_and_b32 s45, s44, s45
	s_mov_b32 exec_lo, s45
; %bb.244:                              ;   in Loop: Header=BB129_3 Depth=1
	ds_store_b64 v76, v[0:1]
; %bb.245:                              ;   in Loop: Header=BB129_3 Depth=1
	s_or_b32 exec_lo, exec_lo, s44
	s_wait_dscnt 0x0
	s_barrier_signal -1
	s_barrier_wait -1
	s_mov_b32 s44, exec_lo
	v_readlane_b32 s45, v103, 3
	s_and_b32 s45, s44, s45
	s_delay_alu instid0(SALU_CYCLE_1)
	s_mov_b32 exec_lo, s45
	s_cbranch_execz .LBB129_247
; %bb.246:                              ;   in Loop: Header=BB129_3 Depth=1
	ds_load_b64 v[46:47], v74 offset:8320
	ds_load_b64 v[48:49], v76
	s_wait_dscnt 0x0
	v_fmac_f64_e32 v[0:1], v[46:47], v[48:49]
.LBB129_247:                            ;   in Loop: Header=BB129_3 Depth=1
	s_or_b32 exec_lo, exec_lo, s44
	s_barrier_signal -1
	s_barrier_wait -1
	s_mov_b32 s44, exec_lo
	v_readlane_b32 s45, v103, 4
	s_and_b32 s45, s44, s45
	s_delay_alu instid0(SALU_CYCLE_1)
	s_mov_b32 exec_lo, s45
; %bb.248:                              ;   in Loop: Header=BB129_3 Depth=1
	ds_store_b64 v76, v[0:1]
; %bb.249:                              ;   in Loop: Header=BB129_3 Depth=1
	s_or_b32 exec_lo, exec_lo, s44
	s_wait_dscnt 0x0
	s_barrier_signal -1
	s_barrier_wait -1
	s_mov_b32 s44, exec_lo
	v_readlane_b32 s45, v103, 5
	s_and_b32 s45, s44, s45
	s_delay_alu instid0(SALU_CYCLE_1)
	s_mov_b32 exec_lo, s45
	s_cbranch_execz .LBB129_251
; %bb.250:                              ;   in Loop: Header=BB129_3 Depth=1
	ds_load_b64 v[46:47], v74 offset:8832
	ds_load_b64 v[48:49], v76
	s_wait_dscnt 0x0
	v_fmac_f64_e32 v[0:1], v[46:47], v[48:49]
.LBB129_251:                            ;   in Loop: Header=BB129_3 Depth=1
	s_or_b32 exec_lo, exec_lo, s44
	s_barrier_signal -1
	s_barrier_wait -1
	s_mov_b32 s44, exec_lo
	v_readlane_b32 s45, v103, 6
	s_and_b32 s45, s44, s45
	s_delay_alu instid0(SALU_CYCLE_1)
	;; [unrolled: 27-line block ×4, first 2 shown]
	s_mov_b32 exec_lo, s45
; %bb.260:                              ;   in Loop: Header=BB129_3 Depth=1
	ds_store_b64 v76, v[0:1]
; %bb.261:                              ;   in Loop: Header=BB129_3 Depth=1
	s_or_b32 exec_lo, exec_lo, s44
	s_wait_dscnt 0x0
	s_barrier_signal -1
	s_barrier_wait -1
	s_and_saveexec_b32 s44, s49
	s_cbranch_execz .LBB129_263
; %bb.262:                              ;   in Loop: Header=BB129_3 Depth=1
	ds_load_b64 v[46:47], v74 offset:10368
	ds_load_b64 v[48:49], v76
	s_wait_dscnt 0x0
	v_fmac_f64_e32 v[0:1], v[46:47], v[48:49]
.LBB129_263:                            ;   in Loop: Header=BB129_3 Depth=1
	s_or_b32 exec_lo, exec_lo, s44
	s_barrier_signal -1
	s_barrier_wait -1
	s_and_saveexec_b32 s44, s50
; %bb.264:                              ;   in Loop: Header=BB129_3 Depth=1
	ds_store_b64 v76, v[0:1]
; %bb.265:                              ;   in Loop: Header=BB129_3 Depth=1
	s_or_b32 exec_lo, exec_lo, s44
	s_wait_dscnt 0x0
	s_barrier_signal -1
	s_barrier_wait -1
	s_and_saveexec_b32 s44, s51
	s_cbranch_execz .LBB129_267
; %bb.266:                              ;   in Loop: Header=BB129_3 Depth=1
	ds_load_b64 v[46:47], v74 offset:10880
	ds_load_b64 v[48:49], v76
	s_wait_dscnt 0x0
	v_fmac_f64_e32 v[0:1], v[46:47], v[48:49]
.LBB129_267:                            ;   in Loop: Header=BB129_3 Depth=1
	s_or_b32 exec_lo, exec_lo, s44
	s_barrier_signal -1
	s_barrier_wait -1
	s_and_saveexec_b32 s44, s52
	;; [unrolled: 19-line block ×11, first 2 shown]
; %bb.304:                              ;   in Loop: Header=BB129_3 Depth=1
	ds_store_b64 v76, v[0:1]
; %bb.305:                              ;   in Loop: Header=BB129_3 Depth=1
	s_or_b32 exec_lo, exec_lo, s44
	s_wait_dscnt 0x0
	s_barrier_signal -1
	s_barrier_wait -1
	s_barrier_signal -1
	s_barrier_wait -1
	s_and_saveexec_b32 s44, s5
; %bb.306:                              ;   in Loop: Header=BB129_3 Depth=1
	v_xor_b32_e32 v1, 0x80000000, v1
	ds_store_b64 v77, v[0:1] offset:128
; %bb.307:                              ;   in Loop: Header=BB129_3 Depth=1
	s_or_b32 exec_lo, exec_lo, s44
	s_wait_dscnt 0x0
	s_barrier_signal -1
	s_barrier_wait -1
	s_barrier_signal -1
	s_barrier_wait -1
	s_and_saveexec_b32 s44, s87
	s_cbranch_execz .LBB129_309
; %bb.308:                              ;   in Loop: Header=BB129_3 Depth=1
	ds_load_b64 v[0:1], v55 offset:128
	s_wait_dscnt 0x0
	ds_store_b64 v59, v[0:1] offset:8192
	ds_load_b64 v[0:1], v55 offset:136
	s_wait_dscnt 0x0
	ds_store_b64 v59, v[0:1] offset:8704
	;; [unrolled: 3-line block ×16, first 2 shown]
.LBB129_309:                            ;   in Loop: Header=BB129_3 Depth=1
	s_or_b32 exec_lo, exec_lo, s44
	s_wait_dscnt 0x0
	s_barrier_signal -1
	s_barrier_wait -1
	s_and_saveexec_b32 s44, s10
	s_cbranch_execz .LBB129_311
; %bb.310:                              ;   in Loop: Header=BB129_3 Depth=1
	ds_load_b64 v[0:1], v5 offset:8328
	v_mov_b32_e32 v2, v5
	ds_store_b64 v5, v[30:31] offset:8320
	s_wait_dscnt 0x1
	ds_store_b128 v5, v[0:3] offset:8832
.LBB129_311:                            ;   in Loop: Header=BB129_3 Depth=1
	s_or_b32 exec_lo, exec_lo, s44
	v_mov_b64_e32 v[0:1], 0
	s_wait_dscnt 0x0
	s_barrier_signal -1
	s_barrier_wait -1
	s_and_saveexec_b32 s44, s1
	s_cbranch_execz .LBB129_315
; %bb.312:                              ;   in Loop: Header=BB129_3 Depth=1
	ds_load_b64 v[0:1], v50 offset:8336
	ds_load_b64 v[46:47], v51 offset:8320
	s_wait_dscnt 0x0
	v_fma_f64 v[0:1], v[0:1], v[46:47], 0
	s_and_saveexec_b32 s45, s11
	s_cbranch_execz .LBB129_314
; %bb.313:                              ;   in Loop: Header=BB129_3 Depth=1
	ds_load_b64 v[46:47], v52 offset:8848
	ds_load_b64 v[48:49], v5 offset:8328
	s_wait_dscnt 0x0
	v_fmac_f64_e32 v[0:1], v[46:47], v[48:49]
.LBB129_314:                            ;   in Loop: Header=BB129_3 Depth=1
	s_or_b32 exec_lo, exec_lo, s45
	s_delay_alu instid0(VALU_DEP_1)
	v_xor_b32_e32 v1, 0x80000000, v1
.LBB129_315:                            ;   in Loop: Header=BB129_3 Depth=1
	s_or_b32 exec_lo, exec_lo, s44
	s_and_saveexec_b32 s44, s89
; %bb.316:                              ;   in Loop: Header=BB129_3 Depth=1
	ds_store_b64 v7, v[0:1]
; %bb.317:                              ;   in Loop: Header=BB129_3 Depth=1
	s_or_b32 exec_lo, exec_lo, s44
	s_wait_dscnt 0x0
	s_barrier_signal -1
	s_barrier_wait -1
	s_and_saveexec_b32 s44, s90
	s_cbranch_execz .LBB129_319
; %bb.318:                              ;   in Loop: Header=BB129_3 Depth=1
	ds_load_b64 v[46:47], v5 offset:9368
	ds_load_b64 v[48:49], v7
	s_wait_dscnt 0x0
	v_fmac_f64_e32 v[0:1], v[46:47], v[48:49]
.LBB129_319:                            ;   in Loop: Header=BB129_3 Depth=1
	s_or_b32 exec_lo, exec_lo, s44
	s_barrier_signal -1
	s_barrier_wait -1
	s_and_saveexec_b32 s44, s90
; %bb.320:                              ;   in Loop: Header=BB129_3 Depth=1
	ds_store_b64 v7, v[0:1]
; %bb.321:                              ;   in Loop: Header=BB129_3 Depth=1
	s_or_b32 exec_lo, exec_lo, s44
	s_wait_dscnt 0x0
	s_barrier_signal -1
	s_barrier_wait -1
	s_barrier_signal -1
	s_barrier_wait -1
	s_and_saveexec_b32 s44, s1
; %bb.322:                              ;   in Loop: Header=BB129_3 Depth=1
	v_xor_b32_e32 v1, 0x80000000, v1
	ds_store_b64 v50, v[0:1] offset:8336
; %bb.323:                              ;   in Loop: Header=BB129_3 Depth=1
	s_or_b32 exec_lo, exec_lo, s44
	s_wait_dscnt 0x0
	s_barrier_signal -1
	s_barrier_wait -1
	s_barrier_signal -1
	s_barrier_wait -1
	s_and_saveexec_b32 s44, s91
	s_cbranch_execz .LBB129_325
; %bb.324:                              ;   in Loop: Header=BB129_3 Depth=1
	ds_load_b64 v[0:1], v55 offset:8336
	s_wait_dscnt 0x0
	ds_store_b64 v52, v[0:1] offset:9344
	ds_load_b64 v[0:1], v55 offset:8344
	s_wait_dscnt 0x0
	ds_store_b64 v52, v[0:1] offset:9856
.LBB129_325:                            ;   in Loop: Header=BB129_3 Depth=1
	s_or_b32 exec_lo, exec_lo, s44
	s_wait_dscnt 0x0
	s_barrier_signal -1
	s_barrier_wait -1
	s_and_saveexec_b32 s44, s10
	s_cbranch_execz .LBB129_327
; %bb.326:                              ;   in Loop: Header=BB129_3 Depth=1
	ds_load_b64 v[0:1], v5 offset:9368
	v_mov_b32_e32 v2, v5
	ds_store_b64 v5, v[30:31] offset:9360
	s_wait_dscnt 0x1
	ds_store_b128 v5, v[0:3] offset:9872
.LBB129_327:                            ;   in Loop: Header=BB129_3 Depth=1
	s_or_b32 exec_lo, exec_lo, s44
	v_mov_b64_e32 v[0:1], 0
	s_wait_dscnt 0x0
	s_barrier_signal -1
	s_barrier_wait -1
	s_and_saveexec_b32 s44, s3
	s_cbranch_execz .LBB129_333
; %bb.328:                              ;   in Loop: Header=BB129_3 Depth=1
	ds_load_b64 v[0:1], v57 offset:8352
	ds_load_b64 v[46:47], v53 offset:8320
	s_wait_dscnt 0x0
	v_fma_f64 v[0:1], v[0:1], v[46:47], 0
	s_and_saveexec_b32 s45, s12
	s_cbranch_execnz .LBB129_1081
; %bb.329:                              ;   in Loop: Header=BB129_3 Depth=1
	s_or_b32 exec_lo, exec_lo, s45
	s_and_saveexec_b32 s45, s13
	s_cbranch_execnz .LBB129_1082
.LBB129_330:                            ;   in Loop: Header=BB129_3 Depth=1
	s_or_b32 exec_lo, exec_lo, s45
	s_and_saveexec_b32 s45, s1
	s_cbranch_execz .LBB129_332
.LBB129_331:                            ;   in Loop: Header=BB129_3 Depth=1
	ds_load_b64 v[46:47], v59 offset:9888
	ds_load_b64 v[48:49], v5 offset:8344
	s_wait_dscnt 0x0
	v_fmac_f64_e32 v[0:1], v[46:47], v[48:49]
.LBB129_332:                            ;   in Loop: Header=BB129_3 Depth=1
	s_or_b32 exec_lo, exec_lo, s45
	s_delay_alu instid0(VALU_DEP_1)
	v_xor_b32_e32 v1, 0x80000000, v1
.LBB129_333:                            ;   in Loop: Header=BB129_3 Depth=1
	s_or_b32 exec_lo, exec_lo, s44
	s_and_saveexec_b32 s44, s92
; %bb.334:                              ;   in Loop: Header=BB129_3 Depth=1
	ds_store_b64 v56, v[0:1]
; %bb.335:                              ;   in Loop: Header=BB129_3 Depth=1
	s_or_b32 exec_lo, exec_lo, s44
	s_wait_dscnt 0x0
	s_barrier_signal -1
	s_barrier_wait -1
	s_and_saveexec_b32 s44, s93
	s_cbranch_execz .LBB129_337
; %bb.336:                              ;   in Loop: Header=BB129_3 Depth=1
	ds_load_b64 v[46:47], v54 offset:10400
	ds_load_b64 v[48:49], v56
	s_wait_dscnt 0x0
	v_fmac_f64_e32 v[0:1], v[46:47], v[48:49]
.LBB129_337:                            ;   in Loop: Header=BB129_3 Depth=1
	s_or_b32 exec_lo, exec_lo, s44
	s_barrier_signal -1
	s_barrier_wait -1
	s_and_saveexec_b32 s44, s94
; %bb.338:                              ;   in Loop: Header=BB129_3 Depth=1
	ds_store_b64 v56, v[0:1]
; %bb.339:                              ;   in Loop: Header=BB129_3 Depth=1
	s_or_b32 exec_lo, exec_lo, s44
	s_wait_dscnt 0x0
	s_barrier_signal -1
	s_barrier_wait -1
	s_and_saveexec_b32 s44, s95
	s_cbranch_execz .LBB129_341
; %bb.340:                              ;   in Loop: Header=BB129_3 Depth=1
	ds_load_b64 v[46:47], v54 offset:10912
	ds_load_b64 v[48:49], v56
	s_wait_dscnt 0x0
	v_fmac_f64_e32 v[0:1], v[46:47], v[48:49]
.LBB129_341:                            ;   in Loop: Header=BB129_3 Depth=1
	s_or_b32 exec_lo, exec_lo, s44
	s_barrier_signal -1
	s_barrier_wait -1
	;; [unrolled: 19-line block ×3, first 2 shown]
	s_and_saveexec_b32 s44, s97
; %bb.346:                              ;   in Loop: Header=BB129_3 Depth=1
	ds_store_b64 v56, v[0:1]
; %bb.347:                              ;   in Loop: Header=BB129_3 Depth=1
	s_or_b32 exec_lo, exec_lo, s44
	s_wait_dscnt 0x0
	s_barrier_signal -1
	s_barrier_wait -1
	s_barrier_signal -1
	s_barrier_wait -1
	s_and_saveexec_b32 s44, s3
; %bb.348:                              ;   in Loop: Header=BB129_3 Depth=1
	v_xor_b32_e32 v1, 0x80000000, v1
	ds_store_b64 v57, v[0:1] offset:8352
; %bb.349:                              ;   in Loop: Header=BB129_3 Depth=1
	s_or_b32 exec_lo, exec_lo, s44
	s_wait_dscnt 0x0
	s_barrier_signal -1
	s_barrier_wait -1
	s_barrier_signal -1
	s_barrier_wait -1
	s_and_saveexec_b32 s44, s98
	s_cbranch_execz .LBB129_351
; %bb.350:                              ;   in Loop: Header=BB129_3 Depth=1
	ds_load_b64 v[0:1], v60 offset:8352
	s_wait_dscnt 0x0
	ds_store_b64 v62, v[0:1] offset:10368
	ds_load_b64 v[0:1], v60 offset:8360
	s_wait_dscnt 0x0
	ds_store_b64 v62, v[0:1] offset:10880
	;; [unrolled: 3-line block ×4, first 2 shown]
.LBB129_351:                            ;   in Loop: Header=BB129_3 Depth=1
	s_or_b32 exec_lo, exec_lo, s44
	s_wait_dscnt 0x0
	s_barrier_signal -1
	s_barrier_wait -1
	s_and_saveexec_b32 s44, s10
	s_cbranch_execz .LBB129_353
; %bb.352:                              ;   in Loop: Header=BB129_3 Depth=1
	ds_load_b64 v[0:1], v5 offset:10408
	v_mov_b32_e32 v2, v5
	ds_store_b64 v5, v[30:31] offset:10400
	s_wait_dscnt 0x1
	ds_store_b128 v5, v[0:3] offset:10912
.LBB129_353:                            ;   in Loop: Header=BB129_3 Depth=1
	s_or_b32 exec_lo, exec_lo, s44
	v_mov_b64_e32 v[0:1], 0
	s_wait_dscnt 0x0
	s_barrier_signal -1
	s_barrier_wait -1
	s_and_saveexec_b32 s44, s1
	s_cbranch_execz .LBB129_357
; %bb.354:                              ;   in Loop: Header=BB129_3 Depth=1
	ds_load_b64 v[0:1], v50 offset:10416
	ds_load_b64 v[46:47], v51 offset:10400
	s_wait_dscnt 0x0
	v_fma_f64 v[0:1], v[0:1], v[46:47], 0
	s_and_saveexec_b32 s45, s11
	s_cbranch_execz .LBB129_356
; %bb.355:                              ;   in Loop: Header=BB129_3 Depth=1
	ds_load_b64 v[46:47], v62 offset:10928
	ds_load_b64 v[48:49], v5 offset:10408
	s_wait_dscnt 0x0
	v_fmac_f64_e32 v[0:1], v[46:47], v[48:49]
.LBB129_356:                            ;   in Loop: Header=BB129_3 Depth=1
	s_or_b32 exec_lo, exec_lo, s45
	s_delay_alu instid0(VALU_DEP_1)
	v_xor_b32_e32 v1, 0x80000000, v1
.LBB129_357:                            ;   in Loop: Header=BB129_3 Depth=1
	s_or_b32 exec_lo, exec_lo, s44
	s_and_saveexec_b32 s44, s89
; %bb.358:                              ;   in Loop: Header=BB129_3 Depth=1
	ds_store_b64 v7, v[0:1]
; %bb.359:                              ;   in Loop: Header=BB129_3 Depth=1
	s_or_b32 exec_lo, exec_lo, s44
	s_wait_dscnt 0x0
	s_barrier_signal -1
	s_barrier_wait -1
	s_and_saveexec_b32 s44, s90
	s_cbranch_execz .LBB129_361
; %bb.360:                              ;   in Loop: Header=BB129_3 Depth=1
	ds_load_b64 v[46:47], v5 offset:11448
	ds_load_b64 v[48:49], v7
	s_wait_dscnt 0x0
	v_fmac_f64_e32 v[0:1], v[46:47], v[48:49]
.LBB129_361:                            ;   in Loop: Header=BB129_3 Depth=1
	s_or_b32 exec_lo, exec_lo, s44
	s_barrier_signal -1
	s_barrier_wait -1
	s_and_saveexec_b32 s44, s90
; %bb.362:                              ;   in Loop: Header=BB129_3 Depth=1
	ds_store_b64 v7, v[0:1]
; %bb.363:                              ;   in Loop: Header=BB129_3 Depth=1
	s_or_b32 exec_lo, exec_lo, s44
	s_wait_dscnt 0x0
	s_barrier_signal -1
	s_barrier_wait -1
	s_barrier_signal -1
	s_barrier_wait -1
	s_and_saveexec_b32 s44, s1
; %bb.364:                              ;   in Loop: Header=BB129_3 Depth=1
	v_xor_b32_e32 v1, 0x80000000, v1
	ds_store_b64 v50, v[0:1] offset:10416
; %bb.365:                              ;   in Loop: Header=BB129_3 Depth=1
	s_or_b32 exec_lo, exec_lo, s44
	s_wait_dscnt 0x0
	s_barrier_signal -1
	s_barrier_wait -1
	s_barrier_signal -1
	s_barrier_wait -1
	s_and_saveexec_b32 s44, s91
	s_cbranch_execz .LBB129_367
; %bb.366:                              ;   in Loop: Header=BB129_3 Depth=1
	ds_load_b64 v[0:1], v64 offset:10416
	s_wait_dscnt 0x0
	ds_store_b64 v62, v[0:1] offset:11424
	ds_load_b64 v[0:1], v64 offset:10424
	s_wait_dscnt 0x0
	ds_store_b64 v62, v[0:1] offset:11936
.LBB129_367:                            ;   in Loop: Header=BB129_3 Depth=1
	s_or_b32 exec_lo, exec_lo, s44
	s_wait_dscnt 0x0
	s_barrier_signal -1
	s_barrier_wait -1
	s_and_saveexec_b32 s44, s10
	s_cbranch_execz .LBB129_369
; %bb.368:                              ;   in Loop: Header=BB129_3 Depth=1
	ds_load_b64 v[0:1], v5 offset:11448
	v_mov_b32_e32 v2, v5
	ds_store_b64 v5, v[30:31] offset:11440
	s_wait_dscnt 0x1
	ds_store_b128 v5, v[0:3] offset:11952
.LBB129_369:                            ;   in Loop: Header=BB129_3 Depth=1
	s_or_b32 exec_lo, exec_lo, s44
	v_mov_b64_e32 v[0:1], 0
	s_wait_dscnt 0x0
	s_barrier_signal -1
	s_barrier_wait -1
	s_and_saveexec_b32 s44, s4
	s_cbranch_execz .LBB129_379
; %bb.370:                              ;   in Loop: Header=BB129_3 Depth=1
	ds_load_b64 v[0:1], v66 offset:8384
	ds_load_b64 v[46:47], v61 offset:8320
	s_wait_dscnt 0x0
	v_fma_f64 v[0:1], v[0:1], v[46:47], 0
	s_and_saveexec_b32 s45, s14
	s_cbranch_execnz .LBB129_1083
; %bb.371:                              ;   in Loop: Header=BB129_3 Depth=1
	s_or_b32 exec_lo, exec_lo, s45
	s_and_saveexec_b32 s45, s15
	s_cbranch_execnz .LBB129_1084
.LBB129_372:                            ;   in Loop: Header=BB129_3 Depth=1
	s_or_b32 exec_lo, exec_lo, s45
	s_and_saveexec_b32 s45, s16
	s_cbranch_execnz .LBB129_1085
.LBB129_373:                            ;   in Loop: Header=BB129_3 Depth=1
	s_or_b32 exec_lo, exec_lo, s45
	s_and_saveexec_b32 s45, s17
	s_cbranch_execnz .LBB129_1086
.LBB129_374:                            ;   in Loop: Header=BB129_3 Depth=1
	s_or_b32 exec_lo, exec_lo, s45
	s_and_saveexec_b32 s45, s18
	s_cbranch_execnz .LBB129_1087
.LBB129_375:                            ;   in Loop: Header=BB129_3 Depth=1
	s_or_b32 exec_lo, exec_lo, s45
	s_and_saveexec_b32 s45, s3
	s_cbranch_execnz .LBB129_1088
.LBB129_376:                            ;   in Loop: Header=BB129_3 Depth=1
	s_or_b32 exec_lo, exec_lo, s45
	s_and_saveexec_b32 s45, s13
	s_cbranch_execz .LBB129_378
.LBB129_377:                            ;   in Loop: Header=BB129_3 Depth=1
	ds_load_b64 v[46:47], v68 offset:11968
	ds_load_b64 v[48:49], v5 offset:8376
	s_wait_dscnt 0x0
	v_fmac_f64_e32 v[0:1], v[46:47], v[48:49]
.LBB129_378:                            ;   in Loop: Header=BB129_3 Depth=1
	s_or_b32 exec_lo, exec_lo, s45
	s_delay_alu instid0(VALU_DEP_1)
	v_xor_b32_e32 v1, 0x80000000, v1
.LBB129_379:                            ;   in Loop: Header=BB129_3 Depth=1
	s_or_b32 exec_lo, exec_lo, s44
	s_and_saveexec_b32 s44, s99
; %bb.380:                              ;   in Loop: Header=BB129_3 Depth=1
	ds_store_b64 v65, v[0:1]
; %bb.381:                              ;   in Loop: Header=BB129_3 Depth=1
	s_or_b32 exec_lo, exec_lo, s44
	s_wait_dscnt 0x0
	s_barrier_signal -1
	s_barrier_wait -1
	s_and_saveexec_b32 s44, s100
	s_cbranch_execz .LBB129_383
; %bb.382:                              ;   in Loop: Header=BB129_3 Depth=1
	ds_load_b64 v[46:47], v63 offset:12480
	ds_load_b64 v[48:49], v65
	s_wait_dscnt 0x0
	v_fmac_f64_e32 v[0:1], v[46:47], v[48:49]
.LBB129_383:                            ;   in Loop: Header=BB129_3 Depth=1
	s_or_b32 exec_lo, exec_lo, s44
	s_barrier_signal -1
	s_barrier_wait -1
	s_and_saveexec_b32 s44, s101
; %bb.384:                              ;   in Loop: Header=BB129_3 Depth=1
	ds_store_b64 v65, v[0:1]
; %bb.385:                              ;   in Loop: Header=BB129_3 Depth=1
	s_or_b32 exec_lo, exec_lo, s44
	s_wait_dscnt 0x0
	s_barrier_signal -1
	s_barrier_wait -1
	s_and_saveexec_b32 s44, s102
	s_cbranch_execz .LBB129_387
; %bb.386:                              ;   in Loop: Header=BB129_3 Depth=1
	ds_load_b64 v[46:47], v63 offset:12992
	ds_load_b64 v[48:49], v65
	s_wait_dscnt 0x0
	v_fmac_f64_e32 v[0:1], v[46:47], v[48:49]
.LBB129_387:                            ;   in Loop: Header=BB129_3 Depth=1
	s_or_b32 exec_lo, exec_lo, s44
	s_barrier_signal -1
	s_barrier_wait -1
	;; [unrolled: 19-line block ×3, first 2 shown]
	s_and_saveexec_b32 s44, vcc_hi
; %bb.392:                              ;   in Loop: Header=BB129_3 Depth=1
	ds_store_b64 v65, v[0:1]
; %bb.393:                              ;   in Loop: Header=BB129_3 Depth=1
	s_or_b32 exec_lo, exec_lo, s44
	s_wait_dscnt 0x0
	s_barrier_signal -1
	s_barrier_wait -1
	s_and_saveexec_b32 s44, s31
	s_cbranch_execz .LBB129_395
; %bb.394:                              ;   in Loop: Header=BB129_3 Depth=1
	ds_load_b64 v[46:47], v63 offset:14016
	ds_load_b64 v[48:49], v65
	s_wait_dscnt 0x0
	v_fmac_f64_e32 v[0:1], v[46:47], v[48:49]
.LBB129_395:                            ;   in Loop: Header=BB129_3 Depth=1
	s_or_b32 exec_lo, exec_lo, s44
	s_barrier_signal -1
	s_barrier_wait -1
	s_and_saveexec_b32 s44, s33
; %bb.396:                              ;   in Loop: Header=BB129_3 Depth=1
	ds_store_b64 v65, v[0:1]
; %bb.397:                              ;   in Loop: Header=BB129_3 Depth=1
	s_or_b32 exec_lo, exec_lo, s44
	s_wait_dscnt 0x0
	s_barrier_signal -1
	s_barrier_wait -1
	s_and_saveexec_b32 s44, s34
	s_cbranch_execz .LBB129_399
; %bb.398:                              ;   in Loop: Header=BB129_3 Depth=1
	ds_load_b64 v[46:47], v63 offset:14528
	ds_load_b64 v[48:49], v65
	s_wait_dscnt 0x0
	v_fmac_f64_e32 v[0:1], v[46:47], v[48:49]
.LBB129_399:                            ;   in Loop: Header=BB129_3 Depth=1
	s_or_b32 exec_lo, exec_lo, s44
	s_barrier_signal -1
	s_barrier_wait -1
	s_and_saveexec_b32 s44, s35
	;; [unrolled: 19-line block ×4, first 2 shown]
; %bb.408:                              ;   in Loop: Header=BB129_3 Depth=1
	ds_store_b64 v65, v[0:1]
; %bb.409:                              ;   in Loop: Header=BB129_3 Depth=1
	s_or_b32 exec_lo, exec_lo, s44
	s_wait_dscnt 0x0
	s_barrier_signal -1
	s_barrier_wait -1
	s_barrier_signal -1
	s_barrier_wait -1
	s_and_saveexec_b32 s44, s4
; %bb.410:                              ;   in Loop: Header=BB129_3 Depth=1
	v_xor_b32_e32 v1, 0x80000000, v1
	ds_store_b64 v66, v[0:1] offset:8384
; %bb.411:                              ;   in Loop: Header=BB129_3 Depth=1
	s_or_b32 exec_lo, exec_lo, s44
	s_wait_dscnt 0x0
	s_barrier_signal -1
	s_barrier_wait -1
	s_barrier_signal -1
	s_barrier_wait -1
	s_and_saveexec_b32 s44, s39
	s_cbranch_execz .LBB129_413
; %bb.412:                              ;   in Loop: Header=BB129_3 Depth=1
	ds_load_b64 v[0:1], v69 offset:8384
	s_wait_dscnt 0x0
	ds_store_b64 v70, v[0:1] offset:12416
	ds_load_b64 v[0:1], v69 offset:8392
	s_wait_dscnt 0x0
	ds_store_b64 v70, v[0:1] offset:12928
	;; [unrolled: 3-line block ×8, first 2 shown]
.LBB129_413:                            ;   in Loop: Header=BB129_3 Depth=1
	s_or_b32 exec_lo, exec_lo, s44
	s_wait_dscnt 0x0
	s_barrier_signal -1
	s_barrier_wait -1
	s_and_saveexec_b32 s44, s10
	s_cbranch_execz .LBB129_415
; %bb.414:                              ;   in Loop: Header=BB129_3 Depth=1
	ds_load_b64 v[0:1], v5 offset:12488
	v_mov_b32_e32 v2, v5
	ds_store_b64 v5, v[30:31] offset:12480
	s_wait_dscnt 0x1
	ds_store_b128 v5, v[0:3] offset:12992
.LBB129_415:                            ;   in Loop: Header=BB129_3 Depth=1
	s_or_b32 exec_lo, exec_lo, s44
	v_mov_b64_e32 v[0:1], 0
	s_wait_dscnt 0x0
	s_barrier_signal -1
	s_barrier_wait -1
	s_and_saveexec_b32 s44, s1
	s_cbranch_execz .LBB129_419
; %bb.416:                              ;   in Loop: Header=BB129_3 Depth=1
	ds_load_b64 v[0:1], v50 offset:12496
	ds_load_b64 v[46:47], v51 offset:12480
	s_wait_dscnt 0x0
	v_fma_f64 v[0:1], v[0:1], v[46:47], 0
	s_and_saveexec_b32 s45, s11
	s_cbranch_execz .LBB129_418
; %bb.417:                              ;   in Loop: Header=BB129_3 Depth=1
	ds_load_b64 v[46:47], v70 offset:13008
	ds_load_b64 v[48:49], v5 offset:12488
	s_wait_dscnt 0x0
	v_fmac_f64_e32 v[0:1], v[46:47], v[48:49]
.LBB129_418:                            ;   in Loop: Header=BB129_3 Depth=1
	s_or_b32 exec_lo, exec_lo, s45
	s_delay_alu instid0(VALU_DEP_1)
	v_xor_b32_e32 v1, 0x80000000, v1
.LBB129_419:                            ;   in Loop: Header=BB129_3 Depth=1
	s_or_b32 exec_lo, exec_lo, s44
	s_and_saveexec_b32 s44, s89
; %bb.420:                              ;   in Loop: Header=BB129_3 Depth=1
	ds_store_b64 v7, v[0:1]
; %bb.421:                              ;   in Loop: Header=BB129_3 Depth=1
	s_or_b32 exec_lo, exec_lo, s44
	s_wait_dscnt 0x0
	s_barrier_signal -1
	s_barrier_wait -1
	s_and_saveexec_b32 s44, s90
	s_cbranch_execz .LBB129_423
; %bb.422:                              ;   in Loop: Header=BB129_3 Depth=1
	ds_load_b64 v[46:47], v5 offset:13528
	ds_load_b64 v[48:49], v7
	s_wait_dscnt 0x0
	v_fmac_f64_e32 v[0:1], v[46:47], v[48:49]
.LBB129_423:                            ;   in Loop: Header=BB129_3 Depth=1
	s_or_b32 exec_lo, exec_lo, s44
	s_barrier_signal -1
	s_barrier_wait -1
	s_and_saveexec_b32 s44, s90
; %bb.424:                              ;   in Loop: Header=BB129_3 Depth=1
	ds_store_b64 v7, v[0:1]
; %bb.425:                              ;   in Loop: Header=BB129_3 Depth=1
	s_or_b32 exec_lo, exec_lo, s44
	s_wait_dscnt 0x0
	s_barrier_signal -1
	s_barrier_wait -1
	s_barrier_signal -1
	s_barrier_wait -1
	s_and_saveexec_b32 s44, s1
; %bb.426:                              ;   in Loop: Header=BB129_3 Depth=1
	v_xor_b32_e32 v1, 0x80000000, v1
	ds_store_b64 v50, v[0:1] offset:12496
; %bb.427:                              ;   in Loop: Header=BB129_3 Depth=1
	s_or_b32 exec_lo, exec_lo, s44
	s_wait_dscnt 0x0
	s_barrier_signal -1
	s_barrier_wait -1
	s_barrier_signal -1
	s_barrier_wait -1
	s_and_saveexec_b32 s44, s91
	s_cbranch_execz .LBB129_429
; %bb.428:                              ;   in Loop: Header=BB129_3 Depth=1
	ds_load_b64 v[0:1], v71 offset:12496
	s_wait_dscnt 0x0
	ds_store_b64 v70, v[0:1] offset:13504
	ds_load_b64 v[0:1], v71 offset:12504
	s_wait_dscnt 0x0
	ds_store_b64 v70, v[0:1] offset:14016
.LBB129_429:                            ;   in Loop: Header=BB129_3 Depth=1
	s_or_b32 exec_lo, exec_lo, s44
	s_wait_dscnt 0x0
	s_barrier_signal -1
	s_barrier_wait -1
	s_and_saveexec_b32 s44, s10
	s_cbranch_execz .LBB129_431
; %bb.430:                              ;   in Loop: Header=BB129_3 Depth=1
	ds_load_b64 v[0:1], v5 offset:13528
	v_mov_b32_e32 v2, v5
	ds_store_b64 v5, v[30:31] offset:13520
	s_wait_dscnt 0x1
	ds_store_b128 v5, v[0:3] offset:14032
.LBB129_431:                            ;   in Loop: Header=BB129_3 Depth=1
	s_or_b32 exec_lo, exec_lo, s44
	v_mov_b64_e32 v[0:1], 0
	s_wait_dscnt 0x0
	s_barrier_signal -1
	s_barrier_wait -1
	s_and_saveexec_b32 s44, s3
	s_cbranch_execz .LBB129_437
; %bb.432:                              ;   in Loop: Header=BB129_3 Depth=1
	ds_load_b64 v[0:1], v57 offset:12512
	ds_load_b64 v[46:47], v53 offset:12480
	s_wait_dscnt 0x0
	v_fma_f64 v[0:1], v[0:1], v[46:47], 0
	s_and_saveexec_b32 s45, s12
	s_cbranch_execnz .LBB129_1089
; %bb.433:                              ;   in Loop: Header=BB129_3 Depth=1
	s_or_b32 exec_lo, exec_lo, s45
	s_and_saveexec_b32 s45, s13
	s_cbranch_execnz .LBB129_1090
.LBB129_434:                            ;   in Loop: Header=BB129_3 Depth=1
	s_or_b32 exec_lo, exec_lo, s45
	s_and_saveexec_b32 s45, s1
	s_cbranch_execz .LBB129_436
.LBB129_435:                            ;   in Loop: Header=BB129_3 Depth=1
	ds_load_b64 v[46:47], v72 offset:14048
	ds_load_b64 v[48:49], v5 offset:12504
	s_wait_dscnt 0x0
	v_fmac_f64_e32 v[0:1], v[46:47], v[48:49]
.LBB129_436:                            ;   in Loop: Header=BB129_3 Depth=1
	s_or_b32 exec_lo, exec_lo, s45
	s_delay_alu instid0(VALU_DEP_1)
	v_xor_b32_e32 v1, 0x80000000, v1
.LBB129_437:                            ;   in Loop: Header=BB129_3 Depth=1
	s_or_b32 exec_lo, exec_lo, s44
	s_and_saveexec_b32 s44, s92
; %bb.438:                              ;   in Loop: Header=BB129_3 Depth=1
	ds_store_b64 v56, v[0:1]
; %bb.439:                              ;   in Loop: Header=BB129_3 Depth=1
	s_or_b32 exec_lo, exec_lo, s44
	s_wait_dscnt 0x0
	s_barrier_signal -1
	s_barrier_wait -1
	s_and_saveexec_b32 s44, s93
	s_cbranch_execz .LBB129_441
; %bb.440:                              ;   in Loop: Header=BB129_3 Depth=1
	ds_load_b64 v[46:47], v54 offset:14560
	ds_load_b64 v[48:49], v56
	s_wait_dscnt 0x0
	v_fmac_f64_e32 v[0:1], v[46:47], v[48:49]
.LBB129_441:                            ;   in Loop: Header=BB129_3 Depth=1
	s_or_b32 exec_lo, exec_lo, s44
	s_barrier_signal -1
	s_barrier_wait -1
	s_and_saveexec_b32 s44, s94
; %bb.442:                              ;   in Loop: Header=BB129_3 Depth=1
	ds_store_b64 v56, v[0:1]
; %bb.443:                              ;   in Loop: Header=BB129_3 Depth=1
	s_or_b32 exec_lo, exec_lo, s44
	s_wait_dscnt 0x0
	s_barrier_signal -1
	s_barrier_wait -1
	s_and_saveexec_b32 s44, s95
	s_cbranch_execz .LBB129_445
; %bb.444:                              ;   in Loop: Header=BB129_3 Depth=1
	ds_load_b64 v[46:47], v54 offset:15072
	ds_load_b64 v[48:49], v56
	s_wait_dscnt 0x0
	v_fmac_f64_e32 v[0:1], v[46:47], v[48:49]
.LBB129_445:                            ;   in Loop: Header=BB129_3 Depth=1
	s_or_b32 exec_lo, exec_lo, s44
	s_barrier_signal -1
	s_barrier_wait -1
	;; [unrolled: 19-line block ×3, first 2 shown]
	s_and_saveexec_b32 s44, s97
; %bb.450:                              ;   in Loop: Header=BB129_3 Depth=1
	ds_store_b64 v56, v[0:1]
; %bb.451:                              ;   in Loop: Header=BB129_3 Depth=1
	s_or_b32 exec_lo, exec_lo, s44
	s_wait_dscnt 0x0
	s_barrier_signal -1
	s_barrier_wait -1
	s_barrier_signal -1
	s_barrier_wait -1
	s_and_saveexec_b32 s44, s3
; %bb.452:                              ;   in Loop: Header=BB129_3 Depth=1
	v_xor_b32_e32 v1, 0x80000000, v1
	ds_store_b64 v57, v[0:1] offset:12512
; %bb.453:                              ;   in Loop: Header=BB129_3 Depth=1
	s_or_b32 exec_lo, exec_lo, s44
	s_wait_dscnt 0x0
	s_barrier_signal -1
	s_barrier_wait -1
	s_barrier_signal -1
	s_barrier_wait -1
	s_and_saveexec_b32 s44, s98
	s_cbranch_execz .LBB129_455
; %bb.454:                              ;   in Loop: Header=BB129_3 Depth=1
	ds_load_b64 v[0:1], v75 offset:12512
	s_wait_dscnt 0x0
	ds_store_b64 v11, v[0:1] offset:14528
	ds_load_b64 v[0:1], v75 offset:12520
	s_wait_dscnt 0x0
	ds_store_b64 v11, v[0:1] offset:15040
	;; [unrolled: 3-line block ×4, first 2 shown]
.LBB129_455:                            ;   in Loop: Header=BB129_3 Depth=1
	s_or_b32 exec_lo, exec_lo, s44
	s_wait_dscnt 0x0
	s_barrier_signal -1
	s_barrier_wait -1
	s_and_saveexec_b32 s44, s10
	s_cbranch_execz .LBB129_457
; %bb.456:                              ;   in Loop: Header=BB129_3 Depth=1
	ds_load_b64 v[0:1], v5 offset:14568
	v_mov_b32_e32 v2, v5
	ds_store_b64 v5, v[30:31] offset:14560
	s_wait_dscnt 0x1
	ds_store_b128 v5, v[0:3] offset:15072
.LBB129_457:                            ;   in Loop: Header=BB129_3 Depth=1
	s_or_b32 exec_lo, exec_lo, s44
	v_mov_b64_e32 v[0:1], 0
	s_wait_dscnt 0x0
	s_barrier_signal -1
	s_barrier_wait -1
	s_and_saveexec_b32 s44, s1
	s_cbranch_execz .LBB129_461
; %bb.458:                              ;   in Loop: Header=BB129_3 Depth=1
	ds_load_b64 v[0:1], v50 offset:14576
	ds_load_b64 v[46:47], v51 offset:14560
	s_wait_dscnt 0x0
	v_fma_f64 v[0:1], v[0:1], v[46:47], 0
	s_and_saveexec_b32 s45, s11
	s_cbranch_execz .LBB129_460
; %bb.459:                              ;   in Loop: Header=BB129_3 Depth=1
	ds_load_b64 v[46:47], v11 offset:15088
	ds_load_b64 v[48:49], v5 offset:14568
	s_wait_dscnt 0x0
	v_fmac_f64_e32 v[0:1], v[46:47], v[48:49]
.LBB129_460:                            ;   in Loop: Header=BB129_3 Depth=1
	s_or_b32 exec_lo, exec_lo, s45
	s_delay_alu instid0(VALU_DEP_1)
	v_xor_b32_e32 v1, 0x80000000, v1
.LBB129_461:                            ;   in Loop: Header=BB129_3 Depth=1
	s_or_b32 exec_lo, exec_lo, s44
	s_and_saveexec_b32 s44, s89
; %bb.462:                              ;   in Loop: Header=BB129_3 Depth=1
	ds_store_b64 v7, v[0:1]
; %bb.463:                              ;   in Loop: Header=BB129_3 Depth=1
	s_or_b32 exec_lo, exec_lo, s44
	s_wait_dscnt 0x0
	s_barrier_signal -1
	s_barrier_wait -1
	s_and_saveexec_b32 s44, s90
	s_cbranch_execz .LBB129_465
; %bb.464:                              ;   in Loop: Header=BB129_3 Depth=1
	ds_load_b64 v[46:47], v5 offset:15608
	ds_load_b64 v[48:49], v7
	s_wait_dscnt 0x0
	v_fmac_f64_e32 v[0:1], v[46:47], v[48:49]
.LBB129_465:                            ;   in Loop: Header=BB129_3 Depth=1
	s_or_b32 exec_lo, exec_lo, s44
	s_barrier_signal -1
	s_barrier_wait -1
	s_and_saveexec_b32 s44, s90
; %bb.466:                              ;   in Loop: Header=BB129_3 Depth=1
	ds_store_b64 v7, v[0:1]
; %bb.467:                              ;   in Loop: Header=BB129_3 Depth=1
	s_or_b32 exec_lo, exec_lo, s44
	s_wait_dscnt 0x0
	s_barrier_signal -1
	s_barrier_wait -1
	s_barrier_signal -1
	s_barrier_wait -1
	s_and_saveexec_b32 s44, s1
; %bb.468:                              ;   in Loop: Header=BB129_3 Depth=1
	v_xor_b32_e32 v1, 0x80000000, v1
	ds_store_b64 v50, v[0:1] offset:14576
; %bb.469:                              ;   in Loop: Header=BB129_3 Depth=1
	s_or_b32 exec_lo, exec_lo, s44
	s_wait_dscnt 0x0
	s_barrier_signal -1
	s_barrier_wait -1
	s_barrier_signal -1
	s_barrier_wait -1
	s_and_saveexec_b32 s44, s91
	s_cbranch_execz .LBB129_471
; %bb.470:                              ;   in Loop: Header=BB129_3 Depth=1
	ds_load_b64 v[0:1], v81 offset:14576
	s_wait_dscnt 0x0
	ds_store_b64 v11, v[0:1] offset:15584
	ds_load_b64 v[0:1], v81 offset:14584
	s_wait_dscnt 0x0
	ds_store_b64 v11, v[0:1] offset:16096
.LBB129_471:                            ;   in Loop: Header=BB129_3 Depth=1
	s_or_b32 exec_lo, exec_lo, s44
	s_wait_dscnt 0x0
	s_barrier_signal -1
	s_barrier_wait -1
	s_and_saveexec_b32 s44, s10
	s_cbranch_execz .LBB129_473
; %bb.472:                              ;   in Loop: Header=BB129_3 Depth=1
	ds_load_b64 v[0:1], v5 offset:15608
	v_mov_b32_e32 v2, v5
	ds_store_b64 v5, v[30:31] offset:15600
	s_wait_dscnt 0x1
	ds_store_b128 v5, v[0:3] offset:16112
.LBB129_473:                            ;   in Loop: Header=BB129_3 Depth=1
	s_or_b32 exec_lo, exec_lo, s44
	v_mov_b64_e32 v[0:1], 0
	s_wait_dscnt 0x0
	s_barrier_signal -1
	s_barrier_wait -1
	s_and_saveexec_b32 s82, s30
	s_cbranch_execz .LBB129_535
; %bb.474:                              ;   in Loop: Header=BB129_3 Depth=1
	v_add_nc_u32_e32 v2, v9, v80
	ds_load_b64 v[0:1], v83 offset:256
	ds_load_b64 v[46:47], v2
	s_wait_dscnt 0x0
	v_fma_f64 v[0:1], v[0:1], v[46:47], 0
	s_mov_b32 s44, exec_lo
	v_readlane_b32 s45, v102, 0
	s_and_b32 s45, s44, s45
	s_delay_alu instid0(SALU_CYCLE_1)
	s_mov_b32 exec_lo, s45
	s_cbranch_execz .LBB129_476
; %bb.475:                              ;   in Loop: Header=BB129_3 Depth=1
	ds_load_b64 v[46:47], v83 offset:768
	ds_load_b64 v[48:49], v2 offset:8
	s_wait_dscnt 0x0
	v_fmac_f64_e32 v[0:1], v[46:47], v[48:49]
.LBB129_476:                            ;   in Loop: Header=BB129_3 Depth=1
	s_or_b32 exec_lo, exec_lo, s44
	s_delay_alu instid0(SALU_CYCLE_1) | instskip(SKIP_2) | instid1(SALU_CYCLE_1)
	s_mov_b32 s44, exec_lo
	v_readlane_b32 s45, v102, 1
	s_and_b32 s45, s44, s45
	s_mov_b32 exec_lo, s45
	s_cbranch_execz .LBB129_478
; %bb.477:                              ;   in Loop: Header=BB129_3 Depth=1
	ds_load_b64 v[46:47], v83 offset:1280
	ds_load_b64 v[48:49], v2 offset:16
	s_wait_dscnt 0x0
	v_fmac_f64_e32 v[0:1], v[46:47], v[48:49]
.LBB129_478:                            ;   in Loop: Header=BB129_3 Depth=1
	s_or_b32 exec_lo, exec_lo, s44
	s_delay_alu instid0(SALU_CYCLE_1) | instskip(SKIP_2) | instid1(SALU_CYCLE_1)
	s_mov_b32 s44, exec_lo
	v_readlane_b32 s45, v102, 2
	s_and_b32 s45, s44, s45
	;; [unrolled: 13-line block ×22, first 2 shown]
	s_mov_b32 exec_lo, s45
	s_cbranch_execz .LBB129_520
; %bb.519:                              ;   in Loop: Header=BB129_3 Depth=1
	ds_load_b64 v[46:47], v83 offset:12032
	ds_load_b64 v[48:49], v2 offset:184
	s_wait_dscnt 0x0
	v_fmac_f64_e32 v[0:1], v[46:47], v[48:49]
.LBB129_520:                            ;   in Loop: Header=BB129_3 Depth=1
	s_or_b32 exec_lo, exec_lo, s44
	s_and_saveexec_b32 s44, s5
	s_cbranch_execz .LBB129_522
; %bb.521:                              ;   in Loop: Header=BB129_3 Depth=1
	ds_load_b64 v[46:47], v83 offset:12544
	ds_load_b64 v[48:49], v2 offset:192
	s_wait_dscnt 0x0
	v_fmac_f64_e32 v[0:1], v[46:47], v[48:49]
.LBB129_522:                            ;   in Loop: Header=BB129_3 Depth=1
	s_or_b32 exec_lo, exec_lo, s44
	s_delay_alu instid0(SALU_CYCLE_1) | instskip(SKIP_2) | instid1(SALU_CYCLE_1)
	s_mov_b32 s44, exec_lo
	v_readlane_b32 s45, v103, 22
	s_and_b32 s45, s44, s45
	s_mov_b32 exec_lo, s45
	s_cbranch_execz .LBB129_524
; %bb.523:                              ;   in Loop: Header=BB129_3 Depth=1
	ds_load_b64 v[46:47], v83 offset:13056
	ds_load_b64 v[48:49], v2 offset:200
	s_wait_dscnt 0x0
	v_fmac_f64_e32 v[0:1], v[46:47], v[48:49]
.LBB129_524:                            ;   in Loop: Header=BB129_3 Depth=1
	s_or_b32 exec_lo, exec_lo, s44
	s_delay_alu instid0(SALU_CYCLE_1) | instskip(SKIP_2) | instid1(SALU_CYCLE_1)
	s_mov_b32 s44, exec_lo
	v_readlane_b32 s45, v103, 24
	s_and_b32 s45, s44, s45
	s_mov_b32 exec_lo, s45
	;; [unrolled: 13-line block ×5, first 2 shown]
	s_cbranch_execnz .LBB129_1091
; %bb.531:                              ;   in Loop: Header=BB129_3 Depth=1
	s_or_b32 exec_lo, exec_lo, s44
	s_and_saveexec_b32 s44, s4
	s_cbranch_execnz .LBB129_1092
.LBB129_532:                            ;   in Loop: Header=BB129_3 Depth=1
	s_or_b32 exec_lo, exec_lo, s44
	s_and_saveexec_b32 s44, s17
	s_cbranch_execz .LBB129_534
.LBB129_533:                            ;   in Loop: Header=BB129_3 Depth=1
	ds_load_b64 v[46:47], v52 offset:16128
	ds_load_b64 v[48:49], v5 offset:248
	s_wait_dscnt 0x0
	v_fmac_f64_e32 v[0:1], v[46:47], v[48:49]
.LBB129_534:                            ;   in Loop: Header=BB129_3 Depth=1
	s_or_b32 exec_lo, exec_lo, s44
	s_delay_alu instid0(VALU_DEP_1)
	v_xor_b32_e32 v1, 0x80000000, v1
.LBB129_535:                            ;   in Loop: Header=BB129_3 Depth=1
	s_or_b32 exec_lo, exec_lo, s82
	v_dual_mov_b32 v2, v79 :: v_dual_mov_b32 v46, v95
	s_mov_b32 s44, 0
	s_branch .LBB129_537
.LBB129_536:                            ;   in Loop: Header=BB129_537 Depth=2
	s_or_b32 exec_lo, exec_lo, s45
	v_add_nc_u32_e32 v46, 0x800, v46
	v_add_nc_u32_e32 v2, -4, v2
	s_add_co_i32 s44, s44, 4
	s_delay_alu instid0(SALU_CYCLE_1)
	s_cmp_eq_u32 s44, 32
	s_barrier_signal -1
	s_barrier_wait -1
	s_cbranch_scc1 .LBB129_553
.LBB129_537:                            ;   Parent Loop BB129_3 Depth=1
                                        ; =>  This Inner Loop Header: Depth=2
	s_delay_alu instid0(VALU_DEP_1) | instskip(SKIP_1) | instid1(SALU_CYCLE_1)
	v_cmp_eq_u32_e32 vcc_lo, 0, v2
	s_and_b32 s46, s43, vcc_lo
	s_and_saveexec_b32 s45, s46
; %bb.538:                              ;   in Loop: Header=BB129_537 Depth=2
	ds_store_b64 v84, v[0:1]
; %bb.539:                              ;   in Loop: Header=BB129_537 Depth=2
	s_or_b32 exec_lo, exec_lo, s45
	v_cmp_lt_u32_e32 vcc_lo, s44, v79
	s_wait_dscnt 0x0
	s_barrier_signal -1
	s_barrier_wait -1
	s_and_b32 s46, s43, vcc_lo
	s_delay_alu instid0(SALU_CYCLE_1)
	s_and_saveexec_b32 s45, s46
	s_cbranch_execz .LBB129_541
; %bb.540:                              ;   in Loop: Header=BB129_537 Depth=2
	ds_load_b64 v[48:49], v46
	ds_load_b64 v[98:99], v84
	s_wait_dscnt 0x0
	v_fmac_f64_e32 v[0:1], v[48:49], v[98:99]
.LBB129_541:                            ;   in Loop: Header=BB129_537 Depth=2
	s_or_b32 exec_lo, exec_lo, s45
	s_or_b32 s45, s44, 1
	s_delay_alu instid0(SALU_CYCLE_1) | instskip(SKIP_3) | instid1(SALU_CYCLE_1)
	v_cmp_eq_u32_e32 vcc_lo, s45, v79
	s_barrier_signal -1
	s_barrier_wait -1
	s_and_b32 s47, s43, vcc_lo
	s_and_saveexec_b32 s46, s47
; %bb.542:                              ;   in Loop: Header=BB129_537 Depth=2
	ds_store_b64 v84, v[0:1]
; %bb.543:                              ;   in Loop: Header=BB129_537 Depth=2
	s_or_b32 exec_lo, exec_lo, s46
	v_cmp_lt_u32_e32 vcc_lo, s45, v79
	s_wait_dscnt 0x0
	s_barrier_signal -1
	s_barrier_wait -1
	s_and_b32 s46, s43, vcc_lo
	s_delay_alu instid0(SALU_CYCLE_1)
	s_and_saveexec_b32 s45, s46
	s_cbranch_execz .LBB129_545
; %bb.544:                              ;   in Loop: Header=BB129_537 Depth=2
	ds_load_b64 v[48:49], v46 offset:512
	ds_load_b64 v[98:99], v84
	s_wait_dscnt 0x0
	v_fmac_f64_e32 v[0:1], v[48:49], v[98:99]
.LBB129_545:                            ;   in Loop: Header=BB129_537 Depth=2
	s_or_b32 exec_lo, exec_lo, s45
	s_or_b32 s45, s44, 2
	s_delay_alu instid0(SALU_CYCLE_1) | instskip(SKIP_3) | instid1(SALU_CYCLE_1)
	v_cmp_eq_u32_e32 vcc_lo, s45, v79
	s_barrier_signal -1
	s_barrier_wait -1
	s_and_b32 s47, s43, vcc_lo
	s_and_saveexec_b32 s46, s47
; %bb.546:                              ;   in Loop: Header=BB129_537 Depth=2
	ds_store_b64 v84, v[0:1]
; %bb.547:                              ;   in Loop: Header=BB129_537 Depth=2
	s_or_b32 exec_lo, exec_lo, s46
	v_cmp_lt_u32_e32 vcc_lo, s45, v79
	s_wait_dscnt 0x0
	s_barrier_signal -1
	s_barrier_wait -1
	s_and_b32 s46, s43, vcc_lo
	s_delay_alu instid0(SALU_CYCLE_1)
	s_and_saveexec_b32 s45, s46
	s_cbranch_execz .LBB129_549
; %bb.548:                              ;   in Loop: Header=BB129_537 Depth=2
	ds_load_b64 v[48:49], v46 offset:1024
	ds_load_b64 v[98:99], v84
	s_wait_dscnt 0x0
	v_fmac_f64_e32 v[0:1], v[48:49], v[98:99]
.LBB129_549:                            ;   in Loop: Header=BB129_537 Depth=2
	s_or_b32 exec_lo, exec_lo, s45
	s_or_b32 s45, s44, 3
	s_delay_alu instid0(SALU_CYCLE_1) | instskip(SKIP_3) | instid1(SALU_CYCLE_1)
	v_cmp_eq_u32_e32 vcc_lo, s45, v79
	s_barrier_signal -1
	s_barrier_wait -1
	s_and_b32 s47, s43, vcc_lo
	s_and_saveexec_b32 s46, s47
; %bb.550:                              ;   in Loop: Header=BB129_537 Depth=2
	ds_store_b64 v84, v[0:1]
; %bb.551:                              ;   in Loop: Header=BB129_537 Depth=2
	s_or_b32 exec_lo, exec_lo, s46
	v_cmp_lt_u32_e32 vcc_lo, s45, v79
	s_wait_dscnt 0x0
	s_barrier_signal -1
	s_barrier_wait -1
	s_and_b32 s46, s43, vcc_lo
	s_delay_alu instid0(SALU_CYCLE_1)
	s_and_saveexec_b32 s45, s46
	s_cbranch_execz .LBB129_536
; %bb.552:                              ;   in Loop: Header=BB129_537 Depth=2
	ds_load_b64 v[48:49], v46 offset:1536
	ds_load_b64 v[98:99], v84
	s_wait_dscnt 0x0
	v_fmac_f64_e32 v[0:1], v[48:49], v[98:99]
	s_branch .LBB129_536
.LBB129_553:                            ;   in Loop: Header=BB129_3 Depth=1
	s_and_saveexec_b32 s44, s30
; %bb.554:                              ;   in Loop: Header=BB129_3 Depth=1
	s_delay_alu instid0(VALU_DEP_3)
	v_xor_b32_e32 v1, 0x80000000, v1
	ds_store_b64 v83, v[0:1] offset:256
; %bb.555:                              ;   in Loop: Header=BB129_3 Depth=1
	s_or_b32 exec_lo, exec_lo, s44
	s_wait_dscnt 0x0
	s_barrier_signal -1
	s_barrier_wait -1
	s_barrier_signal -1
	s_barrier_wait -1
	s_mov_b32 s44, exec_lo
	v_readlane_b32 s45, v103, 11
	s_and_b32 s45, s44, s45
	s_delay_alu instid0(SALU_CYCLE_1)
	s_mov_b32 exec_lo, s45
	s_cbranch_execz .LBB129_557
; %bb.556:                              ;   in Loop: Header=BB129_3 Depth=1
	ds_load_b64 v[0:1], v55 offset:256
	s_wait_dscnt 0x0
	ds_store_b64 v59, v[0:1] offset:16384
	ds_load_b64 v[0:1], v55 offset:264
	s_wait_dscnt 0x0
	ds_store_b64 v59, v[0:1] offset:16896
	;; [unrolled: 3-line block ×32, first 2 shown]
.LBB129_557:                            ;   in Loop: Header=BB129_3 Depth=1
	s_or_b32 exec_lo, exec_lo, s44
	s_wait_dscnt 0x0
	s_barrier_signal -1
	s_barrier_wait -1
	s_and_saveexec_b32 s44, s10
	s_cbranch_execz .LBB129_559
; %bb.558:                              ;   in Loop: Header=BB129_3 Depth=1
	ds_load_b64 v[0:1], v5 offset:16648
	v_mov_b32_e32 v2, v5
	ds_store_b64 v5, v[30:31] offset:16640
	s_wait_dscnt 0x1
	ds_store_b128 v5, v[0:3] offset:17152
.LBB129_559:                            ;   in Loop: Header=BB129_3 Depth=1
	s_or_b32 exec_lo, exec_lo, s44
	v_mov_b64_e32 v[0:1], 0
	s_wait_dscnt 0x0
	s_barrier_signal -1
	s_barrier_wait -1
	s_and_saveexec_b32 s44, s1
	s_cbranch_execz .LBB129_563
; %bb.560:                              ;   in Loop: Header=BB129_3 Depth=1
	ds_load_b64 v[0:1], v50 offset:16656
	ds_load_b64 v[46:47], v51 offset:16640
	s_wait_dscnt 0x0
	v_fma_f64 v[0:1], v[0:1], v[46:47], 0
	s_and_saveexec_b32 s45, s11
	s_cbranch_execz .LBB129_562
; %bb.561:                              ;   in Loop: Header=BB129_3 Depth=1
	ds_load_b64 v[46:47], v52 offset:17168
	ds_load_b64 v[48:49], v5 offset:16648
	s_wait_dscnt 0x0
	v_fmac_f64_e32 v[0:1], v[46:47], v[48:49]
.LBB129_562:                            ;   in Loop: Header=BB129_3 Depth=1
	s_or_b32 exec_lo, exec_lo, s45
	s_delay_alu instid0(VALU_DEP_1)
	v_xor_b32_e32 v1, 0x80000000, v1
.LBB129_563:                            ;   in Loop: Header=BB129_3 Depth=1
	s_or_b32 exec_lo, exec_lo, s44
	s_and_saveexec_b32 s44, s89
; %bb.564:                              ;   in Loop: Header=BB129_3 Depth=1
	ds_store_b64 v7, v[0:1]
; %bb.565:                              ;   in Loop: Header=BB129_3 Depth=1
	s_or_b32 exec_lo, exec_lo, s44
	s_wait_dscnt 0x0
	s_barrier_signal -1
	s_barrier_wait -1
	s_and_saveexec_b32 s44, s90
	s_cbranch_execz .LBB129_567
; %bb.566:                              ;   in Loop: Header=BB129_3 Depth=1
	ds_load_b64 v[46:47], v5 offset:17688
	ds_load_b64 v[48:49], v7
	s_wait_dscnt 0x0
	v_fmac_f64_e32 v[0:1], v[46:47], v[48:49]
.LBB129_567:                            ;   in Loop: Header=BB129_3 Depth=1
	s_or_b32 exec_lo, exec_lo, s44
	s_barrier_signal -1
	s_barrier_wait -1
	s_and_saveexec_b32 s44, s90
; %bb.568:                              ;   in Loop: Header=BB129_3 Depth=1
	ds_store_b64 v7, v[0:1]
; %bb.569:                              ;   in Loop: Header=BB129_3 Depth=1
	s_or_b32 exec_lo, exec_lo, s44
	s_wait_dscnt 0x0
	s_barrier_signal -1
	s_barrier_wait -1
	s_barrier_signal -1
	s_barrier_wait -1
	s_and_saveexec_b32 s44, s1
; %bb.570:                              ;   in Loop: Header=BB129_3 Depth=1
	v_xor_b32_e32 v1, 0x80000000, v1
	ds_store_b64 v50, v[0:1] offset:16656
; %bb.571:                              ;   in Loop: Header=BB129_3 Depth=1
	s_or_b32 exec_lo, exec_lo, s44
	s_wait_dscnt 0x0
	s_barrier_signal -1
	s_barrier_wait -1
	s_barrier_signal -1
	s_barrier_wait -1
	s_and_saveexec_b32 s44, s91
	s_cbranch_execz .LBB129_573
; %bb.572:                              ;   in Loop: Header=BB129_3 Depth=1
	ds_load_b64 v[0:1], v55 offset:16656
	s_wait_dscnt 0x0
	ds_store_b64 v52, v[0:1] offset:17664
	ds_load_b64 v[0:1], v55 offset:16664
	s_wait_dscnt 0x0
	ds_store_b64 v52, v[0:1] offset:18176
.LBB129_573:                            ;   in Loop: Header=BB129_3 Depth=1
	s_or_b32 exec_lo, exec_lo, s44
	s_wait_dscnt 0x0
	s_barrier_signal -1
	s_barrier_wait -1
	s_and_saveexec_b32 s44, s10
	s_cbranch_execz .LBB129_575
; %bb.574:                              ;   in Loop: Header=BB129_3 Depth=1
	ds_load_b64 v[0:1], v5 offset:17688
	v_mov_b32_e32 v2, v5
	ds_store_b64 v5, v[30:31] offset:17680
	s_wait_dscnt 0x1
	ds_store_b128 v5, v[0:3] offset:18192
.LBB129_575:                            ;   in Loop: Header=BB129_3 Depth=1
	s_or_b32 exec_lo, exec_lo, s44
	v_mov_b64_e32 v[0:1], 0
	s_wait_dscnt 0x0
	s_barrier_signal -1
	s_barrier_wait -1
	s_and_saveexec_b32 s44, s3
	s_cbranch_execz .LBB129_581
; %bb.576:                              ;   in Loop: Header=BB129_3 Depth=1
	ds_load_b64 v[0:1], v57 offset:16672
	ds_load_b64 v[46:47], v53 offset:16640
	s_wait_dscnt 0x0
	v_fma_f64 v[0:1], v[0:1], v[46:47], 0
	s_and_saveexec_b32 s45, s12
	s_cbranch_execnz .LBB129_1093
; %bb.577:                              ;   in Loop: Header=BB129_3 Depth=1
	s_or_b32 exec_lo, exec_lo, s45
	s_and_saveexec_b32 s45, s13
	s_cbranch_execnz .LBB129_1094
.LBB129_578:                            ;   in Loop: Header=BB129_3 Depth=1
	s_or_b32 exec_lo, exec_lo, s45
	s_and_saveexec_b32 s45, s1
	s_cbranch_execz .LBB129_580
.LBB129_579:                            ;   in Loop: Header=BB129_3 Depth=1
	ds_load_b64 v[46:47], v59 offset:18208
	ds_load_b64 v[48:49], v5 offset:16664
	s_wait_dscnt 0x0
	v_fmac_f64_e32 v[0:1], v[46:47], v[48:49]
.LBB129_580:                            ;   in Loop: Header=BB129_3 Depth=1
	s_or_b32 exec_lo, exec_lo, s45
	s_delay_alu instid0(VALU_DEP_1)
	v_xor_b32_e32 v1, 0x80000000, v1
.LBB129_581:                            ;   in Loop: Header=BB129_3 Depth=1
	s_or_b32 exec_lo, exec_lo, s44
	s_and_saveexec_b32 s44, s92
; %bb.582:                              ;   in Loop: Header=BB129_3 Depth=1
	ds_store_b64 v56, v[0:1]
; %bb.583:                              ;   in Loop: Header=BB129_3 Depth=1
	s_or_b32 exec_lo, exec_lo, s44
	s_wait_dscnt 0x0
	s_barrier_signal -1
	s_barrier_wait -1
	s_and_saveexec_b32 s44, s93
	s_cbranch_execz .LBB129_585
; %bb.584:                              ;   in Loop: Header=BB129_3 Depth=1
	ds_load_b64 v[46:47], v54 offset:18720
	ds_load_b64 v[48:49], v56
	s_wait_dscnt 0x0
	v_fmac_f64_e32 v[0:1], v[46:47], v[48:49]
.LBB129_585:                            ;   in Loop: Header=BB129_3 Depth=1
	s_or_b32 exec_lo, exec_lo, s44
	s_barrier_signal -1
	s_barrier_wait -1
	s_and_saveexec_b32 s44, s94
; %bb.586:                              ;   in Loop: Header=BB129_3 Depth=1
	ds_store_b64 v56, v[0:1]
; %bb.587:                              ;   in Loop: Header=BB129_3 Depth=1
	s_or_b32 exec_lo, exec_lo, s44
	s_wait_dscnt 0x0
	s_barrier_signal -1
	s_barrier_wait -1
	s_and_saveexec_b32 s44, s95
	s_cbranch_execz .LBB129_589
; %bb.588:                              ;   in Loop: Header=BB129_3 Depth=1
	ds_load_b64 v[46:47], v54 offset:19232
	ds_load_b64 v[48:49], v56
	s_wait_dscnt 0x0
	v_fmac_f64_e32 v[0:1], v[46:47], v[48:49]
.LBB129_589:                            ;   in Loop: Header=BB129_3 Depth=1
	s_or_b32 exec_lo, exec_lo, s44
	s_barrier_signal -1
	s_barrier_wait -1
	;; [unrolled: 19-line block ×3, first 2 shown]
	s_and_saveexec_b32 s44, s97
; %bb.594:                              ;   in Loop: Header=BB129_3 Depth=1
	ds_store_b64 v56, v[0:1]
; %bb.595:                              ;   in Loop: Header=BB129_3 Depth=1
	s_or_b32 exec_lo, exec_lo, s44
	s_wait_dscnt 0x0
	s_barrier_signal -1
	s_barrier_wait -1
	s_barrier_signal -1
	s_barrier_wait -1
	s_and_saveexec_b32 s44, s3
; %bb.596:                              ;   in Loop: Header=BB129_3 Depth=1
	v_xor_b32_e32 v1, 0x80000000, v1
	ds_store_b64 v57, v[0:1] offset:16672
; %bb.597:                              ;   in Loop: Header=BB129_3 Depth=1
	s_or_b32 exec_lo, exec_lo, s44
	s_wait_dscnt 0x0
	s_barrier_signal -1
	s_barrier_wait -1
	s_barrier_signal -1
	s_barrier_wait -1
	s_and_saveexec_b32 s44, s98
	s_cbranch_execz .LBB129_599
; %bb.598:                              ;   in Loop: Header=BB129_3 Depth=1
	ds_load_b64 v[0:1], v60 offset:16672
	s_wait_dscnt 0x0
	ds_store_b64 v62, v[0:1] offset:18688
	ds_load_b64 v[0:1], v60 offset:16680
	s_wait_dscnt 0x0
	ds_store_b64 v62, v[0:1] offset:19200
	;; [unrolled: 3-line block ×4, first 2 shown]
.LBB129_599:                            ;   in Loop: Header=BB129_3 Depth=1
	s_or_b32 exec_lo, exec_lo, s44
	s_wait_dscnt 0x0
	s_barrier_signal -1
	s_barrier_wait -1
	s_and_saveexec_b32 s44, s10
	s_cbranch_execz .LBB129_601
; %bb.600:                              ;   in Loop: Header=BB129_3 Depth=1
	ds_load_b64 v[0:1], v5 offset:18728
	v_mov_b32_e32 v2, v5
	ds_store_b64 v5, v[30:31] offset:18720
	s_wait_dscnt 0x1
	ds_store_b128 v5, v[0:3] offset:19232
.LBB129_601:                            ;   in Loop: Header=BB129_3 Depth=1
	s_or_b32 exec_lo, exec_lo, s44
	v_mov_b64_e32 v[0:1], 0
	s_wait_dscnt 0x0
	s_barrier_signal -1
	s_barrier_wait -1
	s_and_saveexec_b32 s44, s1
	s_cbranch_execz .LBB129_605
; %bb.602:                              ;   in Loop: Header=BB129_3 Depth=1
	ds_load_b64 v[0:1], v50 offset:18736
	ds_load_b64 v[46:47], v51 offset:18720
	s_wait_dscnt 0x0
	v_fma_f64 v[0:1], v[0:1], v[46:47], 0
	s_and_saveexec_b32 s45, s11
	s_cbranch_execz .LBB129_604
; %bb.603:                              ;   in Loop: Header=BB129_3 Depth=1
	ds_load_b64 v[46:47], v62 offset:19248
	ds_load_b64 v[48:49], v5 offset:18728
	s_wait_dscnt 0x0
	v_fmac_f64_e32 v[0:1], v[46:47], v[48:49]
.LBB129_604:                            ;   in Loop: Header=BB129_3 Depth=1
	s_or_b32 exec_lo, exec_lo, s45
	s_delay_alu instid0(VALU_DEP_1)
	v_xor_b32_e32 v1, 0x80000000, v1
.LBB129_605:                            ;   in Loop: Header=BB129_3 Depth=1
	s_or_b32 exec_lo, exec_lo, s44
	s_and_saveexec_b32 s44, s89
; %bb.606:                              ;   in Loop: Header=BB129_3 Depth=1
	ds_store_b64 v7, v[0:1]
; %bb.607:                              ;   in Loop: Header=BB129_3 Depth=1
	s_or_b32 exec_lo, exec_lo, s44
	s_wait_dscnt 0x0
	s_barrier_signal -1
	s_barrier_wait -1
	s_and_saveexec_b32 s44, s90
	s_cbranch_execz .LBB129_609
; %bb.608:                              ;   in Loop: Header=BB129_3 Depth=1
	ds_load_b64 v[46:47], v5 offset:19768
	ds_load_b64 v[48:49], v7
	s_wait_dscnt 0x0
	v_fmac_f64_e32 v[0:1], v[46:47], v[48:49]
.LBB129_609:                            ;   in Loop: Header=BB129_3 Depth=1
	s_or_b32 exec_lo, exec_lo, s44
	s_barrier_signal -1
	s_barrier_wait -1
	s_and_saveexec_b32 s44, s90
; %bb.610:                              ;   in Loop: Header=BB129_3 Depth=1
	ds_store_b64 v7, v[0:1]
; %bb.611:                              ;   in Loop: Header=BB129_3 Depth=1
	s_or_b32 exec_lo, exec_lo, s44
	s_wait_dscnt 0x0
	s_barrier_signal -1
	s_barrier_wait -1
	s_barrier_signal -1
	s_barrier_wait -1
	s_and_saveexec_b32 s44, s1
; %bb.612:                              ;   in Loop: Header=BB129_3 Depth=1
	v_xor_b32_e32 v1, 0x80000000, v1
	ds_store_b64 v50, v[0:1] offset:18736
; %bb.613:                              ;   in Loop: Header=BB129_3 Depth=1
	s_or_b32 exec_lo, exec_lo, s44
	s_wait_dscnt 0x0
	s_barrier_signal -1
	s_barrier_wait -1
	s_barrier_signal -1
	s_barrier_wait -1
	s_and_saveexec_b32 s44, s91
	s_cbranch_execz .LBB129_615
; %bb.614:                              ;   in Loop: Header=BB129_3 Depth=1
	ds_load_b64 v[0:1], v64 offset:18736
	s_wait_dscnt 0x0
	ds_store_b64 v62, v[0:1] offset:19744
	ds_load_b64 v[0:1], v64 offset:18744
	s_wait_dscnt 0x0
	ds_store_b64 v62, v[0:1] offset:20256
.LBB129_615:                            ;   in Loop: Header=BB129_3 Depth=1
	s_or_b32 exec_lo, exec_lo, s44
	s_wait_dscnt 0x0
	s_barrier_signal -1
	s_barrier_wait -1
	s_and_saveexec_b32 s44, s10
	s_cbranch_execz .LBB129_617
; %bb.616:                              ;   in Loop: Header=BB129_3 Depth=1
	ds_load_b64 v[0:1], v5 offset:19768
	v_mov_b32_e32 v2, v5
	ds_store_b64 v5, v[30:31] offset:19760
	s_wait_dscnt 0x1
	ds_store_b128 v5, v[0:3] offset:20272
.LBB129_617:                            ;   in Loop: Header=BB129_3 Depth=1
	s_or_b32 exec_lo, exec_lo, s44
	v_mov_b64_e32 v[0:1], 0
	s_wait_dscnt 0x0
	s_barrier_signal -1
	s_barrier_wait -1
	s_and_saveexec_b32 s44, s4
	s_cbranch_execz .LBB129_627
; %bb.618:                              ;   in Loop: Header=BB129_3 Depth=1
	ds_load_b64 v[0:1], v66 offset:16704
	ds_load_b64 v[46:47], v61 offset:16640
	s_wait_dscnt 0x0
	v_fma_f64 v[0:1], v[0:1], v[46:47], 0
	s_and_saveexec_b32 s45, s14
	s_cbranch_execnz .LBB129_1095
; %bb.619:                              ;   in Loop: Header=BB129_3 Depth=1
	s_or_b32 exec_lo, exec_lo, s45
	s_and_saveexec_b32 s45, s15
	s_cbranch_execnz .LBB129_1096
.LBB129_620:                            ;   in Loop: Header=BB129_3 Depth=1
	s_or_b32 exec_lo, exec_lo, s45
	s_and_saveexec_b32 s45, s16
	s_cbranch_execnz .LBB129_1097
.LBB129_621:                            ;   in Loop: Header=BB129_3 Depth=1
	s_or_b32 exec_lo, exec_lo, s45
	s_and_saveexec_b32 s45, s17
	s_cbranch_execnz .LBB129_1098
.LBB129_622:                            ;   in Loop: Header=BB129_3 Depth=1
	s_or_b32 exec_lo, exec_lo, s45
	s_and_saveexec_b32 s45, s18
	s_cbranch_execnz .LBB129_1099
.LBB129_623:                            ;   in Loop: Header=BB129_3 Depth=1
	s_or_b32 exec_lo, exec_lo, s45
	s_and_saveexec_b32 s45, s3
	s_cbranch_execnz .LBB129_1100
.LBB129_624:                            ;   in Loop: Header=BB129_3 Depth=1
	s_or_b32 exec_lo, exec_lo, s45
	s_and_saveexec_b32 s45, s13
	s_cbranch_execz .LBB129_626
.LBB129_625:                            ;   in Loop: Header=BB129_3 Depth=1
	ds_load_b64 v[46:47], v68 offset:20288
	ds_load_b64 v[48:49], v5 offset:16696
	s_wait_dscnt 0x0
	v_fmac_f64_e32 v[0:1], v[46:47], v[48:49]
.LBB129_626:                            ;   in Loop: Header=BB129_3 Depth=1
	s_or_b32 exec_lo, exec_lo, s45
	s_delay_alu instid0(VALU_DEP_1)
	v_xor_b32_e32 v1, 0x80000000, v1
.LBB129_627:                            ;   in Loop: Header=BB129_3 Depth=1
	s_or_b32 exec_lo, exec_lo, s44
	s_and_saveexec_b32 s44, s99
; %bb.628:                              ;   in Loop: Header=BB129_3 Depth=1
	ds_store_b64 v65, v[0:1]
; %bb.629:                              ;   in Loop: Header=BB129_3 Depth=1
	s_or_b32 exec_lo, exec_lo, s44
	s_wait_dscnt 0x0
	s_barrier_signal -1
	s_barrier_wait -1
	s_and_saveexec_b32 s44, s100
	s_cbranch_execz .LBB129_631
; %bb.630:                              ;   in Loop: Header=BB129_3 Depth=1
	ds_load_b64 v[46:47], v63 offset:20800
	ds_load_b64 v[48:49], v65
	s_wait_dscnt 0x0
	v_fmac_f64_e32 v[0:1], v[46:47], v[48:49]
.LBB129_631:                            ;   in Loop: Header=BB129_3 Depth=1
	s_or_b32 exec_lo, exec_lo, s44
	s_barrier_signal -1
	s_barrier_wait -1
	s_and_saveexec_b32 s44, s101
; %bb.632:                              ;   in Loop: Header=BB129_3 Depth=1
	ds_store_b64 v65, v[0:1]
; %bb.633:                              ;   in Loop: Header=BB129_3 Depth=1
	s_or_b32 exec_lo, exec_lo, s44
	s_wait_dscnt 0x0
	s_barrier_signal -1
	s_barrier_wait -1
	s_and_saveexec_b32 s44, s102
	s_cbranch_execz .LBB129_635
; %bb.634:                              ;   in Loop: Header=BB129_3 Depth=1
	ds_load_b64 v[46:47], v63 offset:21312
	ds_load_b64 v[48:49], v65
	s_wait_dscnt 0x0
	v_fmac_f64_e32 v[0:1], v[46:47], v[48:49]
.LBB129_635:                            ;   in Loop: Header=BB129_3 Depth=1
	s_or_b32 exec_lo, exec_lo, s44
	s_barrier_signal -1
	s_barrier_wait -1
	s_and_saveexec_b32 s44, s103
; %bb.636:                              ;   in Loop: Header=BB129_3 Depth=1
	ds_store_b64 v65, v[0:1]
; %bb.637:                              ;   in Loop: Header=BB129_3 Depth=1
	s_or_b32 exec_lo, exec_lo, s44
	s_wait_dscnt 0x0
	s_barrier_signal -1
	s_barrier_wait -1
	s_and_saveexec_b32 s44, s104
	s_cbranch_execz .LBB129_639
; %bb.638:                              ;   in Loop: Header=BB129_3 Depth=1
	ds_load_b64 v[46:47], v63 offset:21824
	ds_load_b64 v[48:49], v65
	s_wait_dscnt 0x0
	v_fmac_f64_e32 v[0:1], v[46:47], v[48:49]
.LBB129_639:                            ;   in Loop: Header=BB129_3 Depth=1
	s_or_b32 exec_lo, exec_lo, s44
	s_barrier_signal -1
	s_barrier_wait -1
	s_and_saveexec_b32 s44, vcc_hi
; %bb.640:                              ;   in Loop: Header=BB129_3 Depth=1
	ds_store_b64 v65, v[0:1]
; %bb.641:                              ;   in Loop: Header=BB129_3 Depth=1
	s_or_b32 exec_lo, exec_lo, s44
	s_wait_dscnt 0x0
	s_barrier_signal -1
	s_barrier_wait -1
	s_and_saveexec_b32 s44, s31
	s_cbranch_execz .LBB129_643
; %bb.642:                              ;   in Loop: Header=BB129_3 Depth=1
	ds_load_b64 v[46:47], v63 offset:22336
	ds_load_b64 v[48:49], v65
	s_wait_dscnt 0x0
	v_fmac_f64_e32 v[0:1], v[46:47], v[48:49]
.LBB129_643:                            ;   in Loop: Header=BB129_3 Depth=1
	s_or_b32 exec_lo, exec_lo, s44
	s_barrier_signal -1
	s_barrier_wait -1
	s_and_saveexec_b32 s44, s33
; %bb.644:                              ;   in Loop: Header=BB129_3 Depth=1
	ds_store_b64 v65, v[0:1]
; %bb.645:                              ;   in Loop: Header=BB129_3 Depth=1
	s_or_b32 exec_lo, exec_lo, s44
	s_wait_dscnt 0x0
	s_barrier_signal -1
	s_barrier_wait -1
	s_and_saveexec_b32 s44, s34
	s_cbranch_execz .LBB129_647
; %bb.646:                              ;   in Loop: Header=BB129_3 Depth=1
	ds_load_b64 v[46:47], v63 offset:22848
	ds_load_b64 v[48:49], v65
	s_wait_dscnt 0x0
	v_fmac_f64_e32 v[0:1], v[46:47], v[48:49]
.LBB129_647:                            ;   in Loop: Header=BB129_3 Depth=1
	s_or_b32 exec_lo, exec_lo, s44
	s_barrier_signal -1
	s_barrier_wait -1
	s_and_saveexec_b32 s44, s35
	;; [unrolled: 19-line block ×4, first 2 shown]
; %bb.656:                              ;   in Loop: Header=BB129_3 Depth=1
	ds_store_b64 v65, v[0:1]
; %bb.657:                              ;   in Loop: Header=BB129_3 Depth=1
	s_or_b32 exec_lo, exec_lo, s44
	s_wait_dscnt 0x0
	s_barrier_signal -1
	s_barrier_wait -1
	s_barrier_signal -1
	s_barrier_wait -1
	s_and_saveexec_b32 s44, s4
; %bb.658:                              ;   in Loop: Header=BB129_3 Depth=1
	v_xor_b32_e32 v1, 0x80000000, v1
	ds_store_b64 v66, v[0:1] offset:16704
; %bb.659:                              ;   in Loop: Header=BB129_3 Depth=1
	s_or_b32 exec_lo, exec_lo, s44
	s_wait_dscnt 0x0
	s_barrier_signal -1
	s_barrier_wait -1
	s_barrier_signal -1
	s_barrier_wait -1
	s_and_saveexec_b32 s44, s39
	s_cbranch_execz .LBB129_661
; %bb.660:                              ;   in Loop: Header=BB129_3 Depth=1
	ds_load_b64 v[0:1], v69 offset:16704
	s_wait_dscnt 0x0
	ds_store_b64 v70, v[0:1] offset:20736
	ds_load_b64 v[0:1], v69 offset:16712
	s_wait_dscnt 0x0
	ds_store_b64 v70, v[0:1] offset:21248
	;; [unrolled: 3-line block ×8, first 2 shown]
.LBB129_661:                            ;   in Loop: Header=BB129_3 Depth=1
	s_or_b32 exec_lo, exec_lo, s44
	s_wait_dscnt 0x0
	s_barrier_signal -1
	s_barrier_wait -1
	s_and_saveexec_b32 s44, s10
	s_cbranch_execz .LBB129_663
; %bb.662:                              ;   in Loop: Header=BB129_3 Depth=1
	ds_load_b64 v[0:1], v5 offset:20808
	v_mov_b32_e32 v2, v5
	ds_store_b64 v5, v[30:31] offset:20800
	s_wait_dscnt 0x1
	ds_store_b128 v5, v[0:3] offset:21312
.LBB129_663:                            ;   in Loop: Header=BB129_3 Depth=1
	s_or_b32 exec_lo, exec_lo, s44
	v_mov_b64_e32 v[0:1], 0
	s_wait_dscnt 0x0
	s_barrier_signal -1
	s_barrier_wait -1
	s_and_saveexec_b32 s44, s1
	s_cbranch_execz .LBB129_667
; %bb.664:                              ;   in Loop: Header=BB129_3 Depth=1
	ds_load_b64 v[0:1], v50 offset:20816
	ds_load_b64 v[46:47], v51 offset:20800
	s_wait_dscnt 0x0
	v_fma_f64 v[0:1], v[0:1], v[46:47], 0
	s_and_saveexec_b32 s45, s11
	s_cbranch_execz .LBB129_666
; %bb.665:                              ;   in Loop: Header=BB129_3 Depth=1
	ds_load_b64 v[46:47], v70 offset:21328
	ds_load_b64 v[48:49], v5 offset:20808
	s_wait_dscnt 0x0
	v_fmac_f64_e32 v[0:1], v[46:47], v[48:49]
.LBB129_666:                            ;   in Loop: Header=BB129_3 Depth=1
	s_or_b32 exec_lo, exec_lo, s45
	s_delay_alu instid0(VALU_DEP_1)
	v_xor_b32_e32 v1, 0x80000000, v1
.LBB129_667:                            ;   in Loop: Header=BB129_3 Depth=1
	s_or_b32 exec_lo, exec_lo, s44
	s_and_saveexec_b32 s44, s89
; %bb.668:                              ;   in Loop: Header=BB129_3 Depth=1
	ds_store_b64 v7, v[0:1]
; %bb.669:                              ;   in Loop: Header=BB129_3 Depth=1
	s_or_b32 exec_lo, exec_lo, s44
	s_wait_dscnt 0x0
	s_barrier_signal -1
	s_barrier_wait -1
	s_and_saveexec_b32 s44, s90
	s_cbranch_execz .LBB129_671
; %bb.670:                              ;   in Loop: Header=BB129_3 Depth=1
	ds_load_b64 v[46:47], v5 offset:21848
	ds_load_b64 v[48:49], v7
	s_wait_dscnt 0x0
	v_fmac_f64_e32 v[0:1], v[46:47], v[48:49]
.LBB129_671:                            ;   in Loop: Header=BB129_3 Depth=1
	s_or_b32 exec_lo, exec_lo, s44
	s_barrier_signal -1
	s_barrier_wait -1
	s_and_saveexec_b32 s44, s90
; %bb.672:                              ;   in Loop: Header=BB129_3 Depth=1
	ds_store_b64 v7, v[0:1]
; %bb.673:                              ;   in Loop: Header=BB129_3 Depth=1
	s_or_b32 exec_lo, exec_lo, s44
	s_wait_dscnt 0x0
	s_barrier_signal -1
	s_barrier_wait -1
	s_barrier_signal -1
	s_barrier_wait -1
	s_and_saveexec_b32 s44, s1
; %bb.674:                              ;   in Loop: Header=BB129_3 Depth=1
	v_xor_b32_e32 v1, 0x80000000, v1
	ds_store_b64 v50, v[0:1] offset:20816
; %bb.675:                              ;   in Loop: Header=BB129_3 Depth=1
	s_or_b32 exec_lo, exec_lo, s44
	s_wait_dscnt 0x0
	s_barrier_signal -1
	s_barrier_wait -1
	s_barrier_signal -1
	s_barrier_wait -1
	s_and_saveexec_b32 s44, s91
	s_cbranch_execz .LBB129_677
; %bb.676:                              ;   in Loop: Header=BB129_3 Depth=1
	ds_load_b64 v[0:1], v71 offset:20816
	s_wait_dscnt 0x0
	ds_store_b64 v70, v[0:1] offset:21824
	ds_load_b64 v[0:1], v71 offset:20824
	s_wait_dscnt 0x0
	ds_store_b64 v70, v[0:1] offset:22336
.LBB129_677:                            ;   in Loop: Header=BB129_3 Depth=1
	s_or_b32 exec_lo, exec_lo, s44
	s_wait_dscnt 0x0
	s_barrier_signal -1
	s_barrier_wait -1
	s_and_saveexec_b32 s44, s10
	s_cbranch_execz .LBB129_679
; %bb.678:                              ;   in Loop: Header=BB129_3 Depth=1
	ds_load_b64 v[0:1], v5 offset:21848
	v_mov_b32_e32 v2, v5
	ds_store_b64 v5, v[30:31] offset:21840
	s_wait_dscnt 0x1
	ds_store_b128 v5, v[0:3] offset:22352
.LBB129_679:                            ;   in Loop: Header=BB129_3 Depth=1
	s_or_b32 exec_lo, exec_lo, s44
	v_mov_b64_e32 v[0:1], 0
	s_wait_dscnt 0x0
	s_barrier_signal -1
	s_barrier_wait -1
	s_and_saveexec_b32 s44, s3
	s_cbranch_execz .LBB129_685
; %bb.680:                              ;   in Loop: Header=BB129_3 Depth=1
	ds_load_b64 v[0:1], v57 offset:20832
	ds_load_b64 v[46:47], v53 offset:20800
	s_wait_dscnt 0x0
	v_fma_f64 v[0:1], v[0:1], v[46:47], 0
	s_and_saveexec_b32 s45, s12
	s_cbranch_execnz .LBB129_1101
; %bb.681:                              ;   in Loop: Header=BB129_3 Depth=1
	s_or_b32 exec_lo, exec_lo, s45
	s_and_saveexec_b32 s45, s13
	s_cbranch_execnz .LBB129_1102
.LBB129_682:                            ;   in Loop: Header=BB129_3 Depth=1
	s_or_b32 exec_lo, exec_lo, s45
	s_and_saveexec_b32 s45, s1
	s_cbranch_execz .LBB129_684
.LBB129_683:                            ;   in Loop: Header=BB129_3 Depth=1
	ds_load_b64 v[46:47], v72 offset:22368
	ds_load_b64 v[48:49], v5 offset:20824
	s_wait_dscnt 0x0
	v_fmac_f64_e32 v[0:1], v[46:47], v[48:49]
.LBB129_684:                            ;   in Loop: Header=BB129_3 Depth=1
	s_or_b32 exec_lo, exec_lo, s45
	s_delay_alu instid0(VALU_DEP_1)
	v_xor_b32_e32 v1, 0x80000000, v1
.LBB129_685:                            ;   in Loop: Header=BB129_3 Depth=1
	s_or_b32 exec_lo, exec_lo, s44
	s_and_saveexec_b32 s44, s92
; %bb.686:                              ;   in Loop: Header=BB129_3 Depth=1
	ds_store_b64 v56, v[0:1]
; %bb.687:                              ;   in Loop: Header=BB129_3 Depth=1
	s_or_b32 exec_lo, exec_lo, s44
	s_wait_dscnt 0x0
	s_barrier_signal -1
	s_barrier_wait -1
	s_and_saveexec_b32 s44, s93
	s_cbranch_execz .LBB129_689
; %bb.688:                              ;   in Loop: Header=BB129_3 Depth=1
	ds_load_b64 v[46:47], v54 offset:22880
	ds_load_b64 v[48:49], v56
	s_wait_dscnt 0x0
	v_fmac_f64_e32 v[0:1], v[46:47], v[48:49]
.LBB129_689:                            ;   in Loop: Header=BB129_3 Depth=1
	s_or_b32 exec_lo, exec_lo, s44
	s_barrier_signal -1
	s_barrier_wait -1
	s_and_saveexec_b32 s44, s94
; %bb.690:                              ;   in Loop: Header=BB129_3 Depth=1
	ds_store_b64 v56, v[0:1]
; %bb.691:                              ;   in Loop: Header=BB129_3 Depth=1
	s_or_b32 exec_lo, exec_lo, s44
	s_wait_dscnt 0x0
	s_barrier_signal -1
	s_barrier_wait -1
	s_and_saveexec_b32 s44, s95
	s_cbranch_execz .LBB129_693
; %bb.692:                              ;   in Loop: Header=BB129_3 Depth=1
	ds_load_b64 v[46:47], v54 offset:23392
	ds_load_b64 v[48:49], v56
	s_wait_dscnt 0x0
	v_fmac_f64_e32 v[0:1], v[46:47], v[48:49]
.LBB129_693:                            ;   in Loop: Header=BB129_3 Depth=1
	s_or_b32 exec_lo, exec_lo, s44
	s_barrier_signal -1
	s_barrier_wait -1
	;; [unrolled: 19-line block ×3, first 2 shown]
	s_and_saveexec_b32 s44, s97
; %bb.698:                              ;   in Loop: Header=BB129_3 Depth=1
	ds_store_b64 v56, v[0:1]
; %bb.699:                              ;   in Loop: Header=BB129_3 Depth=1
	s_or_b32 exec_lo, exec_lo, s44
	s_wait_dscnt 0x0
	s_barrier_signal -1
	s_barrier_wait -1
	s_barrier_signal -1
	s_barrier_wait -1
	s_and_saveexec_b32 s44, s3
; %bb.700:                              ;   in Loop: Header=BB129_3 Depth=1
	v_xor_b32_e32 v1, 0x80000000, v1
	ds_store_b64 v57, v[0:1] offset:20832
; %bb.701:                              ;   in Loop: Header=BB129_3 Depth=1
	s_or_b32 exec_lo, exec_lo, s44
	s_wait_dscnt 0x0
	s_barrier_signal -1
	s_barrier_wait -1
	s_barrier_signal -1
	s_barrier_wait -1
	s_and_saveexec_b32 s44, s98
	s_cbranch_execz .LBB129_703
; %bb.702:                              ;   in Loop: Header=BB129_3 Depth=1
	ds_load_b64 v[0:1], v75 offset:20832
	s_wait_dscnt 0x0
	ds_store_b64 v11, v[0:1] offset:22848
	ds_load_b64 v[0:1], v75 offset:20840
	s_wait_dscnt 0x0
	ds_store_b64 v11, v[0:1] offset:23360
	;; [unrolled: 3-line block ×4, first 2 shown]
.LBB129_703:                            ;   in Loop: Header=BB129_3 Depth=1
	s_or_b32 exec_lo, exec_lo, s44
	s_wait_dscnt 0x0
	s_barrier_signal -1
	s_barrier_wait -1
	s_and_saveexec_b32 s44, s10
	s_cbranch_execz .LBB129_705
; %bb.704:                              ;   in Loop: Header=BB129_3 Depth=1
	ds_load_b64 v[0:1], v5 offset:22888
	v_mov_b32_e32 v2, v5
	ds_store_b64 v5, v[30:31] offset:22880
	s_wait_dscnt 0x1
	ds_store_b128 v5, v[0:3] offset:23392
.LBB129_705:                            ;   in Loop: Header=BB129_3 Depth=1
	s_or_b32 exec_lo, exec_lo, s44
	v_mov_b64_e32 v[0:1], 0
	s_wait_dscnt 0x0
	s_barrier_signal -1
	s_barrier_wait -1
	s_and_saveexec_b32 s44, s1
	s_cbranch_execz .LBB129_709
; %bb.706:                              ;   in Loop: Header=BB129_3 Depth=1
	ds_load_b64 v[0:1], v50 offset:22896
	ds_load_b64 v[46:47], v51 offset:22880
	s_wait_dscnt 0x0
	v_fma_f64 v[0:1], v[0:1], v[46:47], 0
	s_and_saveexec_b32 s45, s11
	s_cbranch_execz .LBB129_708
; %bb.707:                              ;   in Loop: Header=BB129_3 Depth=1
	ds_load_b64 v[46:47], v11 offset:23408
	ds_load_b64 v[48:49], v5 offset:22888
	s_wait_dscnt 0x0
	v_fmac_f64_e32 v[0:1], v[46:47], v[48:49]
.LBB129_708:                            ;   in Loop: Header=BB129_3 Depth=1
	s_or_b32 exec_lo, exec_lo, s45
	s_delay_alu instid0(VALU_DEP_1)
	v_xor_b32_e32 v1, 0x80000000, v1
.LBB129_709:                            ;   in Loop: Header=BB129_3 Depth=1
	s_or_b32 exec_lo, exec_lo, s44
	s_and_saveexec_b32 s44, s89
; %bb.710:                              ;   in Loop: Header=BB129_3 Depth=1
	ds_store_b64 v7, v[0:1]
; %bb.711:                              ;   in Loop: Header=BB129_3 Depth=1
	s_or_b32 exec_lo, exec_lo, s44
	s_wait_dscnt 0x0
	s_barrier_signal -1
	s_barrier_wait -1
	s_and_saveexec_b32 s44, s90
	s_cbranch_execz .LBB129_713
; %bb.712:                              ;   in Loop: Header=BB129_3 Depth=1
	ds_load_b64 v[46:47], v5 offset:23928
	ds_load_b64 v[48:49], v7
	s_wait_dscnt 0x0
	v_fmac_f64_e32 v[0:1], v[46:47], v[48:49]
.LBB129_713:                            ;   in Loop: Header=BB129_3 Depth=1
	s_or_b32 exec_lo, exec_lo, s44
	s_barrier_signal -1
	s_barrier_wait -1
	s_and_saveexec_b32 s44, s90
; %bb.714:                              ;   in Loop: Header=BB129_3 Depth=1
	ds_store_b64 v7, v[0:1]
; %bb.715:                              ;   in Loop: Header=BB129_3 Depth=1
	s_or_b32 exec_lo, exec_lo, s44
	s_wait_dscnt 0x0
	s_barrier_signal -1
	s_barrier_wait -1
	s_barrier_signal -1
	s_barrier_wait -1
	s_and_saveexec_b32 s44, s1
; %bb.716:                              ;   in Loop: Header=BB129_3 Depth=1
	v_xor_b32_e32 v1, 0x80000000, v1
	ds_store_b64 v50, v[0:1] offset:22896
; %bb.717:                              ;   in Loop: Header=BB129_3 Depth=1
	s_or_b32 exec_lo, exec_lo, s44
	s_wait_dscnt 0x0
	s_barrier_signal -1
	s_barrier_wait -1
	s_barrier_signal -1
	s_barrier_wait -1
	s_and_saveexec_b32 s44, s91
	s_cbranch_execz .LBB129_719
; %bb.718:                              ;   in Loop: Header=BB129_3 Depth=1
	ds_load_b64 v[0:1], v81 offset:22896
	s_wait_dscnt 0x0
	ds_store_b64 v11, v[0:1] offset:23904
	ds_load_b64 v[0:1], v81 offset:22904
	s_wait_dscnt 0x0
	ds_store_b64 v11, v[0:1] offset:24416
.LBB129_719:                            ;   in Loop: Header=BB129_3 Depth=1
	s_or_b32 exec_lo, exec_lo, s44
	s_wait_dscnt 0x0
	s_barrier_signal -1
	s_barrier_wait -1
	s_and_saveexec_b32 s44, s10
	s_cbranch_execz .LBB129_721
; %bb.720:                              ;   in Loop: Header=BB129_3 Depth=1
	ds_load_b64 v[0:1], v5 offset:23928
	v_mov_b32_e32 v2, v5
	ds_store_b64 v5, v[30:31] offset:23920
	s_wait_dscnt 0x1
	ds_store_b128 v5, v[0:3] offset:24432
.LBB129_721:                            ;   in Loop: Header=BB129_3 Depth=1
	s_or_b32 exec_lo, exec_lo, s44
	v_mov_b64_e32 v[0:1], 0
	s_wait_dscnt 0x0
	s_barrier_signal -1
	s_barrier_wait -1
	s_and_saveexec_b32 s82, s5
	s_cbranch_execz .LBB129_749
; %bb.722:                              ;   in Loop: Header=BB129_3 Depth=1
	ds_load_b64 v[0:1], v77 offset:16768
	ds_load_b64 v[46:47], v73 offset:16640
	s_wait_dscnt 0x0
	v_fma_f64 v[0:1], v[0:1], v[46:47], 0
	s_mov_b32 s44, exec_lo
	v_readlane_b32 s45, v103, 21
	s_and_b32 s45, s44, s45
	s_delay_alu instid0(SALU_CYCLE_1)
	s_mov_b32 exec_lo, s45
	s_cbranch_execz .LBB129_724
; %bb.723:                              ;   in Loop: Header=BB129_3 Depth=1
	ds_load_b64 v[46:47], v78 offset:17280
	ds_load_b64 v[48:49], v73 offset:16648
	s_wait_dscnt 0x0
	v_fmac_f64_e32 v[0:1], v[46:47], v[48:49]
.LBB129_724:                            ;   in Loop: Header=BB129_3 Depth=1
	s_or_b32 exec_lo, exec_lo, s44
	s_delay_alu instid0(SALU_CYCLE_1) | instskip(SKIP_2) | instid1(SALU_CYCLE_1)
	s_mov_b32 s44, exec_lo
	v_readlane_b32 s45, v103, 22
	s_and_b32 s45, s44, s45
	s_mov_b32 exec_lo, s45
	s_cbranch_execz .LBB129_726
; %bb.725:                              ;   in Loop: Header=BB129_3 Depth=1
	ds_load_b64 v[46:47], v78 offset:17792
	ds_load_b64 v[48:49], v73 offset:16656
	s_wait_dscnt 0x0
	v_fmac_f64_e32 v[0:1], v[46:47], v[48:49]
.LBB129_726:                            ;   in Loop: Header=BB129_3 Depth=1
	s_or_b32 exec_lo, exec_lo, s44
	s_delay_alu instid0(SALU_CYCLE_1) | instskip(SKIP_2) | instid1(SALU_CYCLE_1)
	s_mov_b32 s44, exec_lo
	v_readlane_b32 s45, v103, 23
	s_and_b32 s45, s44, s45
	;; [unrolled: 13-line block ×10, first 2 shown]
	s_mov_b32 exec_lo, s45
	s_cbranch_execnz .LBB129_1103
; %bb.743:                              ;   in Loop: Header=BB129_3 Depth=1
	s_or_b32 exec_lo, exec_lo, s44
	s_and_saveexec_b32 s44, s4
	s_cbranch_execnz .LBB129_1104
.LBB129_744:                            ;   in Loop: Header=BB129_3 Depth=1
	s_or_b32 exec_lo, exec_lo, s44
	s_and_saveexec_b32 s44, s15
	s_cbranch_execnz .LBB129_1105
.LBB129_745:                            ;   in Loop: Header=BB129_3 Depth=1
	s_or_b32 exec_lo, exec_lo, s44
	s_and_saveexec_b32 s44, s17
	s_cbranch_execnz .LBB129_1106
.LBB129_746:                            ;   in Loop: Header=BB129_3 Depth=1
	s_or_b32 exec_lo, exec_lo, s44
	s_and_saveexec_b32 s44, s3
	s_cbranch_execz .LBB129_748
.LBB129_747:                            ;   in Loop: Header=BB129_3 Depth=1
	ds_load_b64 v[46:47], v52 offset:24448
	ds_load_b64 v[48:49], v5 offset:16760
	s_wait_dscnt 0x0
	v_fmac_f64_e32 v[0:1], v[46:47], v[48:49]
.LBB129_748:                            ;   in Loop: Header=BB129_3 Depth=1
	s_or_b32 exec_lo, exec_lo, s44
	s_delay_alu instid0(VALU_DEP_1)
	v_xor_b32_e32 v1, 0x80000000, v1
.LBB129_749:                            ;   in Loop: Header=BB129_3 Depth=1
	s_or_b32 exec_lo, exec_lo, s82
	s_delay_alu instid0(SALU_CYCLE_1) | instskip(SKIP_2) | instid1(SALU_CYCLE_1)
	s_mov_b32 s44, exec_lo
	v_readlane_b32 s45, v103, 2
	s_and_b32 s45, s44, s45
	s_mov_b32 exec_lo, s45
; %bb.750:                              ;   in Loop: Header=BB129_3 Depth=1
	ds_store_b64 v76, v[0:1]
; %bb.751:                              ;   in Loop: Header=BB129_3 Depth=1
	s_or_b32 exec_lo, exec_lo, s44
	s_wait_dscnt 0x0
	s_barrier_signal -1
	s_barrier_wait -1
	s_mov_b32 s44, exec_lo
	v_readlane_b32 s45, v103, 3
	s_and_b32 s45, s44, s45
	s_delay_alu instid0(SALU_CYCLE_1)
	s_mov_b32 exec_lo, s45
	s_cbranch_execz .LBB129_753
; %bb.752:                              ;   in Loop: Header=BB129_3 Depth=1
	ds_load_b64 v[46:47], v74 offset:24960
	ds_load_b64 v[48:49], v76
	s_wait_dscnt 0x0
	v_fmac_f64_e32 v[0:1], v[46:47], v[48:49]
.LBB129_753:                            ;   in Loop: Header=BB129_3 Depth=1
	s_or_b32 exec_lo, exec_lo, s44
	s_barrier_signal -1
	s_barrier_wait -1
	s_mov_b32 s44, exec_lo
	v_readlane_b32 s45, v103, 4
	s_and_b32 s45, s44, s45
	s_delay_alu instid0(SALU_CYCLE_1)
	s_mov_b32 exec_lo, s45
; %bb.754:                              ;   in Loop: Header=BB129_3 Depth=1
	ds_store_b64 v76, v[0:1]
; %bb.755:                              ;   in Loop: Header=BB129_3 Depth=1
	s_or_b32 exec_lo, exec_lo, s44
	s_wait_dscnt 0x0
	s_barrier_signal -1
	s_barrier_wait -1
	s_mov_b32 s44, exec_lo
	v_readlane_b32 s45, v103, 5
	s_and_b32 s45, s44, s45
	s_delay_alu instid0(SALU_CYCLE_1)
	s_mov_b32 exec_lo, s45
	s_cbranch_execz .LBB129_757
; %bb.756:                              ;   in Loop: Header=BB129_3 Depth=1
	ds_load_b64 v[46:47], v74 offset:25472
	ds_load_b64 v[48:49], v76
	s_wait_dscnt 0x0
	v_fmac_f64_e32 v[0:1], v[46:47], v[48:49]
.LBB129_757:                            ;   in Loop: Header=BB129_3 Depth=1
	s_or_b32 exec_lo, exec_lo, s44
	s_barrier_signal -1
	s_barrier_wait -1
	s_mov_b32 s44, exec_lo
	v_readlane_b32 s45, v103, 6
	s_and_b32 s45, s44, s45
	s_delay_alu instid0(SALU_CYCLE_1)
	;; [unrolled: 27-line block ×4, first 2 shown]
	s_mov_b32 exec_lo, s45
; %bb.766:                              ;   in Loop: Header=BB129_3 Depth=1
	ds_store_b64 v76, v[0:1]
; %bb.767:                              ;   in Loop: Header=BB129_3 Depth=1
	s_or_b32 exec_lo, exec_lo, s44
	s_wait_dscnt 0x0
	s_barrier_signal -1
	s_barrier_wait -1
	s_and_saveexec_b32 s44, s49
	s_cbranch_execz .LBB129_769
; %bb.768:                              ;   in Loop: Header=BB129_3 Depth=1
	ds_load_b64 v[46:47], v74 offset:27008
	ds_load_b64 v[48:49], v76
	s_wait_dscnt 0x0
	v_fmac_f64_e32 v[0:1], v[46:47], v[48:49]
.LBB129_769:                            ;   in Loop: Header=BB129_3 Depth=1
	s_or_b32 exec_lo, exec_lo, s44
	s_barrier_signal -1
	s_barrier_wait -1
	s_and_saveexec_b32 s44, s50
; %bb.770:                              ;   in Loop: Header=BB129_3 Depth=1
	ds_store_b64 v76, v[0:1]
; %bb.771:                              ;   in Loop: Header=BB129_3 Depth=1
	s_or_b32 exec_lo, exec_lo, s44
	s_wait_dscnt 0x0
	s_barrier_signal -1
	s_barrier_wait -1
	s_and_saveexec_b32 s44, s51
	s_cbranch_execz .LBB129_773
; %bb.772:                              ;   in Loop: Header=BB129_3 Depth=1
	ds_load_b64 v[46:47], v74 offset:27520
	ds_load_b64 v[48:49], v76
	s_wait_dscnt 0x0
	v_fmac_f64_e32 v[0:1], v[46:47], v[48:49]
.LBB129_773:                            ;   in Loop: Header=BB129_3 Depth=1
	s_or_b32 exec_lo, exec_lo, s44
	s_barrier_signal -1
	s_barrier_wait -1
	s_and_saveexec_b32 s44, s52
	;; [unrolled: 19-line block ×11, first 2 shown]
; %bb.810:                              ;   in Loop: Header=BB129_3 Depth=1
	ds_store_b64 v76, v[0:1]
; %bb.811:                              ;   in Loop: Header=BB129_3 Depth=1
	s_or_b32 exec_lo, exec_lo, s44
	s_wait_dscnt 0x0
	s_barrier_signal -1
	s_barrier_wait -1
	s_barrier_signal -1
	s_barrier_wait -1
	s_and_saveexec_b32 s44, s5
; %bb.812:                              ;   in Loop: Header=BB129_3 Depth=1
	v_xor_b32_e32 v1, 0x80000000, v1
	ds_store_b64 v77, v[0:1] offset:16768
; %bb.813:                              ;   in Loop: Header=BB129_3 Depth=1
	s_or_b32 exec_lo, exec_lo, s44
	s_wait_dscnt 0x0
	s_barrier_signal -1
	s_barrier_wait -1
	s_barrier_signal -1
	s_barrier_wait -1
	s_and_saveexec_b32 s44, s87
	s_cbranch_execz .LBB129_815
; %bb.814:                              ;   in Loop: Header=BB129_3 Depth=1
	ds_load_b64 v[0:1], v55 offset:16768
	s_wait_dscnt 0x0
	ds_store_b64 v59, v[0:1] offset:24832
	ds_load_b64 v[0:1], v55 offset:16776
	s_wait_dscnt 0x0
	ds_store_b64 v59, v[0:1] offset:25344
	;; [unrolled: 3-line block ×16, first 2 shown]
.LBB129_815:                            ;   in Loop: Header=BB129_3 Depth=1
	s_or_b32 exec_lo, exec_lo, s44
	s_wait_dscnt 0x0
	s_barrier_signal -1
	s_barrier_wait -1
	s_and_saveexec_b32 s44, s10
	s_cbranch_execz .LBB129_817
; %bb.816:                              ;   in Loop: Header=BB129_3 Depth=1
	ds_load_b64 v[0:1], v5 offset:24968
	v_mov_b32_e32 v2, v5
	ds_store_b64 v5, v[30:31] offset:24960
	s_wait_dscnt 0x1
	ds_store_b128 v5, v[0:3] offset:25472
.LBB129_817:                            ;   in Loop: Header=BB129_3 Depth=1
	s_or_b32 exec_lo, exec_lo, s44
	v_mov_b64_e32 v[0:1], 0
	s_wait_dscnt 0x0
	s_barrier_signal -1
	s_barrier_wait -1
	s_and_saveexec_b32 s44, s1
	s_cbranch_execz .LBB129_821
; %bb.818:                              ;   in Loop: Header=BB129_3 Depth=1
	ds_load_b64 v[0:1], v50 offset:24976
	ds_load_b64 v[46:47], v51 offset:24960
	s_wait_dscnt 0x0
	v_fma_f64 v[0:1], v[0:1], v[46:47], 0
	s_and_saveexec_b32 s45, s11
	s_cbranch_execz .LBB129_820
; %bb.819:                              ;   in Loop: Header=BB129_3 Depth=1
	ds_load_b64 v[46:47], v52 offset:25488
	ds_load_b64 v[48:49], v5 offset:24968
	s_wait_dscnt 0x0
	v_fmac_f64_e32 v[0:1], v[46:47], v[48:49]
.LBB129_820:                            ;   in Loop: Header=BB129_3 Depth=1
	s_or_b32 exec_lo, exec_lo, s45
	s_delay_alu instid0(VALU_DEP_1)
	v_xor_b32_e32 v1, 0x80000000, v1
.LBB129_821:                            ;   in Loop: Header=BB129_3 Depth=1
	s_or_b32 exec_lo, exec_lo, s44
	s_and_saveexec_b32 s44, s89
; %bb.822:                              ;   in Loop: Header=BB129_3 Depth=1
	ds_store_b64 v7, v[0:1]
; %bb.823:                              ;   in Loop: Header=BB129_3 Depth=1
	s_or_b32 exec_lo, exec_lo, s44
	s_wait_dscnt 0x0
	s_barrier_signal -1
	s_barrier_wait -1
	s_and_saveexec_b32 s44, s90
	s_cbranch_execz .LBB129_825
; %bb.824:                              ;   in Loop: Header=BB129_3 Depth=1
	ds_load_b64 v[46:47], v5 offset:26008
	ds_load_b64 v[48:49], v7
	s_wait_dscnt 0x0
	v_fmac_f64_e32 v[0:1], v[46:47], v[48:49]
.LBB129_825:                            ;   in Loop: Header=BB129_3 Depth=1
	s_or_b32 exec_lo, exec_lo, s44
	s_barrier_signal -1
	s_barrier_wait -1
	s_and_saveexec_b32 s44, s90
; %bb.826:                              ;   in Loop: Header=BB129_3 Depth=1
	ds_store_b64 v7, v[0:1]
; %bb.827:                              ;   in Loop: Header=BB129_3 Depth=1
	s_or_b32 exec_lo, exec_lo, s44
	s_wait_dscnt 0x0
	s_barrier_signal -1
	s_barrier_wait -1
	s_barrier_signal -1
	s_barrier_wait -1
	s_and_saveexec_b32 s44, s1
; %bb.828:                              ;   in Loop: Header=BB129_3 Depth=1
	v_xor_b32_e32 v1, 0x80000000, v1
	ds_store_b64 v50, v[0:1] offset:24976
; %bb.829:                              ;   in Loop: Header=BB129_3 Depth=1
	s_or_b32 exec_lo, exec_lo, s44
	s_wait_dscnt 0x0
	s_barrier_signal -1
	s_barrier_wait -1
	s_barrier_signal -1
	s_barrier_wait -1
	s_and_saveexec_b32 s44, s91
	s_cbranch_execz .LBB129_831
; %bb.830:                              ;   in Loop: Header=BB129_3 Depth=1
	ds_load_b64 v[0:1], v55 offset:24976
	s_wait_dscnt 0x0
	ds_store_b64 v52, v[0:1] offset:25984
	ds_load_b64 v[0:1], v55 offset:24984
	s_wait_dscnt 0x0
	ds_store_b64 v52, v[0:1] offset:26496
.LBB129_831:                            ;   in Loop: Header=BB129_3 Depth=1
	s_or_b32 exec_lo, exec_lo, s44
	s_wait_dscnt 0x0
	s_barrier_signal -1
	s_barrier_wait -1
	s_and_saveexec_b32 s44, s10
	s_cbranch_execz .LBB129_833
; %bb.832:                              ;   in Loop: Header=BB129_3 Depth=1
	ds_load_b64 v[0:1], v5 offset:26008
	v_mov_b32_e32 v2, v5
	ds_store_b64 v5, v[30:31] offset:26000
	s_wait_dscnt 0x1
	ds_store_b128 v5, v[0:3] offset:26512
.LBB129_833:                            ;   in Loop: Header=BB129_3 Depth=1
	s_or_b32 exec_lo, exec_lo, s44
	v_mov_b64_e32 v[0:1], 0
	s_wait_dscnt 0x0
	s_barrier_signal -1
	s_barrier_wait -1
	s_and_saveexec_b32 s44, s3
	s_cbranch_execz .LBB129_839
; %bb.834:                              ;   in Loop: Header=BB129_3 Depth=1
	ds_load_b64 v[0:1], v57 offset:24992
	ds_load_b64 v[46:47], v53 offset:24960
	s_wait_dscnt 0x0
	v_fma_f64 v[0:1], v[0:1], v[46:47], 0
	s_and_saveexec_b32 s45, s12
	s_cbranch_execnz .LBB129_1107
; %bb.835:                              ;   in Loop: Header=BB129_3 Depth=1
	s_or_b32 exec_lo, exec_lo, s45
	s_and_saveexec_b32 s45, s13
	s_cbranch_execnz .LBB129_1108
.LBB129_836:                            ;   in Loop: Header=BB129_3 Depth=1
	s_or_b32 exec_lo, exec_lo, s45
	s_and_saveexec_b32 s45, s1
	s_cbranch_execz .LBB129_838
.LBB129_837:                            ;   in Loop: Header=BB129_3 Depth=1
	ds_load_b64 v[46:47], v59 offset:26528
	ds_load_b64 v[48:49], v5 offset:24984
	s_wait_dscnt 0x0
	v_fmac_f64_e32 v[0:1], v[46:47], v[48:49]
.LBB129_838:                            ;   in Loop: Header=BB129_3 Depth=1
	s_or_b32 exec_lo, exec_lo, s45
	s_delay_alu instid0(VALU_DEP_1)
	v_xor_b32_e32 v1, 0x80000000, v1
.LBB129_839:                            ;   in Loop: Header=BB129_3 Depth=1
	s_or_b32 exec_lo, exec_lo, s44
	s_and_saveexec_b32 s44, s92
; %bb.840:                              ;   in Loop: Header=BB129_3 Depth=1
	ds_store_b64 v56, v[0:1]
; %bb.841:                              ;   in Loop: Header=BB129_3 Depth=1
	s_or_b32 exec_lo, exec_lo, s44
	s_wait_dscnt 0x0
	s_barrier_signal -1
	s_barrier_wait -1
	s_and_saveexec_b32 s44, s93
	s_cbranch_execz .LBB129_843
; %bb.842:                              ;   in Loop: Header=BB129_3 Depth=1
	ds_load_b64 v[46:47], v54 offset:27040
	ds_load_b64 v[48:49], v56
	s_wait_dscnt 0x0
	v_fmac_f64_e32 v[0:1], v[46:47], v[48:49]
.LBB129_843:                            ;   in Loop: Header=BB129_3 Depth=1
	s_or_b32 exec_lo, exec_lo, s44
	s_barrier_signal -1
	s_barrier_wait -1
	s_and_saveexec_b32 s44, s94
; %bb.844:                              ;   in Loop: Header=BB129_3 Depth=1
	ds_store_b64 v56, v[0:1]
; %bb.845:                              ;   in Loop: Header=BB129_3 Depth=1
	s_or_b32 exec_lo, exec_lo, s44
	s_wait_dscnt 0x0
	s_barrier_signal -1
	s_barrier_wait -1
	s_and_saveexec_b32 s44, s95
	s_cbranch_execz .LBB129_847
; %bb.846:                              ;   in Loop: Header=BB129_3 Depth=1
	ds_load_b64 v[46:47], v54 offset:27552
	ds_load_b64 v[48:49], v56
	s_wait_dscnt 0x0
	v_fmac_f64_e32 v[0:1], v[46:47], v[48:49]
.LBB129_847:                            ;   in Loop: Header=BB129_3 Depth=1
	s_or_b32 exec_lo, exec_lo, s44
	s_barrier_signal -1
	s_barrier_wait -1
	;; [unrolled: 19-line block ×3, first 2 shown]
	s_and_saveexec_b32 s44, s97
; %bb.852:                              ;   in Loop: Header=BB129_3 Depth=1
	ds_store_b64 v56, v[0:1]
; %bb.853:                              ;   in Loop: Header=BB129_3 Depth=1
	s_or_b32 exec_lo, exec_lo, s44
	s_wait_dscnt 0x0
	s_barrier_signal -1
	s_barrier_wait -1
	s_barrier_signal -1
	s_barrier_wait -1
	s_and_saveexec_b32 s44, s3
; %bb.854:                              ;   in Loop: Header=BB129_3 Depth=1
	v_xor_b32_e32 v1, 0x80000000, v1
	ds_store_b64 v57, v[0:1] offset:24992
; %bb.855:                              ;   in Loop: Header=BB129_3 Depth=1
	s_or_b32 exec_lo, exec_lo, s44
	s_wait_dscnt 0x0
	s_barrier_signal -1
	s_barrier_wait -1
	s_barrier_signal -1
	s_barrier_wait -1
	s_and_saveexec_b32 s44, s98
	s_cbranch_execz .LBB129_857
; %bb.856:                              ;   in Loop: Header=BB129_3 Depth=1
	ds_load_b64 v[0:1], v60 offset:24992
	s_wait_dscnt 0x0
	ds_store_b64 v62, v[0:1] offset:27008
	ds_load_b64 v[0:1], v60 offset:25000
	s_wait_dscnt 0x0
	ds_store_b64 v62, v[0:1] offset:27520
	ds_load_b64 v[0:1], v60 offset:25008
	s_wait_dscnt 0x0
	ds_store_b64 v62, v[0:1] offset:28032
	ds_load_b64 v[0:1], v60 offset:25016
	s_wait_dscnt 0x0
	ds_store_b64 v62, v[0:1] offset:28544
.LBB129_857:                            ;   in Loop: Header=BB129_3 Depth=1
	s_or_b32 exec_lo, exec_lo, s44
	s_wait_dscnt 0x0
	s_barrier_signal -1
	s_barrier_wait -1
	s_and_saveexec_b32 s44, s10
	s_cbranch_execz .LBB129_859
; %bb.858:                              ;   in Loop: Header=BB129_3 Depth=1
	ds_load_b64 v[0:1], v5 offset:27048
	v_mov_b32_e32 v2, v5
	ds_store_b64 v5, v[30:31] offset:27040
	s_wait_dscnt 0x1
	ds_store_b128 v5, v[0:3] offset:27552
.LBB129_859:                            ;   in Loop: Header=BB129_3 Depth=1
	s_or_b32 exec_lo, exec_lo, s44
	v_mov_b64_e32 v[0:1], 0
	s_wait_dscnt 0x0
	s_barrier_signal -1
	s_barrier_wait -1
	s_and_saveexec_b32 s44, s1
	s_cbranch_execz .LBB129_863
; %bb.860:                              ;   in Loop: Header=BB129_3 Depth=1
	ds_load_b64 v[0:1], v50 offset:27056
	ds_load_b64 v[46:47], v51 offset:27040
	s_wait_dscnt 0x0
	v_fma_f64 v[0:1], v[0:1], v[46:47], 0
	s_and_saveexec_b32 s45, s11
	s_cbranch_execz .LBB129_862
; %bb.861:                              ;   in Loop: Header=BB129_3 Depth=1
	ds_load_b64 v[46:47], v62 offset:27568
	ds_load_b64 v[48:49], v5 offset:27048
	s_wait_dscnt 0x0
	v_fmac_f64_e32 v[0:1], v[46:47], v[48:49]
.LBB129_862:                            ;   in Loop: Header=BB129_3 Depth=1
	s_or_b32 exec_lo, exec_lo, s45
	s_delay_alu instid0(VALU_DEP_1)
	v_xor_b32_e32 v1, 0x80000000, v1
.LBB129_863:                            ;   in Loop: Header=BB129_3 Depth=1
	s_or_b32 exec_lo, exec_lo, s44
	s_and_saveexec_b32 s44, s89
; %bb.864:                              ;   in Loop: Header=BB129_3 Depth=1
	ds_store_b64 v7, v[0:1]
; %bb.865:                              ;   in Loop: Header=BB129_3 Depth=1
	s_or_b32 exec_lo, exec_lo, s44
	s_wait_dscnt 0x0
	s_barrier_signal -1
	s_barrier_wait -1
	s_and_saveexec_b32 s44, s90
	s_cbranch_execz .LBB129_867
; %bb.866:                              ;   in Loop: Header=BB129_3 Depth=1
	ds_load_b64 v[46:47], v5 offset:28088
	ds_load_b64 v[48:49], v7
	s_wait_dscnt 0x0
	v_fmac_f64_e32 v[0:1], v[46:47], v[48:49]
.LBB129_867:                            ;   in Loop: Header=BB129_3 Depth=1
	s_or_b32 exec_lo, exec_lo, s44
	s_barrier_signal -1
	s_barrier_wait -1
	s_and_saveexec_b32 s44, s90
; %bb.868:                              ;   in Loop: Header=BB129_3 Depth=1
	ds_store_b64 v7, v[0:1]
; %bb.869:                              ;   in Loop: Header=BB129_3 Depth=1
	s_or_b32 exec_lo, exec_lo, s44
	s_wait_dscnt 0x0
	s_barrier_signal -1
	s_barrier_wait -1
	s_barrier_signal -1
	s_barrier_wait -1
	s_and_saveexec_b32 s44, s1
; %bb.870:                              ;   in Loop: Header=BB129_3 Depth=1
	v_xor_b32_e32 v1, 0x80000000, v1
	ds_store_b64 v50, v[0:1] offset:27056
; %bb.871:                              ;   in Loop: Header=BB129_3 Depth=1
	s_or_b32 exec_lo, exec_lo, s44
	s_wait_dscnt 0x0
	s_barrier_signal -1
	s_barrier_wait -1
	s_barrier_signal -1
	s_barrier_wait -1
	s_and_saveexec_b32 s44, s91
	s_cbranch_execz .LBB129_873
; %bb.872:                              ;   in Loop: Header=BB129_3 Depth=1
	ds_load_b64 v[0:1], v64 offset:27056
	s_wait_dscnt 0x0
	ds_store_b64 v62, v[0:1] offset:28064
	ds_load_b64 v[0:1], v64 offset:27064
	s_wait_dscnt 0x0
	ds_store_b64 v62, v[0:1] offset:28576
.LBB129_873:                            ;   in Loop: Header=BB129_3 Depth=1
	s_or_b32 exec_lo, exec_lo, s44
	s_wait_dscnt 0x0
	s_barrier_signal -1
	s_barrier_wait -1
	s_and_saveexec_b32 s44, s10
	s_cbranch_execz .LBB129_875
; %bb.874:                              ;   in Loop: Header=BB129_3 Depth=1
	ds_load_b64 v[0:1], v5 offset:28088
	v_mov_b32_e32 v2, v5
	ds_store_b64 v5, v[30:31] offset:28080
	s_wait_dscnt 0x1
	ds_store_b128 v5, v[0:3] offset:28592
.LBB129_875:                            ;   in Loop: Header=BB129_3 Depth=1
	s_or_b32 exec_lo, exec_lo, s44
	v_mov_b64_e32 v[0:1], 0
	s_wait_dscnt 0x0
	s_barrier_signal -1
	s_barrier_wait -1
	s_and_saveexec_b32 s44, s4
	s_cbranch_execz .LBB129_885
; %bb.876:                              ;   in Loop: Header=BB129_3 Depth=1
	ds_load_b64 v[0:1], v66 offset:25024
	ds_load_b64 v[46:47], v61 offset:24960
	s_wait_dscnt 0x0
	v_fma_f64 v[0:1], v[0:1], v[46:47], 0
	s_and_saveexec_b32 s45, s14
	s_cbranch_execnz .LBB129_1109
; %bb.877:                              ;   in Loop: Header=BB129_3 Depth=1
	s_or_b32 exec_lo, exec_lo, s45
	s_and_saveexec_b32 s45, s15
	s_cbranch_execnz .LBB129_1110
.LBB129_878:                            ;   in Loop: Header=BB129_3 Depth=1
	s_or_b32 exec_lo, exec_lo, s45
	s_and_saveexec_b32 s45, s16
	s_cbranch_execnz .LBB129_1111
.LBB129_879:                            ;   in Loop: Header=BB129_3 Depth=1
	s_or_b32 exec_lo, exec_lo, s45
	s_and_saveexec_b32 s45, s17
	s_cbranch_execnz .LBB129_1112
.LBB129_880:                            ;   in Loop: Header=BB129_3 Depth=1
	s_or_b32 exec_lo, exec_lo, s45
	s_and_saveexec_b32 s45, s18
	s_cbranch_execnz .LBB129_1113
.LBB129_881:                            ;   in Loop: Header=BB129_3 Depth=1
	s_or_b32 exec_lo, exec_lo, s45
	s_and_saveexec_b32 s45, s3
	s_cbranch_execnz .LBB129_1114
.LBB129_882:                            ;   in Loop: Header=BB129_3 Depth=1
	s_or_b32 exec_lo, exec_lo, s45
	s_and_saveexec_b32 s45, s13
	s_cbranch_execz .LBB129_884
.LBB129_883:                            ;   in Loop: Header=BB129_3 Depth=1
	ds_load_b64 v[46:47], v68 offset:28608
	ds_load_b64 v[48:49], v5 offset:25016
	s_wait_dscnt 0x0
	v_fmac_f64_e32 v[0:1], v[46:47], v[48:49]
.LBB129_884:                            ;   in Loop: Header=BB129_3 Depth=1
	s_or_b32 exec_lo, exec_lo, s45
	s_delay_alu instid0(VALU_DEP_1)
	v_xor_b32_e32 v1, 0x80000000, v1
.LBB129_885:                            ;   in Loop: Header=BB129_3 Depth=1
	s_or_b32 exec_lo, exec_lo, s44
	s_and_saveexec_b32 s44, s99
; %bb.886:                              ;   in Loop: Header=BB129_3 Depth=1
	ds_store_b64 v65, v[0:1]
; %bb.887:                              ;   in Loop: Header=BB129_3 Depth=1
	s_or_b32 exec_lo, exec_lo, s44
	s_wait_dscnt 0x0
	s_barrier_signal -1
	s_barrier_wait -1
	s_and_saveexec_b32 s44, s100
	s_cbranch_execz .LBB129_889
; %bb.888:                              ;   in Loop: Header=BB129_3 Depth=1
	ds_load_b64 v[46:47], v63 offset:29120
	ds_load_b64 v[48:49], v65
	s_wait_dscnt 0x0
	v_fmac_f64_e32 v[0:1], v[46:47], v[48:49]
.LBB129_889:                            ;   in Loop: Header=BB129_3 Depth=1
	s_or_b32 exec_lo, exec_lo, s44
	s_barrier_signal -1
	s_barrier_wait -1
	s_and_saveexec_b32 s44, s101
; %bb.890:                              ;   in Loop: Header=BB129_3 Depth=1
	ds_store_b64 v65, v[0:1]
; %bb.891:                              ;   in Loop: Header=BB129_3 Depth=1
	s_or_b32 exec_lo, exec_lo, s44
	s_wait_dscnt 0x0
	s_barrier_signal -1
	s_barrier_wait -1
	s_and_saveexec_b32 s44, s102
	s_cbranch_execz .LBB129_893
; %bb.892:                              ;   in Loop: Header=BB129_3 Depth=1
	ds_load_b64 v[46:47], v63 offset:29632
	ds_load_b64 v[48:49], v65
	s_wait_dscnt 0x0
	v_fmac_f64_e32 v[0:1], v[46:47], v[48:49]
.LBB129_893:                            ;   in Loop: Header=BB129_3 Depth=1
	s_or_b32 exec_lo, exec_lo, s44
	s_barrier_signal -1
	s_barrier_wait -1
	;; [unrolled: 19-line block ×3, first 2 shown]
	s_and_saveexec_b32 s44, vcc_hi
; %bb.898:                              ;   in Loop: Header=BB129_3 Depth=1
	ds_store_b64 v65, v[0:1]
; %bb.899:                              ;   in Loop: Header=BB129_3 Depth=1
	s_or_b32 exec_lo, exec_lo, s44
	s_wait_dscnt 0x0
	s_barrier_signal -1
	s_barrier_wait -1
	s_and_saveexec_b32 s44, s31
	s_cbranch_execz .LBB129_901
; %bb.900:                              ;   in Loop: Header=BB129_3 Depth=1
	ds_load_b64 v[46:47], v63 offset:30656
	ds_load_b64 v[48:49], v65
	s_wait_dscnt 0x0
	v_fmac_f64_e32 v[0:1], v[46:47], v[48:49]
.LBB129_901:                            ;   in Loop: Header=BB129_3 Depth=1
	s_or_b32 exec_lo, exec_lo, s44
	s_barrier_signal -1
	s_barrier_wait -1
	s_and_saveexec_b32 s44, s33
; %bb.902:                              ;   in Loop: Header=BB129_3 Depth=1
	ds_store_b64 v65, v[0:1]
; %bb.903:                              ;   in Loop: Header=BB129_3 Depth=1
	s_or_b32 exec_lo, exec_lo, s44
	s_wait_dscnt 0x0
	s_barrier_signal -1
	s_barrier_wait -1
	s_and_saveexec_b32 s44, s34
	s_cbranch_execz .LBB129_905
; %bb.904:                              ;   in Loop: Header=BB129_3 Depth=1
	ds_load_b64 v[46:47], v63 offset:31168
	ds_load_b64 v[48:49], v65
	s_wait_dscnt 0x0
	v_fmac_f64_e32 v[0:1], v[46:47], v[48:49]
.LBB129_905:                            ;   in Loop: Header=BB129_3 Depth=1
	s_or_b32 exec_lo, exec_lo, s44
	s_barrier_signal -1
	s_barrier_wait -1
	s_and_saveexec_b32 s44, s35
	;; [unrolled: 19-line block ×4, first 2 shown]
; %bb.914:                              ;   in Loop: Header=BB129_3 Depth=1
	ds_store_b64 v65, v[0:1]
; %bb.915:                              ;   in Loop: Header=BB129_3 Depth=1
	s_or_b32 exec_lo, exec_lo, s44
	s_wait_dscnt 0x0
	s_barrier_signal -1
	s_barrier_wait -1
	s_barrier_signal -1
	s_barrier_wait -1
	s_and_saveexec_b32 s44, s4
; %bb.916:                              ;   in Loop: Header=BB129_3 Depth=1
	v_xor_b32_e32 v1, 0x80000000, v1
	ds_store_b64 v66, v[0:1] offset:25024
; %bb.917:                              ;   in Loop: Header=BB129_3 Depth=1
	s_or_b32 exec_lo, exec_lo, s44
	s_wait_dscnt 0x0
	s_barrier_signal -1
	s_barrier_wait -1
	s_barrier_signal -1
	s_barrier_wait -1
	s_and_saveexec_b32 s44, s39
	s_cbranch_execz .LBB129_919
; %bb.918:                              ;   in Loop: Header=BB129_3 Depth=1
	ds_load_b64 v[0:1], v69 offset:25024
	s_wait_dscnt 0x0
	ds_store_b64 v70, v[0:1] offset:29056
	ds_load_b64 v[0:1], v69 offset:25032
	s_wait_dscnt 0x0
	ds_store_b64 v70, v[0:1] offset:29568
	ds_load_b64 v[0:1], v69 offset:25040
	s_wait_dscnt 0x0
	ds_store_b64 v70, v[0:1] offset:30080
	ds_load_b64 v[0:1], v69 offset:25048
	s_wait_dscnt 0x0
	ds_store_b64 v70, v[0:1] offset:30592
	ds_load_b64 v[0:1], v69 offset:25056
	s_wait_dscnt 0x0
	ds_store_b64 v70, v[0:1] offset:31104
	ds_load_b64 v[0:1], v69 offset:25064
	s_wait_dscnt 0x0
	ds_store_b64 v70, v[0:1] offset:31616
	ds_load_b64 v[0:1], v69 offset:25072
	s_wait_dscnt 0x0
	ds_store_b64 v70, v[0:1] offset:32128
	ds_load_b64 v[0:1], v69 offset:25080
	s_wait_dscnt 0x0
	ds_store_b64 v70, v[0:1] offset:32640
.LBB129_919:                            ;   in Loop: Header=BB129_3 Depth=1
	s_or_b32 exec_lo, exec_lo, s44
	s_wait_dscnt 0x0
	s_barrier_signal -1
	s_barrier_wait -1
	s_and_saveexec_b32 s44, s10
	s_cbranch_execz .LBB129_921
; %bb.920:                              ;   in Loop: Header=BB129_3 Depth=1
	ds_load_b64 v[0:1], v5 offset:29128
	v_mov_b32_e32 v2, v5
	ds_store_b64 v5, v[30:31] offset:29120
	s_wait_dscnt 0x1
	ds_store_b128 v5, v[0:3] offset:29632
.LBB129_921:                            ;   in Loop: Header=BB129_3 Depth=1
	s_or_b32 exec_lo, exec_lo, s44
	v_mov_b64_e32 v[0:1], 0
	s_wait_dscnt 0x0
	s_barrier_signal -1
	s_barrier_wait -1
	s_and_saveexec_b32 s44, s1
	s_cbranch_execz .LBB129_925
; %bb.922:                              ;   in Loop: Header=BB129_3 Depth=1
	ds_load_b64 v[0:1], v50 offset:29136
	ds_load_b64 v[46:47], v51 offset:29120
	s_wait_dscnt 0x0
	v_fma_f64 v[0:1], v[0:1], v[46:47], 0
	s_and_saveexec_b32 s45, s11
	s_cbranch_execz .LBB129_924
; %bb.923:                              ;   in Loop: Header=BB129_3 Depth=1
	ds_load_b64 v[46:47], v70 offset:29648
	ds_load_b64 v[48:49], v5 offset:29128
	s_wait_dscnt 0x0
	v_fmac_f64_e32 v[0:1], v[46:47], v[48:49]
.LBB129_924:                            ;   in Loop: Header=BB129_3 Depth=1
	s_or_b32 exec_lo, exec_lo, s45
	s_delay_alu instid0(VALU_DEP_1)
	v_xor_b32_e32 v1, 0x80000000, v1
.LBB129_925:                            ;   in Loop: Header=BB129_3 Depth=1
	s_or_b32 exec_lo, exec_lo, s44
	s_and_saveexec_b32 s44, s89
; %bb.926:                              ;   in Loop: Header=BB129_3 Depth=1
	ds_store_b64 v7, v[0:1]
; %bb.927:                              ;   in Loop: Header=BB129_3 Depth=1
	s_or_b32 exec_lo, exec_lo, s44
	s_wait_dscnt 0x0
	s_barrier_signal -1
	s_barrier_wait -1
	s_and_saveexec_b32 s44, s90
	s_cbranch_execz .LBB129_929
; %bb.928:                              ;   in Loop: Header=BB129_3 Depth=1
	ds_load_b64 v[46:47], v5 offset:30168
	ds_load_b64 v[48:49], v7
	s_wait_dscnt 0x0
	v_fmac_f64_e32 v[0:1], v[46:47], v[48:49]
.LBB129_929:                            ;   in Loop: Header=BB129_3 Depth=1
	s_or_b32 exec_lo, exec_lo, s44
	s_barrier_signal -1
	s_barrier_wait -1
	s_and_saveexec_b32 s44, s90
; %bb.930:                              ;   in Loop: Header=BB129_3 Depth=1
	ds_store_b64 v7, v[0:1]
; %bb.931:                              ;   in Loop: Header=BB129_3 Depth=1
	s_or_b32 exec_lo, exec_lo, s44
	s_wait_dscnt 0x0
	s_barrier_signal -1
	s_barrier_wait -1
	s_barrier_signal -1
	s_barrier_wait -1
	s_and_saveexec_b32 s44, s1
; %bb.932:                              ;   in Loop: Header=BB129_3 Depth=1
	v_xor_b32_e32 v1, 0x80000000, v1
	ds_store_b64 v50, v[0:1] offset:29136
; %bb.933:                              ;   in Loop: Header=BB129_3 Depth=1
	s_or_b32 exec_lo, exec_lo, s44
	s_wait_dscnt 0x0
	s_barrier_signal -1
	s_barrier_wait -1
	s_barrier_signal -1
	s_barrier_wait -1
	s_and_saveexec_b32 s44, s91
	s_cbranch_execz .LBB129_935
; %bb.934:                              ;   in Loop: Header=BB129_3 Depth=1
	ds_load_b64 v[0:1], v71 offset:29136
	s_wait_dscnt 0x0
	ds_store_b64 v70, v[0:1] offset:30144
	ds_load_b64 v[0:1], v71 offset:29144
	s_wait_dscnt 0x0
	ds_store_b64 v70, v[0:1] offset:30656
.LBB129_935:                            ;   in Loop: Header=BB129_3 Depth=1
	s_or_b32 exec_lo, exec_lo, s44
	s_wait_dscnt 0x0
	s_barrier_signal -1
	s_barrier_wait -1
	s_and_saveexec_b32 s44, s10
	s_cbranch_execz .LBB129_937
; %bb.936:                              ;   in Loop: Header=BB129_3 Depth=1
	ds_load_b64 v[0:1], v5 offset:30168
	v_mov_b32_e32 v2, v5
	ds_store_b64 v5, v[30:31] offset:30160
	s_wait_dscnt 0x1
	ds_store_b128 v5, v[0:3] offset:30672
.LBB129_937:                            ;   in Loop: Header=BB129_3 Depth=1
	s_or_b32 exec_lo, exec_lo, s44
	v_mov_b64_e32 v[0:1], 0
	s_wait_dscnt 0x0
	s_barrier_signal -1
	s_barrier_wait -1
	s_and_saveexec_b32 s44, s3
	s_cbranch_execz .LBB129_943
; %bb.938:                              ;   in Loop: Header=BB129_3 Depth=1
	ds_load_b64 v[0:1], v57 offset:29152
	ds_load_b64 v[46:47], v53 offset:29120
	s_wait_dscnt 0x0
	v_fma_f64 v[0:1], v[0:1], v[46:47], 0
	s_and_saveexec_b32 s45, s12
	s_cbranch_execnz .LBB129_1115
; %bb.939:                              ;   in Loop: Header=BB129_3 Depth=1
	s_or_b32 exec_lo, exec_lo, s45
	s_and_saveexec_b32 s45, s13
	s_cbranch_execnz .LBB129_1116
.LBB129_940:                            ;   in Loop: Header=BB129_3 Depth=1
	s_or_b32 exec_lo, exec_lo, s45
	s_and_saveexec_b32 s45, s1
	s_cbranch_execz .LBB129_942
.LBB129_941:                            ;   in Loop: Header=BB129_3 Depth=1
	ds_load_b64 v[46:47], v72 offset:30688
	ds_load_b64 v[48:49], v5 offset:29144
	s_wait_dscnt 0x0
	v_fmac_f64_e32 v[0:1], v[46:47], v[48:49]
.LBB129_942:                            ;   in Loop: Header=BB129_3 Depth=1
	s_or_b32 exec_lo, exec_lo, s45
	s_delay_alu instid0(VALU_DEP_1)
	v_xor_b32_e32 v1, 0x80000000, v1
.LBB129_943:                            ;   in Loop: Header=BB129_3 Depth=1
	s_or_b32 exec_lo, exec_lo, s44
	s_and_saveexec_b32 s44, s92
; %bb.944:                              ;   in Loop: Header=BB129_3 Depth=1
	ds_store_b64 v56, v[0:1]
; %bb.945:                              ;   in Loop: Header=BB129_3 Depth=1
	s_or_b32 exec_lo, exec_lo, s44
	s_wait_dscnt 0x0
	s_barrier_signal -1
	s_barrier_wait -1
	s_and_saveexec_b32 s44, s93
	s_cbranch_execz .LBB129_947
; %bb.946:                              ;   in Loop: Header=BB129_3 Depth=1
	ds_load_b64 v[46:47], v54 offset:31200
	ds_load_b64 v[48:49], v56
	s_wait_dscnt 0x0
	v_fmac_f64_e32 v[0:1], v[46:47], v[48:49]
.LBB129_947:                            ;   in Loop: Header=BB129_3 Depth=1
	s_or_b32 exec_lo, exec_lo, s44
	s_barrier_signal -1
	s_barrier_wait -1
	s_and_saveexec_b32 s44, s94
; %bb.948:                              ;   in Loop: Header=BB129_3 Depth=1
	ds_store_b64 v56, v[0:1]
; %bb.949:                              ;   in Loop: Header=BB129_3 Depth=1
	s_or_b32 exec_lo, exec_lo, s44
	s_wait_dscnt 0x0
	s_barrier_signal -1
	s_barrier_wait -1
	s_and_saveexec_b32 s44, s95
	s_cbranch_execz .LBB129_951
; %bb.950:                              ;   in Loop: Header=BB129_3 Depth=1
	ds_load_b64 v[46:47], v54 offset:31712
	ds_load_b64 v[48:49], v56
	s_wait_dscnt 0x0
	v_fmac_f64_e32 v[0:1], v[46:47], v[48:49]
.LBB129_951:                            ;   in Loop: Header=BB129_3 Depth=1
	s_or_b32 exec_lo, exec_lo, s44
	s_barrier_signal -1
	s_barrier_wait -1
	;; [unrolled: 19-line block ×3, first 2 shown]
	s_and_saveexec_b32 s44, s97
; %bb.956:                              ;   in Loop: Header=BB129_3 Depth=1
	ds_store_b64 v56, v[0:1]
; %bb.957:                              ;   in Loop: Header=BB129_3 Depth=1
	s_or_b32 exec_lo, exec_lo, s44
	s_wait_dscnt 0x0
	s_barrier_signal -1
	s_barrier_wait -1
	s_barrier_signal -1
	s_barrier_wait -1
	s_and_saveexec_b32 s44, s3
; %bb.958:                              ;   in Loop: Header=BB129_3 Depth=1
	v_xor_b32_e32 v1, 0x80000000, v1
	ds_store_b64 v57, v[0:1] offset:29152
; %bb.959:                              ;   in Loop: Header=BB129_3 Depth=1
	s_or_b32 exec_lo, exec_lo, s44
	s_wait_dscnt 0x0
	s_barrier_signal -1
	s_barrier_wait -1
	s_barrier_signal -1
	s_barrier_wait -1
	s_and_saveexec_b32 s44, s98
	s_cbranch_execz .LBB129_961
; %bb.960:                              ;   in Loop: Header=BB129_3 Depth=1
	ds_load_b64 v[0:1], v75 offset:29152
	s_wait_dscnt 0x0
	ds_store_b64 v11, v[0:1] offset:31168
	ds_load_b64 v[0:1], v75 offset:29160
	s_wait_dscnt 0x0
	ds_store_b64 v11, v[0:1] offset:31680
	;; [unrolled: 3-line block ×4, first 2 shown]
.LBB129_961:                            ;   in Loop: Header=BB129_3 Depth=1
	s_or_b32 exec_lo, exec_lo, s44
	s_wait_dscnt 0x0
	s_barrier_signal -1
	s_barrier_wait -1
	s_and_saveexec_b32 s44, s10
	s_cbranch_execz .LBB129_963
; %bb.962:                              ;   in Loop: Header=BB129_3 Depth=1
	ds_load_b64 v[0:1], v5 offset:31208
	v_mov_b32_e32 v2, v5
	ds_store_b64 v5, v[30:31] offset:31200
	s_wait_dscnt 0x1
	ds_store_b128 v5, v[0:3] offset:31712
.LBB129_963:                            ;   in Loop: Header=BB129_3 Depth=1
	s_or_b32 exec_lo, exec_lo, s44
	v_mov_b64_e32 v[0:1], 0
	s_wait_dscnt 0x0
	s_barrier_signal -1
	s_barrier_wait -1
	s_and_saveexec_b32 s44, s1
	s_cbranch_execz .LBB129_967
; %bb.964:                              ;   in Loop: Header=BB129_3 Depth=1
	ds_load_b64 v[0:1], v50 offset:31216
	ds_load_b64 v[46:47], v51 offset:31200
	s_wait_dscnt 0x0
	v_fma_f64 v[0:1], v[0:1], v[46:47], 0
	s_and_saveexec_b32 s45, s11
	s_cbranch_execz .LBB129_966
; %bb.965:                              ;   in Loop: Header=BB129_3 Depth=1
	ds_load_b64 v[46:47], v11 offset:31728
	ds_load_b64 v[48:49], v5 offset:31208
	s_wait_dscnt 0x0
	v_fmac_f64_e32 v[0:1], v[46:47], v[48:49]
.LBB129_966:                            ;   in Loop: Header=BB129_3 Depth=1
	s_or_b32 exec_lo, exec_lo, s45
	s_delay_alu instid0(VALU_DEP_1)
	v_xor_b32_e32 v1, 0x80000000, v1
.LBB129_967:                            ;   in Loop: Header=BB129_3 Depth=1
	s_or_b32 exec_lo, exec_lo, s44
	s_and_saveexec_b32 s44, s89
; %bb.968:                              ;   in Loop: Header=BB129_3 Depth=1
	ds_store_b64 v7, v[0:1]
; %bb.969:                              ;   in Loop: Header=BB129_3 Depth=1
	s_or_b32 exec_lo, exec_lo, s44
	s_wait_dscnt 0x0
	s_barrier_signal -1
	s_barrier_wait -1
	s_and_saveexec_b32 s44, s90
	s_cbranch_execz .LBB129_971
; %bb.970:                              ;   in Loop: Header=BB129_3 Depth=1
	ds_load_b64 v[46:47], v5 offset:32248
	ds_load_b64 v[48:49], v7
	s_wait_dscnt 0x0
	v_fmac_f64_e32 v[0:1], v[46:47], v[48:49]
.LBB129_971:                            ;   in Loop: Header=BB129_3 Depth=1
	s_or_b32 exec_lo, exec_lo, s44
	s_barrier_signal -1
	s_barrier_wait -1
	s_and_saveexec_b32 s44, s90
; %bb.972:                              ;   in Loop: Header=BB129_3 Depth=1
	ds_store_b64 v7, v[0:1]
; %bb.973:                              ;   in Loop: Header=BB129_3 Depth=1
	s_or_b32 exec_lo, exec_lo, s44
	s_wait_dscnt 0x0
	s_barrier_signal -1
	s_barrier_wait -1
	s_barrier_signal -1
	s_barrier_wait -1
	s_and_saveexec_b32 s44, s1
; %bb.974:                              ;   in Loop: Header=BB129_3 Depth=1
	v_xor_b32_e32 v1, 0x80000000, v1
	ds_store_b64 v50, v[0:1] offset:31216
; %bb.975:                              ;   in Loop: Header=BB129_3 Depth=1
	s_or_b32 exec_lo, exec_lo, s44
	s_wait_dscnt 0x0
	s_barrier_signal -1
	s_barrier_wait -1
	s_barrier_signal -1
	s_barrier_wait -1
	s_and_saveexec_b32 s44, s91
	s_cbranch_execz .LBB129_977
; %bb.976:                              ;   in Loop: Header=BB129_3 Depth=1
	ds_load_b64 v[0:1], v81 offset:31216
	s_wait_dscnt 0x0
	ds_store_b64 v11, v[0:1] offset:32224
	ds_load_b64 v[0:1], v81 offset:31224
	s_wait_dscnt 0x0
	ds_store_b64 v11, v[0:1] offset:32736
.LBB129_977:                            ;   in Loop: Header=BB129_3 Depth=1
	s_or_b32 exec_lo, exec_lo, s44
	s_wait_dscnt 0x0
	s_barrier_signal -1
	s_barrier_wait -1
	s_and_saveexec_b32 s44, s10
	s_cbranch_execz .LBB129_979
; %bb.978:                              ;   in Loop: Header=BB129_3 Depth=1
	ds_load_b64 v[0:1], v5 offset:32248
	v_mov_b32_e32 v2, v5
	ds_store_b64 v5, v[30:31] offset:32240
	s_wait_dscnt 0x1
	ds_store_b128 v5, v[0:3] offset:32752
.LBB129_979:                            ;   in Loop: Header=BB129_3 Depth=1
	s_or_b32 exec_lo, exec_lo, s44
.LBB129_980:                            ;   in Loop: Header=BB129_3 Depth=1
	v_add_nc_u64_e32 v[0:1], s[68:69], v[44:45]
	v_mov_b64_e32 v[44:45], 0
	s_wait_dscnt 0x0
	s_barrier_signal -1
	s_barrier_wait -1
	s_wait_xcnt 0x0
	s_and_saveexec_b32 s44, s40
	s_cbranch_execz .LBB129_982
; %bb.981:                              ;   in Loop: Header=BB129_3 Depth=1
	v_lshl_add_u64 v[44:45], v[24:25], 3, v[0:1]
	flat_load_b64 v[44:45], v[44:45]
	s_wait_loadcnt_dscnt 0x0
	v_mul_f64_e64 v[44:45], v[44:45], -v[42:43]
.LBB129_982:                            ;   in Loop: Header=BB129_3 Depth=1
	s_or_b32 exec_lo, exec_lo, s44
	s_delay_alu instid0(SALU_CYCLE_1)
	s_and_not1_b32 vcc_lo, exec_lo, s41
	s_cbranch_vccnz .LBB129_1008
; %bb.983:                              ;   in Loop: Header=BB129_3 Depth=1
	v_mov_b32_e32 v2, -1
	s_lshl_b64 s[44:45], s[62:63], 2
	s_delay_alu instid0(SALU_CYCLE_1)
	s_add_nc_u64 s[82:83], s[78:79], s[44:45]
	s_mov_b32 s44, 0
	s_branch .LBB129_986
.LBB129_984:                            ;   in Loop: Header=BB129_986 Depth=2
	s_wait_xcnt 0x0
	ds_load_b64 v[42:43], v82 offset:384
	s_wait_loadcnt_dscnt 0x0
	v_fmac_f64_e32 v[44:45], v[46:47], v[42:43]
.LBB129_985:                            ;   in Loop: Header=BB129_986 Depth=2
	s_or_b32 exec_lo, exec_lo, s45
	s_add_co_i32 s44, s44, 1
	s_delay_alu instid0(SALU_CYCLE_1)
	s_cmp_eq_u32 s44, s84
	s_cbranch_scc1 .LBB129_1008
.LBB129_986:                            ;   Parent Loop BB129_3 Depth=1
                                        ; =>  This Loop Header: Depth=2
                                        ;       Child Loop BB129_988 Depth 3
	v_cmp_gt_i32_e32 vcc_lo, s44, v2
	s_and_b32 s46, s55, vcc_lo
	s_delay_alu instid0(SALU_CYCLE_1)
	s_and_saveexec_b32 s45, s46
	s_cbranch_execz .LBB129_989
; %bb.987:                              ;   in Loop: Header=BB129_986 Depth=2
	global_load_b32 v2, v5, s[82:83]
	s_wait_loadcnt 0x0
	v_cmp_le_i32_e32 vcc_lo, s44, v2
	s_cbranch_vccnz .LBB129_989
.LBB129_988:                            ;   Parent Loop BB129_3 Depth=1
                                        ;     Parent Loop BB129_986 Depth=2
                                        ; =>    This Inner Loop Header: Depth=3
	global_wb scope:SCOPE_DEV
	s_wait_storecnt 0x0
	global_inv scope:SCOPE_DEV
	global_load_b32 v2, v5, s[82:83]
	s_wait_loadcnt 0x0
	v_cmp_gt_i32_e32 vcc_lo, s44, v2
	s_cbranch_vccnz .LBB129_988
.LBB129_989:                            ;   in Loop: Header=BB129_986 Depth=2
	s_or_b32 exec_lo, exec_lo, s45
	s_sub_co_i32 s45, s85, s44
	global_wb scope:SCOPE_DEV
	s_wait_storecnt 0x0
	global_inv scope:SCOPE_DEV
	s_lshl_b32 s46, s45, 6
	s_wait_loadcnt 0x0
	s_barrier_signal -1
	s_barrier_wait -1
	s_and_saveexec_b32 s47, s56
	s_cbranch_execz .LBB129_993
; %bb.990:                              ;   in Loop: Header=BB129_986 Depth=2
	s_ashr_i32 s48, s46, 31
	v_mov_b64_e32 v[46:47], 0
	v_dual_mov_b32 v43, s48 :: v_dual_bitop2_b32 v42, s46, v10 bitop3:0x54
	s_mov_b32 s48, exec_lo
	s_delay_alu instid0(VALU_DEP_1)
	v_cmpx_gt_i64_e64 s[76:77], v[42:43]
	s_cbranch_execz .LBB129_992
; %bb.991:                              ;   in Loop: Header=BB129_986 Depth=2
	v_mul_u64_e32 v[42:43], s[70:71], v[42:43]
	s_delay_alu instid0(VALU_DEP_1)
	v_lshl_add_u64 v[42:43], v[42:43], 3, v[0:1]
	flat_load_b64 v[46:47], v[42:43]
.LBB129_992:                            ;   in Loop: Header=BB129_986 Depth=2
	s_wait_xcnt 0x0
	s_or_b32 exec_lo, exec_lo, s48
	s_wait_loadcnt_dscnt 0x0
	ds_store_b64 v85, v[46:47]
.LBB129_993:                            ;   in Loop: Header=BB129_986 Depth=2
	s_or_b32 exec_lo, exec_lo, s47
	v_add_nc_u32_e32 v46, s46, v8
	s_cmp_lg_u32 s45, s42
	s_wait_dscnt 0x0
	s_cselect_b32 s46, -1, 0
	s_barrier_signal -1
	v_ashrrev_i32_e32 v47, 31, v46
	v_cmp_gt_i32_e32 vcc_lo, s76, v46
	s_barrier_wait -1
	s_delay_alu instid0(VALU_DEP_2) | instskip(SKIP_2) | instid1(SALU_CYCLE_1)
	v_lshl_add_u64 v[42:43], v[46:47], 3, v[40:41]
	v_cndmask_b32_e64 v47, 0, 1, s46
	s_and_b32 s47, vcc_lo, s0
	s_and_saveexec_b32 s45, s47
	s_cbranch_execz .LBB129_997
; %bb.994:                              ;   in Loop: Header=BB129_986 Depth=2
	v_mov_b64_e32 v[48:49], v[32:33]
	s_and_not1_b32 vcc_lo, exec_lo, s46
	s_cbranch_vccnz .LBB129_996
; %bb.995:                              ;   in Loop: Header=BB129_986 Depth=2
	flat_load_b64 v[48:49], v[42:43]
.LBB129_996:                            ;   in Loop: Header=BB129_986 Depth=2
	ds_load_b64 v[98:99], v82
	s_wait_loadcnt_dscnt 0x0
	v_fmac_f64_e32 v[44:45], v[48:49], v[98:99]
.LBB129_997:                            ;   in Loop: Header=BB129_986 Depth=2
	s_or_b32 exec_lo, exec_lo, s45
	v_add_nc_u32_e32 v48, 16, v46
	s_delay_alu instid0(VALU_DEP_1) | instskip(SKIP_1) | instid1(SALU_CYCLE_1)
	v_cmp_gt_i32_e32 vcc_lo, s76, v48
	s_and_b32 s46, vcc_lo, s0
	s_and_saveexec_b32 s45, s46
	s_cbranch_execz .LBB129_1001
; %bb.998:                              ;   in Loop: Header=BB129_986 Depth=2
	v_cmp_ne_u32_e32 vcc_lo, 1, v47
	v_mov_b64_e32 v[48:49], v[34:35]
	s_cbranch_vccnz .LBB129_1000
; %bb.999:                              ;   in Loop: Header=BB129_986 Depth=2
	flat_load_b64 v[48:49], v[42:43] offset:128
.LBB129_1000:                           ;   in Loop: Header=BB129_986 Depth=2
	ds_load_b64 v[98:99], v82 offset:128
	s_wait_loadcnt_dscnt 0x0
	v_fmac_f64_e32 v[44:45], v[48:49], v[98:99]
.LBB129_1001:                           ;   in Loop: Header=BB129_986 Depth=2
	s_or_b32 exec_lo, exec_lo, s45
	v_add_nc_u32_e32 v48, 32, v46
	s_delay_alu instid0(VALU_DEP_1) | instskip(SKIP_1) | instid1(SALU_CYCLE_1)
	v_cmp_gt_i32_e32 vcc_lo, s76, v48
	s_and_b32 s46, vcc_lo, s0
	s_and_saveexec_b32 s45, s46
	s_cbranch_execz .LBB129_1005
; %bb.1002:                             ;   in Loop: Header=BB129_986 Depth=2
	v_cmp_ne_u32_e32 vcc_lo, 1, v47
	v_mov_b64_e32 v[48:49], v[36:37]
	s_cbranch_vccnz .LBB129_1004
; %bb.1003:                             ;   in Loop: Header=BB129_986 Depth=2
	flat_load_b64 v[48:49], v[42:43] offset:256
.LBB129_1004:                           ;   in Loop: Header=BB129_986 Depth=2
	ds_load_b64 v[98:99], v82 offset:256
	s_wait_loadcnt_dscnt 0x0
	v_fmac_f64_e32 v[44:45], v[48:49], v[98:99]
.LBB129_1005:                           ;   in Loop: Header=BB129_986 Depth=2
	s_or_b32 exec_lo, exec_lo, s45
	v_add_nc_u32_e32 v46, 48, v46
	s_delay_alu instid0(VALU_DEP_1) | instskip(SKIP_1) | instid1(SALU_CYCLE_1)
	v_cmp_gt_i32_e32 vcc_lo, s76, v46
	s_and_b32 s46, vcc_lo, s0
	s_and_saveexec_b32 s45, s46
	s_cbranch_execz .LBB129_985
; %bb.1006:                             ;   in Loop: Header=BB129_986 Depth=2
	v_cmp_ne_u32_e32 vcc_lo, 1, v47
	v_mov_b64_e32 v[46:47], v[38:39]
	s_cbranch_vccnz .LBB129_984
; %bb.1007:                             ;   in Loop: Header=BB129_986 Depth=2
	flat_load_b64 v[46:47], v[42:43] offset:384
	s_branch .LBB129_984
.LBB129_1008:                           ;   in Loop: Header=BB129_3 Depth=1
	ds_store_b64 v90, v[44:45]
	s_wait_dscnt 0x0
	s_barrier_signal -1
	s_barrier_wait -1
	s_and_saveexec_b32 s44, s2
	s_cbranch_execz .LBB129_1010
; %bb.1009:                             ;   in Loop: Header=BB129_3 Depth=1
	ds_load_2addr_stride64_b64 v[40:43], v92 offset0:1 offset1:2
	ds_load_2addr_stride64_b64 v[46:49], v92 offset0:3 offset1:4
	s_wait_dscnt 0x1
	v_add_f64_e32 v[40:41], v[44:45], v[40:41]
	s_delay_alu instid0(VALU_DEP_1) | instskip(SKIP_1) | instid1(VALU_DEP_1)
	v_add_f64_e32 v[40:41], v[40:41], v[42:43]
	s_wait_dscnt 0x0
	v_add_f64_e32 v[40:41], v[40:41], v[46:47]
	s_delay_alu instid0(VALU_DEP_1) | instskip(SKIP_4) | instid1(VALU_DEP_1)
	v_add_f64_e32 v[48:49], v[40:41], v[48:49]
	ds_load_2addr_stride64_b64 v[40:43], v92 offset0:5 offset1:6
	ds_load_2addr_stride64_b64 v[44:47], v92 offset0:7 offset1:8
	s_wait_dscnt 0x1
	v_add_f64_e32 v[40:41], v[48:49], v[40:41]
	v_add_f64_e32 v[40:41], v[40:41], v[42:43]
	s_wait_dscnt 0x0
	s_delay_alu instid0(VALU_DEP_1) | instskip(NEXT) | instid1(VALU_DEP_1)
	v_add_f64_e32 v[40:41], v[40:41], v[44:45]
	v_add_f64_e32 v[48:49], v[40:41], v[46:47]
	ds_load_2addr_stride64_b64 v[40:43], v92 offset0:9 offset1:10
	ds_load_2addr_stride64_b64 v[44:47], v92 offset0:11 offset1:12
	s_wait_dscnt 0x1
	v_add_f64_e32 v[40:41], v[48:49], v[40:41]
	s_delay_alu instid0(VALU_DEP_1) | instskip(SKIP_1) | instid1(VALU_DEP_1)
	v_add_f64_e32 v[40:41], v[40:41], v[42:43]
	s_wait_dscnt 0x0
	v_add_f64_e32 v[40:41], v[40:41], v[44:45]
	s_delay_alu instid0(VALU_DEP_1) | instskip(SKIP_4) | instid1(VALU_DEP_1)
	v_add_f64_e32 v[44:45], v[40:41], v[46:47]
	ds_load_2addr_stride64_b64 v[40:43], v92 offset0:13 offset1:14
	ds_load_b64 v[46:47], v92 offset:7680
	s_wait_dscnt 0x1
	v_add_f64_e32 v[40:41], v[44:45], v[40:41]
	v_add_f64_e32 v[40:41], v[40:41], v[42:43]
	s_wait_dscnt 0x0
	s_delay_alu instid0(VALU_DEP_1) | instskip(NEXT) | instid1(VALU_DEP_1)
	v_add_f64_e32 v[40:41], v[40:41], v[46:47]
	v_xor_b32_e32 v2, 0x80000000, v41
	s_delay_alu instid0(VALU_DEP_2) | instskip(NEXT) | instid1(VALU_DEP_2)
	v_cndmask_b32_e64 v44, v40, 0, s61
	v_cndmask_b32_e64 v45, v2, 0, s61
.LBB129_1010:                           ;   in Loop: Header=BB129_3 Depth=1
	s_or_b32 exec_lo, exec_lo, s44
	s_delay_alu instid0(SALU_CYCLE_1)
	s_and_not1_b32 vcc_lo, exec_lo, s88
	s_cbranch_vccnz .LBB129_1020
; %bb.1011:                             ;   in Loop: Header=BB129_3 Depth=1
	s_and_saveexec_b32 s44, s2
; %bb.1012:                             ;   in Loop: Header=BB129_3 Depth=1
	ds_store_b64 v94, v[44:45]
; %bb.1013:                             ;   in Loop: Header=BB129_3 Depth=1
	s_or_b32 exec_lo, exec_lo, s44
	v_mov_b64_e32 v[40:41], 0
	s_wait_dscnt 0x0
	s_barrier_signal -1
	s_barrier_wait -1
	s_and_saveexec_b32 s44, s6
	s_cbranch_execnz .LBB129_1060
; %bb.1014:                             ;   in Loop: Header=BB129_3 Depth=1
	s_or_b32 exec_lo, exec_lo, s44
	s_and_saveexec_b32 s44, s7
	s_cbranch_execnz .LBB129_1061
.LBB129_1015:                           ;   in Loop: Header=BB129_3 Depth=1
	s_or_b32 exec_lo, exec_lo, s44
	s_and_saveexec_b32 s44, s8
	s_cbranch_execnz .LBB129_1062
.LBB129_1016:                           ;   in Loop: Header=BB129_3 Depth=1
	s_or_b32 exec_lo, exec_lo, s44
	s_and_saveexec_b32 s44, s9
	s_cbranch_execz .LBB129_1018
.LBB129_1017:                           ;   in Loop: Header=BB129_3 Depth=1
	ds_load_b64 v[42:43], v93 offset:24576
	ds_load_b64 v[46:47], v82 offset:384
	s_wait_dscnt 0x0
	v_fmac_f64_e32 v[40:41], v[42:43], v[46:47]
.LBB129_1018:                           ;   in Loop: Header=BB129_3 Depth=1
	s_or_b32 exec_lo, exec_lo, s44
	s_mov_b32 s44, 0
	s_mov_b32 s82, 0
	ds_store_b64 v90, v[40:41]
	s_wait_dscnt 0x0
	s_barrier_signal -1
	s_barrier_wait -1
                                        ; implicit-def: $vgpr42_vgpr43
	s_and_saveexec_b32 s83, s2
	s_cbranch_execz .LBB129_1063
; %bb.1019:                             ;   in Loop: Header=BB129_3 Depth=1
	ds_load_2addr_stride64_b64 v[46:49], v92 offset0:1 offset1:2
	ds_load_2addr_stride64_b64 v[98:101], v92 offset0:3 offset1:4
	s_mov_b32 s82, exec_lo
	s_wait_dscnt 0x1
	v_add_f64_e32 v[40:41], v[40:41], v[46:47]
	s_delay_alu instid0(VALU_DEP_1) | instskip(SKIP_1) | instid1(VALU_DEP_1)
	v_add_f64_e32 v[40:41], v[48:49], v[40:41]
	s_wait_dscnt 0x0
	v_add_f64_e32 v[40:41], v[98:99], v[40:41]
	s_delay_alu instid0(VALU_DEP_1) | instskip(SKIP_4) | instid1(VALU_DEP_1)
	v_add_f64_e32 v[98:99], v[100:101], v[40:41]
	ds_load_2addr_stride64_b64 v[40:43], v92 offset0:5 offset1:6
	ds_load_2addr_stride64_b64 v[46:49], v92 offset0:7 offset1:8
	s_wait_dscnt 0x1
	v_add_f64_e32 v[40:41], v[40:41], v[98:99]
	v_add_f64_e32 v[40:41], v[42:43], v[40:41]
	s_wait_dscnt 0x0
	s_delay_alu instid0(VALU_DEP_1) | instskip(NEXT) | instid1(VALU_DEP_1)
	v_add_f64_e32 v[40:41], v[46:47], v[40:41]
	v_add_f64_e32 v[98:99], v[48:49], v[40:41]
	ds_load_2addr_stride64_b64 v[40:43], v92 offset0:9 offset1:10
	ds_load_2addr_stride64_b64 v[46:49], v92 offset0:11 offset1:12
	s_wait_dscnt 0x1
	v_add_f64_e32 v[40:41], v[40:41], v[98:99]
	s_delay_alu instid0(VALU_DEP_1) | instskip(SKIP_1) | instid1(VALU_DEP_1)
	v_add_f64_e32 v[40:41], v[42:43], v[40:41]
	s_wait_dscnt 0x0
	v_add_f64_e32 v[40:41], v[46:47], v[40:41]
	s_delay_alu instid0(VALU_DEP_1) | instskip(SKIP_4) | instid1(VALU_DEP_1)
	v_add_f64_e32 v[46:47], v[48:49], v[40:41]
	ds_load_2addr_stride64_b64 v[40:43], v92 offset0:13 offset1:14
	ds_load_b64 v[48:49], v92 offset:7680
	s_wait_dscnt 0x1
	v_add_f64_e32 v[40:41], v[40:41], v[46:47]
	v_add_f64_e32 v[40:41], v[42:43], v[40:41]
	s_wait_dscnt 0x0
	s_delay_alu instid0(VALU_DEP_1) | instskip(SKIP_1) | instid1(SALU_CYCLE_1)
	v_add_f64_e32 v[42:43], v[48:49], v[40:41]
	s_or_b32 exec_lo, exec_lo, s83
	s_and_b32 vcc_lo, exec_lo, s44
	s_cbranch_vccnz .LBB129_1021
	s_branch .LBB129_1064
.LBB129_1020:                           ;   in Loop: Header=BB129_3 Depth=1
	s_mov_b32 s82, 0
                                        ; implicit-def: $vgpr42_vgpr43
	s_cbranch_execz .LBB129_1064
.LBB129_1021:                           ;   in Loop: Header=BB129_3 Depth=1
	v_dual_mov_b32 v2, v97 :: v_dual_mov_b32 v40, v96
	s_mov_b32 s44, 63
	s_branch .LBB129_1023
.LBB129_1022:                           ;   in Loop: Header=BB129_1023 Depth=2
	s_or_b32 exec_lo, exec_lo, s46
	v_add_nc_u32_e32 v40, 0xfffff800, v40
	v_add_nc_u32_e32 v2, 4, v2
	s_add_co_i32 s44, s44, -4
	s_cmp_lg_u32 s45, 0
	s_barrier_signal -1
	s_barrier_wait -1
	s_cbranch_scc0 .LBB129_1039
.LBB129_1023:                           ;   Parent Loop BB129_3 Depth=1
                                        ; =>  This Inner Loop Header: Depth=2
	s_delay_alu instid0(VALU_DEP_1) | instskip(SKIP_1) | instid1(SALU_CYCLE_1)
	v_cmp_eq_u32_e32 vcc_lo, 0, v2
	s_and_b32 s46, s2, vcc_lo
	s_and_saveexec_b32 s45, s46
; %bb.1024:                             ;   in Loop: Header=BB129_1023 Depth=2
	ds_store_b64 v5, v[44:45] offset:41472
; %bb.1025:                             ;   in Loop: Header=BB129_1023 Depth=2
	s_or_b32 exec_lo, exec_lo, s45
	v_cmp_gt_u32_e32 vcc_lo, s44, v6
	s_wait_dscnt 0x0
	s_barrier_signal -1
	s_barrier_wait -1
	s_and_b32 s46, s2, vcc_lo
	s_delay_alu instid0(SALU_CYCLE_1)
	s_and_saveexec_b32 s45, s46
	s_cbranch_execz .LBB129_1027
; %bb.1026:                             ;   in Loop: Header=BB129_1023 Depth=2
	ds_load_b64 v[42:43], v40 offset:1536
	ds_load_b64 v[46:47], v5 offset:41472
	s_wait_dscnt 0x0
	v_fmac_f64_e32 v[44:45], v[42:43], v[46:47]
.LBB129_1027:                           ;   in Loop: Header=BB129_1023 Depth=2
	s_or_b32 exec_lo, exec_lo, s45
	s_add_co_i32 s45, s44, -1
	s_delay_alu instid0(SALU_CYCLE_1) | instskip(SKIP_3) | instid1(SALU_CYCLE_1)
	v_cmp_eq_u32_e32 vcc_lo, s45, v6
	s_barrier_signal -1
	s_barrier_wait -1
	s_and_b32 s47, s2, vcc_lo
	s_and_saveexec_b32 s46, s47
; %bb.1028:                             ;   in Loop: Header=BB129_1023 Depth=2
	ds_store_b64 v5, v[44:45] offset:41472
; %bb.1029:                             ;   in Loop: Header=BB129_1023 Depth=2
	s_or_b32 exec_lo, exec_lo, s46
	v_cmp_gt_u32_e32 vcc_lo, s45, v6
	s_wait_dscnt 0x0
	s_barrier_signal -1
	s_barrier_wait -1
	s_and_b32 s46, s2, vcc_lo
	s_delay_alu instid0(SALU_CYCLE_1)
	s_and_saveexec_b32 s45, s46
	s_cbranch_execz .LBB129_1031
; %bb.1030:                             ;   in Loop: Header=BB129_1023 Depth=2
	ds_load_b64 v[42:43], v40 offset:1024
	ds_load_b64 v[46:47], v5 offset:41472
	s_wait_dscnt 0x0
	v_fmac_f64_e32 v[44:45], v[42:43], v[46:47]
.LBB129_1031:                           ;   in Loop: Header=BB129_1023 Depth=2
	s_or_b32 exec_lo, exec_lo, s45
	s_add_co_i32 s45, s44, -2
	s_delay_alu instid0(SALU_CYCLE_1) | instskip(SKIP_3) | instid1(SALU_CYCLE_1)
	v_cmp_eq_u32_e32 vcc_lo, s45, v6
	s_barrier_signal -1
	s_barrier_wait -1
	s_and_b32 s47, s2, vcc_lo
	s_and_saveexec_b32 s46, s47
; %bb.1032:                             ;   in Loop: Header=BB129_1023 Depth=2
	ds_store_b64 v5, v[44:45] offset:41472
; %bb.1033:                             ;   in Loop: Header=BB129_1023 Depth=2
	s_or_b32 exec_lo, exec_lo, s46
	v_cmp_gt_u32_e32 vcc_lo, s45, v6
	s_wait_dscnt 0x0
	s_barrier_signal -1
	s_barrier_wait -1
	s_and_b32 s46, s2, vcc_lo
	s_delay_alu instid0(SALU_CYCLE_1)
	s_and_saveexec_b32 s45, s46
	s_cbranch_execz .LBB129_1035
; %bb.1034:                             ;   in Loop: Header=BB129_1023 Depth=2
	ds_load_b64 v[42:43], v40 offset:512
	ds_load_b64 v[46:47], v5 offset:41472
	s_wait_dscnt 0x0
	v_fmac_f64_e32 v[44:45], v[42:43], v[46:47]
.LBB129_1035:                           ;   in Loop: Header=BB129_1023 Depth=2
	s_or_b32 exec_lo, exec_lo, s45
	s_add_co_i32 s45, s44, -3
	s_delay_alu instid0(SALU_CYCLE_1) | instskip(SKIP_3) | instid1(SALU_CYCLE_1)
	v_cmp_eq_u32_e32 vcc_lo, s45, v6
	s_barrier_signal -1
	s_barrier_wait -1
	s_and_b32 s47, s2, vcc_lo
	s_and_saveexec_b32 s46, s47
; %bb.1036:                             ;   in Loop: Header=BB129_1023 Depth=2
	ds_store_b64 v5, v[44:45] offset:41472
; %bb.1037:                             ;   in Loop: Header=BB129_1023 Depth=2
	s_or_b32 exec_lo, exec_lo, s46
	v_cmp_gt_u32_e32 vcc_lo, s45, v6
	s_wait_dscnt 0x0
	s_barrier_signal -1
	s_barrier_wait -1
	s_and_b32 s47, s2, vcc_lo
	s_delay_alu instid0(SALU_CYCLE_1)
	s_and_saveexec_b32 s46, s47
	s_cbranch_execz .LBB129_1022
; %bb.1038:                             ;   in Loop: Header=BB129_1023 Depth=2
	ds_load_b64 v[42:43], v40
	ds_load_b64 v[46:47], v5 offset:41472
	s_wait_dscnt 0x0
	v_fmac_f64_e32 v[44:45], v[42:43], v[46:47]
	s_branch .LBB129_1022
.LBB129_1039:                           ;   in Loop: Header=BB129_3 Depth=1
	s_and_b32 vcc_lo, exec_lo, s86
	s_mov_b32 s44, -1
	s_cbranch_vccnz .LBB129_1065
; %bb.1040:                             ;   in Loop: Header=BB129_3 Depth=1
	s_and_not1_b32 vcc_lo, exec_lo, s44
	s_cbranch_vccz .LBB129_1066
.LBB129_1041:                           ;   in Loop: Header=BB129_3 Depth=1
	s_and_saveexec_b32 s44, s82
	s_cbranch_execz .LBB129_1043
.LBB129_1042:                           ;   in Loop: Header=BB129_3 Depth=1
	v_lshl_add_u64 v[0:1], v[26:27], 3, v[0:1]
	flat_store_b64 v[0:1], v[44:45]
.LBB129_1043:                           ;   in Loop: Header=BB129_3 Depth=1
	s_wait_xcnt 0x0
	s_or_b32 exec_lo, exec_lo, s44
	global_wb scope:SCOPE_DEV
	s_wait_storecnt_dscnt 0x0
	global_inv scope:SCOPE_DEV
	s_wait_loadcnt 0x0
	s_barrier_signal -1
	s_barrier_wait -1
	s_and_saveexec_b32 s44, s55
	s_cbranch_execz .LBB129_2
; %bb.1044:                             ;   in Loop: Header=BB129_3 Depth=1
	s_lshl_b64 s[46:47], s[62:63], 2
	s_delay_alu instid0(SALU_CYCLE_1)
	s_add_nc_u64 s[46:47], s[78:79], s[46:47]
	global_load_b32 v0, v5, s[46:47]
	s_wait_loadcnt 0x0
	v_add_nc_u32_e32 v0, 1, v0
	global_store_b32 v5, v0, s[46:47]
	s_branch .LBB129_2
.LBB129_1045:                           ;   in Loop: Header=BB129_3 Depth=1
	s_mov_b32 s45, exec_lo
	v_readlane_b32 s46, v102, 23
	s_and_b32 s46, s45, s46
	s_delay_alu instid0(SALU_CYCLE_1)
	s_mov_b32 exec_lo, s46
; %bb.1046:                             ;   in Loop: Header=BB129_3 Depth=1
	ds_store_b64 v86, v[28:29]
; %bb.1047:                             ;   in Loop: Header=BB129_3 Depth=1
	s_or_b32 exec_lo, exec_lo, s45
	s_and_not1_saveexec_b32 s44, s44
	s_cbranch_execz .LBB129_16
.LBB129_1048:                           ;   in Loop: Header=BB129_3 Depth=1
	v_lshl_add_u64 v[46:47], v[16:17], 3, v[0:1]
	flat_load_b64 v[46:47], v[46:47]
	s_wait_loadcnt_dscnt 0x0
	v_xor_b32_e32 v47, 0x80000000, v47
	ds_store_b64 v86, v[46:47]
	s_or_b32 exec_lo, exec_lo, s44
	s_and_saveexec_b32 s44, s7
	s_delay_alu instid0(SALU_CYCLE_1)
	s_xor_b32 s44, exec_lo, s44
	s_cbranch_execz .LBB129_17
.LBB129_1049:                           ;   in Loop: Header=BB129_3 Depth=1
	s_mov_b32 s45, exec_lo
	v_readlane_b32 s46, v102, 24
	s_and_b32 s46, s45, s46
	s_delay_alu instid0(SALU_CYCLE_1)
	s_mov_b32 exec_lo, s46
; %bb.1050:                             ;   in Loop: Header=BB129_3 Depth=1
	ds_store_b64 v87, v[28:29]
; %bb.1051:                             ;   in Loop: Header=BB129_3 Depth=1
	s_or_b32 exec_lo, exec_lo, s45
	s_and_not1_saveexec_b32 s44, s44
	s_cbranch_execz .LBB129_18
.LBB129_1052:                           ;   in Loop: Header=BB129_3 Depth=1
	v_lshl_add_u64 v[46:47], v[18:19], 3, v[0:1]
	flat_load_b64 v[46:47], v[46:47]
	s_wait_loadcnt_dscnt 0x0
	v_xor_b32_e32 v47, 0x80000000, v47
	ds_store_b64 v87, v[46:47]
	s_or_b32 exec_lo, exec_lo, s44
	s_and_saveexec_b32 s44, s8
	s_delay_alu instid0(SALU_CYCLE_1)
	s_xor_b32 s44, exec_lo, s44
	s_cbranch_execz .LBB129_19
.LBB129_1053:                           ;   in Loop: Header=BB129_3 Depth=1
	s_mov_b32 s45, exec_lo
	v_readlane_b32 s46, v102, 25
	s_and_b32 s46, s45, s46
	s_delay_alu instid0(SALU_CYCLE_1)
	s_mov_b32 exec_lo, s46
; %bb.1054:                             ;   in Loop: Header=BB129_3 Depth=1
	ds_store_b64 v88, v[28:29]
; %bb.1055:                             ;   in Loop: Header=BB129_3 Depth=1
	s_or_b32 exec_lo, exec_lo, s45
	s_and_not1_saveexec_b32 s44, s44
	s_cbranch_execz .LBB129_20
.LBB129_1056:                           ;   in Loop: Header=BB129_3 Depth=1
	v_lshl_add_u64 v[46:47], v[20:21], 3, v[0:1]
	flat_load_b64 v[46:47], v[46:47]
	s_wait_loadcnt_dscnt 0x0
	v_xor_b32_e32 v47, 0x80000000, v47
	ds_store_b64 v88, v[46:47]
	s_or_b32 exec_lo, exec_lo, s44
	s_and_saveexec_b32 s44, s9
	s_delay_alu instid0(SALU_CYCLE_1)
	s_xor_b32 s44, exec_lo, s44
	s_cbranch_execz .LBB129_21
.LBB129_1057:                           ;   in Loop: Header=BB129_3 Depth=1
	s_mov_b32 s45, exec_lo
	v_readlane_b32 s46, v102, 26
	s_and_b32 s46, s45, s46
	s_delay_alu instid0(SALU_CYCLE_1)
	s_mov_b32 exec_lo, s46
; %bb.1058:                             ;   in Loop: Header=BB129_3 Depth=1
	ds_store_b64 v89, v[28:29]
; %bb.1059:                             ;   in Loop: Header=BB129_3 Depth=1
	s_or_b32 exec_lo, exec_lo, s45
	s_and_not1_saveexec_b32 s44, s44
	s_cbranch_execnz .LBB129_22
	s_branch .LBB129_23
.LBB129_1060:                           ;   in Loop: Header=BB129_3 Depth=1
	ds_load_b64 v[40:41], v93
	ds_load_b64 v[42:43], v82
	s_wait_dscnt 0x0
	v_fma_f64 v[40:41], v[40:41], v[42:43], 0
	s_or_b32 exec_lo, exec_lo, s44
	s_and_saveexec_b32 s44, s7
	s_cbranch_execz .LBB129_1015
.LBB129_1061:                           ;   in Loop: Header=BB129_3 Depth=1
	ds_load_b64 v[42:43], v93 offset:8192
	ds_load_b64 v[46:47], v82 offset:128
	s_wait_dscnt 0x0
	v_fmac_f64_e32 v[40:41], v[42:43], v[46:47]
	s_or_b32 exec_lo, exec_lo, s44
	s_and_saveexec_b32 s44, s8
	s_cbranch_execz .LBB129_1016
.LBB129_1062:                           ;   in Loop: Header=BB129_3 Depth=1
	ds_load_b64 v[42:43], v93 offset:16384
	ds_load_b64 v[46:47], v82 offset:256
	s_wait_dscnt 0x0
	v_fmac_f64_e32 v[40:41], v[42:43], v[46:47]
	s_or_b32 exec_lo, exec_lo, s44
	s_and_saveexec_b32 s44, s9
	s_cbranch_execnz .LBB129_1017
	s_branch .LBB129_1018
.LBB129_1063:                           ;   in Loop: Header=BB129_3 Depth=1
	s_or_b32 exec_lo, exec_lo, s83
	s_delay_alu instid0(SALU_CYCLE_1)
	s_and_b32 vcc_lo, exec_lo, s44
	s_cbranch_vccnz .LBB129_1021
.LBB129_1064:                           ;   in Loop: Header=BB129_3 Depth=1
	s_delay_alu instid0(VALU_DEP_1)
	v_mov_b64_e32 v[44:45], v[42:43]
	s_and_saveexec_b32 s44, s82
	s_cbranch_execnz .LBB129_1042
	s_branch .LBB129_1043
.LBB129_1065:                           ;   in Loop: Header=BB129_3 Depth=1
	s_and_not1_b32 s45, s82, exec_lo
	s_and_b32 s46, s2, exec_lo
	s_delay_alu instid0(SALU_CYCLE_1)
	s_or_b32 s82, s45, s46
	s_cbranch_execnz .LBB129_1041
.LBB129_1066:                           ;   in Loop: Header=BB129_3 Depth=1
	v_readlane_b32 s45, v103, 12
	s_and_not1_b32 s44, s82, exec_lo
	s_and_b32 s45, s45, exec_lo
	s_delay_alu instid0(SALU_CYCLE_1) | instskip(NEXT) | instid1(SALU_CYCLE_1)
	s_or_b32 s82, s44, s45
	s_and_saveexec_b32 s44, s82
	s_cbranch_execnz .LBB129_1042
	s_branch .LBB129_1043
.LBB129_1067:                           ;   in Loop: Header=BB129_3 Depth=1
	ds_load_b64 v[46:47], v58 offset:544
	ds_load_b64 v[48:49], v53 offset:8
	s_wait_dscnt 0x0
	v_fmac_f64_e32 v[0:1], v[46:47], v[48:49]
	s_or_b32 exec_lo, exec_lo, s45
	s_and_saveexec_b32 s45, s13
	s_cbranch_execz .LBB129_72
.LBB129_1068:                           ;   in Loop: Header=BB129_3 Depth=1
	ds_load_b64 v[46:47], v57 offset:1056
	ds_load_b64 v[48:49], v53 offset:16
	s_wait_dscnt 0x0
	v_fmac_f64_e32 v[0:1], v[46:47], v[48:49]
	s_or_b32 exec_lo, exec_lo, s45
	s_and_saveexec_b32 s45, s1
	s_cbranch_execnz .LBB129_73
	s_branch .LBB129_74
.LBB129_1069:                           ;   in Loop: Header=BB129_3 Depth=1
	ds_load_b64 v[46:47], v67 offset:576
	ds_load_b64 v[48:49], v61 offset:8
	s_wait_dscnt 0x0
	v_fmac_f64_e32 v[0:1], v[46:47], v[48:49]
	s_or_b32 exec_lo, exec_lo, s45
	s_and_saveexec_b32 s45, s15
	s_cbranch_execz .LBB129_114
.LBB129_1070:                           ;   in Loop: Header=BB129_3 Depth=1
	ds_load_b64 v[46:47], v67 offset:1088
	ds_load_b64 v[48:49], v61 offset:16
	s_wait_dscnt 0x0
	v_fmac_f64_e32 v[0:1], v[46:47], v[48:49]
	s_or_b32 exec_lo, exec_lo, s45
	s_and_saveexec_b32 s45, s16
	s_cbranch_execz .LBB129_115
.LBB129_1071:                           ;   in Loop: Header=BB129_3 Depth=1
	ds_load_b64 v[46:47], v67 offset:1600
	ds_load_b64 v[48:49], v61 offset:24
	s_wait_dscnt 0x0
	v_fmac_f64_e32 v[0:1], v[46:47], v[48:49]
	s_or_b32 exec_lo, exec_lo, s45
	s_and_saveexec_b32 s45, s17
	s_cbranch_execz .LBB129_116
.LBB129_1072:                           ;   in Loop: Header=BB129_3 Depth=1
	ds_load_b64 v[46:47], v66 offset:2112
	ds_load_b64 v[48:49], v61 offset:32
	s_wait_dscnt 0x0
	v_fmac_f64_e32 v[0:1], v[46:47], v[48:49]
	s_or_b32 exec_lo, exec_lo, s45
	s_and_saveexec_b32 s45, s18
	s_cbranch_execz .LBB129_117
.LBB129_1073:                           ;   in Loop: Header=BB129_3 Depth=1
	ds_load_b64 v[46:47], v67 offset:2624
	ds_load_b64 v[48:49], v61 offset:40
	s_wait_dscnt 0x0
	v_fmac_f64_e32 v[0:1], v[46:47], v[48:49]
	s_or_b32 exec_lo, exec_lo, s45
	s_and_saveexec_b32 s45, s3
	s_cbranch_execz .LBB129_118
.LBB129_1074:                           ;   in Loop: Header=BB129_3 Depth=1
	ds_load_b64 v[46:47], v66 offset:3136
	ds_load_b64 v[48:49], v61 offset:48
	s_wait_dscnt 0x0
	v_fmac_f64_e32 v[0:1], v[46:47], v[48:49]
	s_or_b32 exec_lo, exec_lo, s45
	s_and_saveexec_b32 s45, s13
	s_cbranch_execnz .LBB129_119
	s_branch .LBB129_120
.LBB129_1075:                           ;   in Loop: Header=BB129_3 Depth=1
	ds_load_b64 v[46:47], v58 offset:4704
	ds_load_b64 v[48:49], v53 offset:4168
	s_wait_dscnt 0x0
	v_fmac_f64_e32 v[0:1], v[46:47], v[48:49]
	s_or_b32 exec_lo, exec_lo, s45
	s_and_saveexec_b32 s45, s13
	s_cbranch_execz .LBB129_176
.LBB129_1076:                           ;   in Loop: Header=BB129_3 Depth=1
	ds_load_b64 v[46:47], v57 offset:5216
	ds_load_b64 v[48:49], v53 offset:4176
	s_wait_dscnt 0x0
	v_fmac_f64_e32 v[0:1], v[46:47], v[48:49]
	s_or_b32 exec_lo, exec_lo, s45
	s_and_saveexec_b32 s45, s1
	s_cbranch_execnz .LBB129_177
	s_branch .LBB129_178
.LBB129_1077:                           ;   in Loop: Header=BB129_3 Depth=1
	ds_load_b64 v[46:47], v78 offset:5760
	ds_load_b64 v[48:49], v73 offset:88
	s_wait_dscnt 0x0
	v_fmac_f64_e32 v[0:1], v[46:47], v[48:49]
	s_or_b32 exec_lo, exec_lo, s44
	s_and_saveexec_b32 s44, s4
	s_cbranch_execz .LBB129_238
.LBB129_1078:                           ;   in Loop: Header=BB129_3 Depth=1
	ds_load_b64 v[46:47], v77 offset:6272
	ds_load_b64 v[48:49], v73 offset:96
	s_wait_dscnt 0x0
	v_fmac_f64_e32 v[0:1], v[46:47], v[48:49]
	s_or_b32 exec_lo, exec_lo, s44
	s_and_saveexec_b32 s44, s15
	s_cbranch_execz .LBB129_239
.LBB129_1079:                           ;   in Loop: Header=BB129_3 Depth=1
	ds_load_b64 v[46:47], v78 offset:6784
	ds_load_b64 v[48:49], v73 offset:104
	s_wait_dscnt 0x0
	v_fmac_f64_e32 v[0:1], v[46:47], v[48:49]
	s_or_b32 exec_lo, exec_lo, s44
	s_and_saveexec_b32 s44, s17
	s_cbranch_execz .LBB129_240
.LBB129_1080:                           ;   in Loop: Header=BB129_3 Depth=1
	ds_load_b64 v[46:47], v77 offset:7296
	ds_load_b64 v[48:49], v73 offset:112
	s_wait_dscnt 0x0
	v_fmac_f64_e32 v[0:1], v[46:47], v[48:49]
	s_or_b32 exec_lo, exec_lo, s44
	s_and_saveexec_b32 s44, s3
	s_cbranch_execnz .LBB129_241
	s_branch .LBB129_242
.LBB129_1081:                           ;   in Loop: Header=BB129_3 Depth=1
	ds_load_b64 v[46:47], v58 offset:8864
	ds_load_b64 v[48:49], v53 offset:8328
	s_wait_dscnt 0x0
	v_fmac_f64_e32 v[0:1], v[46:47], v[48:49]
	s_or_b32 exec_lo, exec_lo, s45
	s_and_saveexec_b32 s45, s13
	s_cbranch_execz .LBB129_330
.LBB129_1082:                           ;   in Loop: Header=BB129_3 Depth=1
	ds_load_b64 v[46:47], v57 offset:9376
	ds_load_b64 v[48:49], v53 offset:8336
	s_wait_dscnt 0x0
	v_fmac_f64_e32 v[0:1], v[46:47], v[48:49]
	s_or_b32 exec_lo, exec_lo, s45
	s_and_saveexec_b32 s45, s1
	s_cbranch_execnz .LBB129_331
	s_branch .LBB129_332
.LBB129_1083:                           ;   in Loop: Header=BB129_3 Depth=1
	ds_load_b64 v[46:47], v67 offset:8896
	ds_load_b64 v[48:49], v61 offset:8328
	s_wait_dscnt 0x0
	v_fmac_f64_e32 v[0:1], v[46:47], v[48:49]
	s_or_b32 exec_lo, exec_lo, s45
	s_and_saveexec_b32 s45, s15
	s_cbranch_execz .LBB129_372
.LBB129_1084:                           ;   in Loop: Header=BB129_3 Depth=1
	ds_load_b64 v[46:47], v67 offset:9408
	ds_load_b64 v[48:49], v61 offset:8336
	s_wait_dscnt 0x0
	v_fmac_f64_e32 v[0:1], v[46:47], v[48:49]
	s_or_b32 exec_lo, exec_lo, s45
	s_and_saveexec_b32 s45, s16
	s_cbranch_execz .LBB129_373
.LBB129_1085:                           ;   in Loop: Header=BB129_3 Depth=1
	ds_load_b64 v[46:47], v67 offset:9920
	ds_load_b64 v[48:49], v61 offset:8344
	s_wait_dscnt 0x0
	v_fmac_f64_e32 v[0:1], v[46:47], v[48:49]
	s_or_b32 exec_lo, exec_lo, s45
	s_and_saveexec_b32 s45, s17
	s_cbranch_execz .LBB129_374
.LBB129_1086:                           ;   in Loop: Header=BB129_3 Depth=1
	ds_load_b64 v[46:47], v66 offset:10432
	ds_load_b64 v[48:49], v61 offset:8352
	s_wait_dscnt 0x0
	v_fmac_f64_e32 v[0:1], v[46:47], v[48:49]
	s_or_b32 exec_lo, exec_lo, s45
	s_and_saveexec_b32 s45, s18
	s_cbranch_execz .LBB129_375
.LBB129_1087:                           ;   in Loop: Header=BB129_3 Depth=1
	ds_load_b64 v[46:47], v67 offset:10944
	ds_load_b64 v[48:49], v61 offset:8360
	s_wait_dscnt 0x0
	v_fmac_f64_e32 v[0:1], v[46:47], v[48:49]
	s_or_b32 exec_lo, exec_lo, s45
	s_and_saveexec_b32 s45, s3
	s_cbranch_execz .LBB129_376
.LBB129_1088:                           ;   in Loop: Header=BB129_3 Depth=1
	ds_load_b64 v[46:47], v66 offset:11456
	ds_load_b64 v[48:49], v61 offset:8368
	s_wait_dscnt 0x0
	v_fmac_f64_e32 v[0:1], v[46:47], v[48:49]
	s_or_b32 exec_lo, exec_lo, s45
	s_and_saveexec_b32 s45, s13
	s_cbranch_execnz .LBB129_377
	s_branch .LBB129_378
.LBB129_1089:                           ;   in Loop: Header=BB129_3 Depth=1
	ds_load_b64 v[46:47], v58 offset:13024
	ds_load_b64 v[48:49], v53 offset:12488
	s_wait_dscnt 0x0
	v_fmac_f64_e32 v[0:1], v[46:47], v[48:49]
	s_or_b32 exec_lo, exec_lo, s45
	s_and_saveexec_b32 s45, s13
	s_cbranch_execz .LBB129_434
.LBB129_1090:                           ;   in Loop: Header=BB129_3 Depth=1
	ds_load_b64 v[46:47], v57 offset:13536
	ds_load_b64 v[48:49], v53 offset:12496
	s_wait_dscnt 0x0
	v_fmac_f64_e32 v[0:1], v[46:47], v[48:49]
	s_or_b32 exec_lo, exec_lo, s45
	s_and_saveexec_b32 s45, s1
	s_cbranch_execnz .LBB129_435
	s_branch .LBB129_436
.LBB129_1091:                           ;   in Loop: Header=BB129_3 Depth=1
	ds_load_b64 v[46:47], v83 offset:15104
	ds_load_b64 v[48:49], v2 offset:232
	s_wait_dscnt 0x0
	v_fmac_f64_e32 v[0:1], v[46:47], v[48:49]
	s_or_b32 exec_lo, exec_lo, s44
	s_and_saveexec_b32 s44, s4
	s_cbranch_execz .LBB129_532
.LBB129_1092:                           ;   in Loop: Header=BB129_3 Depth=1
	ds_load_b64 v[46:47], v83 offset:15616
	ds_load_b64 v[48:49], v2 offset:240
	s_wait_dscnt 0x0
	v_fmac_f64_e32 v[0:1], v[46:47], v[48:49]
	s_or_b32 exec_lo, exec_lo, s44
	s_and_saveexec_b32 s44, s17
	s_cbranch_execnz .LBB129_533
	s_branch .LBB129_534
.LBB129_1093:                           ;   in Loop: Header=BB129_3 Depth=1
	ds_load_b64 v[46:47], v58 offset:17184
	ds_load_b64 v[48:49], v53 offset:16648
	s_wait_dscnt 0x0
	v_fmac_f64_e32 v[0:1], v[46:47], v[48:49]
	s_or_b32 exec_lo, exec_lo, s45
	s_and_saveexec_b32 s45, s13
	s_cbranch_execz .LBB129_578
.LBB129_1094:                           ;   in Loop: Header=BB129_3 Depth=1
	ds_load_b64 v[46:47], v57 offset:17696
	ds_load_b64 v[48:49], v53 offset:16656
	s_wait_dscnt 0x0
	v_fmac_f64_e32 v[0:1], v[46:47], v[48:49]
	s_or_b32 exec_lo, exec_lo, s45
	s_and_saveexec_b32 s45, s1
	s_cbranch_execnz .LBB129_579
	s_branch .LBB129_580
.LBB129_1095:                           ;   in Loop: Header=BB129_3 Depth=1
	ds_load_b64 v[46:47], v67 offset:17216
	ds_load_b64 v[48:49], v61 offset:16648
	s_wait_dscnt 0x0
	v_fmac_f64_e32 v[0:1], v[46:47], v[48:49]
	s_or_b32 exec_lo, exec_lo, s45
	s_and_saveexec_b32 s45, s15
	s_cbranch_execz .LBB129_620
.LBB129_1096:                           ;   in Loop: Header=BB129_3 Depth=1
	ds_load_b64 v[46:47], v67 offset:17728
	ds_load_b64 v[48:49], v61 offset:16656
	s_wait_dscnt 0x0
	v_fmac_f64_e32 v[0:1], v[46:47], v[48:49]
	s_or_b32 exec_lo, exec_lo, s45
	s_and_saveexec_b32 s45, s16
	s_cbranch_execz .LBB129_621
.LBB129_1097:                           ;   in Loop: Header=BB129_3 Depth=1
	ds_load_b64 v[46:47], v67 offset:18240
	ds_load_b64 v[48:49], v61 offset:16664
	s_wait_dscnt 0x0
	v_fmac_f64_e32 v[0:1], v[46:47], v[48:49]
	s_or_b32 exec_lo, exec_lo, s45
	s_and_saveexec_b32 s45, s17
	s_cbranch_execz .LBB129_622
.LBB129_1098:                           ;   in Loop: Header=BB129_3 Depth=1
	ds_load_b64 v[46:47], v66 offset:18752
	ds_load_b64 v[48:49], v61 offset:16672
	s_wait_dscnt 0x0
	v_fmac_f64_e32 v[0:1], v[46:47], v[48:49]
	s_or_b32 exec_lo, exec_lo, s45
	s_and_saveexec_b32 s45, s18
	s_cbranch_execz .LBB129_623
.LBB129_1099:                           ;   in Loop: Header=BB129_3 Depth=1
	ds_load_b64 v[46:47], v67 offset:19264
	ds_load_b64 v[48:49], v61 offset:16680
	s_wait_dscnt 0x0
	v_fmac_f64_e32 v[0:1], v[46:47], v[48:49]
	s_or_b32 exec_lo, exec_lo, s45
	s_and_saveexec_b32 s45, s3
	s_cbranch_execz .LBB129_624
.LBB129_1100:                           ;   in Loop: Header=BB129_3 Depth=1
	ds_load_b64 v[46:47], v66 offset:19776
	ds_load_b64 v[48:49], v61 offset:16688
	s_wait_dscnt 0x0
	v_fmac_f64_e32 v[0:1], v[46:47], v[48:49]
	s_or_b32 exec_lo, exec_lo, s45
	s_and_saveexec_b32 s45, s13
	s_cbranch_execnz .LBB129_625
	s_branch .LBB129_626
.LBB129_1101:                           ;   in Loop: Header=BB129_3 Depth=1
	ds_load_b64 v[46:47], v58 offset:21344
	ds_load_b64 v[48:49], v53 offset:20808
	s_wait_dscnt 0x0
	v_fmac_f64_e32 v[0:1], v[46:47], v[48:49]
	s_or_b32 exec_lo, exec_lo, s45
	s_and_saveexec_b32 s45, s13
	s_cbranch_execz .LBB129_682
.LBB129_1102:                           ;   in Loop: Header=BB129_3 Depth=1
	ds_load_b64 v[46:47], v57 offset:21856
	ds_load_b64 v[48:49], v53 offset:20816
	s_wait_dscnt 0x0
	v_fmac_f64_e32 v[0:1], v[46:47], v[48:49]
	s_or_b32 exec_lo, exec_lo, s45
	s_and_saveexec_b32 s45, s1
	s_cbranch_execnz .LBB129_683
	s_branch .LBB129_684
.LBB129_1103:                           ;   in Loop: Header=BB129_3 Depth=1
	ds_load_b64 v[46:47], v78 offset:22400
	ds_load_b64 v[48:49], v73 offset:16728
	s_wait_dscnt 0x0
	v_fmac_f64_e32 v[0:1], v[46:47], v[48:49]
	s_or_b32 exec_lo, exec_lo, s44
	s_and_saveexec_b32 s44, s4
	s_cbranch_execz .LBB129_744
.LBB129_1104:                           ;   in Loop: Header=BB129_3 Depth=1
	ds_load_b64 v[46:47], v77 offset:22912
	ds_load_b64 v[48:49], v73 offset:16736
	s_wait_dscnt 0x0
	v_fmac_f64_e32 v[0:1], v[46:47], v[48:49]
	s_or_b32 exec_lo, exec_lo, s44
	s_and_saveexec_b32 s44, s15
	s_cbranch_execz .LBB129_745
.LBB129_1105:                           ;   in Loop: Header=BB129_3 Depth=1
	ds_load_b64 v[46:47], v78 offset:23424
	ds_load_b64 v[48:49], v73 offset:16744
	s_wait_dscnt 0x0
	v_fmac_f64_e32 v[0:1], v[46:47], v[48:49]
	s_or_b32 exec_lo, exec_lo, s44
	s_and_saveexec_b32 s44, s17
	s_cbranch_execz .LBB129_746
.LBB129_1106:                           ;   in Loop: Header=BB129_3 Depth=1
	ds_load_b64 v[46:47], v77 offset:23936
	ds_load_b64 v[48:49], v73 offset:16752
	s_wait_dscnt 0x0
	v_fmac_f64_e32 v[0:1], v[46:47], v[48:49]
	s_or_b32 exec_lo, exec_lo, s44
	s_and_saveexec_b32 s44, s3
	s_cbranch_execnz .LBB129_747
	s_branch .LBB129_748
.LBB129_1107:                           ;   in Loop: Header=BB129_3 Depth=1
	ds_load_b64 v[46:47], v58 offset:25504
	ds_load_b64 v[48:49], v53 offset:24968
	s_wait_dscnt 0x0
	v_fmac_f64_e32 v[0:1], v[46:47], v[48:49]
	s_or_b32 exec_lo, exec_lo, s45
	s_and_saveexec_b32 s45, s13
	s_cbranch_execz .LBB129_836
.LBB129_1108:                           ;   in Loop: Header=BB129_3 Depth=1
	ds_load_b64 v[46:47], v57 offset:26016
	ds_load_b64 v[48:49], v53 offset:24976
	s_wait_dscnt 0x0
	v_fmac_f64_e32 v[0:1], v[46:47], v[48:49]
	s_or_b32 exec_lo, exec_lo, s45
	s_and_saveexec_b32 s45, s1
	s_cbranch_execnz .LBB129_837
	s_branch .LBB129_838
.LBB129_1109:                           ;   in Loop: Header=BB129_3 Depth=1
	ds_load_b64 v[46:47], v67 offset:25536
	ds_load_b64 v[48:49], v61 offset:24968
	s_wait_dscnt 0x0
	v_fmac_f64_e32 v[0:1], v[46:47], v[48:49]
	s_or_b32 exec_lo, exec_lo, s45
	s_and_saveexec_b32 s45, s15
	s_cbranch_execz .LBB129_878
.LBB129_1110:                           ;   in Loop: Header=BB129_3 Depth=1
	ds_load_b64 v[46:47], v67 offset:26048
	ds_load_b64 v[48:49], v61 offset:24976
	s_wait_dscnt 0x0
	v_fmac_f64_e32 v[0:1], v[46:47], v[48:49]
	s_or_b32 exec_lo, exec_lo, s45
	s_and_saveexec_b32 s45, s16
	s_cbranch_execz .LBB129_879
.LBB129_1111:                           ;   in Loop: Header=BB129_3 Depth=1
	ds_load_b64 v[46:47], v67 offset:26560
	ds_load_b64 v[48:49], v61 offset:24984
	s_wait_dscnt 0x0
	v_fmac_f64_e32 v[0:1], v[46:47], v[48:49]
	s_or_b32 exec_lo, exec_lo, s45
	s_and_saveexec_b32 s45, s17
	s_cbranch_execz .LBB129_880
.LBB129_1112:                           ;   in Loop: Header=BB129_3 Depth=1
	ds_load_b64 v[46:47], v66 offset:27072
	ds_load_b64 v[48:49], v61 offset:24992
	s_wait_dscnt 0x0
	v_fmac_f64_e32 v[0:1], v[46:47], v[48:49]
	s_or_b32 exec_lo, exec_lo, s45
	s_and_saveexec_b32 s45, s18
	s_cbranch_execz .LBB129_881
.LBB129_1113:                           ;   in Loop: Header=BB129_3 Depth=1
	ds_load_b64 v[46:47], v67 offset:27584
	ds_load_b64 v[48:49], v61 offset:25000
	s_wait_dscnt 0x0
	v_fmac_f64_e32 v[0:1], v[46:47], v[48:49]
	s_or_b32 exec_lo, exec_lo, s45
	s_and_saveexec_b32 s45, s3
	s_cbranch_execz .LBB129_882
.LBB129_1114:                           ;   in Loop: Header=BB129_3 Depth=1
	ds_load_b64 v[46:47], v66 offset:28096
	ds_load_b64 v[48:49], v61 offset:25008
	s_wait_dscnt 0x0
	v_fmac_f64_e32 v[0:1], v[46:47], v[48:49]
	s_or_b32 exec_lo, exec_lo, s45
	s_and_saveexec_b32 s45, s13
	s_cbranch_execnz .LBB129_883
	s_branch .LBB129_884
.LBB129_1115:                           ;   in Loop: Header=BB129_3 Depth=1
	ds_load_b64 v[46:47], v58 offset:29664
	ds_load_b64 v[48:49], v53 offset:29128
	s_wait_dscnt 0x0
	v_fmac_f64_e32 v[0:1], v[46:47], v[48:49]
	s_or_b32 exec_lo, exec_lo, s45
	s_and_saveexec_b32 s45, s13
	s_cbranch_execz .LBB129_940
.LBB129_1116:                           ;   in Loop: Header=BB129_3 Depth=1
	ds_load_b64 v[46:47], v57 offset:30176
	ds_load_b64 v[48:49], v53 offset:29136
	s_wait_dscnt 0x0
	v_fmac_f64_e32 v[0:1], v[46:47], v[48:49]
	s_or_b32 exec_lo, exec_lo, s45
	s_and_saveexec_b32 s45, s1
	s_cbranch_execnz .LBB129_941
	s_branch .LBB129_942
.LBB129_1117:
	s_endpgm
	.section	.rodata,"a",@progbits
	.p2align	6, 0x0
	.amdhsa_kernel _ZL19rocblas_trsv_deviceILi64ELi16ELb1ELb1ELb1ELb1EdPKdPKS1_PKPdEviT7_lllT6_T8_lllPii
		.amdhsa_group_segment_fixed_size 41480
		.amdhsa_private_segment_fixed_size 0
		.amdhsa_kernarg_size 352
		.amdhsa_user_sgpr_count 2
		.amdhsa_user_sgpr_dispatch_ptr 0
		.amdhsa_user_sgpr_queue_ptr 0
		.amdhsa_user_sgpr_kernarg_segment_ptr 1
		.amdhsa_user_sgpr_dispatch_id 0
		.amdhsa_user_sgpr_kernarg_preload_length 0
		.amdhsa_user_sgpr_kernarg_preload_offset 0
		.amdhsa_user_sgpr_private_segment_size 0
		.amdhsa_wavefront_size32 1
		.amdhsa_uses_dynamic_stack 0
		.amdhsa_enable_private_segment 0
		.amdhsa_system_sgpr_workgroup_id_x 1
		.amdhsa_system_sgpr_workgroup_id_y 0
		.amdhsa_system_sgpr_workgroup_id_z 1
		.amdhsa_system_sgpr_workgroup_info 0
		.amdhsa_system_vgpr_workitem_id 1
		.amdhsa_next_free_vgpr 104
		.amdhsa_next_free_sgpr 105
		.amdhsa_named_barrier_count 0
		.amdhsa_reserve_vcc 1
		.amdhsa_float_round_mode_32 0
		.amdhsa_float_round_mode_16_64 0
		.amdhsa_float_denorm_mode_32 3
		.amdhsa_float_denorm_mode_16_64 3
		.amdhsa_fp16_overflow 0
		.amdhsa_memory_ordered 1
		.amdhsa_forward_progress 1
		.amdhsa_inst_pref_size 241
		.amdhsa_round_robin_scheduling 0
		.amdhsa_exception_fp_ieee_invalid_op 0
		.amdhsa_exception_fp_denorm_src 0
		.amdhsa_exception_fp_ieee_div_zero 0
		.amdhsa_exception_fp_ieee_overflow 0
		.amdhsa_exception_fp_ieee_underflow 0
		.amdhsa_exception_fp_ieee_inexact 0
		.amdhsa_exception_int_div_zero 0
	.end_amdhsa_kernel
	.section	.text._ZL19rocblas_trsv_deviceILi64ELi16ELb1ELb1ELb1ELb1EdPKdPKS1_PKPdEviT7_lllT6_T8_lllPii,"axG",@progbits,_ZL19rocblas_trsv_deviceILi64ELi16ELb1ELb1ELb1ELb1EdPKdPKS1_PKPdEviT7_lllT6_T8_lllPii,comdat
.Lfunc_end129:
	.size	_ZL19rocblas_trsv_deviceILi64ELi16ELb1ELb1ELb1ELb1EdPKdPKS1_PKPdEviT7_lllT6_T8_lllPii, .Lfunc_end129-_ZL19rocblas_trsv_deviceILi64ELi16ELb1ELb1ELb1ELb1EdPKdPKS1_PKPdEviT7_lllT6_T8_lllPii
                                        ; -- End function
	.set _ZL19rocblas_trsv_deviceILi64ELi16ELb1ELb1ELb1ELb1EdPKdPKS1_PKPdEviT7_lllT6_T8_lllPii.num_vgpr, 104
	.set _ZL19rocblas_trsv_deviceILi64ELi16ELb1ELb1ELb1ELb1EdPKdPKS1_PKPdEviT7_lllT6_T8_lllPii.num_agpr, 0
	.set _ZL19rocblas_trsv_deviceILi64ELi16ELb1ELb1ELb1ELb1EdPKdPKS1_PKPdEviT7_lllT6_T8_lllPii.numbered_sgpr, 105
	.set _ZL19rocblas_trsv_deviceILi64ELi16ELb1ELb1ELb1ELb1EdPKdPKS1_PKPdEviT7_lllT6_T8_lllPii.num_named_barrier, 0
	.set _ZL19rocblas_trsv_deviceILi64ELi16ELb1ELb1ELb1ELb1EdPKdPKS1_PKPdEviT7_lllT6_T8_lllPii.private_seg_size, 0
	.set _ZL19rocblas_trsv_deviceILi64ELi16ELb1ELb1ELb1ELb1EdPKdPKS1_PKPdEviT7_lllT6_T8_lllPii.uses_vcc, 1
	.set _ZL19rocblas_trsv_deviceILi64ELi16ELb1ELb1ELb1ELb1EdPKdPKS1_PKPdEviT7_lllT6_T8_lllPii.uses_flat_scratch, 0
	.set _ZL19rocblas_trsv_deviceILi64ELi16ELb1ELb1ELb1ELb1EdPKdPKS1_PKPdEviT7_lllT6_T8_lllPii.has_dyn_sized_stack, 0
	.set _ZL19rocblas_trsv_deviceILi64ELi16ELb1ELb1ELb1ELb1EdPKdPKS1_PKPdEviT7_lllT6_T8_lllPii.has_recursion, 0
	.set _ZL19rocblas_trsv_deviceILi64ELi16ELb1ELb1ELb1ELb1EdPKdPKS1_PKPdEviT7_lllT6_T8_lllPii.has_indirect_call, 0
	.section	.AMDGPU.csdata,"",@progbits
; Kernel info:
; codeLenInByte = 30776
; TotalNumSgprs: 107
; NumVgprs: 104
; ScratchSize: 0
; MemoryBound: 0
; FloatMode: 240
; IeeeMode: 1
; LDSByteSize: 41480 bytes/workgroup (compile time only)
; SGPRBlocks: 0
; VGPRBlocks: 6
; NumSGPRsForWavesPerEU: 107
; NumVGPRsForWavesPerEU: 104
; NamedBarCnt: 0
; Occupancy: 9
; WaveLimiterHint : 1
; COMPUTE_PGM_RSRC2:SCRATCH_EN: 0
; COMPUTE_PGM_RSRC2:USER_SGPR: 2
; COMPUTE_PGM_RSRC2:TRAP_HANDLER: 0
; COMPUTE_PGM_RSRC2:TGID_X_EN: 1
; COMPUTE_PGM_RSRC2:TGID_Y_EN: 0
; COMPUTE_PGM_RSRC2:TGID_Z_EN: 1
; COMPUTE_PGM_RSRC2:TIDIG_COMP_CNT: 1
	.section	.text._ZL19rocblas_trsv_deviceILi64ELi16ELb1ELb0ELb0ELb0EdPKdPKS1_PKPdEviT7_lllT6_T8_lllPii,"axG",@progbits,_ZL19rocblas_trsv_deviceILi64ELi16ELb1ELb0ELb0ELb0EdPKdPKS1_PKPdEviT7_lllT6_T8_lllPii,comdat
	.globl	_ZL19rocblas_trsv_deviceILi64ELi16ELb1ELb0ELb0ELb0EdPKdPKS1_PKPdEviT7_lllT6_T8_lllPii ; -- Begin function _ZL19rocblas_trsv_deviceILi64ELi16ELb1ELb0ELb0ELb0EdPKdPKS1_PKPdEviT7_lllT6_T8_lllPii
	.p2align	8
	.type	_ZL19rocblas_trsv_deviceILi64ELi16ELb1ELb0ELb0ELb0EdPKdPKS1_PKPdEviT7_lllT6_T8_lllPii,@function
_ZL19rocblas_trsv_deviceILi64ELi16ELb1ELb0ELb0ELb0EdPKdPKS1_PKPdEviT7_lllT6_T8_lllPii: ; @_ZL19rocblas_trsv_deviceILi64ELi16ELb1ELb0ELb0ELb0EdPKdPKS1_PKPdEviT7_lllT6_T8_lllPii
; %bb.0:
	s_load_b32 s96, s[0:1], 0x58
	s_bfe_u32 s2, ttmp6, 0x40014
	s_lshr_b32 s3, ttmp7, 16
	s_add_co_i32 s2, s2, 1
	s_bfe_u32 s5, ttmp6, 0x40008
	s_mul_i32 s4, s3, s2
	s_getreg_b32 s2, hwreg(HW_REG_IB_STS2, 6, 4)
	s_add_co_i32 s5, s5, s4
	s_cmp_eq_u32 s2, 0
	s_mov_b32 s71, 0
	s_cselect_b32 s70, s3, s5
	s_wait_kmcnt 0x0
	s_cmp_ge_u32 s70, s96
	s_cbranch_scc1 .LBB130_1087
; %bb.1:
	s_clause 0x3
	s_load_b32 s3, s[0:1], 0x6c
	s_load_b32 s97, s[0:1], 0x0
	s_load_b64 s[84:85], s[0:1], 0x18
	s_load_b256 s[72:79], s[0:1], 0x28
	s_bfe_u32 s5, ttmp6, 0x4000c
	s_and_b32 s4, ttmp6, 15
	s_add_co_i32 s5, s5, 1
	s_clause 0x1
	s_load_b64 s[86:87], s[0:1], 0x50
	s_load_b128 s[80:83], s[0:1], 0x8
	s_wait_xcnt 0x0
	s_mul_i32 s0, ttmp9, s5
	v_bfe_u32 v44, v0, 10, 10
	s_add_co_i32 s4, s4, s0
	s_cmp_eq_u32 s2, 0
	v_mov_b32_e32 v1, 0
	s_cselect_b32 s98, ttmp9, s4
	v_and_b32_e32 v2, 0x3ff, v0
	v_lshlrev_b32_e32 v10, 6, v44
	v_sub_co_u32 v45, s5, s98, 1
	v_dual_mov_b32 v5, v1 :: v_dual_mov_b32 v3, v1
	s_wait_kmcnt 0x0
	s_add_co_i32 s0, s97, -1
	s_ashr_i32 s1, s97, 31
	s_and_b32 s2, s3, 0xffff
	s_ashr_i32 s3, s0, 31
	s_lshr_b32 s1, s1, 26
	s_lshr_b32 s3, s3, 26
	s_add_co_i32 s1, s97, s1
	s_add_co_i32 s0, s0, s3
	s_and_not1_b32 s1, s1, 63
	s_ashr_i32 s0, s0, 6
	s_sub_co_i32 s13, s97, s1
	s_cmp_eq_u32 s0, s98
	s_add_nc_u64 s[0:1], s[84:85], 1
	s_cselect_b32 s3, -1, 0
	s_cmp_lg_u32 s13, 0
	v_mad_u32_u24 v4, v44, s2, v2
	s_cselect_b32 s4, -1, 0
	s_lshl_b32 s10, s98, 6
	s_delay_alu instid0(SALU_CYCLE_1) | instskip(SKIP_3) | instid1(VALU_DEP_3)
	v_dual_add_nc_u32 v14, s10, v44 :: v_dual_bitop2_b32 v11, v10, v2 bitop3:0x14
	v_mad_nc_u64_u32 v[18:19], s0, s10, v[2:3]
	v_and_b32_e32 v3, v10, v2
	s_xor_b32 s2, s5, -1
	v_lshrrev_b16 v11, 1, v11
	v_subrev_nc_u32_e32 v12, 64, v14
	v_add_nc_u32_e32 v6, s10, v2
	s_ashr_i32 s11, s10, 31
                                        ; implicit-def: $vgpr90 : SGPR spill to VGPR lane
	s_and_b32 s12, s4, s3
	v_writelane_b32 v90, s2, 0
	s_delay_alu instid0(VALU_DEP_2) | instskip(SKIP_3) | instid1(VALU_DEP_1)
	v_dual_ashrrev_i32 v13, 31, v12 :: v_dual_ashrrev_i32 v7, 31, v6
	s_mul_i32 s1, s1, s10
	s_mul_i32 s2, s0, s11
	s_xor_b32 s100, s12, -1
	v_mul_u64_e32 v[8:9], s[84:85], v[12:13]
	v_lshrrev_b32_e32 v13, 10, v0
	v_add_nc_u16 v3, v3, v11
	v_dual_add_nc_u32 v35, v10, v2 :: v_dual_bitop2_b32 v11, 1, v0 bitop3:0x40
	v_add3_u32 v19, s2, s1, v19
	s_cmp_gt_i32 s98, 4
	s_delay_alu instid0(VALU_DEP_3) | instskip(NEXT) | instid1(VALU_DEP_3)
	v_and_b32_e32 v10, 0xffff, v3
	v_lshlrev_b32_e32 v15, 3, v11
	v_cmp_eq_u32_e64 s2, 1, v11
	v_dual_lshrrev_b32 v11, 2, v35 :: v_dual_lshlrev_b32 v48, 3, v2
	s_cselect_b32 s1, -1, 0
	v_bitop3_b32 v34, v0, v13, 0x3ff bitop3:0xa8
	s_and_b32 s101, s1, s100
	v_cmp_gt_u32_e64 s1, 4, v35
	v_lshl_add_u32 v3, v10, 3, 0x8000
	v_lshl_or_b32 v46, v10, 9, v15
	v_mul_u32_u24_e32 v47, 0x208, v10
	v_dual_lshlrev_b32 v10, 3, v11 :: v_dual_bitop2_b32 v13, 3, v0 bitop3:0x40
	v_mul_u32_u24_e32 v49, 0x208, v11
	s_xor_b32 s3, s2, -1
	s_and_b32 s103, s2, s1
	s_and_b32 s102, s3, s1
	v_cmp_gt_u32_e64 s2, 16, v35
	v_add_nc_u32_e32 v50, 0x8000, v10
	v_dual_lshlrev_b32 v51, 3, v13 :: v_dual_sub_nc_u32 v10, v49, v10
	v_cmp_eq_u32_e64 s3, 0, v13
	v_cmp_ne_u32_e64 s4, 0, v13
	v_cmp_eq_u32_e64 s5, 1, v13
	s_delay_alu instid0(VALU_DEP_4)
	v_lshl_or_b32 v52, v11, 9, v51
	v_dual_add_nc_u32 v53, v10, v51 :: v_dual_bitop2_b32 v11, 7, v0 bitop3:0x40
	s_and_b32 s104, s3, s2
	s_and_b32 vcc_hi, s4, s2
	v_cmp_lt_u32_e64 s3, 1, v13
	v_cmp_eq_u32_e64 s4, 2, v13
	s_and_b32 s36, s5, s2
	v_cmp_eq_u32_e64 s5, 3, v13
	v_cmp_lt_u32_e64 s6, 1, v11
	s_and_b32 s37, s3, s2
	s_and_b32 s38, s4, s2
	v_cmp_gt_u32_e64 s3, 64, v35
	v_cmp_eq_u32_e64 s4, 0, v11
	s_and_b32 s39, s5, s2
	v_cmp_ne_u32_e64 s5, 0, v11
	v_cmp_eq_u32_e64 s7, 2, v11
	v_cmp_lt_u32_e64 s8, 2, v11
	s_and_b32 s40, s4, s3
	v_cmp_eq_u32_e64 s4, 1, v11
	s_and_b32 s41, s5, s3
	s_and_b32 s43, s6, s3
	v_cmp_lt_u32_e64 s5, 3, v11
	v_cmp_eq_u32_e64 s6, 4, v11
	s_and_b32 s42, s4, s3
	v_cmp_eq_u32_e64 s4, 3, v11
	v_lshlrev_b32_e32 v55, 3, v11
	s_and_b32 s44, s7, s3
	s_and_b32 s45, s8, s3
	v_cmp_lt_u32_e64 s7, 4, v11
	v_cmp_eq_u32_e64 s8, 5, v11
	s_and_b32 s46, s4, s3
	s_and_b32 s47, s5, s3
	;; [unrolled: 1-line block ×3, first 2 shown]
	v_cmp_lt_u32_e64 s4, 5, v11
	v_cmp_eq_u32_e64 s5, 6, v11
	v_cmp_eq_u32_e64 s6, 7, v11
	v_and_b32_e32 v11, 15, v0
	s_and_b32 s49, s7, s3
	s_and_b32 s51, s4, s3
	;; [unrolled: 1-line block ×3, first 2 shown]
	v_cmp_gt_u32_e64 s4, 0x100, v35
	v_cmp_eq_u32_e64 s5, 0, v11
	s_and_b32 s53, s6, s3
	v_cmp_ne_u32_e64 s6, 0, v11
	v_cmp_eq_u32_e64 s7, 1, v11
	s_and_b32 s50, s8, s3
	s_and_b32 s5, s5, s4
	v_cmp_lt_u32_e64 s8, 1, v11
	v_writelane_b32 v90, s5, 1
	s_and_b32 s6, s6, s4
	v_cmp_eq_u32_e64 s5, 2, v11
	v_and_b32_e32 v13, 0x1fff8, v35
	v_lshrrev_b32_e32 v10, 3, v35
	v_writelane_b32 v90, s6, 2
	s_and_b32 s6, s7, s4
	s_and_b32 s5, s5, s4
	v_cmp_lt_u32_e64 s7, 3, v11
	v_mul_u32_u24_e32 v54, 0x208, v10
	v_writelane_b32 v90, s6, 3
	s_and_b32 s6, s8, s4
	v_cmp_eq_u32_e64 s8, 4, v11
	s_and_b32 s67, s7, s4
	v_cmp_eq_u32_e64 s7, 6, v11
	v_writelane_b32 v90, s6, 4
	v_cmp_lt_u32_e64 s6, 2, v11
	s_and_b32 s68, s8, s4
	v_cmp_lt_u32_e64 s8, 6, v11
	s_and_b32 s27, s7, s4
	v_writelane_b32 v90, s5, 5
	v_cmp_eq_u32_e64 s5, 3, v11
	s_and_b32 s6, s6, s4
	s_and_b32 s29, s8, s4
	v_cmp_lt_u32_e64 s7, 8, v11
	v_writelane_b32 v90, s6, 6
	s_and_b32 s5, s5, s4
	v_cmp_lt_u32_e64 s6, 4, v11
	v_cmp_eq_u32_e64 s8, 9, v11
	v_sub_nc_u32_e32 v15, v54, v13
	v_writelane_b32 v90, s5, 7
	v_cmp_eq_u32_e64 s5, 5, v11
	s_and_b32 s9, s6, s4
	v_cmp_lt_u32_e64 s6, 5, v11
	v_lshl_or_b32 v57, v10, 9, v55
	v_lshrrev_b32_e32 v10, 4, v35
	s_and_b32 s23, s5, s4
	v_cmp_eq_u32_e64 s5, 7, v11
	s_and_b32 s25, s6, s4
	v_cmp_lt_u32_e64 s6, 7, v11
	s_and_b32 s62, s7, s4
	s_and_b32 s63, s8, s4
	;; [unrolled: 1-line block ×3, first 2 shown]
	v_cmp_eq_u32_e64 s5, 8, v11
	s_and_b32 s34, s6, s4
	v_cmp_lt_u32_e64 s6, 9, v11
	v_cmp_eq_u32_e64 s7, 11, v11
	v_cmp_lt_u32_e64 s8, 11, v11
	s_and_b32 s61, s5, s4
	v_cmp_eq_u32_e64 s5, 10, v11
	s_and_b32 s64, s6, s4
	v_cmp_lt_u32_e64 s6, 10, v11
	v_cmp_le_i32_e64 s14, s13, v2
	v_add_nc_u32_e32 v56, 0x8000, v13
	s_and_b32 s24, s5, s4
	v_cmp_eq_u32_e64 s5, 12, v11
	v_dual_add_nc_u32 v58, v15, v55 :: v_dual_lshlrev_b32 v13, 3, v10
	v_mul_u32_u24_e32 v59, 0x208, v10
	v_lshlrev_b32_e32 v60, 3, v11
	s_and_b32 s33, s5, s4
	v_cmp_eq_u32_e64 s5, 13, v11
	s_and_b32 s26, s6, s4
	v_cmp_lt_u32_e64 s6, 12, v11
	s_and_b32 s28, s7, s4
	s_and_b32 s30, s8, s4
	;; [unrolled: 1-line block ×3, first 2 shown]
	v_cmp_eq_u32_e64 s5, 15, v11
	v_cmp_lt_u32_e64 s7, 13, v11
	v_cmp_eq_u32_e64 s8, 14, v11
	s_and_b32 s58, s14, s12
	v_cmp_gt_i32_e32 vcc_lo, s13, v2
	s_and_b32 s57, s5, s4
	v_cmp_eq_u32_e64 s5, 0, v44
	v_sub_nc_u32_e32 v15, v59, v13
	v_lshl_or_b32 v62, v10, 9, v60
	s_and_b32 s99, s6, s4
	v_dual_lshrrev_b32 v10, 5, v35 :: v_dual_bitop2_b32 v65, 31, v0 bitop3:0x40
	s_xor_b32 s6, s58, -1
	s_and_b32 s55, s7, s4
	s_and_b32 s56, s8, s4
	;; [unrolled: 1-line block ×3, first 2 shown]
	s_cmp_gt_i32 s98, 0
	v_cmp_gt_i32_e64 s0, s97, v6
	v_dual_lshlrev_b32 v64, 3, v10 :: v_dual_add_nc_u32 v63, v15, v60
	v_lshlrev_b32_e32 v66, 9, v10
	s_cselect_b32 s66, -1, 0
	s_and_b32 s6, s5, vcc_lo
	v_subrev_nc_u32_e32 v15, 48, v14
	v_cmp_gt_i32_e32 vcc_lo, s97, v12
	v_writelane_b32 v90, s6, 8
	v_add_nc_u64_e32 v[10:11], s[10:11], v[4:5]
	v_dual_add_nc_u32 v36, 16, v44 :: v_dual_add_nc_u32 v37, 32, v44
	v_add_nc_u32_e32 v0, s10, v4
	v_subrev_nc_u32_e32 v16, 32, v14
	v_cmp_gt_i32_e64 s6, s97, v15
	s_and_b32 s10, s0, vcc_lo
	v_dual_add_nc_u32 v38, 48, v44 :: v_dual_add_nc_u32 v17, -16, v14
	v_writelane_b32 v90, s10, 9
	v_cmp_gt_i32_e64 s7, s97, v16
	s_and_b32 s6, s0, s6
	v_cmp_le_i32_e32 vcc_lo, s13, v44
	v_cmp_gt_i32_e64 s8, s97, v17
	v_writelane_b32 v90, s6, 10
	s_and_b32 s6, s0, s7
	v_cmp_le_u32_e64 s11, v2, v36
	v_cmp_le_i32_e64 s12, s13, v36
	v_cmp_le_u32_e64 s16, v2, v37
	v_writelane_b32 v90, s6, 11
	s_and_b32 s6, s0, s8
	v_cmp_le_u32_e64 s8, v2, v44
	s_or_b32 s7, s12, s14
	v_cmp_le_u32_e64 s17, v2, v38
	v_writelane_b32 v90, s6, 12
	s_or_b32 s6, vcc_lo, s14
	v_cmp_le_i32_e32 vcc_lo, s13, v37
	s_or_b32 s6, s6, s8
	v_cmp_le_i32_e64 s13, s13, v38
	v_writelane_b32 v90, s8, 13
	v_cmp_ne_u32_e64 s10, v2, v44
	v_cmp_ne_u32_e64 s15, v2, v36
                                        ; implicit-def: $vgpr89 : SGPR spill to VGPR lane
	v_mul_u32_u24_e32 v69, 0x208, v65
	v_lshl_add_u32 v70, v44, 3, 0xa000
	v_writelane_b32 v90, s6, 14
	s_or_b32 s6, s7, s11
	s_or_b32 s7, s13, s14
	;; [unrolled: 1-line block ×3, first 2 shown]
	v_dual_lshlrev_b32 v20, 9, v65 :: v_dual_add_nc_u32 v75, v70, v48
	v_writelane_b32 v90, s11, 15
	v_cmp_gt_u32_e64 s11, 0x50, v35
	v_mul_u64_e32 v[10:11], s[78:79], v[10:11]
	s_delay_alu instid0(VALU_DEP_4)
	v_dual_sub_nc_u32 v28, v69, v20 :: v_dual_bitop2_b32 v41, v38, v2 bitop3:0x54
	v_writelane_b32 v90, s6, 16
	s_or_b32 s6, vcc_lo, s14
	v_or_b32_e32 v39, v36, v2
	s_or_b32 s6, s6, s16
	v_mul_u64_e32 v[20:21], s[78:79], v[6:7]
	v_writelane_b32 v90, s16, 17
	v_mul_u64_e32 v[22:23], s[78:79], v[0:1]
	v_add_nc_u32_e32 v61, 0x8000, v13
	v_mad_nc_u64_u32 v[12:13], s84, v44, v[18:19]
	v_mad_nc_u64_u32 v[14:15], s84, v36, v[18:19]
	v_writelane_b32 v90, s6, 18
	s_or_b32 s6, s7, s17
	v_cmp_ne_u32_e64 s7, v2, v38
	v_mad_nc_u64_u32 v[16:17], s84, v37, v[18:19]
	v_mad_nc_u64_u32 v[18:19], s84, v38, v[18:19]
	v_writelane_b32 v90, s17, 19
                                        ; implicit-def: $vgpr88 : SGPR spill to VGPR lane
	v_or_b32_e32 v40, v37, v2
	v_mov_b64_e32 v[24:25], 0
	v_cmp_lt_u32_e32 vcc_lo, 0x3ff, v35
	v_mad_u32 v13, s85, v44, v13
	v_writelane_b32 v90, s6, 20
	v_cmp_ne_u32_e64 s6, v2, v37
	v_mad_u32 v15, s85, v36, v15
	v_add_nc_u32_e32 v67, 0x8000, v64
	v_mad_u32 v17, s85, v37, v17
	v_writelane_b32 v90, s10, 21
	v_mad_u32 v19, s85, v38, v19
	v_lshl_or_b32 v68, v65, 3, v66
	v_lshl_add_u32 v71, v4, 3, 0xa000
	v_lshl_add_u32 v72, v35, 3, 0x8000
	v_writelane_b32 v90, s8, 22
	s_or_b32 s8, s14, s15
	v_add_nc_u32_e32 v73, 0x8000, v48
	v_lshl_add_u32 v74, v44, 9, v48
	v_lshl_add_u32 v5, v2, 9, v48
	v_writelane_b32 v90, s15, 23
	v_lshl_add_u32 v76, v36, 9, v48
	v_lshl_add_u32 v77, v37, 9, v48
	v_add_nc_u32_e32 v78, 0x4100, v28
	v_lshl_add_u32 v79, v38, 9, v48
	v_writelane_b32 v90, s8, 24
	v_cmp_gt_u32_e64 s8, 0x70, v35
	v_cmp_gt_u32_e64 s15, 2, v35
	;; [unrolled: 1-line block ×4, first 2 shown]
	v_writelane_b32 v90, s6, 25
	s_or_b32 s6, s14, s6
	v_cmp_gt_u32_e64 s18, 56, v35
	v_cmp_gt_u32_e64 s19, 48, v35
	;; [unrolled: 1-line block ×3, first 2 shown]
	v_writelane_b32 v90, s6, 26
	s_or_b32 s6, s14, s7
	v_cmp_eq_u32_e64 s14, 0, v34
	v_cmp_gt_u32_e64 s21, 32, v35
	v_cmp_gt_u32_e64 s22, 24, v35
	v_writelane_b32 v90, s7, 27
	v_cmp_gt_u32_e64 s7, 0xa0, v35
	v_cmp_gt_u32_e64 s35, 0x400, v35
	v_cmp_eq_u32_e64 s59, 0, v4
	v_cmp_gt_u32_e64 s60, 64, v4
	v_writelane_b32 v90, s6, 28
	v_cmp_gt_u32_e64 s6, 0xf0, v35
	s_xor_b32 s10, vcc_lo, -1
	s_lshl_b64 s[88:89], s[84:85], 7
	s_lshl_b64 s[90:91], s[84:85], 8
	s_mul_u64 s[92:93], s[84:85], 0x180
	v_writelane_b32 v90, s6, 29
	v_cmp_gt_u32_e64 s6, 0xe0, v35
	s_lshl_b64 s[82:83], s[82:83], 3
	s_lshl_b64 s[76:77], s[76:77], 3
                                        ; implicit-def: $vgpr26_vgpr27
                                        ; implicit-def: $vgpr28_vgpr29
                                        ; implicit-def: $vgpr30_vgpr31
                                        ; implicit-def: $vgpr32_vgpr33
	v_writelane_b32 v90, s6, 30
	v_cmp_gt_u32_e64 s6, 0xd0, v35
	s_delay_alu instid0(VALU_DEP_1) | instskip(SKIP_1) | instid1(VALU_DEP_1)
	v_writelane_b32 v90, s6, 31
	v_cmp_gt_u32_e64 s6, 0xc0, v35
	v_writelane_b32 v89, s6, 0
	v_cmp_gt_u32_e64 s6, 0xb0, v35
	s_delay_alu instid0(VALU_DEP_1) | instskip(SKIP_1) | instid1(VALU_DEP_1)
	v_writelane_b32 v89, s6, 1
	v_cmp_gt_u32_e64 s6, 0x90, v35
	v_writelane_b32 v89, s6, 2
	v_cmp_gt_u32_e64 s6, 0x80, v35
	;; [unrolled: 2-line block ×4, first 2 shown]
	s_delay_alu instid0(VALU_DEP_1) | instskip(SKIP_1) | instid1(VALU_DEP_1)
	v_writelane_b32 v89, s11, 5
	v_cmp_gt_u32_e64 s11, 0x3c0, v35
	v_writelane_b32 v89, s11, 6
	v_cmp_gt_u32_e64 s11, 0x3a0, v35
	s_delay_alu instid0(VALU_DEP_1) | instskip(SKIP_1) | instid1(VALU_DEP_1)
	v_writelane_b32 v89, s11, 7
	v_cmp_gt_u32_e64 s11, 0x380, v35
	v_writelane_b32 v89, s11, 8
	v_cmp_gt_u32_e64 s11, 0x360, v35
	;; [unrolled: 5-line block ×11, first 2 shown]
	s_delay_alu instid0(VALU_DEP_1) | instskip(SKIP_1) | instid1(VALU_DEP_1)
	v_writelane_b32 v89, s11, 27
	v_cmp_ge_u32_e64 s11, v2, v44
	v_writelane_b32 v89, s11, 28
	v_cmp_ge_u32_e64 s11, v2, v36
	s_delay_alu instid0(VALU_DEP_1) | instskip(SKIP_1) | instid1(VALU_DEP_1)
	v_writelane_b32 v89, s11, 29
	v_cmp_ge_u32_e64 s11, v2, v37
	v_writelane_b32 v89, s11, 30
	v_cmp_ge_u32_e64 s11, v2, v38
	s_delay_alu instid0(VALU_DEP_1) | instskip(SKIP_1) | instid1(VALU_DEP_1)
	v_writelane_b32 v89, s11, 31
	v_cmp_gt_u32_e64 s11, 64, v34
	v_writelane_b32 v88, s11, 0
	v_cmp_gt_u32_e64 s11, 64, v39
	s_delay_alu instid0(VALU_DEP_1) | instskip(SKIP_1) | instid1(VALU_DEP_1)
	v_writelane_b32 v88, s11, 1
	v_cmp_gt_u32_e64 s11, 64, v40
	v_writelane_b32 v88, s11, 2
	v_cmp_gt_u32_e64 s11, 64, v41
	s_delay_alu instid0(VALU_DEP_1)
	v_writelane_b32 v88, s11, 3
	s_branch .LBB130_3
.LBB130_2:                              ;   in Loop: Header=BB130_3 Depth=1
	s_wait_xcnt 0x0
	s_or_b32 exec_lo, exec_lo, s11
	s_add_co_i32 s70, s70, 0x10000
	global_wb scope:SCOPE_DEV
	s_wait_storecnt 0x0
	global_inv scope:SCOPE_DEV
	s_cmp_lt_u32 s70, s96
	s_cbranch_scc0 .LBB130_1087
.LBB130_3:                              ; =>This Loop Header: Depth=1
                                        ;     Child Loop BB130_539 Depth 2
                                        ;     Child Loop BB130_956 Depth 2
                                        ;       Child Loop BB130_958 Depth 3
                                        ;     Child Loop BB130_996 Depth 2
	v_mov_b32_e32 v0, s70
	v_readlane_b32 s11, v90, 0
	s_clause 0x1
	global_load_b64 v[34:35], v0, s[80:81] scale_offset
	global_load_b64 v[38:39], v0, s[74:75] scale_offset
	global_load_b64 v[36:37], v1, s[72:73]
	s_and_not1_b32 vcc_lo, exec_lo, s11
	s_wait_loadcnt 0x2
	v_add_nc_u64_e32 v[34:35], s[82:83], v[34:35]
	s_cbranch_vccz .LBB130_6
; %bb.4:                                ;   in Loop: Header=BB130_3 Depth=1
	s_and_not1_b32 vcc_lo, exec_lo, s100
	s_mov_b32 s11, -1
	s_cbranch_vccz .LBB130_15
.LBB130_5:                              ;   in Loop: Header=BB130_3 Depth=1
	s_and_b32 vcc_lo, exec_lo, s11
	s_cbranch_vccnz .LBB130_50
	s_branch .LBB130_85
.LBB130_6:                              ;   in Loop: Header=BB130_3 Depth=1
	s_delay_alu instid0(VALU_DEP_1)
	v_lshl_add_u64 v[30:31], v[8:9], 3, v[34:35]
	v_mov_b64_e32 v[28:29], 0
	v_mov_b64_e32 v[26:27], 0
	s_wait_loadcnt 0x0
	s_barrier_signal -1
	v_lshl_add_u64 v[40:41], v[6:7], 3, v[30:31]
	s_barrier_wait -1
	s_wait_xcnt 0x0
	s_mov_b32 s11, exec_lo
	v_readlane_b32 s12, v90, 9
	s_and_b32 s12, s11, s12
	s_delay_alu instid0(SALU_CYCLE_1)
	s_mov_b32 exec_lo, s12
	s_cbranch_execz .LBB130_8
; %bb.7:                                ;   in Loop: Header=BB130_3 Depth=1
	flat_load_b64 v[26:27], v[40:41]
.LBB130_8:                              ;   in Loop: Header=BB130_3 Depth=1
	s_wait_xcnt 0x0
	s_or_b32 exec_lo, exec_lo, s11
	s_wait_loadcnt_dscnt 0x0
	s_barrier_signal -1
	s_barrier_wait -1
	s_mov_b32 s11, exec_lo
	v_readlane_b32 s12, v90, 10
	s_and_b32 s12, s11, s12
	s_delay_alu instid0(SALU_CYCLE_1)
	s_mov_b32 exec_lo, s12
	s_cbranch_execz .LBB130_10
; %bb.9:                                ;   in Loop: Header=BB130_3 Depth=1
	v_add_nc_u64_e32 v[28:29], s[88:89], v[40:41]
	flat_load_b64 v[28:29], v[28:29]
.LBB130_10:                             ;   in Loop: Header=BB130_3 Depth=1
	s_wait_xcnt 0x0
	s_or_b32 exec_lo, exec_lo, s11
	v_mov_b64_e32 v[32:33], 0
	v_mov_b64_e32 v[30:31], 0
	s_wait_loadcnt_dscnt 0x0
	s_barrier_signal -1
	s_barrier_wait -1
	s_mov_b32 s11, exec_lo
	v_readlane_b32 s12, v90, 11
	s_and_b32 s12, s11, s12
	s_delay_alu instid0(SALU_CYCLE_1)
	s_mov_b32 exec_lo, s12
	s_cbranch_execz .LBB130_12
; %bb.11:                               ;   in Loop: Header=BB130_3 Depth=1
	v_add_nc_u64_e32 v[30:31], s[90:91], v[40:41]
	flat_load_b64 v[30:31], v[30:31]
.LBB130_12:                             ;   in Loop: Header=BB130_3 Depth=1
	s_wait_xcnt 0x0
	s_or_b32 exec_lo, exec_lo, s11
	s_wait_loadcnt_dscnt 0x0
	s_barrier_signal -1
	s_barrier_wait -1
	s_mov_b32 s11, exec_lo
	v_readlane_b32 s12, v90, 12
	s_and_b32 s12, s11, s12
	s_delay_alu instid0(SALU_CYCLE_1)
	s_mov_b32 exec_lo, s12
	s_cbranch_execz .LBB130_14
; %bb.13:                               ;   in Loop: Header=BB130_3 Depth=1
	v_add_nc_u64_e32 v[32:33], s[92:93], v[40:41]
	flat_load_b64 v[32:33], v[32:33]
.LBB130_14:                             ;   in Loop: Header=BB130_3 Depth=1
	s_wait_xcnt 0x0
	s_or_b32 exec_lo, exec_lo, s11
	s_delay_alu instid0(SALU_CYCLE_1)
	s_and_not1_b32 vcc_lo, exec_lo, s100
	s_mov_b32 s11, -1
	s_cbranch_vccnz .LBB130_5
.LBB130_15:                             ;   in Loop: Header=BB130_3 Depth=1
	s_mov_b32 s69, 0
                                        ; implicit-def: $vgpr40_vgpr41
	s_wait_xcnt 0x0
	s_mov_b32 s11, exec_lo
	v_readlane_b32 s12, v90, 13
	s_and_b32 s12, s11, s12
	s_delay_alu instid0(SALU_CYCLE_1)
	s_xor_b32 s11, s12, s11
	s_mov_b32 exec_lo, s12
	s_cbranch_execnz .LBB130_1017
; %bb.16:                               ;   in Loop: Header=BB130_3 Depth=1
	s_and_not1_saveexec_b32 s11, s11
	s_cbranch_execnz .LBB130_1022
.LBB130_17:                             ;   in Loop: Header=BB130_3 Depth=1
	s_or_b32 exec_lo, exec_lo, s11
	s_and_saveexec_b32 s11, s69
.LBB130_18:                             ;   in Loop: Header=BB130_3 Depth=1
	ds_store_b64 v74, v[40:41]
.LBB130_19:                             ;   in Loop: Header=BB130_3 Depth=1
	s_or_b32 exec_lo, exec_lo, s11
	s_delay_alu instid0(SALU_CYCLE_1) | instskip(SKIP_2) | instid1(SALU_CYCLE_1)
	s_mov_b32 s11, exec_lo
	v_readlane_b32 s12, v90, 15
	s_and_b32 s12, s11, s12
	s_xor_b32 s11, s12, s11
	s_mov_b32 exec_lo, s12
	s_cbranch_execz .LBB130_27
; %bb.20:                               ;   in Loop: Header=BB130_3 Depth=1
	s_mov_b32 s12, exec_lo
	v_readlane_b32 s13, v90, 23
	s_and_b32 s13, s12, s13
	s_delay_alu instid0(SALU_CYCLE_1)
	s_xor_b32 s12, s13, s12
	s_mov_b32 exec_lo, s13
	s_cbranch_execz .LBB130_24
; %bb.21:                               ;   in Loop: Header=BB130_3 Depth=1
	s_mov_b32 s13, exec_lo
	v_readlane_b32 s69, v88, 1
	s_and_b32 s69, s13, s69
	s_delay_alu instid0(SALU_CYCLE_1)
	s_mov_b32 exec_lo, s69
; %bb.22:                               ;   in Loop: Header=BB130_3 Depth=1
	ds_store_b64 v76, v[24:25]
; %bb.23:                               ;   in Loop: Header=BB130_3 Depth=1
	s_or_b32 exec_lo, exec_lo, s13
.LBB130_24:                             ;   in Loop: Header=BB130_3 Depth=1
	s_and_not1_saveexec_b32 s12, s12
	s_cbranch_execz .LBB130_26
; %bb.25:                               ;   in Loop: Header=BB130_3 Depth=1
	v_lshl_add_u64 v[40:41], v[14:15], 3, v[34:35]
	flat_load_b64 v[40:41], v[40:41]
	s_wait_loadcnt_dscnt 0x0
	v_div_scale_f64 v[42:43], null, v[40:41], v[40:41], 1.0
	s_delay_alu instid0(VALU_DEP_1) | instskip(SKIP_1) | instid1(TRANS32_DEP_1)
	v_rcp_f64_e32 v[80:81], v[42:43]
	v_nop
	v_fma_f64 v[82:83], -v[42:43], v[80:81], 1.0
	s_delay_alu instid0(VALU_DEP_1) | instskip(NEXT) | instid1(VALU_DEP_1)
	v_fmac_f64_e32 v[80:81], v[80:81], v[82:83]
	v_fma_f64 v[82:83], -v[42:43], v[80:81], 1.0
	s_delay_alu instid0(VALU_DEP_1) | instskip(SKIP_1) | instid1(VALU_DEP_1)
	v_fmac_f64_e32 v[80:81], v[80:81], v[82:83]
	v_div_scale_f64 v[82:83], vcc_lo, 1.0, v[40:41], 1.0
	v_mul_f64_e32 v[84:85], v[82:83], v[80:81]
	s_delay_alu instid0(VALU_DEP_1) | instskip(NEXT) | instid1(VALU_DEP_1)
	v_fma_f64 v[42:43], -v[42:43], v[84:85], v[82:83]
	v_div_fmas_f64 v[42:43], v[42:43], v[80:81], v[84:85]
	s_delay_alu instid0(VALU_DEP_1)
	v_div_fixup_f64 v[40:41], v[42:43], v[40:41], 1.0
	ds_store_b64 v76, v[40:41]
.LBB130_26:                             ;   in Loop: Header=BB130_3 Depth=1
	s_or_b32 exec_lo, exec_lo, s12
.LBB130_27:                             ;   in Loop: Header=BB130_3 Depth=1
	s_and_not1_saveexec_b32 s11, s11
	s_cbranch_execz .LBB130_29
; %bb.28:                               ;   in Loop: Header=BB130_3 Depth=1
	v_lshl_add_u64 v[40:41], v[14:15], 3, v[34:35]
	flat_load_b64 v[40:41], v[40:41]
	s_wait_loadcnt_dscnt 0x0
	v_xor_b32_e32 v41, 0x80000000, v41
	ds_store_b64 v76, v[40:41]
.LBB130_29:                             ;   in Loop: Header=BB130_3 Depth=1
	s_or_b32 exec_lo, exec_lo, s11
	s_delay_alu instid0(SALU_CYCLE_1) | instskip(SKIP_2) | instid1(SALU_CYCLE_1)
	s_mov_b32 s11, exec_lo
	v_readlane_b32 s12, v90, 17
	s_and_b32 s12, s11, s12
	s_xor_b32 s11, s12, s11
	s_mov_b32 exec_lo, s12
	s_cbranch_execz .LBB130_37
; %bb.30:                               ;   in Loop: Header=BB130_3 Depth=1
	s_mov_b32 s12, exec_lo
	v_readlane_b32 s13, v90, 25
	s_and_b32 s13, s12, s13
	s_delay_alu instid0(SALU_CYCLE_1)
	s_xor_b32 s12, s13, s12
	s_mov_b32 exec_lo, s13
	s_cbranch_execz .LBB130_34
; %bb.31:                               ;   in Loop: Header=BB130_3 Depth=1
	s_mov_b32 s13, exec_lo
	v_readlane_b32 s69, v88, 2
	s_and_b32 s69, s13, s69
	s_delay_alu instid0(SALU_CYCLE_1)
	s_mov_b32 exec_lo, s69
; %bb.32:                               ;   in Loop: Header=BB130_3 Depth=1
	ds_store_b64 v77, v[24:25]
; %bb.33:                               ;   in Loop: Header=BB130_3 Depth=1
	s_or_b32 exec_lo, exec_lo, s13
.LBB130_34:                             ;   in Loop: Header=BB130_3 Depth=1
	s_and_not1_saveexec_b32 s12, s12
	s_cbranch_execz .LBB130_36
; %bb.35:                               ;   in Loop: Header=BB130_3 Depth=1
	v_lshl_add_u64 v[40:41], v[16:17], 3, v[34:35]
	flat_load_b64 v[40:41], v[40:41]
	s_wait_loadcnt_dscnt 0x0
	v_div_scale_f64 v[42:43], null, v[40:41], v[40:41], 1.0
	s_delay_alu instid0(VALU_DEP_1) | instskip(SKIP_1) | instid1(TRANS32_DEP_1)
	v_rcp_f64_e32 v[80:81], v[42:43]
	v_nop
	v_fma_f64 v[82:83], -v[42:43], v[80:81], 1.0
	s_delay_alu instid0(VALU_DEP_1) | instskip(NEXT) | instid1(VALU_DEP_1)
	v_fmac_f64_e32 v[80:81], v[80:81], v[82:83]
	v_fma_f64 v[82:83], -v[42:43], v[80:81], 1.0
	s_delay_alu instid0(VALU_DEP_1) | instskip(SKIP_1) | instid1(VALU_DEP_1)
	v_fmac_f64_e32 v[80:81], v[80:81], v[82:83]
	v_div_scale_f64 v[82:83], vcc_lo, 1.0, v[40:41], 1.0
	v_mul_f64_e32 v[84:85], v[82:83], v[80:81]
	s_delay_alu instid0(VALU_DEP_1) | instskip(NEXT) | instid1(VALU_DEP_1)
	v_fma_f64 v[42:43], -v[42:43], v[84:85], v[82:83]
	v_div_fmas_f64 v[42:43], v[42:43], v[80:81], v[84:85]
	s_delay_alu instid0(VALU_DEP_1)
	v_div_fixup_f64 v[40:41], v[42:43], v[40:41], 1.0
	ds_store_b64 v77, v[40:41]
.LBB130_36:                             ;   in Loop: Header=BB130_3 Depth=1
	s_or_b32 exec_lo, exec_lo, s12
.LBB130_37:                             ;   in Loop: Header=BB130_3 Depth=1
	s_and_not1_saveexec_b32 s11, s11
	s_cbranch_execz .LBB130_39
; %bb.38:                               ;   in Loop: Header=BB130_3 Depth=1
	v_lshl_add_u64 v[40:41], v[16:17], 3, v[34:35]
	flat_load_b64 v[40:41], v[40:41]
	s_wait_loadcnt_dscnt 0x0
	v_xor_b32_e32 v41, 0x80000000, v41
	ds_store_b64 v77, v[40:41]
.LBB130_39:                             ;   in Loop: Header=BB130_3 Depth=1
	;; [unrolled: 63-line block ×3, first 2 shown]
	s_or_b32 exec_lo, exec_lo, s11
	s_branch .LBB130_85
.LBB130_50:                             ;   in Loop: Header=BB130_3 Depth=1
	s_mov_b32 s69, 0
                                        ; implicit-def: $vgpr40_vgpr41
	s_wait_xcnt 0x0
	s_mov_b32 s11, exec_lo
	v_readlane_b32 s12, v90, 14
	s_and_b32 s12, s11, s12
	s_delay_alu instid0(SALU_CYCLE_1)
	s_xor_b32 s11, s12, s11
	s_mov_b32 exec_lo, s12
	s_cbranch_execnz .LBB130_1023
; %bb.51:                               ;   in Loop: Header=BB130_3 Depth=1
	s_and_not1_saveexec_b32 s11, s11
	s_cbranch_execnz .LBB130_1028
.LBB130_52:                             ;   in Loop: Header=BB130_3 Depth=1
	s_or_b32 exec_lo, exec_lo, s11
	s_and_saveexec_b32 s11, s69
.LBB130_53:                             ;   in Loop: Header=BB130_3 Depth=1
	ds_store_b64 v74, v[40:41]
.LBB130_54:                             ;   in Loop: Header=BB130_3 Depth=1
	s_or_b32 exec_lo, exec_lo, s11
	s_delay_alu instid0(SALU_CYCLE_1) | instskip(SKIP_2) | instid1(SALU_CYCLE_1)
	s_mov_b32 s11, exec_lo
	v_readlane_b32 s12, v90, 16
	s_and_b32 s12, s11, s12
	s_xor_b32 s11, s12, s11
	s_mov_b32 exec_lo, s12
	s_cbranch_execz .LBB130_62
; %bb.55:                               ;   in Loop: Header=BB130_3 Depth=1
	s_mov_b32 s12, exec_lo
	v_readlane_b32 s13, v90, 24
	s_and_b32 s13, s12, s13
	s_delay_alu instid0(SALU_CYCLE_1)
	s_xor_b32 s12, s13, s12
	s_mov_b32 exec_lo, s13
	s_cbranch_execz .LBB130_59
; %bb.56:                               ;   in Loop: Header=BB130_3 Depth=1
	s_mov_b32 s13, exec_lo
	v_readlane_b32 s69, v88, 1
	s_and_b32 s69, s13, s69
	s_delay_alu instid0(SALU_CYCLE_1)
	s_mov_b32 exec_lo, s69
; %bb.57:                               ;   in Loop: Header=BB130_3 Depth=1
	ds_store_b64 v76, v[24:25]
; %bb.58:                               ;   in Loop: Header=BB130_3 Depth=1
	s_or_b32 exec_lo, exec_lo, s13
.LBB130_59:                             ;   in Loop: Header=BB130_3 Depth=1
	s_and_not1_saveexec_b32 s12, s12
	s_cbranch_execz .LBB130_61
; %bb.60:                               ;   in Loop: Header=BB130_3 Depth=1
	v_lshl_add_u64 v[40:41], v[14:15], 3, v[34:35]
	flat_load_b64 v[40:41], v[40:41]
	s_wait_loadcnt_dscnt 0x0
	v_div_scale_f64 v[42:43], null, v[40:41], v[40:41], 1.0
	s_delay_alu instid0(VALU_DEP_1) | instskip(SKIP_1) | instid1(TRANS32_DEP_1)
	v_rcp_f64_e32 v[80:81], v[42:43]
	v_nop
	v_fma_f64 v[82:83], -v[42:43], v[80:81], 1.0
	s_delay_alu instid0(VALU_DEP_1) | instskip(NEXT) | instid1(VALU_DEP_1)
	v_fmac_f64_e32 v[80:81], v[80:81], v[82:83]
	v_fma_f64 v[82:83], -v[42:43], v[80:81], 1.0
	s_delay_alu instid0(VALU_DEP_1) | instskip(SKIP_1) | instid1(VALU_DEP_1)
	v_fmac_f64_e32 v[80:81], v[80:81], v[82:83]
	v_div_scale_f64 v[82:83], vcc_lo, 1.0, v[40:41], 1.0
	v_mul_f64_e32 v[84:85], v[82:83], v[80:81]
	s_delay_alu instid0(VALU_DEP_1) | instskip(NEXT) | instid1(VALU_DEP_1)
	v_fma_f64 v[42:43], -v[42:43], v[84:85], v[82:83]
	v_div_fmas_f64 v[42:43], v[42:43], v[80:81], v[84:85]
	s_delay_alu instid0(VALU_DEP_1)
	v_div_fixup_f64 v[40:41], v[42:43], v[40:41], 1.0
	ds_store_b64 v76, v[40:41]
.LBB130_61:                             ;   in Loop: Header=BB130_3 Depth=1
	s_or_b32 exec_lo, exec_lo, s12
.LBB130_62:                             ;   in Loop: Header=BB130_3 Depth=1
	s_and_not1_saveexec_b32 s11, s11
	s_cbranch_execz .LBB130_64
; %bb.63:                               ;   in Loop: Header=BB130_3 Depth=1
	v_lshl_add_u64 v[40:41], v[14:15], 3, v[34:35]
	flat_load_b64 v[40:41], v[40:41]
	s_wait_loadcnt_dscnt 0x0
	v_xor_b32_e32 v41, 0x80000000, v41
	ds_store_b64 v76, v[40:41]
.LBB130_64:                             ;   in Loop: Header=BB130_3 Depth=1
	s_or_b32 exec_lo, exec_lo, s11
	s_delay_alu instid0(SALU_CYCLE_1) | instskip(SKIP_2) | instid1(SALU_CYCLE_1)
	s_mov_b32 s11, exec_lo
	v_readlane_b32 s12, v90, 18
	s_and_b32 s12, s11, s12
	s_xor_b32 s11, s12, s11
	s_mov_b32 exec_lo, s12
	s_cbranch_execz .LBB130_72
; %bb.65:                               ;   in Loop: Header=BB130_3 Depth=1
	s_mov_b32 s12, exec_lo
	v_readlane_b32 s13, v90, 26
	s_and_b32 s13, s12, s13
	s_delay_alu instid0(SALU_CYCLE_1)
	s_xor_b32 s12, s13, s12
	s_mov_b32 exec_lo, s13
	s_cbranch_execz .LBB130_69
; %bb.66:                               ;   in Loop: Header=BB130_3 Depth=1
	s_mov_b32 s13, exec_lo
	v_readlane_b32 s69, v88, 2
	s_and_b32 s69, s13, s69
	s_delay_alu instid0(SALU_CYCLE_1)
	s_mov_b32 exec_lo, s69
; %bb.67:                               ;   in Loop: Header=BB130_3 Depth=1
	ds_store_b64 v77, v[24:25]
; %bb.68:                               ;   in Loop: Header=BB130_3 Depth=1
	s_or_b32 exec_lo, exec_lo, s13
.LBB130_69:                             ;   in Loop: Header=BB130_3 Depth=1
	s_and_not1_saveexec_b32 s12, s12
	s_cbranch_execz .LBB130_71
; %bb.70:                               ;   in Loop: Header=BB130_3 Depth=1
	v_lshl_add_u64 v[40:41], v[16:17], 3, v[34:35]
	flat_load_b64 v[40:41], v[40:41]
	s_wait_loadcnt_dscnt 0x0
	v_div_scale_f64 v[42:43], null, v[40:41], v[40:41], 1.0
	s_delay_alu instid0(VALU_DEP_1) | instskip(SKIP_1) | instid1(TRANS32_DEP_1)
	v_rcp_f64_e32 v[80:81], v[42:43]
	v_nop
	v_fma_f64 v[82:83], -v[42:43], v[80:81], 1.0
	s_delay_alu instid0(VALU_DEP_1) | instskip(NEXT) | instid1(VALU_DEP_1)
	v_fmac_f64_e32 v[80:81], v[80:81], v[82:83]
	v_fma_f64 v[82:83], -v[42:43], v[80:81], 1.0
	s_delay_alu instid0(VALU_DEP_1) | instskip(SKIP_1) | instid1(VALU_DEP_1)
	v_fmac_f64_e32 v[80:81], v[80:81], v[82:83]
	v_div_scale_f64 v[82:83], vcc_lo, 1.0, v[40:41], 1.0
	v_mul_f64_e32 v[84:85], v[82:83], v[80:81]
	s_delay_alu instid0(VALU_DEP_1) | instskip(NEXT) | instid1(VALU_DEP_1)
	v_fma_f64 v[42:43], -v[42:43], v[84:85], v[82:83]
	v_div_fmas_f64 v[42:43], v[42:43], v[80:81], v[84:85]
	s_delay_alu instid0(VALU_DEP_1)
	v_div_fixup_f64 v[40:41], v[42:43], v[40:41], 1.0
	ds_store_b64 v77, v[40:41]
.LBB130_71:                             ;   in Loop: Header=BB130_3 Depth=1
	s_or_b32 exec_lo, exec_lo, s12
.LBB130_72:                             ;   in Loop: Header=BB130_3 Depth=1
	s_and_not1_saveexec_b32 s11, s11
	s_cbranch_execz .LBB130_74
; %bb.73:                               ;   in Loop: Header=BB130_3 Depth=1
	v_lshl_add_u64 v[40:41], v[16:17], 3, v[34:35]
	flat_load_b64 v[40:41], v[40:41]
	s_wait_loadcnt_dscnt 0x0
	v_xor_b32_e32 v41, 0x80000000, v41
	ds_store_b64 v77, v[40:41]
.LBB130_74:                             ;   in Loop: Header=BB130_3 Depth=1
	;; [unrolled: 63-line block ×3, first 2 shown]
	s_or_b32 exec_lo, exec_lo, s11
.LBB130_85:                             ;   in Loop: Header=BB130_3 Depth=1
	s_delay_alu instid0(SALU_CYCLE_1)
	s_and_not1_b32 vcc_lo, exec_lo, s101
	s_wait_loadcnt_dscnt 0x0
	s_barrier_signal -1
	s_barrier_wait -1
	s_cbranch_vccnz .LBB130_950
; %bb.86:                               ;   in Loop: Header=BB130_3 Depth=1
	s_wait_xcnt 0x0
	s_and_saveexec_b32 s11, s14
	s_cbranch_execz .LBB130_88
; %bb.87:                               ;   in Loop: Header=BB130_3 Depth=1
	ds_load_b128 v[40:43], v1
	ds_load_b64 v[80:81], v1 offset:520
	s_wait_dscnt 0x0
	v_mul_f64_e32 v[40:41], v[40:41], v[80:81]
	s_delay_alu instid0(VALU_DEP_1)
	v_mul_f64_e32 v[40:41], v[42:43], v[40:41]
	ds_store_b64 v1, v[40:41] offset:8
.LBB130_88:                             ;   in Loop: Header=BB130_3 Depth=1
	s_or_b32 exec_lo, exec_lo, s11
	v_mov_b64_e32 v[40:41], 0
	s_wait_dscnt 0x0
	s_barrier_signal -1
	s_barrier_wait -1
	s_and_saveexec_b32 s11, s1
	s_cbranch_execz .LBB130_92
; %bb.89:                               ;   in Loop: Header=BB130_3 Depth=1
	ds_load_b64 v[40:41], v46 offset:16
	ds_load_b64 v[42:43], v47
	s_wait_dscnt 0x0
	v_fma_f64 v[40:41], v[40:41], v[42:43], 0
	s_and_saveexec_b32 s12, s15
	s_cbranch_execz .LBB130_91
; %bb.90:                               ;   in Loop: Header=BB130_3 Depth=1
	ds_load_b64 v[42:43], v48 offset:528
	ds_load_b64 v[80:81], v1 offset:8
	s_wait_dscnt 0x0
	v_fmac_f64_e32 v[40:41], v[42:43], v[80:81]
.LBB130_91:                             ;   in Loop: Header=BB130_3 Depth=1
	s_or_b32 exec_lo, exec_lo, s12
	s_delay_alu instid0(VALU_DEP_1)
	v_xor_b32_e32 v41, 0x80000000, v41
.LBB130_92:                             ;   in Loop: Header=BB130_3 Depth=1
	s_or_b32 exec_lo, exec_lo, s11
	s_and_saveexec_b32 s11, s102
	s_cbranch_execz .LBB130_94
; %bb.93:                               ;   in Loop: Header=BB130_3 Depth=1
	ds_load_b64 v[42:43], v1 offset:1040
	s_wait_dscnt 0x0
	v_mul_f64_e32 v[40:41], v[40:41], v[42:43]
	ds_store_b64 v3, v[40:41]
.LBB130_94:                             ;   in Loop: Header=BB130_3 Depth=1
	s_or_b32 exec_lo, exec_lo, s11
	s_wait_dscnt 0x0
	s_barrier_signal -1
	s_barrier_wait -1
	s_and_saveexec_b32 s11, s103
	s_cbranch_execz .LBB130_96
; %bb.95:                               ;   in Loop: Header=BB130_3 Depth=1
	ds_load_b64 v[42:43], v1 offset:1048
	ds_load_b64 v[80:81], v3
	s_wait_dscnt 0x0
	v_fmac_f64_e32 v[40:41], v[42:43], v[80:81]
.LBB130_96:                             ;   in Loop: Header=BB130_3 Depth=1
	s_or_b32 exec_lo, exec_lo, s11
	s_barrier_signal -1
	s_barrier_wait -1
	s_and_saveexec_b32 s11, s103
	s_cbranch_execz .LBB130_98
; %bb.97:                               ;   in Loop: Header=BB130_3 Depth=1
	ds_load_b64 v[42:43], v1 offset:1560
	s_wait_dscnt 0x0
	v_mul_f64_e32 v[40:41], v[40:41], v[42:43]
	ds_store_b64 v3, v[40:41]
.LBB130_98:                             ;   in Loop: Header=BB130_3 Depth=1
	s_or_b32 exec_lo, exec_lo, s11
	s_wait_dscnt 0x0
	s_barrier_signal -1
	s_barrier_wait -1
	s_barrier_signal -1
	s_barrier_wait -1
	s_and_saveexec_b32 s11, s1
; %bb.99:                               ;   in Loop: Header=BB130_3 Depth=1
	s_delay_alu instid0(VALU_DEP_1)
	v_xor_b32_e32 v41, 0x80000000, v41
	ds_store_b64 v46, v[40:41] offset:16
; %bb.100:                              ;   in Loop: Header=BB130_3 Depth=1
	s_or_b32 exec_lo, exec_lo, s11
	s_wait_dscnt 0x0
	s_barrier_signal -1
	s_barrier_wait -1
	s_barrier_signal -1
	s_barrier_wait -1
	s_and_saveexec_b32 s11, s14
	s_cbranch_execz .LBB130_102
; %bb.101:                              ;   in Loop: Header=BB130_3 Depth=1
	ds_load_b128 v[40:43], v1 offset:1040
	ds_load_b64 v[80:81], v1 offset:1560
	s_wait_dscnt 0x0
	v_mul_f64_e32 v[40:41], v[40:41], v[80:81]
	s_delay_alu instid0(VALU_DEP_1)
	v_mul_f64_e32 v[40:41], v[42:43], v[40:41]
	ds_store_b64 v1, v[40:41] offset:1048
.LBB130_102:                            ;   in Loop: Header=BB130_3 Depth=1
	s_or_b32 exec_lo, exec_lo, s11
	v_mov_b64_e32 v[40:41], 0
	s_wait_dscnt 0x0
	s_barrier_signal -1
	s_barrier_wait -1
	s_and_saveexec_b32 s11, s2
	s_cbranch_execz .LBB130_108
; %bb.103:                              ;   in Loop: Header=BB130_3 Depth=1
	ds_load_b64 v[40:41], v52 offset:32
	ds_load_b64 v[42:43], v49
	s_wait_dscnt 0x0
	v_fma_f64 v[40:41], v[40:41], v[42:43], 0
	s_and_saveexec_b32 s12, s16
	s_cbranch_execnz .LBB130_1034
; %bb.104:                              ;   in Loop: Header=BB130_3 Depth=1
	s_or_b32 exec_lo, exec_lo, s12
	s_and_saveexec_b32 s12, s17
	s_cbranch_execnz .LBB130_1035
.LBB130_105:                            ;   in Loop: Header=BB130_3 Depth=1
	s_or_b32 exec_lo, exec_lo, s12
	s_and_saveexec_b32 s12, s1
	s_cbranch_execz .LBB130_107
.LBB130_106:                            ;   in Loop: Header=BB130_3 Depth=1
	ds_load_b64 v[42:43], v48 offset:1568
	ds_load_b64 v[80:81], v1 offset:24
	s_wait_dscnt 0x0
	v_fmac_f64_e32 v[40:41], v[42:43], v[80:81]
.LBB130_107:                            ;   in Loop: Header=BB130_3 Depth=1
	s_or_b32 exec_lo, exec_lo, s12
	s_delay_alu instid0(VALU_DEP_1)
	v_xor_b32_e32 v41, 0x80000000, v41
.LBB130_108:                            ;   in Loop: Header=BB130_3 Depth=1
	s_or_b32 exec_lo, exec_lo, s11
	s_and_saveexec_b32 s11, s104
	s_cbranch_execz .LBB130_110
; %bb.109:                              ;   in Loop: Header=BB130_3 Depth=1
	ds_load_b64 v[42:43], v1 offset:2080
	s_wait_dscnt 0x0
	v_mul_f64_e32 v[40:41], v[40:41], v[42:43]
	ds_store_b64 v50, v[40:41]
.LBB130_110:                            ;   in Loop: Header=BB130_3 Depth=1
	s_or_b32 exec_lo, exec_lo, s11
	s_wait_dscnt 0x0
	s_barrier_signal -1
	s_barrier_wait -1
	s_and_saveexec_b32 s11, vcc_hi
	s_cbranch_execz .LBB130_112
; %bb.111:                              ;   in Loop: Header=BB130_3 Depth=1
	ds_load_b64 v[42:43], v51 offset:2080
	ds_load_b64 v[80:81], v50
	s_wait_dscnt 0x0
	v_fmac_f64_e32 v[40:41], v[42:43], v[80:81]
.LBB130_112:                            ;   in Loop: Header=BB130_3 Depth=1
	s_or_b32 exec_lo, exec_lo, s11
	s_barrier_signal -1
	s_barrier_wait -1
	s_and_saveexec_b32 s11, s36
	s_cbranch_execz .LBB130_114
; %bb.113:                              ;   in Loop: Header=BB130_3 Depth=1
	ds_load_b64 v[42:43], v1 offset:2600
	s_wait_dscnt 0x0
	v_mul_f64_e32 v[40:41], v[40:41], v[42:43]
	ds_store_b64 v50, v[40:41]
.LBB130_114:                            ;   in Loop: Header=BB130_3 Depth=1
	s_or_b32 exec_lo, exec_lo, s11
	s_wait_dscnt 0x0
	s_barrier_signal -1
	s_barrier_wait -1
	s_and_saveexec_b32 s11, s37
	s_cbranch_execz .LBB130_116
; %bb.115:                              ;   in Loop: Header=BB130_3 Depth=1
	ds_load_b64 v[42:43], v51 offset:2592
	ds_load_b64 v[80:81], v50
	s_wait_dscnt 0x0
	v_fmac_f64_e32 v[40:41], v[42:43], v[80:81]
.LBB130_116:                            ;   in Loop: Header=BB130_3 Depth=1
	s_or_b32 exec_lo, exec_lo, s11
	s_barrier_signal -1
	s_barrier_wait -1
	s_and_saveexec_b32 s11, s38
	s_cbranch_execz .LBB130_118
; %bb.117:                              ;   in Loop: Header=BB130_3 Depth=1
	ds_load_b64 v[42:43], v1 offset:3120
	s_wait_dscnt 0x0
	v_mul_f64_e32 v[40:41], v[40:41], v[42:43]
	ds_store_b64 v50, v[40:41]
.LBB130_118:                            ;   in Loop: Header=BB130_3 Depth=1
	s_or_b32 exec_lo, exec_lo, s11
	s_wait_dscnt 0x0
	s_barrier_signal -1
	s_barrier_wait -1
	s_and_saveexec_b32 s11, s39
	s_cbranch_execz .LBB130_120
; %bb.119:                              ;   in Loop: Header=BB130_3 Depth=1
	ds_load_b64 v[42:43], v1 offset:3128
	ds_load_b64 v[80:81], v50
	s_wait_dscnt 0x0
	v_fmac_f64_e32 v[40:41], v[42:43], v[80:81]
.LBB130_120:                            ;   in Loop: Header=BB130_3 Depth=1
	s_or_b32 exec_lo, exec_lo, s11
	s_barrier_signal -1
	s_barrier_wait -1
	s_and_saveexec_b32 s11, s39
	s_cbranch_execz .LBB130_122
; %bb.121:                              ;   in Loop: Header=BB130_3 Depth=1
	ds_load_b64 v[42:43], v1 offset:3640
	s_wait_dscnt 0x0
	v_mul_f64_e32 v[40:41], v[40:41], v[42:43]
	ds_store_b64 v50, v[40:41]
.LBB130_122:                            ;   in Loop: Header=BB130_3 Depth=1
	s_or_b32 exec_lo, exec_lo, s11
	s_wait_dscnt 0x0
	s_barrier_signal -1
	s_barrier_wait -1
	s_barrier_signal -1
	s_barrier_wait -1
	s_and_saveexec_b32 s11, s2
; %bb.123:                              ;   in Loop: Header=BB130_3 Depth=1
	s_delay_alu instid0(VALU_DEP_1)
	v_xor_b32_e32 v41, 0x80000000, v41
	ds_store_b64 v52, v[40:41] offset:32
; %bb.124:                              ;   in Loop: Header=BB130_3 Depth=1
	s_or_b32 exec_lo, exec_lo, s11
	s_wait_dscnt 0x0
	s_barrier_signal -1
	s_barrier_wait -1
	s_barrier_signal -1
	s_barrier_wait -1
	s_and_saveexec_b32 s11, s14
	s_cbranch_execz .LBB130_126
; %bb.125:                              ;   in Loop: Header=BB130_3 Depth=1
	ds_load_b128 v[40:43], v1 offset:2080
	ds_load_b64 v[80:81], v1 offset:2600
	s_wait_dscnt 0x0
	v_mul_f64_e32 v[40:41], v[40:41], v[80:81]
	s_delay_alu instid0(VALU_DEP_1)
	v_mul_f64_e32 v[40:41], v[42:43], v[40:41]
	ds_store_b64 v1, v[40:41] offset:2088
.LBB130_126:                            ;   in Loop: Header=BB130_3 Depth=1
	s_or_b32 exec_lo, exec_lo, s11
	v_mov_b64_e32 v[40:41], 0
	s_wait_dscnt 0x0
	s_barrier_signal -1
	s_barrier_wait -1
	s_and_saveexec_b32 s11, s1
	s_cbranch_execz .LBB130_130
; %bb.127:                              ;   in Loop: Header=BB130_3 Depth=1
	ds_load_b64 v[40:41], v46 offset:2096
	ds_load_b64 v[42:43], v47 offset:2080
	s_wait_dscnt 0x0
	v_fma_f64 v[40:41], v[40:41], v[42:43], 0
	s_and_saveexec_b32 s12, s15
	s_cbranch_execz .LBB130_129
; %bb.128:                              ;   in Loop: Header=BB130_3 Depth=1
	ds_load_b64 v[42:43], v48 offset:2608
	ds_load_b64 v[80:81], v1 offset:2088
	s_wait_dscnt 0x0
	v_fmac_f64_e32 v[40:41], v[42:43], v[80:81]
.LBB130_129:                            ;   in Loop: Header=BB130_3 Depth=1
	s_or_b32 exec_lo, exec_lo, s12
	s_delay_alu instid0(VALU_DEP_1)
	v_xor_b32_e32 v41, 0x80000000, v41
.LBB130_130:                            ;   in Loop: Header=BB130_3 Depth=1
	s_or_b32 exec_lo, exec_lo, s11
	s_and_saveexec_b32 s11, s102
	s_cbranch_execz .LBB130_132
; %bb.131:                              ;   in Loop: Header=BB130_3 Depth=1
	ds_load_b64 v[42:43], v1 offset:3120
	s_wait_dscnt 0x0
	v_mul_f64_e32 v[40:41], v[40:41], v[42:43]
	ds_store_b64 v3, v[40:41]
.LBB130_132:                            ;   in Loop: Header=BB130_3 Depth=1
	s_or_b32 exec_lo, exec_lo, s11
	s_wait_dscnt 0x0
	s_barrier_signal -1
	s_barrier_wait -1
	s_and_saveexec_b32 s11, s103
	s_cbranch_execz .LBB130_134
; %bb.133:                              ;   in Loop: Header=BB130_3 Depth=1
	ds_load_b64 v[42:43], v1 offset:3128
	ds_load_b64 v[80:81], v3
	s_wait_dscnt 0x0
	v_fmac_f64_e32 v[40:41], v[42:43], v[80:81]
.LBB130_134:                            ;   in Loop: Header=BB130_3 Depth=1
	s_or_b32 exec_lo, exec_lo, s11
	s_barrier_signal -1
	s_barrier_wait -1
	s_and_saveexec_b32 s11, s103
	s_cbranch_execz .LBB130_136
; %bb.135:                              ;   in Loop: Header=BB130_3 Depth=1
	ds_load_b64 v[42:43], v1 offset:3640
	s_wait_dscnt 0x0
	v_mul_f64_e32 v[40:41], v[40:41], v[42:43]
	ds_store_b64 v3, v[40:41]
.LBB130_136:                            ;   in Loop: Header=BB130_3 Depth=1
	s_or_b32 exec_lo, exec_lo, s11
	s_wait_dscnt 0x0
	s_barrier_signal -1
	s_barrier_wait -1
	s_barrier_signal -1
	s_barrier_wait -1
	s_and_saveexec_b32 s11, s1
; %bb.137:                              ;   in Loop: Header=BB130_3 Depth=1
	s_delay_alu instid0(VALU_DEP_1)
	v_xor_b32_e32 v41, 0x80000000, v41
	ds_store_b64 v46, v[40:41] offset:2096
; %bb.138:                              ;   in Loop: Header=BB130_3 Depth=1
	s_or_b32 exec_lo, exec_lo, s11
	s_wait_dscnt 0x0
	s_barrier_signal -1
	s_barrier_wait -1
	s_barrier_signal -1
	s_barrier_wait -1
	s_and_saveexec_b32 s11, s14
	s_cbranch_execz .LBB130_140
; %bb.139:                              ;   in Loop: Header=BB130_3 Depth=1
	ds_load_b128 v[40:43], v1 offset:3120
	ds_load_b64 v[80:81], v1 offset:3640
	s_wait_dscnt 0x0
	v_mul_f64_e32 v[40:41], v[40:41], v[80:81]
	s_delay_alu instid0(VALU_DEP_1)
	v_mul_f64_e32 v[40:41], v[42:43], v[40:41]
	ds_store_b64 v1, v[40:41] offset:3128
.LBB130_140:                            ;   in Loop: Header=BB130_3 Depth=1
	s_or_b32 exec_lo, exec_lo, s11
	v_mov_b64_e32 v[40:41], 0
	s_wait_dscnt 0x0
	s_barrier_signal -1
	s_barrier_wait -1
	s_and_saveexec_b32 s11, s3
	s_cbranch_execz .LBB130_150
; %bb.141:                              ;   in Loop: Header=BB130_3 Depth=1
	ds_load_b64 v[40:41], v57 offset:64
	ds_load_b64 v[42:43], v54
	s_wait_dscnt 0x0
	v_fma_f64 v[40:41], v[40:41], v[42:43], 0
	s_and_saveexec_b32 s12, s18
	s_cbranch_execnz .LBB130_1036
; %bb.142:                              ;   in Loop: Header=BB130_3 Depth=1
	s_or_b32 exec_lo, exec_lo, s12
	s_and_saveexec_b32 s12, s19
	s_cbranch_execnz .LBB130_1037
.LBB130_143:                            ;   in Loop: Header=BB130_3 Depth=1
	s_or_b32 exec_lo, exec_lo, s12
	s_and_saveexec_b32 s12, s20
	s_cbranch_execnz .LBB130_1038
.LBB130_144:                            ;   in Loop: Header=BB130_3 Depth=1
	s_or_b32 exec_lo, exec_lo, s12
	s_and_saveexec_b32 s12, s21
	s_cbranch_execnz .LBB130_1039
.LBB130_145:                            ;   in Loop: Header=BB130_3 Depth=1
	s_or_b32 exec_lo, exec_lo, s12
	s_and_saveexec_b32 s12, s22
	s_cbranch_execnz .LBB130_1040
.LBB130_146:                            ;   in Loop: Header=BB130_3 Depth=1
	s_or_b32 exec_lo, exec_lo, s12
	s_and_saveexec_b32 s12, s2
	s_cbranch_execnz .LBB130_1041
.LBB130_147:                            ;   in Loop: Header=BB130_3 Depth=1
	s_or_b32 exec_lo, exec_lo, s12
	s_and_saveexec_b32 s12, s17
	s_cbranch_execz .LBB130_149
.LBB130_148:                            ;   in Loop: Header=BB130_3 Depth=1
	ds_load_b64 v[42:43], v48 offset:3648
	ds_load_b64 v[80:81], v1 offset:56
	s_wait_dscnt 0x0
	v_fmac_f64_e32 v[40:41], v[42:43], v[80:81]
.LBB130_149:                            ;   in Loop: Header=BB130_3 Depth=1
	s_or_b32 exec_lo, exec_lo, s12
	s_delay_alu instid0(VALU_DEP_1)
	v_xor_b32_e32 v41, 0x80000000, v41
.LBB130_150:                            ;   in Loop: Header=BB130_3 Depth=1
	s_or_b32 exec_lo, exec_lo, s11
	s_and_saveexec_b32 s11, s40
	s_cbranch_execz .LBB130_152
; %bb.151:                              ;   in Loop: Header=BB130_3 Depth=1
	ds_load_b64 v[42:43], v1 offset:4160
	s_wait_dscnt 0x0
	v_mul_f64_e32 v[40:41], v[40:41], v[42:43]
	ds_store_b64 v56, v[40:41]
.LBB130_152:                            ;   in Loop: Header=BB130_3 Depth=1
	s_or_b32 exec_lo, exec_lo, s11
	s_wait_dscnt 0x0
	s_barrier_signal -1
	s_barrier_wait -1
	s_and_saveexec_b32 s11, s41
	s_cbranch_execz .LBB130_154
; %bb.153:                              ;   in Loop: Header=BB130_3 Depth=1
	ds_load_b64 v[42:43], v55 offset:4160
	ds_load_b64 v[80:81], v56
	s_wait_dscnt 0x0
	v_fmac_f64_e32 v[40:41], v[42:43], v[80:81]
.LBB130_154:                            ;   in Loop: Header=BB130_3 Depth=1
	s_or_b32 exec_lo, exec_lo, s11
	s_barrier_signal -1
	s_barrier_wait -1
	s_and_saveexec_b32 s11, s42
	s_cbranch_execz .LBB130_156
; %bb.155:                              ;   in Loop: Header=BB130_3 Depth=1
	ds_load_b64 v[42:43], v1 offset:4680
	s_wait_dscnt 0x0
	v_mul_f64_e32 v[40:41], v[40:41], v[42:43]
	ds_store_b64 v56, v[40:41]
.LBB130_156:                            ;   in Loop: Header=BB130_3 Depth=1
	s_or_b32 exec_lo, exec_lo, s11
	s_wait_dscnt 0x0
	s_barrier_signal -1
	s_barrier_wait -1
	s_and_saveexec_b32 s11, s43
	s_cbranch_execz .LBB130_158
; %bb.157:                              ;   in Loop: Header=BB130_3 Depth=1
	ds_load_b64 v[42:43], v55 offset:4672
	ds_load_b64 v[80:81], v56
	s_wait_dscnt 0x0
	v_fmac_f64_e32 v[40:41], v[42:43], v[80:81]
.LBB130_158:                            ;   in Loop: Header=BB130_3 Depth=1
	s_or_b32 exec_lo, exec_lo, s11
	s_barrier_signal -1
	s_barrier_wait -1
	;; [unrolled: 23-line block ×7, first 2 shown]
	s_and_saveexec_b32 s11, s53
	s_cbranch_execz .LBB130_180
; %bb.179:                              ;   in Loop: Header=BB130_3 Depth=1
	ds_load_b64 v[42:43], v1 offset:7800
	s_wait_dscnt 0x0
	v_mul_f64_e32 v[40:41], v[40:41], v[42:43]
	ds_store_b64 v56, v[40:41]
.LBB130_180:                            ;   in Loop: Header=BB130_3 Depth=1
	s_or_b32 exec_lo, exec_lo, s11
	s_wait_dscnt 0x0
	s_barrier_signal -1
	s_barrier_wait -1
	s_barrier_signal -1
	s_barrier_wait -1
	s_and_saveexec_b32 s11, s3
; %bb.181:                              ;   in Loop: Header=BB130_3 Depth=1
	s_delay_alu instid0(VALU_DEP_1)
	v_xor_b32_e32 v41, 0x80000000, v41
	ds_store_b64 v57, v[40:41] offset:64
; %bb.182:                              ;   in Loop: Header=BB130_3 Depth=1
	s_or_b32 exec_lo, exec_lo, s11
	s_wait_dscnt 0x0
	s_barrier_signal -1
	s_barrier_wait -1
	s_barrier_signal -1
	s_barrier_wait -1
	s_and_saveexec_b32 s11, s14
	s_cbranch_execz .LBB130_184
; %bb.183:                              ;   in Loop: Header=BB130_3 Depth=1
	ds_load_b128 v[40:43], v1 offset:4160
	ds_load_b64 v[80:81], v1 offset:4680
	s_wait_dscnt 0x0
	v_mul_f64_e32 v[40:41], v[40:41], v[80:81]
	s_delay_alu instid0(VALU_DEP_1)
	v_mul_f64_e32 v[40:41], v[42:43], v[40:41]
	ds_store_b64 v1, v[40:41] offset:4168
.LBB130_184:                            ;   in Loop: Header=BB130_3 Depth=1
	s_or_b32 exec_lo, exec_lo, s11
	v_mov_b64_e32 v[40:41], 0
	s_wait_dscnt 0x0
	s_barrier_signal -1
	s_barrier_wait -1
	s_and_saveexec_b32 s11, s1
	s_cbranch_execz .LBB130_188
; %bb.185:                              ;   in Loop: Header=BB130_3 Depth=1
	ds_load_b64 v[40:41], v46 offset:4176
	ds_load_b64 v[42:43], v47 offset:4160
	s_wait_dscnt 0x0
	v_fma_f64 v[40:41], v[40:41], v[42:43], 0
	s_and_saveexec_b32 s12, s15
	s_cbranch_execz .LBB130_187
; %bb.186:                              ;   in Loop: Header=BB130_3 Depth=1
	ds_load_b64 v[42:43], v48 offset:4688
	ds_load_b64 v[80:81], v1 offset:4168
	s_wait_dscnt 0x0
	v_fmac_f64_e32 v[40:41], v[42:43], v[80:81]
.LBB130_187:                            ;   in Loop: Header=BB130_3 Depth=1
	s_or_b32 exec_lo, exec_lo, s12
	s_delay_alu instid0(VALU_DEP_1)
	v_xor_b32_e32 v41, 0x80000000, v41
.LBB130_188:                            ;   in Loop: Header=BB130_3 Depth=1
	s_or_b32 exec_lo, exec_lo, s11
	s_and_saveexec_b32 s11, s102
	s_cbranch_execz .LBB130_190
; %bb.189:                              ;   in Loop: Header=BB130_3 Depth=1
	ds_load_b64 v[42:43], v1 offset:5200
	s_wait_dscnt 0x0
	v_mul_f64_e32 v[40:41], v[40:41], v[42:43]
	ds_store_b64 v3, v[40:41]
.LBB130_190:                            ;   in Loop: Header=BB130_3 Depth=1
	s_or_b32 exec_lo, exec_lo, s11
	s_wait_dscnt 0x0
	s_barrier_signal -1
	s_barrier_wait -1
	s_and_saveexec_b32 s11, s103
	s_cbranch_execz .LBB130_192
; %bb.191:                              ;   in Loop: Header=BB130_3 Depth=1
	ds_load_b64 v[42:43], v1 offset:5208
	ds_load_b64 v[80:81], v3
	s_wait_dscnt 0x0
	v_fmac_f64_e32 v[40:41], v[42:43], v[80:81]
.LBB130_192:                            ;   in Loop: Header=BB130_3 Depth=1
	s_or_b32 exec_lo, exec_lo, s11
	s_barrier_signal -1
	s_barrier_wait -1
	s_and_saveexec_b32 s11, s103
	s_cbranch_execz .LBB130_194
; %bb.193:                              ;   in Loop: Header=BB130_3 Depth=1
	ds_load_b64 v[42:43], v1 offset:5720
	s_wait_dscnt 0x0
	v_mul_f64_e32 v[40:41], v[40:41], v[42:43]
	ds_store_b64 v3, v[40:41]
.LBB130_194:                            ;   in Loop: Header=BB130_3 Depth=1
	s_or_b32 exec_lo, exec_lo, s11
	s_wait_dscnt 0x0
	s_barrier_signal -1
	s_barrier_wait -1
	s_barrier_signal -1
	s_barrier_wait -1
	s_and_saveexec_b32 s11, s1
; %bb.195:                              ;   in Loop: Header=BB130_3 Depth=1
	s_delay_alu instid0(VALU_DEP_1)
	v_xor_b32_e32 v41, 0x80000000, v41
	ds_store_b64 v46, v[40:41] offset:4176
; %bb.196:                              ;   in Loop: Header=BB130_3 Depth=1
	s_or_b32 exec_lo, exec_lo, s11
	s_wait_dscnt 0x0
	s_barrier_signal -1
	s_barrier_wait -1
	s_barrier_signal -1
	s_barrier_wait -1
	s_and_saveexec_b32 s11, s14
	s_cbranch_execz .LBB130_198
; %bb.197:                              ;   in Loop: Header=BB130_3 Depth=1
	ds_load_b128 v[40:43], v1 offset:5200
	ds_load_b64 v[80:81], v1 offset:5720
	s_wait_dscnt 0x0
	v_mul_f64_e32 v[40:41], v[40:41], v[80:81]
	s_delay_alu instid0(VALU_DEP_1)
	v_mul_f64_e32 v[40:41], v[42:43], v[40:41]
	ds_store_b64 v1, v[40:41] offset:5208
.LBB130_198:                            ;   in Loop: Header=BB130_3 Depth=1
	s_or_b32 exec_lo, exec_lo, s11
	v_mov_b64_e32 v[40:41], 0
	s_wait_dscnt 0x0
	s_barrier_signal -1
	s_barrier_wait -1
	s_and_saveexec_b32 s11, s2
	s_cbranch_execz .LBB130_204
; %bb.199:                              ;   in Loop: Header=BB130_3 Depth=1
	ds_load_b64 v[40:41], v52 offset:4192
	ds_load_b64 v[42:43], v49 offset:4160
	s_wait_dscnt 0x0
	v_fma_f64 v[40:41], v[40:41], v[42:43], 0
	s_and_saveexec_b32 s12, s16
	s_cbranch_execnz .LBB130_1042
; %bb.200:                              ;   in Loop: Header=BB130_3 Depth=1
	s_or_b32 exec_lo, exec_lo, s12
	s_and_saveexec_b32 s12, s17
	s_cbranch_execnz .LBB130_1043
.LBB130_201:                            ;   in Loop: Header=BB130_3 Depth=1
	s_or_b32 exec_lo, exec_lo, s12
	s_and_saveexec_b32 s12, s1
	s_cbranch_execz .LBB130_203
.LBB130_202:                            ;   in Loop: Header=BB130_3 Depth=1
	ds_load_b64 v[42:43], v48 offset:5728
	ds_load_b64 v[80:81], v1 offset:4184
	s_wait_dscnt 0x0
	v_fmac_f64_e32 v[40:41], v[42:43], v[80:81]
.LBB130_203:                            ;   in Loop: Header=BB130_3 Depth=1
	s_or_b32 exec_lo, exec_lo, s12
	s_delay_alu instid0(VALU_DEP_1)
	v_xor_b32_e32 v41, 0x80000000, v41
.LBB130_204:                            ;   in Loop: Header=BB130_3 Depth=1
	s_or_b32 exec_lo, exec_lo, s11
	s_and_saveexec_b32 s11, s104
	s_cbranch_execz .LBB130_206
; %bb.205:                              ;   in Loop: Header=BB130_3 Depth=1
	ds_load_b64 v[42:43], v1 offset:6240
	s_wait_dscnt 0x0
	v_mul_f64_e32 v[40:41], v[40:41], v[42:43]
	ds_store_b64 v50, v[40:41]
.LBB130_206:                            ;   in Loop: Header=BB130_3 Depth=1
	s_or_b32 exec_lo, exec_lo, s11
	s_wait_dscnt 0x0
	s_barrier_signal -1
	s_barrier_wait -1
	s_and_saveexec_b32 s11, vcc_hi
	s_cbranch_execz .LBB130_208
; %bb.207:                              ;   in Loop: Header=BB130_3 Depth=1
	ds_load_b64 v[42:43], v51 offset:6240
	ds_load_b64 v[80:81], v50
	s_wait_dscnt 0x0
	v_fmac_f64_e32 v[40:41], v[42:43], v[80:81]
.LBB130_208:                            ;   in Loop: Header=BB130_3 Depth=1
	s_or_b32 exec_lo, exec_lo, s11
	s_barrier_signal -1
	s_barrier_wait -1
	s_and_saveexec_b32 s11, s36
	s_cbranch_execz .LBB130_210
; %bb.209:                              ;   in Loop: Header=BB130_3 Depth=1
	ds_load_b64 v[42:43], v1 offset:6760
	s_wait_dscnt 0x0
	v_mul_f64_e32 v[40:41], v[40:41], v[42:43]
	ds_store_b64 v50, v[40:41]
.LBB130_210:                            ;   in Loop: Header=BB130_3 Depth=1
	s_or_b32 exec_lo, exec_lo, s11
	s_wait_dscnt 0x0
	s_barrier_signal -1
	s_barrier_wait -1
	s_and_saveexec_b32 s11, s37
	s_cbranch_execz .LBB130_212
; %bb.211:                              ;   in Loop: Header=BB130_3 Depth=1
	ds_load_b64 v[42:43], v51 offset:6752
	ds_load_b64 v[80:81], v50
	s_wait_dscnt 0x0
	v_fmac_f64_e32 v[40:41], v[42:43], v[80:81]
.LBB130_212:                            ;   in Loop: Header=BB130_3 Depth=1
	s_or_b32 exec_lo, exec_lo, s11
	s_barrier_signal -1
	s_barrier_wait -1
	s_and_saveexec_b32 s11, s38
	s_cbranch_execz .LBB130_214
; %bb.213:                              ;   in Loop: Header=BB130_3 Depth=1
	ds_load_b64 v[42:43], v1 offset:7280
	s_wait_dscnt 0x0
	v_mul_f64_e32 v[40:41], v[40:41], v[42:43]
	ds_store_b64 v50, v[40:41]
.LBB130_214:                            ;   in Loop: Header=BB130_3 Depth=1
	s_or_b32 exec_lo, exec_lo, s11
	s_wait_dscnt 0x0
	s_barrier_signal -1
	s_barrier_wait -1
	s_and_saveexec_b32 s11, s39
	s_cbranch_execz .LBB130_216
; %bb.215:                              ;   in Loop: Header=BB130_3 Depth=1
	ds_load_b64 v[42:43], v1 offset:7288
	ds_load_b64 v[80:81], v50
	s_wait_dscnt 0x0
	v_fmac_f64_e32 v[40:41], v[42:43], v[80:81]
.LBB130_216:                            ;   in Loop: Header=BB130_3 Depth=1
	s_or_b32 exec_lo, exec_lo, s11
	s_barrier_signal -1
	s_barrier_wait -1
	s_and_saveexec_b32 s11, s39
	s_cbranch_execz .LBB130_218
; %bb.217:                              ;   in Loop: Header=BB130_3 Depth=1
	ds_load_b64 v[42:43], v1 offset:7800
	s_wait_dscnt 0x0
	v_mul_f64_e32 v[40:41], v[40:41], v[42:43]
	ds_store_b64 v50, v[40:41]
.LBB130_218:                            ;   in Loop: Header=BB130_3 Depth=1
	s_or_b32 exec_lo, exec_lo, s11
	s_wait_dscnt 0x0
	s_barrier_signal -1
	s_barrier_wait -1
	s_barrier_signal -1
	s_barrier_wait -1
	s_and_saveexec_b32 s11, s2
; %bb.219:                              ;   in Loop: Header=BB130_3 Depth=1
	s_delay_alu instid0(VALU_DEP_1)
	v_xor_b32_e32 v41, 0x80000000, v41
	ds_store_b64 v52, v[40:41] offset:4192
; %bb.220:                              ;   in Loop: Header=BB130_3 Depth=1
	s_or_b32 exec_lo, exec_lo, s11
	s_wait_dscnt 0x0
	s_barrier_signal -1
	s_barrier_wait -1
	s_barrier_signal -1
	s_barrier_wait -1
	s_and_saveexec_b32 s11, s14
	s_cbranch_execz .LBB130_222
; %bb.221:                              ;   in Loop: Header=BB130_3 Depth=1
	ds_load_b128 v[40:43], v1 offset:6240
	ds_load_b64 v[80:81], v1 offset:6760
	s_wait_dscnt 0x0
	v_mul_f64_e32 v[40:41], v[40:41], v[80:81]
	s_delay_alu instid0(VALU_DEP_1)
	v_mul_f64_e32 v[40:41], v[42:43], v[40:41]
	ds_store_b64 v1, v[40:41] offset:6248
.LBB130_222:                            ;   in Loop: Header=BB130_3 Depth=1
	s_or_b32 exec_lo, exec_lo, s11
	v_mov_b64_e32 v[40:41], 0
	s_wait_dscnt 0x0
	s_barrier_signal -1
	s_barrier_wait -1
	s_and_saveexec_b32 s11, s1
	s_cbranch_execz .LBB130_226
; %bb.223:                              ;   in Loop: Header=BB130_3 Depth=1
	ds_load_b64 v[40:41], v46 offset:6256
	ds_load_b64 v[42:43], v47 offset:6240
	s_wait_dscnt 0x0
	v_fma_f64 v[40:41], v[40:41], v[42:43], 0
	s_and_saveexec_b32 s12, s15
	s_cbranch_execz .LBB130_225
; %bb.224:                              ;   in Loop: Header=BB130_3 Depth=1
	ds_load_b64 v[42:43], v48 offset:6768
	ds_load_b64 v[80:81], v1 offset:6248
	s_wait_dscnt 0x0
	v_fmac_f64_e32 v[40:41], v[42:43], v[80:81]
.LBB130_225:                            ;   in Loop: Header=BB130_3 Depth=1
	s_or_b32 exec_lo, exec_lo, s12
	s_delay_alu instid0(VALU_DEP_1)
	v_xor_b32_e32 v41, 0x80000000, v41
.LBB130_226:                            ;   in Loop: Header=BB130_3 Depth=1
	s_or_b32 exec_lo, exec_lo, s11
	s_and_saveexec_b32 s11, s102
	s_cbranch_execz .LBB130_228
; %bb.227:                              ;   in Loop: Header=BB130_3 Depth=1
	ds_load_b64 v[42:43], v1 offset:7280
	s_wait_dscnt 0x0
	v_mul_f64_e32 v[40:41], v[40:41], v[42:43]
	ds_store_b64 v3, v[40:41]
.LBB130_228:                            ;   in Loop: Header=BB130_3 Depth=1
	s_or_b32 exec_lo, exec_lo, s11
	s_wait_dscnt 0x0
	s_barrier_signal -1
	s_barrier_wait -1
	s_and_saveexec_b32 s11, s103
	s_cbranch_execz .LBB130_230
; %bb.229:                              ;   in Loop: Header=BB130_3 Depth=1
	ds_load_b64 v[42:43], v1 offset:7288
	ds_load_b64 v[80:81], v3
	s_wait_dscnt 0x0
	v_fmac_f64_e32 v[40:41], v[42:43], v[80:81]
.LBB130_230:                            ;   in Loop: Header=BB130_3 Depth=1
	s_or_b32 exec_lo, exec_lo, s11
	s_barrier_signal -1
	s_barrier_wait -1
	s_and_saveexec_b32 s11, s103
	s_cbranch_execz .LBB130_232
; %bb.231:                              ;   in Loop: Header=BB130_3 Depth=1
	ds_load_b64 v[42:43], v1 offset:7800
	s_wait_dscnt 0x0
	v_mul_f64_e32 v[40:41], v[40:41], v[42:43]
	ds_store_b64 v3, v[40:41]
.LBB130_232:                            ;   in Loop: Header=BB130_3 Depth=1
	s_or_b32 exec_lo, exec_lo, s11
	s_wait_dscnt 0x0
	s_barrier_signal -1
	s_barrier_wait -1
	s_barrier_signal -1
	s_barrier_wait -1
	s_and_saveexec_b32 s11, s1
; %bb.233:                              ;   in Loop: Header=BB130_3 Depth=1
	s_delay_alu instid0(VALU_DEP_1)
	v_xor_b32_e32 v41, 0x80000000, v41
	ds_store_b64 v46, v[40:41] offset:6256
; %bb.234:                              ;   in Loop: Header=BB130_3 Depth=1
	s_or_b32 exec_lo, exec_lo, s11
	s_wait_dscnt 0x0
	s_barrier_signal -1
	s_barrier_wait -1
	s_barrier_signal -1
	s_barrier_wait -1
	s_and_saveexec_b32 s11, s14
	s_cbranch_execz .LBB130_236
; %bb.235:                              ;   in Loop: Header=BB130_3 Depth=1
	ds_load_b128 v[40:43], v1 offset:7280
	ds_load_b64 v[80:81], v1 offset:7800
	s_wait_dscnt 0x0
	v_mul_f64_e32 v[40:41], v[40:41], v[80:81]
	s_delay_alu instid0(VALU_DEP_1)
	v_mul_f64_e32 v[40:41], v[42:43], v[40:41]
	ds_store_b64 v1, v[40:41] offset:7288
.LBB130_236:                            ;   in Loop: Header=BB130_3 Depth=1
	s_or_b32 exec_lo, exec_lo, s11
	v_mov_b64_e32 v[40:41], 0
	s_wait_dscnt 0x0
	s_barrier_signal -1
	s_barrier_wait -1
	s_and_saveexec_b32 s69, s4
	s_cbranch_execz .LBB130_264
; %bb.237:                              ;   in Loop: Header=BB130_3 Depth=1
	ds_load_b64 v[40:41], v62 offset:128
	ds_load_b64 v[42:43], v59
	s_wait_dscnt 0x0
	v_fma_f64 v[40:41], v[40:41], v[42:43], 0
	s_mov_b32 s11, exec_lo
	v_readlane_b32 s12, v90, 29
	s_and_b32 s12, s11, s12
	s_delay_alu instid0(SALU_CYCLE_1)
	s_mov_b32 exec_lo, s12
	s_cbranch_execz .LBB130_239
; %bb.238:                              ;   in Loop: Header=BB130_3 Depth=1
	ds_load_b64 v[42:43], v63 offset:640
	ds_load_b64 v[80:81], v59 offset:8
	s_wait_dscnt 0x0
	v_fmac_f64_e32 v[40:41], v[42:43], v[80:81]
.LBB130_239:                            ;   in Loop: Header=BB130_3 Depth=1
	s_or_b32 exec_lo, exec_lo, s11
	s_delay_alu instid0(SALU_CYCLE_1) | instskip(SKIP_2) | instid1(SALU_CYCLE_1)
	s_mov_b32 s11, exec_lo
	v_readlane_b32 s12, v90, 30
	s_and_b32 s12, s11, s12
	s_mov_b32 exec_lo, s12
	s_cbranch_execz .LBB130_241
; %bb.240:                              ;   in Loop: Header=BB130_3 Depth=1
	ds_load_b64 v[42:43], v63 offset:1152
	ds_load_b64 v[80:81], v59 offset:16
	s_wait_dscnt 0x0
	v_fmac_f64_e32 v[40:41], v[42:43], v[80:81]
.LBB130_241:                            ;   in Loop: Header=BB130_3 Depth=1
	s_or_b32 exec_lo, exec_lo, s11
	s_delay_alu instid0(SALU_CYCLE_1) | instskip(SKIP_2) | instid1(SALU_CYCLE_1)
	s_mov_b32 s11, exec_lo
	v_readlane_b32 s12, v90, 31
	s_and_b32 s12, s11, s12
	;; [unrolled: 13-line block ×4, first 2 shown]
	s_mov_b32 exec_lo, s12
	s_cbranch_execz .LBB130_247
; %bb.246:                              ;   in Loop: Header=BB130_3 Depth=1
	ds_load_b64 v[42:43], v63 offset:2688
	ds_load_b64 v[80:81], v59 offset:40
	s_wait_dscnt 0x0
	v_fmac_f64_e32 v[40:41], v[42:43], v[80:81]
.LBB130_247:                            ;   in Loop: Header=BB130_3 Depth=1
	s_or_b32 exec_lo, exec_lo, s11
	s_and_saveexec_b32 s11, s7
	s_cbranch_execz .LBB130_249
; %bb.248:                              ;   in Loop: Header=BB130_3 Depth=1
	ds_load_b64 v[42:43], v63 offset:3200
	ds_load_b64 v[80:81], v59 offset:48
	s_wait_dscnt 0x0
	v_fmac_f64_e32 v[40:41], v[42:43], v[80:81]
.LBB130_249:                            ;   in Loop: Header=BB130_3 Depth=1
	s_or_b32 exec_lo, exec_lo, s11
	s_delay_alu instid0(SALU_CYCLE_1) | instskip(SKIP_2) | instid1(SALU_CYCLE_1)
	s_mov_b32 s11, exec_lo
	v_readlane_b32 s12, v89, 2
	s_and_b32 s12, s11, s12
	s_mov_b32 exec_lo, s12
	s_cbranch_execz .LBB130_251
; %bb.250:                              ;   in Loop: Header=BB130_3 Depth=1
	ds_load_b64 v[42:43], v63 offset:3712
	ds_load_b64 v[80:81], v59 offset:56
	s_wait_dscnt 0x0
	v_fmac_f64_e32 v[40:41], v[42:43], v[80:81]
.LBB130_251:                            ;   in Loop: Header=BB130_3 Depth=1
	s_or_b32 exec_lo, exec_lo, s11
	s_and_saveexec_b32 s11, s6
	s_cbranch_execz .LBB130_253
; %bb.252:                              ;   in Loop: Header=BB130_3 Depth=1
	ds_load_b64 v[42:43], v62 offset:4224
	ds_load_b64 v[80:81], v59 offset:64
	s_wait_dscnt 0x0
	v_fmac_f64_e32 v[40:41], v[42:43], v[80:81]
.LBB130_253:                            ;   in Loop: Header=BB130_3 Depth=1
	s_or_b32 exec_lo, exec_lo, s11
	s_delay_alu instid0(SALU_CYCLE_1) | instskip(SKIP_2) | instid1(SALU_CYCLE_1)
	s_mov_b32 s11, exec_lo
	v_readlane_b32 s12, v89, 3
	s_and_b32 s12, s11, s12
	;; [unrolled: 22-line block ×3, first 2 shown]
	s_mov_b32 exec_lo, s12
	s_cbranch_execnz .LBB130_1044
; %bb.258:                              ;   in Loop: Header=BB130_3 Depth=1
	s_or_b32 exec_lo, exec_lo, s11
	s_and_saveexec_b32 s11, s3
	s_cbranch_execnz .LBB130_1045
.LBB130_259:                            ;   in Loop: Header=BB130_3 Depth=1
	s_or_b32 exec_lo, exec_lo, s11
	s_and_saveexec_b32 s11, s19
	s_cbranch_execnz .LBB130_1046
.LBB130_260:                            ;   in Loop: Header=BB130_3 Depth=1
	s_or_b32 exec_lo, exec_lo, s11
	s_and_saveexec_b32 s11, s21
	s_cbranch_execnz .LBB130_1047
.LBB130_261:                            ;   in Loop: Header=BB130_3 Depth=1
	s_or_b32 exec_lo, exec_lo, s11
	s_and_saveexec_b32 s11, s2
	s_cbranch_execz .LBB130_263
.LBB130_262:                            ;   in Loop: Header=BB130_3 Depth=1
	ds_load_b64 v[42:43], v48 offset:7808
	ds_load_b64 v[80:81], v1 offset:120
	s_wait_dscnt 0x0
	v_fmac_f64_e32 v[40:41], v[42:43], v[80:81]
.LBB130_263:                            ;   in Loop: Header=BB130_3 Depth=1
	s_or_b32 exec_lo, exec_lo, s11
	s_delay_alu instid0(VALU_DEP_1)
	v_xor_b32_e32 v41, 0x80000000, v41
.LBB130_264:                            ;   in Loop: Header=BB130_3 Depth=1
	s_or_b32 exec_lo, exec_lo, s69
	s_delay_alu instid0(SALU_CYCLE_1) | instskip(SKIP_2) | instid1(SALU_CYCLE_1)
	s_mov_b32 s11, exec_lo
	v_readlane_b32 s12, v90, 1
	s_and_b32 s12, s11, s12
	s_mov_b32 exec_lo, s12
	s_cbranch_execz .LBB130_266
; %bb.265:                              ;   in Loop: Header=BB130_3 Depth=1
	ds_load_b64 v[42:43], v1 offset:8320
	s_wait_dscnt 0x0
	v_mul_f64_e32 v[40:41], v[40:41], v[42:43]
	ds_store_b64 v61, v[40:41]
.LBB130_266:                            ;   in Loop: Header=BB130_3 Depth=1
	s_or_b32 exec_lo, exec_lo, s11
	s_wait_dscnt 0x0
	s_barrier_signal -1
	s_barrier_wait -1
	s_mov_b32 s11, exec_lo
	v_readlane_b32 s12, v90, 2
	s_and_b32 s12, s11, s12
	s_delay_alu instid0(SALU_CYCLE_1)
	s_mov_b32 exec_lo, s12
	s_cbranch_execz .LBB130_268
; %bb.267:                              ;   in Loop: Header=BB130_3 Depth=1
	ds_load_b64 v[42:43], v60 offset:8320
	ds_load_b64 v[80:81], v61
	s_wait_dscnt 0x0
	v_fmac_f64_e32 v[40:41], v[42:43], v[80:81]
.LBB130_268:                            ;   in Loop: Header=BB130_3 Depth=1
	s_or_b32 exec_lo, exec_lo, s11
	s_barrier_signal -1
	s_barrier_wait -1
	s_mov_b32 s11, exec_lo
	v_readlane_b32 s12, v90, 3
	s_and_b32 s12, s11, s12
	s_delay_alu instid0(SALU_CYCLE_1)
	s_mov_b32 exec_lo, s12
	s_cbranch_execz .LBB130_270
; %bb.269:                              ;   in Loop: Header=BB130_3 Depth=1
	ds_load_b64 v[42:43], v1 offset:8840
	s_wait_dscnt 0x0
	v_mul_f64_e32 v[40:41], v[40:41], v[42:43]
	ds_store_b64 v61, v[40:41]
.LBB130_270:                            ;   in Loop: Header=BB130_3 Depth=1
	s_or_b32 exec_lo, exec_lo, s11
	s_wait_dscnt 0x0
	s_barrier_signal -1
	s_barrier_wait -1
	s_mov_b32 s11, exec_lo
	v_readlane_b32 s12, v90, 4
	s_and_b32 s12, s11, s12
	s_delay_alu instid0(SALU_CYCLE_1)
	s_mov_b32 exec_lo, s12
	s_cbranch_execz .LBB130_272
; %bb.271:                              ;   in Loop: Header=BB130_3 Depth=1
	ds_load_b64 v[42:43], v60 offset:8832
	ds_load_b64 v[80:81], v61
	s_wait_dscnt 0x0
	v_fmac_f64_e32 v[40:41], v[42:43], v[80:81]
.LBB130_272:                            ;   in Loop: Header=BB130_3 Depth=1
	s_or_b32 exec_lo, exec_lo, s11
	s_barrier_signal -1
	s_barrier_wait -1
	s_mov_b32 s11, exec_lo
	v_readlane_b32 s12, v90, 5
	s_and_b32 s12, s11, s12
	s_delay_alu instid0(SALU_CYCLE_1)
	;; [unrolled: 31-line block ×3, first 2 shown]
	s_mov_b32 exec_lo, s12
	s_cbranch_execz .LBB130_278
; %bb.277:                              ;   in Loop: Header=BB130_3 Depth=1
	ds_load_b64 v[42:43], v1 offset:9880
	s_wait_dscnt 0x0
	v_mul_f64_e32 v[40:41], v[40:41], v[42:43]
	ds_store_b64 v61, v[40:41]
.LBB130_278:                            ;   in Loop: Header=BB130_3 Depth=1
	s_or_b32 exec_lo, exec_lo, s11
	s_wait_dscnt 0x0
	s_barrier_signal -1
	s_barrier_wait -1
	s_and_saveexec_b32 s11, s67
	s_cbranch_execz .LBB130_280
; %bb.279:                              ;   in Loop: Header=BB130_3 Depth=1
	ds_load_b64 v[42:43], v60 offset:9856
	ds_load_b64 v[80:81], v61
	s_wait_dscnt 0x0
	v_fmac_f64_e32 v[40:41], v[42:43], v[80:81]
.LBB130_280:                            ;   in Loop: Header=BB130_3 Depth=1
	s_or_b32 exec_lo, exec_lo, s11
	s_barrier_signal -1
	s_barrier_wait -1
	s_and_saveexec_b32 s11, s68
	s_cbranch_execz .LBB130_282
; %bb.281:                              ;   in Loop: Header=BB130_3 Depth=1
	ds_load_b64 v[42:43], v1 offset:10400
	s_wait_dscnt 0x0
	v_mul_f64_e32 v[40:41], v[40:41], v[42:43]
	ds_store_b64 v61, v[40:41]
.LBB130_282:                            ;   in Loop: Header=BB130_3 Depth=1
	s_or_b32 exec_lo, exec_lo, s11
	s_wait_dscnt 0x0
	s_barrier_signal -1
	s_barrier_wait -1
	s_and_saveexec_b32 s11, s9
	s_cbranch_execz .LBB130_284
; %bb.283:                              ;   in Loop: Header=BB130_3 Depth=1
	ds_load_b64 v[42:43], v60 offset:10368
	ds_load_b64 v[80:81], v61
	s_wait_dscnt 0x0
	v_fmac_f64_e32 v[40:41], v[42:43], v[80:81]
.LBB130_284:                            ;   in Loop: Header=BB130_3 Depth=1
	s_or_b32 exec_lo, exec_lo, s11
	s_barrier_signal -1
	s_barrier_wait -1
	s_and_saveexec_b32 s11, s23
	;; [unrolled: 23-line block ×12, first 2 shown]
	s_cbranch_execz .LBB130_326
; %bb.325:                              ;   in Loop: Header=BB130_3 Depth=1
	ds_load_b64 v[42:43], v1 offset:16120
	s_wait_dscnt 0x0
	v_mul_f64_e32 v[40:41], v[40:41], v[42:43]
	ds_store_b64 v61, v[40:41]
.LBB130_326:                            ;   in Loop: Header=BB130_3 Depth=1
	s_or_b32 exec_lo, exec_lo, s11
	s_wait_dscnt 0x0
	s_barrier_signal -1
	s_barrier_wait -1
	s_barrier_signal -1
	s_barrier_wait -1
	s_and_saveexec_b32 s11, s4
; %bb.327:                              ;   in Loop: Header=BB130_3 Depth=1
	s_delay_alu instid0(VALU_DEP_1)
	v_xor_b32_e32 v41, 0x80000000, v41
	ds_store_b64 v62, v[40:41] offset:128
; %bb.328:                              ;   in Loop: Header=BB130_3 Depth=1
	s_or_b32 exec_lo, exec_lo, s11
	s_wait_dscnt 0x0
	s_barrier_signal -1
	s_barrier_wait -1
	s_barrier_signal -1
	s_barrier_wait -1
	s_and_saveexec_b32 s11, s14
	s_cbranch_execz .LBB130_330
; %bb.329:                              ;   in Loop: Header=BB130_3 Depth=1
	ds_load_b128 v[40:43], v1 offset:8320
	ds_load_b64 v[80:81], v1 offset:8840
	s_wait_dscnt 0x0
	v_mul_f64_e32 v[40:41], v[40:41], v[80:81]
	s_delay_alu instid0(VALU_DEP_1)
	v_mul_f64_e32 v[40:41], v[42:43], v[40:41]
	ds_store_b64 v1, v[40:41] offset:8328
.LBB130_330:                            ;   in Loop: Header=BB130_3 Depth=1
	s_or_b32 exec_lo, exec_lo, s11
	v_mov_b64_e32 v[40:41], 0
	s_wait_dscnt 0x0
	s_barrier_signal -1
	s_barrier_wait -1
	s_and_saveexec_b32 s11, s1
	s_cbranch_execz .LBB130_334
; %bb.331:                              ;   in Loop: Header=BB130_3 Depth=1
	ds_load_b64 v[40:41], v46 offset:8336
	ds_load_b64 v[42:43], v47 offset:8320
	s_wait_dscnt 0x0
	v_fma_f64 v[40:41], v[40:41], v[42:43], 0
	s_and_saveexec_b32 s12, s15
	s_cbranch_execz .LBB130_333
; %bb.332:                              ;   in Loop: Header=BB130_3 Depth=1
	ds_load_b64 v[42:43], v48 offset:8848
	ds_load_b64 v[80:81], v1 offset:8328
	s_wait_dscnt 0x0
	v_fmac_f64_e32 v[40:41], v[42:43], v[80:81]
.LBB130_333:                            ;   in Loop: Header=BB130_3 Depth=1
	s_or_b32 exec_lo, exec_lo, s12
	s_delay_alu instid0(VALU_DEP_1)
	v_xor_b32_e32 v41, 0x80000000, v41
.LBB130_334:                            ;   in Loop: Header=BB130_3 Depth=1
	s_or_b32 exec_lo, exec_lo, s11
	s_and_saveexec_b32 s11, s102
	s_cbranch_execz .LBB130_336
; %bb.335:                              ;   in Loop: Header=BB130_3 Depth=1
	ds_load_b64 v[42:43], v1 offset:9360
	s_wait_dscnt 0x0
	v_mul_f64_e32 v[40:41], v[40:41], v[42:43]
	ds_store_b64 v3, v[40:41]
.LBB130_336:                            ;   in Loop: Header=BB130_3 Depth=1
	s_or_b32 exec_lo, exec_lo, s11
	s_wait_dscnt 0x0
	s_barrier_signal -1
	s_barrier_wait -1
	s_and_saveexec_b32 s11, s103
	s_cbranch_execz .LBB130_338
; %bb.337:                              ;   in Loop: Header=BB130_3 Depth=1
	ds_load_b64 v[42:43], v1 offset:9368
	ds_load_b64 v[80:81], v3
	s_wait_dscnt 0x0
	v_fmac_f64_e32 v[40:41], v[42:43], v[80:81]
.LBB130_338:                            ;   in Loop: Header=BB130_3 Depth=1
	s_or_b32 exec_lo, exec_lo, s11
	s_barrier_signal -1
	s_barrier_wait -1
	s_and_saveexec_b32 s11, s103
	s_cbranch_execz .LBB130_340
; %bb.339:                              ;   in Loop: Header=BB130_3 Depth=1
	ds_load_b64 v[42:43], v1 offset:9880
	s_wait_dscnt 0x0
	v_mul_f64_e32 v[40:41], v[40:41], v[42:43]
	ds_store_b64 v3, v[40:41]
.LBB130_340:                            ;   in Loop: Header=BB130_3 Depth=1
	s_or_b32 exec_lo, exec_lo, s11
	s_wait_dscnt 0x0
	s_barrier_signal -1
	s_barrier_wait -1
	s_barrier_signal -1
	s_barrier_wait -1
	s_and_saveexec_b32 s11, s1
; %bb.341:                              ;   in Loop: Header=BB130_3 Depth=1
	s_delay_alu instid0(VALU_DEP_1)
	v_xor_b32_e32 v41, 0x80000000, v41
	ds_store_b64 v46, v[40:41] offset:8336
; %bb.342:                              ;   in Loop: Header=BB130_3 Depth=1
	s_or_b32 exec_lo, exec_lo, s11
	s_wait_dscnt 0x0
	s_barrier_signal -1
	s_barrier_wait -1
	s_barrier_signal -1
	s_barrier_wait -1
	s_and_saveexec_b32 s11, s14
	s_cbranch_execz .LBB130_344
; %bb.343:                              ;   in Loop: Header=BB130_3 Depth=1
	ds_load_b128 v[40:43], v1 offset:9360
	ds_load_b64 v[80:81], v1 offset:9880
	s_wait_dscnt 0x0
	v_mul_f64_e32 v[40:41], v[40:41], v[80:81]
	s_delay_alu instid0(VALU_DEP_1)
	v_mul_f64_e32 v[40:41], v[42:43], v[40:41]
	ds_store_b64 v1, v[40:41] offset:9368
.LBB130_344:                            ;   in Loop: Header=BB130_3 Depth=1
	s_or_b32 exec_lo, exec_lo, s11
	v_mov_b64_e32 v[40:41], 0
	s_wait_dscnt 0x0
	s_barrier_signal -1
	s_barrier_wait -1
	s_and_saveexec_b32 s11, s2
	s_cbranch_execz .LBB130_350
; %bb.345:                              ;   in Loop: Header=BB130_3 Depth=1
	ds_load_b64 v[40:41], v52 offset:8352
	ds_load_b64 v[42:43], v49 offset:8320
	s_wait_dscnt 0x0
	v_fma_f64 v[40:41], v[40:41], v[42:43], 0
	s_and_saveexec_b32 s12, s16
	s_cbranch_execnz .LBB130_1048
; %bb.346:                              ;   in Loop: Header=BB130_3 Depth=1
	s_or_b32 exec_lo, exec_lo, s12
	s_and_saveexec_b32 s12, s17
	s_cbranch_execnz .LBB130_1049
.LBB130_347:                            ;   in Loop: Header=BB130_3 Depth=1
	s_or_b32 exec_lo, exec_lo, s12
	s_and_saveexec_b32 s12, s1
	s_cbranch_execz .LBB130_349
.LBB130_348:                            ;   in Loop: Header=BB130_3 Depth=1
	ds_load_b64 v[42:43], v48 offset:9888
	ds_load_b64 v[80:81], v1 offset:8344
	s_wait_dscnt 0x0
	v_fmac_f64_e32 v[40:41], v[42:43], v[80:81]
.LBB130_349:                            ;   in Loop: Header=BB130_3 Depth=1
	s_or_b32 exec_lo, exec_lo, s12
	s_delay_alu instid0(VALU_DEP_1)
	v_xor_b32_e32 v41, 0x80000000, v41
.LBB130_350:                            ;   in Loop: Header=BB130_3 Depth=1
	s_or_b32 exec_lo, exec_lo, s11
	s_and_saveexec_b32 s11, s104
	s_cbranch_execz .LBB130_352
; %bb.351:                              ;   in Loop: Header=BB130_3 Depth=1
	ds_load_b64 v[42:43], v1 offset:10400
	s_wait_dscnt 0x0
	v_mul_f64_e32 v[40:41], v[40:41], v[42:43]
	ds_store_b64 v50, v[40:41]
.LBB130_352:                            ;   in Loop: Header=BB130_3 Depth=1
	s_or_b32 exec_lo, exec_lo, s11
	s_wait_dscnt 0x0
	s_barrier_signal -1
	s_barrier_wait -1
	s_and_saveexec_b32 s11, vcc_hi
	s_cbranch_execz .LBB130_354
; %bb.353:                              ;   in Loop: Header=BB130_3 Depth=1
	ds_load_b64 v[42:43], v51 offset:10400
	ds_load_b64 v[80:81], v50
	s_wait_dscnt 0x0
	v_fmac_f64_e32 v[40:41], v[42:43], v[80:81]
.LBB130_354:                            ;   in Loop: Header=BB130_3 Depth=1
	s_or_b32 exec_lo, exec_lo, s11
	s_barrier_signal -1
	s_barrier_wait -1
	s_and_saveexec_b32 s11, s36
	s_cbranch_execz .LBB130_356
; %bb.355:                              ;   in Loop: Header=BB130_3 Depth=1
	ds_load_b64 v[42:43], v1 offset:10920
	s_wait_dscnt 0x0
	v_mul_f64_e32 v[40:41], v[40:41], v[42:43]
	ds_store_b64 v50, v[40:41]
.LBB130_356:                            ;   in Loop: Header=BB130_3 Depth=1
	s_or_b32 exec_lo, exec_lo, s11
	s_wait_dscnt 0x0
	s_barrier_signal -1
	s_barrier_wait -1
	s_and_saveexec_b32 s11, s37
	s_cbranch_execz .LBB130_358
; %bb.357:                              ;   in Loop: Header=BB130_3 Depth=1
	ds_load_b64 v[42:43], v51 offset:10912
	ds_load_b64 v[80:81], v50
	s_wait_dscnt 0x0
	v_fmac_f64_e32 v[40:41], v[42:43], v[80:81]
.LBB130_358:                            ;   in Loop: Header=BB130_3 Depth=1
	s_or_b32 exec_lo, exec_lo, s11
	s_barrier_signal -1
	s_barrier_wait -1
	s_and_saveexec_b32 s11, s38
	s_cbranch_execz .LBB130_360
; %bb.359:                              ;   in Loop: Header=BB130_3 Depth=1
	ds_load_b64 v[42:43], v1 offset:11440
	s_wait_dscnt 0x0
	v_mul_f64_e32 v[40:41], v[40:41], v[42:43]
	ds_store_b64 v50, v[40:41]
.LBB130_360:                            ;   in Loop: Header=BB130_3 Depth=1
	s_or_b32 exec_lo, exec_lo, s11
	s_wait_dscnt 0x0
	s_barrier_signal -1
	s_barrier_wait -1
	s_and_saveexec_b32 s11, s39
	s_cbranch_execz .LBB130_362
; %bb.361:                              ;   in Loop: Header=BB130_3 Depth=1
	ds_load_b64 v[42:43], v1 offset:11448
	ds_load_b64 v[80:81], v50
	s_wait_dscnt 0x0
	v_fmac_f64_e32 v[40:41], v[42:43], v[80:81]
.LBB130_362:                            ;   in Loop: Header=BB130_3 Depth=1
	s_or_b32 exec_lo, exec_lo, s11
	s_barrier_signal -1
	s_barrier_wait -1
	s_and_saveexec_b32 s11, s39
	s_cbranch_execz .LBB130_364
; %bb.363:                              ;   in Loop: Header=BB130_3 Depth=1
	ds_load_b64 v[42:43], v1 offset:11960
	s_wait_dscnt 0x0
	v_mul_f64_e32 v[40:41], v[40:41], v[42:43]
	ds_store_b64 v50, v[40:41]
.LBB130_364:                            ;   in Loop: Header=BB130_3 Depth=1
	s_or_b32 exec_lo, exec_lo, s11
	s_wait_dscnt 0x0
	s_barrier_signal -1
	s_barrier_wait -1
	s_barrier_signal -1
	s_barrier_wait -1
	s_and_saveexec_b32 s11, s2
; %bb.365:                              ;   in Loop: Header=BB130_3 Depth=1
	s_delay_alu instid0(VALU_DEP_1)
	v_xor_b32_e32 v41, 0x80000000, v41
	ds_store_b64 v52, v[40:41] offset:8352
; %bb.366:                              ;   in Loop: Header=BB130_3 Depth=1
	s_or_b32 exec_lo, exec_lo, s11
	s_wait_dscnt 0x0
	s_barrier_signal -1
	s_barrier_wait -1
	s_barrier_signal -1
	s_barrier_wait -1
	s_and_saveexec_b32 s11, s14
	s_cbranch_execz .LBB130_368
; %bb.367:                              ;   in Loop: Header=BB130_3 Depth=1
	ds_load_b128 v[40:43], v1 offset:10400
	ds_load_b64 v[80:81], v1 offset:10920
	s_wait_dscnt 0x0
	v_mul_f64_e32 v[40:41], v[40:41], v[80:81]
	s_delay_alu instid0(VALU_DEP_1)
	v_mul_f64_e32 v[40:41], v[42:43], v[40:41]
	ds_store_b64 v1, v[40:41] offset:10408
.LBB130_368:                            ;   in Loop: Header=BB130_3 Depth=1
	s_or_b32 exec_lo, exec_lo, s11
	v_mov_b64_e32 v[40:41], 0
	s_wait_dscnt 0x0
	s_barrier_signal -1
	s_barrier_wait -1
	s_and_saveexec_b32 s11, s1
	s_cbranch_execz .LBB130_372
; %bb.369:                              ;   in Loop: Header=BB130_3 Depth=1
	ds_load_b64 v[40:41], v46 offset:10416
	ds_load_b64 v[42:43], v47 offset:10400
	s_wait_dscnt 0x0
	v_fma_f64 v[40:41], v[40:41], v[42:43], 0
	s_and_saveexec_b32 s12, s15
	s_cbranch_execz .LBB130_371
; %bb.370:                              ;   in Loop: Header=BB130_3 Depth=1
	ds_load_b64 v[42:43], v48 offset:10928
	ds_load_b64 v[80:81], v1 offset:10408
	s_wait_dscnt 0x0
	v_fmac_f64_e32 v[40:41], v[42:43], v[80:81]
.LBB130_371:                            ;   in Loop: Header=BB130_3 Depth=1
	s_or_b32 exec_lo, exec_lo, s12
	s_delay_alu instid0(VALU_DEP_1)
	v_xor_b32_e32 v41, 0x80000000, v41
.LBB130_372:                            ;   in Loop: Header=BB130_3 Depth=1
	s_or_b32 exec_lo, exec_lo, s11
	s_and_saveexec_b32 s11, s102
	s_cbranch_execz .LBB130_374
; %bb.373:                              ;   in Loop: Header=BB130_3 Depth=1
	ds_load_b64 v[42:43], v1 offset:11440
	s_wait_dscnt 0x0
	v_mul_f64_e32 v[40:41], v[40:41], v[42:43]
	ds_store_b64 v3, v[40:41]
.LBB130_374:                            ;   in Loop: Header=BB130_3 Depth=1
	s_or_b32 exec_lo, exec_lo, s11
	s_wait_dscnt 0x0
	s_barrier_signal -1
	s_barrier_wait -1
	s_and_saveexec_b32 s11, s103
	s_cbranch_execz .LBB130_376
; %bb.375:                              ;   in Loop: Header=BB130_3 Depth=1
	ds_load_b64 v[42:43], v1 offset:11448
	ds_load_b64 v[80:81], v3
	s_wait_dscnt 0x0
	v_fmac_f64_e32 v[40:41], v[42:43], v[80:81]
.LBB130_376:                            ;   in Loop: Header=BB130_3 Depth=1
	s_or_b32 exec_lo, exec_lo, s11
	s_barrier_signal -1
	s_barrier_wait -1
	s_and_saveexec_b32 s11, s103
	s_cbranch_execz .LBB130_378
; %bb.377:                              ;   in Loop: Header=BB130_3 Depth=1
	ds_load_b64 v[42:43], v1 offset:11960
	s_wait_dscnt 0x0
	v_mul_f64_e32 v[40:41], v[40:41], v[42:43]
	ds_store_b64 v3, v[40:41]
.LBB130_378:                            ;   in Loop: Header=BB130_3 Depth=1
	s_or_b32 exec_lo, exec_lo, s11
	s_wait_dscnt 0x0
	s_barrier_signal -1
	s_barrier_wait -1
	s_barrier_signal -1
	s_barrier_wait -1
	s_and_saveexec_b32 s11, s1
; %bb.379:                              ;   in Loop: Header=BB130_3 Depth=1
	s_delay_alu instid0(VALU_DEP_1)
	v_xor_b32_e32 v41, 0x80000000, v41
	ds_store_b64 v46, v[40:41] offset:10416
; %bb.380:                              ;   in Loop: Header=BB130_3 Depth=1
	s_or_b32 exec_lo, exec_lo, s11
	s_wait_dscnt 0x0
	s_barrier_signal -1
	s_barrier_wait -1
	s_barrier_signal -1
	s_barrier_wait -1
	s_and_saveexec_b32 s11, s14
	s_cbranch_execz .LBB130_382
; %bb.381:                              ;   in Loop: Header=BB130_3 Depth=1
	ds_load_b128 v[40:43], v1 offset:11440
	ds_load_b64 v[80:81], v1 offset:11960
	s_wait_dscnt 0x0
	v_mul_f64_e32 v[40:41], v[40:41], v[80:81]
	s_delay_alu instid0(VALU_DEP_1)
	v_mul_f64_e32 v[40:41], v[42:43], v[40:41]
	ds_store_b64 v1, v[40:41] offset:11448
.LBB130_382:                            ;   in Loop: Header=BB130_3 Depth=1
	s_or_b32 exec_lo, exec_lo, s11
	v_mov_b64_e32 v[40:41], 0
	s_wait_dscnt 0x0
	s_barrier_signal -1
	s_barrier_wait -1
	s_and_saveexec_b32 s11, s3
	s_cbranch_execz .LBB130_392
; %bb.383:                              ;   in Loop: Header=BB130_3 Depth=1
	ds_load_b64 v[40:41], v57 offset:8384
	ds_load_b64 v[42:43], v54 offset:8320
	s_wait_dscnt 0x0
	v_fma_f64 v[40:41], v[40:41], v[42:43], 0
	s_and_saveexec_b32 s12, s18
	s_cbranch_execnz .LBB130_1050
; %bb.384:                              ;   in Loop: Header=BB130_3 Depth=1
	s_or_b32 exec_lo, exec_lo, s12
	s_and_saveexec_b32 s12, s19
	s_cbranch_execnz .LBB130_1051
.LBB130_385:                            ;   in Loop: Header=BB130_3 Depth=1
	s_or_b32 exec_lo, exec_lo, s12
	s_and_saveexec_b32 s12, s20
	s_cbranch_execnz .LBB130_1052
.LBB130_386:                            ;   in Loop: Header=BB130_3 Depth=1
	s_or_b32 exec_lo, exec_lo, s12
	s_and_saveexec_b32 s12, s21
	s_cbranch_execnz .LBB130_1053
.LBB130_387:                            ;   in Loop: Header=BB130_3 Depth=1
	s_or_b32 exec_lo, exec_lo, s12
	s_and_saveexec_b32 s12, s22
	s_cbranch_execnz .LBB130_1054
.LBB130_388:                            ;   in Loop: Header=BB130_3 Depth=1
	s_or_b32 exec_lo, exec_lo, s12
	s_and_saveexec_b32 s12, s2
	s_cbranch_execnz .LBB130_1055
.LBB130_389:                            ;   in Loop: Header=BB130_3 Depth=1
	s_or_b32 exec_lo, exec_lo, s12
	s_and_saveexec_b32 s12, s17
	s_cbranch_execz .LBB130_391
.LBB130_390:                            ;   in Loop: Header=BB130_3 Depth=1
	ds_load_b64 v[42:43], v48 offset:11968
	ds_load_b64 v[80:81], v1 offset:8376
	s_wait_dscnt 0x0
	v_fmac_f64_e32 v[40:41], v[42:43], v[80:81]
.LBB130_391:                            ;   in Loop: Header=BB130_3 Depth=1
	s_or_b32 exec_lo, exec_lo, s12
	s_delay_alu instid0(VALU_DEP_1)
	v_xor_b32_e32 v41, 0x80000000, v41
.LBB130_392:                            ;   in Loop: Header=BB130_3 Depth=1
	s_or_b32 exec_lo, exec_lo, s11
	s_and_saveexec_b32 s11, s40
	s_cbranch_execz .LBB130_394
; %bb.393:                              ;   in Loop: Header=BB130_3 Depth=1
	ds_load_b64 v[42:43], v1 offset:12480
	s_wait_dscnt 0x0
	v_mul_f64_e32 v[40:41], v[40:41], v[42:43]
	ds_store_b64 v56, v[40:41]
.LBB130_394:                            ;   in Loop: Header=BB130_3 Depth=1
	s_or_b32 exec_lo, exec_lo, s11
	s_wait_dscnt 0x0
	s_barrier_signal -1
	s_barrier_wait -1
	s_and_saveexec_b32 s11, s41
	s_cbranch_execz .LBB130_396
; %bb.395:                              ;   in Loop: Header=BB130_3 Depth=1
	ds_load_b64 v[42:43], v55 offset:12480
	ds_load_b64 v[80:81], v56
	s_wait_dscnt 0x0
	v_fmac_f64_e32 v[40:41], v[42:43], v[80:81]
.LBB130_396:                            ;   in Loop: Header=BB130_3 Depth=1
	s_or_b32 exec_lo, exec_lo, s11
	s_barrier_signal -1
	s_barrier_wait -1
	s_and_saveexec_b32 s11, s42
	s_cbranch_execz .LBB130_398
; %bb.397:                              ;   in Loop: Header=BB130_3 Depth=1
	ds_load_b64 v[42:43], v1 offset:13000
	s_wait_dscnt 0x0
	v_mul_f64_e32 v[40:41], v[40:41], v[42:43]
	ds_store_b64 v56, v[40:41]
.LBB130_398:                            ;   in Loop: Header=BB130_3 Depth=1
	s_or_b32 exec_lo, exec_lo, s11
	s_wait_dscnt 0x0
	s_barrier_signal -1
	s_barrier_wait -1
	s_and_saveexec_b32 s11, s43
	s_cbranch_execz .LBB130_400
; %bb.399:                              ;   in Loop: Header=BB130_3 Depth=1
	ds_load_b64 v[42:43], v55 offset:12992
	ds_load_b64 v[80:81], v56
	s_wait_dscnt 0x0
	v_fmac_f64_e32 v[40:41], v[42:43], v[80:81]
.LBB130_400:                            ;   in Loop: Header=BB130_3 Depth=1
	s_or_b32 exec_lo, exec_lo, s11
	s_barrier_signal -1
	s_barrier_wait -1
	;; [unrolled: 23-line block ×7, first 2 shown]
	s_and_saveexec_b32 s11, s53
	s_cbranch_execz .LBB130_422
; %bb.421:                              ;   in Loop: Header=BB130_3 Depth=1
	ds_load_b64 v[42:43], v1 offset:16120
	s_wait_dscnt 0x0
	v_mul_f64_e32 v[40:41], v[40:41], v[42:43]
	ds_store_b64 v56, v[40:41]
.LBB130_422:                            ;   in Loop: Header=BB130_3 Depth=1
	s_or_b32 exec_lo, exec_lo, s11
	s_wait_dscnt 0x0
	s_barrier_signal -1
	s_barrier_wait -1
	s_barrier_signal -1
	s_barrier_wait -1
	s_and_saveexec_b32 s11, s3
; %bb.423:                              ;   in Loop: Header=BB130_3 Depth=1
	s_delay_alu instid0(VALU_DEP_1)
	v_xor_b32_e32 v41, 0x80000000, v41
	ds_store_b64 v57, v[40:41] offset:8384
; %bb.424:                              ;   in Loop: Header=BB130_3 Depth=1
	s_or_b32 exec_lo, exec_lo, s11
	s_wait_dscnt 0x0
	s_barrier_signal -1
	s_barrier_wait -1
	s_barrier_signal -1
	s_barrier_wait -1
	s_and_saveexec_b32 s11, s14
	s_cbranch_execz .LBB130_426
; %bb.425:                              ;   in Loop: Header=BB130_3 Depth=1
	ds_load_b128 v[40:43], v1 offset:12480
	ds_load_b64 v[80:81], v1 offset:13000
	s_wait_dscnt 0x0
	v_mul_f64_e32 v[40:41], v[40:41], v[80:81]
	s_delay_alu instid0(VALU_DEP_1)
	v_mul_f64_e32 v[40:41], v[42:43], v[40:41]
	ds_store_b64 v1, v[40:41] offset:12488
.LBB130_426:                            ;   in Loop: Header=BB130_3 Depth=1
	s_or_b32 exec_lo, exec_lo, s11
	v_mov_b64_e32 v[40:41], 0
	s_wait_dscnt 0x0
	s_barrier_signal -1
	s_barrier_wait -1
	s_and_saveexec_b32 s11, s1
	s_cbranch_execz .LBB130_430
; %bb.427:                              ;   in Loop: Header=BB130_3 Depth=1
	ds_load_b64 v[40:41], v46 offset:12496
	ds_load_b64 v[42:43], v47 offset:12480
	s_wait_dscnt 0x0
	v_fma_f64 v[40:41], v[40:41], v[42:43], 0
	s_and_saveexec_b32 s12, s15
	s_cbranch_execz .LBB130_429
; %bb.428:                              ;   in Loop: Header=BB130_3 Depth=1
	ds_load_b64 v[42:43], v48 offset:13008
	ds_load_b64 v[80:81], v1 offset:12488
	s_wait_dscnt 0x0
	v_fmac_f64_e32 v[40:41], v[42:43], v[80:81]
.LBB130_429:                            ;   in Loop: Header=BB130_3 Depth=1
	s_or_b32 exec_lo, exec_lo, s12
	s_delay_alu instid0(VALU_DEP_1)
	v_xor_b32_e32 v41, 0x80000000, v41
.LBB130_430:                            ;   in Loop: Header=BB130_3 Depth=1
	s_or_b32 exec_lo, exec_lo, s11
	s_and_saveexec_b32 s11, s102
	s_cbranch_execz .LBB130_432
; %bb.431:                              ;   in Loop: Header=BB130_3 Depth=1
	ds_load_b64 v[42:43], v1 offset:13520
	s_wait_dscnt 0x0
	v_mul_f64_e32 v[40:41], v[40:41], v[42:43]
	ds_store_b64 v3, v[40:41]
.LBB130_432:                            ;   in Loop: Header=BB130_3 Depth=1
	s_or_b32 exec_lo, exec_lo, s11
	s_wait_dscnt 0x0
	s_barrier_signal -1
	s_barrier_wait -1
	s_and_saveexec_b32 s11, s103
	s_cbranch_execz .LBB130_434
; %bb.433:                              ;   in Loop: Header=BB130_3 Depth=1
	ds_load_b64 v[42:43], v1 offset:13528
	ds_load_b64 v[80:81], v3
	s_wait_dscnt 0x0
	v_fmac_f64_e32 v[40:41], v[42:43], v[80:81]
.LBB130_434:                            ;   in Loop: Header=BB130_3 Depth=1
	s_or_b32 exec_lo, exec_lo, s11
	s_barrier_signal -1
	s_barrier_wait -1
	s_and_saveexec_b32 s11, s103
	s_cbranch_execz .LBB130_436
; %bb.435:                              ;   in Loop: Header=BB130_3 Depth=1
	ds_load_b64 v[42:43], v1 offset:14040
	s_wait_dscnt 0x0
	v_mul_f64_e32 v[40:41], v[40:41], v[42:43]
	ds_store_b64 v3, v[40:41]
.LBB130_436:                            ;   in Loop: Header=BB130_3 Depth=1
	s_or_b32 exec_lo, exec_lo, s11
	s_wait_dscnt 0x0
	s_barrier_signal -1
	s_barrier_wait -1
	s_barrier_signal -1
	s_barrier_wait -1
	s_and_saveexec_b32 s11, s1
; %bb.437:                              ;   in Loop: Header=BB130_3 Depth=1
	s_delay_alu instid0(VALU_DEP_1)
	v_xor_b32_e32 v41, 0x80000000, v41
	ds_store_b64 v46, v[40:41] offset:12496
; %bb.438:                              ;   in Loop: Header=BB130_3 Depth=1
	s_or_b32 exec_lo, exec_lo, s11
	s_wait_dscnt 0x0
	s_barrier_signal -1
	s_barrier_wait -1
	s_barrier_signal -1
	s_barrier_wait -1
	s_and_saveexec_b32 s11, s14
	s_cbranch_execz .LBB130_440
; %bb.439:                              ;   in Loop: Header=BB130_3 Depth=1
	ds_load_b128 v[40:43], v1 offset:13520
	ds_load_b64 v[80:81], v1 offset:14040
	s_wait_dscnt 0x0
	v_mul_f64_e32 v[40:41], v[40:41], v[80:81]
	s_delay_alu instid0(VALU_DEP_1)
	v_mul_f64_e32 v[40:41], v[42:43], v[40:41]
	ds_store_b64 v1, v[40:41] offset:13528
.LBB130_440:                            ;   in Loop: Header=BB130_3 Depth=1
	s_or_b32 exec_lo, exec_lo, s11
	v_mov_b64_e32 v[40:41], 0
	s_wait_dscnt 0x0
	s_barrier_signal -1
	s_barrier_wait -1
	s_and_saveexec_b32 s11, s2
	s_cbranch_execz .LBB130_446
; %bb.441:                              ;   in Loop: Header=BB130_3 Depth=1
	ds_load_b64 v[40:41], v52 offset:12512
	ds_load_b64 v[42:43], v49 offset:12480
	s_wait_dscnt 0x0
	v_fma_f64 v[40:41], v[40:41], v[42:43], 0
	s_and_saveexec_b32 s12, s16
	s_cbranch_execnz .LBB130_1056
; %bb.442:                              ;   in Loop: Header=BB130_3 Depth=1
	s_or_b32 exec_lo, exec_lo, s12
	s_and_saveexec_b32 s12, s17
	s_cbranch_execnz .LBB130_1057
.LBB130_443:                            ;   in Loop: Header=BB130_3 Depth=1
	s_or_b32 exec_lo, exec_lo, s12
	s_and_saveexec_b32 s12, s1
	s_cbranch_execz .LBB130_445
.LBB130_444:                            ;   in Loop: Header=BB130_3 Depth=1
	ds_load_b64 v[42:43], v48 offset:14048
	ds_load_b64 v[80:81], v1 offset:12504
	s_wait_dscnt 0x0
	v_fmac_f64_e32 v[40:41], v[42:43], v[80:81]
.LBB130_445:                            ;   in Loop: Header=BB130_3 Depth=1
	s_or_b32 exec_lo, exec_lo, s12
	s_delay_alu instid0(VALU_DEP_1)
	v_xor_b32_e32 v41, 0x80000000, v41
.LBB130_446:                            ;   in Loop: Header=BB130_3 Depth=1
	s_or_b32 exec_lo, exec_lo, s11
	s_and_saveexec_b32 s11, s104
	s_cbranch_execz .LBB130_448
; %bb.447:                              ;   in Loop: Header=BB130_3 Depth=1
	ds_load_b64 v[42:43], v1 offset:14560
	s_wait_dscnt 0x0
	v_mul_f64_e32 v[40:41], v[40:41], v[42:43]
	ds_store_b64 v50, v[40:41]
.LBB130_448:                            ;   in Loop: Header=BB130_3 Depth=1
	s_or_b32 exec_lo, exec_lo, s11
	s_wait_dscnt 0x0
	s_barrier_signal -1
	s_barrier_wait -1
	s_and_saveexec_b32 s11, vcc_hi
	s_cbranch_execz .LBB130_450
; %bb.449:                              ;   in Loop: Header=BB130_3 Depth=1
	ds_load_b64 v[42:43], v51 offset:14560
	ds_load_b64 v[80:81], v50
	s_wait_dscnt 0x0
	v_fmac_f64_e32 v[40:41], v[42:43], v[80:81]
.LBB130_450:                            ;   in Loop: Header=BB130_3 Depth=1
	s_or_b32 exec_lo, exec_lo, s11
	s_barrier_signal -1
	s_barrier_wait -1
	s_and_saveexec_b32 s11, s36
	s_cbranch_execz .LBB130_452
; %bb.451:                              ;   in Loop: Header=BB130_3 Depth=1
	ds_load_b64 v[42:43], v1 offset:15080
	s_wait_dscnt 0x0
	v_mul_f64_e32 v[40:41], v[40:41], v[42:43]
	ds_store_b64 v50, v[40:41]
.LBB130_452:                            ;   in Loop: Header=BB130_3 Depth=1
	s_or_b32 exec_lo, exec_lo, s11
	s_wait_dscnt 0x0
	s_barrier_signal -1
	s_barrier_wait -1
	s_and_saveexec_b32 s11, s37
	s_cbranch_execz .LBB130_454
; %bb.453:                              ;   in Loop: Header=BB130_3 Depth=1
	ds_load_b64 v[42:43], v51 offset:15072
	ds_load_b64 v[80:81], v50
	s_wait_dscnt 0x0
	v_fmac_f64_e32 v[40:41], v[42:43], v[80:81]
.LBB130_454:                            ;   in Loop: Header=BB130_3 Depth=1
	s_or_b32 exec_lo, exec_lo, s11
	s_barrier_signal -1
	s_barrier_wait -1
	s_and_saveexec_b32 s11, s38
	s_cbranch_execz .LBB130_456
; %bb.455:                              ;   in Loop: Header=BB130_3 Depth=1
	ds_load_b64 v[42:43], v1 offset:15600
	s_wait_dscnt 0x0
	v_mul_f64_e32 v[40:41], v[40:41], v[42:43]
	ds_store_b64 v50, v[40:41]
.LBB130_456:                            ;   in Loop: Header=BB130_3 Depth=1
	s_or_b32 exec_lo, exec_lo, s11
	s_wait_dscnt 0x0
	s_barrier_signal -1
	s_barrier_wait -1
	s_and_saveexec_b32 s11, s39
	s_cbranch_execz .LBB130_458
; %bb.457:                              ;   in Loop: Header=BB130_3 Depth=1
	ds_load_b64 v[42:43], v1 offset:15608
	ds_load_b64 v[80:81], v50
	s_wait_dscnt 0x0
	v_fmac_f64_e32 v[40:41], v[42:43], v[80:81]
.LBB130_458:                            ;   in Loop: Header=BB130_3 Depth=1
	s_or_b32 exec_lo, exec_lo, s11
	s_barrier_signal -1
	s_barrier_wait -1
	s_and_saveexec_b32 s11, s39
	s_cbranch_execz .LBB130_460
; %bb.459:                              ;   in Loop: Header=BB130_3 Depth=1
	ds_load_b64 v[42:43], v1 offset:16120
	s_wait_dscnt 0x0
	v_mul_f64_e32 v[40:41], v[40:41], v[42:43]
	ds_store_b64 v50, v[40:41]
.LBB130_460:                            ;   in Loop: Header=BB130_3 Depth=1
	s_or_b32 exec_lo, exec_lo, s11
	s_wait_dscnt 0x0
	s_barrier_signal -1
	s_barrier_wait -1
	s_barrier_signal -1
	s_barrier_wait -1
	s_and_saveexec_b32 s11, s2
; %bb.461:                              ;   in Loop: Header=BB130_3 Depth=1
	s_delay_alu instid0(VALU_DEP_1)
	v_xor_b32_e32 v41, 0x80000000, v41
	ds_store_b64 v52, v[40:41] offset:12512
; %bb.462:                              ;   in Loop: Header=BB130_3 Depth=1
	s_or_b32 exec_lo, exec_lo, s11
	s_wait_dscnt 0x0
	s_barrier_signal -1
	s_barrier_wait -1
	s_barrier_signal -1
	s_barrier_wait -1
	s_and_saveexec_b32 s11, s14
	s_cbranch_execz .LBB130_464
; %bb.463:                              ;   in Loop: Header=BB130_3 Depth=1
	ds_load_b128 v[40:43], v1 offset:14560
	ds_load_b64 v[80:81], v1 offset:15080
	s_wait_dscnt 0x0
	v_mul_f64_e32 v[40:41], v[40:41], v[80:81]
	s_delay_alu instid0(VALU_DEP_1)
	v_mul_f64_e32 v[40:41], v[42:43], v[40:41]
	ds_store_b64 v1, v[40:41] offset:14568
.LBB130_464:                            ;   in Loop: Header=BB130_3 Depth=1
	s_or_b32 exec_lo, exec_lo, s11
	v_mov_b64_e32 v[40:41], 0
	s_wait_dscnt 0x0
	s_barrier_signal -1
	s_barrier_wait -1
	s_and_saveexec_b32 s11, s1
	s_cbranch_execz .LBB130_468
; %bb.465:                              ;   in Loop: Header=BB130_3 Depth=1
	ds_load_b64 v[40:41], v46 offset:14576
	ds_load_b64 v[42:43], v47 offset:14560
	s_wait_dscnt 0x0
	v_fma_f64 v[40:41], v[40:41], v[42:43], 0
	s_and_saveexec_b32 s12, s15
	s_cbranch_execz .LBB130_467
; %bb.466:                              ;   in Loop: Header=BB130_3 Depth=1
	ds_load_b64 v[42:43], v48 offset:15088
	ds_load_b64 v[80:81], v1 offset:14568
	s_wait_dscnt 0x0
	v_fmac_f64_e32 v[40:41], v[42:43], v[80:81]
.LBB130_467:                            ;   in Loop: Header=BB130_3 Depth=1
	s_or_b32 exec_lo, exec_lo, s12
	s_delay_alu instid0(VALU_DEP_1)
	v_xor_b32_e32 v41, 0x80000000, v41
.LBB130_468:                            ;   in Loop: Header=BB130_3 Depth=1
	s_or_b32 exec_lo, exec_lo, s11
	s_and_saveexec_b32 s11, s102
	s_cbranch_execz .LBB130_470
; %bb.469:                              ;   in Loop: Header=BB130_3 Depth=1
	ds_load_b64 v[42:43], v1 offset:15600
	s_wait_dscnt 0x0
	v_mul_f64_e32 v[40:41], v[40:41], v[42:43]
	ds_store_b64 v3, v[40:41]
.LBB130_470:                            ;   in Loop: Header=BB130_3 Depth=1
	s_or_b32 exec_lo, exec_lo, s11
	s_wait_dscnt 0x0
	s_barrier_signal -1
	s_barrier_wait -1
	s_and_saveexec_b32 s11, s103
	s_cbranch_execz .LBB130_472
; %bb.471:                              ;   in Loop: Header=BB130_3 Depth=1
	ds_load_b64 v[42:43], v1 offset:15608
	ds_load_b64 v[80:81], v3
	s_wait_dscnt 0x0
	v_fmac_f64_e32 v[40:41], v[42:43], v[80:81]
.LBB130_472:                            ;   in Loop: Header=BB130_3 Depth=1
	s_or_b32 exec_lo, exec_lo, s11
	s_barrier_signal -1
	s_barrier_wait -1
	s_and_saveexec_b32 s11, s103
	s_cbranch_execz .LBB130_474
; %bb.473:                              ;   in Loop: Header=BB130_3 Depth=1
	ds_load_b64 v[42:43], v1 offset:16120
	s_wait_dscnt 0x0
	v_mul_f64_e32 v[40:41], v[40:41], v[42:43]
	ds_store_b64 v3, v[40:41]
.LBB130_474:                            ;   in Loop: Header=BB130_3 Depth=1
	s_or_b32 exec_lo, exec_lo, s11
	s_wait_dscnt 0x0
	s_barrier_signal -1
	s_barrier_wait -1
	s_barrier_signal -1
	s_barrier_wait -1
	s_and_saveexec_b32 s11, s1
; %bb.475:                              ;   in Loop: Header=BB130_3 Depth=1
	s_delay_alu instid0(VALU_DEP_1)
	v_xor_b32_e32 v41, 0x80000000, v41
	ds_store_b64 v46, v[40:41] offset:14576
; %bb.476:                              ;   in Loop: Header=BB130_3 Depth=1
	s_or_b32 exec_lo, exec_lo, s11
	s_wait_dscnt 0x0
	s_barrier_signal -1
	s_barrier_wait -1
	s_barrier_signal -1
	s_barrier_wait -1
	s_and_saveexec_b32 s11, s14
	s_cbranch_execz .LBB130_478
; %bb.477:                              ;   in Loop: Header=BB130_3 Depth=1
	ds_load_b128 v[40:43], v1 offset:15600
	ds_load_b64 v[80:81], v1 offset:16120
	s_wait_dscnt 0x0
	v_mul_f64_e32 v[40:41], v[40:41], v[80:81]
	s_delay_alu instid0(VALU_DEP_1)
	v_mul_f64_e32 v[40:41], v[42:43], v[40:41]
	ds_store_b64 v1, v[40:41] offset:15608
.LBB130_478:                            ;   in Loop: Header=BB130_3 Depth=1
	s_or_b32 exec_lo, exec_lo, s11
	v_mov_b64_e32 v[40:41], 0
	s_wait_dscnt 0x0
	s_barrier_signal -1
	s_barrier_wait -1
	s_and_saveexec_b32 s69, s35
	s_cbranch_execz .LBB130_537
; %bb.479:                              ;   in Loop: Header=BB130_3 Depth=1
	v_add_nc_u32_e32 v0, v66, v64
	ds_load_b64 v[40:41], v68 offset:256
	ds_load_b64 v[42:43], v0
	s_wait_dscnt 0x0
	v_fma_f64 v[40:41], v[40:41], v[42:43], 0
	s_mov_b32 s11, exec_lo
	v_readlane_b32 s12, v89, 5
	s_and_b32 s12, s11, s12
	s_delay_alu instid0(SALU_CYCLE_1)
	s_mov_b32 exec_lo, s12
	s_cbranch_execz .LBB130_481
; %bb.480:                              ;   in Loop: Header=BB130_3 Depth=1
	ds_load_b64 v[42:43], v68 offset:768
	ds_load_b64 v[80:81], v0 offset:8
	s_wait_dscnt 0x0
	v_fmac_f64_e32 v[40:41], v[42:43], v[80:81]
.LBB130_481:                            ;   in Loop: Header=BB130_3 Depth=1
	s_or_b32 exec_lo, exec_lo, s11
	s_delay_alu instid0(SALU_CYCLE_1) | instskip(SKIP_2) | instid1(SALU_CYCLE_1)
	s_mov_b32 s11, exec_lo
	v_readlane_b32 s12, v89, 6
	s_and_b32 s12, s11, s12
	s_mov_b32 exec_lo, s12
	s_cbranch_execz .LBB130_483
; %bb.482:                              ;   in Loop: Header=BB130_3 Depth=1
	ds_load_b64 v[42:43], v68 offset:1280
	ds_load_b64 v[80:81], v0 offset:16
	s_wait_dscnt 0x0
	v_fmac_f64_e32 v[40:41], v[42:43], v[80:81]
.LBB130_483:                            ;   in Loop: Header=BB130_3 Depth=1
	s_or_b32 exec_lo, exec_lo, s11
	s_delay_alu instid0(SALU_CYCLE_1) | instskip(SKIP_2) | instid1(SALU_CYCLE_1)
	s_mov_b32 s11, exec_lo
	v_readlane_b32 s12, v89, 7
	s_and_b32 s12, s11, s12
	;; [unrolled: 13-line block ×22, first 2 shown]
	s_mov_b32 exec_lo, s12
	s_cbranch_execz .LBB130_525
; %bb.524:                              ;   in Loop: Header=BB130_3 Depth=1
	ds_load_b64 v[42:43], v68 offset:12032
	ds_load_b64 v[80:81], v0 offset:184
	s_wait_dscnt 0x0
	v_fmac_f64_e32 v[40:41], v[42:43], v[80:81]
.LBB130_525:                            ;   in Loop: Header=BB130_3 Depth=1
	s_or_b32 exec_lo, exec_lo, s11
	s_and_saveexec_b32 s11, s4
	s_cbranch_execz .LBB130_527
; %bb.526:                              ;   in Loop: Header=BB130_3 Depth=1
	ds_load_b64 v[42:43], v68 offset:12544
	ds_load_b64 v[80:81], v0 offset:192
	s_wait_dscnt 0x0
	v_fmac_f64_e32 v[40:41], v[42:43], v[80:81]
.LBB130_527:                            ;   in Loop: Header=BB130_3 Depth=1
	s_or_b32 exec_lo, exec_lo, s11
	s_delay_alu instid0(SALU_CYCLE_1) | instskip(SKIP_2) | instid1(SALU_CYCLE_1)
	s_mov_b32 s11, exec_lo
	v_readlane_b32 s12, v90, 30
	s_and_b32 s12, s11, s12
	s_mov_b32 exec_lo, s12
	s_cbranch_execz .LBB130_529
; %bb.528:                              ;   in Loop: Header=BB130_3 Depth=1
	ds_load_b64 v[42:43], v68 offset:13056
	ds_load_b64 v[80:81], v0 offset:200
	s_wait_dscnt 0x0
	v_fmac_f64_e32 v[40:41], v[42:43], v[80:81]
.LBB130_529:                            ;   in Loop: Header=BB130_3 Depth=1
	s_or_b32 exec_lo, exec_lo, s11
	s_delay_alu instid0(SALU_CYCLE_1) | instskip(SKIP_2) | instid1(SALU_CYCLE_1)
	s_mov_b32 s11, exec_lo
	v_readlane_b32 s12, v89, 0
	s_and_b32 s12, s11, s12
	s_mov_b32 exec_lo, s12
	s_cbranch_execnz .LBB130_1058
; %bb.530:                              ;   in Loop: Header=BB130_3 Depth=1
	s_or_b32 exec_lo, exec_lo, s11
	s_and_saveexec_b32 s11, s7
	s_cbranch_execnz .LBB130_1059
.LBB130_531:                            ;   in Loop: Header=BB130_3 Depth=1
	s_or_b32 exec_lo, exec_lo, s11
	s_and_saveexec_b32 s11, s6
	s_cbranch_execnz .LBB130_1060
.LBB130_532:                            ;   in Loop: Header=BB130_3 Depth=1
	s_or_b32 exec_lo, exec_lo, s11
	s_and_saveexec_b32 s11, s8
	s_cbranch_execnz .LBB130_1061
.LBB130_533:                            ;   in Loop: Header=BB130_3 Depth=1
	s_or_b32 exec_lo, exec_lo, s11
	s_and_saveexec_b32 s11, s3
	s_cbranch_execnz .LBB130_1062
.LBB130_534:                            ;   in Loop: Header=BB130_3 Depth=1
	s_or_b32 exec_lo, exec_lo, s11
	s_and_saveexec_b32 s11, s21
	s_cbranch_execz .LBB130_536
.LBB130_535:                            ;   in Loop: Header=BB130_3 Depth=1
	ds_load_b64 v[42:43], v48 offset:16128
	ds_load_b64 v[80:81], v1 offset:248
	s_wait_dscnt 0x0
	v_fmac_f64_e32 v[40:41], v[42:43], v[80:81]
.LBB130_536:                            ;   in Loop: Header=BB130_3 Depth=1
	s_or_b32 exec_lo, exec_lo, s11
	s_delay_alu instid0(VALU_DEP_1)
	v_xor_b32_e32 v41, 0x80000000, v41
.LBB130_537:                            ;   in Loop: Header=BB130_3 Depth=1
	s_or_b32 exec_lo, exec_lo, s69
	v_dual_mov_b32 v0, v65 :: v_dual_mov_b32 v42, v78
	s_mov_b32 s11, 0
	s_branch .LBB130_539
.LBB130_538:                            ;   in Loop: Header=BB130_539 Depth=2
	s_or_b32 exec_lo, exec_lo, s12
	v_add_nc_u32_e32 v42, 0x800, v42
	v_add_nc_u32_e32 v0, -4, v0
	s_add_co_i32 s11, s11, 4
	s_delay_alu instid0(SALU_CYCLE_1)
	s_cmp_eq_u32 s11, 32
	s_barrier_signal -1
	s_barrier_wait -1
	s_cbranch_scc1 .LBB130_555
.LBB130_539:                            ;   Parent Loop BB130_3 Depth=1
                                        ; =>  This Inner Loop Header: Depth=2
	s_delay_alu instid0(VALU_DEP_1) | instskip(SKIP_1) | instid1(SALU_CYCLE_1)
	v_cmp_eq_u32_e32 vcc_lo, 0, v0
	s_and_b32 s13, s10, vcc_lo
	s_and_saveexec_b32 s12, s13
	s_cbranch_execz .LBB130_541
; %bb.540:                              ;   in Loop: Header=BB130_539 Depth=2
	ds_load_b64 v[80:81], v69 offset:16640
	s_wait_dscnt 0x0
	v_mul_f64_e32 v[40:41], v[40:41], v[80:81]
	ds_store_b64 v67, v[40:41]
.LBB130_541:                            ;   in Loop: Header=BB130_539 Depth=2
	s_or_b32 exec_lo, exec_lo, s12
	v_cmp_lt_u32_e32 vcc_lo, s11, v65
	s_wait_dscnt 0x0
	s_barrier_signal -1
	s_barrier_wait -1
	s_and_b32 s13, s10, vcc_lo
	s_delay_alu instid0(SALU_CYCLE_1)
	s_and_saveexec_b32 s12, s13
	s_cbranch_execz .LBB130_543
; %bb.542:                              ;   in Loop: Header=BB130_539 Depth=2
	ds_load_b64 v[80:81], v42
	ds_load_b64 v[82:83], v67
	s_wait_dscnt 0x0
	v_fmac_f64_e32 v[40:41], v[80:81], v[82:83]
.LBB130_543:                            ;   in Loop: Header=BB130_539 Depth=2
	s_or_b32 exec_lo, exec_lo, s12
	s_or_b32 s12, s11, 1
	s_delay_alu instid0(SALU_CYCLE_1) | instskip(SKIP_3) | instid1(SALU_CYCLE_1)
	v_cmp_eq_u32_e32 vcc_lo, s12, v65
	s_barrier_signal -1
	s_barrier_wait -1
	s_and_b32 s69, s10, vcc_lo
	s_and_saveexec_b32 s13, s69
	s_cbranch_execz .LBB130_545
; %bb.544:                              ;   in Loop: Header=BB130_539 Depth=2
	ds_load_b64 v[80:81], v69 offset:16640
	s_wait_dscnt 0x0
	v_mul_f64_e32 v[40:41], v[40:41], v[80:81]
	ds_store_b64 v67, v[40:41]
.LBB130_545:                            ;   in Loop: Header=BB130_539 Depth=2
	s_or_b32 exec_lo, exec_lo, s13
	v_cmp_lt_u32_e32 vcc_lo, s12, v65
	s_wait_dscnt 0x0
	s_barrier_signal -1
	s_barrier_wait -1
	s_and_b32 s13, s10, vcc_lo
	s_delay_alu instid0(SALU_CYCLE_1)
	s_and_saveexec_b32 s12, s13
	s_cbranch_execz .LBB130_547
; %bb.546:                              ;   in Loop: Header=BB130_539 Depth=2
	ds_load_b64 v[80:81], v42 offset:512
	ds_load_b64 v[82:83], v67
	s_wait_dscnt 0x0
	v_fmac_f64_e32 v[40:41], v[80:81], v[82:83]
.LBB130_547:                            ;   in Loop: Header=BB130_539 Depth=2
	s_or_b32 exec_lo, exec_lo, s12
	s_or_b32 s12, s11, 2
	s_delay_alu instid0(SALU_CYCLE_1) | instskip(SKIP_3) | instid1(SALU_CYCLE_1)
	v_cmp_eq_u32_e32 vcc_lo, s12, v65
	s_barrier_signal -1
	s_barrier_wait -1
	s_and_b32 s69, s10, vcc_lo
	s_and_saveexec_b32 s13, s69
	s_cbranch_execz .LBB130_549
; %bb.548:                              ;   in Loop: Header=BB130_539 Depth=2
	ds_load_b64 v[80:81], v69 offset:16640
	s_wait_dscnt 0x0
	v_mul_f64_e32 v[40:41], v[40:41], v[80:81]
	ds_store_b64 v67, v[40:41]
.LBB130_549:                            ;   in Loop: Header=BB130_539 Depth=2
	s_or_b32 exec_lo, exec_lo, s13
	v_cmp_lt_u32_e32 vcc_lo, s12, v65
	s_wait_dscnt 0x0
	s_barrier_signal -1
	s_barrier_wait -1
	s_and_b32 s13, s10, vcc_lo
	s_delay_alu instid0(SALU_CYCLE_1)
	s_and_saveexec_b32 s12, s13
	s_cbranch_execz .LBB130_551
; %bb.550:                              ;   in Loop: Header=BB130_539 Depth=2
	ds_load_b64 v[80:81], v42 offset:1024
	ds_load_b64 v[82:83], v67
	s_wait_dscnt 0x0
	v_fmac_f64_e32 v[40:41], v[80:81], v[82:83]
.LBB130_551:                            ;   in Loop: Header=BB130_539 Depth=2
	s_or_b32 exec_lo, exec_lo, s12
	s_or_b32 s12, s11, 3
	s_delay_alu instid0(SALU_CYCLE_1) | instskip(SKIP_3) | instid1(SALU_CYCLE_1)
	v_cmp_eq_u32_e32 vcc_lo, s12, v65
	s_barrier_signal -1
	s_barrier_wait -1
	s_and_b32 s69, s10, vcc_lo
	s_and_saveexec_b32 s13, s69
	s_cbranch_execz .LBB130_553
; %bb.552:                              ;   in Loop: Header=BB130_539 Depth=2
	ds_load_b64 v[80:81], v69 offset:16640
	s_wait_dscnt 0x0
	v_mul_f64_e32 v[40:41], v[40:41], v[80:81]
	ds_store_b64 v67, v[40:41]
.LBB130_553:                            ;   in Loop: Header=BB130_539 Depth=2
	s_or_b32 exec_lo, exec_lo, s13
	v_cmp_lt_u32_e32 vcc_lo, s12, v65
	s_wait_dscnt 0x0
	s_barrier_signal -1
	s_barrier_wait -1
	s_and_b32 s13, s10, vcc_lo
	s_delay_alu instid0(SALU_CYCLE_1)
	s_and_saveexec_b32 s12, s13
	s_cbranch_execz .LBB130_538
; %bb.554:                              ;   in Loop: Header=BB130_539 Depth=2
	ds_load_b64 v[80:81], v42 offset:1536
	ds_load_b64 v[82:83], v67
	s_wait_dscnt 0x0
	v_fmac_f64_e32 v[40:41], v[80:81], v[82:83]
	s_branch .LBB130_538
.LBB130_555:                            ;   in Loop: Header=BB130_3 Depth=1
	s_and_saveexec_b32 s11, s35
; %bb.556:                              ;   in Loop: Header=BB130_3 Depth=1
	s_delay_alu instid0(VALU_DEP_3)
	v_xor_b32_e32 v41, 0x80000000, v41
	ds_store_b64 v68, v[40:41] offset:256
; %bb.557:                              ;   in Loop: Header=BB130_3 Depth=1
	s_or_b32 exec_lo, exec_lo, s11
	s_wait_dscnt 0x0
	s_barrier_signal -1
	s_barrier_wait -1
	s_barrier_signal -1
	s_barrier_wait -1
	s_and_saveexec_b32 s11, s14
	s_cbranch_execz .LBB130_559
; %bb.558:                              ;   in Loop: Header=BB130_3 Depth=1
	ds_load_b128 v[40:43], v1 offset:16640
	ds_load_b64 v[80:81], v1 offset:17160
	s_wait_dscnt 0x0
	v_mul_f64_e32 v[40:41], v[40:41], v[80:81]
	s_delay_alu instid0(VALU_DEP_1)
	v_mul_f64_e32 v[40:41], v[42:43], v[40:41]
	ds_store_b64 v1, v[40:41] offset:16648
.LBB130_559:                            ;   in Loop: Header=BB130_3 Depth=1
	s_or_b32 exec_lo, exec_lo, s11
	v_mov_b64_e32 v[40:41], 0
	s_wait_dscnt 0x0
	s_barrier_signal -1
	s_barrier_wait -1
	s_and_saveexec_b32 s11, s1
	s_cbranch_execz .LBB130_563
; %bb.560:                              ;   in Loop: Header=BB130_3 Depth=1
	ds_load_b64 v[40:41], v46 offset:16656
	ds_load_b64 v[42:43], v47 offset:16640
	s_wait_dscnt 0x0
	v_fma_f64 v[40:41], v[40:41], v[42:43], 0
	s_and_saveexec_b32 s12, s15
	s_cbranch_execz .LBB130_562
; %bb.561:                              ;   in Loop: Header=BB130_3 Depth=1
	ds_load_b64 v[42:43], v48 offset:17168
	ds_load_b64 v[80:81], v1 offset:16648
	s_wait_dscnt 0x0
	v_fmac_f64_e32 v[40:41], v[42:43], v[80:81]
.LBB130_562:                            ;   in Loop: Header=BB130_3 Depth=1
	s_or_b32 exec_lo, exec_lo, s12
	s_delay_alu instid0(VALU_DEP_1)
	v_xor_b32_e32 v41, 0x80000000, v41
.LBB130_563:                            ;   in Loop: Header=BB130_3 Depth=1
	s_or_b32 exec_lo, exec_lo, s11
	s_and_saveexec_b32 s11, s102
	s_cbranch_execz .LBB130_565
; %bb.564:                              ;   in Loop: Header=BB130_3 Depth=1
	ds_load_b64 v[42:43], v1 offset:17680
	s_wait_dscnt 0x0
	v_mul_f64_e32 v[40:41], v[40:41], v[42:43]
	ds_store_b64 v3, v[40:41]
.LBB130_565:                            ;   in Loop: Header=BB130_3 Depth=1
	s_or_b32 exec_lo, exec_lo, s11
	s_wait_dscnt 0x0
	s_barrier_signal -1
	s_barrier_wait -1
	s_and_saveexec_b32 s11, s103
	s_cbranch_execz .LBB130_567
; %bb.566:                              ;   in Loop: Header=BB130_3 Depth=1
	ds_load_b64 v[42:43], v1 offset:17688
	ds_load_b64 v[80:81], v3
	s_wait_dscnt 0x0
	v_fmac_f64_e32 v[40:41], v[42:43], v[80:81]
.LBB130_567:                            ;   in Loop: Header=BB130_3 Depth=1
	s_or_b32 exec_lo, exec_lo, s11
	s_barrier_signal -1
	s_barrier_wait -1
	s_and_saveexec_b32 s11, s103
	s_cbranch_execz .LBB130_569
; %bb.568:                              ;   in Loop: Header=BB130_3 Depth=1
	ds_load_b64 v[42:43], v1 offset:18200
	s_wait_dscnt 0x0
	v_mul_f64_e32 v[40:41], v[40:41], v[42:43]
	ds_store_b64 v3, v[40:41]
.LBB130_569:                            ;   in Loop: Header=BB130_3 Depth=1
	s_or_b32 exec_lo, exec_lo, s11
	s_wait_dscnt 0x0
	s_barrier_signal -1
	s_barrier_wait -1
	s_barrier_signal -1
	s_barrier_wait -1
	s_and_saveexec_b32 s11, s1
; %bb.570:                              ;   in Loop: Header=BB130_3 Depth=1
	s_delay_alu instid0(VALU_DEP_1)
	v_xor_b32_e32 v41, 0x80000000, v41
	ds_store_b64 v46, v[40:41] offset:16656
; %bb.571:                              ;   in Loop: Header=BB130_3 Depth=1
	s_or_b32 exec_lo, exec_lo, s11
	s_wait_dscnt 0x0
	s_barrier_signal -1
	s_barrier_wait -1
	s_barrier_signal -1
	s_barrier_wait -1
	s_and_saveexec_b32 s11, s14
	s_cbranch_execz .LBB130_573
; %bb.572:                              ;   in Loop: Header=BB130_3 Depth=1
	ds_load_b128 v[40:43], v1 offset:17680
	ds_load_b64 v[80:81], v1 offset:18200
	s_wait_dscnt 0x0
	v_mul_f64_e32 v[40:41], v[40:41], v[80:81]
	s_delay_alu instid0(VALU_DEP_1)
	v_mul_f64_e32 v[40:41], v[42:43], v[40:41]
	ds_store_b64 v1, v[40:41] offset:17688
.LBB130_573:                            ;   in Loop: Header=BB130_3 Depth=1
	s_or_b32 exec_lo, exec_lo, s11
	v_mov_b64_e32 v[40:41], 0
	s_wait_dscnt 0x0
	s_barrier_signal -1
	s_barrier_wait -1
	s_and_saveexec_b32 s11, s2
	s_cbranch_execz .LBB130_579
; %bb.574:                              ;   in Loop: Header=BB130_3 Depth=1
	ds_load_b64 v[40:41], v52 offset:16672
	ds_load_b64 v[42:43], v49 offset:16640
	s_wait_dscnt 0x0
	v_fma_f64 v[40:41], v[40:41], v[42:43], 0
	s_and_saveexec_b32 s12, s16
	s_cbranch_execnz .LBB130_1063
; %bb.575:                              ;   in Loop: Header=BB130_3 Depth=1
	s_or_b32 exec_lo, exec_lo, s12
	s_and_saveexec_b32 s12, s17
	s_cbranch_execnz .LBB130_1064
.LBB130_576:                            ;   in Loop: Header=BB130_3 Depth=1
	s_or_b32 exec_lo, exec_lo, s12
	s_and_saveexec_b32 s12, s1
	s_cbranch_execz .LBB130_578
.LBB130_577:                            ;   in Loop: Header=BB130_3 Depth=1
	ds_load_b64 v[42:43], v48 offset:18208
	ds_load_b64 v[80:81], v1 offset:16664
	s_wait_dscnt 0x0
	v_fmac_f64_e32 v[40:41], v[42:43], v[80:81]
.LBB130_578:                            ;   in Loop: Header=BB130_3 Depth=1
	s_or_b32 exec_lo, exec_lo, s12
	s_delay_alu instid0(VALU_DEP_1)
	v_xor_b32_e32 v41, 0x80000000, v41
.LBB130_579:                            ;   in Loop: Header=BB130_3 Depth=1
	s_or_b32 exec_lo, exec_lo, s11
	s_and_saveexec_b32 s11, s104
	s_cbranch_execz .LBB130_581
; %bb.580:                              ;   in Loop: Header=BB130_3 Depth=1
	ds_load_b64 v[42:43], v1 offset:18720
	s_wait_dscnt 0x0
	v_mul_f64_e32 v[40:41], v[40:41], v[42:43]
	ds_store_b64 v50, v[40:41]
.LBB130_581:                            ;   in Loop: Header=BB130_3 Depth=1
	s_or_b32 exec_lo, exec_lo, s11
	s_wait_dscnt 0x0
	s_barrier_signal -1
	s_barrier_wait -1
	s_and_saveexec_b32 s11, vcc_hi
	s_cbranch_execz .LBB130_583
; %bb.582:                              ;   in Loop: Header=BB130_3 Depth=1
	ds_load_b64 v[42:43], v51 offset:18720
	ds_load_b64 v[80:81], v50
	s_wait_dscnt 0x0
	v_fmac_f64_e32 v[40:41], v[42:43], v[80:81]
.LBB130_583:                            ;   in Loop: Header=BB130_3 Depth=1
	s_or_b32 exec_lo, exec_lo, s11
	s_barrier_signal -1
	s_barrier_wait -1
	s_and_saveexec_b32 s11, s36
	s_cbranch_execz .LBB130_585
; %bb.584:                              ;   in Loop: Header=BB130_3 Depth=1
	ds_load_b64 v[42:43], v1 offset:19240
	s_wait_dscnt 0x0
	v_mul_f64_e32 v[40:41], v[40:41], v[42:43]
	ds_store_b64 v50, v[40:41]
.LBB130_585:                            ;   in Loop: Header=BB130_3 Depth=1
	s_or_b32 exec_lo, exec_lo, s11
	s_wait_dscnt 0x0
	s_barrier_signal -1
	s_barrier_wait -1
	s_and_saveexec_b32 s11, s37
	s_cbranch_execz .LBB130_587
; %bb.586:                              ;   in Loop: Header=BB130_3 Depth=1
	ds_load_b64 v[42:43], v51 offset:19232
	ds_load_b64 v[80:81], v50
	s_wait_dscnt 0x0
	v_fmac_f64_e32 v[40:41], v[42:43], v[80:81]
.LBB130_587:                            ;   in Loop: Header=BB130_3 Depth=1
	s_or_b32 exec_lo, exec_lo, s11
	s_barrier_signal -1
	s_barrier_wait -1
	s_and_saveexec_b32 s11, s38
	s_cbranch_execz .LBB130_589
; %bb.588:                              ;   in Loop: Header=BB130_3 Depth=1
	ds_load_b64 v[42:43], v1 offset:19760
	s_wait_dscnt 0x0
	v_mul_f64_e32 v[40:41], v[40:41], v[42:43]
	ds_store_b64 v50, v[40:41]
.LBB130_589:                            ;   in Loop: Header=BB130_3 Depth=1
	s_or_b32 exec_lo, exec_lo, s11
	s_wait_dscnt 0x0
	s_barrier_signal -1
	s_barrier_wait -1
	s_and_saveexec_b32 s11, s39
	s_cbranch_execz .LBB130_591
; %bb.590:                              ;   in Loop: Header=BB130_3 Depth=1
	ds_load_b64 v[42:43], v1 offset:19768
	ds_load_b64 v[80:81], v50
	s_wait_dscnt 0x0
	v_fmac_f64_e32 v[40:41], v[42:43], v[80:81]
.LBB130_591:                            ;   in Loop: Header=BB130_3 Depth=1
	s_or_b32 exec_lo, exec_lo, s11
	s_barrier_signal -1
	s_barrier_wait -1
	s_and_saveexec_b32 s11, s39
	s_cbranch_execz .LBB130_593
; %bb.592:                              ;   in Loop: Header=BB130_3 Depth=1
	ds_load_b64 v[42:43], v1 offset:20280
	s_wait_dscnt 0x0
	v_mul_f64_e32 v[40:41], v[40:41], v[42:43]
	ds_store_b64 v50, v[40:41]
.LBB130_593:                            ;   in Loop: Header=BB130_3 Depth=1
	s_or_b32 exec_lo, exec_lo, s11
	s_wait_dscnt 0x0
	s_barrier_signal -1
	s_barrier_wait -1
	s_barrier_signal -1
	s_barrier_wait -1
	s_and_saveexec_b32 s11, s2
; %bb.594:                              ;   in Loop: Header=BB130_3 Depth=1
	s_delay_alu instid0(VALU_DEP_1)
	v_xor_b32_e32 v41, 0x80000000, v41
	ds_store_b64 v52, v[40:41] offset:16672
; %bb.595:                              ;   in Loop: Header=BB130_3 Depth=1
	s_or_b32 exec_lo, exec_lo, s11
	s_wait_dscnt 0x0
	s_barrier_signal -1
	s_barrier_wait -1
	s_barrier_signal -1
	s_barrier_wait -1
	s_and_saveexec_b32 s11, s14
	s_cbranch_execz .LBB130_597
; %bb.596:                              ;   in Loop: Header=BB130_3 Depth=1
	ds_load_b128 v[40:43], v1 offset:18720
	ds_load_b64 v[80:81], v1 offset:19240
	s_wait_dscnt 0x0
	v_mul_f64_e32 v[40:41], v[40:41], v[80:81]
	s_delay_alu instid0(VALU_DEP_1)
	v_mul_f64_e32 v[40:41], v[42:43], v[40:41]
	ds_store_b64 v1, v[40:41] offset:18728
.LBB130_597:                            ;   in Loop: Header=BB130_3 Depth=1
	s_or_b32 exec_lo, exec_lo, s11
	v_mov_b64_e32 v[40:41], 0
	s_wait_dscnt 0x0
	s_barrier_signal -1
	s_barrier_wait -1
	s_and_saveexec_b32 s11, s1
	s_cbranch_execz .LBB130_601
; %bb.598:                              ;   in Loop: Header=BB130_3 Depth=1
	ds_load_b64 v[40:41], v46 offset:18736
	ds_load_b64 v[42:43], v47 offset:18720
	s_wait_dscnt 0x0
	v_fma_f64 v[40:41], v[40:41], v[42:43], 0
	s_and_saveexec_b32 s12, s15
	s_cbranch_execz .LBB130_600
; %bb.599:                              ;   in Loop: Header=BB130_3 Depth=1
	ds_load_b64 v[42:43], v48 offset:19248
	ds_load_b64 v[80:81], v1 offset:18728
	s_wait_dscnt 0x0
	v_fmac_f64_e32 v[40:41], v[42:43], v[80:81]
.LBB130_600:                            ;   in Loop: Header=BB130_3 Depth=1
	s_or_b32 exec_lo, exec_lo, s12
	s_delay_alu instid0(VALU_DEP_1)
	v_xor_b32_e32 v41, 0x80000000, v41
.LBB130_601:                            ;   in Loop: Header=BB130_3 Depth=1
	s_or_b32 exec_lo, exec_lo, s11
	s_and_saveexec_b32 s11, s102
	s_cbranch_execz .LBB130_603
; %bb.602:                              ;   in Loop: Header=BB130_3 Depth=1
	ds_load_b64 v[42:43], v1 offset:19760
	s_wait_dscnt 0x0
	v_mul_f64_e32 v[40:41], v[40:41], v[42:43]
	ds_store_b64 v3, v[40:41]
.LBB130_603:                            ;   in Loop: Header=BB130_3 Depth=1
	s_or_b32 exec_lo, exec_lo, s11
	s_wait_dscnt 0x0
	s_barrier_signal -1
	s_barrier_wait -1
	s_and_saveexec_b32 s11, s103
	s_cbranch_execz .LBB130_605
; %bb.604:                              ;   in Loop: Header=BB130_3 Depth=1
	ds_load_b64 v[42:43], v1 offset:19768
	ds_load_b64 v[80:81], v3
	s_wait_dscnt 0x0
	v_fmac_f64_e32 v[40:41], v[42:43], v[80:81]
.LBB130_605:                            ;   in Loop: Header=BB130_3 Depth=1
	s_or_b32 exec_lo, exec_lo, s11
	s_barrier_signal -1
	s_barrier_wait -1
	s_and_saveexec_b32 s11, s103
	s_cbranch_execz .LBB130_607
; %bb.606:                              ;   in Loop: Header=BB130_3 Depth=1
	ds_load_b64 v[42:43], v1 offset:20280
	s_wait_dscnt 0x0
	v_mul_f64_e32 v[40:41], v[40:41], v[42:43]
	ds_store_b64 v3, v[40:41]
.LBB130_607:                            ;   in Loop: Header=BB130_3 Depth=1
	s_or_b32 exec_lo, exec_lo, s11
	s_wait_dscnt 0x0
	s_barrier_signal -1
	s_barrier_wait -1
	s_barrier_signal -1
	s_barrier_wait -1
	s_and_saveexec_b32 s11, s1
; %bb.608:                              ;   in Loop: Header=BB130_3 Depth=1
	s_delay_alu instid0(VALU_DEP_1)
	v_xor_b32_e32 v41, 0x80000000, v41
	ds_store_b64 v46, v[40:41] offset:18736
; %bb.609:                              ;   in Loop: Header=BB130_3 Depth=1
	s_or_b32 exec_lo, exec_lo, s11
	s_wait_dscnt 0x0
	s_barrier_signal -1
	s_barrier_wait -1
	s_barrier_signal -1
	s_barrier_wait -1
	s_and_saveexec_b32 s11, s14
	s_cbranch_execz .LBB130_611
; %bb.610:                              ;   in Loop: Header=BB130_3 Depth=1
	ds_load_b128 v[40:43], v1 offset:19760
	ds_load_b64 v[80:81], v1 offset:20280
	s_wait_dscnt 0x0
	v_mul_f64_e32 v[40:41], v[40:41], v[80:81]
	s_delay_alu instid0(VALU_DEP_1)
	v_mul_f64_e32 v[40:41], v[42:43], v[40:41]
	ds_store_b64 v1, v[40:41] offset:19768
.LBB130_611:                            ;   in Loop: Header=BB130_3 Depth=1
	s_or_b32 exec_lo, exec_lo, s11
	v_mov_b64_e32 v[40:41], 0
	s_wait_dscnt 0x0
	s_barrier_signal -1
	s_barrier_wait -1
	s_and_saveexec_b32 s11, s3
	s_cbranch_execz .LBB130_621
; %bb.612:                              ;   in Loop: Header=BB130_3 Depth=1
	ds_load_b64 v[40:41], v57 offset:16704
	ds_load_b64 v[42:43], v54 offset:16640
	s_wait_dscnt 0x0
	v_fma_f64 v[40:41], v[40:41], v[42:43], 0
	s_and_saveexec_b32 s12, s18
	s_cbranch_execnz .LBB130_1065
; %bb.613:                              ;   in Loop: Header=BB130_3 Depth=1
	s_or_b32 exec_lo, exec_lo, s12
	s_and_saveexec_b32 s12, s19
	s_cbranch_execnz .LBB130_1066
.LBB130_614:                            ;   in Loop: Header=BB130_3 Depth=1
	s_or_b32 exec_lo, exec_lo, s12
	s_and_saveexec_b32 s12, s20
	s_cbranch_execnz .LBB130_1067
.LBB130_615:                            ;   in Loop: Header=BB130_3 Depth=1
	s_or_b32 exec_lo, exec_lo, s12
	s_and_saveexec_b32 s12, s21
	s_cbranch_execnz .LBB130_1068
.LBB130_616:                            ;   in Loop: Header=BB130_3 Depth=1
	s_or_b32 exec_lo, exec_lo, s12
	s_and_saveexec_b32 s12, s22
	s_cbranch_execnz .LBB130_1069
.LBB130_617:                            ;   in Loop: Header=BB130_3 Depth=1
	s_or_b32 exec_lo, exec_lo, s12
	s_and_saveexec_b32 s12, s2
	s_cbranch_execnz .LBB130_1070
.LBB130_618:                            ;   in Loop: Header=BB130_3 Depth=1
	s_or_b32 exec_lo, exec_lo, s12
	s_and_saveexec_b32 s12, s17
	s_cbranch_execz .LBB130_620
.LBB130_619:                            ;   in Loop: Header=BB130_3 Depth=1
	ds_load_b64 v[42:43], v48 offset:20288
	ds_load_b64 v[80:81], v1 offset:16696
	s_wait_dscnt 0x0
	v_fmac_f64_e32 v[40:41], v[42:43], v[80:81]
.LBB130_620:                            ;   in Loop: Header=BB130_3 Depth=1
	s_or_b32 exec_lo, exec_lo, s12
	s_delay_alu instid0(VALU_DEP_1)
	v_xor_b32_e32 v41, 0x80000000, v41
.LBB130_621:                            ;   in Loop: Header=BB130_3 Depth=1
	s_or_b32 exec_lo, exec_lo, s11
	s_and_saveexec_b32 s11, s40
	s_cbranch_execz .LBB130_623
; %bb.622:                              ;   in Loop: Header=BB130_3 Depth=1
	ds_load_b64 v[42:43], v1 offset:20800
	s_wait_dscnt 0x0
	v_mul_f64_e32 v[40:41], v[40:41], v[42:43]
	ds_store_b64 v56, v[40:41]
.LBB130_623:                            ;   in Loop: Header=BB130_3 Depth=1
	s_or_b32 exec_lo, exec_lo, s11
	s_wait_dscnt 0x0
	s_barrier_signal -1
	s_barrier_wait -1
	s_and_saveexec_b32 s11, s41
	s_cbranch_execz .LBB130_625
; %bb.624:                              ;   in Loop: Header=BB130_3 Depth=1
	ds_load_b64 v[42:43], v55 offset:20800
	ds_load_b64 v[80:81], v56
	s_wait_dscnt 0x0
	v_fmac_f64_e32 v[40:41], v[42:43], v[80:81]
.LBB130_625:                            ;   in Loop: Header=BB130_3 Depth=1
	s_or_b32 exec_lo, exec_lo, s11
	s_barrier_signal -1
	s_barrier_wait -1
	s_and_saveexec_b32 s11, s42
	s_cbranch_execz .LBB130_627
; %bb.626:                              ;   in Loop: Header=BB130_3 Depth=1
	ds_load_b64 v[42:43], v1 offset:21320
	s_wait_dscnt 0x0
	v_mul_f64_e32 v[40:41], v[40:41], v[42:43]
	ds_store_b64 v56, v[40:41]
.LBB130_627:                            ;   in Loop: Header=BB130_3 Depth=1
	s_or_b32 exec_lo, exec_lo, s11
	s_wait_dscnt 0x0
	s_barrier_signal -1
	s_barrier_wait -1
	s_and_saveexec_b32 s11, s43
	s_cbranch_execz .LBB130_629
; %bb.628:                              ;   in Loop: Header=BB130_3 Depth=1
	ds_load_b64 v[42:43], v55 offset:21312
	ds_load_b64 v[80:81], v56
	s_wait_dscnt 0x0
	v_fmac_f64_e32 v[40:41], v[42:43], v[80:81]
.LBB130_629:                            ;   in Loop: Header=BB130_3 Depth=1
	s_or_b32 exec_lo, exec_lo, s11
	s_barrier_signal -1
	s_barrier_wait -1
	;; [unrolled: 23-line block ×7, first 2 shown]
	s_and_saveexec_b32 s11, s53
	s_cbranch_execz .LBB130_651
; %bb.650:                              ;   in Loop: Header=BB130_3 Depth=1
	ds_load_b64 v[42:43], v1 offset:24440
	s_wait_dscnt 0x0
	v_mul_f64_e32 v[40:41], v[40:41], v[42:43]
	ds_store_b64 v56, v[40:41]
.LBB130_651:                            ;   in Loop: Header=BB130_3 Depth=1
	s_or_b32 exec_lo, exec_lo, s11
	s_wait_dscnt 0x0
	s_barrier_signal -1
	s_barrier_wait -1
	s_barrier_signal -1
	s_barrier_wait -1
	s_and_saveexec_b32 s11, s3
; %bb.652:                              ;   in Loop: Header=BB130_3 Depth=1
	s_delay_alu instid0(VALU_DEP_1)
	v_xor_b32_e32 v41, 0x80000000, v41
	ds_store_b64 v57, v[40:41] offset:16704
; %bb.653:                              ;   in Loop: Header=BB130_3 Depth=1
	s_or_b32 exec_lo, exec_lo, s11
	s_wait_dscnt 0x0
	s_barrier_signal -1
	s_barrier_wait -1
	s_barrier_signal -1
	s_barrier_wait -1
	s_and_saveexec_b32 s11, s14
	s_cbranch_execz .LBB130_655
; %bb.654:                              ;   in Loop: Header=BB130_3 Depth=1
	ds_load_b128 v[40:43], v1 offset:20800
	ds_load_b64 v[80:81], v1 offset:21320
	s_wait_dscnt 0x0
	v_mul_f64_e32 v[40:41], v[40:41], v[80:81]
	s_delay_alu instid0(VALU_DEP_1)
	v_mul_f64_e32 v[40:41], v[42:43], v[40:41]
	ds_store_b64 v1, v[40:41] offset:20808
.LBB130_655:                            ;   in Loop: Header=BB130_3 Depth=1
	s_or_b32 exec_lo, exec_lo, s11
	v_mov_b64_e32 v[40:41], 0
	s_wait_dscnt 0x0
	s_barrier_signal -1
	s_barrier_wait -1
	s_and_saveexec_b32 s11, s1
	s_cbranch_execz .LBB130_659
; %bb.656:                              ;   in Loop: Header=BB130_3 Depth=1
	ds_load_b64 v[40:41], v46 offset:20816
	ds_load_b64 v[42:43], v47 offset:20800
	s_wait_dscnt 0x0
	v_fma_f64 v[40:41], v[40:41], v[42:43], 0
	s_and_saveexec_b32 s12, s15
	s_cbranch_execz .LBB130_658
; %bb.657:                              ;   in Loop: Header=BB130_3 Depth=1
	ds_load_b64 v[42:43], v48 offset:21328
	ds_load_b64 v[80:81], v1 offset:20808
	s_wait_dscnt 0x0
	v_fmac_f64_e32 v[40:41], v[42:43], v[80:81]
.LBB130_658:                            ;   in Loop: Header=BB130_3 Depth=1
	s_or_b32 exec_lo, exec_lo, s12
	s_delay_alu instid0(VALU_DEP_1)
	v_xor_b32_e32 v41, 0x80000000, v41
.LBB130_659:                            ;   in Loop: Header=BB130_3 Depth=1
	s_or_b32 exec_lo, exec_lo, s11
	s_and_saveexec_b32 s11, s102
	s_cbranch_execz .LBB130_661
; %bb.660:                              ;   in Loop: Header=BB130_3 Depth=1
	ds_load_b64 v[42:43], v1 offset:21840
	s_wait_dscnt 0x0
	v_mul_f64_e32 v[40:41], v[40:41], v[42:43]
	ds_store_b64 v3, v[40:41]
.LBB130_661:                            ;   in Loop: Header=BB130_3 Depth=1
	s_or_b32 exec_lo, exec_lo, s11
	s_wait_dscnt 0x0
	s_barrier_signal -1
	s_barrier_wait -1
	s_and_saveexec_b32 s11, s103
	s_cbranch_execz .LBB130_663
; %bb.662:                              ;   in Loop: Header=BB130_3 Depth=1
	ds_load_b64 v[42:43], v1 offset:21848
	ds_load_b64 v[80:81], v3
	s_wait_dscnt 0x0
	v_fmac_f64_e32 v[40:41], v[42:43], v[80:81]
.LBB130_663:                            ;   in Loop: Header=BB130_3 Depth=1
	s_or_b32 exec_lo, exec_lo, s11
	s_barrier_signal -1
	s_barrier_wait -1
	s_and_saveexec_b32 s11, s103
	s_cbranch_execz .LBB130_665
; %bb.664:                              ;   in Loop: Header=BB130_3 Depth=1
	ds_load_b64 v[42:43], v1 offset:22360
	s_wait_dscnt 0x0
	v_mul_f64_e32 v[40:41], v[40:41], v[42:43]
	ds_store_b64 v3, v[40:41]
.LBB130_665:                            ;   in Loop: Header=BB130_3 Depth=1
	s_or_b32 exec_lo, exec_lo, s11
	s_wait_dscnt 0x0
	s_barrier_signal -1
	s_barrier_wait -1
	s_barrier_signal -1
	s_barrier_wait -1
	s_and_saveexec_b32 s11, s1
; %bb.666:                              ;   in Loop: Header=BB130_3 Depth=1
	s_delay_alu instid0(VALU_DEP_1)
	v_xor_b32_e32 v41, 0x80000000, v41
	ds_store_b64 v46, v[40:41] offset:20816
; %bb.667:                              ;   in Loop: Header=BB130_3 Depth=1
	s_or_b32 exec_lo, exec_lo, s11
	s_wait_dscnt 0x0
	s_barrier_signal -1
	s_barrier_wait -1
	s_barrier_signal -1
	s_barrier_wait -1
	s_and_saveexec_b32 s11, s14
	s_cbranch_execz .LBB130_669
; %bb.668:                              ;   in Loop: Header=BB130_3 Depth=1
	ds_load_b128 v[40:43], v1 offset:21840
	ds_load_b64 v[80:81], v1 offset:22360
	s_wait_dscnt 0x0
	v_mul_f64_e32 v[40:41], v[40:41], v[80:81]
	s_delay_alu instid0(VALU_DEP_1)
	v_mul_f64_e32 v[40:41], v[42:43], v[40:41]
	ds_store_b64 v1, v[40:41] offset:21848
.LBB130_669:                            ;   in Loop: Header=BB130_3 Depth=1
	s_or_b32 exec_lo, exec_lo, s11
	v_mov_b64_e32 v[40:41], 0
	s_wait_dscnt 0x0
	s_barrier_signal -1
	s_barrier_wait -1
	s_and_saveexec_b32 s11, s2
	s_cbranch_execz .LBB130_675
; %bb.670:                              ;   in Loop: Header=BB130_3 Depth=1
	ds_load_b64 v[40:41], v52 offset:20832
	ds_load_b64 v[42:43], v49 offset:20800
	s_wait_dscnt 0x0
	v_fma_f64 v[40:41], v[40:41], v[42:43], 0
	s_and_saveexec_b32 s12, s16
	s_cbranch_execnz .LBB130_1071
; %bb.671:                              ;   in Loop: Header=BB130_3 Depth=1
	s_or_b32 exec_lo, exec_lo, s12
	s_and_saveexec_b32 s12, s17
	s_cbranch_execnz .LBB130_1072
.LBB130_672:                            ;   in Loop: Header=BB130_3 Depth=1
	s_or_b32 exec_lo, exec_lo, s12
	s_and_saveexec_b32 s12, s1
	s_cbranch_execz .LBB130_674
.LBB130_673:                            ;   in Loop: Header=BB130_3 Depth=1
	ds_load_b64 v[42:43], v48 offset:22368
	ds_load_b64 v[80:81], v1 offset:20824
	s_wait_dscnt 0x0
	v_fmac_f64_e32 v[40:41], v[42:43], v[80:81]
.LBB130_674:                            ;   in Loop: Header=BB130_3 Depth=1
	s_or_b32 exec_lo, exec_lo, s12
	s_delay_alu instid0(VALU_DEP_1)
	v_xor_b32_e32 v41, 0x80000000, v41
.LBB130_675:                            ;   in Loop: Header=BB130_3 Depth=1
	s_or_b32 exec_lo, exec_lo, s11
	s_and_saveexec_b32 s11, s104
	s_cbranch_execz .LBB130_677
; %bb.676:                              ;   in Loop: Header=BB130_3 Depth=1
	ds_load_b64 v[42:43], v1 offset:22880
	s_wait_dscnt 0x0
	v_mul_f64_e32 v[40:41], v[40:41], v[42:43]
	ds_store_b64 v50, v[40:41]
.LBB130_677:                            ;   in Loop: Header=BB130_3 Depth=1
	s_or_b32 exec_lo, exec_lo, s11
	s_wait_dscnt 0x0
	s_barrier_signal -1
	s_barrier_wait -1
	s_and_saveexec_b32 s11, vcc_hi
	s_cbranch_execz .LBB130_679
; %bb.678:                              ;   in Loop: Header=BB130_3 Depth=1
	ds_load_b64 v[42:43], v51 offset:22880
	ds_load_b64 v[80:81], v50
	s_wait_dscnt 0x0
	v_fmac_f64_e32 v[40:41], v[42:43], v[80:81]
.LBB130_679:                            ;   in Loop: Header=BB130_3 Depth=1
	s_or_b32 exec_lo, exec_lo, s11
	s_barrier_signal -1
	s_barrier_wait -1
	s_and_saveexec_b32 s11, s36
	s_cbranch_execz .LBB130_681
; %bb.680:                              ;   in Loop: Header=BB130_3 Depth=1
	ds_load_b64 v[42:43], v1 offset:23400
	s_wait_dscnt 0x0
	v_mul_f64_e32 v[40:41], v[40:41], v[42:43]
	ds_store_b64 v50, v[40:41]
.LBB130_681:                            ;   in Loop: Header=BB130_3 Depth=1
	s_or_b32 exec_lo, exec_lo, s11
	s_wait_dscnt 0x0
	s_barrier_signal -1
	s_barrier_wait -1
	s_and_saveexec_b32 s11, s37
	s_cbranch_execz .LBB130_683
; %bb.682:                              ;   in Loop: Header=BB130_3 Depth=1
	ds_load_b64 v[42:43], v51 offset:23392
	ds_load_b64 v[80:81], v50
	s_wait_dscnt 0x0
	v_fmac_f64_e32 v[40:41], v[42:43], v[80:81]
.LBB130_683:                            ;   in Loop: Header=BB130_3 Depth=1
	s_or_b32 exec_lo, exec_lo, s11
	s_barrier_signal -1
	s_barrier_wait -1
	s_and_saveexec_b32 s11, s38
	s_cbranch_execz .LBB130_685
; %bb.684:                              ;   in Loop: Header=BB130_3 Depth=1
	ds_load_b64 v[42:43], v1 offset:23920
	s_wait_dscnt 0x0
	v_mul_f64_e32 v[40:41], v[40:41], v[42:43]
	ds_store_b64 v50, v[40:41]
.LBB130_685:                            ;   in Loop: Header=BB130_3 Depth=1
	s_or_b32 exec_lo, exec_lo, s11
	s_wait_dscnt 0x0
	s_barrier_signal -1
	s_barrier_wait -1
	s_and_saveexec_b32 s11, s39
	s_cbranch_execz .LBB130_687
; %bb.686:                              ;   in Loop: Header=BB130_3 Depth=1
	ds_load_b64 v[42:43], v1 offset:23928
	ds_load_b64 v[80:81], v50
	s_wait_dscnt 0x0
	v_fmac_f64_e32 v[40:41], v[42:43], v[80:81]
.LBB130_687:                            ;   in Loop: Header=BB130_3 Depth=1
	s_or_b32 exec_lo, exec_lo, s11
	s_barrier_signal -1
	s_barrier_wait -1
	s_and_saveexec_b32 s11, s39
	s_cbranch_execz .LBB130_689
; %bb.688:                              ;   in Loop: Header=BB130_3 Depth=1
	ds_load_b64 v[42:43], v1 offset:24440
	s_wait_dscnt 0x0
	v_mul_f64_e32 v[40:41], v[40:41], v[42:43]
	ds_store_b64 v50, v[40:41]
.LBB130_689:                            ;   in Loop: Header=BB130_3 Depth=1
	s_or_b32 exec_lo, exec_lo, s11
	s_wait_dscnt 0x0
	s_barrier_signal -1
	s_barrier_wait -1
	s_barrier_signal -1
	s_barrier_wait -1
	s_and_saveexec_b32 s11, s2
; %bb.690:                              ;   in Loop: Header=BB130_3 Depth=1
	s_delay_alu instid0(VALU_DEP_1)
	v_xor_b32_e32 v41, 0x80000000, v41
	ds_store_b64 v52, v[40:41] offset:20832
; %bb.691:                              ;   in Loop: Header=BB130_3 Depth=1
	s_or_b32 exec_lo, exec_lo, s11
	s_wait_dscnt 0x0
	s_barrier_signal -1
	s_barrier_wait -1
	s_barrier_signal -1
	s_barrier_wait -1
	s_and_saveexec_b32 s11, s14
	s_cbranch_execz .LBB130_693
; %bb.692:                              ;   in Loop: Header=BB130_3 Depth=1
	ds_load_b128 v[40:43], v1 offset:22880
	ds_load_b64 v[80:81], v1 offset:23400
	s_wait_dscnt 0x0
	v_mul_f64_e32 v[40:41], v[40:41], v[80:81]
	s_delay_alu instid0(VALU_DEP_1)
	v_mul_f64_e32 v[40:41], v[42:43], v[40:41]
	ds_store_b64 v1, v[40:41] offset:22888
.LBB130_693:                            ;   in Loop: Header=BB130_3 Depth=1
	s_or_b32 exec_lo, exec_lo, s11
	v_mov_b64_e32 v[40:41], 0
	s_wait_dscnt 0x0
	s_barrier_signal -1
	s_barrier_wait -1
	s_and_saveexec_b32 s11, s1
	s_cbranch_execz .LBB130_697
; %bb.694:                              ;   in Loop: Header=BB130_3 Depth=1
	ds_load_b64 v[40:41], v46 offset:22896
	ds_load_b64 v[42:43], v47 offset:22880
	s_wait_dscnt 0x0
	v_fma_f64 v[40:41], v[40:41], v[42:43], 0
	s_and_saveexec_b32 s12, s15
	s_cbranch_execz .LBB130_696
; %bb.695:                              ;   in Loop: Header=BB130_3 Depth=1
	ds_load_b64 v[42:43], v48 offset:23408
	ds_load_b64 v[80:81], v1 offset:22888
	s_wait_dscnt 0x0
	v_fmac_f64_e32 v[40:41], v[42:43], v[80:81]
.LBB130_696:                            ;   in Loop: Header=BB130_3 Depth=1
	s_or_b32 exec_lo, exec_lo, s12
	s_delay_alu instid0(VALU_DEP_1)
	v_xor_b32_e32 v41, 0x80000000, v41
.LBB130_697:                            ;   in Loop: Header=BB130_3 Depth=1
	s_or_b32 exec_lo, exec_lo, s11
	s_and_saveexec_b32 s11, s102
	s_cbranch_execz .LBB130_699
; %bb.698:                              ;   in Loop: Header=BB130_3 Depth=1
	ds_load_b64 v[42:43], v1 offset:23920
	s_wait_dscnt 0x0
	v_mul_f64_e32 v[40:41], v[40:41], v[42:43]
	ds_store_b64 v3, v[40:41]
.LBB130_699:                            ;   in Loop: Header=BB130_3 Depth=1
	s_or_b32 exec_lo, exec_lo, s11
	s_wait_dscnt 0x0
	s_barrier_signal -1
	s_barrier_wait -1
	s_and_saveexec_b32 s11, s103
	s_cbranch_execz .LBB130_701
; %bb.700:                              ;   in Loop: Header=BB130_3 Depth=1
	ds_load_b64 v[42:43], v1 offset:23928
	ds_load_b64 v[80:81], v3
	s_wait_dscnt 0x0
	v_fmac_f64_e32 v[40:41], v[42:43], v[80:81]
.LBB130_701:                            ;   in Loop: Header=BB130_3 Depth=1
	s_or_b32 exec_lo, exec_lo, s11
	s_barrier_signal -1
	s_barrier_wait -1
	s_and_saveexec_b32 s11, s103
	s_cbranch_execz .LBB130_703
; %bb.702:                              ;   in Loop: Header=BB130_3 Depth=1
	ds_load_b64 v[42:43], v1 offset:24440
	s_wait_dscnt 0x0
	v_mul_f64_e32 v[40:41], v[40:41], v[42:43]
	ds_store_b64 v3, v[40:41]
.LBB130_703:                            ;   in Loop: Header=BB130_3 Depth=1
	s_or_b32 exec_lo, exec_lo, s11
	s_wait_dscnt 0x0
	s_barrier_signal -1
	s_barrier_wait -1
	s_barrier_signal -1
	s_barrier_wait -1
	s_and_saveexec_b32 s11, s1
; %bb.704:                              ;   in Loop: Header=BB130_3 Depth=1
	s_delay_alu instid0(VALU_DEP_1)
	v_xor_b32_e32 v41, 0x80000000, v41
	ds_store_b64 v46, v[40:41] offset:22896
; %bb.705:                              ;   in Loop: Header=BB130_3 Depth=1
	s_or_b32 exec_lo, exec_lo, s11
	s_wait_dscnt 0x0
	s_barrier_signal -1
	s_barrier_wait -1
	s_barrier_signal -1
	s_barrier_wait -1
	s_and_saveexec_b32 s11, s14
	s_cbranch_execz .LBB130_707
; %bb.706:                              ;   in Loop: Header=BB130_3 Depth=1
	ds_load_b128 v[40:43], v1 offset:23920
	ds_load_b64 v[80:81], v1 offset:24440
	s_wait_dscnt 0x0
	v_mul_f64_e32 v[40:41], v[40:41], v[80:81]
	s_delay_alu instid0(VALU_DEP_1)
	v_mul_f64_e32 v[40:41], v[42:43], v[40:41]
	ds_store_b64 v1, v[40:41] offset:23928
.LBB130_707:                            ;   in Loop: Header=BB130_3 Depth=1
	s_or_b32 exec_lo, exec_lo, s11
	v_mov_b64_e32 v[40:41], 0
	s_wait_dscnt 0x0
	s_barrier_signal -1
	s_barrier_wait -1
	s_and_saveexec_b32 s69, s4
	s_cbranch_execz .LBB130_735
; %bb.708:                              ;   in Loop: Header=BB130_3 Depth=1
	ds_load_b64 v[40:41], v62 offset:16768
	ds_load_b64 v[42:43], v59 offset:16640
	s_wait_dscnt 0x0
	v_fma_f64 v[40:41], v[40:41], v[42:43], 0
	s_mov_b32 s11, exec_lo
	v_readlane_b32 s12, v90, 29
	s_and_b32 s12, s11, s12
	s_delay_alu instid0(SALU_CYCLE_1)
	s_mov_b32 exec_lo, s12
	s_cbranch_execz .LBB130_710
; %bb.709:                              ;   in Loop: Header=BB130_3 Depth=1
	ds_load_b64 v[42:43], v63 offset:17280
	ds_load_b64 v[80:81], v59 offset:16648
	s_wait_dscnt 0x0
	v_fmac_f64_e32 v[40:41], v[42:43], v[80:81]
.LBB130_710:                            ;   in Loop: Header=BB130_3 Depth=1
	s_or_b32 exec_lo, exec_lo, s11
	s_delay_alu instid0(SALU_CYCLE_1) | instskip(SKIP_2) | instid1(SALU_CYCLE_1)
	s_mov_b32 s11, exec_lo
	v_readlane_b32 s12, v90, 30
	s_and_b32 s12, s11, s12
	s_mov_b32 exec_lo, s12
	s_cbranch_execz .LBB130_712
; %bb.711:                              ;   in Loop: Header=BB130_3 Depth=1
	ds_load_b64 v[42:43], v63 offset:17792
	ds_load_b64 v[80:81], v59 offset:16656
	s_wait_dscnt 0x0
	v_fmac_f64_e32 v[40:41], v[42:43], v[80:81]
.LBB130_712:                            ;   in Loop: Header=BB130_3 Depth=1
	s_or_b32 exec_lo, exec_lo, s11
	s_delay_alu instid0(SALU_CYCLE_1) | instskip(SKIP_2) | instid1(SALU_CYCLE_1)
	s_mov_b32 s11, exec_lo
	v_readlane_b32 s12, v90, 31
	s_and_b32 s12, s11, s12
	;; [unrolled: 13-line block ×4, first 2 shown]
	s_mov_b32 exec_lo, s12
	s_cbranch_execz .LBB130_718
; %bb.717:                              ;   in Loop: Header=BB130_3 Depth=1
	ds_load_b64 v[42:43], v63 offset:19328
	ds_load_b64 v[80:81], v59 offset:16680
	s_wait_dscnt 0x0
	v_fmac_f64_e32 v[40:41], v[42:43], v[80:81]
.LBB130_718:                            ;   in Loop: Header=BB130_3 Depth=1
	s_or_b32 exec_lo, exec_lo, s11
	s_and_saveexec_b32 s11, s7
	s_cbranch_execz .LBB130_720
; %bb.719:                              ;   in Loop: Header=BB130_3 Depth=1
	ds_load_b64 v[42:43], v63 offset:19840
	ds_load_b64 v[80:81], v59 offset:16688
	s_wait_dscnt 0x0
	v_fmac_f64_e32 v[40:41], v[42:43], v[80:81]
.LBB130_720:                            ;   in Loop: Header=BB130_3 Depth=1
	s_or_b32 exec_lo, exec_lo, s11
	s_delay_alu instid0(SALU_CYCLE_1) | instskip(SKIP_2) | instid1(SALU_CYCLE_1)
	s_mov_b32 s11, exec_lo
	v_readlane_b32 s12, v89, 2
	s_and_b32 s12, s11, s12
	s_mov_b32 exec_lo, s12
	s_cbranch_execz .LBB130_722
; %bb.721:                              ;   in Loop: Header=BB130_3 Depth=1
	ds_load_b64 v[42:43], v63 offset:20352
	ds_load_b64 v[80:81], v59 offset:16696
	s_wait_dscnt 0x0
	v_fmac_f64_e32 v[40:41], v[42:43], v[80:81]
.LBB130_722:                            ;   in Loop: Header=BB130_3 Depth=1
	s_or_b32 exec_lo, exec_lo, s11
	s_and_saveexec_b32 s11, s6
	s_cbranch_execz .LBB130_724
; %bb.723:                              ;   in Loop: Header=BB130_3 Depth=1
	ds_load_b64 v[42:43], v62 offset:20864
	ds_load_b64 v[80:81], v59 offset:16704
	s_wait_dscnt 0x0
	v_fmac_f64_e32 v[40:41], v[42:43], v[80:81]
.LBB130_724:                            ;   in Loop: Header=BB130_3 Depth=1
	s_or_b32 exec_lo, exec_lo, s11
	s_delay_alu instid0(SALU_CYCLE_1) | instskip(SKIP_2) | instid1(SALU_CYCLE_1)
	s_mov_b32 s11, exec_lo
	v_readlane_b32 s12, v89, 3
	s_and_b32 s12, s11, s12
	;; [unrolled: 22-line block ×3, first 2 shown]
	s_mov_b32 exec_lo, s12
	s_cbranch_execnz .LBB130_1073
; %bb.729:                              ;   in Loop: Header=BB130_3 Depth=1
	s_or_b32 exec_lo, exec_lo, s11
	s_and_saveexec_b32 s11, s3
	s_cbranch_execnz .LBB130_1074
.LBB130_730:                            ;   in Loop: Header=BB130_3 Depth=1
	s_or_b32 exec_lo, exec_lo, s11
	s_and_saveexec_b32 s11, s19
	s_cbranch_execnz .LBB130_1075
.LBB130_731:                            ;   in Loop: Header=BB130_3 Depth=1
	s_or_b32 exec_lo, exec_lo, s11
	s_and_saveexec_b32 s11, s21
	s_cbranch_execnz .LBB130_1076
.LBB130_732:                            ;   in Loop: Header=BB130_3 Depth=1
	s_or_b32 exec_lo, exec_lo, s11
	s_and_saveexec_b32 s11, s2
	s_cbranch_execz .LBB130_734
.LBB130_733:                            ;   in Loop: Header=BB130_3 Depth=1
	ds_load_b64 v[42:43], v48 offset:24448
	ds_load_b64 v[80:81], v1 offset:16760
	s_wait_dscnt 0x0
	v_fmac_f64_e32 v[40:41], v[42:43], v[80:81]
.LBB130_734:                            ;   in Loop: Header=BB130_3 Depth=1
	s_or_b32 exec_lo, exec_lo, s11
	s_delay_alu instid0(VALU_DEP_1)
	v_xor_b32_e32 v41, 0x80000000, v41
.LBB130_735:                            ;   in Loop: Header=BB130_3 Depth=1
	s_or_b32 exec_lo, exec_lo, s69
	s_delay_alu instid0(SALU_CYCLE_1) | instskip(SKIP_2) | instid1(SALU_CYCLE_1)
	s_mov_b32 s11, exec_lo
	v_readlane_b32 s12, v90, 1
	s_and_b32 s12, s11, s12
	s_mov_b32 exec_lo, s12
	s_cbranch_execz .LBB130_737
; %bb.736:                              ;   in Loop: Header=BB130_3 Depth=1
	ds_load_b64 v[42:43], v1 offset:24960
	s_wait_dscnt 0x0
	v_mul_f64_e32 v[40:41], v[40:41], v[42:43]
	ds_store_b64 v61, v[40:41]
.LBB130_737:                            ;   in Loop: Header=BB130_3 Depth=1
	s_or_b32 exec_lo, exec_lo, s11
	s_wait_dscnt 0x0
	s_barrier_signal -1
	s_barrier_wait -1
	s_mov_b32 s11, exec_lo
	v_readlane_b32 s12, v90, 2
	s_and_b32 s12, s11, s12
	s_delay_alu instid0(SALU_CYCLE_1)
	s_mov_b32 exec_lo, s12
	s_cbranch_execz .LBB130_739
; %bb.738:                              ;   in Loop: Header=BB130_3 Depth=1
	ds_load_b64 v[42:43], v60 offset:24960
	ds_load_b64 v[80:81], v61
	s_wait_dscnt 0x0
	v_fmac_f64_e32 v[40:41], v[42:43], v[80:81]
.LBB130_739:                            ;   in Loop: Header=BB130_3 Depth=1
	s_or_b32 exec_lo, exec_lo, s11
	s_barrier_signal -1
	s_barrier_wait -1
	s_mov_b32 s11, exec_lo
	v_readlane_b32 s12, v90, 3
	s_and_b32 s12, s11, s12
	s_delay_alu instid0(SALU_CYCLE_1)
	s_mov_b32 exec_lo, s12
	s_cbranch_execz .LBB130_741
; %bb.740:                              ;   in Loop: Header=BB130_3 Depth=1
	ds_load_b64 v[42:43], v1 offset:25480
	s_wait_dscnt 0x0
	v_mul_f64_e32 v[40:41], v[40:41], v[42:43]
	ds_store_b64 v61, v[40:41]
.LBB130_741:                            ;   in Loop: Header=BB130_3 Depth=1
	s_or_b32 exec_lo, exec_lo, s11
	s_wait_dscnt 0x0
	s_barrier_signal -1
	s_barrier_wait -1
	s_mov_b32 s11, exec_lo
	v_readlane_b32 s12, v90, 4
	s_and_b32 s12, s11, s12
	s_delay_alu instid0(SALU_CYCLE_1)
	s_mov_b32 exec_lo, s12
	s_cbranch_execz .LBB130_743
; %bb.742:                              ;   in Loop: Header=BB130_3 Depth=1
	ds_load_b64 v[42:43], v60 offset:25472
	ds_load_b64 v[80:81], v61
	s_wait_dscnt 0x0
	v_fmac_f64_e32 v[40:41], v[42:43], v[80:81]
.LBB130_743:                            ;   in Loop: Header=BB130_3 Depth=1
	s_or_b32 exec_lo, exec_lo, s11
	s_barrier_signal -1
	s_barrier_wait -1
	s_mov_b32 s11, exec_lo
	v_readlane_b32 s12, v90, 5
	s_and_b32 s12, s11, s12
	s_delay_alu instid0(SALU_CYCLE_1)
	;; [unrolled: 31-line block ×3, first 2 shown]
	s_mov_b32 exec_lo, s12
	s_cbranch_execz .LBB130_749
; %bb.748:                              ;   in Loop: Header=BB130_3 Depth=1
	ds_load_b64 v[42:43], v1 offset:26520
	s_wait_dscnt 0x0
	v_mul_f64_e32 v[40:41], v[40:41], v[42:43]
	ds_store_b64 v61, v[40:41]
.LBB130_749:                            ;   in Loop: Header=BB130_3 Depth=1
	s_or_b32 exec_lo, exec_lo, s11
	s_wait_dscnt 0x0
	s_barrier_signal -1
	s_barrier_wait -1
	s_and_saveexec_b32 s11, s67
	s_cbranch_execz .LBB130_751
; %bb.750:                              ;   in Loop: Header=BB130_3 Depth=1
	ds_load_b64 v[42:43], v60 offset:26496
	ds_load_b64 v[80:81], v61
	s_wait_dscnt 0x0
	v_fmac_f64_e32 v[40:41], v[42:43], v[80:81]
.LBB130_751:                            ;   in Loop: Header=BB130_3 Depth=1
	s_or_b32 exec_lo, exec_lo, s11
	s_barrier_signal -1
	s_barrier_wait -1
	s_and_saveexec_b32 s11, s68
	s_cbranch_execz .LBB130_753
; %bb.752:                              ;   in Loop: Header=BB130_3 Depth=1
	ds_load_b64 v[42:43], v1 offset:27040
	s_wait_dscnt 0x0
	v_mul_f64_e32 v[40:41], v[40:41], v[42:43]
	ds_store_b64 v61, v[40:41]
.LBB130_753:                            ;   in Loop: Header=BB130_3 Depth=1
	s_or_b32 exec_lo, exec_lo, s11
	s_wait_dscnt 0x0
	s_barrier_signal -1
	s_barrier_wait -1
	s_and_saveexec_b32 s11, s9
	s_cbranch_execz .LBB130_755
; %bb.754:                              ;   in Loop: Header=BB130_3 Depth=1
	ds_load_b64 v[42:43], v60 offset:27008
	ds_load_b64 v[80:81], v61
	s_wait_dscnt 0x0
	v_fmac_f64_e32 v[40:41], v[42:43], v[80:81]
.LBB130_755:                            ;   in Loop: Header=BB130_3 Depth=1
	s_or_b32 exec_lo, exec_lo, s11
	s_barrier_signal -1
	s_barrier_wait -1
	s_and_saveexec_b32 s11, s23
	;; [unrolled: 23-line block ×12, first 2 shown]
	s_cbranch_execz .LBB130_797
; %bb.796:                              ;   in Loop: Header=BB130_3 Depth=1
	ds_load_b64 v[42:43], v1 offset:32760
	s_wait_dscnt 0x0
	v_mul_f64_e32 v[40:41], v[40:41], v[42:43]
	ds_store_b64 v61, v[40:41]
.LBB130_797:                            ;   in Loop: Header=BB130_3 Depth=1
	s_or_b32 exec_lo, exec_lo, s11
	s_wait_dscnt 0x0
	s_barrier_signal -1
	s_barrier_wait -1
	s_barrier_signal -1
	s_barrier_wait -1
	s_and_saveexec_b32 s11, s4
; %bb.798:                              ;   in Loop: Header=BB130_3 Depth=1
	s_delay_alu instid0(VALU_DEP_1)
	v_xor_b32_e32 v41, 0x80000000, v41
	ds_store_b64 v62, v[40:41] offset:16768
; %bb.799:                              ;   in Loop: Header=BB130_3 Depth=1
	s_or_b32 exec_lo, exec_lo, s11
	s_wait_dscnt 0x0
	s_barrier_signal -1
	s_barrier_wait -1
	s_barrier_signal -1
	s_barrier_wait -1
	s_and_saveexec_b32 s11, s14
	s_cbranch_execz .LBB130_801
; %bb.800:                              ;   in Loop: Header=BB130_3 Depth=1
	ds_load_b128 v[40:43], v1 offset:24960
	ds_load_b64 v[80:81], v1 offset:25480
	s_wait_dscnt 0x0
	v_mul_f64_e32 v[40:41], v[40:41], v[80:81]
	s_delay_alu instid0(VALU_DEP_1)
	v_mul_f64_e32 v[40:41], v[42:43], v[40:41]
	ds_store_b64 v1, v[40:41] offset:24968
.LBB130_801:                            ;   in Loop: Header=BB130_3 Depth=1
	s_or_b32 exec_lo, exec_lo, s11
	v_mov_b64_e32 v[40:41], 0
	s_wait_dscnt 0x0
	s_barrier_signal -1
	s_barrier_wait -1
	s_and_saveexec_b32 s11, s1
	s_cbranch_execz .LBB130_805
; %bb.802:                              ;   in Loop: Header=BB130_3 Depth=1
	ds_load_b64 v[40:41], v46 offset:24976
	ds_load_b64 v[42:43], v47 offset:24960
	s_wait_dscnt 0x0
	v_fma_f64 v[40:41], v[40:41], v[42:43], 0
	s_and_saveexec_b32 s12, s15
	s_cbranch_execz .LBB130_804
; %bb.803:                              ;   in Loop: Header=BB130_3 Depth=1
	ds_load_b64 v[42:43], v48 offset:25488
	ds_load_b64 v[80:81], v1 offset:24968
	s_wait_dscnt 0x0
	v_fmac_f64_e32 v[40:41], v[42:43], v[80:81]
.LBB130_804:                            ;   in Loop: Header=BB130_3 Depth=1
	s_or_b32 exec_lo, exec_lo, s12
	s_delay_alu instid0(VALU_DEP_1)
	v_xor_b32_e32 v41, 0x80000000, v41
.LBB130_805:                            ;   in Loop: Header=BB130_3 Depth=1
	s_or_b32 exec_lo, exec_lo, s11
	s_and_saveexec_b32 s11, s102
	s_cbranch_execz .LBB130_807
; %bb.806:                              ;   in Loop: Header=BB130_3 Depth=1
	ds_load_b64 v[42:43], v1 offset:26000
	s_wait_dscnt 0x0
	v_mul_f64_e32 v[40:41], v[40:41], v[42:43]
	ds_store_b64 v3, v[40:41]
.LBB130_807:                            ;   in Loop: Header=BB130_3 Depth=1
	s_or_b32 exec_lo, exec_lo, s11
	s_wait_dscnt 0x0
	s_barrier_signal -1
	s_barrier_wait -1
	s_and_saveexec_b32 s11, s103
	s_cbranch_execz .LBB130_809
; %bb.808:                              ;   in Loop: Header=BB130_3 Depth=1
	ds_load_b64 v[42:43], v1 offset:26008
	ds_load_b64 v[80:81], v3
	s_wait_dscnt 0x0
	v_fmac_f64_e32 v[40:41], v[42:43], v[80:81]
.LBB130_809:                            ;   in Loop: Header=BB130_3 Depth=1
	s_or_b32 exec_lo, exec_lo, s11
	s_barrier_signal -1
	s_barrier_wait -1
	s_and_saveexec_b32 s11, s103
	s_cbranch_execz .LBB130_811
; %bb.810:                              ;   in Loop: Header=BB130_3 Depth=1
	ds_load_b64 v[42:43], v1 offset:26520
	s_wait_dscnt 0x0
	v_mul_f64_e32 v[40:41], v[40:41], v[42:43]
	ds_store_b64 v3, v[40:41]
.LBB130_811:                            ;   in Loop: Header=BB130_3 Depth=1
	s_or_b32 exec_lo, exec_lo, s11
	s_wait_dscnt 0x0
	s_barrier_signal -1
	s_barrier_wait -1
	s_barrier_signal -1
	s_barrier_wait -1
	s_and_saveexec_b32 s11, s1
; %bb.812:                              ;   in Loop: Header=BB130_3 Depth=1
	s_delay_alu instid0(VALU_DEP_1)
	v_xor_b32_e32 v41, 0x80000000, v41
	ds_store_b64 v46, v[40:41] offset:24976
; %bb.813:                              ;   in Loop: Header=BB130_3 Depth=1
	s_or_b32 exec_lo, exec_lo, s11
	s_wait_dscnt 0x0
	s_barrier_signal -1
	s_barrier_wait -1
	s_barrier_signal -1
	s_barrier_wait -1
	s_and_saveexec_b32 s11, s14
	s_cbranch_execz .LBB130_815
; %bb.814:                              ;   in Loop: Header=BB130_3 Depth=1
	ds_load_b128 v[40:43], v1 offset:26000
	ds_load_b64 v[80:81], v1 offset:26520
	s_wait_dscnt 0x0
	v_mul_f64_e32 v[40:41], v[40:41], v[80:81]
	s_delay_alu instid0(VALU_DEP_1)
	v_mul_f64_e32 v[40:41], v[42:43], v[40:41]
	ds_store_b64 v1, v[40:41] offset:26008
.LBB130_815:                            ;   in Loop: Header=BB130_3 Depth=1
	s_or_b32 exec_lo, exec_lo, s11
	v_mov_b64_e32 v[40:41], 0
	s_wait_dscnt 0x0
	s_barrier_signal -1
	s_barrier_wait -1
	s_and_saveexec_b32 s11, s2
	s_cbranch_execz .LBB130_821
; %bb.816:                              ;   in Loop: Header=BB130_3 Depth=1
	ds_load_b64 v[40:41], v52 offset:24992
	ds_load_b64 v[42:43], v49 offset:24960
	s_wait_dscnt 0x0
	v_fma_f64 v[40:41], v[40:41], v[42:43], 0
	s_and_saveexec_b32 s12, s16
	s_cbranch_execnz .LBB130_1077
; %bb.817:                              ;   in Loop: Header=BB130_3 Depth=1
	s_or_b32 exec_lo, exec_lo, s12
	s_and_saveexec_b32 s12, s17
	s_cbranch_execnz .LBB130_1078
.LBB130_818:                            ;   in Loop: Header=BB130_3 Depth=1
	s_or_b32 exec_lo, exec_lo, s12
	s_and_saveexec_b32 s12, s1
	s_cbranch_execz .LBB130_820
.LBB130_819:                            ;   in Loop: Header=BB130_3 Depth=1
	ds_load_b64 v[42:43], v48 offset:26528
	ds_load_b64 v[80:81], v1 offset:24984
	s_wait_dscnt 0x0
	v_fmac_f64_e32 v[40:41], v[42:43], v[80:81]
.LBB130_820:                            ;   in Loop: Header=BB130_3 Depth=1
	s_or_b32 exec_lo, exec_lo, s12
	s_delay_alu instid0(VALU_DEP_1)
	v_xor_b32_e32 v41, 0x80000000, v41
.LBB130_821:                            ;   in Loop: Header=BB130_3 Depth=1
	s_or_b32 exec_lo, exec_lo, s11
	s_and_saveexec_b32 s11, s104
	s_cbranch_execz .LBB130_823
; %bb.822:                              ;   in Loop: Header=BB130_3 Depth=1
	ds_load_b64 v[42:43], v1 offset:27040
	s_wait_dscnt 0x0
	v_mul_f64_e32 v[40:41], v[40:41], v[42:43]
	ds_store_b64 v50, v[40:41]
.LBB130_823:                            ;   in Loop: Header=BB130_3 Depth=1
	s_or_b32 exec_lo, exec_lo, s11
	s_wait_dscnt 0x0
	s_barrier_signal -1
	s_barrier_wait -1
	s_and_saveexec_b32 s11, vcc_hi
	s_cbranch_execz .LBB130_825
; %bb.824:                              ;   in Loop: Header=BB130_3 Depth=1
	ds_load_b64 v[42:43], v51 offset:27040
	ds_load_b64 v[80:81], v50
	s_wait_dscnt 0x0
	v_fmac_f64_e32 v[40:41], v[42:43], v[80:81]
.LBB130_825:                            ;   in Loop: Header=BB130_3 Depth=1
	s_or_b32 exec_lo, exec_lo, s11
	s_barrier_signal -1
	s_barrier_wait -1
	s_and_saveexec_b32 s11, s36
	s_cbranch_execz .LBB130_827
; %bb.826:                              ;   in Loop: Header=BB130_3 Depth=1
	ds_load_b64 v[42:43], v1 offset:27560
	s_wait_dscnt 0x0
	v_mul_f64_e32 v[40:41], v[40:41], v[42:43]
	ds_store_b64 v50, v[40:41]
.LBB130_827:                            ;   in Loop: Header=BB130_3 Depth=1
	s_or_b32 exec_lo, exec_lo, s11
	s_wait_dscnt 0x0
	s_barrier_signal -1
	s_barrier_wait -1
	s_and_saveexec_b32 s11, s37
	s_cbranch_execz .LBB130_829
; %bb.828:                              ;   in Loop: Header=BB130_3 Depth=1
	ds_load_b64 v[42:43], v51 offset:27552
	ds_load_b64 v[80:81], v50
	s_wait_dscnt 0x0
	v_fmac_f64_e32 v[40:41], v[42:43], v[80:81]
.LBB130_829:                            ;   in Loop: Header=BB130_3 Depth=1
	s_or_b32 exec_lo, exec_lo, s11
	s_barrier_signal -1
	s_barrier_wait -1
	s_and_saveexec_b32 s11, s38
	s_cbranch_execz .LBB130_831
; %bb.830:                              ;   in Loop: Header=BB130_3 Depth=1
	ds_load_b64 v[42:43], v1 offset:28080
	s_wait_dscnt 0x0
	v_mul_f64_e32 v[40:41], v[40:41], v[42:43]
	ds_store_b64 v50, v[40:41]
.LBB130_831:                            ;   in Loop: Header=BB130_3 Depth=1
	s_or_b32 exec_lo, exec_lo, s11
	s_wait_dscnt 0x0
	s_barrier_signal -1
	s_barrier_wait -1
	s_and_saveexec_b32 s11, s39
	s_cbranch_execz .LBB130_833
; %bb.832:                              ;   in Loop: Header=BB130_3 Depth=1
	ds_load_b64 v[42:43], v1 offset:28088
	ds_load_b64 v[80:81], v50
	s_wait_dscnt 0x0
	v_fmac_f64_e32 v[40:41], v[42:43], v[80:81]
.LBB130_833:                            ;   in Loop: Header=BB130_3 Depth=1
	s_or_b32 exec_lo, exec_lo, s11
	s_barrier_signal -1
	s_barrier_wait -1
	s_and_saveexec_b32 s11, s39
	s_cbranch_execz .LBB130_835
; %bb.834:                              ;   in Loop: Header=BB130_3 Depth=1
	ds_load_b64 v[42:43], v1 offset:28600
	s_wait_dscnt 0x0
	v_mul_f64_e32 v[40:41], v[40:41], v[42:43]
	ds_store_b64 v50, v[40:41]
.LBB130_835:                            ;   in Loop: Header=BB130_3 Depth=1
	s_or_b32 exec_lo, exec_lo, s11
	s_wait_dscnt 0x0
	s_barrier_signal -1
	s_barrier_wait -1
	s_barrier_signal -1
	s_barrier_wait -1
	s_and_saveexec_b32 s11, s2
; %bb.836:                              ;   in Loop: Header=BB130_3 Depth=1
	s_delay_alu instid0(VALU_DEP_1)
	v_xor_b32_e32 v41, 0x80000000, v41
	ds_store_b64 v52, v[40:41] offset:24992
; %bb.837:                              ;   in Loop: Header=BB130_3 Depth=1
	s_or_b32 exec_lo, exec_lo, s11
	s_wait_dscnt 0x0
	s_barrier_signal -1
	s_barrier_wait -1
	s_barrier_signal -1
	s_barrier_wait -1
	s_and_saveexec_b32 s11, s14
	s_cbranch_execz .LBB130_839
; %bb.838:                              ;   in Loop: Header=BB130_3 Depth=1
	ds_load_b128 v[40:43], v1 offset:27040
	ds_load_b64 v[80:81], v1 offset:27560
	s_wait_dscnt 0x0
	v_mul_f64_e32 v[40:41], v[40:41], v[80:81]
	s_delay_alu instid0(VALU_DEP_1)
	v_mul_f64_e32 v[40:41], v[42:43], v[40:41]
	ds_store_b64 v1, v[40:41] offset:27048
.LBB130_839:                            ;   in Loop: Header=BB130_3 Depth=1
	s_or_b32 exec_lo, exec_lo, s11
	v_mov_b64_e32 v[40:41], 0
	s_wait_dscnt 0x0
	s_barrier_signal -1
	s_barrier_wait -1
	s_and_saveexec_b32 s11, s1
	s_cbranch_execz .LBB130_843
; %bb.840:                              ;   in Loop: Header=BB130_3 Depth=1
	ds_load_b64 v[40:41], v46 offset:27056
	ds_load_b64 v[42:43], v47 offset:27040
	s_wait_dscnt 0x0
	v_fma_f64 v[40:41], v[40:41], v[42:43], 0
	s_and_saveexec_b32 s12, s15
	s_cbranch_execz .LBB130_842
; %bb.841:                              ;   in Loop: Header=BB130_3 Depth=1
	ds_load_b64 v[42:43], v48 offset:27568
	ds_load_b64 v[80:81], v1 offset:27048
	s_wait_dscnt 0x0
	v_fmac_f64_e32 v[40:41], v[42:43], v[80:81]
.LBB130_842:                            ;   in Loop: Header=BB130_3 Depth=1
	s_or_b32 exec_lo, exec_lo, s12
	s_delay_alu instid0(VALU_DEP_1)
	v_xor_b32_e32 v41, 0x80000000, v41
.LBB130_843:                            ;   in Loop: Header=BB130_3 Depth=1
	s_or_b32 exec_lo, exec_lo, s11
	s_and_saveexec_b32 s11, s102
	s_cbranch_execz .LBB130_845
; %bb.844:                              ;   in Loop: Header=BB130_3 Depth=1
	ds_load_b64 v[42:43], v1 offset:28080
	s_wait_dscnt 0x0
	v_mul_f64_e32 v[40:41], v[40:41], v[42:43]
	ds_store_b64 v3, v[40:41]
.LBB130_845:                            ;   in Loop: Header=BB130_3 Depth=1
	s_or_b32 exec_lo, exec_lo, s11
	s_wait_dscnt 0x0
	s_barrier_signal -1
	s_barrier_wait -1
	s_and_saveexec_b32 s11, s103
	s_cbranch_execz .LBB130_847
; %bb.846:                              ;   in Loop: Header=BB130_3 Depth=1
	ds_load_b64 v[42:43], v1 offset:28088
	ds_load_b64 v[80:81], v3
	s_wait_dscnt 0x0
	v_fmac_f64_e32 v[40:41], v[42:43], v[80:81]
.LBB130_847:                            ;   in Loop: Header=BB130_3 Depth=1
	s_or_b32 exec_lo, exec_lo, s11
	s_barrier_signal -1
	s_barrier_wait -1
	s_and_saveexec_b32 s11, s103
	s_cbranch_execz .LBB130_849
; %bb.848:                              ;   in Loop: Header=BB130_3 Depth=1
	ds_load_b64 v[42:43], v1 offset:28600
	s_wait_dscnt 0x0
	v_mul_f64_e32 v[40:41], v[40:41], v[42:43]
	ds_store_b64 v3, v[40:41]
.LBB130_849:                            ;   in Loop: Header=BB130_3 Depth=1
	s_or_b32 exec_lo, exec_lo, s11
	s_wait_dscnt 0x0
	s_barrier_signal -1
	s_barrier_wait -1
	s_barrier_signal -1
	s_barrier_wait -1
	s_and_saveexec_b32 s11, s1
; %bb.850:                              ;   in Loop: Header=BB130_3 Depth=1
	s_delay_alu instid0(VALU_DEP_1)
	v_xor_b32_e32 v41, 0x80000000, v41
	ds_store_b64 v46, v[40:41] offset:27056
; %bb.851:                              ;   in Loop: Header=BB130_3 Depth=1
	s_or_b32 exec_lo, exec_lo, s11
	s_wait_dscnt 0x0
	s_barrier_signal -1
	s_barrier_wait -1
	s_barrier_signal -1
	s_barrier_wait -1
	s_and_saveexec_b32 s11, s14
	s_cbranch_execz .LBB130_853
; %bb.852:                              ;   in Loop: Header=BB130_3 Depth=1
	ds_load_b128 v[40:43], v1 offset:28080
	ds_load_b64 v[80:81], v1 offset:28600
	s_wait_dscnt 0x0
	v_mul_f64_e32 v[40:41], v[40:41], v[80:81]
	s_delay_alu instid0(VALU_DEP_1)
	v_mul_f64_e32 v[40:41], v[42:43], v[40:41]
	ds_store_b64 v1, v[40:41] offset:28088
.LBB130_853:                            ;   in Loop: Header=BB130_3 Depth=1
	s_or_b32 exec_lo, exec_lo, s11
	v_mov_b64_e32 v[40:41], 0
	s_wait_dscnt 0x0
	s_barrier_signal -1
	s_barrier_wait -1
	s_and_saveexec_b32 s11, s3
	s_cbranch_execz .LBB130_863
; %bb.854:                              ;   in Loop: Header=BB130_3 Depth=1
	ds_load_b64 v[40:41], v57 offset:25024
	ds_load_b64 v[42:43], v54 offset:24960
	s_wait_dscnt 0x0
	v_fma_f64 v[40:41], v[40:41], v[42:43], 0
	s_and_saveexec_b32 s12, s18
	s_cbranch_execnz .LBB130_1079
; %bb.855:                              ;   in Loop: Header=BB130_3 Depth=1
	s_or_b32 exec_lo, exec_lo, s12
	s_and_saveexec_b32 s12, s19
	s_cbranch_execnz .LBB130_1080
.LBB130_856:                            ;   in Loop: Header=BB130_3 Depth=1
	s_or_b32 exec_lo, exec_lo, s12
	s_and_saveexec_b32 s12, s20
	s_cbranch_execnz .LBB130_1081
.LBB130_857:                            ;   in Loop: Header=BB130_3 Depth=1
	s_or_b32 exec_lo, exec_lo, s12
	s_and_saveexec_b32 s12, s21
	s_cbranch_execnz .LBB130_1082
.LBB130_858:                            ;   in Loop: Header=BB130_3 Depth=1
	s_or_b32 exec_lo, exec_lo, s12
	s_and_saveexec_b32 s12, s22
	s_cbranch_execnz .LBB130_1083
.LBB130_859:                            ;   in Loop: Header=BB130_3 Depth=1
	s_or_b32 exec_lo, exec_lo, s12
	s_and_saveexec_b32 s12, s2
	s_cbranch_execnz .LBB130_1084
.LBB130_860:                            ;   in Loop: Header=BB130_3 Depth=1
	s_or_b32 exec_lo, exec_lo, s12
	s_and_saveexec_b32 s12, s17
	s_cbranch_execz .LBB130_862
.LBB130_861:                            ;   in Loop: Header=BB130_3 Depth=1
	ds_load_b64 v[42:43], v48 offset:28608
	ds_load_b64 v[80:81], v1 offset:25016
	s_wait_dscnt 0x0
	v_fmac_f64_e32 v[40:41], v[42:43], v[80:81]
.LBB130_862:                            ;   in Loop: Header=BB130_3 Depth=1
	s_or_b32 exec_lo, exec_lo, s12
	s_delay_alu instid0(VALU_DEP_1)
	v_xor_b32_e32 v41, 0x80000000, v41
.LBB130_863:                            ;   in Loop: Header=BB130_3 Depth=1
	s_or_b32 exec_lo, exec_lo, s11
	s_and_saveexec_b32 s11, s40
	s_cbranch_execz .LBB130_865
; %bb.864:                              ;   in Loop: Header=BB130_3 Depth=1
	ds_load_b64 v[42:43], v1 offset:29120
	s_wait_dscnt 0x0
	v_mul_f64_e32 v[40:41], v[40:41], v[42:43]
	ds_store_b64 v56, v[40:41]
.LBB130_865:                            ;   in Loop: Header=BB130_3 Depth=1
	s_or_b32 exec_lo, exec_lo, s11
	s_wait_dscnt 0x0
	s_barrier_signal -1
	s_barrier_wait -1
	s_and_saveexec_b32 s11, s41
	s_cbranch_execz .LBB130_867
; %bb.866:                              ;   in Loop: Header=BB130_3 Depth=1
	ds_load_b64 v[42:43], v55 offset:29120
	ds_load_b64 v[80:81], v56
	s_wait_dscnt 0x0
	v_fmac_f64_e32 v[40:41], v[42:43], v[80:81]
.LBB130_867:                            ;   in Loop: Header=BB130_3 Depth=1
	s_or_b32 exec_lo, exec_lo, s11
	s_barrier_signal -1
	s_barrier_wait -1
	s_and_saveexec_b32 s11, s42
	s_cbranch_execz .LBB130_869
; %bb.868:                              ;   in Loop: Header=BB130_3 Depth=1
	ds_load_b64 v[42:43], v1 offset:29640
	s_wait_dscnt 0x0
	v_mul_f64_e32 v[40:41], v[40:41], v[42:43]
	ds_store_b64 v56, v[40:41]
.LBB130_869:                            ;   in Loop: Header=BB130_3 Depth=1
	s_or_b32 exec_lo, exec_lo, s11
	s_wait_dscnt 0x0
	s_barrier_signal -1
	s_barrier_wait -1
	s_and_saveexec_b32 s11, s43
	s_cbranch_execz .LBB130_871
; %bb.870:                              ;   in Loop: Header=BB130_3 Depth=1
	ds_load_b64 v[42:43], v55 offset:29632
	ds_load_b64 v[80:81], v56
	s_wait_dscnt 0x0
	v_fmac_f64_e32 v[40:41], v[42:43], v[80:81]
.LBB130_871:                            ;   in Loop: Header=BB130_3 Depth=1
	s_or_b32 exec_lo, exec_lo, s11
	s_barrier_signal -1
	s_barrier_wait -1
	;; [unrolled: 23-line block ×7, first 2 shown]
	s_and_saveexec_b32 s11, s53
	s_cbranch_execz .LBB130_893
; %bb.892:                              ;   in Loop: Header=BB130_3 Depth=1
	ds_load_b64 v[42:43], v1 offset:32760
	s_wait_dscnt 0x0
	v_mul_f64_e32 v[40:41], v[40:41], v[42:43]
	ds_store_b64 v56, v[40:41]
.LBB130_893:                            ;   in Loop: Header=BB130_3 Depth=1
	s_or_b32 exec_lo, exec_lo, s11
	s_wait_dscnt 0x0
	s_barrier_signal -1
	s_barrier_wait -1
	s_barrier_signal -1
	s_barrier_wait -1
	s_and_saveexec_b32 s11, s3
; %bb.894:                              ;   in Loop: Header=BB130_3 Depth=1
	s_delay_alu instid0(VALU_DEP_1)
	v_xor_b32_e32 v41, 0x80000000, v41
	ds_store_b64 v57, v[40:41] offset:25024
; %bb.895:                              ;   in Loop: Header=BB130_3 Depth=1
	s_or_b32 exec_lo, exec_lo, s11
	s_wait_dscnt 0x0
	s_barrier_signal -1
	s_barrier_wait -1
	s_barrier_signal -1
	s_barrier_wait -1
	s_and_saveexec_b32 s11, s14
	s_cbranch_execz .LBB130_897
; %bb.896:                              ;   in Loop: Header=BB130_3 Depth=1
	ds_load_b128 v[40:43], v1 offset:29120
	ds_load_b64 v[80:81], v1 offset:29640
	s_wait_dscnt 0x0
	v_mul_f64_e32 v[40:41], v[40:41], v[80:81]
	s_delay_alu instid0(VALU_DEP_1)
	v_mul_f64_e32 v[40:41], v[42:43], v[40:41]
	ds_store_b64 v1, v[40:41] offset:29128
.LBB130_897:                            ;   in Loop: Header=BB130_3 Depth=1
	s_or_b32 exec_lo, exec_lo, s11
	v_mov_b64_e32 v[40:41], 0
	s_wait_dscnt 0x0
	s_barrier_signal -1
	s_barrier_wait -1
	s_and_saveexec_b32 s11, s1
	s_cbranch_execz .LBB130_901
; %bb.898:                              ;   in Loop: Header=BB130_3 Depth=1
	ds_load_b64 v[40:41], v46 offset:29136
	ds_load_b64 v[42:43], v47 offset:29120
	s_wait_dscnt 0x0
	v_fma_f64 v[40:41], v[40:41], v[42:43], 0
	s_and_saveexec_b32 s12, s15
	s_cbranch_execz .LBB130_900
; %bb.899:                              ;   in Loop: Header=BB130_3 Depth=1
	ds_load_b64 v[42:43], v48 offset:29648
	ds_load_b64 v[80:81], v1 offset:29128
	s_wait_dscnt 0x0
	v_fmac_f64_e32 v[40:41], v[42:43], v[80:81]
.LBB130_900:                            ;   in Loop: Header=BB130_3 Depth=1
	s_or_b32 exec_lo, exec_lo, s12
	s_delay_alu instid0(VALU_DEP_1)
	v_xor_b32_e32 v41, 0x80000000, v41
.LBB130_901:                            ;   in Loop: Header=BB130_3 Depth=1
	s_or_b32 exec_lo, exec_lo, s11
	s_and_saveexec_b32 s11, s102
	s_cbranch_execz .LBB130_903
; %bb.902:                              ;   in Loop: Header=BB130_3 Depth=1
	ds_load_b64 v[42:43], v1 offset:30160
	s_wait_dscnt 0x0
	v_mul_f64_e32 v[40:41], v[40:41], v[42:43]
	ds_store_b64 v3, v[40:41]
.LBB130_903:                            ;   in Loop: Header=BB130_3 Depth=1
	s_or_b32 exec_lo, exec_lo, s11
	s_wait_dscnt 0x0
	s_barrier_signal -1
	s_barrier_wait -1
	s_and_saveexec_b32 s11, s103
	s_cbranch_execz .LBB130_905
; %bb.904:                              ;   in Loop: Header=BB130_3 Depth=1
	ds_load_b64 v[42:43], v1 offset:30168
	ds_load_b64 v[80:81], v3
	s_wait_dscnt 0x0
	v_fmac_f64_e32 v[40:41], v[42:43], v[80:81]
.LBB130_905:                            ;   in Loop: Header=BB130_3 Depth=1
	s_or_b32 exec_lo, exec_lo, s11
	s_barrier_signal -1
	s_barrier_wait -1
	s_and_saveexec_b32 s11, s103
	s_cbranch_execz .LBB130_907
; %bb.906:                              ;   in Loop: Header=BB130_3 Depth=1
	ds_load_b64 v[42:43], v1 offset:30680
	s_wait_dscnt 0x0
	v_mul_f64_e32 v[40:41], v[40:41], v[42:43]
	ds_store_b64 v3, v[40:41]
.LBB130_907:                            ;   in Loop: Header=BB130_3 Depth=1
	s_or_b32 exec_lo, exec_lo, s11
	s_wait_dscnt 0x0
	s_barrier_signal -1
	s_barrier_wait -1
	s_barrier_signal -1
	s_barrier_wait -1
	s_and_saveexec_b32 s11, s1
; %bb.908:                              ;   in Loop: Header=BB130_3 Depth=1
	s_delay_alu instid0(VALU_DEP_1)
	v_xor_b32_e32 v41, 0x80000000, v41
	ds_store_b64 v46, v[40:41] offset:29136
; %bb.909:                              ;   in Loop: Header=BB130_3 Depth=1
	s_or_b32 exec_lo, exec_lo, s11
	s_wait_dscnt 0x0
	s_barrier_signal -1
	s_barrier_wait -1
	s_barrier_signal -1
	s_barrier_wait -1
	s_and_saveexec_b32 s11, s14
	s_cbranch_execz .LBB130_911
; %bb.910:                              ;   in Loop: Header=BB130_3 Depth=1
	ds_load_b128 v[40:43], v1 offset:30160
	ds_load_b64 v[80:81], v1 offset:30680
	s_wait_dscnt 0x0
	v_mul_f64_e32 v[40:41], v[40:41], v[80:81]
	s_delay_alu instid0(VALU_DEP_1)
	v_mul_f64_e32 v[40:41], v[42:43], v[40:41]
	ds_store_b64 v1, v[40:41] offset:30168
.LBB130_911:                            ;   in Loop: Header=BB130_3 Depth=1
	s_or_b32 exec_lo, exec_lo, s11
	v_mov_b64_e32 v[40:41], 0
	s_wait_dscnt 0x0
	s_barrier_signal -1
	s_barrier_wait -1
	s_and_saveexec_b32 s11, s2
	s_cbranch_execz .LBB130_917
; %bb.912:                              ;   in Loop: Header=BB130_3 Depth=1
	ds_load_b64 v[40:41], v52 offset:29152
	ds_load_b64 v[42:43], v49 offset:29120
	s_wait_dscnt 0x0
	v_fma_f64 v[40:41], v[40:41], v[42:43], 0
	s_and_saveexec_b32 s12, s16
	s_cbranch_execnz .LBB130_1085
; %bb.913:                              ;   in Loop: Header=BB130_3 Depth=1
	s_or_b32 exec_lo, exec_lo, s12
	s_and_saveexec_b32 s12, s17
	s_cbranch_execnz .LBB130_1086
.LBB130_914:                            ;   in Loop: Header=BB130_3 Depth=1
	s_or_b32 exec_lo, exec_lo, s12
	s_and_saveexec_b32 s12, s1
	s_cbranch_execz .LBB130_916
.LBB130_915:                            ;   in Loop: Header=BB130_3 Depth=1
	ds_load_b64 v[42:43], v48 offset:30688
	ds_load_b64 v[80:81], v1 offset:29144
	s_wait_dscnt 0x0
	v_fmac_f64_e32 v[40:41], v[42:43], v[80:81]
.LBB130_916:                            ;   in Loop: Header=BB130_3 Depth=1
	s_or_b32 exec_lo, exec_lo, s12
	s_delay_alu instid0(VALU_DEP_1)
	v_xor_b32_e32 v41, 0x80000000, v41
.LBB130_917:                            ;   in Loop: Header=BB130_3 Depth=1
	s_or_b32 exec_lo, exec_lo, s11
	s_and_saveexec_b32 s11, s104
	s_cbranch_execz .LBB130_919
; %bb.918:                              ;   in Loop: Header=BB130_3 Depth=1
	ds_load_b64 v[42:43], v1 offset:31200
	s_wait_dscnt 0x0
	v_mul_f64_e32 v[40:41], v[40:41], v[42:43]
	ds_store_b64 v50, v[40:41]
.LBB130_919:                            ;   in Loop: Header=BB130_3 Depth=1
	s_or_b32 exec_lo, exec_lo, s11
	s_wait_dscnt 0x0
	s_barrier_signal -1
	s_barrier_wait -1
	s_and_saveexec_b32 s11, vcc_hi
	s_cbranch_execz .LBB130_921
; %bb.920:                              ;   in Loop: Header=BB130_3 Depth=1
	ds_load_b64 v[42:43], v51 offset:31200
	ds_load_b64 v[80:81], v50
	s_wait_dscnt 0x0
	v_fmac_f64_e32 v[40:41], v[42:43], v[80:81]
.LBB130_921:                            ;   in Loop: Header=BB130_3 Depth=1
	s_or_b32 exec_lo, exec_lo, s11
	s_barrier_signal -1
	s_barrier_wait -1
	s_and_saveexec_b32 s11, s36
	s_cbranch_execz .LBB130_923
; %bb.922:                              ;   in Loop: Header=BB130_3 Depth=1
	ds_load_b64 v[42:43], v1 offset:31720
	s_wait_dscnt 0x0
	v_mul_f64_e32 v[40:41], v[40:41], v[42:43]
	ds_store_b64 v50, v[40:41]
.LBB130_923:                            ;   in Loop: Header=BB130_3 Depth=1
	s_or_b32 exec_lo, exec_lo, s11
	s_wait_dscnt 0x0
	s_barrier_signal -1
	s_barrier_wait -1
	s_and_saveexec_b32 s11, s37
	s_cbranch_execz .LBB130_925
; %bb.924:                              ;   in Loop: Header=BB130_3 Depth=1
	ds_load_b64 v[42:43], v51 offset:31712
	ds_load_b64 v[80:81], v50
	s_wait_dscnt 0x0
	v_fmac_f64_e32 v[40:41], v[42:43], v[80:81]
.LBB130_925:                            ;   in Loop: Header=BB130_3 Depth=1
	s_or_b32 exec_lo, exec_lo, s11
	s_barrier_signal -1
	s_barrier_wait -1
	s_and_saveexec_b32 s11, s38
	s_cbranch_execz .LBB130_927
; %bb.926:                              ;   in Loop: Header=BB130_3 Depth=1
	ds_load_b64 v[42:43], v1 offset:32240
	s_wait_dscnt 0x0
	v_mul_f64_e32 v[40:41], v[40:41], v[42:43]
	ds_store_b64 v50, v[40:41]
.LBB130_927:                            ;   in Loop: Header=BB130_3 Depth=1
	s_or_b32 exec_lo, exec_lo, s11
	s_wait_dscnt 0x0
	s_barrier_signal -1
	s_barrier_wait -1
	s_and_saveexec_b32 s11, s39
	s_cbranch_execz .LBB130_929
; %bb.928:                              ;   in Loop: Header=BB130_3 Depth=1
	ds_load_b64 v[42:43], v1 offset:32248
	ds_load_b64 v[80:81], v50
	s_wait_dscnt 0x0
	v_fmac_f64_e32 v[40:41], v[42:43], v[80:81]
.LBB130_929:                            ;   in Loop: Header=BB130_3 Depth=1
	s_or_b32 exec_lo, exec_lo, s11
	s_barrier_signal -1
	s_barrier_wait -1
	s_and_saveexec_b32 s11, s39
	s_cbranch_execz .LBB130_931
; %bb.930:                              ;   in Loop: Header=BB130_3 Depth=1
	ds_load_b64 v[42:43], v1 offset:32760
	s_wait_dscnt 0x0
	v_mul_f64_e32 v[40:41], v[40:41], v[42:43]
	ds_store_b64 v50, v[40:41]
.LBB130_931:                            ;   in Loop: Header=BB130_3 Depth=1
	s_or_b32 exec_lo, exec_lo, s11
	s_wait_dscnt 0x0
	s_barrier_signal -1
	s_barrier_wait -1
	s_barrier_signal -1
	s_barrier_wait -1
	s_and_saveexec_b32 s11, s2
; %bb.932:                              ;   in Loop: Header=BB130_3 Depth=1
	s_delay_alu instid0(VALU_DEP_1)
	v_xor_b32_e32 v41, 0x80000000, v41
	ds_store_b64 v52, v[40:41] offset:29152
; %bb.933:                              ;   in Loop: Header=BB130_3 Depth=1
	s_or_b32 exec_lo, exec_lo, s11
	s_wait_dscnt 0x0
	s_barrier_signal -1
	s_barrier_wait -1
	s_barrier_signal -1
	s_barrier_wait -1
	s_and_saveexec_b32 s11, s14
	s_cbranch_execz .LBB130_935
; %bb.934:                              ;   in Loop: Header=BB130_3 Depth=1
	ds_load_b128 v[40:43], v1 offset:31200
	ds_load_b64 v[80:81], v1 offset:31720
	s_wait_dscnt 0x0
	v_mul_f64_e32 v[40:41], v[40:41], v[80:81]
	s_delay_alu instid0(VALU_DEP_1)
	v_mul_f64_e32 v[40:41], v[42:43], v[40:41]
	ds_store_b64 v1, v[40:41] offset:31208
.LBB130_935:                            ;   in Loop: Header=BB130_3 Depth=1
	s_or_b32 exec_lo, exec_lo, s11
	v_mov_b64_e32 v[40:41], 0
	s_wait_dscnt 0x0
	s_barrier_signal -1
	s_barrier_wait -1
	s_and_saveexec_b32 s11, s1
	s_cbranch_execz .LBB130_939
; %bb.936:                              ;   in Loop: Header=BB130_3 Depth=1
	ds_load_b64 v[40:41], v46 offset:31216
	ds_load_b64 v[42:43], v47 offset:31200
	s_wait_dscnt 0x0
	v_fma_f64 v[40:41], v[40:41], v[42:43], 0
	s_and_saveexec_b32 s12, s15
	s_cbranch_execz .LBB130_938
; %bb.937:                              ;   in Loop: Header=BB130_3 Depth=1
	ds_load_b64 v[42:43], v48 offset:31728
	ds_load_b64 v[80:81], v1 offset:31208
	s_wait_dscnt 0x0
	v_fmac_f64_e32 v[40:41], v[42:43], v[80:81]
.LBB130_938:                            ;   in Loop: Header=BB130_3 Depth=1
	s_or_b32 exec_lo, exec_lo, s12
	s_delay_alu instid0(VALU_DEP_1)
	v_xor_b32_e32 v41, 0x80000000, v41
.LBB130_939:                            ;   in Loop: Header=BB130_3 Depth=1
	s_or_b32 exec_lo, exec_lo, s11
	s_and_saveexec_b32 s11, s102
	s_cbranch_execz .LBB130_941
; %bb.940:                              ;   in Loop: Header=BB130_3 Depth=1
	ds_load_b64 v[42:43], v1 offset:32240
	s_wait_dscnt 0x0
	v_mul_f64_e32 v[40:41], v[40:41], v[42:43]
	ds_store_b64 v3, v[40:41]
.LBB130_941:                            ;   in Loop: Header=BB130_3 Depth=1
	s_or_b32 exec_lo, exec_lo, s11
	s_wait_dscnt 0x0
	s_barrier_signal -1
	s_barrier_wait -1
	s_and_saveexec_b32 s11, s103
	s_cbranch_execz .LBB130_943
; %bb.942:                              ;   in Loop: Header=BB130_3 Depth=1
	ds_load_b64 v[42:43], v1 offset:32248
	ds_load_b64 v[80:81], v3
	s_wait_dscnt 0x0
	v_fmac_f64_e32 v[40:41], v[42:43], v[80:81]
.LBB130_943:                            ;   in Loop: Header=BB130_3 Depth=1
	s_or_b32 exec_lo, exec_lo, s11
	s_barrier_signal -1
	s_barrier_wait -1
	s_and_saveexec_b32 s11, s103
	s_cbranch_execz .LBB130_945
; %bb.944:                              ;   in Loop: Header=BB130_3 Depth=1
	ds_load_b64 v[42:43], v1 offset:32760
	s_wait_dscnt 0x0
	v_mul_f64_e32 v[40:41], v[40:41], v[42:43]
	ds_store_b64 v3, v[40:41]
.LBB130_945:                            ;   in Loop: Header=BB130_3 Depth=1
	s_or_b32 exec_lo, exec_lo, s11
	s_wait_dscnt 0x0
	s_barrier_signal -1
	s_barrier_wait -1
	s_barrier_signal -1
	s_barrier_wait -1
	s_and_saveexec_b32 s11, s1
; %bb.946:                              ;   in Loop: Header=BB130_3 Depth=1
	s_delay_alu instid0(VALU_DEP_1)
	v_xor_b32_e32 v41, 0x80000000, v41
	ds_store_b64 v46, v[40:41] offset:31216
; %bb.947:                              ;   in Loop: Header=BB130_3 Depth=1
	s_or_b32 exec_lo, exec_lo, s11
	s_wait_dscnt 0x0
	s_barrier_signal -1
	s_barrier_wait -1
	s_barrier_signal -1
	s_barrier_wait -1
	s_and_saveexec_b32 s11, s14
	s_cbranch_execz .LBB130_949
; %bb.948:                              ;   in Loop: Header=BB130_3 Depth=1
	ds_load_b128 v[40:43], v1 offset:32240
	ds_load_b64 v[80:81], v1 offset:32760
	s_wait_dscnt 0x0
	v_mul_f64_e32 v[40:41], v[40:41], v[80:81]
	s_delay_alu instid0(VALU_DEP_1)
	v_mul_f64_e32 v[40:41], v[42:43], v[40:41]
	ds_store_b64 v1, v[40:41] offset:32248
.LBB130_949:                            ;   in Loop: Header=BB130_3 Depth=1
	s_or_b32 exec_lo, exec_lo, s11
.LBB130_950:                            ;   in Loop: Header=BB130_3 Depth=1
	v_add_nc_u64_e32 v[38:39], s[76:77], v[38:39]
	v_mov_b64_e32 v[40:41], 0
	s_wait_dscnt 0x0
	s_barrier_signal -1
	s_barrier_wait -1
	s_wait_xcnt 0x0
	s_and_saveexec_b32 s11, s65
	s_cbranch_execz .LBB130_952
; %bb.951:                              ;   in Loop: Header=BB130_3 Depth=1
	v_lshl_add_u64 v[40:41], v[20:21], 3, v[38:39]
	flat_load_b64 v[40:41], v[40:41]
	s_wait_loadcnt_dscnt 0x0
	v_mul_f64_e64 v[40:41], v[40:41], -v[36:37]
.LBB130_952:                            ;   in Loop: Header=BB130_3 Depth=1
	s_or_b32 exec_lo, exec_lo, s11
	s_delay_alu instid0(SALU_CYCLE_1)
	s_and_not1_b32 vcc_lo, exec_lo, s66
	s_cbranch_vccnz .LBB130_978
; %bb.953:                              ;   in Loop: Header=BB130_3 Depth=1
	v_lshl_add_u64 v[34:35], v[6:7], 3, v[34:35]
	v_mov_b32_e32 v80, -1
	s_lshl_b64 s[12:13], s[70:71], 2
	s_mov_b32 s11, 0
	s_add_nc_u64 s[94:95], s[86:87], s[12:13]
	s_branch .LBB130_956
.LBB130_954:                            ;   in Loop: Header=BB130_956 Depth=2
	s_wait_xcnt 0x0
	ds_load_b64 v[36:37], v70 offset:384
	s_wait_loadcnt_dscnt 0x0
	v_fmac_f64_e32 v[40:41], v[42:43], v[36:37]
.LBB130_955:                            ;   in Loop: Header=BB130_956 Depth=2
	s_or_b32 exec_lo, exec_lo, s12
	s_add_co_i32 s11, s11, 1
	s_delay_alu instid0(SALU_CYCLE_1)
	s_cmp_eq_u32 s11, s98
	s_cbranch_scc1 .LBB130_978
.LBB130_956:                            ;   Parent Loop BB130_3 Depth=1
                                        ; =>  This Loop Header: Depth=2
                                        ;       Child Loop BB130_958 Depth 3
	v_cmp_gt_i32_e32 vcc_lo, s11, v80
	s_and_b32 s13, s59, vcc_lo
	s_delay_alu instid0(SALU_CYCLE_1)
	s_and_saveexec_b32 s12, s13
	s_cbranch_execz .LBB130_959
; %bb.957:                              ;   in Loop: Header=BB130_956 Depth=2
	global_load_b32 v80, v1, s[94:95]
	s_wait_loadcnt 0x0
	v_cmp_le_i32_e32 vcc_lo, s11, v80
	s_cbranch_vccnz .LBB130_959
.LBB130_958:                            ;   Parent Loop BB130_3 Depth=1
                                        ;     Parent Loop BB130_956 Depth=2
                                        ; =>    This Inner Loop Header: Depth=3
	global_wb scope:SCOPE_DEV
	s_wait_storecnt 0x0
	global_inv scope:SCOPE_DEV
	global_load_b32 v80, v1, s[94:95]
	s_wait_loadcnt 0x0
	v_cmp_gt_i32_e32 vcc_lo, s11, v80
	s_cbranch_vccnz .LBB130_958
.LBB130_959:                            ;   in Loop: Header=BB130_956 Depth=2
	s_or_b32 exec_lo, exec_lo, s12
	s_lshl_b32 s69, s11, 6
	global_wb scope:SCOPE_DEV
	s_wait_storecnt 0x0
	global_inv scope:SCOPE_DEV
	s_wait_loadcnt 0x0
	s_barrier_signal -1
	s_barrier_wait -1
	s_and_saveexec_b32 s12, s60
	s_cbranch_execz .LBB130_963
; %bb.960:                              ;   in Loop: Header=BB130_956 Depth=2
	v_mov_b64_e32 v[36:37], 0
	v_or_b32_e32 v0, s69, v4
	s_mov_b32 s13, exec_lo
	s_delay_alu instid0(VALU_DEP_1)
	v_cmpx_gt_i32_e64 s97, v0
	s_cbranch_execz .LBB130_962
; %bb.961:                              ;   in Loop: Header=BB130_956 Depth=2
	v_mul_u64_e32 v[36:37], s[78:79], v[0:1]
	s_delay_alu instid0(VALU_DEP_1)
	v_lshl_add_u64 v[36:37], v[36:37], 3, v[38:39]
	flat_load_b64 v[36:37], v[36:37]
.LBB130_962:                            ;   in Loop: Header=BB130_956 Depth=2
	s_wait_xcnt 0x0
	s_or_b32 exec_lo, exec_lo, s13
	s_wait_loadcnt_dscnt 0x0
	ds_store_b64 v71, v[36:37]
.LBB130_963:                            ;   in Loop: Header=BB130_956 Depth=2
	s_or_b32 exec_lo, exec_lo, s12
	v_add_nc_u32_e32 v0, s69, v44
	v_cmp_ne_u32_e32 vcc_lo, s11, v45
	s_wait_dscnt 0x0
	s_barrier_signal -1
	s_barrier_wait -1
	v_mul_u64_e32 v[36:37], s[84:85], v[0:1]
	v_cmp_gt_i32_e64 s69, s97, v0
	v_cndmask_b32_e64 v81, 0, 1, vcc_lo
	s_and_b32 s13, s0, s69
	v_lshl_add_u64 v[36:37], v[36:37], 3, v[34:35]
	s_and_saveexec_b32 s12, s13
	s_cbranch_execz .LBB130_967
; %bb.964:                              ;   in Loop: Header=BB130_956 Depth=2
	v_mov_b64_e32 v[42:43], v[26:27]
	s_and_not1_b32 vcc_lo, exec_lo, vcc_lo
	s_cbranch_vccnz .LBB130_966
; %bb.965:                              ;   in Loop: Header=BB130_956 Depth=2
	flat_load_b64 v[42:43], v[36:37]
.LBB130_966:                            ;   in Loop: Header=BB130_956 Depth=2
	ds_load_b64 v[82:83], v70
	s_wait_loadcnt_dscnt 0x0
	v_fmac_f64_e32 v[40:41], v[42:43], v[82:83]
.LBB130_967:                            ;   in Loop: Header=BB130_956 Depth=2
	s_or_b32 exec_lo, exec_lo, s12
	v_add_nc_u32_e32 v42, 16, v0
	s_delay_alu instid0(VALU_DEP_1) | instskip(SKIP_1) | instid1(SALU_CYCLE_1)
	v_cmp_gt_i32_e32 vcc_lo, s97, v42
	s_and_b32 s13, s0, vcc_lo
	s_and_saveexec_b32 s12, s13
	s_cbranch_execz .LBB130_971
; %bb.968:                              ;   in Loop: Header=BB130_956 Depth=2
	v_cmp_ne_u32_e32 vcc_lo, 1, v81
	v_mov_b64_e32 v[42:43], v[28:29]
	s_cbranch_vccnz .LBB130_970
; %bb.969:                              ;   in Loop: Header=BB130_956 Depth=2
	v_add_nc_u64_e32 v[42:43], s[88:89], v[36:37]
	flat_load_b64 v[42:43], v[42:43]
.LBB130_970:                            ;   in Loop: Header=BB130_956 Depth=2
	ds_load_b64 v[82:83], v70 offset:128
	s_wait_loadcnt_dscnt 0x0
	v_fmac_f64_e32 v[40:41], v[42:43], v[82:83]
.LBB130_971:                            ;   in Loop: Header=BB130_956 Depth=2
	s_or_b32 exec_lo, exec_lo, s12
	v_add_nc_u32_e32 v42, 32, v0
	s_delay_alu instid0(VALU_DEP_1) | instskip(SKIP_1) | instid1(SALU_CYCLE_1)
	v_cmp_gt_i32_e32 vcc_lo, s97, v42
	s_and_b32 s13, s0, vcc_lo
	s_and_saveexec_b32 s12, s13
	s_cbranch_execz .LBB130_975
; %bb.972:                              ;   in Loop: Header=BB130_956 Depth=2
	v_cmp_ne_u32_e32 vcc_lo, 1, v81
	v_mov_b64_e32 v[42:43], v[30:31]
	s_cbranch_vccnz .LBB130_974
; %bb.973:                              ;   in Loop: Header=BB130_956 Depth=2
	v_add_nc_u64_e32 v[42:43], s[90:91], v[36:37]
	flat_load_b64 v[42:43], v[42:43]
.LBB130_974:                            ;   in Loop: Header=BB130_956 Depth=2
	ds_load_b64 v[82:83], v70 offset:256
	s_wait_loadcnt_dscnt 0x0
	v_fmac_f64_e32 v[40:41], v[42:43], v[82:83]
.LBB130_975:                            ;   in Loop: Header=BB130_956 Depth=2
	s_or_b32 exec_lo, exec_lo, s12
	v_add_nc_u32_e32 v0, 48, v0
	s_delay_alu instid0(VALU_DEP_1) | instskip(SKIP_1) | instid1(SALU_CYCLE_1)
	v_cmp_gt_i32_e32 vcc_lo, s97, v0
	s_and_b32 s13, s0, vcc_lo
	s_and_saveexec_b32 s12, s13
	s_cbranch_execz .LBB130_955
; %bb.976:                              ;   in Loop: Header=BB130_956 Depth=2
	v_cmp_ne_u32_e32 vcc_lo, 1, v81
	v_mov_b64_e32 v[42:43], v[32:33]
	s_cbranch_vccnz .LBB130_954
; %bb.977:                              ;   in Loop: Header=BB130_956 Depth=2
	v_add_nc_u64_e32 v[36:37], s[92:93], v[36:37]
	flat_load_b64 v[42:43], v[36:37]
	s_branch .LBB130_954
.LBB130_978:                            ;   in Loop: Header=BB130_3 Depth=1
	ds_store_b64 v72, v[40:41]
	s_wait_dscnt 0x0
	s_barrier_signal -1
	s_barrier_wait -1
	s_and_saveexec_b32 s11, s5
	s_cbranch_execz .LBB130_980
; %bb.979:                              ;   in Loop: Header=BB130_3 Depth=1
	ds_load_2addr_stride64_b64 v[34:37], v73 offset0:1 offset1:2
	ds_load_2addr_stride64_b64 v[80:83], v73 offset0:3 offset1:4
	s_wait_dscnt 0x1
	v_add_f64_e32 v[34:35], v[40:41], v[34:35]
	s_delay_alu instid0(VALU_DEP_1) | instskip(SKIP_1) | instid1(VALU_DEP_1)
	v_add_f64_e32 v[34:35], v[34:35], v[36:37]
	s_wait_dscnt 0x0
	v_add_f64_e32 v[34:35], v[34:35], v[80:81]
	s_delay_alu instid0(VALU_DEP_1) | instskip(SKIP_4) | instid1(VALU_DEP_1)
	v_add_f64_e32 v[80:81], v[34:35], v[82:83]
	ds_load_2addr_stride64_b64 v[34:37], v73 offset0:5 offset1:6
	ds_load_2addr_stride64_b64 v[40:43], v73 offset0:7 offset1:8
	s_wait_dscnt 0x1
	v_add_f64_e32 v[34:35], v[80:81], v[34:35]
	v_add_f64_e32 v[34:35], v[34:35], v[36:37]
	s_wait_dscnt 0x0
	s_delay_alu instid0(VALU_DEP_1) | instskip(NEXT) | instid1(VALU_DEP_1)
	v_add_f64_e32 v[34:35], v[34:35], v[40:41]
	v_add_f64_e32 v[80:81], v[34:35], v[42:43]
	ds_load_2addr_stride64_b64 v[34:37], v73 offset0:9 offset1:10
	ds_load_2addr_stride64_b64 v[40:43], v73 offset0:11 offset1:12
	s_wait_dscnt 0x1
	v_add_f64_e32 v[34:35], v[80:81], v[34:35]
	s_delay_alu instid0(VALU_DEP_1) | instskip(SKIP_1) | instid1(VALU_DEP_1)
	v_add_f64_e32 v[34:35], v[34:35], v[36:37]
	s_wait_dscnt 0x0
	v_add_f64_e32 v[34:35], v[34:35], v[40:41]
	s_delay_alu instid0(VALU_DEP_1) | instskip(SKIP_4) | instid1(VALU_DEP_1)
	v_add_f64_e32 v[40:41], v[34:35], v[42:43]
	ds_load_2addr_stride64_b64 v[34:37], v73 offset0:13 offset1:14
	ds_load_b64 v[42:43], v73 offset:7680
	s_wait_dscnt 0x1
	v_add_f64_e32 v[34:35], v[40:41], v[34:35]
	v_add_f64_e32 v[34:35], v[34:35], v[36:37]
	s_wait_dscnt 0x0
	s_delay_alu instid0(VALU_DEP_1) | instskip(NEXT) | instid1(VALU_DEP_1)
	v_add_f64_e32 v[34:35], v[34:35], v[42:43]
	v_xor_b32_e32 v0, 0x80000000, v35
	s_delay_alu instid0(VALU_DEP_2) | instskip(NEXT) | instid1(VALU_DEP_2)
	v_cndmask_b32_e64 v40, v34, 0, s58
	v_cndmask_b32_e64 v41, v0, 0, s58
.LBB130_980:                            ;   in Loop: Header=BB130_3 Depth=1
	s_or_b32 exec_lo, exec_lo, s11
	s_delay_alu instid0(SALU_CYCLE_1)
	s_and_not1_b32 vcc_lo, exec_lo, s101
	s_cbranch_vccnz .LBB130_993
; %bb.981:                              ;   in Loop: Header=BB130_3 Depth=1
	s_and_saveexec_b32 s11, s5
; %bb.982:                              ;   in Loop: Header=BB130_3 Depth=1
	ds_store_b64 v75, v[40:41]
; %bb.983:                              ;   in Loop: Header=BB130_3 Depth=1
	s_or_b32 exec_lo, exec_lo, s11
	v_mov_b64_e32 v[34:35], 0
	s_wait_dscnt 0x0
	s_barrier_signal -1
	s_barrier_wait -1
	s_mov_b32 s11, exec_lo
	v_readlane_b32 s12, v89, 28
	s_and_b32 s12, s11, s12
	s_delay_alu instid0(SALU_CYCLE_1)
	s_mov_b32 exec_lo, s12
	s_cbranch_execz .LBB130_985
; %bb.984:                              ;   in Loop: Header=BB130_3 Depth=1
	ds_load_b64 v[34:35], v74
	ds_load_b64 v[36:37], v70
	s_wait_dscnt 0x0
	v_fma_f64 v[34:35], v[34:35], v[36:37], 0
.LBB130_985:                            ;   in Loop: Header=BB130_3 Depth=1
	s_or_b32 exec_lo, exec_lo, s11
	s_delay_alu instid0(SALU_CYCLE_1) | instskip(SKIP_2) | instid1(SALU_CYCLE_1)
	s_mov_b32 s11, exec_lo
	v_readlane_b32 s12, v89, 29
	s_and_b32 s12, s11, s12
	s_mov_b32 exec_lo, s12
	s_cbranch_execz .LBB130_987
; %bb.986:                              ;   in Loop: Header=BB130_3 Depth=1
	ds_load_b64 v[36:37], v74 offset:8192
	ds_load_b64 v[42:43], v70 offset:128
	s_wait_dscnt 0x0
	v_fmac_f64_e32 v[34:35], v[36:37], v[42:43]
.LBB130_987:                            ;   in Loop: Header=BB130_3 Depth=1
	s_or_b32 exec_lo, exec_lo, s11
	s_delay_alu instid0(SALU_CYCLE_1) | instskip(SKIP_2) | instid1(SALU_CYCLE_1)
	s_mov_b32 s11, exec_lo
	v_readlane_b32 s12, v89, 30
	s_and_b32 s12, s11, s12
	s_mov_b32 exec_lo, s12
	s_cbranch_execz .LBB130_989
; %bb.988:                              ;   in Loop: Header=BB130_3 Depth=1
	ds_load_b64 v[36:37], v74 offset:16384
	ds_load_b64 v[42:43], v70 offset:256
	s_wait_dscnt 0x0
	v_fmac_f64_e32 v[34:35], v[36:37], v[42:43]
.LBB130_989:                            ;   in Loop: Header=BB130_3 Depth=1
	;; [unrolled: 13-line block ×3, first 2 shown]
	s_or_b32 exec_lo, exec_lo, s11
	s_mov_b32 s11, 0
	s_mov_b32 s69, 0
	ds_store_b64 v72, v[34:35]
	s_wait_dscnt 0x0
	s_barrier_signal -1
	s_barrier_wait -1
                                        ; implicit-def: $vgpr36_vgpr37
	s_and_saveexec_b32 s94, s5
	s_cbranch_execz .LBB130_1029
; %bb.992:                              ;   in Loop: Header=BB130_3 Depth=1
	ds_load_2addr_stride64_b64 v[80:83], v73 offset0:1 offset1:2
	ds_load_2addr_stride64_b64 v[84:87], v73 offset0:3 offset1:4
	s_mov_b32 s69, exec_lo
	s_wait_dscnt 0x1
	v_add_f64_e32 v[34:35], v[34:35], v[80:81]
	s_delay_alu instid0(VALU_DEP_1) | instskip(SKIP_1) | instid1(VALU_DEP_1)
	v_add_f64_e32 v[34:35], v[82:83], v[34:35]
	s_wait_dscnt 0x0
	v_add_f64_e32 v[34:35], v[84:85], v[34:35]
	s_delay_alu instid0(VALU_DEP_1) | instskip(SKIP_4) | instid1(VALU_DEP_1)
	v_add_f64_e32 v[42:43], v[86:87], v[34:35]
	ds_load_2addr_stride64_b64 v[34:37], v73 offset0:5 offset1:6
	ds_load_2addr_stride64_b64 v[80:83], v73 offset0:7 offset1:8
	s_wait_dscnt 0x1
	v_add_f64_e32 v[34:35], v[34:35], v[42:43]
	v_add_f64_e32 v[34:35], v[36:37], v[34:35]
	s_wait_dscnt 0x0
	s_delay_alu instid0(VALU_DEP_1) | instskip(NEXT) | instid1(VALU_DEP_1)
	v_add_f64_e32 v[34:35], v[80:81], v[34:35]
	v_add_f64_e32 v[42:43], v[82:83], v[34:35]
	ds_load_2addr_stride64_b64 v[34:37], v73 offset0:9 offset1:10
	ds_load_2addr_stride64_b64 v[80:83], v73 offset0:11 offset1:12
	s_wait_dscnt 0x1
	v_add_f64_e32 v[34:35], v[34:35], v[42:43]
	s_delay_alu instid0(VALU_DEP_1) | instskip(SKIP_1) | instid1(VALU_DEP_1)
	v_add_f64_e32 v[34:35], v[36:37], v[34:35]
	s_wait_dscnt 0x0
	v_add_f64_e32 v[34:35], v[80:81], v[34:35]
	s_delay_alu instid0(VALU_DEP_1) | instskip(SKIP_4) | instid1(VALU_DEP_1)
	v_add_f64_e32 v[42:43], v[82:83], v[34:35]
	ds_load_2addr_stride64_b64 v[34:37], v73 offset0:13 offset1:14
	ds_load_b64 v[80:81], v73 offset:7680
	s_wait_dscnt 0x1
	v_add_f64_e32 v[34:35], v[34:35], v[42:43]
	v_add_f64_e32 v[34:35], v[36:37], v[34:35]
	s_wait_dscnt 0x0
	s_delay_alu instid0(VALU_DEP_1) | instskip(SKIP_1) | instid1(SALU_CYCLE_1)
	v_add_f64_e32 v[36:37], v[80:81], v[34:35]
	s_or_b32 exec_lo, exec_lo, s94
	s_and_b32 vcc_lo, exec_lo, s11
	s_cbranch_vccnz .LBB130_994
	s_branch .LBB130_1030
.LBB130_993:                            ;   in Loop: Header=BB130_3 Depth=1
	s_mov_b32 s69, 0
                                        ; implicit-def: $vgpr36_vgpr37
	s_cbranch_execz .LBB130_1030
.LBB130_994:                            ;   in Loop: Header=BB130_3 Depth=1
	v_dual_mov_b32 v0, v2 :: v_dual_mov_b32 v34, v48
	s_mov_b32 s11, 0
	s_branch .LBB130_996
.LBB130_995:                            ;   in Loop: Header=BB130_996 Depth=2
	s_or_b32 exec_lo, exec_lo, s12
	v_add_nc_u32_e32 v34, 0x800, v34
	v_add_nc_u32_e32 v0, -4, v0
	s_add_co_i32 s11, s11, 4
	s_delay_alu instid0(SALU_CYCLE_1)
	s_cmp_lg_u32 s11, 64
	s_barrier_signal -1
	s_barrier_wait -1
	s_cbranch_scc0 .LBB130_1012
.LBB130_996:                            ;   Parent Loop BB130_3 Depth=1
                                        ; =>  This Inner Loop Header: Depth=2
	s_delay_alu instid0(VALU_DEP_1) | instskip(SKIP_1) | instid1(SALU_CYCLE_1)
	v_cmp_eq_u32_e32 vcc_lo, 0, v0
	s_and_b32 s13, s5, vcc_lo
	s_and_saveexec_b32 s12, s13
	s_cbranch_execz .LBB130_998
; %bb.997:                              ;   in Loop: Header=BB130_996 Depth=2
	ds_load_b64 v[36:37], v5
	s_wait_dscnt 0x0
	v_mul_f64_e32 v[40:41], v[40:41], v[36:37]
	ds_store_b64 v1, v[40:41] offset:41472
.LBB130_998:                            ;   in Loop: Header=BB130_996 Depth=2
	s_or_b32 exec_lo, exec_lo, s12
	v_cmp_lt_u32_e32 vcc_lo, s11, v2
	s_wait_dscnt 0x0
	s_barrier_signal -1
	s_barrier_wait -1
	s_and_b32 s13, s5, vcc_lo
	s_delay_alu instid0(SALU_CYCLE_1)
	s_and_saveexec_b32 s12, s13
	s_cbranch_execz .LBB130_1000
; %bb.999:                              ;   in Loop: Header=BB130_996 Depth=2
	ds_load_b64 v[36:37], v34
	ds_load_b64 v[42:43], v1 offset:41472
	s_wait_dscnt 0x0
	v_fmac_f64_e32 v[40:41], v[36:37], v[42:43]
.LBB130_1000:                           ;   in Loop: Header=BB130_996 Depth=2
	s_or_b32 exec_lo, exec_lo, s12
	s_or_b32 s12, s11, 1
	s_delay_alu instid0(SALU_CYCLE_1) | instskip(SKIP_3) | instid1(SALU_CYCLE_1)
	v_cmp_eq_u32_e32 vcc_lo, s12, v2
	s_barrier_signal -1
	s_barrier_wait -1
	s_and_b32 s94, s5, vcc_lo
	s_and_saveexec_b32 s13, s94
	s_cbranch_execz .LBB130_1002
; %bb.1001:                             ;   in Loop: Header=BB130_996 Depth=2
	ds_load_b64 v[36:37], v5
	s_wait_dscnt 0x0
	v_mul_f64_e32 v[40:41], v[40:41], v[36:37]
	ds_store_b64 v1, v[40:41] offset:41472
.LBB130_1002:                           ;   in Loop: Header=BB130_996 Depth=2
	s_or_b32 exec_lo, exec_lo, s13
	v_cmp_lt_u32_e32 vcc_lo, s12, v2
	s_wait_dscnt 0x0
	s_barrier_signal -1
	s_barrier_wait -1
	s_and_b32 s13, s5, vcc_lo
	s_delay_alu instid0(SALU_CYCLE_1)
	s_and_saveexec_b32 s12, s13
	s_cbranch_execz .LBB130_1004
; %bb.1003:                             ;   in Loop: Header=BB130_996 Depth=2
	ds_load_b64 v[36:37], v34 offset:512
	ds_load_b64 v[42:43], v1 offset:41472
	s_wait_dscnt 0x0
	v_fmac_f64_e32 v[40:41], v[36:37], v[42:43]
.LBB130_1004:                           ;   in Loop: Header=BB130_996 Depth=2
	s_or_b32 exec_lo, exec_lo, s12
	s_or_b32 s12, s11, 2
	s_delay_alu instid0(SALU_CYCLE_1) | instskip(SKIP_3) | instid1(SALU_CYCLE_1)
	v_cmp_eq_u32_e32 vcc_lo, s12, v2
	s_barrier_signal -1
	s_barrier_wait -1
	s_and_b32 s94, s5, vcc_lo
	s_and_saveexec_b32 s13, s94
	s_cbranch_execz .LBB130_1006
; %bb.1005:                             ;   in Loop: Header=BB130_996 Depth=2
	ds_load_b64 v[36:37], v5
	s_wait_dscnt 0x0
	v_mul_f64_e32 v[40:41], v[40:41], v[36:37]
	ds_store_b64 v1, v[40:41] offset:41472
.LBB130_1006:                           ;   in Loop: Header=BB130_996 Depth=2
	s_or_b32 exec_lo, exec_lo, s13
	v_cmp_lt_u32_e32 vcc_lo, s12, v2
	s_wait_dscnt 0x0
	s_barrier_signal -1
	s_barrier_wait -1
	s_and_b32 s13, s5, vcc_lo
	s_delay_alu instid0(SALU_CYCLE_1)
	s_and_saveexec_b32 s12, s13
	s_cbranch_execz .LBB130_1008
; %bb.1007:                             ;   in Loop: Header=BB130_996 Depth=2
	ds_load_b64 v[36:37], v34 offset:1024
	ds_load_b64 v[42:43], v1 offset:41472
	s_wait_dscnt 0x0
	v_fmac_f64_e32 v[40:41], v[36:37], v[42:43]
.LBB130_1008:                           ;   in Loop: Header=BB130_996 Depth=2
	s_or_b32 exec_lo, exec_lo, s12
	s_or_b32 s12, s11, 3
	s_delay_alu instid0(SALU_CYCLE_1) | instskip(SKIP_3) | instid1(SALU_CYCLE_1)
	v_cmp_eq_u32_e32 vcc_lo, s12, v2
	s_barrier_signal -1
	s_barrier_wait -1
	s_and_b32 s94, s5, vcc_lo
	s_and_saveexec_b32 s13, s94
	s_cbranch_execz .LBB130_1010
; %bb.1009:                             ;   in Loop: Header=BB130_996 Depth=2
	ds_load_b64 v[36:37], v5
	s_wait_dscnt 0x0
	v_mul_f64_e32 v[40:41], v[40:41], v[36:37]
	ds_store_b64 v1, v[40:41] offset:41472
.LBB130_1010:                           ;   in Loop: Header=BB130_996 Depth=2
	s_or_b32 exec_lo, exec_lo, s13
	v_cmp_lt_u32_e32 vcc_lo, s12, v2
	s_wait_dscnt 0x0
	s_barrier_signal -1
	s_barrier_wait -1
	s_and_b32 s13, s5, vcc_lo
	s_delay_alu instid0(SALU_CYCLE_1)
	s_and_saveexec_b32 s12, s13
	s_cbranch_execz .LBB130_995
; %bb.1011:                             ;   in Loop: Header=BB130_996 Depth=2
	ds_load_b64 v[36:37], v34 offset:1536
	ds_load_b64 v[42:43], v1 offset:41472
	s_wait_dscnt 0x0
	v_fmac_f64_e32 v[40:41], v[36:37], v[42:43]
	s_branch .LBB130_995
.LBB130_1012:                           ;   in Loop: Header=BB130_3 Depth=1
	s_and_b32 vcc_lo, exec_lo, s100
	s_mov_b32 s11, -1
	s_cbranch_vccz .LBB130_1014
; %bb.1013:                             ;   in Loop: Header=BB130_3 Depth=1
	s_and_not1_b32 s12, s69, exec_lo
	s_and_b32 s13, s5, exec_lo
	s_mov_b32 s11, 0
	s_or_b32 s69, s12, s13
.LBB130_1014:                           ;   in Loop: Header=BB130_3 Depth=1
	s_and_not1_b32 vcc_lo, exec_lo, s11
	s_cbranch_vccnz .LBB130_1016
; %bb.1015:                             ;   in Loop: Header=BB130_3 Depth=1
	v_readlane_b32 s12, v90, 8
	s_and_not1_b32 s11, s69, exec_lo
	s_and_b32 s12, s12, exec_lo
	s_delay_alu instid0(SALU_CYCLE_1)
	s_or_b32 s69, s11, s12
.LBB130_1016:                           ;   in Loop: Header=BB130_3 Depth=1
	v_mov_b64_e32 v[34:35], v[10:11]
	s_and_saveexec_b32 s11, s69
	s_cbranch_execnz .LBB130_1031
	s_branch .LBB130_1032
.LBB130_1017:                           ;   in Loop: Header=BB130_3 Depth=1
	s_mov_b32 s12, exec_lo
	v_readlane_b32 s13, v90, 21
	s_and_b32 s13, s12, s13
	s_delay_alu instid0(SALU_CYCLE_1)
	s_xor_b32 s12, s13, s12
	s_mov_b32 exec_lo, s13
	s_cbranch_execz .LBB130_1019
; %bb.1018:                             ;   in Loop: Header=BB130_3 Depth=1
	v_readlane_b32 s13, v88, 0
	s_and_b32 s69, s13, exec_lo
.LBB130_1019:                           ;   in Loop: Header=BB130_3 Depth=1
	s_or_saveexec_b32 s94, s12
	v_mov_b64_e32 v[40:41], 0
	s_xor_b32 exec_lo, exec_lo, s94
	s_cbranch_execz .LBB130_1021
; %bb.1020:                             ;   in Loop: Header=BB130_3 Depth=1
	v_lshl_add_u64 v[40:41], v[12:13], 3, v[34:35]
	s_or_b32 s69, s69, exec_lo
	flat_load_b64 v[40:41], v[40:41]
	s_wait_loadcnt_dscnt 0x0
	v_div_scale_f64 v[42:43], null, v[40:41], v[40:41], 1.0
	s_delay_alu instid0(VALU_DEP_1) | instskip(SKIP_1) | instid1(TRANS32_DEP_1)
	v_rcp_f64_e32 v[80:81], v[42:43]
	v_nop
	v_fma_f64 v[82:83], -v[42:43], v[80:81], 1.0
	s_delay_alu instid0(VALU_DEP_1) | instskip(NEXT) | instid1(VALU_DEP_1)
	v_fmac_f64_e32 v[80:81], v[80:81], v[82:83]
	v_fma_f64 v[82:83], -v[42:43], v[80:81], 1.0
	s_delay_alu instid0(VALU_DEP_1) | instskip(SKIP_1) | instid1(VALU_DEP_1)
	v_fmac_f64_e32 v[80:81], v[80:81], v[82:83]
	v_div_scale_f64 v[82:83], vcc_lo, 1.0, v[40:41], 1.0
	v_mul_f64_e32 v[84:85], v[82:83], v[80:81]
	s_delay_alu instid0(VALU_DEP_1) | instskip(NEXT) | instid1(VALU_DEP_1)
	v_fma_f64 v[42:43], -v[42:43], v[84:85], v[82:83]
	v_div_fmas_f64 v[42:43], v[42:43], v[80:81], v[84:85]
	s_delay_alu instid0(VALU_DEP_1)
	v_div_fixup_f64 v[40:41], v[42:43], v[40:41], 1.0
.LBB130_1021:                           ;   in Loop: Header=BB130_3 Depth=1
	s_or_b32 exec_lo, exec_lo, s94
	s_delay_alu instid0(SALU_CYCLE_1)
	s_and_b32 s69, s69, exec_lo
	s_and_not1_saveexec_b32 s11, s11
	s_cbranch_execz .LBB130_17
.LBB130_1022:                           ;   in Loop: Header=BB130_3 Depth=1
	v_lshl_add_u64 v[40:41], v[12:13], 3, v[34:35]
	s_or_b32 s69, s69, exec_lo
	flat_load_b64 v[40:41], v[40:41]
	s_wait_loadcnt_dscnt 0x0
	v_xor_b32_e32 v41, 0x80000000, v41
	s_or_b32 exec_lo, exec_lo, s11
	s_and_saveexec_b32 s11, s69
	s_cbranch_execnz .LBB130_18
	s_branch .LBB130_19
.LBB130_1023:                           ;   in Loop: Header=BB130_3 Depth=1
	s_mov_b32 s12, exec_lo
	v_readlane_b32 s13, v90, 22
	s_and_b32 s13, s12, s13
	s_delay_alu instid0(SALU_CYCLE_1)
	s_xor_b32 s12, s13, s12
	s_mov_b32 exec_lo, s13
	s_cbranch_execz .LBB130_1025
; %bb.1024:                             ;   in Loop: Header=BB130_3 Depth=1
	v_readlane_b32 s13, v88, 0
	s_and_b32 s69, s13, exec_lo
.LBB130_1025:                           ;   in Loop: Header=BB130_3 Depth=1
	s_or_saveexec_b32 s94, s12
	v_mov_b64_e32 v[40:41], 0
	s_xor_b32 exec_lo, exec_lo, s94
	s_cbranch_execz .LBB130_1027
; %bb.1026:                             ;   in Loop: Header=BB130_3 Depth=1
	v_lshl_add_u64 v[40:41], v[12:13], 3, v[34:35]
	s_or_b32 s69, s69, exec_lo
	flat_load_b64 v[40:41], v[40:41]
	s_wait_loadcnt_dscnt 0x0
	v_div_scale_f64 v[42:43], null, v[40:41], v[40:41], 1.0
	s_delay_alu instid0(VALU_DEP_1) | instskip(SKIP_1) | instid1(TRANS32_DEP_1)
	v_rcp_f64_e32 v[80:81], v[42:43]
	v_nop
	v_fma_f64 v[82:83], -v[42:43], v[80:81], 1.0
	s_delay_alu instid0(VALU_DEP_1) | instskip(NEXT) | instid1(VALU_DEP_1)
	v_fmac_f64_e32 v[80:81], v[80:81], v[82:83]
	v_fma_f64 v[82:83], -v[42:43], v[80:81], 1.0
	s_delay_alu instid0(VALU_DEP_1) | instskip(SKIP_1) | instid1(VALU_DEP_1)
	v_fmac_f64_e32 v[80:81], v[80:81], v[82:83]
	v_div_scale_f64 v[82:83], vcc_lo, 1.0, v[40:41], 1.0
	v_mul_f64_e32 v[84:85], v[82:83], v[80:81]
	s_delay_alu instid0(VALU_DEP_1) | instskip(NEXT) | instid1(VALU_DEP_1)
	v_fma_f64 v[42:43], -v[42:43], v[84:85], v[82:83]
	v_div_fmas_f64 v[42:43], v[42:43], v[80:81], v[84:85]
	s_delay_alu instid0(VALU_DEP_1)
	v_div_fixup_f64 v[40:41], v[42:43], v[40:41], 1.0
.LBB130_1027:                           ;   in Loop: Header=BB130_3 Depth=1
	s_or_b32 exec_lo, exec_lo, s94
	s_delay_alu instid0(SALU_CYCLE_1)
	s_and_b32 s69, s69, exec_lo
	s_and_not1_saveexec_b32 s11, s11
	s_cbranch_execz .LBB130_52
.LBB130_1028:                           ;   in Loop: Header=BB130_3 Depth=1
	v_lshl_add_u64 v[40:41], v[12:13], 3, v[34:35]
	s_or_b32 s69, s69, exec_lo
	flat_load_b64 v[40:41], v[40:41]
	s_wait_loadcnt_dscnt 0x0
	v_xor_b32_e32 v41, 0x80000000, v41
	s_or_b32 exec_lo, exec_lo, s11
	s_and_saveexec_b32 s11, s69
	s_cbranch_execnz .LBB130_53
	s_branch .LBB130_54
.LBB130_1029:                           ;   in Loop: Header=BB130_3 Depth=1
	s_or_b32 exec_lo, exec_lo, s94
	s_delay_alu instid0(SALU_CYCLE_1)
	s_and_b32 vcc_lo, exec_lo, s11
	s_cbranch_vccnz .LBB130_994
.LBB130_1030:                           ;   in Loop: Header=BB130_3 Depth=1
	s_delay_alu instid0(VALU_DEP_1)
	v_mov_b64_e32 v[40:41], v[36:37]
	v_mov_b64_e32 v[34:35], v[22:23]
	s_and_saveexec_b32 s11, s69
	s_cbranch_execz .LBB130_1032
.LBB130_1031:                           ;   in Loop: Header=BB130_3 Depth=1
	s_delay_alu instid0(VALU_DEP_1)
	v_lshl_add_u64 v[34:35], v[34:35], 3, v[38:39]
	flat_store_b64 v[34:35], v[40:41]
.LBB130_1032:                           ;   in Loop: Header=BB130_3 Depth=1
	s_wait_xcnt 0x0
	s_or_b32 exec_lo, exec_lo, s11
	global_wb scope:SCOPE_DEV
	s_wait_storecnt_dscnt 0x0
	global_inv scope:SCOPE_DEV
	s_wait_loadcnt 0x0
	s_barrier_signal -1
	s_barrier_wait -1
	s_and_saveexec_b32 s11, s59
	s_cbranch_execz .LBB130_2
; %bb.1033:                             ;   in Loop: Header=BB130_3 Depth=1
	s_lshl_b64 s[12:13], s[70:71], 2
	s_delay_alu instid0(SALU_CYCLE_1)
	s_add_nc_u64 s[12:13], s[86:87], s[12:13]
	global_load_b32 v0, v1, s[12:13]
	s_wait_loadcnt 0x0
	v_add_nc_u32_e32 v0, 1, v0
	global_store_b32 v1, v0, s[12:13]
	s_branch .LBB130_2
.LBB130_1034:                           ;   in Loop: Header=BB130_3 Depth=1
	ds_load_b64 v[42:43], v53 offset:544
	ds_load_b64 v[80:81], v49 offset:8
	s_wait_dscnt 0x0
	v_fmac_f64_e32 v[40:41], v[42:43], v[80:81]
	s_or_b32 exec_lo, exec_lo, s12
	s_and_saveexec_b32 s12, s17
	s_cbranch_execz .LBB130_105
.LBB130_1035:                           ;   in Loop: Header=BB130_3 Depth=1
	ds_load_b64 v[42:43], v52 offset:1056
	ds_load_b64 v[80:81], v49 offset:16
	s_wait_dscnt 0x0
	v_fmac_f64_e32 v[40:41], v[42:43], v[80:81]
	s_or_b32 exec_lo, exec_lo, s12
	s_and_saveexec_b32 s12, s1
	s_cbranch_execnz .LBB130_106
	s_branch .LBB130_107
.LBB130_1036:                           ;   in Loop: Header=BB130_3 Depth=1
	ds_load_b64 v[42:43], v58 offset:576
	ds_load_b64 v[80:81], v54 offset:8
	s_wait_dscnt 0x0
	v_fmac_f64_e32 v[40:41], v[42:43], v[80:81]
	s_or_b32 exec_lo, exec_lo, s12
	s_and_saveexec_b32 s12, s19
	s_cbranch_execz .LBB130_143
.LBB130_1037:                           ;   in Loop: Header=BB130_3 Depth=1
	ds_load_b64 v[42:43], v58 offset:1088
	ds_load_b64 v[80:81], v54 offset:16
	s_wait_dscnt 0x0
	v_fmac_f64_e32 v[40:41], v[42:43], v[80:81]
	s_or_b32 exec_lo, exec_lo, s12
	s_and_saveexec_b32 s12, s20
	s_cbranch_execz .LBB130_144
.LBB130_1038:                           ;   in Loop: Header=BB130_3 Depth=1
	ds_load_b64 v[42:43], v58 offset:1600
	ds_load_b64 v[80:81], v54 offset:24
	s_wait_dscnt 0x0
	v_fmac_f64_e32 v[40:41], v[42:43], v[80:81]
	s_or_b32 exec_lo, exec_lo, s12
	s_and_saveexec_b32 s12, s21
	s_cbranch_execz .LBB130_145
.LBB130_1039:                           ;   in Loop: Header=BB130_3 Depth=1
	ds_load_b64 v[42:43], v57 offset:2112
	ds_load_b64 v[80:81], v54 offset:32
	s_wait_dscnt 0x0
	v_fmac_f64_e32 v[40:41], v[42:43], v[80:81]
	s_or_b32 exec_lo, exec_lo, s12
	s_and_saveexec_b32 s12, s22
	s_cbranch_execz .LBB130_146
.LBB130_1040:                           ;   in Loop: Header=BB130_3 Depth=1
	ds_load_b64 v[42:43], v58 offset:2624
	ds_load_b64 v[80:81], v54 offset:40
	s_wait_dscnt 0x0
	v_fmac_f64_e32 v[40:41], v[42:43], v[80:81]
	s_or_b32 exec_lo, exec_lo, s12
	s_and_saveexec_b32 s12, s2
	s_cbranch_execz .LBB130_147
.LBB130_1041:                           ;   in Loop: Header=BB130_3 Depth=1
	ds_load_b64 v[42:43], v57 offset:3136
	ds_load_b64 v[80:81], v54 offset:48
	s_wait_dscnt 0x0
	v_fmac_f64_e32 v[40:41], v[42:43], v[80:81]
	s_or_b32 exec_lo, exec_lo, s12
	s_and_saveexec_b32 s12, s17
	s_cbranch_execnz .LBB130_148
	s_branch .LBB130_149
.LBB130_1042:                           ;   in Loop: Header=BB130_3 Depth=1
	ds_load_b64 v[42:43], v53 offset:4704
	ds_load_b64 v[80:81], v49 offset:4168
	s_wait_dscnt 0x0
	v_fmac_f64_e32 v[40:41], v[42:43], v[80:81]
	s_or_b32 exec_lo, exec_lo, s12
	s_and_saveexec_b32 s12, s17
	s_cbranch_execz .LBB130_201
.LBB130_1043:                           ;   in Loop: Header=BB130_3 Depth=1
	ds_load_b64 v[42:43], v52 offset:5216
	ds_load_b64 v[80:81], v49 offset:4176
	s_wait_dscnt 0x0
	v_fmac_f64_e32 v[40:41], v[42:43], v[80:81]
	s_or_b32 exec_lo, exec_lo, s12
	s_and_saveexec_b32 s12, s1
	s_cbranch_execnz .LBB130_202
	s_branch .LBB130_203
.LBB130_1044:                           ;   in Loop: Header=BB130_3 Depth=1
	ds_load_b64 v[42:43], v63 offset:5760
	ds_load_b64 v[80:81], v59 offset:88
	s_wait_dscnt 0x0
	v_fmac_f64_e32 v[40:41], v[42:43], v[80:81]
	s_or_b32 exec_lo, exec_lo, s11
	s_and_saveexec_b32 s11, s3
	s_cbranch_execz .LBB130_259
.LBB130_1045:                           ;   in Loop: Header=BB130_3 Depth=1
	ds_load_b64 v[42:43], v62 offset:6272
	ds_load_b64 v[80:81], v59 offset:96
	s_wait_dscnt 0x0
	v_fmac_f64_e32 v[40:41], v[42:43], v[80:81]
	s_or_b32 exec_lo, exec_lo, s11
	s_and_saveexec_b32 s11, s19
	s_cbranch_execz .LBB130_260
.LBB130_1046:                           ;   in Loop: Header=BB130_3 Depth=1
	ds_load_b64 v[42:43], v63 offset:6784
	ds_load_b64 v[80:81], v59 offset:104
	s_wait_dscnt 0x0
	v_fmac_f64_e32 v[40:41], v[42:43], v[80:81]
	s_or_b32 exec_lo, exec_lo, s11
	s_and_saveexec_b32 s11, s21
	s_cbranch_execz .LBB130_261
.LBB130_1047:                           ;   in Loop: Header=BB130_3 Depth=1
	ds_load_b64 v[42:43], v62 offset:7296
	ds_load_b64 v[80:81], v59 offset:112
	s_wait_dscnt 0x0
	v_fmac_f64_e32 v[40:41], v[42:43], v[80:81]
	s_or_b32 exec_lo, exec_lo, s11
	s_and_saveexec_b32 s11, s2
	s_cbranch_execnz .LBB130_262
	s_branch .LBB130_263
.LBB130_1048:                           ;   in Loop: Header=BB130_3 Depth=1
	ds_load_b64 v[42:43], v53 offset:8864
	ds_load_b64 v[80:81], v49 offset:8328
	s_wait_dscnt 0x0
	v_fmac_f64_e32 v[40:41], v[42:43], v[80:81]
	s_or_b32 exec_lo, exec_lo, s12
	s_and_saveexec_b32 s12, s17
	s_cbranch_execz .LBB130_347
.LBB130_1049:                           ;   in Loop: Header=BB130_3 Depth=1
	ds_load_b64 v[42:43], v52 offset:9376
	ds_load_b64 v[80:81], v49 offset:8336
	s_wait_dscnt 0x0
	v_fmac_f64_e32 v[40:41], v[42:43], v[80:81]
	s_or_b32 exec_lo, exec_lo, s12
	s_and_saveexec_b32 s12, s1
	s_cbranch_execnz .LBB130_348
	s_branch .LBB130_349
.LBB130_1050:                           ;   in Loop: Header=BB130_3 Depth=1
	ds_load_b64 v[42:43], v58 offset:8896
	ds_load_b64 v[80:81], v54 offset:8328
	s_wait_dscnt 0x0
	v_fmac_f64_e32 v[40:41], v[42:43], v[80:81]
	s_or_b32 exec_lo, exec_lo, s12
	s_and_saveexec_b32 s12, s19
	s_cbranch_execz .LBB130_385
.LBB130_1051:                           ;   in Loop: Header=BB130_3 Depth=1
	ds_load_b64 v[42:43], v58 offset:9408
	ds_load_b64 v[80:81], v54 offset:8336
	s_wait_dscnt 0x0
	v_fmac_f64_e32 v[40:41], v[42:43], v[80:81]
	s_or_b32 exec_lo, exec_lo, s12
	s_and_saveexec_b32 s12, s20
	s_cbranch_execz .LBB130_386
.LBB130_1052:                           ;   in Loop: Header=BB130_3 Depth=1
	ds_load_b64 v[42:43], v58 offset:9920
	ds_load_b64 v[80:81], v54 offset:8344
	s_wait_dscnt 0x0
	v_fmac_f64_e32 v[40:41], v[42:43], v[80:81]
	s_or_b32 exec_lo, exec_lo, s12
	s_and_saveexec_b32 s12, s21
	s_cbranch_execz .LBB130_387
.LBB130_1053:                           ;   in Loop: Header=BB130_3 Depth=1
	ds_load_b64 v[42:43], v57 offset:10432
	ds_load_b64 v[80:81], v54 offset:8352
	s_wait_dscnt 0x0
	v_fmac_f64_e32 v[40:41], v[42:43], v[80:81]
	s_or_b32 exec_lo, exec_lo, s12
	s_and_saveexec_b32 s12, s22
	s_cbranch_execz .LBB130_388
.LBB130_1054:                           ;   in Loop: Header=BB130_3 Depth=1
	ds_load_b64 v[42:43], v58 offset:10944
	ds_load_b64 v[80:81], v54 offset:8360
	s_wait_dscnt 0x0
	v_fmac_f64_e32 v[40:41], v[42:43], v[80:81]
	s_or_b32 exec_lo, exec_lo, s12
	s_and_saveexec_b32 s12, s2
	s_cbranch_execz .LBB130_389
.LBB130_1055:                           ;   in Loop: Header=BB130_3 Depth=1
	ds_load_b64 v[42:43], v57 offset:11456
	ds_load_b64 v[80:81], v54 offset:8368
	s_wait_dscnt 0x0
	v_fmac_f64_e32 v[40:41], v[42:43], v[80:81]
	s_or_b32 exec_lo, exec_lo, s12
	s_and_saveexec_b32 s12, s17
	s_cbranch_execnz .LBB130_390
	s_branch .LBB130_391
.LBB130_1056:                           ;   in Loop: Header=BB130_3 Depth=1
	ds_load_b64 v[42:43], v53 offset:13024
	ds_load_b64 v[80:81], v49 offset:12488
	s_wait_dscnt 0x0
	v_fmac_f64_e32 v[40:41], v[42:43], v[80:81]
	s_or_b32 exec_lo, exec_lo, s12
	s_and_saveexec_b32 s12, s17
	s_cbranch_execz .LBB130_443
.LBB130_1057:                           ;   in Loop: Header=BB130_3 Depth=1
	ds_load_b64 v[42:43], v52 offset:13536
	ds_load_b64 v[80:81], v49 offset:12496
	s_wait_dscnt 0x0
	v_fmac_f64_e32 v[40:41], v[42:43], v[80:81]
	s_or_b32 exec_lo, exec_lo, s12
	s_and_saveexec_b32 s12, s1
	s_cbranch_execnz .LBB130_444
	s_branch .LBB130_445
.LBB130_1058:                           ;   in Loop: Header=BB130_3 Depth=1
	ds_load_b64 v[42:43], v68 offset:13568
	ds_load_b64 v[80:81], v0 offset:208
	s_wait_dscnt 0x0
	v_fmac_f64_e32 v[40:41], v[42:43], v[80:81]
	s_or_b32 exec_lo, exec_lo, s11
	s_and_saveexec_b32 s11, s7
	s_cbranch_execz .LBB130_531
.LBB130_1059:                           ;   in Loop: Header=BB130_3 Depth=1
	ds_load_b64 v[42:43], v68 offset:14080
	ds_load_b64 v[80:81], v0 offset:216
	s_wait_dscnt 0x0
	v_fmac_f64_e32 v[40:41], v[42:43], v[80:81]
	s_or_b32 exec_lo, exec_lo, s11
	s_and_saveexec_b32 s11, s6
	s_cbranch_execz .LBB130_532
.LBB130_1060:                           ;   in Loop: Header=BB130_3 Depth=1
	ds_load_b64 v[42:43], v68 offset:14592
	ds_load_b64 v[80:81], v0 offset:224
	s_wait_dscnt 0x0
	v_fmac_f64_e32 v[40:41], v[42:43], v[80:81]
	s_or_b32 exec_lo, exec_lo, s11
	s_and_saveexec_b32 s11, s8
	s_cbranch_execz .LBB130_533
.LBB130_1061:                           ;   in Loop: Header=BB130_3 Depth=1
	ds_load_b64 v[42:43], v68 offset:15104
	ds_load_b64 v[80:81], v0 offset:232
	s_wait_dscnt 0x0
	v_fmac_f64_e32 v[40:41], v[42:43], v[80:81]
	s_or_b32 exec_lo, exec_lo, s11
	s_and_saveexec_b32 s11, s3
	s_cbranch_execz .LBB130_534
.LBB130_1062:                           ;   in Loop: Header=BB130_3 Depth=1
	ds_load_b64 v[42:43], v68 offset:15616
	ds_load_b64 v[80:81], v0 offset:240
	s_wait_dscnt 0x0
	v_fmac_f64_e32 v[40:41], v[42:43], v[80:81]
	s_or_b32 exec_lo, exec_lo, s11
	s_and_saveexec_b32 s11, s21
	s_cbranch_execnz .LBB130_535
	s_branch .LBB130_536
.LBB130_1063:                           ;   in Loop: Header=BB130_3 Depth=1
	ds_load_b64 v[42:43], v53 offset:17184
	ds_load_b64 v[80:81], v49 offset:16648
	s_wait_dscnt 0x0
	v_fmac_f64_e32 v[40:41], v[42:43], v[80:81]
	s_or_b32 exec_lo, exec_lo, s12
	s_and_saveexec_b32 s12, s17
	s_cbranch_execz .LBB130_576
.LBB130_1064:                           ;   in Loop: Header=BB130_3 Depth=1
	ds_load_b64 v[42:43], v52 offset:17696
	ds_load_b64 v[80:81], v49 offset:16656
	s_wait_dscnt 0x0
	v_fmac_f64_e32 v[40:41], v[42:43], v[80:81]
	s_or_b32 exec_lo, exec_lo, s12
	s_and_saveexec_b32 s12, s1
	s_cbranch_execnz .LBB130_577
	s_branch .LBB130_578
.LBB130_1065:                           ;   in Loop: Header=BB130_3 Depth=1
	ds_load_b64 v[42:43], v58 offset:17216
	ds_load_b64 v[80:81], v54 offset:16648
	s_wait_dscnt 0x0
	v_fmac_f64_e32 v[40:41], v[42:43], v[80:81]
	s_or_b32 exec_lo, exec_lo, s12
	s_and_saveexec_b32 s12, s19
	s_cbranch_execz .LBB130_614
.LBB130_1066:                           ;   in Loop: Header=BB130_3 Depth=1
	ds_load_b64 v[42:43], v58 offset:17728
	ds_load_b64 v[80:81], v54 offset:16656
	s_wait_dscnt 0x0
	v_fmac_f64_e32 v[40:41], v[42:43], v[80:81]
	s_or_b32 exec_lo, exec_lo, s12
	s_and_saveexec_b32 s12, s20
	s_cbranch_execz .LBB130_615
.LBB130_1067:                           ;   in Loop: Header=BB130_3 Depth=1
	ds_load_b64 v[42:43], v58 offset:18240
	ds_load_b64 v[80:81], v54 offset:16664
	s_wait_dscnt 0x0
	v_fmac_f64_e32 v[40:41], v[42:43], v[80:81]
	s_or_b32 exec_lo, exec_lo, s12
	s_and_saveexec_b32 s12, s21
	s_cbranch_execz .LBB130_616
.LBB130_1068:                           ;   in Loop: Header=BB130_3 Depth=1
	ds_load_b64 v[42:43], v57 offset:18752
	ds_load_b64 v[80:81], v54 offset:16672
	s_wait_dscnt 0x0
	v_fmac_f64_e32 v[40:41], v[42:43], v[80:81]
	s_or_b32 exec_lo, exec_lo, s12
	s_and_saveexec_b32 s12, s22
	s_cbranch_execz .LBB130_617
.LBB130_1069:                           ;   in Loop: Header=BB130_3 Depth=1
	ds_load_b64 v[42:43], v58 offset:19264
	ds_load_b64 v[80:81], v54 offset:16680
	s_wait_dscnt 0x0
	v_fmac_f64_e32 v[40:41], v[42:43], v[80:81]
	s_or_b32 exec_lo, exec_lo, s12
	s_and_saveexec_b32 s12, s2
	s_cbranch_execz .LBB130_618
.LBB130_1070:                           ;   in Loop: Header=BB130_3 Depth=1
	ds_load_b64 v[42:43], v57 offset:19776
	ds_load_b64 v[80:81], v54 offset:16688
	s_wait_dscnt 0x0
	v_fmac_f64_e32 v[40:41], v[42:43], v[80:81]
	s_or_b32 exec_lo, exec_lo, s12
	s_and_saveexec_b32 s12, s17
	s_cbranch_execnz .LBB130_619
	s_branch .LBB130_620
.LBB130_1071:                           ;   in Loop: Header=BB130_3 Depth=1
	ds_load_b64 v[42:43], v53 offset:21344
	ds_load_b64 v[80:81], v49 offset:20808
	s_wait_dscnt 0x0
	v_fmac_f64_e32 v[40:41], v[42:43], v[80:81]
	s_or_b32 exec_lo, exec_lo, s12
	s_and_saveexec_b32 s12, s17
	s_cbranch_execz .LBB130_672
.LBB130_1072:                           ;   in Loop: Header=BB130_3 Depth=1
	ds_load_b64 v[42:43], v52 offset:21856
	ds_load_b64 v[80:81], v49 offset:20816
	s_wait_dscnt 0x0
	v_fmac_f64_e32 v[40:41], v[42:43], v[80:81]
	s_or_b32 exec_lo, exec_lo, s12
	s_and_saveexec_b32 s12, s1
	s_cbranch_execnz .LBB130_673
	s_branch .LBB130_674
.LBB130_1073:                           ;   in Loop: Header=BB130_3 Depth=1
	ds_load_b64 v[42:43], v63 offset:22400
	ds_load_b64 v[80:81], v59 offset:16728
	s_wait_dscnt 0x0
	v_fmac_f64_e32 v[40:41], v[42:43], v[80:81]
	s_or_b32 exec_lo, exec_lo, s11
	s_and_saveexec_b32 s11, s3
	s_cbranch_execz .LBB130_730
.LBB130_1074:                           ;   in Loop: Header=BB130_3 Depth=1
	ds_load_b64 v[42:43], v62 offset:22912
	ds_load_b64 v[80:81], v59 offset:16736
	s_wait_dscnt 0x0
	v_fmac_f64_e32 v[40:41], v[42:43], v[80:81]
	s_or_b32 exec_lo, exec_lo, s11
	s_and_saveexec_b32 s11, s19
	s_cbranch_execz .LBB130_731
.LBB130_1075:                           ;   in Loop: Header=BB130_3 Depth=1
	ds_load_b64 v[42:43], v63 offset:23424
	ds_load_b64 v[80:81], v59 offset:16744
	s_wait_dscnt 0x0
	v_fmac_f64_e32 v[40:41], v[42:43], v[80:81]
	s_or_b32 exec_lo, exec_lo, s11
	s_and_saveexec_b32 s11, s21
	s_cbranch_execz .LBB130_732
.LBB130_1076:                           ;   in Loop: Header=BB130_3 Depth=1
	ds_load_b64 v[42:43], v62 offset:23936
	ds_load_b64 v[80:81], v59 offset:16752
	s_wait_dscnt 0x0
	v_fmac_f64_e32 v[40:41], v[42:43], v[80:81]
	s_or_b32 exec_lo, exec_lo, s11
	s_and_saveexec_b32 s11, s2
	s_cbranch_execnz .LBB130_733
	s_branch .LBB130_734
.LBB130_1077:                           ;   in Loop: Header=BB130_3 Depth=1
	ds_load_b64 v[42:43], v53 offset:25504
	ds_load_b64 v[80:81], v49 offset:24968
	s_wait_dscnt 0x0
	v_fmac_f64_e32 v[40:41], v[42:43], v[80:81]
	s_or_b32 exec_lo, exec_lo, s12
	s_and_saveexec_b32 s12, s17
	s_cbranch_execz .LBB130_818
.LBB130_1078:                           ;   in Loop: Header=BB130_3 Depth=1
	ds_load_b64 v[42:43], v52 offset:26016
	ds_load_b64 v[80:81], v49 offset:24976
	s_wait_dscnt 0x0
	v_fmac_f64_e32 v[40:41], v[42:43], v[80:81]
	s_or_b32 exec_lo, exec_lo, s12
	s_and_saveexec_b32 s12, s1
	s_cbranch_execnz .LBB130_819
	s_branch .LBB130_820
.LBB130_1079:                           ;   in Loop: Header=BB130_3 Depth=1
	ds_load_b64 v[42:43], v58 offset:25536
	ds_load_b64 v[80:81], v54 offset:24968
	s_wait_dscnt 0x0
	v_fmac_f64_e32 v[40:41], v[42:43], v[80:81]
	s_or_b32 exec_lo, exec_lo, s12
	s_and_saveexec_b32 s12, s19
	s_cbranch_execz .LBB130_856
.LBB130_1080:                           ;   in Loop: Header=BB130_3 Depth=1
	ds_load_b64 v[42:43], v58 offset:26048
	ds_load_b64 v[80:81], v54 offset:24976
	s_wait_dscnt 0x0
	v_fmac_f64_e32 v[40:41], v[42:43], v[80:81]
	s_or_b32 exec_lo, exec_lo, s12
	s_and_saveexec_b32 s12, s20
	s_cbranch_execz .LBB130_857
.LBB130_1081:                           ;   in Loop: Header=BB130_3 Depth=1
	ds_load_b64 v[42:43], v58 offset:26560
	ds_load_b64 v[80:81], v54 offset:24984
	s_wait_dscnt 0x0
	v_fmac_f64_e32 v[40:41], v[42:43], v[80:81]
	s_or_b32 exec_lo, exec_lo, s12
	s_and_saveexec_b32 s12, s21
	s_cbranch_execz .LBB130_858
.LBB130_1082:                           ;   in Loop: Header=BB130_3 Depth=1
	ds_load_b64 v[42:43], v57 offset:27072
	ds_load_b64 v[80:81], v54 offset:24992
	s_wait_dscnt 0x0
	v_fmac_f64_e32 v[40:41], v[42:43], v[80:81]
	s_or_b32 exec_lo, exec_lo, s12
	s_and_saveexec_b32 s12, s22
	s_cbranch_execz .LBB130_859
.LBB130_1083:                           ;   in Loop: Header=BB130_3 Depth=1
	ds_load_b64 v[42:43], v58 offset:27584
	ds_load_b64 v[80:81], v54 offset:25000
	s_wait_dscnt 0x0
	v_fmac_f64_e32 v[40:41], v[42:43], v[80:81]
	s_or_b32 exec_lo, exec_lo, s12
	s_and_saveexec_b32 s12, s2
	s_cbranch_execz .LBB130_860
.LBB130_1084:                           ;   in Loop: Header=BB130_3 Depth=1
	ds_load_b64 v[42:43], v57 offset:28096
	ds_load_b64 v[80:81], v54 offset:25008
	s_wait_dscnt 0x0
	v_fmac_f64_e32 v[40:41], v[42:43], v[80:81]
	s_or_b32 exec_lo, exec_lo, s12
	s_and_saveexec_b32 s12, s17
	s_cbranch_execnz .LBB130_861
	s_branch .LBB130_862
.LBB130_1085:                           ;   in Loop: Header=BB130_3 Depth=1
	ds_load_b64 v[42:43], v53 offset:29664
	ds_load_b64 v[80:81], v49 offset:29128
	s_wait_dscnt 0x0
	v_fmac_f64_e32 v[40:41], v[42:43], v[80:81]
	s_or_b32 exec_lo, exec_lo, s12
	s_and_saveexec_b32 s12, s17
	s_cbranch_execz .LBB130_914
.LBB130_1086:                           ;   in Loop: Header=BB130_3 Depth=1
	ds_load_b64 v[42:43], v52 offset:30176
	ds_load_b64 v[80:81], v49 offset:29136
	s_wait_dscnt 0x0
	v_fmac_f64_e32 v[40:41], v[42:43], v[80:81]
	s_or_b32 exec_lo, exec_lo, s12
	s_and_saveexec_b32 s12, s1
	s_cbranch_execnz .LBB130_915
	s_branch .LBB130_916
.LBB130_1087:
	s_endpgm
	.section	.rodata,"a",@progbits
	.p2align	6, 0x0
	.amdhsa_kernel _ZL19rocblas_trsv_deviceILi64ELi16ELb1ELb0ELb0ELb0EdPKdPKS1_PKPdEviT7_lllT6_T8_lllPii
		.amdhsa_group_segment_fixed_size 41480
		.amdhsa_private_segment_fixed_size 0
		.amdhsa_kernarg_size 352
		.amdhsa_user_sgpr_count 2
		.amdhsa_user_sgpr_dispatch_ptr 0
		.amdhsa_user_sgpr_queue_ptr 0
		.amdhsa_user_sgpr_kernarg_segment_ptr 1
		.amdhsa_user_sgpr_dispatch_id 0
		.amdhsa_user_sgpr_kernarg_preload_length 0
		.amdhsa_user_sgpr_kernarg_preload_offset 0
		.amdhsa_user_sgpr_private_segment_size 0
		.amdhsa_wavefront_size32 1
		.amdhsa_uses_dynamic_stack 0
		.amdhsa_enable_private_segment 0
		.amdhsa_system_sgpr_workgroup_id_x 1
		.amdhsa_system_sgpr_workgroup_id_y 0
		.amdhsa_system_sgpr_workgroup_id_z 1
		.amdhsa_system_sgpr_workgroup_info 0
		.amdhsa_system_vgpr_workitem_id 1
		.amdhsa_next_free_vgpr 91
		.amdhsa_next_free_sgpr 105
		.amdhsa_named_barrier_count 0
		.amdhsa_reserve_vcc 1
		.amdhsa_float_round_mode_32 0
		.amdhsa_float_round_mode_16_64 0
		.amdhsa_float_denorm_mode_32 3
		.amdhsa_float_denorm_mode_16_64 3
		.amdhsa_fp16_overflow 0
		.amdhsa_memory_ordered 1
		.amdhsa_forward_progress 1
		.amdhsa_inst_pref_size 243
		.amdhsa_round_robin_scheduling 0
		.amdhsa_exception_fp_ieee_invalid_op 0
		.amdhsa_exception_fp_denorm_src 0
		.amdhsa_exception_fp_ieee_div_zero 0
		.amdhsa_exception_fp_ieee_overflow 0
		.amdhsa_exception_fp_ieee_underflow 0
		.amdhsa_exception_fp_ieee_inexact 0
		.amdhsa_exception_int_div_zero 0
	.end_amdhsa_kernel
	.section	.text._ZL19rocblas_trsv_deviceILi64ELi16ELb1ELb0ELb0ELb0EdPKdPKS1_PKPdEviT7_lllT6_T8_lllPii,"axG",@progbits,_ZL19rocblas_trsv_deviceILi64ELi16ELb1ELb0ELb0ELb0EdPKdPKS1_PKPdEviT7_lllT6_T8_lllPii,comdat
.Lfunc_end130:
	.size	_ZL19rocblas_trsv_deviceILi64ELi16ELb1ELb0ELb0ELb0EdPKdPKS1_PKPdEviT7_lllT6_T8_lllPii, .Lfunc_end130-_ZL19rocblas_trsv_deviceILi64ELi16ELb1ELb0ELb0ELb0EdPKdPKS1_PKPdEviT7_lllT6_T8_lllPii
                                        ; -- End function
	.set _ZL19rocblas_trsv_deviceILi64ELi16ELb1ELb0ELb0ELb0EdPKdPKS1_PKPdEviT7_lllT6_T8_lllPii.num_vgpr, 91
	.set _ZL19rocblas_trsv_deviceILi64ELi16ELb1ELb0ELb0ELb0EdPKdPKS1_PKPdEviT7_lllT6_T8_lllPii.num_agpr, 0
	.set _ZL19rocblas_trsv_deviceILi64ELi16ELb1ELb0ELb0ELb0EdPKdPKS1_PKPdEviT7_lllT6_T8_lllPii.numbered_sgpr, 105
	.set _ZL19rocblas_trsv_deviceILi64ELi16ELb1ELb0ELb0ELb0EdPKdPKS1_PKPdEviT7_lllT6_T8_lllPii.num_named_barrier, 0
	.set _ZL19rocblas_trsv_deviceILi64ELi16ELb1ELb0ELb0ELb0EdPKdPKS1_PKPdEviT7_lllT6_T8_lllPii.private_seg_size, 0
	.set _ZL19rocblas_trsv_deviceILi64ELi16ELb1ELb0ELb0ELb0EdPKdPKS1_PKPdEviT7_lllT6_T8_lllPii.uses_vcc, 1
	.set _ZL19rocblas_trsv_deviceILi64ELi16ELb1ELb0ELb0ELb0EdPKdPKS1_PKPdEviT7_lllT6_T8_lllPii.uses_flat_scratch, 0
	.set _ZL19rocblas_trsv_deviceILi64ELi16ELb1ELb0ELb0ELb0EdPKdPKS1_PKPdEviT7_lllT6_T8_lllPii.has_dyn_sized_stack, 0
	.set _ZL19rocblas_trsv_deviceILi64ELi16ELb1ELb0ELb0ELb0EdPKdPKS1_PKPdEviT7_lllT6_T8_lllPii.has_recursion, 0
	.set _ZL19rocblas_trsv_deviceILi64ELi16ELb1ELb0ELb0ELb0EdPKdPKS1_PKPdEviT7_lllT6_T8_lllPii.has_indirect_call, 0
	.section	.AMDGPU.csdata,"",@progbits
; Kernel info:
; codeLenInByte = 31088
; TotalNumSgprs: 107
; NumVgprs: 91
; ScratchSize: 0
; MemoryBound: 0
; FloatMode: 240
; IeeeMode: 1
; LDSByteSize: 41480 bytes/workgroup (compile time only)
; SGPRBlocks: 0
; VGPRBlocks: 5
; NumSGPRsForWavesPerEU: 107
; NumVGPRsForWavesPerEU: 91
; NamedBarCnt: 0
; Occupancy: 10
; WaveLimiterHint : 1
; COMPUTE_PGM_RSRC2:SCRATCH_EN: 0
; COMPUTE_PGM_RSRC2:USER_SGPR: 2
; COMPUTE_PGM_RSRC2:TRAP_HANDLER: 0
; COMPUTE_PGM_RSRC2:TGID_X_EN: 1
; COMPUTE_PGM_RSRC2:TGID_Y_EN: 0
; COMPUTE_PGM_RSRC2:TGID_Z_EN: 1
; COMPUTE_PGM_RSRC2:TIDIG_COMP_CNT: 1
	.section	.text._ZL19rocblas_trsv_deviceILi64ELi16ELb1ELb1ELb0ELb0EdPKdPKS1_PKPdEviT7_lllT6_T8_lllPii,"axG",@progbits,_ZL19rocblas_trsv_deviceILi64ELi16ELb1ELb1ELb0ELb0EdPKdPKS1_PKPdEviT7_lllT6_T8_lllPii,comdat
	.globl	_ZL19rocblas_trsv_deviceILi64ELi16ELb1ELb1ELb0ELb0EdPKdPKS1_PKPdEviT7_lllT6_T8_lllPii ; -- Begin function _ZL19rocblas_trsv_deviceILi64ELi16ELb1ELb1ELb0ELb0EdPKdPKS1_PKPdEviT7_lllT6_T8_lllPii
	.p2align	8
	.type	_ZL19rocblas_trsv_deviceILi64ELi16ELb1ELb1ELb0ELb0EdPKdPKS1_PKPdEviT7_lllT6_T8_lllPii,@function
_ZL19rocblas_trsv_deviceILi64ELi16ELb1ELb1ELb0ELb0EdPKdPKS1_PKPdEviT7_lllT6_T8_lllPii: ; @_ZL19rocblas_trsv_deviceILi64ELi16ELb1ELb1ELb0ELb0EdPKdPKS1_PKPdEviT7_lllT6_T8_lllPii
; %bb.0:
	s_load_b32 s6, s[0:1], 0x58
	s_bfe_u32 s2, ttmp6, 0x40014
	s_lshr_b32 s3, ttmp7, 16
	s_add_co_i32 s2, s2, 1
	s_bfe_u32 s5, ttmp6, 0x40008
	s_mul_i32 s4, s3, s2
	s_getreg_b32 s2, hwreg(HW_REG_IB_STS2, 6, 4)
	s_add_co_i32 s5, s5, s4
	s_cmp_eq_u32 s2, 0
	s_mov_b32 s67, 0
	s_cselect_b32 s66, s3, s5
                                        ; implicit-def: $vgpr102 : SGPR spill to VGPR lane
	s_wait_kmcnt 0x0
	s_cmp_ge_u32 s66, s6
	v_writelane_b32 v102, s6, 0
	s_cbranch_scc1 .LBB131_1149
; %bb.1:
	s_clause 0x2
	s_load_b32 s3, s[0:1], 0x6c
	s_load_b32 s87, s[0:1], 0x60
	;; [unrolled: 1-line block ×3, first 2 shown]
	s_bfe_u32 s5, ttmp6, 0x4000c
	s_and_b32 s4, ttmp6, 15
	s_add_co_i32 s5, s5, 1
	s_clause 0x1
	s_load_b64 s[12:13], s[0:1], 0x18
	s_load_b256 s[68:75], s[0:1], 0x28
	s_mul_i32 s5, ttmp9, s5
	s_clause 0x1
	s_load_b64 s[82:83], s[0:1], 0x50
	s_load_b128 s[76:79], s[0:1], 0x8
	s_add_co_i32 s4, s4, s5
	s_cmp_eq_u32 s2, 0
	v_and_b32_e32 v2, 0x3ff, v0
	s_cselect_b32 s86, ttmp9, s4
	v_bfe_u32 v42, v0, 10, 10
	v_mov_b32_e32 v5, 0
                                        ; implicit-def: $vgpr101 : SGPR spill to VGPR lane
                                        ; implicit-def: $vgpr100 : SGPR spill to VGPR lane
	s_delay_alu instid0(VALU_DEP_3) | instskip(SKIP_1) | instid1(VALU_DEP_4)
	v_dual_lshlrev_b32 v21, 6, v2 :: v_dual_bitop2_b32 v68, 31, v0 bitop3:0x40
	v_lshlrev_b32_e32 v45, 3, v2
	v_lshl_add_u32 v30, v42, 6, v2
	s_wait_kmcnt 0x0
	s_and_b32 s0, s3, 0xffff
	s_add_co_i32 s87, s87, -1
	s_add_co_i32 s1, s80, -1
	s_ashr_i32 s81, s80, 31
	s_ashr_i32 s2, s1, 31
	s_lshr_b32 s3, s81, 26
	s_lshr_b32 s2, s2, 26
	s_add_co_i32 s3, s80, s3
	s_add_co_i32 s1, s1, s2
	s_and_not1_b32 s3, s3, 63
	s_sub_co_i32 s49, s87, s86
	s_ashr_i32 s1, s1, 6
	s_sub_co_i32 s15, s80, s3
	s_cmp_eq_u32 s1, s49
	v_dual_mov_b32 v3, v5 :: v_dual_add_nc_u32 v20, 16, v42
	s_cselect_b32 s1, -1, 0
	s_cmp_lg_u32 s15, 0
	v_cmp_gt_u32_e64 s4, 2, v2
	s_cselect_b32 s2, -1, 0
	v_add_nc_u32_e32 v12, v20, v21
	s_and_b32 s18, s2, s1
	s_add_nc_u64 s[2:3], s[12:13], 1
	s_xor_b32 s88, s18, -1
	s_cmp_lg_u32 s86, 0
	v_cmp_le_i32_e64 s14, s15, v2
	s_cselect_b32 s1, -1, 0
	s_lshl_b32 s16, s49, 6
	s_delay_alu instid0(SALU_CYCLE_1)
	v_dual_add_nc_u32 v1, v42, v21 :: v_dual_add_nc_u32 v22, s16, v42
	s_cmp_lt_i32 s86, 5
	v_mad_nc_u64_u32 v[16:17], s2, s16, v[2:3]
	s_cselect_b32 vcc_lo, -1, 0
	v_add_nc_u32_e32 v10, s16, v2
	v_dual_cndmask_b32 v23, v30, v1 :: v_dual_add_nc_u32 v6, 64, v22
	v_and_b32_e32 v1, 1, v0
	v_lshl_add_u32 v3, v20, 6, v2
	s_ashr_i32 s17, s16, 31
	s_delay_alu instid0(VALU_DEP_3)
	v_ashrrev_i32_e32 v7, 31, v6
	v_writelane_b32 v102, s1, 1
	s_or_b32 vcc_lo, vcc_lo, s18
	s_mul_i32 s1, s2, s17
	s_mul_i32 s2, s3, s16
	v_cmp_eq_u32_e64 s3, 1, v1
	v_dual_cndmask_b32 v24, v3, v12 :: v_dual_ashrrev_i32 v11, 31, v10
	v_dual_lshrrev_b32 v3, 10, v0 :: v_dual_lshrrev_b32 v12, 1, v30
	v_add3_u32 v17, s1, s2, v17
	v_lshlrev_b32_e32 v13, 3, v1
	v_cmp_gt_u32_e64 s1, 4, v30
	s_xor_b32 s2, s3, -1
	v_bitop3_b32 v31, v0, v3, 0x3ff bitop3:0xa8
	v_lshl_add_u32 v3, v12, 3, 0x8000
	v_lshl_or_b32 v43, v12, 9, v13
	v_mul_u32_u24_e32 v44, 0x208, v12
	s_and_b32 s91, s2, s1
	v_dual_lshrrev_b32 v1, 2, v30 :: v_dual_bitop2_b32 v12, 3, v0 bitop3:0x40
	v_cmp_eq_u32_e64 s2, 0, v42
	s_and_b32 s92, s3, s1
	v_cmp_gt_u32_e64 s3, 16, v30
	v_dual_lshlrev_b32 v13, 3, v1 :: v_dual_lshlrev_b32 v47, 3, v12
	v_mul_u32_u24_e32 v46, 0x208, v1
	s_and_b32 s93, s2, s4
	v_cmp_eq_u32_e64 s4, 0, v12
	v_cmp_ne_u32_e64 s5, 0, v12
	v_lshl_or_b32 v50, v1, 9, v47
	v_dual_sub_nc_u32 v14, v46, v13 :: v_dual_lshrrev_b32 v1, 3, v30
	s_and_b32 s94, s4, s3
	v_cmp_eq_u32_e64 s4, 1, v12
	v_cmp_lt_u32_e64 s6, 1, v12
	s_delay_alu instid0(VALU_DEP_3)
	v_add_nc_u32_e32 v51, v14, v47
	v_cmp_eq_u32_e64 s8, 2, v12
	s_and_b32 s95, s5, s3
	v_cmp_eq_u32_e64 s5, 3, v12
	s_and_b32 s96, s4, s3
	v_cmp_gt_u32_e64 s4, 4, v2
	v_and_b32_e32 v12, 7, v0
	s_and_b32 s97, s6, s3
	s_and_b32 s99, s5, s3
	;; [unrolled: 1-line block ×4, first 2 shown]
	v_cmp_gt_u32_e64 s4, 64, v30
	v_cmp_eq_u32_e64 s5, 0, v12
	v_cmp_ne_u32_e64 s6, 0, v12
	v_cmp_eq_u32_e64 s8, 1, v12
	v_dual_lshlrev_b32 v56, 3, v12 :: v_dual_bitop2_b32 v14, -8, v30 bitop3:0x40
	s_and_b32 s101, s5, s4
	s_and_b32 s102, s6, s4
	v_cmp_lt_u32_e64 s5, 1, v12
	v_cmp_eq_u32_e64 s6, 2, v12
	v_mul_u32_u24_e32 v55, 0x208, v1
	s_and_b32 s103, s8, s4
	v_cmp_lt_u32_e64 s8, 2, v12
	s_and_b32 s104, s5, s4
	v_cmp_lt_u32_e64 s5, 3, v12
	s_and_b32 vcc_hi, s6, s4
	v_cmp_eq_u32_e64 s6, 4, v12
	v_cmp_eq_u32_e64 s9, 3, v12
	v_sub_nc_u32_e32 v15, v55, v14
	s_and_b32 s38, s5, s4
	v_cmp_lt_u32_e64 s5, 4, v12
	s_and_b32 s39, s6, s4
	v_cmp_eq_u32_e64 s6, 6, v12
	s_and_b32 s36, s8, s4
	s_and_b32 s37, s9, s4
	v_cmp_eq_u32_e64 s8, 5, v12
	v_cmp_lt_u32_e64 s9, 5, v12
	s_and_b32 s40, s5, s4
	s_and_b32 s43, s6, s4
	v_cmp_eq_u32_e64 s5, 7, v12
	v_cmp_gt_u32_e64 s6, 8, v2
	v_and_b32_e32 v12, 15, v0
	s_and_b32 s41, s8, s4
	s_and_b32 s42, s9, s4
	;; [unrolled: 1-line block ×4, first 2 shown]
	v_cmp_gt_u32_e64 s5, 0x100, v30
	v_cmp_eq_u32_e64 s6, 0, v12
	v_cmp_ne_u32_e64 s8, 0, v12
	v_cmp_eq_u32_e64 s9, 1, v12
	v_cmp_eq_u32_e64 s10, 2, v12
	s_and_b32 s46, s14, s18
	s_and_b32 s6, s6, s5
	;; [unrolled: 1-line block ×3, first 2 shown]
	v_writelane_b32 v102, s6, 2
	v_cmp_lt_u32_e64 s6, 1, v12
	v_cmp_gt_i32_e64 s7, s15, v2
	v_dual_add_nc_u32 v26, 32, v42 :: v_dual_add_nc_u32 v27, 48, v42
	v_writelane_b32 v102, s8, 3
	s_and_b32 s8, s9, s5
	s_and_b32 s6, s6, s5
	v_cmp_lt_u32_e64 s9, 3, v12
	v_add_nc_u32_e32 v29, 0x50, v22
	v_writelane_b32 v102, s8, 4
	v_cmp_lt_u32_e64 s8, 2, v12
	s_xor_b32 s90, vcc_lo, -1
	s_and_b32 s53, s9, s5
	v_cmp_eq_u32_e64 s9, 6, v12
	v_writelane_b32 v102, s6, 5
	s_and_b32 s6, s10, s5
	s_and_b32 s8, s8, s5
	v_cmp_lt_u32_e64 s10, 4, v12
	s_and_b32 s58, s9, s5
	v_writelane_b32 v102, s6, 6
	v_cmp_eq_u32_e64 s6, 3, v12
	v_cmp_lt_u32_e64 s9, 8, v12
	s_and_b32 s55, s10, s5
	v_cmp_eq_u32_e64 s10, 7, v12
	v_writelane_b32 v102, s8, 7
	s_and_b32 s6, s6, s5
	v_cmp_eq_u32_e64 s8, 4, v12
	s_and_b32 s11, s9, s5
	s_and_b32 s62, s10, s5
	v_writelane_b32 v102, s6, 8
	v_cmp_eq_u32_e64 s6, 5, v12
	s_and_b32 s54, s8, s5
	v_cmp_lt_u32_e64 s8, 5, v12
	v_cmp_lt_u32_e64 s10, 9, v12
	v_cmp_eq_u32_e64 s9, 11, v12
	s_and_b32 s56, s6, s5
	v_cmp_lt_u32_e64 s6, 6, v12
	s_and_b32 s57, s8, s5
	v_cmp_lt_u32_e64 s8, 7, v12
	s_and_b32 s25, s10, s5
	v_cmp_eq_u32_e64 s10, 12, v12
	s_and_b32 s61, s6, s5
	v_cmp_eq_u32_e64 s6, 8, v12
	;; [unrolled: 2-line block ×3, first 2 shown]
	s_and_b32 s31, s9, s5
	s_and_b32 s24, s10, s5
	;; [unrolled: 1-line block ×3, first 2 shown]
	v_cmp_eq_u32_e64 s6, 10, v12
	s_and_b32 s23, s8, s5
	v_cmp_lt_u32_e64 s8, 10, v12
	v_cmp_lt_u32_e64 s9, 13, v12
	v_cmp_eq_u32_e64 s10, 15, v12
	s_and_b32 s27, s6, s5
	v_cmp_lt_u32_e64 s6, 11, v12
	s_and_b32 s29, s8, s5
	v_cmp_lt_u32_e64 s8, 12, v12
	s_and_b32 s30, s9, s5
	s_and_b32 s89, s10, s5
	;; [unrolled: 1-line block ×3, first 2 shown]
	v_cmp_eq_u32_e64 s6, 13, v12
	s_and_b32 s26, s8, s5
	v_cmp_eq_u32_e64 s8, 14, v12
	v_mad_u32_u24 v4, v42, s0, v2
	v_cmp_gt_i32_e64 s0, s80, v10
	s_and_b32 s28, s6, s5
	v_cmp_gt_u32_e64 s6, 16, v2
	s_and_b32 s33, s8, s5
	s_xor_b32 s8, s46, -1
	v_add_nc_u32_e32 v32, 0x60, v22
	s_and_b32 s47, s2, s8
	s_and_b32 s65, s2, s6
	v_cmp_gt_u32_e64 s6, 32, v2
	v_cmp_gt_i32_e64 s8, s80, v29
	v_lshl_add_u32 v29, v26, 6, v2
	v_add_nc_u32_e32 v49, 0x8000, v13
	v_mul_i32_i24_e32 v13, 0xfffffe08, v2
	s_and_b32 s6, s2, s6
	s_cmp_gt_i32 s86, 0
	v_writelane_b32 v102, s6, 9
	s_cselect_b32 s48, -1, 0
	s_and_b32 s7, s2, s7
	v_mul_lo_u32 v28, v13, 6
	v_mul_u32_u24_e32 v25, 0x1f8, v2
	v_writelane_b32 v102, s7, 10
	v_cmp_gt_i32_e64 s7, s80, v6
	v_add_nc_u32_e32 v22, 0x70, v22
	v_cmp_gt_i32_e64 s9, s80, v32
	v_lshl_or_b32 v59, v1, 9, v56
	v_dual_add_nc_u32 v60, v15, v56 :: v_dual_lshrrev_b32 v1, 4, v30
	s_and_b32 s7, s7, s0
	v_lshl_add_u32 v32, v27, 6, v2
	v_writelane_b32 v102, s7, 11
	s_and_b32 s7, s8, s0
	v_mad_u32 v25, v25, 7, v28
	v_dual_add_nc_u32 v28, v26, v21 :: v_dual_add_nc_u32 v21, v27, v21
	v_writelane_b32 v102, s7, 12
	v_cmp_gt_i32_e64 s10, s80, v22
	s_and_b32 s7, s9, s0
	v_dual_cndmask_b32 v21, v32, v21 :: v_dual_add_nc_u32 v58, 0x8000, v14
	v_writelane_b32 v102, s7, 13
	v_dual_lshlrev_b32 v14, 3, v1 :: v_dual_lshlrev_b32 v64, 3, v12
	v_mul_u32_u24_e32 v62, 0x208, v1
	v_cndmask_b32_e32 v22, v29, v28, vcc_lo
	s_and_b32 s7, s10, s0
	v_cmp_le_i32_e32 vcc_lo, s15, v42
	v_cmp_le_u32_e64 s6, v2, v42
	v_writelane_b32 v102, s7, 14
	v_cmp_le_i32_e64 s7, s15, v20
	v_sub_nc_u32_e32 v15, v62, v14
	s_or_b32 s8, vcc_lo, s14
	v_lshl_or_b32 v66, v1, 9, v64
	s_or_b32 s8, s8, s6
	s_or_b32 s10, s7, s14
	v_cmp_le_u32_e64 s7, v2, v20
	v_writelane_b32 v102, s8, 15
	v_dual_add_nc_u32 v67, v15, v64 :: v_dual_lshrrev_b32 v1, 5, v30
	v_cmp_le_i32_e32 vcc_lo, s15, v26
	v_cmp_le_u32_e64 s8, v2, v26
	s_or_b32 s10, s10, s7
	v_cmp_le_i32_e64 s9, s15, v27
	v_writelane_b32 v102, s10, 16
	v_mul_u64_e32 v[8:9], s[12:13], v[10:11]
	v_add_nc_u32_e32 v65, 0x8000, v14
	v_dual_lshlrev_b32 v69, 3, v1 :: v_dual_lshlrev_b32 v70, 9, v1
	v_mul_u64_e32 v[0:1], s[74:75], v[10:11]
	v_mad_nc_u64_u32 v[10:11], s12, v42, v[16:17]
	v_mad_nc_u64_u32 v[12:13], s12, v20, v[16:17]
	;; [unrolled: 1-line block ×4, first 2 shown]
	s_or_b32 s12, vcc_lo, s14
	v_cmp_ne_u32_e64 s15, v2, v27
	s_or_b32 s10, s12, s8
	v_cmp_ne_u32_e64 s12, v2, v20
	v_writelane_b32 v102, s10, 17
	s_or_b32 s10, s9, s14
	v_cmp_le_u32_e64 s9, v2, v27
	v_mad_u32 v11, s13, v42, v11
	v_mad_u32 v13, s13, v20, v13
	;; [unrolled: 1-line block ×4, first 2 shown]
	s_or_b32 s10, s10, s9
	v_cmp_ne_u32_e64 s13, v2, v26
	v_writelane_b32 v102, s10, 18
	v_cmp_ne_u32_e64 s10, v2, v42
	v_mad_u32_u24 v48, 0x1f8, v2, v45
	v_add_nc_u64_e32 v[18:19], s[16:17], v[4:5]
	v_dual_lshlrev_b32 v76, 3, v24 :: v_dual_lshlrev_b32 v78, 3, v22
	s_delay_alu instid0(VALU_DEP_4)
	v_writelane_b32 v102, s10, 19
	s_or_b32 s10, s14, s10
	v_mad_i32_i24 v52, 0xfffffe08, v2, v48
	v_dual_lshlrev_b32 v22, 3, v42 :: v_dual_lshlrev_b32 v80, 3, v21
	v_writelane_b32 v102, s10, 20
	s_or_b32 s10, s14, s12
	s_delay_alu instid0(VALU_DEP_3)
	v_mad_u32_u24 v53, 0x1f8, v2, v52
	v_mul_u64_e32 v[18:19], s[74:75], v[18:19]
	v_mul_u32_u24_e32 v83, 0x208, v68
	v_writelane_b32 v102, s12, 21
	v_lshlrev_b32_e32 v21, 9, v68
	v_mad_i32_i24 v54, 0xfffffe08, v2, v53
	v_mul_u32_u24_e32 v33, 0x1f0, v2
	v_or_b32_e32 v32, v20, v2
	v_writelane_b32 v102, s10, 22
	s_or_b32 s10, s14, s13
	v_mad_u32_u24 v57, 0x1f8, v2, v54
	v_sub_nc_u32_e32 v21, v83, v21
	v_dual_sub_nc_u32 v25, v25, v33 :: v_dual_lshlrev_b32 v75, 3, v23
	v_writelane_b32 v102, s13, 23
	s_delay_alu instid0(VALU_DEP_4)
	v_mad_i32_i24 v61, 0xfffffe08, v2, v57
	v_or_b32_e32 v81, 0xa000, v22
	v_or_b32_e32 v33, v26, v2
	;; [unrolled: 1-line block ×3, first 2 shown]
	v_writelane_b32 v102, s10, 24
	s_or_b32 s10, s14, s15
	v_mad_u32_u24 v63, 0x1f8, v2, v61
	v_add_nc_u32_e32 v92, v81, v45
	v_add_nc_u32_e32 v84, 0x4100, v21
	v_writelane_b32 v102, s15, 25
	v_cmp_lt_u32_e32 vcc_lo, 0x3ff, v30
	v_mad_i32_i24 v71, 0xfffffe08, v2, v63
	v_mov_b64_e32 v[20:21], 0
	v_add_nc_u32_e32 v85, 0x7800, v25
	v_writelane_b32 v102, s10, 26
	v_cmp_gt_u32_e64 s10, 0xf0, v30
	v_mad_u32_u24 v72, 0x1f8, v2, v71
	v_add_nc_u32_e32 v86, 0x8000, v69
	v_lshl_or_b32 v87, v68, 3, v70
	v_lshl_add_u32 v88, v4, 3, 0xa000
	v_writelane_b32 v102, s10, 27
	v_cmp_gt_u32_e64 s10, 0xe0, v30
	v_mad_i32_i24 v73, 0xfffffe08, v2, v72
	v_lshl_add_u32 v89, v30, 3, 0x8000
	v_add_nc_u32_e32 v90, 0x8000, v45
	v_subrev_nc_u32_e32 v93, 63, v2
	v_writelane_b32 v102, s10, 28
	v_cmp_gt_u32_e64 s10, 0xd0, v30
	v_mad_u32_u24 v74, 0x1f8, v2, v73
	v_lshl_add_u32 v91, v42, 9, v73
	v_cmp_eq_u32_e64 s14, 0, v31
	v_cmp_gt_u32_e64 s15, 2, v30
	v_writelane_b32 v102, s10, 29
	v_cmp_gt_u32_e64 s10, 0xc0, v30
	v_mad_i32_i24 v77, 0xfffffe08, v2, v74
	v_cmp_gt_u32_e64 s16, 12, v30
	v_cmp_gt_u32_e64 s17, 8, v30
	;; [unrolled: 1-line block ×3, first 2 shown]
	v_writelane_b32 v102, s10, 30
	v_cmp_gt_u32_e64 s10, 0xb0, v30
	v_mad_u32_u24 v79, 0x1f8, v2, v77
	v_cmp_gt_u32_e64 s19, 48, v30
	v_cmp_gt_u32_e64 s20, 40, v30
	;; [unrolled: 1-line block ×3, first 2 shown]
	v_writelane_b32 v102, s10, 31
	v_cmp_gt_u32_e64 s10, 0xa0, v30
	v_add_nc_u32_e32 v82, v79, v22
	v_cmp_gt_u32_e64 s22, 24, v30
	v_cmp_gt_u32_e64 s35, 0x400, v30
	v_cmp_eq_u32_e64 s59, 0, v4
	v_writelane_b32 v101, s10, 0
	v_cmp_gt_u32_e64 s10, 0x90, v30
	v_cmp_gt_u32_e64 s60, 64, v4
	s_add_co_i32 s49, s49, 1
	s_xor_b32 s13, vcc_lo, -1
	s_lshl_b64 s[78:79], s[78:79], 3
	v_writelane_b32 v101, s10, 1
	v_cmp_gt_u32_e64 s10, 0x80, v30
	s_lshl_b64 s[72:73], s[72:73], 3
                                        ; implicit-def: $vgpr22_vgpr23
                                        ; implicit-def: $vgpr24_vgpr25
                                        ; implicit-def: $vgpr26_vgpr27
                                        ; implicit-def: $vgpr28_vgpr29
	v_writelane_b32 v101, s10, 2
	v_cmp_gt_u32_e64 s10, 0x70, v30
	s_delay_alu instid0(VALU_DEP_1) | instskip(SKIP_1) | instid1(VALU_DEP_1)
	v_writelane_b32 v101, s10, 3
	v_cmp_gt_u32_e64 s10, 0x60, v30
	v_writelane_b32 v101, s10, 4
	v_cmp_gt_u32_e64 s10, 0x50, v30
	s_delay_alu instid0(VALU_DEP_1) | instskip(SKIP_1) | instid1(VALU_DEP_1)
	v_writelane_b32 v101, s10, 5
	v_cmp_gt_u32_e64 s10, 0x3e0, v30
	;; [unrolled: 5-line block ×15, first 2 shown]
	v_writelane_b32 v100, s10, 0
	s_branch .LBB131_3
.LBB131_2:                              ;   in Loop: Header=BB131_3 Depth=1
	s_wait_xcnt 0x0
	s_or_b32 exec_lo, exec_lo, s10
	v_readlane_b32 s10, v102, 0
	s_add_co_i32 s66, s66, 0x10000
	global_wb scope:SCOPE_DEV
	s_wait_storecnt 0x0
	global_inv scope:SCOPE_DEV
	s_cmp_lt_u32 s66, s10
	s_cbranch_scc0 .LBB131_1149
.LBB131_3:                              ; =>This Loop Header: Depth=1
                                        ;     Child Loop BB131_553 Depth 2
                                        ;     Child Loop BB131_1002 Depth 2
                                        ;       Child Loop BB131_1004 Depth 3
                                        ;     Child Loop BB131_1039 Depth 2
	v_mov_b32_e32 v32, s66
	v_readlane_b32 s10, v102, 1
	s_clause 0x1
	global_load_b64 v[30:31], v32, s[76:77] scale_offset
	global_load_b64 v[34:35], v32, s[70:71] scale_offset
	global_load_b64 v[32:33], v5, s[68:69]
	s_and_not1_b32 vcc_lo, exec_lo, s10
	s_wait_loadcnt 0x2
	v_add_nc_u64_e32 v[36:37], s[78:79], v[30:31]
	s_delay_alu instid0(VALU_DEP_1)
	v_lshl_add_u64 v[30:31], v[8:9], 3, v[36:37]
	s_cbranch_vccnz .LBB131_13
; %bb.4:                                ;   in Loop: Header=BB131_3 Depth=1
	v_mov_b64_e32 v[24:25], 0
	v_mov_b64_e32 v[22:23], 0
	s_delay_alu instid0(VALU_DEP_3)
	v_lshl_add_u64 v[38:39], v[6:7], 3, v[30:31]
	s_wait_loadcnt 0x0
	s_barrier_signal -1
	s_barrier_wait -1
	s_wait_xcnt 0x0
	s_mov_b32 s10, exec_lo
	v_readlane_b32 s12, v102, 11
	s_and_b32 s12, s10, s12
	s_delay_alu instid0(SALU_CYCLE_1)
	s_mov_b32 exec_lo, s12
	s_cbranch_execz .LBB131_6
; %bb.5:                                ;   in Loop: Header=BB131_3 Depth=1
	flat_load_b64 v[22:23], v[38:39]
.LBB131_6:                              ;   in Loop: Header=BB131_3 Depth=1
	s_wait_xcnt 0x0
	s_or_b32 exec_lo, exec_lo, s10
	s_wait_loadcnt_dscnt 0x0
	s_barrier_signal -1
	s_barrier_wait -1
	s_mov_b32 s10, exec_lo
	v_readlane_b32 s12, v102, 12
	s_and_b32 s12, s10, s12
	s_delay_alu instid0(SALU_CYCLE_1)
	s_mov_b32 exec_lo, s12
	s_cbranch_execz .LBB131_8
; %bb.7:                                ;   in Loop: Header=BB131_3 Depth=1
	flat_load_b64 v[24:25], v[38:39] offset:128
.LBB131_8:                              ;   in Loop: Header=BB131_3 Depth=1
	s_wait_xcnt 0x0
	s_or_b32 exec_lo, exec_lo, s10
	v_mov_b64_e32 v[28:29], 0
	v_mov_b64_e32 v[26:27], 0
	s_wait_loadcnt_dscnt 0x0
	s_barrier_signal -1
	s_barrier_wait -1
	s_mov_b32 s10, exec_lo
	v_readlane_b32 s12, v102, 13
	s_and_b32 s12, s10, s12
	s_delay_alu instid0(SALU_CYCLE_1)
	s_mov_b32 exec_lo, s12
	s_cbranch_execz .LBB131_10
; %bb.9:                                ;   in Loop: Header=BB131_3 Depth=1
	flat_load_b64 v[26:27], v[38:39] offset:256
.LBB131_10:                             ;   in Loop: Header=BB131_3 Depth=1
	s_wait_xcnt 0x0
	s_or_b32 exec_lo, exec_lo, s10
	s_wait_loadcnt_dscnt 0x0
	s_barrier_signal -1
	s_barrier_wait -1
	s_mov_b32 s10, exec_lo
	v_readlane_b32 s12, v102, 14
	s_and_b32 s12, s10, s12
	s_delay_alu instid0(SALU_CYCLE_1)
	s_mov_b32 exec_lo, s12
	s_cbranch_execz .LBB131_12
; %bb.11:                               ;   in Loop: Header=BB131_3 Depth=1
	flat_load_b64 v[28:29], v[38:39] offset:384
.LBB131_12:                             ;   in Loop: Header=BB131_3 Depth=1
	s_wait_xcnt 0x0
	s_or_b32 exec_lo, exec_lo, s10
.LBB131_13:                             ;   in Loop: Header=BB131_3 Depth=1
	s_delay_alu instid0(SALU_CYCLE_1)
	s_and_not1_b32 vcc_lo, exec_lo, s88
	s_mov_b32 s10, -1
	s_cbranch_vccnz .LBB131_24
; %bb.14:                               ;   in Loop: Header=BB131_3 Depth=1
	s_wait_xcnt 0x0
	s_and_saveexec_b32 s10, s6
	s_delay_alu instid0(SALU_CYCLE_1)
	s_xor_b32 s10, exec_lo, s10
	s_cbranch_execnz .LBB131_1061
; %bb.15:                               ;   in Loop: Header=BB131_3 Depth=1
	s_and_not1_saveexec_b32 s10, s10
	s_cbranch_execnz .LBB131_1068
.LBB131_16:                             ;   in Loop: Header=BB131_3 Depth=1
	s_or_b32 exec_lo, exec_lo, s10
	s_and_saveexec_b32 s10, s7
	s_delay_alu instid0(SALU_CYCLE_1)
	s_xor_b32 s10, exec_lo, s10
	s_cbranch_execnz .LBB131_1069
.LBB131_17:                             ;   in Loop: Header=BB131_3 Depth=1
	s_and_not1_saveexec_b32 s10, s10
	s_cbranch_execnz .LBB131_1076
.LBB131_18:                             ;   in Loop: Header=BB131_3 Depth=1
	s_or_b32 exec_lo, exec_lo, s10
	s_and_saveexec_b32 s10, s8
	s_delay_alu instid0(SALU_CYCLE_1)
	s_xor_b32 s10, exec_lo, s10
	s_cbranch_execnz .LBB131_1077
.LBB131_19:                             ;   in Loop: Header=BB131_3 Depth=1
	s_and_not1_saveexec_b32 s10, s10
	s_cbranch_execnz .LBB131_1084
.LBB131_20:                             ;   in Loop: Header=BB131_3 Depth=1
	s_or_b32 exec_lo, exec_lo, s10
	s_and_saveexec_b32 s10, s9
	s_delay_alu instid0(SALU_CYCLE_1)
	s_xor_b32 s10, exec_lo, s10
	s_cbranch_execnz .LBB131_1085
.LBB131_21:                             ;   in Loop: Header=BB131_3 Depth=1
	s_and_not1_saveexec_b32 s10, s10
	s_cbranch_execz .LBB131_23
.LBB131_22:                             ;   in Loop: Header=BB131_3 Depth=1
	v_lshl_add_u64 v[38:39], v[16:17], 3, v[36:37]
	flat_load_b64 v[38:39], v[38:39]
	s_wait_loadcnt_dscnt 0x0
	v_xor_b32_e32 v39, 0x80000000, v39
	ds_store_b64 v80, v[38:39]
.LBB131_23:                             ;   in Loop: Header=BB131_3 Depth=1
	s_or_b32 exec_lo, exec_lo, s10
	s_mov_b32 s10, 0
.LBB131_24:                             ;   in Loop: Header=BB131_3 Depth=1
	s_delay_alu instid0(SALU_CYCLE_1)
	s_and_b32 vcc_lo, exec_lo, s10
	s_cbranch_vccz .LBB131_66
; %bb.25:                               ;   in Loop: Header=BB131_3 Depth=1
	s_wait_xcnt 0x0
	s_mov_b32 s10, exec_lo
	v_readlane_b32 s12, v102, 15
	s_and_b32 s12, s10, s12
	s_delay_alu instid0(SALU_CYCLE_1)
	s_xor_b32 s10, s12, s10
	s_mov_b32 exec_lo, s12
	s_cbranch_execz .LBB131_33
; %bb.26:                               ;   in Loop: Header=BB131_3 Depth=1
	s_mov_b32 s12, exec_lo
	v_readlane_b32 s50, v102, 20
	s_and_b32 s50, s12, s50
	s_delay_alu instid0(SALU_CYCLE_1)
	s_xor_b32 s12, s50, s12
	s_mov_b32 exec_lo, s50
	s_cbranch_execz .LBB131_30
; %bb.27:                               ;   in Loop: Header=BB131_3 Depth=1
	s_mov_b32 s50, exec_lo
	v_readlane_b32 s51, v101, 29
	s_and_b32 s51, s50, s51
	s_delay_alu instid0(SALU_CYCLE_1)
	s_mov_b32 exec_lo, s51
; %bb.28:                               ;   in Loop: Header=BB131_3 Depth=1
	ds_store_b64 v82, v[20:21]
; %bb.29:                               ;   in Loop: Header=BB131_3 Depth=1
	s_or_b32 exec_lo, exec_lo, s50
.LBB131_30:                             ;   in Loop: Header=BB131_3 Depth=1
	s_and_not1_saveexec_b32 s12, s12
	s_cbranch_execz .LBB131_32
; %bb.31:                               ;   in Loop: Header=BB131_3 Depth=1
	v_lshl_add_u64 v[38:39], v[10:11], 3, v[36:37]
	flat_load_b64 v[38:39], v[38:39]
	s_wait_loadcnt_dscnt 0x0
	v_div_scale_f64 v[40:41], null, v[38:39], v[38:39], 1.0
	s_delay_alu instid0(VALU_DEP_1) | instskip(SKIP_1) | instid1(TRANS32_DEP_1)
	v_rcp_f64_e32 v[94:95], v[40:41]
	v_nop
	v_fma_f64 v[96:97], -v[40:41], v[94:95], 1.0
	s_delay_alu instid0(VALU_DEP_1) | instskip(NEXT) | instid1(VALU_DEP_1)
	v_fmac_f64_e32 v[94:95], v[94:95], v[96:97]
	v_fma_f64 v[96:97], -v[40:41], v[94:95], 1.0
	s_delay_alu instid0(VALU_DEP_1) | instskip(SKIP_1) | instid1(VALU_DEP_1)
	v_fmac_f64_e32 v[94:95], v[94:95], v[96:97]
	v_div_scale_f64 v[96:97], vcc_lo, 1.0, v[38:39], 1.0
	v_mul_f64_e32 v[98:99], v[96:97], v[94:95]
	s_delay_alu instid0(VALU_DEP_1) | instskip(NEXT) | instid1(VALU_DEP_1)
	v_fma_f64 v[40:41], -v[40:41], v[98:99], v[96:97]
	v_div_fmas_f64 v[40:41], v[40:41], v[94:95], v[98:99]
	s_delay_alu instid0(VALU_DEP_1)
	v_div_fixup_f64 v[38:39], v[40:41], v[38:39], 1.0
	ds_store_b64 v82, v[38:39]
.LBB131_32:                             ;   in Loop: Header=BB131_3 Depth=1
	s_or_b32 exec_lo, exec_lo, s12
.LBB131_33:                             ;   in Loop: Header=BB131_3 Depth=1
	s_and_not1_saveexec_b32 s10, s10
	s_cbranch_execz .LBB131_35
; %bb.34:                               ;   in Loop: Header=BB131_3 Depth=1
	v_lshl_add_u64 v[38:39], v[10:11], 3, v[36:37]
	flat_load_b64 v[38:39], v[38:39]
	s_wait_loadcnt_dscnt 0x0
	v_xor_b32_e32 v39, 0x80000000, v39
	ds_store_b64 v82, v[38:39]
.LBB131_35:                             ;   in Loop: Header=BB131_3 Depth=1
	s_or_b32 exec_lo, exec_lo, s10
	s_delay_alu instid0(SALU_CYCLE_1) | instskip(SKIP_2) | instid1(SALU_CYCLE_1)
	s_mov_b32 s10, exec_lo
	v_readlane_b32 s12, v102, 16
	s_and_b32 s12, s10, s12
	s_xor_b32 s10, s12, s10
	s_mov_b32 exec_lo, s12
	s_cbranch_execz .LBB131_43
; %bb.36:                               ;   in Loop: Header=BB131_3 Depth=1
	s_mov_b32 s12, exec_lo
	v_readlane_b32 s50, v102, 22
	s_and_b32 s50, s12, s50
	s_delay_alu instid0(SALU_CYCLE_1)
	s_xor_b32 s12, s50, s12
	s_mov_b32 exec_lo, s50
	s_cbranch_execz .LBB131_40
; %bb.37:                               ;   in Loop: Header=BB131_3 Depth=1
	s_mov_b32 s50, exec_lo
	v_readlane_b32 s51, v101, 30
	s_and_b32 s51, s50, s51
	s_delay_alu instid0(SALU_CYCLE_1)
	s_mov_b32 exec_lo, s51
; %bb.38:                               ;   in Loop: Header=BB131_3 Depth=1
	ds_store_b64 v76, v[20:21]
; %bb.39:                               ;   in Loop: Header=BB131_3 Depth=1
	s_or_b32 exec_lo, exec_lo, s50
.LBB131_40:                             ;   in Loop: Header=BB131_3 Depth=1
	s_and_not1_saveexec_b32 s12, s12
	s_cbranch_execz .LBB131_42
; %bb.41:                               ;   in Loop: Header=BB131_3 Depth=1
	v_lshl_add_u64 v[38:39], v[12:13], 3, v[36:37]
	flat_load_b64 v[38:39], v[38:39]
	s_wait_loadcnt_dscnt 0x0
	v_div_scale_f64 v[40:41], null, v[38:39], v[38:39], 1.0
	s_delay_alu instid0(VALU_DEP_1) | instskip(SKIP_1) | instid1(TRANS32_DEP_1)
	v_rcp_f64_e32 v[94:95], v[40:41]
	v_nop
	v_fma_f64 v[96:97], -v[40:41], v[94:95], 1.0
	s_delay_alu instid0(VALU_DEP_1) | instskip(NEXT) | instid1(VALU_DEP_1)
	v_fmac_f64_e32 v[94:95], v[94:95], v[96:97]
	v_fma_f64 v[96:97], -v[40:41], v[94:95], 1.0
	s_delay_alu instid0(VALU_DEP_1) | instskip(SKIP_1) | instid1(VALU_DEP_1)
	v_fmac_f64_e32 v[94:95], v[94:95], v[96:97]
	v_div_scale_f64 v[96:97], vcc_lo, 1.0, v[38:39], 1.0
	v_mul_f64_e32 v[98:99], v[96:97], v[94:95]
	s_delay_alu instid0(VALU_DEP_1) | instskip(NEXT) | instid1(VALU_DEP_1)
	v_fma_f64 v[40:41], -v[40:41], v[98:99], v[96:97]
	v_div_fmas_f64 v[40:41], v[40:41], v[94:95], v[98:99]
	s_delay_alu instid0(VALU_DEP_1)
	v_div_fixup_f64 v[38:39], v[40:41], v[38:39], 1.0
	ds_store_b64 v76, v[38:39]
.LBB131_42:                             ;   in Loop: Header=BB131_3 Depth=1
	s_or_b32 exec_lo, exec_lo, s12
.LBB131_43:                             ;   in Loop: Header=BB131_3 Depth=1
	s_and_not1_saveexec_b32 s10, s10
	s_cbranch_execz .LBB131_45
; %bb.44:                               ;   in Loop: Header=BB131_3 Depth=1
	v_lshl_add_u64 v[38:39], v[12:13], 3, v[36:37]
	flat_load_b64 v[38:39], v[38:39]
	s_wait_loadcnt_dscnt 0x0
	v_xor_b32_e32 v39, 0x80000000, v39
	ds_store_b64 v76, v[38:39]
.LBB131_45:                             ;   in Loop: Header=BB131_3 Depth=1
	s_or_b32 exec_lo, exec_lo, s10
	s_delay_alu instid0(SALU_CYCLE_1) | instskip(SKIP_2) | instid1(SALU_CYCLE_1)
	s_mov_b32 s10, exec_lo
	v_readlane_b32 s12, v102, 17
	s_and_b32 s12, s10, s12
	;; [unrolled: 63-line block ×3, first 2 shown]
	s_xor_b32 s10, s12, s10
	s_mov_b32 exec_lo, s12
	s_cbranch_execz .LBB131_63
; %bb.56:                               ;   in Loop: Header=BB131_3 Depth=1
	s_mov_b32 s12, exec_lo
	v_readlane_b32 s50, v102, 26
	s_and_b32 s50, s12, s50
	s_delay_alu instid0(SALU_CYCLE_1)
	s_xor_b32 s12, s50, s12
	s_mov_b32 exec_lo, s50
	s_cbranch_execz .LBB131_60
; %bb.57:                               ;   in Loop: Header=BB131_3 Depth=1
	s_mov_b32 s50, exec_lo
	v_readlane_b32 s51, v100, 0
	s_and_b32 s51, s50, s51
	s_delay_alu instid0(SALU_CYCLE_1)
	s_mov_b32 exec_lo, s51
; %bb.58:                               ;   in Loop: Header=BB131_3 Depth=1
	ds_store_b64 v80, v[20:21]
; %bb.59:                               ;   in Loop: Header=BB131_3 Depth=1
	s_or_b32 exec_lo, exec_lo, s50
                                        ; implicit-def: $vgpr36_vgpr37
.LBB131_60:                             ;   in Loop: Header=BB131_3 Depth=1
	s_and_not1_saveexec_b32 s12, s12
	s_cbranch_execz .LBB131_62
; %bb.61:                               ;   in Loop: Header=BB131_3 Depth=1
	v_lshl_add_u64 v[36:37], v[16:17], 3, v[36:37]
	flat_load_b64 v[36:37], v[36:37]
	s_wait_loadcnt_dscnt 0x0
	v_div_scale_f64 v[38:39], null, v[36:37], v[36:37], 1.0
	s_delay_alu instid0(VALU_DEP_1) | instskip(SKIP_1) | instid1(TRANS32_DEP_1)
	v_rcp_f64_e32 v[40:41], v[38:39]
	v_nop
	v_fma_f64 v[94:95], -v[38:39], v[40:41], 1.0
	s_delay_alu instid0(VALU_DEP_1) | instskip(NEXT) | instid1(VALU_DEP_1)
	v_fmac_f64_e32 v[40:41], v[40:41], v[94:95]
	v_fma_f64 v[94:95], -v[38:39], v[40:41], 1.0
	s_delay_alu instid0(VALU_DEP_1) | instskip(SKIP_1) | instid1(VALU_DEP_1)
	v_fmac_f64_e32 v[40:41], v[40:41], v[94:95]
	v_div_scale_f64 v[94:95], vcc_lo, 1.0, v[36:37], 1.0
	v_mul_f64_e32 v[96:97], v[94:95], v[40:41]
	s_delay_alu instid0(VALU_DEP_1) | instskip(NEXT) | instid1(VALU_DEP_1)
	v_fma_f64 v[38:39], -v[38:39], v[96:97], v[94:95]
	v_div_fmas_f64 v[38:39], v[38:39], v[40:41], v[96:97]
	s_delay_alu instid0(VALU_DEP_1)
	v_div_fixup_f64 v[36:37], v[38:39], v[36:37], 1.0
	ds_store_b64 v80, v[36:37]
.LBB131_62:                             ;   in Loop: Header=BB131_3 Depth=1
	s_or_b32 exec_lo, exec_lo, s12
                                        ; implicit-def: $vgpr36_vgpr37
.LBB131_63:                             ;   in Loop: Header=BB131_3 Depth=1
	s_and_not1_saveexec_b32 s10, s10
	s_cbranch_execz .LBB131_65
; %bb.64:                               ;   in Loop: Header=BB131_3 Depth=1
	v_lshl_add_u64 v[36:37], v[16:17], 3, v[36:37]
	flat_load_b64 v[36:37], v[36:37]
	s_wait_loadcnt_dscnt 0x0
	v_xor_b32_e32 v37, 0x80000000, v37
	ds_store_b64 v80, v[36:37]
.LBB131_65:                             ;   in Loop: Header=BB131_3 Depth=1
	s_or_b32 exec_lo, exec_lo, s10
.LBB131_66:                             ;   in Loop: Header=BB131_3 Depth=1
	s_delay_alu instid0(SALU_CYCLE_1)
	s_and_not1_b32 vcc_lo, exec_lo, s90
	s_wait_loadcnt_dscnt 0x0
	s_barrier_signal -1
	s_barrier_wait -1
	s_cbranch_vccnz .LBB131_996
; %bb.67:                               ;   in Loop: Header=BB131_3 Depth=1
	s_and_saveexec_b32 s10, s14
	s_cbranch_execz .LBB131_69
; %bb.68:                               ;   in Loop: Header=BB131_3 Depth=1
	ds_load_b128 v[36:39], v5
	ds_load_b64 v[40:41], v5 offset:520
	s_wait_dscnt 0x0
	v_mul_f64_e32 v[36:37], v[36:37], v[40:41]
	s_delay_alu instid0(VALU_DEP_1)
	v_mul_f64_e32 v[36:37], v[38:39], v[36:37]
	ds_store_2addr_b64 v5, v[36:37], v[36:37] offset0:1 offset1:64
.LBB131_69:                             ;   in Loop: Header=BB131_3 Depth=1
	s_or_b32 exec_lo, exec_lo, s10
	v_mov_b64_e32 v[36:37], 0
	s_wait_dscnt 0x0
	s_barrier_signal -1
	s_barrier_wait -1
	s_and_saveexec_b32 s10, s1
	s_cbranch_execz .LBB131_73
; %bb.70:                               ;   in Loop: Header=BB131_3 Depth=1
	ds_load_b64 v[36:37], v43 offset:16
	ds_load_b64 v[38:39], v44
	s_wait_dscnt 0x0
	v_fma_f64 v[36:37], v[36:37], v[38:39], 0
	s_and_saveexec_b32 s12, s15
	s_cbranch_execz .LBB131_72
; %bb.71:                               ;   in Loop: Header=BB131_3 Depth=1
	ds_load_b64 v[38:39], v45 offset:528
	ds_load_b64 v[40:41], v5 offset:8
	s_wait_dscnt 0x0
	v_fmac_f64_e32 v[36:37], v[38:39], v[40:41]
.LBB131_72:                             ;   in Loop: Header=BB131_3 Depth=1
	s_or_b32 exec_lo, exec_lo, s12
	s_delay_alu instid0(VALU_DEP_1)
	v_xor_b32_e32 v37, 0x80000000, v37
.LBB131_73:                             ;   in Loop: Header=BB131_3 Depth=1
	s_or_b32 exec_lo, exec_lo, s10
	s_and_saveexec_b32 s10, s91
	s_cbranch_execz .LBB131_75
; %bb.74:                               ;   in Loop: Header=BB131_3 Depth=1
	ds_load_b64 v[38:39], v5 offset:1040
	s_wait_dscnt 0x0
	v_mul_f64_e32 v[36:37], v[36:37], v[38:39]
	ds_store_b64 v3, v[36:37]
.LBB131_75:                             ;   in Loop: Header=BB131_3 Depth=1
	s_or_b32 exec_lo, exec_lo, s10
	s_wait_dscnt 0x0
	s_barrier_signal -1
	s_barrier_wait -1
	s_and_saveexec_b32 s10, s92
	s_cbranch_execz .LBB131_77
; %bb.76:                               ;   in Loop: Header=BB131_3 Depth=1
	ds_load_b64 v[38:39], v5 offset:1048
	ds_load_b64 v[40:41], v3
	s_wait_dscnt 0x0
	v_fmac_f64_e32 v[36:37], v[38:39], v[40:41]
.LBB131_77:                             ;   in Loop: Header=BB131_3 Depth=1
	s_or_b32 exec_lo, exec_lo, s10
	s_barrier_signal -1
	s_barrier_wait -1
	s_and_saveexec_b32 s10, s92
	s_cbranch_execz .LBB131_79
; %bb.78:                               ;   in Loop: Header=BB131_3 Depth=1
	ds_load_b64 v[38:39], v5 offset:1560
	s_wait_dscnt 0x0
	v_mul_f64_e32 v[36:37], v[36:37], v[38:39]
	ds_store_b64 v3, v[36:37]
.LBB131_79:                             ;   in Loop: Header=BB131_3 Depth=1
	s_or_b32 exec_lo, exec_lo, s10
	s_wait_dscnt 0x0
	s_barrier_signal -1
	s_barrier_wait -1
	s_barrier_signal -1
	s_barrier_wait -1
	s_and_saveexec_b32 s10, s1
; %bb.80:                               ;   in Loop: Header=BB131_3 Depth=1
	s_delay_alu instid0(VALU_DEP_1)
	v_xor_b32_e32 v37, 0x80000000, v37
	ds_store_b64 v43, v[36:37] offset:16
; %bb.81:                               ;   in Loop: Header=BB131_3 Depth=1
	s_or_b32 exec_lo, exec_lo, s10
	s_wait_dscnt 0x0
	s_barrier_signal -1
	s_barrier_wait -1
	s_barrier_signal -1
	s_barrier_wait -1
	s_and_saveexec_b32 s10, s93
	s_cbranch_execz .LBB131_83
; %bb.82:                               ;   in Loop: Header=BB131_3 Depth=1
	ds_load_b64 v[36:37], v48 offset:16
	s_wait_dscnt 0x0
	ds_store_b64 v45, v[36:37] offset:1024
	ds_load_b64 v[36:37], v48 offset:24
	s_wait_dscnt 0x0
	ds_store_b64 v45, v[36:37] offset:1536
.LBB131_83:                             ;   in Loop: Header=BB131_3 Depth=1
	s_or_b32 exec_lo, exec_lo, s10
	s_wait_dscnt 0x0
	s_barrier_signal -1
	s_barrier_wait -1
	s_and_saveexec_b32 s10, s14
	s_cbranch_execz .LBB131_85
; %bb.84:                               ;   in Loop: Header=BB131_3 Depth=1
	ds_load_b128 v[36:39], v5 offset:1040
	ds_load_b64 v[40:41], v5 offset:1560
	s_wait_dscnt 0x0
	v_mul_f64_e32 v[36:37], v[36:37], v[40:41]
	s_delay_alu instid0(VALU_DEP_1)
	v_mul_f64_e32 v[36:37], v[38:39], v[36:37]
	ds_store_2addr_b64 v5, v[36:37], v[36:37] offset0:131 offset1:194
.LBB131_85:                             ;   in Loop: Header=BB131_3 Depth=1
	s_or_b32 exec_lo, exec_lo, s10
	v_mov_b64_e32 v[36:37], 0
	s_wait_dscnt 0x0
	s_barrier_signal -1
	s_barrier_wait -1
	s_and_saveexec_b32 s10, s3
	s_cbranch_execz .LBB131_91
; %bb.86:                               ;   in Loop: Header=BB131_3 Depth=1
	ds_load_b64 v[36:37], v50 offset:32
	ds_load_b64 v[38:39], v46
	s_wait_dscnt 0x0
	v_fma_f64 v[36:37], v[36:37], v[38:39], 0
	s_and_saveexec_b32 s12, s16
	s_cbranch_execnz .LBB131_1099
; %bb.87:                               ;   in Loop: Header=BB131_3 Depth=1
	s_or_b32 exec_lo, exec_lo, s12
	s_and_saveexec_b32 s12, s17
	s_cbranch_execnz .LBB131_1100
.LBB131_88:                             ;   in Loop: Header=BB131_3 Depth=1
	s_or_b32 exec_lo, exec_lo, s12
	s_and_saveexec_b32 s12, s1
	s_cbranch_execz .LBB131_90
.LBB131_89:                             ;   in Loop: Header=BB131_3 Depth=1
	ds_load_b64 v[38:39], v52 offset:1568
	ds_load_b64 v[40:41], v5 offset:24
	s_wait_dscnt 0x0
	v_fmac_f64_e32 v[36:37], v[38:39], v[40:41]
.LBB131_90:                             ;   in Loop: Header=BB131_3 Depth=1
	s_or_b32 exec_lo, exec_lo, s12
	s_delay_alu instid0(VALU_DEP_1)
	v_xor_b32_e32 v37, 0x80000000, v37
.LBB131_91:                             ;   in Loop: Header=BB131_3 Depth=1
	s_or_b32 exec_lo, exec_lo, s10
	s_and_saveexec_b32 s10, s94
	s_cbranch_execz .LBB131_93
; %bb.92:                               ;   in Loop: Header=BB131_3 Depth=1
	ds_load_b64 v[38:39], v5 offset:2080
	s_wait_dscnt 0x0
	v_mul_f64_e32 v[36:37], v[36:37], v[38:39]
	ds_store_b64 v49, v[36:37]
.LBB131_93:                             ;   in Loop: Header=BB131_3 Depth=1
	s_or_b32 exec_lo, exec_lo, s10
	s_wait_dscnt 0x0
	s_barrier_signal -1
	s_barrier_wait -1
	s_and_saveexec_b32 s10, s95
	s_cbranch_execz .LBB131_95
; %bb.94:                               ;   in Loop: Header=BB131_3 Depth=1
	ds_load_b64 v[38:39], v47 offset:2080
	ds_load_b64 v[40:41], v49
	s_wait_dscnt 0x0
	v_fmac_f64_e32 v[36:37], v[38:39], v[40:41]
.LBB131_95:                             ;   in Loop: Header=BB131_3 Depth=1
	s_or_b32 exec_lo, exec_lo, s10
	s_barrier_signal -1
	s_barrier_wait -1
	s_and_saveexec_b32 s10, s96
	s_cbranch_execz .LBB131_97
; %bb.96:                               ;   in Loop: Header=BB131_3 Depth=1
	ds_load_b64 v[38:39], v5 offset:2600
	s_wait_dscnt 0x0
	v_mul_f64_e32 v[36:37], v[36:37], v[38:39]
	ds_store_b64 v49, v[36:37]
.LBB131_97:                             ;   in Loop: Header=BB131_3 Depth=1
	s_or_b32 exec_lo, exec_lo, s10
	s_wait_dscnt 0x0
	s_barrier_signal -1
	s_barrier_wait -1
	s_and_saveexec_b32 s10, s97
	s_cbranch_execz .LBB131_99
; %bb.98:                               ;   in Loop: Header=BB131_3 Depth=1
	ds_load_b64 v[38:39], v47 offset:2592
	ds_load_b64 v[40:41], v49
	s_wait_dscnt 0x0
	v_fmac_f64_e32 v[36:37], v[38:39], v[40:41]
.LBB131_99:                             ;   in Loop: Header=BB131_3 Depth=1
	s_or_b32 exec_lo, exec_lo, s10
	s_barrier_signal -1
	s_barrier_wait -1
	s_and_saveexec_b32 s10, s98
	s_cbranch_execz .LBB131_101
; %bb.100:                              ;   in Loop: Header=BB131_3 Depth=1
	ds_load_b64 v[38:39], v5 offset:3120
	s_wait_dscnt 0x0
	v_mul_f64_e32 v[36:37], v[36:37], v[38:39]
	ds_store_b64 v49, v[36:37]
.LBB131_101:                            ;   in Loop: Header=BB131_3 Depth=1
	s_or_b32 exec_lo, exec_lo, s10
	s_wait_dscnt 0x0
	s_barrier_signal -1
	s_barrier_wait -1
	s_and_saveexec_b32 s10, s99
	s_cbranch_execz .LBB131_103
; %bb.102:                              ;   in Loop: Header=BB131_3 Depth=1
	ds_load_b64 v[38:39], v5 offset:3128
	ds_load_b64 v[40:41], v49
	s_wait_dscnt 0x0
	v_fmac_f64_e32 v[36:37], v[38:39], v[40:41]
.LBB131_103:                            ;   in Loop: Header=BB131_3 Depth=1
	s_or_b32 exec_lo, exec_lo, s10
	s_barrier_signal -1
	s_barrier_wait -1
	s_and_saveexec_b32 s10, s99
	s_cbranch_execz .LBB131_105
; %bb.104:                              ;   in Loop: Header=BB131_3 Depth=1
	ds_load_b64 v[38:39], v5 offset:3640
	s_wait_dscnt 0x0
	v_mul_f64_e32 v[36:37], v[36:37], v[38:39]
	ds_store_b64 v49, v[36:37]
.LBB131_105:                            ;   in Loop: Header=BB131_3 Depth=1
	s_or_b32 exec_lo, exec_lo, s10
	s_wait_dscnt 0x0
	s_barrier_signal -1
	s_barrier_wait -1
	s_barrier_signal -1
	s_barrier_wait -1
	s_and_saveexec_b32 s10, s3
; %bb.106:                              ;   in Loop: Header=BB131_3 Depth=1
	s_delay_alu instid0(VALU_DEP_1)
	v_xor_b32_e32 v37, 0x80000000, v37
	ds_store_b64 v50, v[36:37] offset:32
; %bb.107:                              ;   in Loop: Header=BB131_3 Depth=1
	s_or_b32 exec_lo, exec_lo, s10
	s_wait_dscnt 0x0
	s_barrier_signal -1
	s_barrier_wait -1
	s_barrier_signal -1
	s_barrier_wait -1
	s_and_saveexec_b32 s10, s100
	s_cbranch_execz .LBB131_109
; %bb.108:                              ;   in Loop: Header=BB131_3 Depth=1
	ds_load_b64 v[36:37], v53 offset:32
	s_wait_dscnt 0x0
	ds_store_b64 v54, v[36:37] offset:2048
	ds_load_b64 v[36:37], v53 offset:40
	s_wait_dscnt 0x0
	ds_store_b64 v54, v[36:37] offset:2560
	;; [unrolled: 3-line block ×4, first 2 shown]
.LBB131_109:                            ;   in Loop: Header=BB131_3 Depth=1
	s_or_b32 exec_lo, exec_lo, s10
	s_wait_dscnt 0x0
	s_barrier_signal -1
	s_barrier_wait -1
	s_and_saveexec_b32 s10, s14
	s_cbranch_execz .LBB131_111
; %bb.110:                              ;   in Loop: Header=BB131_3 Depth=1
	ds_load_b128 v[36:39], v5 offset:2080
	ds_load_b64 v[40:41], v5 offset:2600
	s_wait_dscnt 0x0
	v_mul_f64_e32 v[36:37], v[36:37], v[40:41]
	s_delay_alu instid0(VALU_DEP_1)
	v_mul_f64_e32 v[36:37], v[38:39], v[36:37]
	v_add_nc_u32_e64 v38, 0x800, 0
	ds_store_2addr_b64 v38, v[36:37], v[36:37] offset0:5 offset1:68
.LBB131_111:                            ;   in Loop: Header=BB131_3 Depth=1
	s_or_b32 exec_lo, exec_lo, s10
	v_mov_b64_e32 v[36:37], 0
	s_wait_dscnt 0x0
	s_barrier_signal -1
	s_barrier_wait -1
	s_and_saveexec_b32 s10, s1
	s_cbranch_execz .LBB131_115
; %bb.112:                              ;   in Loop: Header=BB131_3 Depth=1
	ds_load_b64 v[36:37], v43 offset:2096
	ds_load_b64 v[38:39], v44 offset:2080
	s_wait_dscnt 0x0
	v_fma_f64 v[36:37], v[36:37], v[38:39], 0
	s_and_saveexec_b32 s12, s15
	s_cbranch_execz .LBB131_114
; %bb.113:                              ;   in Loop: Header=BB131_3 Depth=1
	ds_load_b64 v[38:39], v54 offset:2608
	ds_load_b64 v[40:41], v5 offset:2088
	s_wait_dscnt 0x0
	v_fmac_f64_e32 v[36:37], v[38:39], v[40:41]
.LBB131_114:                            ;   in Loop: Header=BB131_3 Depth=1
	s_or_b32 exec_lo, exec_lo, s12
	s_delay_alu instid0(VALU_DEP_1)
	v_xor_b32_e32 v37, 0x80000000, v37
.LBB131_115:                            ;   in Loop: Header=BB131_3 Depth=1
	s_or_b32 exec_lo, exec_lo, s10
	s_and_saveexec_b32 s10, s91
	s_cbranch_execz .LBB131_117
; %bb.116:                              ;   in Loop: Header=BB131_3 Depth=1
	ds_load_b64 v[38:39], v5 offset:3120
	s_wait_dscnt 0x0
	v_mul_f64_e32 v[36:37], v[36:37], v[38:39]
	ds_store_b64 v3, v[36:37]
.LBB131_117:                            ;   in Loop: Header=BB131_3 Depth=1
	s_or_b32 exec_lo, exec_lo, s10
	s_wait_dscnt 0x0
	s_barrier_signal -1
	s_barrier_wait -1
	s_and_saveexec_b32 s10, s92
	s_cbranch_execz .LBB131_119
; %bb.118:                              ;   in Loop: Header=BB131_3 Depth=1
	ds_load_b64 v[38:39], v5 offset:3128
	ds_load_b64 v[40:41], v3
	s_wait_dscnt 0x0
	v_fmac_f64_e32 v[36:37], v[38:39], v[40:41]
.LBB131_119:                            ;   in Loop: Header=BB131_3 Depth=1
	s_or_b32 exec_lo, exec_lo, s10
	s_barrier_signal -1
	s_barrier_wait -1
	s_and_saveexec_b32 s10, s92
	s_cbranch_execz .LBB131_121
; %bb.120:                              ;   in Loop: Header=BB131_3 Depth=1
	ds_load_b64 v[38:39], v5 offset:3640
	s_wait_dscnt 0x0
	v_mul_f64_e32 v[36:37], v[36:37], v[38:39]
	ds_store_b64 v3, v[36:37]
.LBB131_121:                            ;   in Loop: Header=BB131_3 Depth=1
	s_or_b32 exec_lo, exec_lo, s10
	s_wait_dscnt 0x0
	s_barrier_signal -1
	s_barrier_wait -1
	s_barrier_signal -1
	s_barrier_wait -1
	s_and_saveexec_b32 s10, s1
; %bb.122:                              ;   in Loop: Header=BB131_3 Depth=1
	s_delay_alu instid0(VALU_DEP_1)
	v_xor_b32_e32 v37, 0x80000000, v37
	ds_store_b64 v43, v[36:37] offset:2096
; %bb.123:                              ;   in Loop: Header=BB131_3 Depth=1
	s_or_b32 exec_lo, exec_lo, s10
	s_wait_dscnt 0x0
	s_barrier_signal -1
	s_barrier_wait -1
	s_barrier_signal -1
	s_barrier_wait -1
	s_and_saveexec_b32 s10, s93
	s_cbranch_execz .LBB131_125
; %bb.124:                              ;   in Loop: Header=BB131_3 Depth=1
	ds_load_b64 v[36:37], v57 offset:2096
	s_wait_dscnt 0x0
	ds_store_b64 v54, v[36:37] offset:3104
	ds_load_b64 v[36:37], v57 offset:2104
	s_wait_dscnt 0x0
	ds_store_b64 v54, v[36:37] offset:3616
.LBB131_125:                            ;   in Loop: Header=BB131_3 Depth=1
	s_or_b32 exec_lo, exec_lo, s10
	s_wait_dscnt 0x0
	s_barrier_signal -1
	s_barrier_wait -1
	s_and_saveexec_b32 s10, s14
	s_cbranch_execz .LBB131_127
; %bb.126:                              ;   in Loop: Header=BB131_3 Depth=1
	ds_load_b128 v[36:39], v5 offset:3120
	ds_load_b64 v[40:41], v5 offset:3640
	s_wait_dscnt 0x0
	v_mul_f64_e32 v[36:37], v[36:37], v[40:41]
	s_delay_alu instid0(VALU_DEP_1)
	v_mul_f64_e32 v[36:37], v[38:39], v[36:37]
	v_add_nc_u32_e64 v38, 0x800, 0
	ds_store_2addr_b64 v38, v[36:37], v[36:37] offset0:135 offset1:198
.LBB131_127:                            ;   in Loop: Header=BB131_3 Depth=1
	s_or_b32 exec_lo, exec_lo, s10
	v_mov_b64_e32 v[36:37], 0
	s_wait_dscnt 0x0
	s_barrier_signal -1
	s_barrier_wait -1
	s_and_saveexec_b32 s10, s4
	s_cbranch_execz .LBB131_137
; %bb.128:                              ;   in Loop: Header=BB131_3 Depth=1
	ds_load_b64 v[36:37], v59 offset:64
	ds_load_b64 v[38:39], v55
	s_wait_dscnt 0x0
	v_fma_f64 v[36:37], v[36:37], v[38:39], 0
	s_and_saveexec_b32 s12, s18
	s_cbranch_execnz .LBB131_1101
; %bb.129:                              ;   in Loop: Header=BB131_3 Depth=1
	s_or_b32 exec_lo, exec_lo, s12
	s_and_saveexec_b32 s12, s19
	s_cbranch_execnz .LBB131_1102
.LBB131_130:                            ;   in Loop: Header=BB131_3 Depth=1
	s_or_b32 exec_lo, exec_lo, s12
	s_and_saveexec_b32 s12, s20
	s_cbranch_execnz .LBB131_1103
.LBB131_131:                            ;   in Loop: Header=BB131_3 Depth=1
	s_or_b32 exec_lo, exec_lo, s12
	s_and_saveexec_b32 s12, s21
	s_cbranch_execnz .LBB131_1104
.LBB131_132:                            ;   in Loop: Header=BB131_3 Depth=1
	s_or_b32 exec_lo, exec_lo, s12
	s_and_saveexec_b32 s12, s22
	s_cbranch_execnz .LBB131_1105
.LBB131_133:                            ;   in Loop: Header=BB131_3 Depth=1
	s_or_b32 exec_lo, exec_lo, s12
	s_and_saveexec_b32 s12, s3
	s_cbranch_execnz .LBB131_1106
.LBB131_134:                            ;   in Loop: Header=BB131_3 Depth=1
	s_or_b32 exec_lo, exec_lo, s12
	s_and_saveexec_b32 s12, s17
	s_cbranch_execz .LBB131_136
.LBB131_135:                            ;   in Loop: Header=BB131_3 Depth=1
	ds_load_b64 v[38:39], v61 offset:3648
	ds_load_b64 v[40:41], v5 offset:56
	s_wait_dscnt 0x0
	v_fmac_f64_e32 v[36:37], v[38:39], v[40:41]
.LBB131_136:                            ;   in Loop: Header=BB131_3 Depth=1
	s_or_b32 exec_lo, exec_lo, s12
	s_delay_alu instid0(VALU_DEP_1)
	v_xor_b32_e32 v37, 0x80000000, v37
.LBB131_137:                            ;   in Loop: Header=BB131_3 Depth=1
	s_or_b32 exec_lo, exec_lo, s10
	s_and_saveexec_b32 s10, s101
	s_cbranch_execz .LBB131_139
; %bb.138:                              ;   in Loop: Header=BB131_3 Depth=1
	ds_load_b64 v[38:39], v5 offset:4160
	s_wait_dscnt 0x0
	v_mul_f64_e32 v[36:37], v[36:37], v[38:39]
	ds_store_b64 v58, v[36:37]
.LBB131_139:                            ;   in Loop: Header=BB131_3 Depth=1
	s_or_b32 exec_lo, exec_lo, s10
	s_wait_dscnt 0x0
	s_barrier_signal -1
	s_barrier_wait -1
	s_and_saveexec_b32 s10, s102
	s_cbranch_execz .LBB131_141
; %bb.140:                              ;   in Loop: Header=BB131_3 Depth=1
	ds_load_b64 v[38:39], v56 offset:4160
	ds_load_b64 v[40:41], v58
	s_wait_dscnt 0x0
	v_fmac_f64_e32 v[36:37], v[38:39], v[40:41]
.LBB131_141:                            ;   in Loop: Header=BB131_3 Depth=1
	s_or_b32 exec_lo, exec_lo, s10
	s_barrier_signal -1
	s_barrier_wait -1
	s_and_saveexec_b32 s10, s103
	s_cbranch_execz .LBB131_143
; %bb.142:                              ;   in Loop: Header=BB131_3 Depth=1
	ds_load_b64 v[38:39], v5 offset:4680
	s_wait_dscnt 0x0
	v_mul_f64_e32 v[36:37], v[36:37], v[38:39]
	ds_store_b64 v58, v[36:37]
.LBB131_143:                            ;   in Loop: Header=BB131_3 Depth=1
	s_or_b32 exec_lo, exec_lo, s10
	s_wait_dscnt 0x0
	s_barrier_signal -1
	s_barrier_wait -1
	s_and_saveexec_b32 s10, s104
	s_cbranch_execz .LBB131_145
; %bb.144:                              ;   in Loop: Header=BB131_3 Depth=1
	ds_load_b64 v[38:39], v56 offset:4672
	ds_load_b64 v[40:41], v58
	s_wait_dscnt 0x0
	v_fmac_f64_e32 v[36:37], v[38:39], v[40:41]
.LBB131_145:                            ;   in Loop: Header=BB131_3 Depth=1
	s_or_b32 exec_lo, exec_lo, s10
	s_barrier_signal -1
	s_barrier_wait -1
	s_and_saveexec_b32 s10, vcc_hi
	s_cbranch_execz .LBB131_147
; %bb.146:                              ;   in Loop: Header=BB131_3 Depth=1
	ds_load_b64 v[38:39], v5 offset:5200
	s_wait_dscnt 0x0
	v_mul_f64_e32 v[36:37], v[36:37], v[38:39]
	ds_store_b64 v58, v[36:37]
.LBB131_147:                            ;   in Loop: Header=BB131_3 Depth=1
	s_or_b32 exec_lo, exec_lo, s10
	s_wait_dscnt 0x0
	s_barrier_signal -1
	s_barrier_wait -1
	s_and_saveexec_b32 s10, s36
	s_cbranch_execz .LBB131_149
; %bb.148:                              ;   in Loop: Header=BB131_3 Depth=1
	ds_load_b64 v[38:39], v56 offset:5184
	ds_load_b64 v[40:41], v58
	s_wait_dscnt 0x0
	v_fmac_f64_e32 v[36:37], v[38:39], v[40:41]
.LBB131_149:                            ;   in Loop: Header=BB131_3 Depth=1
	s_or_b32 exec_lo, exec_lo, s10
	s_barrier_signal -1
	s_barrier_wait -1
	s_and_saveexec_b32 s10, s37
	s_cbranch_execz .LBB131_151
; %bb.150:                              ;   in Loop: Header=BB131_3 Depth=1
	ds_load_b64 v[38:39], v5 offset:5720
	s_wait_dscnt 0x0
	v_mul_f64_e32 v[36:37], v[36:37], v[38:39]
	ds_store_b64 v58, v[36:37]
.LBB131_151:                            ;   in Loop: Header=BB131_3 Depth=1
	s_or_b32 exec_lo, exec_lo, s10
	s_wait_dscnt 0x0
	s_barrier_signal -1
	s_barrier_wait -1
	s_and_saveexec_b32 s10, s38
	s_cbranch_execz .LBB131_153
; %bb.152:                              ;   in Loop: Header=BB131_3 Depth=1
	ds_load_b64 v[38:39], v56 offset:5696
	ds_load_b64 v[40:41], v58
	s_wait_dscnt 0x0
	v_fmac_f64_e32 v[36:37], v[38:39], v[40:41]
.LBB131_153:                            ;   in Loop: Header=BB131_3 Depth=1
	s_or_b32 exec_lo, exec_lo, s10
	s_barrier_signal -1
	s_barrier_wait -1
	s_and_saveexec_b32 s10, s39
	;; [unrolled: 23-line block ×5, first 2 shown]
	s_cbranch_execz .LBB131_167
; %bb.166:                              ;   in Loop: Header=BB131_3 Depth=1
	ds_load_b64 v[38:39], v5 offset:7800
	s_wait_dscnt 0x0
	v_mul_f64_e32 v[36:37], v[36:37], v[38:39]
	ds_store_b64 v58, v[36:37]
.LBB131_167:                            ;   in Loop: Header=BB131_3 Depth=1
	s_or_b32 exec_lo, exec_lo, s10
	s_wait_dscnt 0x0
	s_barrier_signal -1
	s_barrier_wait -1
	s_barrier_signal -1
	s_barrier_wait -1
	s_and_saveexec_b32 s10, s4
; %bb.168:                              ;   in Loop: Header=BB131_3 Depth=1
	s_delay_alu instid0(VALU_DEP_1)
	v_xor_b32_e32 v37, 0x80000000, v37
	ds_store_b64 v59, v[36:37] offset:64
; %bb.169:                              ;   in Loop: Header=BB131_3 Depth=1
	s_or_b32 exec_lo, exec_lo, s10
	s_wait_dscnt 0x0
	s_barrier_signal -1
	s_barrier_wait -1
	s_barrier_signal -1
	s_barrier_wait -1
	s_and_saveexec_b32 s10, s45
	s_cbranch_execz .LBB131_171
; %bb.170:                              ;   in Loop: Header=BB131_3 Depth=1
	ds_load_b64 v[36:37], v63 offset:64
	s_wait_dscnt 0x0
	ds_store_b64 v71, v[36:37] offset:4096
	ds_load_b64 v[36:37], v63 offset:72
	s_wait_dscnt 0x0
	ds_store_b64 v71, v[36:37] offset:4608
	;; [unrolled: 3-line block ×8, first 2 shown]
.LBB131_171:                            ;   in Loop: Header=BB131_3 Depth=1
	s_or_b32 exec_lo, exec_lo, s10
	s_wait_dscnt 0x0
	s_barrier_signal -1
	s_barrier_wait -1
	s_and_saveexec_b32 s10, s14
	s_cbranch_execz .LBB131_173
; %bb.172:                              ;   in Loop: Header=BB131_3 Depth=1
	ds_load_b128 v[36:39], v5 offset:4160
	ds_load_b64 v[40:41], v5 offset:4680
	s_wait_dscnt 0x0
	v_mul_f64_e32 v[36:37], v[36:37], v[40:41]
	s_delay_alu instid0(VALU_DEP_1)
	v_mul_f64_e32 v[36:37], v[38:39], v[36:37]
	v_add_nc_u32_e64 v38, 0x1000, 0
	ds_store_2addr_b64 v38, v[36:37], v[36:37] offset0:9 offset1:72
.LBB131_173:                            ;   in Loop: Header=BB131_3 Depth=1
	s_or_b32 exec_lo, exec_lo, s10
	v_mov_b64_e32 v[36:37], 0
	s_wait_dscnt 0x0
	s_barrier_signal -1
	s_barrier_wait -1
	s_and_saveexec_b32 s10, s1
	s_cbranch_execz .LBB131_177
; %bb.174:                              ;   in Loop: Header=BB131_3 Depth=1
	ds_load_b64 v[36:37], v43 offset:4176
	ds_load_b64 v[38:39], v44 offset:4160
	s_wait_dscnt 0x0
	v_fma_f64 v[36:37], v[36:37], v[38:39], 0
	s_and_saveexec_b32 s12, s15
	s_cbranch_execz .LBB131_176
; %bb.175:                              ;   in Loop: Header=BB131_3 Depth=1
	ds_load_b64 v[38:39], v71 offset:4688
	ds_load_b64 v[40:41], v5 offset:4168
	s_wait_dscnt 0x0
	v_fmac_f64_e32 v[36:37], v[38:39], v[40:41]
.LBB131_176:                            ;   in Loop: Header=BB131_3 Depth=1
	s_or_b32 exec_lo, exec_lo, s12
	s_delay_alu instid0(VALU_DEP_1)
	v_xor_b32_e32 v37, 0x80000000, v37
.LBB131_177:                            ;   in Loop: Header=BB131_3 Depth=1
	s_or_b32 exec_lo, exec_lo, s10
	s_and_saveexec_b32 s10, s91
	s_cbranch_execz .LBB131_179
; %bb.178:                              ;   in Loop: Header=BB131_3 Depth=1
	ds_load_b64 v[38:39], v5 offset:5200
	s_wait_dscnt 0x0
	v_mul_f64_e32 v[36:37], v[36:37], v[38:39]
	ds_store_b64 v3, v[36:37]
.LBB131_179:                            ;   in Loop: Header=BB131_3 Depth=1
	s_or_b32 exec_lo, exec_lo, s10
	s_wait_dscnt 0x0
	s_barrier_signal -1
	s_barrier_wait -1
	s_and_saveexec_b32 s10, s92
	s_cbranch_execz .LBB131_181
; %bb.180:                              ;   in Loop: Header=BB131_3 Depth=1
	ds_load_b64 v[38:39], v5 offset:5208
	ds_load_b64 v[40:41], v3
	s_wait_dscnt 0x0
	v_fmac_f64_e32 v[36:37], v[38:39], v[40:41]
.LBB131_181:                            ;   in Loop: Header=BB131_3 Depth=1
	s_or_b32 exec_lo, exec_lo, s10
	s_barrier_signal -1
	s_barrier_wait -1
	s_and_saveexec_b32 s10, s92
	s_cbranch_execz .LBB131_183
; %bb.182:                              ;   in Loop: Header=BB131_3 Depth=1
	ds_load_b64 v[38:39], v5 offset:5720
	s_wait_dscnt 0x0
	v_mul_f64_e32 v[36:37], v[36:37], v[38:39]
	ds_store_b64 v3, v[36:37]
.LBB131_183:                            ;   in Loop: Header=BB131_3 Depth=1
	s_or_b32 exec_lo, exec_lo, s10
	s_wait_dscnt 0x0
	s_barrier_signal -1
	s_barrier_wait -1
	s_barrier_signal -1
	s_barrier_wait -1
	s_and_saveexec_b32 s10, s1
; %bb.184:                              ;   in Loop: Header=BB131_3 Depth=1
	s_delay_alu instid0(VALU_DEP_1)
	v_xor_b32_e32 v37, 0x80000000, v37
	ds_store_b64 v43, v[36:37] offset:4176
; %bb.185:                              ;   in Loop: Header=BB131_3 Depth=1
	s_or_b32 exec_lo, exec_lo, s10
	s_wait_dscnt 0x0
	s_barrier_signal -1
	s_barrier_wait -1
	s_barrier_signal -1
	s_barrier_wait -1
	s_and_saveexec_b32 s10, s93
	s_cbranch_execz .LBB131_187
; %bb.186:                              ;   in Loop: Header=BB131_3 Depth=1
	ds_load_b64 v[36:37], v72 offset:4176
	s_wait_dscnt 0x0
	ds_store_b64 v71, v[36:37] offset:5184
	ds_load_b64 v[36:37], v72 offset:4184
	s_wait_dscnt 0x0
	ds_store_b64 v71, v[36:37] offset:5696
.LBB131_187:                            ;   in Loop: Header=BB131_3 Depth=1
	s_or_b32 exec_lo, exec_lo, s10
	s_wait_dscnt 0x0
	s_barrier_signal -1
	s_barrier_wait -1
	s_and_saveexec_b32 s10, s14
	s_cbranch_execz .LBB131_189
; %bb.188:                              ;   in Loop: Header=BB131_3 Depth=1
	ds_load_b128 v[36:39], v5 offset:5200
	ds_load_b64 v[40:41], v5 offset:5720
	s_wait_dscnt 0x0
	v_mul_f64_e32 v[36:37], v[36:37], v[40:41]
	s_delay_alu instid0(VALU_DEP_1)
	v_mul_f64_e32 v[36:37], v[38:39], v[36:37]
	v_add_nc_u32_e64 v38, 0x1000, 0
	ds_store_2addr_b64 v38, v[36:37], v[36:37] offset0:139 offset1:202
.LBB131_189:                            ;   in Loop: Header=BB131_3 Depth=1
	s_or_b32 exec_lo, exec_lo, s10
	v_mov_b64_e32 v[36:37], 0
	s_wait_dscnt 0x0
	s_barrier_signal -1
	s_barrier_wait -1
	s_and_saveexec_b32 s10, s3
	s_cbranch_execz .LBB131_195
; %bb.190:                              ;   in Loop: Header=BB131_3 Depth=1
	ds_load_b64 v[36:37], v50 offset:4192
	ds_load_b64 v[38:39], v46 offset:4160
	s_wait_dscnt 0x0
	v_fma_f64 v[36:37], v[36:37], v[38:39], 0
	s_and_saveexec_b32 s12, s16
	s_cbranch_execnz .LBB131_1107
; %bb.191:                              ;   in Loop: Header=BB131_3 Depth=1
	s_or_b32 exec_lo, exec_lo, s12
	s_and_saveexec_b32 s12, s17
	s_cbranch_execnz .LBB131_1108
.LBB131_192:                            ;   in Loop: Header=BB131_3 Depth=1
	s_or_b32 exec_lo, exec_lo, s12
	s_and_saveexec_b32 s12, s1
	s_cbranch_execz .LBB131_194
.LBB131_193:                            ;   in Loop: Header=BB131_3 Depth=1
	ds_load_b64 v[38:39], v73 offset:5728
	ds_load_b64 v[40:41], v5 offset:4184
	s_wait_dscnt 0x0
	v_fmac_f64_e32 v[36:37], v[38:39], v[40:41]
.LBB131_194:                            ;   in Loop: Header=BB131_3 Depth=1
	s_or_b32 exec_lo, exec_lo, s12
	s_delay_alu instid0(VALU_DEP_1)
	v_xor_b32_e32 v37, 0x80000000, v37
.LBB131_195:                            ;   in Loop: Header=BB131_3 Depth=1
	s_or_b32 exec_lo, exec_lo, s10
	s_and_saveexec_b32 s10, s94
	s_cbranch_execz .LBB131_197
; %bb.196:                              ;   in Loop: Header=BB131_3 Depth=1
	ds_load_b64 v[38:39], v5 offset:6240
	s_wait_dscnt 0x0
	v_mul_f64_e32 v[36:37], v[36:37], v[38:39]
	ds_store_b64 v49, v[36:37]
.LBB131_197:                            ;   in Loop: Header=BB131_3 Depth=1
	s_or_b32 exec_lo, exec_lo, s10
	s_wait_dscnt 0x0
	s_barrier_signal -1
	s_barrier_wait -1
	s_and_saveexec_b32 s10, s95
	s_cbranch_execz .LBB131_199
; %bb.198:                              ;   in Loop: Header=BB131_3 Depth=1
	ds_load_b64 v[38:39], v47 offset:6240
	ds_load_b64 v[40:41], v49
	s_wait_dscnt 0x0
	v_fmac_f64_e32 v[36:37], v[38:39], v[40:41]
.LBB131_199:                            ;   in Loop: Header=BB131_3 Depth=1
	s_or_b32 exec_lo, exec_lo, s10
	s_barrier_signal -1
	s_barrier_wait -1
	s_and_saveexec_b32 s10, s96
	s_cbranch_execz .LBB131_201
; %bb.200:                              ;   in Loop: Header=BB131_3 Depth=1
	ds_load_b64 v[38:39], v5 offset:6760
	s_wait_dscnt 0x0
	v_mul_f64_e32 v[36:37], v[36:37], v[38:39]
	ds_store_b64 v49, v[36:37]
.LBB131_201:                            ;   in Loop: Header=BB131_3 Depth=1
	s_or_b32 exec_lo, exec_lo, s10
	s_wait_dscnt 0x0
	s_barrier_signal -1
	s_barrier_wait -1
	s_and_saveexec_b32 s10, s97
	s_cbranch_execz .LBB131_203
; %bb.202:                              ;   in Loop: Header=BB131_3 Depth=1
	ds_load_b64 v[38:39], v47 offset:6752
	ds_load_b64 v[40:41], v49
	s_wait_dscnt 0x0
	v_fmac_f64_e32 v[36:37], v[38:39], v[40:41]
.LBB131_203:                            ;   in Loop: Header=BB131_3 Depth=1
	s_or_b32 exec_lo, exec_lo, s10
	s_barrier_signal -1
	s_barrier_wait -1
	s_and_saveexec_b32 s10, s98
	s_cbranch_execz .LBB131_205
; %bb.204:                              ;   in Loop: Header=BB131_3 Depth=1
	ds_load_b64 v[38:39], v5 offset:7280
	s_wait_dscnt 0x0
	v_mul_f64_e32 v[36:37], v[36:37], v[38:39]
	ds_store_b64 v49, v[36:37]
.LBB131_205:                            ;   in Loop: Header=BB131_3 Depth=1
	s_or_b32 exec_lo, exec_lo, s10
	s_wait_dscnt 0x0
	s_barrier_signal -1
	s_barrier_wait -1
	s_and_saveexec_b32 s10, s99
	s_cbranch_execz .LBB131_207
; %bb.206:                              ;   in Loop: Header=BB131_3 Depth=1
	ds_load_b64 v[38:39], v5 offset:7288
	ds_load_b64 v[40:41], v49
	s_wait_dscnt 0x0
	v_fmac_f64_e32 v[36:37], v[38:39], v[40:41]
.LBB131_207:                            ;   in Loop: Header=BB131_3 Depth=1
	s_or_b32 exec_lo, exec_lo, s10
	s_barrier_signal -1
	s_barrier_wait -1
	s_and_saveexec_b32 s10, s99
	s_cbranch_execz .LBB131_209
; %bb.208:                              ;   in Loop: Header=BB131_3 Depth=1
	ds_load_b64 v[38:39], v5 offset:7800
	s_wait_dscnt 0x0
	v_mul_f64_e32 v[36:37], v[36:37], v[38:39]
	ds_store_b64 v49, v[36:37]
.LBB131_209:                            ;   in Loop: Header=BB131_3 Depth=1
	s_or_b32 exec_lo, exec_lo, s10
	s_wait_dscnt 0x0
	s_barrier_signal -1
	s_barrier_wait -1
	s_barrier_signal -1
	s_barrier_wait -1
	s_and_saveexec_b32 s10, s3
; %bb.210:                              ;   in Loop: Header=BB131_3 Depth=1
	s_delay_alu instid0(VALU_DEP_1)
	v_xor_b32_e32 v37, 0x80000000, v37
	ds_store_b64 v50, v[36:37] offset:4192
; %bb.211:                              ;   in Loop: Header=BB131_3 Depth=1
	s_or_b32 exec_lo, exec_lo, s10
	s_wait_dscnt 0x0
	s_barrier_signal -1
	s_barrier_wait -1
	s_barrier_signal -1
	s_barrier_wait -1
	s_and_saveexec_b32 s10, s100
	s_cbranch_execz .LBB131_213
; %bb.212:                              ;   in Loop: Header=BB131_3 Depth=1
	ds_load_b64 v[36:37], v74 offset:4192
	s_wait_dscnt 0x0
	ds_store_b64 v77, v[36:37] offset:6208
	ds_load_b64 v[36:37], v74 offset:4200
	s_wait_dscnt 0x0
	ds_store_b64 v77, v[36:37] offset:6720
	;; [unrolled: 3-line block ×4, first 2 shown]
.LBB131_213:                            ;   in Loop: Header=BB131_3 Depth=1
	s_or_b32 exec_lo, exec_lo, s10
	s_wait_dscnt 0x0
	s_barrier_signal -1
	s_barrier_wait -1
	s_and_saveexec_b32 s10, s14
	s_cbranch_execz .LBB131_215
; %bb.214:                              ;   in Loop: Header=BB131_3 Depth=1
	ds_load_b128 v[36:39], v5 offset:6240
	ds_load_b64 v[40:41], v5 offset:6760
	s_wait_dscnt 0x0
	v_mul_f64_e32 v[36:37], v[36:37], v[40:41]
	s_delay_alu instid0(VALU_DEP_1)
	v_mul_f64_e32 v[36:37], v[38:39], v[36:37]
	v_add_nc_u32_e64 v38, 0x1800, 0
	ds_store_2addr_b64 v38, v[36:37], v[36:37] offset0:13 offset1:76
.LBB131_215:                            ;   in Loop: Header=BB131_3 Depth=1
	s_or_b32 exec_lo, exec_lo, s10
	v_mov_b64_e32 v[36:37], 0
	s_wait_dscnt 0x0
	s_barrier_signal -1
	s_barrier_wait -1
	s_and_saveexec_b32 s10, s1
	s_cbranch_execz .LBB131_219
; %bb.216:                              ;   in Loop: Header=BB131_3 Depth=1
	ds_load_b64 v[36:37], v43 offset:6256
	ds_load_b64 v[38:39], v44 offset:6240
	s_wait_dscnt 0x0
	v_fma_f64 v[36:37], v[36:37], v[38:39], 0
	s_and_saveexec_b32 s12, s15
	s_cbranch_execz .LBB131_218
; %bb.217:                              ;   in Loop: Header=BB131_3 Depth=1
	ds_load_b64 v[38:39], v77 offset:6768
	ds_load_b64 v[40:41], v5 offset:6248
	s_wait_dscnt 0x0
	v_fmac_f64_e32 v[36:37], v[38:39], v[40:41]
.LBB131_218:                            ;   in Loop: Header=BB131_3 Depth=1
	s_or_b32 exec_lo, exec_lo, s12
	s_delay_alu instid0(VALU_DEP_1)
	v_xor_b32_e32 v37, 0x80000000, v37
.LBB131_219:                            ;   in Loop: Header=BB131_3 Depth=1
	s_or_b32 exec_lo, exec_lo, s10
	s_and_saveexec_b32 s10, s91
	s_cbranch_execz .LBB131_221
; %bb.220:                              ;   in Loop: Header=BB131_3 Depth=1
	ds_load_b64 v[38:39], v5 offset:7280
	s_wait_dscnt 0x0
	v_mul_f64_e32 v[36:37], v[36:37], v[38:39]
	ds_store_b64 v3, v[36:37]
.LBB131_221:                            ;   in Loop: Header=BB131_3 Depth=1
	s_or_b32 exec_lo, exec_lo, s10
	s_wait_dscnt 0x0
	s_barrier_signal -1
	s_barrier_wait -1
	s_and_saveexec_b32 s10, s92
	s_cbranch_execz .LBB131_223
; %bb.222:                              ;   in Loop: Header=BB131_3 Depth=1
	ds_load_b64 v[38:39], v5 offset:7288
	ds_load_b64 v[40:41], v3
	s_wait_dscnt 0x0
	v_fmac_f64_e32 v[36:37], v[38:39], v[40:41]
.LBB131_223:                            ;   in Loop: Header=BB131_3 Depth=1
	s_or_b32 exec_lo, exec_lo, s10
	s_barrier_signal -1
	s_barrier_wait -1
	s_and_saveexec_b32 s10, s92
	s_cbranch_execz .LBB131_225
; %bb.224:                              ;   in Loop: Header=BB131_3 Depth=1
	ds_load_b64 v[38:39], v5 offset:7800
	s_wait_dscnt 0x0
	v_mul_f64_e32 v[36:37], v[36:37], v[38:39]
	ds_store_b64 v3, v[36:37]
.LBB131_225:                            ;   in Loop: Header=BB131_3 Depth=1
	s_or_b32 exec_lo, exec_lo, s10
	s_wait_dscnt 0x0
	s_barrier_signal -1
	s_barrier_wait -1
	s_barrier_signal -1
	s_barrier_wait -1
	s_and_saveexec_b32 s10, s1
; %bb.226:                              ;   in Loop: Header=BB131_3 Depth=1
	s_delay_alu instid0(VALU_DEP_1)
	v_xor_b32_e32 v37, 0x80000000, v37
	ds_store_b64 v43, v[36:37] offset:6256
; %bb.227:                              ;   in Loop: Header=BB131_3 Depth=1
	s_or_b32 exec_lo, exec_lo, s10
	s_wait_dscnt 0x0
	s_barrier_signal -1
	s_barrier_wait -1
	s_barrier_signal -1
	s_barrier_wait -1
	s_and_saveexec_b32 s10, s93
	s_cbranch_execz .LBB131_229
; %bb.228:                              ;   in Loop: Header=BB131_3 Depth=1
	ds_load_b64 v[36:37], v79 offset:6256
	s_wait_dscnt 0x0
	ds_store_b64 v77, v[36:37] offset:7264
	ds_load_b64 v[36:37], v79 offset:6264
	s_wait_dscnt 0x0
	ds_store_b64 v77, v[36:37] offset:7776
.LBB131_229:                            ;   in Loop: Header=BB131_3 Depth=1
	s_or_b32 exec_lo, exec_lo, s10
	s_wait_dscnt 0x0
	s_barrier_signal -1
	s_barrier_wait -1
	s_and_saveexec_b32 s10, s14
	s_cbranch_execz .LBB131_231
; %bb.230:                              ;   in Loop: Header=BB131_3 Depth=1
	ds_load_b128 v[36:39], v5 offset:7280
	ds_load_b64 v[40:41], v5 offset:7800
	s_wait_dscnt 0x0
	v_mul_f64_e32 v[36:37], v[36:37], v[40:41]
	s_delay_alu instid0(VALU_DEP_1)
	v_mul_f64_e32 v[36:37], v[38:39], v[36:37]
	v_add_nc_u32_e64 v38, 0x1800, 0
	ds_store_2addr_b64 v38, v[36:37], v[36:37] offset0:143 offset1:206
.LBB131_231:                            ;   in Loop: Header=BB131_3 Depth=1
	s_or_b32 exec_lo, exec_lo, s10
	v_mov_b64_e32 v[36:37], 0
	s_wait_dscnt 0x0
	s_barrier_signal -1
	s_barrier_wait -1
	s_and_saveexec_b32 s84, s5
	s_cbranch_execz .LBB131_259
; %bb.232:                              ;   in Loop: Header=BB131_3 Depth=1
	ds_load_b64 v[36:37], v66 offset:128
	ds_load_b64 v[38:39], v62
	s_wait_dscnt 0x0
	v_fma_f64 v[36:37], v[36:37], v[38:39], 0
	s_mov_b32 s10, exec_lo
	v_readlane_b32 s12, v102, 27
	s_and_b32 s12, s10, s12
	s_delay_alu instid0(SALU_CYCLE_1)
	s_mov_b32 exec_lo, s12
	s_cbranch_execz .LBB131_234
; %bb.233:                              ;   in Loop: Header=BB131_3 Depth=1
	ds_load_b64 v[38:39], v67 offset:640
	ds_load_b64 v[40:41], v62 offset:8
	s_wait_dscnt 0x0
	v_fmac_f64_e32 v[36:37], v[38:39], v[40:41]
.LBB131_234:                            ;   in Loop: Header=BB131_3 Depth=1
	s_or_b32 exec_lo, exec_lo, s10
	s_delay_alu instid0(SALU_CYCLE_1) | instskip(SKIP_2) | instid1(SALU_CYCLE_1)
	s_mov_b32 s10, exec_lo
	v_readlane_b32 s12, v102, 28
	s_and_b32 s12, s10, s12
	s_mov_b32 exec_lo, s12
	s_cbranch_execz .LBB131_236
; %bb.235:                              ;   in Loop: Header=BB131_3 Depth=1
	ds_load_b64 v[38:39], v67 offset:1152
	ds_load_b64 v[40:41], v62 offset:16
	s_wait_dscnt 0x0
	v_fmac_f64_e32 v[36:37], v[38:39], v[40:41]
.LBB131_236:                            ;   in Loop: Header=BB131_3 Depth=1
	s_or_b32 exec_lo, exec_lo, s10
	s_delay_alu instid0(SALU_CYCLE_1) | instskip(SKIP_2) | instid1(SALU_CYCLE_1)
	s_mov_b32 s10, exec_lo
	v_readlane_b32 s12, v102, 29
	s_and_b32 s12, s10, s12
	;; [unrolled: 13-line block ×10, first 2 shown]
	s_mov_b32 exec_lo, s12
	s_cbranch_execnz .LBB131_1109
; %bb.253:                              ;   in Loop: Header=BB131_3 Depth=1
	s_or_b32 exec_lo, exec_lo, s10
	s_and_saveexec_b32 s10, s4
	s_cbranch_execnz .LBB131_1110
.LBB131_254:                            ;   in Loop: Header=BB131_3 Depth=1
	s_or_b32 exec_lo, exec_lo, s10
	s_and_saveexec_b32 s10, s19
	s_cbranch_execnz .LBB131_1111
.LBB131_255:                            ;   in Loop: Header=BB131_3 Depth=1
	s_or_b32 exec_lo, exec_lo, s10
	s_and_saveexec_b32 s10, s21
	s_cbranch_execnz .LBB131_1112
.LBB131_256:                            ;   in Loop: Header=BB131_3 Depth=1
	s_or_b32 exec_lo, exec_lo, s10
	s_and_saveexec_b32 s10, s3
	s_cbranch_execz .LBB131_258
.LBB131_257:                            ;   in Loop: Header=BB131_3 Depth=1
	ds_load_b64 v[38:39], v45 offset:7808
	ds_load_b64 v[40:41], v5 offset:120
	s_wait_dscnt 0x0
	v_fmac_f64_e32 v[36:37], v[38:39], v[40:41]
.LBB131_258:                            ;   in Loop: Header=BB131_3 Depth=1
	s_or_b32 exec_lo, exec_lo, s10
	s_delay_alu instid0(VALU_DEP_1)
	v_xor_b32_e32 v37, 0x80000000, v37
.LBB131_259:                            ;   in Loop: Header=BB131_3 Depth=1
	s_or_b32 exec_lo, exec_lo, s84
	s_delay_alu instid0(SALU_CYCLE_1) | instskip(SKIP_2) | instid1(SALU_CYCLE_1)
	s_mov_b32 s10, exec_lo
	v_readlane_b32 s12, v102, 2
	s_and_b32 s12, s10, s12
	s_mov_b32 exec_lo, s12
	s_cbranch_execz .LBB131_261
; %bb.260:                              ;   in Loop: Header=BB131_3 Depth=1
	ds_load_b64 v[38:39], v5 offset:8320
	s_wait_dscnt 0x0
	v_mul_f64_e32 v[36:37], v[36:37], v[38:39]
	ds_store_b64 v65, v[36:37]
.LBB131_261:                            ;   in Loop: Header=BB131_3 Depth=1
	s_or_b32 exec_lo, exec_lo, s10
	s_wait_dscnt 0x0
	s_barrier_signal -1
	s_barrier_wait -1
	s_mov_b32 s10, exec_lo
	v_readlane_b32 s12, v102, 3
	s_and_b32 s12, s10, s12
	s_delay_alu instid0(SALU_CYCLE_1)
	s_mov_b32 exec_lo, s12
	s_cbranch_execz .LBB131_263
; %bb.262:                              ;   in Loop: Header=BB131_3 Depth=1
	ds_load_b64 v[38:39], v64 offset:8320
	ds_load_b64 v[40:41], v65
	s_wait_dscnt 0x0
	v_fmac_f64_e32 v[36:37], v[38:39], v[40:41]
.LBB131_263:                            ;   in Loop: Header=BB131_3 Depth=1
	s_or_b32 exec_lo, exec_lo, s10
	s_barrier_signal -1
	s_barrier_wait -1
	s_mov_b32 s10, exec_lo
	v_readlane_b32 s12, v102, 4
	s_and_b32 s12, s10, s12
	s_delay_alu instid0(SALU_CYCLE_1)
	s_mov_b32 exec_lo, s12
	s_cbranch_execz .LBB131_265
; %bb.264:                              ;   in Loop: Header=BB131_3 Depth=1
	ds_load_b64 v[38:39], v5 offset:8840
	s_wait_dscnt 0x0
	v_mul_f64_e32 v[36:37], v[36:37], v[38:39]
	ds_store_b64 v65, v[36:37]
.LBB131_265:                            ;   in Loop: Header=BB131_3 Depth=1
	s_or_b32 exec_lo, exec_lo, s10
	s_wait_dscnt 0x0
	s_barrier_signal -1
	s_barrier_wait -1
	s_mov_b32 s10, exec_lo
	v_readlane_b32 s12, v102, 5
	s_and_b32 s12, s10, s12
	s_delay_alu instid0(SALU_CYCLE_1)
	s_mov_b32 exec_lo, s12
	s_cbranch_execz .LBB131_267
; %bb.266:                              ;   in Loop: Header=BB131_3 Depth=1
	ds_load_b64 v[38:39], v64 offset:8832
	ds_load_b64 v[40:41], v65
	s_wait_dscnt 0x0
	v_fmac_f64_e32 v[36:37], v[38:39], v[40:41]
.LBB131_267:                            ;   in Loop: Header=BB131_3 Depth=1
	s_or_b32 exec_lo, exec_lo, s10
	s_barrier_signal -1
	s_barrier_wait -1
	s_mov_b32 s10, exec_lo
	v_readlane_b32 s12, v102, 6
	s_and_b32 s12, s10, s12
	s_delay_alu instid0(SALU_CYCLE_1)
	;; [unrolled: 31-line block ×3, first 2 shown]
	s_mov_b32 exec_lo, s12
	s_cbranch_execz .LBB131_273
; %bb.272:                              ;   in Loop: Header=BB131_3 Depth=1
	ds_load_b64 v[38:39], v5 offset:9880
	s_wait_dscnt 0x0
	v_mul_f64_e32 v[36:37], v[36:37], v[38:39]
	ds_store_b64 v65, v[36:37]
.LBB131_273:                            ;   in Loop: Header=BB131_3 Depth=1
	s_or_b32 exec_lo, exec_lo, s10
	s_wait_dscnt 0x0
	s_barrier_signal -1
	s_barrier_wait -1
	s_and_saveexec_b32 s10, s53
	s_cbranch_execz .LBB131_275
; %bb.274:                              ;   in Loop: Header=BB131_3 Depth=1
	ds_load_b64 v[38:39], v64 offset:9856
	ds_load_b64 v[40:41], v65
	s_wait_dscnt 0x0
	v_fmac_f64_e32 v[36:37], v[38:39], v[40:41]
.LBB131_275:                            ;   in Loop: Header=BB131_3 Depth=1
	s_or_b32 exec_lo, exec_lo, s10
	s_barrier_signal -1
	s_barrier_wait -1
	s_and_saveexec_b32 s10, s54
	s_cbranch_execz .LBB131_277
; %bb.276:                              ;   in Loop: Header=BB131_3 Depth=1
	ds_load_b64 v[38:39], v5 offset:10400
	s_wait_dscnt 0x0
	v_mul_f64_e32 v[36:37], v[36:37], v[38:39]
	ds_store_b64 v65, v[36:37]
.LBB131_277:                            ;   in Loop: Header=BB131_3 Depth=1
	s_or_b32 exec_lo, exec_lo, s10
	s_wait_dscnt 0x0
	s_barrier_signal -1
	s_barrier_wait -1
	s_and_saveexec_b32 s10, s55
	s_cbranch_execz .LBB131_279
; %bb.278:                              ;   in Loop: Header=BB131_3 Depth=1
	ds_load_b64 v[38:39], v64 offset:10368
	ds_load_b64 v[40:41], v65
	s_wait_dscnt 0x0
	v_fmac_f64_e32 v[36:37], v[38:39], v[40:41]
.LBB131_279:                            ;   in Loop: Header=BB131_3 Depth=1
	s_or_b32 exec_lo, exec_lo, s10
	s_barrier_signal -1
	s_barrier_wait -1
	s_and_saveexec_b32 s10, s56
	;; [unrolled: 23-line block ×12, first 2 shown]
	s_cbranch_execz .LBB131_321
; %bb.320:                              ;   in Loop: Header=BB131_3 Depth=1
	ds_load_b64 v[38:39], v5 offset:16120
	s_wait_dscnt 0x0
	v_mul_f64_e32 v[36:37], v[36:37], v[38:39]
	ds_store_b64 v65, v[36:37]
.LBB131_321:                            ;   in Loop: Header=BB131_3 Depth=1
	s_or_b32 exec_lo, exec_lo, s10
	s_wait_dscnt 0x0
	s_barrier_signal -1
	s_barrier_wait -1
	s_barrier_signal -1
	s_barrier_wait -1
	s_and_saveexec_b32 s10, s5
; %bb.322:                              ;   in Loop: Header=BB131_3 Depth=1
	s_delay_alu instid0(VALU_DEP_1)
	v_xor_b32_e32 v37, 0x80000000, v37
	ds_store_b64 v66, v[36:37] offset:128
; %bb.323:                              ;   in Loop: Header=BB131_3 Depth=1
	s_or_b32 exec_lo, exec_lo, s10
	s_wait_dscnt 0x0
	s_barrier_signal -1
	s_barrier_wait -1
	s_barrier_signal -1
	s_barrier_wait -1
	s_and_saveexec_b32 s10, s65
	s_cbranch_execz .LBB131_325
; %bb.324:                              ;   in Loop: Header=BB131_3 Depth=1
	ds_load_b64 v[36:37], v48 offset:128
	s_wait_dscnt 0x0
	ds_store_b64 v52, v[36:37] offset:8192
	ds_load_b64 v[36:37], v48 offset:136
	s_wait_dscnt 0x0
	ds_store_b64 v52, v[36:37] offset:8704
	;; [unrolled: 3-line block ×16, first 2 shown]
.LBB131_325:                            ;   in Loop: Header=BB131_3 Depth=1
	s_or_b32 exec_lo, exec_lo, s10
	s_wait_dscnt 0x0
	s_barrier_signal -1
	s_barrier_wait -1
	s_and_saveexec_b32 s10, s14
	s_cbranch_execz .LBB131_327
; %bb.326:                              ;   in Loop: Header=BB131_3 Depth=1
	ds_load_b128 v[36:39], v5 offset:8320
	ds_load_b64 v[40:41], v5 offset:8840
	s_wait_dscnt 0x0
	v_mul_f64_e32 v[36:37], v[36:37], v[40:41]
	s_delay_alu instid0(VALU_DEP_1)
	v_mul_f64_e32 v[36:37], v[38:39], v[36:37]
	v_add_nc_u32_e64 v38, 0x2000, 0
	ds_store_2addr_b64 v38, v[36:37], v[36:37] offset0:17 offset1:80
.LBB131_327:                            ;   in Loop: Header=BB131_3 Depth=1
	s_or_b32 exec_lo, exec_lo, s10
	v_mov_b64_e32 v[36:37], 0
	s_wait_dscnt 0x0
	s_barrier_signal -1
	s_barrier_wait -1
	s_and_saveexec_b32 s10, s1
	s_cbranch_execz .LBB131_331
; %bb.328:                              ;   in Loop: Header=BB131_3 Depth=1
	ds_load_b64 v[36:37], v43 offset:8336
	ds_load_b64 v[38:39], v44 offset:8320
	s_wait_dscnt 0x0
	v_fma_f64 v[36:37], v[36:37], v[38:39], 0
	s_and_saveexec_b32 s12, s15
	s_cbranch_execz .LBB131_330
; %bb.329:                              ;   in Loop: Header=BB131_3 Depth=1
	ds_load_b64 v[38:39], v45 offset:8848
	ds_load_b64 v[40:41], v5 offset:8328
	s_wait_dscnt 0x0
	v_fmac_f64_e32 v[36:37], v[38:39], v[40:41]
.LBB131_330:                            ;   in Loop: Header=BB131_3 Depth=1
	s_or_b32 exec_lo, exec_lo, s12
	s_delay_alu instid0(VALU_DEP_1)
	v_xor_b32_e32 v37, 0x80000000, v37
.LBB131_331:                            ;   in Loop: Header=BB131_3 Depth=1
	s_or_b32 exec_lo, exec_lo, s10
	s_and_saveexec_b32 s10, s91
	s_cbranch_execz .LBB131_333
; %bb.332:                              ;   in Loop: Header=BB131_3 Depth=1
	ds_load_b64 v[38:39], v5 offset:9360
	s_wait_dscnt 0x0
	v_mul_f64_e32 v[36:37], v[36:37], v[38:39]
	ds_store_b64 v3, v[36:37]
.LBB131_333:                            ;   in Loop: Header=BB131_3 Depth=1
	s_or_b32 exec_lo, exec_lo, s10
	s_wait_dscnt 0x0
	s_barrier_signal -1
	s_barrier_wait -1
	s_and_saveexec_b32 s10, s92
	s_cbranch_execz .LBB131_335
; %bb.334:                              ;   in Loop: Header=BB131_3 Depth=1
	ds_load_b64 v[38:39], v5 offset:9368
	ds_load_b64 v[40:41], v3
	s_wait_dscnt 0x0
	v_fmac_f64_e32 v[36:37], v[38:39], v[40:41]
.LBB131_335:                            ;   in Loop: Header=BB131_3 Depth=1
	s_or_b32 exec_lo, exec_lo, s10
	s_barrier_signal -1
	s_barrier_wait -1
	s_and_saveexec_b32 s10, s92
	s_cbranch_execz .LBB131_337
; %bb.336:                              ;   in Loop: Header=BB131_3 Depth=1
	ds_load_b64 v[38:39], v5 offset:9880
	s_wait_dscnt 0x0
	v_mul_f64_e32 v[36:37], v[36:37], v[38:39]
	ds_store_b64 v3, v[36:37]
.LBB131_337:                            ;   in Loop: Header=BB131_3 Depth=1
	s_or_b32 exec_lo, exec_lo, s10
	s_wait_dscnt 0x0
	s_barrier_signal -1
	s_barrier_wait -1
	s_barrier_signal -1
	s_barrier_wait -1
	s_and_saveexec_b32 s10, s1
; %bb.338:                              ;   in Loop: Header=BB131_3 Depth=1
	s_delay_alu instid0(VALU_DEP_1)
	v_xor_b32_e32 v37, 0x80000000, v37
	ds_store_b64 v43, v[36:37] offset:8336
; %bb.339:                              ;   in Loop: Header=BB131_3 Depth=1
	s_or_b32 exec_lo, exec_lo, s10
	s_wait_dscnt 0x0
	s_barrier_signal -1
	s_barrier_wait -1
	s_barrier_signal -1
	s_barrier_wait -1
	s_and_saveexec_b32 s10, s93
	s_cbranch_execz .LBB131_341
; %bb.340:                              ;   in Loop: Header=BB131_3 Depth=1
	ds_load_b64 v[36:37], v48 offset:8336
	s_wait_dscnt 0x0
	ds_store_b64 v45, v[36:37] offset:9344
	ds_load_b64 v[36:37], v48 offset:8344
	s_wait_dscnt 0x0
	ds_store_b64 v45, v[36:37] offset:9856
.LBB131_341:                            ;   in Loop: Header=BB131_3 Depth=1
	s_or_b32 exec_lo, exec_lo, s10
	s_wait_dscnt 0x0
	s_barrier_signal -1
	s_barrier_wait -1
	s_and_saveexec_b32 s10, s14
	s_cbranch_execz .LBB131_343
; %bb.342:                              ;   in Loop: Header=BB131_3 Depth=1
	ds_load_b128 v[36:39], v5 offset:9360
	ds_load_b64 v[40:41], v5 offset:9880
	s_wait_dscnt 0x0
	v_mul_f64_e32 v[36:37], v[36:37], v[40:41]
	s_delay_alu instid0(VALU_DEP_1)
	v_mul_f64_e32 v[36:37], v[38:39], v[36:37]
	v_add_nc_u32_e64 v38, 0x2000, 0
	ds_store_2addr_b64 v38, v[36:37], v[36:37] offset0:147 offset1:210
.LBB131_343:                            ;   in Loop: Header=BB131_3 Depth=1
	s_or_b32 exec_lo, exec_lo, s10
	v_mov_b64_e32 v[36:37], 0
	s_wait_dscnt 0x0
	s_barrier_signal -1
	s_barrier_wait -1
	s_and_saveexec_b32 s10, s3
	s_cbranch_execz .LBB131_349
; %bb.344:                              ;   in Loop: Header=BB131_3 Depth=1
	ds_load_b64 v[36:37], v50 offset:8352
	ds_load_b64 v[38:39], v46 offset:8320
	s_wait_dscnt 0x0
	v_fma_f64 v[36:37], v[36:37], v[38:39], 0
	s_and_saveexec_b32 s12, s16
	s_cbranch_execnz .LBB131_1113
; %bb.345:                              ;   in Loop: Header=BB131_3 Depth=1
	s_or_b32 exec_lo, exec_lo, s12
	s_and_saveexec_b32 s12, s17
	s_cbranch_execnz .LBB131_1114
.LBB131_346:                            ;   in Loop: Header=BB131_3 Depth=1
	s_or_b32 exec_lo, exec_lo, s12
	s_and_saveexec_b32 s12, s1
	s_cbranch_execz .LBB131_348
.LBB131_347:                            ;   in Loop: Header=BB131_3 Depth=1
	ds_load_b64 v[38:39], v52 offset:9888
	ds_load_b64 v[40:41], v5 offset:8344
	s_wait_dscnt 0x0
	v_fmac_f64_e32 v[36:37], v[38:39], v[40:41]
.LBB131_348:                            ;   in Loop: Header=BB131_3 Depth=1
	s_or_b32 exec_lo, exec_lo, s12
	s_delay_alu instid0(VALU_DEP_1)
	v_xor_b32_e32 v37, 0x80000000, v37
.LBB131_349:                            ;   in Loop: Header=BB131_3 Depth=1
	s_or_b32 exec_lo, exec_lo, s10
	s_and_saveexec_b32 s10, s94
	s_cbranch_execz .LBB131_351
; %bb.350:                              ;   in Loop: Header=BB131_3 Depth=1
	ds_load_b64 v[38:39], v5 offset:10400
	s_wait_dscnt 0x0
	v_mul_f64_e32 v[36:37], v[36:37], v[38:39]
	ds_store_b64 v49, v[36:37]
.LBB131_351:                            ;   in Loop: Header=BB131_3 Depth=1
	s_or_b32 exec_lo, exec_lo, s10
	s_wait_dscnt 0x0
	s_barrier_signal -1
	s_barrier_wait -1
	s_and_saveexec_b32 s10, s95
	s_cbranch_execz .LBB131_353
; %bb.352:                              ;   in Loop: Header=BB131_3 Depth=1
	ds_load_b64 v[38:39], v47 offset:10400
	ds_load_b64 v[40:41], v49
	s_wait_dscnt 0x0
	v_fmac_f64_e32 v[36:37], v[38:39], v[40:41]
.LBB131_353:                            ;   in Loop: Header=BB131_3 Depth=1
	s_or_b32 exec_lo, exec_lo, s10
	s_barrier_signal -1
	s_barrier_wait -1
	s_and_saveexec_b32 s10, s96
	s_cbranch_execz .LBB131_355
; %bb.354:                              ;   in Loop: Header=BB131_3 Depth=1
	ds_load_b64 v[38:39], v5 offset:10920
	s_wait_dscnt 0x0
	v_mul_f64_e32 v[36:37], v[36:37], v[38:39]
	ds_store_b64 v49, v[36:37]
.LBB131_355:                            ;   in Loop: Header=BB131_3 Depth=1
	s_or_b32 exec_lo, exec_lo, s10
	s_wait_dscnt 0x0
	s_barrier_signal -1
	s_barrier_wait -1
	s_and_saveexec_b32 s10, s97
	s_cbranch_execz .LBB131_357
; %bb.356:                              ;   in Loop: Header=BB131_3 Depth=1
	ds_load_b64 v[38:39], v47 offset:10912
	ds_load_b64 v[40:41], v49
	s_wait_dscnt 0x0
	v_fmac_f64_e32 v[36:37], v[38:39], v[40:41]
.LBB131_357:                            ;   in Loop: Header=BB131_3 Depth=1
	s_or_b32 exec_lo, exec_lo, s10
	s_barrier_signal -1
	s_barrier_wait -1
	;; [unrolled: 23-line block ×3, first 2 shown]
	s_and_saveexec_b32 s10, s99
	s_cbranch_execz .LBB131_363
; %bb.362:                              ;   in Loop: Header=BB131_3 Depth=1
	ds_load_b64 v[38:39], v5 offset:11960
	s_wait_dscnt 0x0
	v_mul_f64_e32 v[36:37], v[36:37], v[38:39]
	ds_store_b64 v49, v[36:37]
.LBB131_363:                            ;   in Loop: Header=BB131_3 Depth=1
	s_or_b32 exec_lo, exec_lo, s10
	s_wait_dscnt 0x0
	s_barrier_signal -1
	s_barrier_wait -1
	s_barrier_signal -1
	s_barrier_wait -1
	s_and_saveexec_b32 s10, s3
; %bb.364:                              ;   in Loop: Header=BB131_3 Depth=1
	s_delay_alu instid0(VALU_DEP_1)
	v_xor_b32_e32 v37, 0x80000000, v37
	ds_store_b64 v50, v[36:37] offset:8352
; %bb.365:                              ;   in Loop: Header=BB131_3 Depth=1
	s_or_b32 exec_lo, exec_lo, s10
	s_wait_dscnt 0x0
	s_barrier_signal -1
	s_barrier_wait -1
	s_barrier_signal -1
	s_barrier_wait -1
	s_and_saveexec_b32 s10, s100
	s_cbranch_execz .LBB131_367
; %bb.366:                              ;   in Loop: Header=BB131_3 Depth=1
	ds_load_b64 v[36:37], v53 offset:8352
	s_wait_dscnt 0x0
	ds_store_b64 v54, v[36:37] offset:10368
	ds_load_b64 v[36:37], v53 offset:8360
	s_wait_dscnt 0x0
	ds_store_b64 v54, v[36:37] offset:10880
	;; [unrolled: 3-line block ×4, first 2 shown]
.LBB131_367:                            ;   in Loop: Header=BB131_3 Depth=1
	s_or_b32 exec_lo, exec_lo, s10
	s_wait_dscnt 0x0
	s_barrier_signal -1
	s_barrier_wait -1
	s_and_saveexec_b32 s10, s14
	s_cbranch_execz .LBB131_369
; %bb.368:                              ;   in Loop: Header=BB131_3 Depth=1
	ds_load_b128 v[36:39], v5 offset:10400
	ds_load_b64 v[40:41], v5 offset:10920
	s_wait_dscnt 0x0
	v_mul_f64_e32 v[36:37], v[36:37], v[40:41]
	s_delay_alu instid0(VALU_DEP_1)
	v_mul_f64_e32 v[36:37], v[38:39], v[36:37]
	v_add_nc_u32_e64 v38, 0x2800, 0
	ds_store_2addr_b64 v38, v[36:37], v[36:37] offset0:21 offset1:84
.LBB131_369:                            ;   in Loop: Header=BB131_3 Depth=1
	s_or_b32 exec_lo, exec_lo, s10
	v_mov_b64_e32 v[36:37], 0
	s_wait_dscnt 0x0
	s_barrier_signal -1
	s_barrier_wait -1
	s_and_saveexec_b32 s10, s1
	s_cbranch_execz .LBB131_373
; %bb.370:                              ;   in Loop: Header=BB131_3 Depth=1
	ds_load_b64 v[36:37], v43 offset:10416
	ds_load_b64 v[38:39], v44 offset:10400
	s_wait_dscnt 0x0
	v_fma_f64 v[36:37], v[36:37], v[38:39], 0
	s_and_saveexec_b32 s12, s15
	s_cbranch_execz .LBB131_372
; %bb.371:                              ;   in Loop: Header=BB131_3 Depth=1
	ds_load_b64 v[38:39], v54 offset:10928
	ds_load_b64 v[40:41], v5 offset:10408
	s_wait_dscnt 0x0
	v_fmac_f64_e32 v[36:37], v[38:39], v[40:41]
.LBB131_372:                            ;   in Loop: Header=BB131_3 Depth=1
	s_or_b32 exec_lo, exec_lo, s12
	s_delay_alu instid0(VALU_DEP_1)
	v_xor_b32_e32 v37, 0x80000000, v37
.LBB131_373:                            ;   in Loop: Header=BB131_3 Depth=1
	s_or_b32 exec_lo, exec_lo, s10
	s_and_saveexec_b32 s10, s91
	s_cbranch_execz .LBB131_375
; %bb.374:                              ;   in Loop: Header=BB131_3 Depth=1
	ds_load_b64 v[38:39], v5 offset:11440
	s_wait_dscnt 0x0
	v_mul_f64_e32 v[36:37], v[36:37], v[38:39]
	ds_store_b64 v3, v[36:37]
.LBB131_375:                            ;   in Loop: Header=BB131_3 Depth=1
	s_or_b32 exec_lo, exec_lo, s10
	s_wait_dscnt 0x0
	s_barrier_signal -1
	s_barrier_wait -1
	s_and_saveexec_b32 s10, s92
	s_cbranch_execz .LBB131_377
; %bb.376:                              ;   in Loop: Header=BB131_3 Depth=1
	ds_load_b64 v[38:39], v5 offset:11448
	ds_load_b64 v[40:41], v3
	s_wait_dscnt 0x0
	v_fmac_f64_e32 v[36:37], v[38:39], v[40:41]
.LBB131_377:                            ;   in Loop: Header=BB131_3 Depth=1
	s_or_b32 exec_lo, exec_lo, s10
	s_barrier_signal -1
	s_barrier_wait -1
	s_and_saveexec_b32 s10, s92
	s_cbranch_execz .LBB131_379
; %bb.378:                              ;   in Loop: Header=BB131_3 Depth=1
	ds_load_b64 v[38:39], v5 offset:11960
	s_wait_dscnt 0x0
	v_mul_f64_e32 v[36:37], v[36:37], v[38:39]
	ds_store_b64 v3, v[36:37]
.LBB131_379:                            ;   in Loop: Header=BB131_3 Depth=1
	s_or_b32 exec_lo, exec_lo, s10
	s_wait_dscnt 0x0
	s_barrier_signal -1
	s_barrier_wait -1
	s_barrier_signal -1
	s_barrier_wait -1
	s_and_saveexec_b32 s10, s1
; %bb.380:                              ;   in Loop: Header=BB131_3 Depth=1
	s_delay_alu instid0(VALU_DEP_1)
	v_xor_b32_e32 v37, 0x80000000, v37
	ds_store_b64 v43, v[36:37] offset:10416
; %bb.381:                              ;   in Loop: Header=BB131_3 Depth=1
	s_or_b32 exec_lo, exec_lo, s10
	s_wait_dscnt 0x0
	s_barrier_signal -1
	s_barrier_wait -1
	s_barrier_signal -1
	s_barrier_wait -1
	s_and_saveexec_b32 s10, s93
	s_cbranch_execz .LBB131_383
; %bb.382:                              ;   in Loop: Header=BB131_3 Depth=1
	ds_load_b64 v[36:37], v57 offset:10416
	s_wait_dscnt 0x0
	ds_store_b64 v54, v[36:37] offset:11424
	ds_load_b64 v[36:37], v57 offset:10424
	s_wait_dscnt 0x0
	ds_store_b64 v54, v[36:37] offset:11936
.LBB131_383:                            ;   in Loop: Header=BB131_3 Depth=1
	s_or_b32 exec_lo, exec_lo, s10
	s_wait_dscnt 0x0
	s_barrier_signal -1
	s_barrier_wait -1
	s_and_saveexec_b32 s10, s14
	s_cbranch_execz .LBB131_385
; %bb.384:                              ;   in Loop: Header=BB131_3 Depth=1
	ds_load_b128 v[36:39], v5 offset:11440
	ds_load_b64 v[40:41], v5 offset:11960
	s_wait_dscnt 0x0
	v_mul_f64_e32 v[36:37], v[36:37], v[40:41]
	s_delay_alu instid0(VALU_DEP_1)
	v_mul_f64_e32 v[36:37], v[38:39], v[36:37]
	v_add_nc_u32_e64 v38, 0x2800, 0
	ds_store_2addr_b64 v38, v[36:37], v[36:37] offset0:151 offset1:214
.LBB131_385:                            ;   in Loop: Header=BB131_3 Depth=1
	s_or_b32 exec_lo, exec_lo, s10
	v_mov_b64_e32 v[36:37], 0
	s_wait_dscnt 0x0
	s_barrier_signal -1
	s_barrier_wait -1
	s_and_saveexec_b32 s10, s4
	s_cbranch_execz .LBB131_395
; %bb.386:                              ;   in Loop: Header=BB131_3 Depth=1
	ds_load_b64 v[36:37], v59 offset:8384
	ds_load_b64 v[38:39], v55 offset:8320
	s_wait_dscnt 0x0
	v_fma_f64 v[36:37], v[36:37], v[38:39], 0
	s_and_saveexec_b32 s12, s18
	s_cbranch_execnz .LBB131_1115
; %bb.387:                              ;   in Loop: Header=BB131_3 Depth=1
	s_or_b32 exec_lo, exec_lo, s12
	s_and_saveexec_b32 s12, s19
	s_cbranch_execnz .LBB131_1116
.LBB131_388:                            ;   in Loop: Header=BB131_3 Depth=1
	s_or_b32 exec_lo, exec_lo, s12
	s_and_saveexec_b32 s12, s20
	s_cbranch_execnz .LBB131_1117
.LBB131_389:                            ;   in Loop: Header=BB131_3 Depth=1
	s_or_b32 exec_lo, exec_lo, s12
	s_and_saveexec_b32 s12, s21
	s_cbranch_execnz .LBB131_1118
.LBB131_390:                            ;   in Loop: Header=BB131_3 Depth=1
	s_or_b32 exec_lo, exec_lo, s12
	s_and_saveexec_b32 s12, s22
	s_cbranch_execnz .LBB131_1119
.LBB131_391:                            ;   in Loop: Header=BB131_3 Depth=1
	s_or_b32 exec_lo, exec_lo, s12
	s_and_saveexec_b32 s12, s3
	s_cbranch_execnz .LBB131_1120
.LBB131_392:                            ;   in Loop: Header=BB131_3 Depth=1
	s_or_b32 exec_lo, exec_lo, s12
	s_and_saveexec_b32 s12, s17
	s_cbranch_execz .LBB131_394
.LBB131_393:                            ;   in Loop: Header=BB131_3 Depth=1
	ds_load_b64 v[38:39], v61 offset:11968
	ds_load_b64 v[40:41], v5 offset:8376
	s_wait_dscnt 0x0
	v_fmac_f64_e32 v[36:37], v[38:39], v[40:41]
.LBB131_394:                            ;   in Loop: Header=BB131_3 Depth=1
	s_or_b32 exec_lo, exec_lo, s12
	s_delay_alu instid0(VALU_DEP_1)
	v_xor_b32_e32 v37, 0x80000000, v37
.LBB131_395:                            ;   in Loop: Header=BB131_3 Depth=1
	s_or_b32 exec_lo, exec_lo, s10
	s_and_saveexec_b32 s10, s101
	s_cbranch_execz .LBB131_397
; %bb.396:                              ;   in Loop: Header=BB131_3 Depth=1
	ds_load_b64 v[38:39], v5 offset:12480
	s_wait_dscnt 0x0
	v_mul_f64_e32 v[36:37], v[36:37], v[38:39]
	ds_store_b64 v58, v[36:37]
.LBB131_397:                            ;   in Loop: Header=BB131_3 Depth=1
	s_or_b32 exec_lo, exec_lo, s10
	s_wait_dscnt 0x0
	s_barrier_signal -1
	s_barrier_wait -1
	s_and_saveexec_b32 s10, s102
	s_cbranch_execz .LBB131_399
; %bb.398:                              ;   in Loop: Header=BB131_3 Depth=1
	ds_load_b64 v[38:39], v56 offset:12480
	ds_load_b64 v[40:41], v58
	s_wait_dscnt 0x0
	v_fmac_f64_e32 v[36:37], v[38:39], v[40:41]
.LBB131_399:                            ;   in Loop: Header=BB131_3 Depth=1
	s_or_b32 exec_lo, exec_lo, s10
	s_barrier_signal -1
	s_barrier_wait -1
	s_and_saveexec_b32 s10, s103
	s_cbranch_execz .LBB131_401
; %bb.400:                              ;   in Loop: Header=BB131_3 Depth=1
	ds_load_b64 v[38:39], v5 offset:13000
	s_wait_dscnt 0x0
	v_mul_f64_e32 v[36:37], v[36:37], v[38:39]
	ds_store_b64 v58, v[36:37]
.LBB131_401:                            ;   in Loop: Header=BB131_3 Depth=1
	s_or_b32 exec_lo, exec_lo, s10
	s_wait_dscnt 0x0
	s_barrier_signal -1
	s_barrier_wait -1
	s_and_saveexec_b32 s10, s104
	s_cbranch_execz .LBB131_403
; %bb.402:                              ;   in Loop: Header=BB131_3 Depth=1
	ds_load_b64 v[38:39], v56 offset:12992
	ds_load_b64 v[40:41], v58
	s_wait_dscnt 0x0
	v_fmac_f64_e32 v[36:37], v[38:39], v[40:41]
.LBB131_403:                            ;   in Loop: Header=BB131_3 Depth=1
	s_or_b32 exec_lo, exec_lo, s10
	s_barrier_signal -1
	s_barrier_wait -1
	s_and_saveexec_b32 s10, vcc_hi
	s_cbranch_execz .LBB131_405
; %bb.404:                              ;   in Loop: Header=BB131_3 Depth=1
	ds_load_b64 v[38:39], v5 offset:13520
	s_wait_dscnt 0x0
	v_mul_f64_e32 v[36:37], v[36:37], v[38:39]
	ds_store_b64 v58, v[36:37]
.LBB131_405:                            ;   in Loop: Header=BB131_3 Depth=1
	s_or_b32 exec_lo, exec_lo, s10
	s_wait_dscnt 0x0
	s_barrier_signal -1
	s_barrier_wait -1
	s_and_saveexec_b32 s10, s36
	s_cbranch_execz .LBB131_407
; %bb.406:                              ;   in Loop: Header=BB131_3 Depth=1
	ds_load_b64 v[38:39], v56 offset:13504
	ds_load_b64 v[40:41], v58
	s_wait_dscnt 0x0
	v_fmac_f64_e32 v[36:37], v[38:39], v[40:41]
.LBB131_407:                            ;   in Loop: Header=BB131_3 Depth=1
	s_or_b32 exec_lo, exec_lo, s10
	s_barrier_signal -1
	s_barrier_wait -1
	s_and_saveexec_b32 s10, s37
	s_cbranch_execz .LBB131_409
; %bb.408:                              ;   in Loop: Header=BB131_3 Depth=1
	ds_load_b64 v[38:39], v5 offset:14040
	s_wait_dscnt 0x0
	v_mul_f64_e32 v[36:37], v[36:37], v[38:39]
	ds_store_b64 v58, v[36:37]
.LBB131_409:                            ;   in Loop: Header=BB131_3 Depth=1
	s_or_b32 exec_lo, exec_lo, s10
	s_wait_dscnt 0x0
	s_barrier_signal -1
	s_barrier_wait -1
	s_and_saveexec_b32 s10, s38
	s_cbranch_execz .LBB131_411
; %bb.410:                              ;   in Loop: Header=BB131_3 Depth=1
	ds_load_b64 v[38:39], v56 offset:14016
	ds_load_b64 v[40:41], v58
	s_wait_dscnt 0x0
	v_fmac_f64_e32 v[36:37], v[38:39], v[40:41]
.LBB131_411:                            ;   in Loop: Header=BB131_3 Depth=1
	s_or_b32 exec_lo, exec_lo, s10
	s_barrier_signal -1
	s_barrier_wait -1
	s_and_saveexec_b32 s10, s39
	;; [unrolled: 23-line block ×5, first 2 shown]
	s_cbranch_execz .LBB131_425
; %bb.424:                              ;   in Loop: Header=BB131_3 Depth=1
	ds_load_b64 v[38:39], v5 offset:16120
	s_wait_dscnt 0x0
	v_mul_f64_e32 v[36:37], v[36:37], v[38:39]
	ds_store_b64 v58, v[36:37]
.LBB131_425:                            ;   in Loop: Header=BB131_3 Depth=1
	s_or_b32 exec_lo, exec_lo, s10
	s_wait_dscnt 0x0
	s_barrier_signal -1
	s_barrier_wait -1
	s_barrier_signal -1
	s_barrier_wait -1
	s_and_saveexec_b32 s10, s4
; %bb.426:                              ;   in Loop: Header=BB131_3 Depth=1
	s_delay_alu instid0(VALU_DEP_1)
	v_xor_b32_e32 v37, 0x80000000, v37
	ds_store_b64 v59, v[36:37] offset:8384
; %bb.427:                              ;   in Loop: Header=BB131_3 Depth=1
	s_or_b32 exec_lo, exec_lo, s10
	s_wait_dscnt 0x0
	s_barrier_signal -1
	s_barrier_wait -1
	s_barrier_signal -1
	s_barrier_wait -1
	s_and_saveexec_b32 s10, s45
	s_cbranch_execz .LBB131_429
; %bb.428:                              ;   in Loop: Header=BB131_3 Depth=1
	ds_load_b64 v[36:37], v63 offset:8384
	s_wait_dscnt 0x0
	ds_store_b64 v71, v[36:37] offset:12416
	ds_load_b64 v[36:37], v63 offset:8392
	s_wait_dscnt 0x0
	ds_store_b64 v71, v[36:37] offset:12928
	;; [unrolled: 3-line block ×8, first 2 shown]
.LBB131_429:                            ;   in Loop: Header=BB131_3 Depth=1
	s_or_b32 exec_lo, exec_lo, s10
	s_wait_dscnt 0x0
	s_barrier_signal -1
	s_barrier_wait -1
	s_and_saveexec_b32 s10, s14
	s_cbranch_execz .LBB131_431
; %bb.430:                              ;   in Loop: Header=BB131_3 Depth=1
	ds_load_b128 v[36:39], v5 offset:12480
	ds_load_b64 v[40:41], v5 offset:13000
	s_wait_dscnt 0x0
	v_mul_f64_e32 v[36:37], v[36:37], v[40:41]
	s_delay_alu instid0(VALU_DEP_1)
	v_mul_f64_e32 v[36:37], v[38:39], v[36:37]
	v_add_nc_u32_e64 v38, 0x3000, 0
	ds_store_2addr_b64 v38, v[36:37], v[36:37] offset0:25 offset1:88
.LBB131_431:                            ;   in Loop: Header=BB131_3 Depth=1
	s_or_b32 exec_lo, exec_lo, s10
	v_mov_b64_e32 v[36:37], 0
	s_wait_dscnt 0x0
	s_barrier_signal -1
	s_barrier_wait -1
	s_and_saveexec_b32 s10, s1
	s_cbranch_execz .LBB131_435
; %bb.432:                              ;   in Loop: Header=BB131_3 Depth=1
	ds_load_b64 v[36:37], v43 offset:12496
	ds_load_b64 v[38:39], v44 offset:12480
	s_wait_dscnt 0x0
	v_fma_f64 v[36:37], v[36:37], v[38:39], 0
	s_and_saveexec_b32 s12, s15
	s_cbranch_execz .LBB131_434
; %bb.433:                              ;   in Loop: Header=BB131_3 Depth=1
	ds_load_b64 v[38:39], v71 offset:13008
	ds_load_b64 v[40:41], v5 offset:12488
	s_wait_dscnt 0x0
	v_fmac_f64_e32 v[36:37], v[38:39], v[40:41]
.LBB131_434:                            ;   in Loop: Header=BB131_3 Depth=1
	s_or_b32 exec_lo, exec_lo, s12
	s_delay_alu instid0(VALU_DEP_1)
	v_xor_b32_e32 v37, 0x80000000, v37
.LBB131_435:                            ;   in Loop: Header=BB131_3 Depth=1
	s_or_b32 exec_lo, exec_lo, s10
	s_and_saveexec_b32 s10, s91
	s_cbranch_execz .LBB131_437
; %bb.436:                              ;   in Loop: Header=BB131_3 Depth=1
	ds_load_b64 v[38:39], v5 offset:13520
	s_wait_dscnt 0x0
	v_mul_f64_e32 v[36:37], v[36:37], v[38:39]
	ds_store_b64 v3, v[36:37]
.LBB131_437:                            ;   in Loop: Header=BB131_3 Depth=1
	s_or_b32 exec_lo, exec_lo, s10
	s_wait_dscnt 0x0
	s_barrier_signal -1
	s_barrier_wait -1
	s_and_saveexec_b32 s10, s92
	s_cbranch_execz .LBB131_439
; %bb.438:                              ;   in Loop: Header=BB131_3 Depth=1
	ds_load_b64 v[38:39], v5 offset:13528
	ds_load_b64 v[40:41], v3
	s_wait_dscnt 0x0
	v_fmac_f64_e32 v[36:37], v[38:39], v[40:41]
.LBB131_439:                            ;   in Loop: Header=BB131_3 Depth=1
	s_or_b32 exec_lo, exec_lo, s10
	s_barrier_signal -1
	s_barrier_wait -1
	s_and_saveexec_b32 s10, s92
	s_cbranch_execz .LBB131_441
; %bb.440:                              ;   in Loop: Header=BB131_3 Depth=1
	ds_load_b64 v[38:39], v5 offset:14040
	s_wait_dscnt 0x0
	v_mul_f64_e32 v[36:37], v[36:37], v[38:39]
	ds_store_b64 v3, v[36:37]
.LBB131_441:                            ;   in Loop: Header=BB131_3 Depth=1
	s_or_b32 exec_lo, exec_lo, s10
	s_wait_dscnt 0x0
	s_barrier_signal -1
	s_barrier_wait -1
	s_barrier_signal -1
	s_barrier_wait -1
	s_and_saveexec_b32 s10, s1
; %bb.442:                              ;   in Loop: Header=BB131_3 Depth=1
	s_delay_alu instid0(VALU_DEP_1)
	v_xor_b32_e32 v37, 0x80000000, v37
	ds_store_b64 v43, v[36:37] offset:12496
; %bb.443:                              ;   in Loop: Header=BB131_3 Depth=1
	s_or_b32 exec_lo, exec_lo, s10
	s_wait_dscnt 0x0
	s_barrier_signal -1
	s_barrier_wait -1
	s_barrier_signal -1
	s_barrier_wait -1
	s_and_saveexec_b32 s10, s93
	s_cbranch_execz .LBB131_445
; %bb.444:                              ;   in Loop: Header=BB131_3 Depth=1
	ds_load_b64 v[36:37], v72 offset:12496
	s_wait_dscnt 0x0
	ds_store_b64 v71, v[36:37] offset:13504
	ds_load_b64 v[36:37], v72 offset:12504
	s_wait_dscnt 0x0
	ds_store_b64 v71, v[36:37] offset:14016
.LBB131_445:                            ;   in Loop: Header=BB131_3 Depth=1
	s_or_b32 exec_lo, exec_lo, s10
	s_wait_dscnt 0x0
	s_barrier_signal -1
	s_barrier_wait -1
	s_and_saveexec_b32 s10, s14
	s_cbranch_execz .LBB131_447
; %bb.446:                              ;   in Loop: Header=BB131_3 Depth=1
	ds_load_b128 v[36:39], v5 offset:13520
	ds_load_b64 v[40:41], v5 offset:14040
	s_wait_dscnt 0x0
	v_mul_f64_e32 v[36:37], v[36:37], v[40:41]
	s_delay_alu instid0(VALU_DEP_1)
	v_mul_f64_e32 v[36:37], v[38:39], v[36:37]
	v_add_nc_u32_e64 v38, 0x3000, 0
	ds_store_2addr_b64 v38, v[36:37], v[36:37] offset0:155 offset1:218
.LBB131_447:                            ;   in Loop: Header=BB131_3 Depth=1
	s_or_b32 exec_lo, exec_lo, s10
	v_mov_b64_e32 v[36:37], 0
	s_wait_dscnt 0x0
	s_barrier_signal -1
	s_barrier_wait -1
	s_and_saveexec_b32 s10, s3
	s_cbranch_execz .LBB131_453
; %bb.448:                              ;   in Loop: Header=BB131_3 Depth=1
	ds_load_b64 v[36:37], v50 offset:12512
	ds_load_b64 v[38:39], v46 offset:12480
	s_wait_dscnt 0x0
	v_fma_f64 v[36:37], v[36:37], v[38:39], 0
	s_and_saveexec_b32 s12, s16
	s_cbranch_execnz .LBB131_1121
; %bb.449:                              ;   in Loop: Header=BB131_3 Depth=1
	s_or_b32 exec_lo, exec_lo, s12
	s_and_saveexec_b32 s12, s17
	s_cbranch_execnz .LBB131_1122
.LBB131_450:                            ;   in Loop: Header=BB131_3 Depth=1
	s_or_b32 exec_lo, exec_lo, s12
	s_and_saveexec_b32 s12, s1
	s_cbranch_execz .LBB131_452
.LBB131_451:                            ;   in Loop: Header=BB131_3 Depth=1
	ds_load_b64 v[38:39], v73 offset:14048
	ds_load_b64 v[40:41], v5 offset:12504
	s_wait_dscnt 0x0
	v_fmac_f64_e32 v[36:37], v[38:39], v[40:41]
.LBB131_452:                            ;   in Loop: Header=BB131_3 Depth=1
	s_or_b32 exec_lo, exec_lo, s12
	s_delay_alu instid0(VALU_DEP_1)
	v_xor_b32_e32 v37, 0x80000000, v37
.LBB131_453:                            ;   in Loop: Header=BB131_3 Depth=1
	s_or_b32 exec_lo, exec_lo, s10
	s_and_saveexec_b32 s10, s94
	s_cbranch_execz .LBB131_455
; %bb.454:                              ;   in Loop: Header=BB131_3 Depth=1
	ds_load_b64 v[38:39], v5 offset:14560
	s_wait_dscnt 0x0
	v_mul_f64_e32 v[36:37], v[36:37], v[38:39]
	ds_store_b64 v49, v[36:37]
.LBB131_455:                            ;   in Loop: Header=BB131_3 Depth=1
	s_or_b32 exec_lo, exec_lo, s10
	s_wait_dscnt 0x0
	s_barrier_signal -1
	s_barrier_wait -1
	s_and_saveexec_b32 s10, s95
	s_cbranch_execz .LBB131_457
; %bb.456:                              ;   in Loop: Header=BB131_3 Depth=1
	ds_load_b64 v[38:39], v47 offset:14560
	ds_load_b64 v[40:41], v49
	s_wait_dscnt 0x0
	v_fmac_f64_e32 v[36:37], v[38:39], v[40:41]
.LBB131_457:                            ;   in Loop: Header=BB131_3 Depth=1
	s_or_b32 exec_lo, exec_lo, s10
	s_barrier_signal -1
	s_barrier_wait -1
	s_and_saveexec_b32 s10, s96
	s_cbranch_execz .LBB131_459
; %bb.458:                              ;   in Loop: Header=BB131_3 Depth=1
	ds_load_b64 v[38:39], v5 offset:15080
	s_wait_dscnt 0x0
	v_mul_f64_e32 v[36:37], v[36:37], v[38:39]
	ds_store_b64 v49, v[36:37]
.LBB131_459:                            ;   in Loop: Header=BB131_3 Depth=1
	s_or_b32 exec_lo, exec_lo, s10
	s_wait_dscnt 0x0
	s_barrier_signal -1
	s_barrier_wait -1
	s_and_saveexec_b32 s10, s97
	s_cbranch_execz .LBB131_461
; %bb.460:                              ;   in Loop: Header=BB131_3 Depth=1
	ds_load_b64 v[38:39], v47 offset:15072
	ds_load_b64 v[40:41], v49
	s_wait_dscnt 0x0
	v_fmac_f64_e32 v[36:37], v[38:39], v[40:41]
.LBB131_461:                            ;   in Loop: Header=BB131_3 Depth=1
	s_or_b32 exec_lo, exec_lo, s10
	s_barrier_signal -1
	s_barrier_wait -1
	;; [unrolled: 23-line block ×3, first 2 shown]
	s_and_saveexec_b32 s10, s99
	s_cbranch_execz .LBB131_467
; %bb.466:                              ;   in Loop: Header=BB131_3 Depth=1
	ds_load_b64 v[38:39], v5 offset:16120
	s_wait_dscnt 0x0
	v_mul_f64_e32 v[36:37], v[36:37], v[38:39]
	ds_store_b64 v49, v[36:37]
.LBB131_467:                            ;   in Loop: Header=BB131_3 Depth=1
	s_or_b32 exec_lo, exec_lo, s10
	s_wait_dscnt 0x0
	s_barrier_signal -1
	s_barrier_wait -1
	s_barrier_signal -1
	s_barrier_wait -1
	s_and_saveexec_b32 s10, s3
; %bb.468:                              ;   in Loop: Header=BB131_3 Depth=1
	s_delay_alu instid0(VALU_DEP_1)
	v_xor_b32_e32 v37, 0x80000000, v37
	ds_store_b64 v50, v[36:37] offset:12512
; %bb.469:                              ;   in Loop: Header=BB131_3 Depth=1
	s_or_b32 exec_lo, exec_lo, s10
	s_wait_dscnt 0x0
	s_barrier_signal -1
	s_barrier_wait -1
	s_barrier_signal -1
	s_barrier_wait -1
	s_and_saveexec_b32 s10, s100
	s_cbranch_execz .LBB131_471
; %bb.470:                              ;   in Loop: Header=BB131_3 Depth=1
	ds_load_b64 v[36:37], v74 offset:12512
	s_wait_dscnt 0x0
	ds_store_b64 v77, v[36:37] offset:14528
	ds_load_b64 v[36:37], v74 offset:12520
	s_wait_dscnt 0x0
	ds_store_b64 v77, v[36:37] offset:15040
	;; [unrolled: 3-line block ×4, first 2 shown]
.LBB131_471:                            ;   in Loop: Header=BB131_3 Depth=1
	s_or_b32 exec_lo, exec_lo, s10
	s_wait_dscnt 0x0
	s_barrier_signal -1
	s_barrier_wait -1
	s_and_saveexec_b32 s10, s14
	s_cbranch_execz .LBB131_473
; %bb.472:                              ;   in Loop: Header=BB131_3 Depth=1
	ds_load_b128 v[36:39], v5 offset:14560
	ds_load_b64 v[40:41], v5 offset:15080
	s_wait_dscnt 0x0
	v_mul_f64_e32 v[36:37], v[36:37], v[40:41]
	s_delay_alu instid0(VALU_DEP_1)
	v_mul_f64_e32 v[36:37], v[38:39], v[36:37]
	v_add_nc_u32_e64 v38, 0x3800, 0
	ds_store_2addr_b64 v38, v[36:37], v[36:37] offset0:29 offset1:92
.LBB131_473:                            ;   in Loop: Header=BB131_3 Depth=1
	s_or_b32 exec_lo, exec_lo, s10
	v_mov_b64_e32 v[36:37], 0
	s_wait_dscnt 0x0
	s_barrier_signal -1
	s_barrier_wait -1
	s_and_saveexec_b32 s10, s1
	s_cbranch_execz .LBB131_477
; %bb.474:                              ;   in Loop: Header=BB131_3 Depth=1
	ds_load_b64 v[36:37], v43 offset:14576
	ds_load_b64 v[38:39], v44 offset:14560
	s_wait_dscnt 0x0
	v_fma_f64 v[36:37], v[36:37], v[38:39], 0
	s_and_saveexec_b32 s12, s15
	s_cbranch_execz .LBB131_476
; %bb.475:                              ;   in Loop: Header=BB131_3 Depth=1
	ds_load_b64 v[38:39], v77 offset:15088
	ds_load_b64 v[40:41], v5 offset:14568
	s_wait_dscnt 0x0
	v_fmac_f64_e32 v[36:37], v[38:39], v[40:41]
.LBB131_476:                            ;   in Loop: Header=BB131_3 Depth=1
	s_or_b32 exec_lo, exec_lo, s12
	s_delay_alu instid0(VALU_DEP_1)
	v_xor_b32_e32 v37, 0x80000000, v37
.LBB131_477:                            ;   in Loop: Header=BB131_3 Depth=1
	s_or_b32 exec_lo, exec_lo, s10
	s_and_saveexec_b32 s10, s91
	s_cbranch_execz .LBB131_479
; %bb.478:                              ;   in Loop: Header=BB131_3 Depth=1
	ds_load_b64 v[38:39], v5 offset:15600
	s_wait_dscnt 0x0
	v_mul_f64_e32 v[36:37], v[36:37], v[38:39]
	ds_store_b64 v3, v[36:37]
.LBB131_479:                            ;   in Loop: Header=BB131_3 Depth=1
	s_or_b32 exec_lo, exec_lo, s10
	s_wait_dscnt 0x0
	s_barrier_signal -1
	s_barrier_wait -1
	s_and_saveexec_b32 s10, s92
	s_cbranch_execz .LBB131_481
; %bb.480:                              ;   in Loop: Header=BB131_3 Depth=1
	ds_load_b64 v[38:39], v5 offset:15608
	ds_load_b64 v[40:41], v3
	s_wait_dscnt 0x0
	v_fmac_f64_e32 v[36:37], v[38:39], v[40:41]
.LBB131_481:                            ;   in Loop: Header=BB131_3 Depth=1
	s_or_b32 exec_lo, exec_lo, s10
	s_barrier_signal -1
	s_barrier_wait -1
	s_and_saveexec_b32 s10, s92
	s_cbranch_execz .LBB131_483
; %bb.482:                              ;   in Loop: Header=BB131_3 Depth=1
	ds_load_b64 v[38:39], v5 offset:16120
	s_wait_dscnt 0x0
	v_mul_f64_e32 v[36:37], v[36:37], v[38:39]
	ds_store_b64 v3, v[36:37]
.LBB131_483:                            ;   in Loop: Header=BB131_3 Depth=1
	s_or_b32 exec_lo, exec_lo, s10
	s_wait_dscnt 0x0
	s_barrier_signal -1
	s_barrier_wait -1
	s_barrier_signal -1
	s_barrier_wait -1
	s_and_saveexec_b32 s10, s1
; %bb.484:                              ;   in Loop: Header=BB131_3 Depth=1
	s_delay_alu instid0(VALU_DEP_1)
	v_xor_b32_e32 v37, 0x80000000, v37
	ds_store_b64 v43, v[36:37] offset:14576
; %bb.485:                              ;   in Loop: Header=BB131_3 Depth=1
	s_or_b32 exec_lo, exec_lo, s10
	s_wait_dscnt 0x0
	s_barrier_signal -1
	s_barrier_wait -1
	s_barrier_signal -1
	s_barrier_wait -1
	s_and_saveexec_b32 s10, s93
	s_cbranch_execz .LBB131_487
; %bb.486:                              ;   in Loop: Header=BB131_3 Depth=1
	ds_load_b64 v[36:37], v79 offset:14576
	s_wait_dscnt 0x0
	ds_store_b64 v77, v[36:37] offset:15584
	ds_load_b64 v[36:37], v79 offset:14584
	s_wait_dscnt 0x0
	ds_store_b64 v77, v[36:37] offset:16096
.LBB131_487:                            ;   in Loop: Header=BB131_3 Depth=1
	s_or_b32 exec_lo, exec_lo, s10
	s_wait_dscnt 0x0
	s_barrier_signal -1
	s_barrier_wait -1
	s_and_saveexec_b32 s10, s14
	s_cbranch_execz .LBB131_489
; %bb.488:                              ;   in Loop: Header=BB131_3 Depth=1
	ds_load_b128 v[36:39], v5 offset:15600
	ds_load_b64 v[40:41], v5 offset:16120
	s_wait_dscnt 0x0
	v_mul_f64_e32 v[36:37], v[36:37], v[40:41]
	s_delay_alu instid0(VALU_DEP_1)
	v_mul_f64_e32 v[36:37], v[38:39], v[36:37]
	v_add_nc_u32_e64 v38, 0x3800, 0
	ds_store_2addr_b64 v38, v[36:37], v[36:37] offset0:159 offset1:222
.LBB131_489:                            ;   in Loop: Header=BB131_3 Depth=1
	s_or_b32 exec_lo, exec_lo, s10
	v_mov_b64_e32 v[36:37], 0
	s_wait_dscnt 0x0
	s_barrier_signal -1
	s_barrier_wait -1
	s_and_saveexec_b32 s84, s35
	s_cbranch_execz .LBB131_551
; %bb.490:                              ;   in Loop: Header=BB131_3 Depth=1
	v_add_nc_u32_e32 v38, v70, v69
	ds_load_b64 v[36:37], v87 offset:256
	ds_load_b64 v[40:41], v38
	s_wait_dscnt 0x0
	v_fma_f64 v[36:37], v[36:37], v[40:41], 0
	s_mov_b32 s10, exec_lo
	v_readlane_b32 s12, v101, 6
	s_and_b32 s12, s10, s12
	s_delay_alu instid0(SALU_CYCLE_1)
	s_mov_b32 exec_lo, s12
	s_cbranch_execz .LBB131_492
; %bb.491:                              ;   in Loop: Header=BB131_3 Depth=1
	ds_load_b64 v[40:41], v87 offset:768
	ds_load_b64 v[94:95], v38 offset:8
	s_wait_dscnt 0x0
	v_fmac_f64_e32 v[36:37], v[40:41], v[94:95]
.LBB131_492:                            ;   in Loop: Header=BB131_3 Depth=1
	s_or_b32 exec_lo, exec_lo, s10
	s_delay_alu instid0(SALU_CYCLE_1) | instskip(SKIP_2) | instid1(SALU_CYCLE_1)
	s_mov_b32 s10, exec_lo
	v_readlane_b32 s12, v101, 7
	s_and_b32 s12, s10, s12
	s_mov_b32 exec_lo, s12
	s_cbranch_execz .LBB131_494
; %bb.493:                              ;   in Loop: Header=BB131_3 Depth=1
	ds_load_b64 v[40:41], v87 offset:1280
	ds_load_b64 v[94:95], v38 offset:16
	s_wait_dscnt 0x0
	v_fmac_f64_e32 v[36:37], v[40:41], v[94:95]
.LBB131_494:                            ;   in Loop: Header=BB131_3 Depth=1
	s_or_b32 exec_lo, exec_lo, s10
	s_delay_alu instid0(SALU_CYCLE_1) | instskip(SKIP_2) | instid1(SALU_CYCLE_1)
	s_mov_b32 s10, exec_lo
	v_readlane_b32 s12, v101, 8
	s_and_b32 s12, s10, s12
	;; [unrolled: 13-line block ×22, first 2 shown]
	s_mov_b32 exec_lo, s12
	s_cbranch_execz .LBB131_536
; %bb.535:                              ;   in Loop: Header=BB131_3 Depth=1
	ds_load_b64 v[40:41], v87 offset:12032
	ds_load_b64 v[94:95], v38 offset:184
	s_wait_dscnt 0x0
	v_fmac_f64_e32 v[36:37], v[40:41], v[94:95]
.LBB131_536:                            ;   in Loop: Header=BB131_3 Depth=1
	s_or_b32 exec_lo, exec_lo, s10
	s_and_saveexec_b32 s10, s5
	s_cbranch_execz .LBB131_538
; %bb.537:                              ;   in Loop: Header=BB131_3 Depth=1
	ds_load_b64 v[40:41], v87 offset:12544
	ds_load_b64 v[94:95], v38 offset:192
	s_wait_dscnt 0x0
	v_fmac_f64_e32 v[36:37], v[40:41], v[94:95]
.LBB131_538:                            ;   in Loop: Header=BB131_3 Depth=1
	s_or_b32 exec_lo, exec_lo, s10
	s_delay_alu instid0(SALU_CYCLE_1) | instskip(SKIP_2) | instid1(SALU_CYCLE_1)
	s_mov_b32 s10, exec_lo
	v_readlane_b32 s12, v102, 28
	s_and_b32 s12, s10, s12
	s_mov_b32 exec_lo, s12
	s_cbranch_execz .LBB131_540
; %bb.539:                              ;   in Loop: Header=BB131_3 Depth=1
	ds_load_b64 v[40:41], v87 offset:13056
	ds_load_b64 v[94:95], v38 offset:200
	s_wait_dscnt 0x0
	v_fmac_f64_e32 v[36:37], v[40:41], v[94:95]
.LBB131_540:                            ;   in Loop: Header=BB131_3 Depth=1
	s_or_b32 exec_lo, exec_lo, s10
	s_delay_alu instid0(SALU_CYCLE_1) | instskip(SKIP_2) | instid1(SALU_CYCLE_1)
	s_mov_b32 s10, exec_lo
	v_readlane_b32 s12, v102, 30
	s_and_b32 s12, s10, s12
	s_mov_b32 exec_lo, s12
	;; [unrolled: 13-line block ×5, first 2 shown]
	s_cbranch_execnz .LBB131_1123
; %bb.547:                              ;   in Loop: Header=BB131_3 Depth=1
	s_or_b32 exec_lo, exec_lo, s10
	s_and_saveexec_b32 s10, s4
	s_cbranch_execnz .LBB131_1124
.LBB131_548:                            ;   in Loop: Header=BB131_3 Depth=1
	s_or_b32 exec_lo, exec_lo, s10
	s_and_saveexec_b32 s10, s21
	s_cbranch_execz .LBB131_550
.LBB131_549:                            ;   in Loop: Header=BB131_3 Depth=1
	ds_load_b64 v[38:39], v45 offset:16128
	ds_load_b64 v[40:41], v5 offset:248
	s_wait_dscnt 0x0
	v_fmac_f64_e32 v[36:37], v[38:39], v[40:41]
.LBB131_550:                            ;   in Loop: Header=BB131_3 Depth=1
	s_or_b32 exec_lo, exec_lo, s10
	s_delay_alu instid0(VALU_DEP_1)
	v_xor_b32_e32 v37, 0x80000000, v37
.LBB131_551:                            ;   in Loop: Header=BB131_3 Depth=1
	s_or_b32 exec_lo, exec_lo, s84
	v_dual_mov_b32 v38, v68 :: v_dual_mov_b32 v39, v84
	s_mov_b32 s10, 0
	s_branch .LBB131_553
.LBB131_552:                            ;   in Loop: Header=BB131_553 Depth=2
	s_or_b32 exec_lo, exec_lo, s12
	v_add_nc_u32_e32 v39, 0x800, v39
	v_add_nc_u32_e32 v38, -4, v38
	s_add_co_i32 s10, s10, 4
	s_delay_alu instid0(SALU_CYCLE_1)
	s_cmp_eq_u32 s10, 32
	s_barrier_signal -1
	s_barrier_wait -1
	s_cbranch_scc1 .LBB131_569
.LBB131_553:                            ;   Parent Loop BB131_3 Depth=1
                                        ; =>  This Inner Loop Header: Depth=2
	s_delay_alu instid0(VALU_DEP_1) | instskip(SKIP_1) | instid1(SALU_CYCLE_1)
	v_cmp_eq_u32_e32 vcc_lo, 0, v38
	s_and_b32 s50, s13, vcc_lo
	s_and_saveexec_b32 s12, s50
	s_cbranch_execz .LBB131_555
; %bb.554:                              ;   in Loop: Header=BB131_553 Depth=2
	ds_load_b64 v[40:41], v83 offset:16640
	s_wait_dscnt 0x0
	v_mul_f64_e32 v[36:37], v[36:37], v[40:41]
	ds_store_b64 v86, v[36:37]
.LBB131_555:                            ;   in Loop: Header=BB131_553 Depth=2
	s_or_b32 exec_lo, exec_lo, s12
	v_cmp_lt_u32_e32 vcc_lo, s10, v68
	s_wait_dscnt 0x0
	s_barrier_signal -1
	s_barrier_wait -1
	s_and_b32 s50, s13, vcc_lo
	s_delay_alu instid0(SALU_CYCLE_1)
	s_and_saveexec_b32 s12, s50
	s_cbranch_execz .LBB131_557
; %bb.556:                              ;   in Loop: Header=BB131_553 Depth=2
	ds_load_b64 v[40:41], v39
	ds_load_b64 v[94:95], v86
	s_wait_dscnt 0x0
	v_fmac_f64_e32 v[36:37], v[40:41], v[94:95]
.LBB131_557:                            ;   in Loop: Header=BB131_553 Depth=2
	s_or_b32 exec_lo, exec_lo, s12
	s_or_b32 s12, s10, 1
	s_delay_alu instid0(SALU_CYCLE_1) | instskip(SKIP_3) | instid1(SALU_CYCLE_1)
	v_cmp_eq_u32_e32 vcc_lo, s12, v68
	s_barrier_signal -1
	s_barrier_wait -1
	s_and_b32 s51, s13, vcc_lo
	s_and_saveexec_b32 s50, s51
	s_cbranch_execz .LBB131_559
; %bb.558:                              ;   in Loop: Header=BB131_553 Depth=2
	ds_load_b64 v[40:41], v83 offset:16640
	s_wait_dscnt 0x0
	v_mul_f64_e32 v[36:37], v[36:37], v[40:41]
	ds_store_b64 v86, v[36:37]
.LBB131_559:                            ;   in Loop: Header=BB131_553 Depth=2
	s_or_b32 exec_lo, exec_lo, s50
	v_cmp_lt_u32_e32 vcc_lo, s12, v68
	s_wait_dscnt 0x0
	s_barrier_signal -1
	s_barrier_wait -1
	s_and_b32 s50, s13, vcc_lo
	s_delay_alu instid0(SALU_CYCLE_1)
	s_and_saveexec_b32 s12, s50
	s_cbranch_execz .LBB131_561
; %bb.560:                              ;   in Loop: Header=BB131_553 Depth=2
	ds_load_b64 v[40:41], v39 offset:512
	ds_load_b64 v[94:95], v86
	s_wait_dscnt 0x0
	v_fmac_f64_e32 v[36:37], v[40:41], v[94:95]
.LBB131_561:                            ;   in Loop: Header=BB131_553 Depth=2
	s_or_b32 exec_lo, exec_lo, s12
	s_or_b32 s12, s10, 2
	s_delay_alu instid0(SALU_CYCLE_1) | instskip(SKIP_3) | instid1(SALU_CYCLE_1)
	v_cmp_eq_u32_e32 vcc_lo, s12, v68
	s_barrier_signal -1
	s_barrier_wait -1
	s_and_b32 s51, s13, vcc_lo
	s_and_saveexec_b32 s50, s51
	s_cbranch_execz .LBB131_563
; %bb.562:                              ;   in Loop: Header=BB131_553 Depth=2
	ds_load_b64 v[40:41], v83 offset:16640
	s_wait_dscnt 0x0
	v_mul_f64_e32 v[36:37], v[36:37], v[40:41]
	ds_store_b64 v86, v[36:37]
.LBB131_563:                            ;   in Loop: Header=BB131_553 Depth=2
	s_or_b32 exec_lo, exec_lo, s50
	v_cmp_lt_u32_e32 vcc_lo, s12, v68
	s_wait_dscnt 0x0
	s_barrier_signal -1
	s_barrier_wait -1
	s_and_b32 s50, s13, vcc_lo
	s_delay_alu instid0(SALU_CYCLE_1)
	s_and_saveexec_b32 s12, s50
	s_cbranch_execz .LBB131_565
; %bb.564:                              ;   in Loop: Header=BB131_553 Depth=2
	ds_load_b64 v[40:41], v39 offset:1024
	ds_load_b64 v[94:95], v86
	s_wait_dscnt 0x0
	v_fmac_f64_e32 v[36:37], v[40:41], v[94:95]
.LBB131_565:                            ;   in Loop: Header=BB131_553 Depth=2
	s_or_b32 exec_lo, exec_lo, s12
	s_or_b32 s12, s10, 3
	s_delay_alu instid0(SALU_CYCLE_1) | instskip(SKIP_3) | instid1(SALU_CYCLE_1)
	v_cmp_eq_u32_e32 vcc_lo, s12, v68
	s_barrier_signal -1
	s_barrier_wait -1
	s_and_b32 s51, s13, vcc_lo
	s_and_saveexec_b32 s50, s51
	s_cbranch_execz .LBB131_567
; %bb.566:                              ;   in Loop: Header=BB131_553 Depth=2
	ds_load_b64 v[40:41], v83 offset:16640
	s_wait_dscnt 0x0
	v_mul_f64_e32 v[36:37], v[36:37], v[40:41]
	ds_store_b64 v86, v[36:37]
.LBB131_567:                            ;   in Loop: Header=BB131_553 Depth=2
	s_or_b32 exec_lo, exec_lo, s50
	v_cmp_lt_u32_e32 vcc_lo, s12, v68
	s_wait_dscnt 0x0
	s_barrier_signal -1
	s_barrier_wait -1
	s_and_b32 s50, s13, vcc_lo
	s_delay_alu instid0(SALU_CYCLE_1)
	s_and_saveexec_b32 s12, s50
	s_cbranch_execz .LBB131_552
; %bb.568:                              ;   in Loop: Header=BB131_553 Depth=2
	ds_load_b64 v[40:41], v39 offset:1536
	ds_load_b64 v[94:95], v86
	s_wait_dscnt 0x0
	v_fmac_f64_e32 v[36:37], v[40:41], v[94:95]
	s_branch .LBB131_552
.LBB131_569:                            ;   in Loop: Header=BB131_3 Depth=1
	s_and_saveexec_b32 s10, s35
; %bb.570:                              ;   in Loop: Header=BB131_3 Depth=1
	s_delay_alu instid0(VALU_DEP_3)
	v_xor_b32_e32 v37, 0x80000000, v37
	ds_store_b64 v87, v[36:37] offset:256
; %bb.571:                              ;   in Loop: Header=BB131_3 Depth=1
	s_or_b32 exec_lo, exec_lo, s10
	s_wait_dscnt 0x0
	s_barrier_signal -1
	s_barrier_wait -1
	s_barrier_signal -1
	s_barrier_wait -1
	s_mov_b32 s10, exec_lo
	v_readlane_b32 s12, v102, 9
	s_and_b32 s12, s10, s12
	s_delay_alu instid0(SALU_CYCLE_1)
	s_mov_b32 exec_lo, s12
	s_cbranch_execz .LBB131_573
; %bb.572:                              ;   in Loop: Header=BB131_3 Depth=1
	ds_load_b64 v[36:37], v48 offset:256
	s_wait_dscnt 0x0
	ds_store_b64 v52, v[36:37] offset:16384
	ds_load_b64 v[36:37], v48 offset:264
	s_wait_dscnt 0x0
	ds_store_b64 v52, v[36:37] offset:16896
	;; [unrolled: 3-line block ×32, first 2 shown]
.LBB131_573:                            ;   in Loop: Header=BB131_3 Depth=1
	s_or_b32 exec_lo, exec_lo, s10
	s_wait_dscnt 0x0
	s_barrier_signal -1
	s_barrier_wait -1
	s_and_saveexec_b32 s10, s14
	s_cbranch_execz .LBB131_575
; %bb.574:                              ;   in Loop: Header=BB131_3 Depth=1
	ds_load_b128 v[36:39], v5 offset:16640
	ds_load_b64 v[40:41], v5 offset:17160
	s_wait_dscnt 0x0
	v_mul_f64_e32 v[36:37], v[36:37], v[40:41]
	s_delay_alu instid0(VALU_DEP_1)
	v_mul_f64_e32 v[36:37], v[38:39], v[36:37]
	v_add_nc_u32_e64 v38, 0x4000, 0
	ds_store_2addr_b64 v38, v[36:37], v[36:37] offset0:33 offset1:96
.LBB131_575:                            ;   in Loop: Header=BB131_3 Depth=1
	s_or_b32 exec_lo, exec_lo, s10
	v_mov_b64_e32 v[36:37], 0
	s_wait_dscnt 0x0
	s_barrier_signal -1
	s_barrier_wait -1
	s_and_saveexec_b32 s10, s1
	s_cbranch_execz .LBB131_579
; %bb.576:                              ;   in Loop: Header=BB131_3 Depth=1
	ds_load_b64 v[36:37], v43 offset:16656
	ds_load_b64 v[38:39], v44 offset:16640
	s_wait_dscnt 0x0
	v_fma_f64 v[36:37], v[36:37], v[38:39], 0
	s_and_saveexec_b32 s12, s15
	s_cbranch_execz .LBB131_578
; %bb.577:                              ;   in Loop: Header=BB131_3 Depth=1
	ds_load_b64 v[38:39], v45 offset:17168
	ds_load_b64 v[40:41], v5 offset:16648
	s_wait_dscnt 0x0
	v_fmac_f64_e32 v[36:37], v[38:39], v[40:41]
.LBB131_578:                            ;   in Loop: Header=BB131_3 Depth=1
	s_or_b32 exec_lo, exec_lo, s12
	s_delay_alu instid0(VALU_DEP_1)
	v_xor_b32_e32 v37, 0x80000000, v37
.LBB131_579:                            ;   in Loop: Header=BB131_3 Depth=1
	s_or_b32 exec_lo, exec_lo, s10
	s_and_saveexec_b32 s10, s91
	s_cbranch_execz .LBB131_581
; %bb.580:                              ;   in Loop: Header=BB131_3 Depth=1
	ds_load_b64 v[38:39], v5 offset:17680
	s_wait_dscnt 0x0
	v_mul_f64_e32 v[36:37], v[36:37], v[38:39]
	ds_store_b64 v3, v[36:37]
.LBB131_581:                            ;   in Loop: Header=BB131_3 Depth=1
	s_or_b32 exec_lo, exec_lo, s10
	s_wait_dscnt 0x0
	s_barrier_signal -1
	s_barrier_wait -1
	s_and_saveexec_b32 s10, s92
	s_cbranch_execz .LBB131_583
; %bb.582:                              ;   in Loop: Header=BB131_3 Depth=1
	ds_load_b64 v[38:39], v5 offset:17688
	ds_load_b64 v[40:41], v3
	s_wait_dscnt 0x0
	v_fmac_f64_e32 v[36:37], v[38:39], v[40:41]
.LBB131_583:                            ;   in Loop: Header=BB131_3 Depth=1
	s_or_b32 exec_lo, exec_lo, s10
	s_barrier_signal -1
	s_barrier_wait -1
	s_and_saveexec_b32 s10, s92
	s_cbranch_execz .LBB131_585
; %bb.584:                              ;   in Loop: Header=BB131_3 Depth=1
	ds_load_b64 v[38:39], v5 offset:18200
	s_wait_dscnt 0x0
	v_mul_f64_e32 v[36:37], v[36:37], v[38:39]
	ds_store_b64 v3, v[36:37]
.LBB131_585:                            ;   in Loop: Header=BB131_3 Depth=1
	s_or_b32 exec_lo, exec_lo, s10
	s_wait_dscnt 0x0
	s_barrier_signal -1
	s_barrier_wait -1
	s_barrier_signal -1
	s_barrier_wait -1
	s_and_saveexec_b32 s10, s1
; %bb.586:                              ;   in Loop: Header=BB131_3 Depth=1
	s_delay_alu instid0(VALU_DEP_1)
	v_xor_b32_e32 v37, 0x80000000, v37
	ds_store_b64 v43, v[36:37] offset:16656
; %bb.587:                              ;   in Loop: Header=BB131_3 Depth=1
	s_or_b32 exec_lo, exec_lo, s10
	s_wait_dscnt 0x0
	s_barrier_signal -1
	s_barrier_wait -1
	s_barrier_signal -1
	s_barrier_wait -1
	s_and_saveexec_b32 s10, s93
	s_cbranch_execz .LBB131_589
; %bb.588:                              ;   in Loop: Header=BB131_3 Depth=1
	ds_load_b64 v[36:37], v48 offset:16656
	s_wait_dscnt 0x0
	ds_store_b64 v45, v[36:37] offset:17664
	ds_load_b64 v[36:37], v48 offset:16664
	s_wait_dscnt 0x0
	ds_store_b64 v45, v[36:37] offset:18176
.LBB131_589:                            ;   in Loop: Header=BB131_3 Depth=1
	s_or_b32 exec_lo, exec_lo, s10
	s_wait_dscnt 0x0
	s_barrier_signal -1
	s_barrier_wait -1
	s_and_saveexec_b32 s10, s14
	s_cbranch_execz .LBB131_591
; %bb.590:                              ;   in Loop: Header=BB131_3 Depth=1
	ds_load_b128 v[36:39], v5 offset:17680
	ds_load_b64 v[40:41], v5 offset:18200
	s_wait_dscnt 0x0
	v_mul_f64_e32 v[36:37], v[36:37], v[40:41]
	s_delay_alu instid0(VALU_DEP_1)
	v_mul_f64_e32 v[36:37], v[38:39], v[36:37]
	v_add_nc_u32_e64 v38, 0x4000, 0
	ds_store_2addr_b64 v38, v[36:37], v[36:37] offset0:163 offset1:226
.LBB131_591:                            ;   in Loop: Header=BB131_3 Depth=1
	s_or_b32 exec_lo, exec_lo, s10
	v_mov_b64_e32 v[36:37], 0
	s_wait_dscnt 0x0
	s_barrier_signal -1
	s_barrier_wait -1
	s_and_saveexec_b32 s10, s3
	s_cbranch_execz .LBB131_597
; %bb.592:                              ;   in Loop: Header=BB131_3 Depth=1
	ds_load_b64 v[36:37], v50 offset:16672
	ds_load_b64 v[38:39], v46 offset:16640
	s_wait_dscnt 0x0
	v_fma_f64 v[36:37], v[36:37], v[38:39], 0
	s_and_saveexec_b32 s12, s16
	s_cbranch_execnz .LBB131_1125
; %bb.593:                              ;   in Loop: Header=BB131_3 Depth=1
	s_or_b32 exec_lo, exec_lo, s12
	s_and_saveexec_b32 s12, s17
	s_cbranch_execnz .LBB131_1126
.LBB131_594:                            ;   in Loop: Header=BB131_3 Depth=1
	s_or_b32 exec_lo, exec_lo, s12
	s_and_saveexec_b32 s12, s1
	s_cbranch_execz .LBB131_596
.LBB131_595:                            ;   in Loop: Header=BB131_3 Depth=1
	ds_load_b64 v[38:39], v52 offset:18208
	ds_load_b64 v[40:41], v5 offset:16664
	s_wait_dscnt 0x0
	v_fmac_f64_e32 v[36:37], v[38:39], v[40:41]
.LBB131_596:                            ;   in Loop: Header=BB131_3 Depth=1
	s_or_b32 exec_lo, exec_lo, s12
	s_delay_alu instid0(VALU_DEP_1)
	v_xor_b32_e32 v37, 0x80000000, v37
.LBB131_597:                            ;   in Loop: Header=BB131_3 Depth=1
	s_or_b32 exec_lo, exec_lo, s10
	s_and_saveexec_b32 s10, s94
	s_cbranch_execz .LBB131_599
; %bb.598:                              ;   in Loop: Header=BB131_3 Depth=1
	ds_load_b64 v[38:39], v5 offset:18720
	s_wait_dscnt 0x0
	v_mul_f64_e32 v[36:37], v[36:37], v[38:39]
	ds_store_b64 v49, v[36:37]
.LBB131_599:                            ;   in Loop: Header=BB131_3 Depth=1
	s_or_b32 exec_lo, exec_lo, s10
	s_wait_dscnt 0x0
	s_barrier_signal -1
	s_barrier_wait -1
	s_and_saveexec_b32 s10, s95
	s_cbranch_execz .LBB131_601
; %bb.600:                              ;   in Loop: Header=BB131_3 Depth=1
	ds_load_b64 v[38:39], v47 offset:18720
	ds_load_b64 v[40:41], v49
	s_wait_dscnt 0x0
	v_fmac_f64_e32 v[36:37], v[38:39], v[40:41]
.LBB131_601:                            ;   in Loop: Header=BB131_3 Depth=1
	s_or_b32 exec_lo, exec_lo, s10
	s_barrier_signal -1
	s_barrier_wait -1
	s_and_saveexec_b32 s10, s96
	s_cbranch_execz .LBB131_603
; %bb.602:                              ;   in Loop: Header=BB131_3 Depth=1
	ds_load_b64 v[38:39], v5 offset:19240
	s_wait_dscnt 0x0
	v_mul_f64_e32 v[36:37], v[36:37], v[38:39]
	ds_store_b64 v49, v[36:37]
.LBB131_603:                            ;   in Loop: Header=BB131_3 Depth=1
	s_or_b32 exec_lo, exec_lo, s10
	s_wait_dscnt 0x0
	s_barrier_signal -1
	s_barrier_wait -1
	s_and_saveexec_b32 s10, s97
	s_cbranch_execz .LBB131_605
; %bb.604:                              ;   in Loop: Header=BB131_3 Depth=1
	ds_load_b64 v[38:39], v47 offset:19232
	ds_load_b64 v[40:41], v49
	s_wait_dscnt 0x0
	v_fmac_f64_e32 v[36:37], v[38:39], v[40:41]
.LBB131_605:                            ;   in Loop: Header=BB131_3 Depth=1
	s_or_b32 exec_lo, exec_lo, s10
	s_barrier_signal -1
	s_barrier_wait -1
	;; [unrolled: 23-line block ×3, first 2 shown]
	s_and_saveexec_b32 s10, s99
	s_cbranch_execz .LBB131_611
; %bb.610:                              ;   in Loop: Header=BB131_3 Depth=1
	ds_load_b64 v[38:39], v5 offset:20280
	s_wait_dscnt 0x0
	v_mul_f64_e32 v[36:37], v[36:37], v[38:39]
	ds_store_b64 v49, v[36:37]
.LBB131_611:                            ;   in Loop: Header=BB131_3 Depth=1
	s_or_b32 exec_lo, exec_lo, s10
	s_wait_dscnt 0x0
	s_barrier_signal -1
	s_barrier_wait -1
	s_barrier_signal -1
	s_barrier_wait -1
	s_and_saveexec_b32 s10, s3
; %bb.612:                              ;   in Loop: Header=BB131_3 Depth=1
	s_delay_alu instid0(VALU_DEP_1)
	v_xor_b32_e32 v37, 0x80000000, v37
	ds_store_b64 v50, v[36:37] offset:16672
; %bb.613:                              ;   in Loop: Header=BB131_3 Depth=1
	s_or_b32 exec_lo, exec_lo, s10
	s_wait_dscnt 0x0
	s_barrier_signal -1
	s_barrier_wait -1
	s_barrier_signal -1
	s_barrier_wait -1
	s_and_saveexec_b32 s10, s100
	s_cbranch_execz .LBB131_615
; %bb.614:                              ;   in Loop: Header=BB131_3 Depth=1
	ds_load_b64 v[36:37], v53 offset:16672
	s_wait_dscnt 0x0
	ds_store_b64 v54, v[36:37] offset:18688
	ds_load_b64 v[36:37], v53 offset:16680
	s_wait_dscnt 0x0
	ds_store_b64 v54, v[36:37] offset:19200
	;; [unrolled: 3-line block ×4, first 2 shown]
.LBB131_615:                            ;   in Loop: Header=BB131_3 Depth=1
	s_or_b32 exec_lo, exec_lo, s10
	s_wait_dscnt 0x0
	s_barrier_signal -1
	s_barrier_wait -1
	s_and_saveexec_b32 s10, s14
	s_cbranch_execz .LBB131_617
; %bb.616:                              ;   in Loop: Header=BB131_3 Depth=1
	ds_load_b128 v[36:39], v5 offset:18720
	ds_load_b64 v[40:41], v5 offset:19240
	s_wait_dscnt 0x0
	v_mul_f64_e32 v[36:37], v[36:37], v[40:41]
	s_delay_alu instid0(VALU_DEP_1)
	v_mul_f64_e32 v[36:37], v[38:39], v[36:37]
	v_add_nc_u32_e64 v38, 0x4800, 0
	ds_store_2addr_b64 v38, v[36:37], v[36:37] offset0:37 offset1:100
.LBB131_617:                            ;   in Loop: Header=BB131_3 Depth=1
	s_or_b32 exec_lo, exec_lo, s10
	v_mov_b64_e32 v[36:37], 0
	s_wait_dscnt 0x0
	s_barrier_signal -1
	s_barrier_wait -1
	s_and_saveexec_b32 s10, s1
	s_cbranch_execz .LBB131_621
; %bb.618:                              ;   in Loop: Header=BB131_3 Depth=1
	ds_load_b64 v[36:37], v43 offset:18736
	ds_load_b64 v[38:39], v44 offset:18720
	s_wait_dscnt 0x0
	v_fma_f64 v[36:37], v[36:37], v[38:39], 0
	s_and_saveexec_b32 s12, s15
	s_cbranch_execz .LBB131_620
; %bb.619:                              ;   in Loop: Header=BB131_3 Depth=1
	ds_load_b64 v[38:39], v54 offset:19248
	ds_load_b64 v[40:41], v5 offset:18728
	s_wait_dscnt 0x0
	v_fmac_f64_e32 v[36:37], v[38:39], v[40:41]
.LBB131_620:                            ;   in Loop: Header=BB131_3 Depth=1
	s_or_b32 exec_lo, exec_lo, s12
	s_delay_alu instid0(VALU_DEP_1)
	v_xor_b32_e32 v37, 0x80000000, v37
.LBB131_621:                            ;   in Loop: Header=BB131_3 Depth=1
	s_or_b32 exec_lo, exec_lo, s10
	s_and_saveexec_b32 s10, s91
	s_cbranch_execz .LBB131_623
; %bb.622:                              ;   in Loop: Header=BB131_3 Depth=1
	ds_load_b64 v[38:39], v5 offset:19760
	s_wait_dscnt 0x0
	v_mul_f64_e32 v[36:37], v[36:37], v[38:39]
	ds_store_b64 v3, v[36:37]
.LBB131_623:                            ;   in Loop: Header=BB131_3 Depth=1
	s_or_b32 exec_lo, exec_lo, s10
	s_wait_dscnt 0x0
	s_barrier_signal -1
	s_barrier_wait -1
	s_and_saveexec_b32 s10, s92
	s_cbranch_execz .LBB131_625
; %bb.624:                              ;   in Loop: Header=BB131_3 Depth=1
	ds_load_b64 v[38:39], v5 offset:19768
	ds_load_b64 v[40:41], v3
	s_wait_dscnt 0x0
	v_fmac_f64_e32 v[36:37], v[38:39], v[40:41]
.LBB131_625:                            ;   in Loop: Header=BB131_3 Depth=1
	s_or_b32 exec_lo, exec_lo, s10
	s_barrier_signal -1
	s_barrier_wait -1
	s_and_saveexec_b32 s10, s92
	s_cbranch_execz .LBB131_627
; %bb.626:                              ;   in Loop: Header=BB131_3 Depth=1
	ds_load_b64 v[38:39], v5 offset:20280
	s_wait_dscnt 0x0
	v_mul_f64_e32 v[36:37], v[36:37], v[38:39]
	ds_store_b64 v3, v[36:37]
.LBB131_627:                            ;   in Loop: Header=BB131_3 Depth=1
	s_or_b32 exec_lo, exec_lo, s10
	s_wait_dscnt 0x0
	s_barrier_signal -1
	s_barrier_wait -1
	s_barrier_signal -1
	s_barrier_wait -1
	s_and_saveexec_b32 s10, s1
; %bb.628:                              ;   in Loop: Header=BB131_3 Depth=1
	s_delay_alu instid0(VALU_DEP_1)
	v_xor_b32_e32 v37, 0x80000000, v37
	ds_store_b64 v43, v[36:37] offset:18736
; %bb.629:                              ;   in Loop: Header=BB131_3 Depth=1
	s_or_b32 exec_lo, exec_lo, s10
	s_wait_dscnt 0x0
	s_barrier_signal -1
	s_barrier_wait -1
	s_barrier_signal -1
	s_barrier_wait -1
	s_and_saveexec_b32 s10, s93
	s_cbranch_execz .LBB131_631
; %bb.630:                              ;   in Loop: Header=BB131_3 Depth=1
	ds_load_b64 v[36:37], v57 offset:18736
	s_wait_dscnt 0x0
	ds_store_b64 v54, v[36:37] offset:19744
	ds_load_b64 v[36:37], v57 offset:18744
	s_wait_dscnt 0x0
	ds_store_b64 v54, v[36:37] offset:20256
.LBB131_631:                            ;   in Loop: Header=BB131_3 Depth=1
	s_or_b32 exec_lo, exec_lo, s10
	s_wait_dscnt 0x0
	s_barrier_signal -1
	s_barrier_wait -1
	s_and_saveexec_b32 s10, s14
	s_cbranch_execz .LBB131_633
; %bb.632:                              ;   in Loop: Header=BB131_3 Depth=1
	ds_load_b128 v[36:39], v5 offset:19760
	ds_load_b64 v[40:41], v5 offset:20280
	s_wait_dscnt 0x0
	v_mul_f64_e32 v[36:37], v[36:37], v[40:41]
	s_delay_alu instid0(VALU_DEP_1)
	v_mul_f64_e32 v[36:37], v[38:39], v[36:37]
	v_add_nc_u32_e64 v38, 0x4800, 0
	ds_store_2addr_b64 v38, v[36:37], v[36:37] offset0:167 offset1:230
.LBB131_633:                            ;   in Loop: Header=BB131_3 Depth=1
	s_or_b32 exec_lo, exec_lo, s10
	v_mov_b64_e32 v[36:37], 0
	s_wait_dscnt 0x0
	s_barrier_signal -1
	s_barrier_wait -1
	s_and_saveexec_b32 s10, s4
	s_cbranch_execz .LBB131_643
; %bb.634:                              ;   in Loop: Header=BB131_3 Depth=1
	ds_load_b64 v[36:37], v59 offset:16704
	ds_load_b64 v[38:39], v55 offset:16640
	s_wait_dscnt 0x0
	v_fma_f64 v[36:37], v[36:37], v[38:39], 0
	s_and_saveexec_b32 s12, s18
	s_cbranch_execnz .LBB131_1127
; %bb.635:                              ;   in Loop: Header=BB131_3 Depth=1
	s_or_b32 exec_lo, exec_lo, s12
	s_and_saveexec_b32 s12, s19
	s_cbranch_execnz .LBB131_1128
.LBB131_636:                            ;   in Loop: Header=BB131_3 Depth=1
	s_or_b32 exec_lo, exec_lo, s12
	s_and_saveexec_b32 s12, s20
	s_cbranch_execnz .LBB131_1129
.LBB131_637:                            ;   in Loop: Header=BB131_3 Depth=1
	s_or_b32 exec_lo, exec_lo, s12
	s_and_saveexec_b32 s12, s21
	s_cbranch_execnz .LBB131_1130
.LBB131_638:                            ;   in Loop: Header=BB131_3 Depth=1
	s_or_b32 exec_lo, exec_lo, s12
	s_and_saveexec_b32 s12, s22
	s_cbranch_execnz .LBB131_1131
.LBB131_639:                            ;   in Loop: Header=BB131_3 Depth=1
	s_or_b32 exec_lo, exec_lo, s12
	s_and_saveexec_b32 s12, s3
	s_cbranch_execnz .LBB131_1132
.LBB131_640:                            ;   in Loop: Header=BB131_3 Depth=1
	s_or_b32 exec_lo, exec_lo, s12
	s_and_saveexec_b32 s12, s17
	s_cbranch_execz .LBB131_642
.LBB131_641:                            ;   in Loop: Header=BB131_3 Depth=1
	ds_load_b64 v[38:39], v61 offset:20288
	ds_load_b64 v[40:41], v5 offset:16696
	s_wait_dscnt 0x0
	v_fmac_f64_e32 v[36:37], v[38:39], v[40:41]
.LBB131_642:                            ;   in Loop: Header=BB131_3 Depth=1
	s_or_b32 exec_lo, exec_lo, s12
	s_delay_alu instid0(VALU_DEP_1)
	v_xor_b32_e32 v37, 0x80000000, v37
.LBB131_643:                            ;   in Loop: Header=BB131_3 Depth=1
	s_or_b32 exec_lo, exec_lo, s10
	s_and_saveexec_b32 s10, s101
	s_cbranch_execz .LBB131_645
; %bb.644:                              ;   in Loop: Header=BB131_3 Depth=1
	ds_load_b64 v[38:39], v5 offset:20800
	s_wait_dscnt 0x0
	v_mul_f64_e32 v[36:37], v[36:37], v[38:39]
	ds_store_b64 v58, v[36:37]
.LBB131_645:                            ;   in Loop: Header=BB131_3 Depth=1
	s_or_b32 exec_lo, exec_lo, s10
	s_wait_dscnt 0x0
	s_barrier_signal -1
	s_barrier_wait -1
	s_and_saveexec_b32 s10, s102
	s_cbranch_execz .LBB131_647
; %bb.646:                              ;   in Loop: Header=BB131_3 Depth=1
	ds_load_b64 v[38:39], v56 offset:20800
	ds_load_b64 v[40:41], v58
	s_wait_dscnt 0x0
	v_fmac_f64_e32 v[36:37], v[38:39], v[40:41]
.LBB131_647:                            ;   in Loop: Header=BB131_3 Depth=1
	s_or_b32 exec_lo, exec_lo, s10
	s_barrier_signal -1
	s_barrier_wait -1
	s_and_saveexec_b32 s10, s103
	s_cbranch_execz .LBB131_649
; %bb.648:                              ;   in Loop: Header=BB131_3 Depth=1
	ds_load_b64 v[38:39], v5 offset:21320
	s_wait_dscnt 0x0
	v_mul_f64_e32 v[36:37], v[36:37], v[38:39]
	ds_store_b64 v58, v[36:37]
.LBB131_649:                            ;   in Loop: Header=BB131_3 Depth=1
	s_or_b32 exec_lo, exec_lo, s10
	s_wait_dscnt 0x0
	s_barrier_signal -1
	s_barrier_wait -1
	s_and_saveexec_b32 s10, s104
	s_cbranch_execz .LBB131_651
; %bb.650:                              ;   in Loop: Header=BB131_3 Depth=1
	ds_load_b64 v[38:39], v56 offset:21312
	ds_load_b64 v[40:41], v58
	s_wait_dscnt 0x0
	v_fmac_f64_e32 v[36:37], v[38:39], v[40:41]
.LBB131_651:                            ;   in Loop: Header=BB131_3 Depth=1
	s_or_b32 exec_lo, exec_lo, s10
	s_barrier_signal -1
	s_barrier_wait -1
	s_and_saveexec_b32 s10, vcc_hi
	s_cbranch_execz .LBB131_653
; %bb.652:                              ;   in Loop: Header=BB131_3 Depth=1
	ds_load_b64 v[38:39], v5 offset:21840
	s_wait_dscnt 0x0
	v_mul_f64_e32 v[36:37], v[36:37], v[38:39]
	ds_store_b64 v58, v[36:37]
.LBB131_653:                            ;   in Loop: Header=BB131_3 Depth=1
	s_or_b32 exec_lo, exec_lo, s10
	s_wait_dscnt 0x0
	s_barrier_signal -1
	s_barrier_wait -1
	s_and_saveexec_b32 s10, s36
	s_cbranch_execz .LBB131_655
; %bb.654:                              ;   in Loop: Header=BB131_3 Depth=1
	ds_load_b64 v[38:39], v56 offset:21824
	ds_load_b64 v[40:41], v58
	s_wait_dscnt 0x0
	v_fmac_f64_e32 v[36:37], v[38:39], v[40:41]
.LBB131_655:                            ;   in Loop: Header=BB131_3 Depth=1
	s_or_b32 exec_lo, exec_lo, s10
	s_barrier_signal -1
	s_barrier_wait -1
	s_and_saveexec_b32 s10, s37
	s_cbranch_execz .LBB131_657
; %bb.656:                              ;   in Loop: Header=BB131_3 Depth=1
	ds_load_b64 v[38:39], v5 offset:22360
	s_wait_dscnt 0x0
	v_mul_f64_e32 v[36:37], v[36:37], v[38:39]
	ds_store_b64 v58, v[36:37]
.LBB131_657:                            ;   in Loop: Header=BB131_3 Depth=1
	s_or_b32 exec_lo, exec_lo, s10
	s_wait_dscnt 0x0
	s_barrier_signal -1
	s_barrier_wait -1
	s_and_saveexec_b32 s10, s38
	s_cbranch_execz .LBB131_659
; %bb.658:                              ;   in Loop: Header=BB131_3 Depth=1
	ds_load_b64 v[38:39], v56 offset:22336
	ds_load_b64 v[40:41], v58
	s_wait_dscnt 0x0
	v_fmac_f64_e32 v[36:37], v[38:39], v[40:41]
.LBB131_659:                            ;   in Loop: Header=BB131_3 Depth=1
	s_or_b32 exec_lo, exec_lo, s10
	s_barrier_signal -1
	s_barrier_wait -1
	s_and_saveexec_b32 s10, s39
	;; [unrolled: 23-line block ×5, first 2 shown]
	s_cbranch_execz .LBB131_673
; %bb.672:                              ;   in Loop: Header=BB131_3 Depth=1
	ds_load_b64 v[38:39], v5 offset:24440
	s_wait_dscnt 0x0
	v_mul_f64_e32 v[36:37], v[36:37], v[38:39]
	ds_store_b64 v58, v[36:37]
.LBB131_673:                            ;   in Loop: Header=BB131_3 Depth=1
	s_or_b32 exec_lo, exec_lo, s10
	s_wait_dscnt 0x0
	s_barrier_signal -1
	s_barrier_wait -1
	s_barrier_signal -1
	s_barrier_wait -1
	s_and_saveexec_b32 s10, s4
; %bb.674:                              ;   in Loop: Header=BB131_3 Depth=1
	s_delay_alu instid0(VALU_DEP_1)
	v_xor_b32_e32 v37, 0x80000000, v37
	ds_store_b64 v59, v[36:37] offset:16704
; %bb.675:                              ;   in Loop: Header=BB131_3 Depth=1
	s_or_b32 exec_lo, exec_lo, s10
	s_wait_dscnt 0x0
	s_barrier_signal -1
	s_barrier_wait -1
	s_barrier_signal -1
	s_barrier_wait -1
	s_and_saveexec_b32 s10, s45
	s_cbranch_execz .LBB131_677
; %bb.676:                              ;   in Loop: Header=BB131_3 Depth=1
	ds_load_b64 v[36:37], v63 offset:16704
	s_wait_dscnt 0x0
	ds_store_b64 v71, v[36:37] offset:20736
	ds_load_b64 v[36:37], v63 offset:16712
	s_wait_dscnt 0x0
	ds_store_b64 v71, v[36:37] offset:21248
	;; [unrolled: 3-line block ×8, first 2 shown]
.LBB131_677:                            ;   in Loop: Header=BB131_3 Depth=1
	s_or_b32 exec_lo, exec_lo, s10
	s_wait_dscnt 0x0
	s_barrier_signal -1
	s_barrier_wait -1
	s_and_saveexec_b32 s10, s14
	s_cbranch_execz .LBB131_679
; %bb.678:                              ;   in Loop: Header=BB131_3 Depth=1
	ds_load_b128 v[36:39], v5 offset:20800
	ds_load_b64 v[40:41], v5 offset:21320
	s_wait_dscnt 0x0
	v_mul_f64_e32 v[36:37], v[36:37], v[40:41]
	s_delay_alu instid0(VALU_DEP_1)
	v_mul_f64_e32 v[36:37], v[38:39], v[36:37]
	v_add_nc_u32_e64 v38, 0x5000, 0
	ds_store_2addr_b64 v38, v[36:37], v[36:37] offset0:41 offset1:104
.LBB131_679:                            ;   in Loop: Header=BB131_3 Depth=1
	s_or_b32 exec_lo, exec_lo, s10
	v_mov_b64_e32 v[36:37], 0
	s_wait_dscnt 0x0
	s_barrier_signal -1
	s_barrier_wait -1
	s_and_saveexec_b32 s10, s1
	s_cbranch_execz .LBB131_683
; %bb.680:                              ;   in Loop: Header=BB131_3 Depth=1
	ds_load_b64 v[36:37], v43 offset:20816
	ds_load_b64 v[38:39], v44 offset:20800
	s_wait_dscnt 0x0
	v_fma_f64 v[36:37], v[36:37], v[38:39], 0
	s_and_saveexec_b32 s12, s15
	s_cbranch_execz .LBB131_682
; %bb.681:                              ;   in Loop: Header=BB131_3 Depth=1
	ds_load_b64 v[38:39], v71 offset:21328
	ds_load_b64 v[40:41], v5 offset:20808
	s_wait_dscnt 0x0
	v_fmac_f64_e32 v[36:37], v[38:39], v[40:41]
.LBB131_682:                            ;   in Loop: Header=BB131_3 Depth=1
	s_or_b32 exec_lo, exec_lo, s12
	s_delay_alu instid0(VALU_DEP_1)
	v_xor_b32_e32 v37, 0x80000000, v37
.LBB131_683:                            ;   in Loop: Header=BB131_3 Depth=1
	s_or_b32 exec_lo, exec_lo, s10
	s_and_saveexec_b32 s10, s91
	s_cbranch_execz .LBB131_685
; %bb.684:                              ;   in Loop: Header=BB131_3 Depth=1
	ds_load_b64 v[38:39], v5 offset:21840
	s_wait_dscnt 0x0
	v_mul_f64_e32 v[36:37], v[36:37], v[38:39]
	ds_store_b64 v3, v[36:37]
.LBB131_685:                            ;   in Loop: Header=BB131_3 Depth=1
	s_or_b32 exec_lo, exec_lo, s10
	s_wait_dscnt 0x0
	s_barrier_signal -1
	s_barrier_wait -1
	s_and_saveexec_b32 s10, s92
	s_cbranch_execz .LBB131_687
; %bb.686:                              ;   in Loop: Header=BB131_3 Depth=1
	ds_load_b64 v[38:39], v5 offset:21848
	ds_load_b64 v[40:41], v3
	s_wait_dscnt 0x0
	v_fmac_f64_e32 v[36:37], v[38:39], v[40:41]
.LBB131_687:                            ;   in Loop: Header=BB131_3 Depth=1
	s_or_b32 exec_lo, exec_lo, s10
	s_barrier_signal -1
	s_barrier_wait -1
	s_and_saveexec_b32 s10, s92
	s_cbranch_execz .LBB131_689
; %bb.688:                              ;   in Loop: Header=BB131_3 Depth=1
	ds_load_b64 v[38:39], v5 offset:22360
	s_wait_dscnt 0x0
	v_mul_f64_e32 v[36:37], v[36:37], v[38:39]
	ds_store_b64 v3, v[36:37]
.LBB131_689:                            ;   in Loop: Header=BB131_3 Depth=1
	s_or_b32 exec_lo, exec_lo, s10
	s_wait_dscnt 0x0
	s_barrier_signal -1
	s_barrier_wait -1
	s_barrier_signal -1
	s_barrier_wait -1
	s_and_saveexec_b32 s10, s1
; %bb.690:                              ;   in Loop: Header=BB131_3 Depth=1
	s_delay_alu instid0(VALU_DEP_1)
	v_xor_b32_e32 v37, 0x80000000, v37
	ds_store_b64 v43, v[36:37] offset:20816
; %bb.691:                              ;   in Loop: Header=BB131_3 Depth=1
	s_or_b32 exec_lo, exec_lo, s10
	s_wait_dscnt 0x0
	s_barrier_signal -1
	s_barrier_wait -1
	s_barrier_signal -1
	s_barrier_wait -1
	s_and_saveexec_b32 s10, s93
	s_cbranch_execz .LBB131_693
; %bb.692:                              ;   in Loop: Header=BB131_3 Depth=1
	ds_load_b64 v[36:37], v72 offset:20816
	s_wait_dscnt 0x0
	ds_store_b64 v71, v[36:37] offset:21824
	ds_load_b64 v[36:37], v72 offset:20824
	s_wait_dscnt 0x0
	ds_store_b64 v71, v[36:37] offset:22336
.LBB131_693:                            ;   in Loop: Header=BB131_3 Depth=1
	s_or_b32 exec_lo, exec_lo, s10
	s_wait_dscnt 0x0
	s_barrier_signal -1
	s_barrier_wait -1
	s_and_saveexec_b32 s10, s14
	s_cbranch_execz .LBB131_695
; %bb.694:                              ;   in Loop: Header=BB131_3 Depth=1
	ds_load_b128 v[36:39], v5 offset:21840
	ds_load_b64 v[40:41], v5 offset:22360
	s_wait_dscnt 0x0
	v_mul_f64_e32 v[36:37], v[36:37], v[40:41]
	s_delay_alu instid0(VALU_DEP_1)
	v_mul_f64_e32 v[36:37], v[38:39], v[36:37]
	v_add_nc_u32_e64 v38, 0x5000, 0
	ds_store_2addr_b64 v38, v[36:37], v[36:37] offset0:171 offset1:234
.LBB131_695:                            ;   in Loop: Header=BB131_3 Depth=1
	s_or_b32 exec_lo, exec_lo, s10
	v_mov_b64_e32 v[36:37], 0
	s_wait_dscnt 0x0
	s_barrier_signal -1
	s_barrier_wait -1
	s_and_saveexec_b32 s10, s3
	s_cbranch_execz .LBB131_701
; %bb.696:                              ;   in Loop: Header=BB131_3 Depth=1
	ds_load_b64 v[36:37], v50 offset:20832
	ds_load_b64 v[38:39], v46 offset:20800
	s_wait_dscnt 0x0
	v_fma_f64 v[36:37], v[36:37], v[38:39], 0
	s_and_saveexec_b32 s12, s16
	s_cbranch_execnz .LBB131_1133
; %bb.697:                              ;   in Loop: Header=BB131_3 Depth=1
	s_or_b32 exec_lo, exec_lo, s12
	s_and_saveexec_b32 s12, s17
	s_cbranch_execnz .LBB131_1134
.LBB131_698:                            ;   in Loop: Header=BB131_3 Depth=1
	s_or_b32 exec_lo, exec_lo, s12
	s_and_saveexec_b32 s12, s1
	s_cbranch_execz .LBB131_700
.LBB131_699:                            ;   in Loop: Header=BB131_3 Depth=1
	ds_load_b64 v[38:39], v73 offset:22368
	ds_load_b64 v[40:41], v5 offset:20824
	s_wait_dscnt 0x0
	v_fmac_f64_e32 v[36:37], v[38:39], v[40:41]
.LBB131_700:                            ;   in Loop: Header=BB131_3 Depth=1
	s_or_b32 exec_lo, exec_lo, s12
	s_delay_alu instid0(VALU_DEP_1)
	v_xor_b32_e32 v37, 0x80000000, v37
.LBB131_701:                            ;   in Loop: Header=BB131_3 Depth=1
	s_or_b32 exec_lo, exec_lo, s10
	s_and_saveexec_b32 s10, s94
	s_cbranch_execz .LBB131_703
; %bb.702:                              ;   in Loop: Header=BB131_3 Depth=1
	ds_load_b64 v[38:39], v5 offset:22880
	s_wait_dscnt 0x0
	v_mul_f64_e32 v[36:37], v[36:37], v[38:39]
	ds_store_b64 v49, v[36:37]
.LBB131_703:                            ;   in Loop: Header=BB131_3 Depth=1
	s_or_b32 exec_lo, exec_lo, s10
	s_wait_dscnt 0x0
	s_barrier_signal -1
	s_barrier_wait -1
	s_and_saveexec_b32 s10, s95
	s_cbranch_execz .LBB131_705
; %bb.704:                              ;   in Loop: Header=BB131_3 Depth=1
	ds_load_b64 v[38:39], v47 offset:22880
	ds_load_b64 v[40:41], v49
	s_wait_dscnt 0x0
	v_fmac_f64_e32 v[36:37], v[38:39], v[40:41]
.LBB131_705:                            ;   in Loop: Header=BB131_3 Depth=1
	s_or_b32 exec_lo, exec_lo, s10
	s_barrier_signal -1
	s_barrier_wait -1
	s_and_saveexec_b32 s10, s96
	s_cbranch_execz .LBB131_707
; %bb.706:                              ;   in Loop: Header=BB131_3 Depth=1
	ds_load_b64 v[38:39], v5 offset:23400
	s_wait_dscnt 0x0
	v_mul_f64_e32 v[36:37], v[36:37], v[38:39]
	ds_store_b64 v49, v[36:37]
.LBB131_707:                            ;   in Loop: Header=BB131_3 Depth=1
	s_or_b32 exec_lo, exec_lo, s10
	s_wait_dscnt 0x0
	s_barrier_signal -1
	s_barrier_wait -1
	s_and_saveexec_b32 s10, s97
	s_cbranch_execz .LBB131_709
; %bb.708:                              ;   in Loop: Header=BB131_3 Depth=1
	ds_load_b64 v[38:39], v47 offset:23392
	ds_load_b64 v[40:41], v49
	s_wait_dscnt 0x0
	v_fmac_f64_e32 v[36:37], v[38:39], v[40:41]
.LBB131_709:                            ;   in Loop: Header=BB131_3 Depth=1
	s_or_b32 exec_lo, exec_lo, s10
	s_barrier_signal -1
	s_barrier_wait -1
	;; [unrolled: 23-line block ×3, first 2 shown]
	s_and_saveexec_b32 s10, s99
	s_cbranch_execz .LBB131_715
; %bb.714:                              ;   in Loop: Header=BB131_3 Depth=1
	ds_load_b64 v[38:39], v5 offset:24440
	s_wait_dscnt 0x0
	v_mul_f64_e32 v[36:37], v[36:37], v[38:39]
	ds_store_b64 v49, v[36:37]
.LBB131_715:                            ;   in Loop: Header=BB131_3 Depth=1
	s_or_b32 exec_lo, exec_lo, s10
	s_wait_dscnt 0x0
	s_barrier_signal -1
	s_barrier_wait -1
	s_barrier_signal -1
	s_barrier_wait -1
	s_and_saveexec_b32 s10, s3
; %bb.716:                              ;   in Loop: Header=BB131_3 Depth=1
	s_delay_alu instid0(VALU_DEP_1)
	v_xor_b32_e32 v37, 0x80000000, v37
	ds_store_b64 v50, v[36:37] offset:20832
; %bb.717:                              ;   in Loop: Header=BB131_3 Depth=1
	s_or_b32 exec_lo, exec_lo, s10
	s_wait_dscnt 0x0
	s_barrier_signal -1
	s_barrier_wait -1
	s_barrier_signal -1
	s_barrier_wait -1
	s_and_saveexec_b32 s10, s100
	s_cbranch_execz .LBB131_719
; %bb.718:                              ;   in Loop: Header=BB131_3 Depth=1
	ds_load_b64 v[36:37], v74 offset:20832
	s_wait_dscnt 0x0
	ds_store_b64 v77, v[36:37] offset:22848
	ds_load_b64 v[36:37], v74 offset:20840
	s_wait_dscnt 0x0
	ds_store_b64 v77, v[36:37] offset:23360
	;; [unrolled: 3-line block ×4, first 2 shown]
.LBB131_719:                            ;   in Loop: Header=BB131_3 Depth=1
	s_or_b32 exec_lo, exec_lo, s10
	s_wait_dscnt 0x0
	s_barrier_signal -1
	s_barrier_wait -1
	s_and_saveexec_b32 s10, s14
	s_cbranch_execz .LBB131_721
; %bb.720:                              ;   in Loop: Header=BB131_3 Depth=1
	ds_load_b128 v[36:39], v5 offset:22880
	ds_load_b64 v[40:41], v5 offset:23400
	s_wait_dscnt 0x0
	v_mul_f64_e32 v[36:37], v[36:37], v[40:41]
	s_delay_alu instid0(VALU_DEP_1)
	v_mul_f64_e32 v[36:37], v[38:39], v[36:37]
	v_add_nc_u32_e64 v38, 0x5800, 0
	ds_store_2addr_b64 v38, v[36:37], v[36:37] offset0:45 offset1:108
.LBB131_721:                            ;   in Loop: Header=BB131_3 Depth=1
	s_or_b32 exec_lo, exec_lo, s10
	v_mov_b64_e32 v[36:37], 0
	s_wait_dscnt 0x0
	s_barrier_signal -1
	s_barrier_wait -1
	s_and_saveexec_b32 s10, s1
	s_cbranch_execz .LBB131_725
; %bb.722:                              ;   in Loop: Header=BB131_3 Depth=1
	ds_load_b64 v[36:37], v43 offset:22896
	ds_load_b64 v[38:39], v44 offset:22880
	s_wait_dscnt 0x0
	v_fma_f64 v[36:37], v[36:37], v[38:39], 0
	s_and_saveexec_b32 s12, s15
	s_cbranch_execz .LBB131_724
; %bb.723:                              ;   in Loop: Header=BB131_3 Depth=1
	ds_load_b64 v[38:39], v77 offset:23408
	ds_load_b64 v[40:41], v5 offset:22888
	s_wait_dscnt 0x0
	v_fmac_f64_e32 v[36:37], v[38:39], v[40:41]
.LBB131_724:                            ;   in Loop: Header=BB131_3 Depth=1
	s_or_b32 exec_lo, exec_lo, s12
	s_delay_alu instid0(VALU_DEP_1)
	v_xor_b32_e32 v37, 0x80000000, v37
.LBB131_725:                            ;   in Loop: Header=BB131_3 Depth=1
	s_or_b32 exec_lo, exec_lo, s10
	s_and_saveexec_b32 s10, s91
	s_cbranch_execz .LBB131_727
; %bb.726:                              ;   in Loop: Header=BB131_3 Depth=1
	ds_load_b64 v[38:39], v5 offset:23920
	s_wait_dscnt 0x0
	v_mul_f64_e32 v[36:37], v[36:37], v[38:39]
	ds_store_b64 v3, v[36:37]
.LBB131_727:                            ;   in Loop: Header=BB131_3 Depth=1
	s_or_b32 exec_lo, exec_lo, s10
	s_wait_dscnt 0x0
	s_barrier_signal -1
	s_barrier_wait -1
	s_and_saveexec_b32 s10, s92
	s_cbranch_execz .LBB131_729
; %bb.728:                              ;   in Loop: Header=BB131_3 Depth=1
	ds_load_b64 v[38:39], v5 offset:23928
	ds_load_b64 v[40:41], v3
	s_wait_dscnt 0x0
	v_fmac_f64_e32 v[36:37], v[38:39], v[40:41]
.LBB131_729:                            ;   in Loop: Header=BB131_3 Depth=1
	s_or_b32 exec_lo, exec_lo, s10
	s_barrier_signal -1
	s_barrier_wait -1
	s_and_saveexec_b32 s10, s92
	s_cbranch_execz .LBB131_731
; %bb.730:                              ;   in Loop: Header=BB131_3 Depth=1
	ds_load_b64 v[38:39], v5 offset:24440
	s_wait_dscnt 0x0
	v_mul_f64_e32 v[36:37], v[36:37], v[38:39]
	ds_store_b64 v3, v[36:37]
.LBB131_731:                            ;   in Loop: Header=BB131_3 Depth=1
	s_or_b32 exec_lo, exec_lo, s10
	s_wait_dscnt 0x0
	s_barrier_signal -1
	s_barrier_wait -1
	s_barrier_signal -1
	s_barrier_wait -1
	s_and_saveexec_b32 s10, s1
; %bb.732:                              ;   in Loop: Header=BB131_3 Depth=1
	s_delay_alu instid0(VALU_DEP_1)
	v_xor_b32_e32 v37, 0x80000000, v37
	ds_store_b64 v43, v[36:37] offset:22896
; %bb.733:                              ;   in Loop: Header=BB131_3 Depth=1
	s_or_b32 exec_lo, exec_lo, s10
	s_wait_dscnt 0x0
	s_barrier_signal -1
	s_barrier_wait -1
	s_barrier_signal -1
	s_barrier_wait -1
	s_and_saveexec_b32 s10, s93
	s_cbranch_execz .LBB131_735
; %bb.734:                              ;   in Loop: Header=BB131_3 Depth=1
	ds_load_b64 v[36:37], v79 offset:22896
	s_wait_dscnt 0x0
	ds_store_b64 v77, v[36:37] offset:23904
	ds_load_b64 v[36:37], v79 offset:22904
	s_wait_dscnt 0x0
	ds_store_b64 v77, v[36:37] offset:24416
.LBB131_735:                            ;   in Loop: Header=BB131_3 Depth=1
	s_or_b32 exec_lo, exec_lo, s10
	s_wait_dscnt 0x0
	s_barrier_signal -1
	s_barrier_wait -1
	s_and_saveexec_b32 s10, s14
	s_cbranch_execz .LBB131_737
; %bb.736:                              ;   in Loop: Header=BB131_3 Depth=1
	ds_load_b128 v[36:39], v5 offset:23920
	ds_load_b64 v[40:41], v5 offset:24440
	s_wait_dscnt 0x0
	v_mul_f64_e32 v[36:37], v[36:37], v[40:41]
	s_delay_alu instid0(VALU_DEP_1)
	v_mul_f64_e32 v[36:37], v[38:39], v[36:37]
	v_add_nc_u32_e64 v38, 0x5800, 0
	ds_store_2addr_b64 v38, v[36:37], v[36:37] offset0:175 offset1:238
.LBB131_737:                            ;   in Loop: Header=BB131_3 Depth=1
	s_or_b32 exec_lo, exec_lo, s10
	v_mov_b64_e32 v[36:37], 0
	s_wait_dscnt 0x0
	s_barrier_signal -1
	s_barrier_wait -1
	s_and_saveexec_b32 s84, s5
	s_cbranch_execz .LBB131_765
; %bb.738:                              ;   in Loop: Header=BB131_3 Depth=1
	ds_load_b64 v[36:37], v66 offset:16768
	ds_load_b64 v[38:39], v62 offset:16640
	s_wait_dscnt 0x0
	v_fma_f64 v[36:37], v[36:37], v[38:39], 0
	s_mov_b32 s10, exec_lo
	v_readlane_b32 s12, v102, 27
	s_and_b32 s12, s10, s12
	s_delay_alu instid0(SALU_CYCLE_1)
	s_mov_b32 exec_lo, s12
	s_cbranch_execz .LBB131_740
; %bb.739:                              ;   in Loop: Header=BB131_3 Depth=1
	ds_load_b64 v[38:39], v67 offset:17280
	ds_load_b64 v[40:41], v62 offset:16648
	s_wait_dscnt 0x0
	v_fmac_f64_e32 v[36:37], v[38:39], v[40:41]
.LBB131_740:                            ;   in Loop: Header=BB131_3 Depth=1
	s_or_b32 exec_lo, exec_lo, s10
	s_delay_alu instid0(SALU_CYCLE_1) | instskip(SKIP_2) | instid1(SALU_CYCLE_1)
	s_mov_b32 s10, exec_lo
	v_readlane_b32 s12, v102, 28
	s_and_b32 s12, s10, s12
	s_mov_b32 exec_lo, s12
	s_cbranch_execz .LBB131_742
; %bb.741:                              ;   in Loop: Header=BB131_3 Depth=1
	ds_load_b64 v[38:39], v67 offset:17792
	ds_load_b64 v[40:41], v62 offset:16656
	s_wait_dscnt 0x0
	v_fmac_f64_e32 v[36:37], v[38:39], v[40:41]
.LBB131_742:                            ;   in Loop: Header=BB131_3 Depth=1
	s_or_b32 exec_lo, exec_lo, s10
	s_delay_alu instid0(SALU_CYCLE_1) | instskip(SKIP_2) | instid1(SALU_CYCLE_1)
	s_mov_b32 s10, exec_lo
	v_readlane_b32 s12, v102, 29
	s_and_b32 s12, s10, s12
	;; [unrolled: 13-line block ×10, first 2 shown]
	s_mov_b32 exec_lo, s12
	s_cbranch_execnz .LBB131_1135
; %bb.759:                              ;   in Loop: Header=BB131_3 Depth=1
	s_or_b32 exec_lo, exec_lo, s10
	s_and_saveexec_b32 s10, s4
	s_cbranch_execnz .LBB131_1136
.LBB131_760:                            ;   in Loop: Header=BB131_3 Depth=1
	s_or_b32 exec_lo, exec_lo, s10
	s_and_saveexec_b32 s10, s19
	s_cbranch_execnz .LBB131_1137
.LBB131_761:                            ;   in Loop: Header=BB131_3 Depth=1
	s_or_b32 exec_lo, exec_lo, s10
	s_and_saveexec_b32 s10, s21
	s_cbranch_execnz .LBB131_1138
.LBB131_762:                            ;   in Loop: Header=BB131_3 Depth=1
	s_or_b32 exec_lo, exec_lo, s10
	s_and_saveexec_b32 s10, s3
	s_cbranch_execz .LBB131_764
.LBB131_763:                            ;   in Loop: Header=BB131_3 Depth=1
	ds_load_b64 v[38:39], v45 offset:24448
	ds_load_b64 v[40:41], v5 offset:16760
	s_wait_dscnt 0x0
	v_fmac_f64_e32 v[36:37], v[38:39], v[40:41]
.LBB131_764:                            ;   in Loop: Header=BB131_3 Depth=1
	s_or_b32 exec_lo, exec_lo, s10
	s_delay_alu instid0(VALU_DEP_1)
	v_xor_b32_e32 v37, 0x80000000, v37
.LBB131_765:                            ;   in Loop: Header=BB131_3 Depth=1
	s_or_b32 exec_lo, exec_lo, s84
	s_delay_alu instid0(SALU_CYCLE_1) | instskip(SKIP_2) | instid1(SALU_CYCLE_1)
	s_mov_b32 s10, exec_lo
	v_readlane_b32 s12, v102, 2
	s_and_b32 s12, s10, s12
	s_mov_b32 exec_lo, s12
	s_cbranch_execz .LBB131_767
; %bb.766:                              ;   in Loop: Header=BB131_3 Depth=1
	ds_load_b64 v[38:39], v5 offset:24960
	s_wait_dscnt 0x0
	v_mul_f64_e32 v[36:37], v[36:37], v[38:39]
	ds_store_b64 v65, v[36:37]
.LBB131_767:                            ;   in Loop: Header=BB131_3 Depth=1
	s_or_b32 exec_lo, exec_lo, s10
	s_wait_dscnt 0x0
	s_barrier_signal -1
	s_barrier_wait -1
	s_mov_b32 s10, exec_lo
	v_readlane_b32 s12, v102, 3
	s_and_b32 s12, s10, s12
	s_delay_alu instid0(SALU_CYCLE_1)
	s_mov_b32 exec_lo, s12
	s_cbranch_execz .LBB131_769
; %bb.768:                              ;   in Loop: Header=BB131_3 Depth=1
	ds_load_b64 v[38:39], v64 offset:24960
	ds_load_b64 v[40:41], v65
	s_wait_dscnt 0x0
	v_fmac_f64_e32 v[36:37], v[38:39], v[40:41]
.LBB131_769:                            ;   in Loop: Header=BB131_3 Depth=1
	s_or_b32 exec_lo, exec_lo, s10
	s_barrier_signal -1
	s_barrier_wait -1
	s_mov_b32 s10, exec_lo
	v_readlane_b32 s12, v102, 4
	s_and_b32 s12, s10, s12
	s_delay_alu instid0(SALU_CYCLE_1)
	s_mov_b32 exec_lo, s12
	s_cbranch_execz .LBB131_771
; %bb.770:                              ;   in Loop: Header=BB131_3 Depth=1
	ds_load_b64 v[38:39], v5 offset:25480
	s_wait_dscnt 0x0
	v_mul_f64_e32 v[36:37], v[36:37], v[38:39]
	ds_store_b64 v65, v[36:37]
.LBB131_771:                            ;   in Loop: Header=BB131_3 Depth=1
	s_or_b32 exec_lo, exec_lo, s10
	s_wait_dscnt 0x0
	s_barrier_signal -1
	s_barrier_wait -1
	s_mov_b32 s10, exec_lo
	v_readlane_b32 s12, v102, 5
	s_and_b32 s12, s10, s12
	s_delay_alu instid0(SALU_CYCLE_1)
	s_mov_b32 exec_lo, s12
	s_cbranch_execz .LBB131_773
; %bb.772:                              ;   in Loop: Header=BB131_3 Depth=1
	ds_load_b64 v[38:39], v64 offset:25472
	ds_load_b64 v[40:41], v65
	s_wait_dscnt 0x0
	v_fmac_f64_e32 v[36:37], v[38:39], v[40:41]
.LBB131_773:                            ;   in Loop: Header=BB131_3 Depth=1
	s_or_b32 exec_lo, exec_lo, s10
	s_barrier_signal -1
	s_barrier_wait -1
	s_mov_b32 s10, exec_lo
	v_readlane_b32 s12, v102, 6
	s_and_b32 s12, s10, s12
	s_delay_alu instid0(SALU_CYCLE_1)
	;; [unrolled: 31-line block ×3, first 2 shown]
	s_mov_b32 exec_lo, s12
	s_cbranch_execz .LBB131_779
; %bb.778:                              ;   in Loop: Header=BB131_3 Depth=1
	ds_load_b64 v[38:39], v5 offset:26520
	s_wait_dscnt 0x0
	v_mul_f64_e32 v[36:37], v[36:37], v[38:39]
	ds_store_b64 v65, v[36:37]
.LBB131_779:                            ;   in Loop: Header=BB131_3 Depth=1
	s_or_b32 exec_lo, exec_lo, s10
	s_wait_dscnt 0x0
	s_barrier_signal -1
	s_barrier_wait -1
	s_and_saveexec_b32 s10, s53
	s_cbranch_execz .LBB131_781
; %bb.780:                              ;   in Loop: Header=BB131_3 Depth=1
	ds_load_b64 v[38:39], v64 offset:26496
	ds_load_b64 v[40:41], v65
	s_wait_dscnt 0x0
	v_fmac_f64_e32 v[36:37], v[38:39], v[40:41]
.LBB131_781:                            ;   in Loop: Header=BB131_3 Depth=1
	s_or_b32 exec_lo, exec_lo, s10
	s_barrier_signal -1
	s_barrier_wait -1
	s_and_saveexec_b32 s10, s54
	s_cbranch_execz .LBB131_783
; %bb.782:                              ;   in Loop: Header=BB131_3 Depth=1
	ds_load_b64 v[38:39], v5 offset:27040
	s_wait_dscnt 0x0
	v_mul_f64_e32 v[36:37], v[36:37], v[38:39]
	ds_store_b64 v65, v[36:37]
.LBB131_783:                            ;   in Loop: Header=BB131_3 Depth=1
	s_or_b32 exec_lo, exec_lo, s10
	s_wait_dscnt 0x0
	s_barrier_signal -1
	s_barrier_wait -1
	s_and_saveexec_b32 s10, s55
	s_cbranch_execz .LBB131_785
; %bb.784:                              ;   in Loop: Header=BB131_3 Depth=1
	ds_load_b64 v[38:39], v64 offset:27008
	ds_load_b64 v[40:41], v65
	s_wait_dscnt 0x0
	v_fmac_f64_e32 v[36:37], v[38:39], v[40:41]
.LBB131_785:                            ;   in Loop: Header=BB131_3 Depth=1
	s_or_b32 exec_lo, exec_lo, s10
	s_barrier_signal -1
	s_barrier_wait -1
	s_and_saveexec_b32 s10, s56
	;; [unrolled: 23-line block ×12, first 2 shown]
	s_cbranch_execz .LBB131_827
; %bb.826:                              ;   in Loop: Header=BB131_3 Depth=1
	ds_load_b64 v[38:39], v5 offset:32760
	s_wait_dscnt 0x0
	v_mul_f64_e32 v[36:37], v[36:37], v[38:39]
	ds_store_b64 v65, v[36:37]
.LBB131_827:                            ;   in Loop: Header=BB131_3 Depth=1
	s_or_b32 exec_lo, exec_lo, s10
	s_wait_dscnt 0x0
	s_barrier_signal -1
	s_barrier_wait -1
	s_barrier_signal -1
	s_barrier_wait -1
	s_and_saveexec_b32 s10, s5
; %bb.828:                              ;   in Loop: Header=BB131_3 Depth=1
	s_delay_alu instid0(VALU_DEP_1)
	v_xor_b32_e32 v37, 0x80000000, v37
	ds_store_b64 v66, v[36:37] offset:16768
; %bb.829:                              ;   in Loop: Header=BB131_3 Depth=1
	s_or_b32 exec_lo, exec_lo, s10
	s_wait_dscnt 0x0
	s_barrier_signal -1
	s_barrier_wait -1
	s_barrier_signal -1
	s_barrier_wait -1
	s_and_saveexec_b32 s10, s65
	s_cbranch_execz .LBB131_831
; %bb.830:                              ;   in Loop: Header=BB131_3 Depth=1
	ds_load_b64 v[36:37], v48 offset:16768
	s_wait_dscnt 0x0
	ds_store_b64 v52, v[36:37] offset:24832
	ds_load_b64 v[36:37], v48 offset:16776
	s_wait_dscnt 0x0
	ds_store_b64 v52, v[36:37] offset:25344
	ds_load_b64 v[36:37], v48 offset:16784
	s_wait_dscnt 0x0
	ds_store_b64 v52, v[36:37] offset:25856
	ds_load_b64 v[36:37], v48 offset:16792
	s_wait_dscnt 0x0
	ds_store_b64 v52, v[36:37] offset:26368
	ds_load_b64 v[36:37], v48 offset:16800
	s_wait_dscnt 0x0
	ds_store_b64 v52, v[36:37] offset:26880
	ds_load_b64 v[36:37], v48 offset:16808
	s_wait_dscnt 0x0
	ds_store_b64 v52, v[36:37] offset:27392
	ds_load_b64 v[36:37], v48 offset:16816
	s_wait_dscnt 0x0
	ds_store_b64 v52, v[36:37] offset:27904
	ds_load_b64 v[36:37], v48 offset:16824
	s_wait_dscnt 0x0
	ds_store_b64 v52, v[36:37] offset:28416
	ds_load_b64 v[36:37], v48 offset:16832
	s_wait_dscnt 0x0
	ds_store_b64 v52, v[36:37] offset:28928
	ds_load_b64 v[36:37], v48 offset:16840
	s_wait_dscnt 0x0
	ds_store_b64 v52, v[36:37] offset:29440
	ds_load_b64 v[36:37], v48 offset:16848
	s_wait_dscnt 0x0
	ds_store_b64 v52, v[36:37] offset:29952
	ds_load_b64 v[36:37], v48 offset:16856
	s_wait_dscnt 0x0
	ds_store_b64 v52, v[36:37] offset:30464
	ds_load_b64 v[36:37], v48 offset:16864
	s_wait_dscnt 0x0
	ds_store_b64 v52, v[36:37] offset:30976
	ds_load_b64 v[36:37], v48 offset:16872
	s_wait_dscnt 0x0
	ds_store_b64 v52, v[36:37] offset:31488
	ds_load_b64 v[36:37], v48 offset:16880
	s_wait_dscnt 0x0
	ds_store_b64 v52, v[36:37] offset:32000
	ds_load_b64 v[36:37], v48 offset:16888
	s_wait_dscnt 0x0
	ds_store_b64 v52, v[36:37] offset:32512
.LBB131_831:                            ;   in Loop: Header=BB131_3 Depth=1
	s_or_b32 exec_lo, exec_lo, s10
	s_wait_dscnt 0x0
	s_barrier_signal -1
	s_barrier_wait -1
	s_and_saveexec_b32 s10, s14
	s_cbranch_execz .LBB131_833
; %bb.832:                              ;   in Loop: Header=BB131_3 Depth=1
	ds_load_b128 v[36:39], v5 offset:24960
	ds_load_b64 v[40:41], v5 offset:25480
	s_wait_dscnt 0x0
	v_mul_f64_e32 v[36:37], v[36:37], v[40:41]
	s_delay_alu instid0(VALU_DEP_1)
	v_mul_f64_e32 v[36:37], v[38:39], v[36:37]
	v_add_nc_u32_e64 v38, 0x6000, 0
	ds_store_2addr_b64 v38, v[36:37], v[36:37] offset0:49 offset1:112
.LBB131_833:                            ;   in Loop: Header=BB131_3 Depth=1
	s_or_b32 exec_lo, exec_lo, s10
	v_mov_b64_e32 v[36:37], 0
	s_wait_dscnt 0x0
	s_barrier_signal -1
	s_barrier_wait -1
	s_and_saveexec_b32 s10, s1
	s_cbranch_execz .LBB131_837
; %bb.834:                              ;   in Loop: Header=BB131_3 Depth=1
	ds_load_b64 v[36:37], v43 offset:24976
	ds_load_b64 v[38:39], v44 offset:24960
	s_wait_dscnt 0x0
	v_fma_f64 v[36:37], v[36:37], v[38:39], 0
	s_and_saveexec_b32 s12, s15
	s_cbranch_execz .LBB131_836
; %bb.835:                              ;   in Loop: Header=BB131_3 Depth=1
	ds_load_b64 v[38:39], v45 offset:25488
	ds_load_b64 v[40:41], v5 offset:24968
	s_wait_dscnt 0x0
	v_fmac_f64_e32 v[36:37], v[38:39], v[40:41]
.LBB131_836:                            ;   in Loop: Header=BB131_3 Depth=1
	s_or_b32 exec_lo, exec_lo, s12
	s_delay_alu instid0(VALU_DEP_1)
	v_xor_b32_e32 v37, 0x80000000, v37
.LBB131_837:                            ;   in Loop: Header=BB131_3 Depth=1
	s_or_b32 exec_lo, exec_lo, s10
	s_and_saveexec_b32 s10, s91
	s_cbranch_execz .LBB131_839
; %bb.838:                              ;   in Loop: Header=BB131_3 Depth=1
	ds_load_b64 v[38:39], v5 offset:26000
	s_wait_dscnt 0x0
	v_mul_f64_e32 v[36:37], v[36:37], v[38:39]
	ds_store_b64 v3, v[36:37]
.LBB131_839:                            ;   in Loop: Header=BB131_3 Depth=1
	s_or_b32 exec_lo, exec_lo, s10
	s_wait_dscnt 0x0
	s_barrier_signal -1
	s_barrier_wait -1
	s_and_saveexec_b32 s10, s92
	s_cbranch_execz .LBB131_841
; %bb.840:                              ;   in Loop: Header=BB131_3 Depth=1
	ds_load_b64 v[38:39], v5 offset:26008
	ds_load_b64 v[40:41], v3
	s_wait_dscnt 0x0
	v_fmac_f64_e32 v[36:37], v[38:39], v[40:41]
.LBB131_841:                            ;   in Loop: Header=BB131_3 Depth=1
	s_or_b32 exec_lo, exec_lo, s10
	s_barrier_signal -1
	s_barrier_wait -1
	s_and_saveexec_b32 s10, s92
	s_cbranch_execz .LBB131_843
; %bb.842:                              ;   in Loop: Header=BB131_3 Depth=1
	ds_load_b64 v[38:39], v5 offset:26520
	s_wait_dscnt 0x0
	v_mul_f64_e32 v[36:37], v[36:37], v[38:39]
	ds_store_b64 v3, v[36:37]
.LBB131_843:                            ;   in Loop: Header=BB131_3 Depth=1
	s_or_b32 exec_lo, exec_lo, s10
	s_wait_dscnt 0x0
	s_barrier_signal -1
	s_barrier_wait -1
	s_barrier_signal -1
	s_barrier_wait -1
	s_and_saveexec_b32 s10, s1
; %bb.844:                              ;   in Loop: Header=BB131_3 Depth=1
	s_delay_alu instid0(VALU_DEP_1)
	v_xor_b32_e32 v37, 0x80000000, v37
	ds_store_b64 v43, v[36:37] offset:24976
; %bb.845:                              ;   in Loop: Header=BB131_3 Depth=1
	s_or_b32 exec_lo, exec_lo, s10
	s_wait_dscnt 0x0
	s_barrier_signal -1
	s_barrier_wait -1
	s_barrier_signal -1
	s_barrier_wait -1
	s_and_saveexec_b32 s10, s93
	s_cbranch_execz .LBB131_847
; %bb.846:                              ;   in Loop: Header=BB131_3 Depth=1
	ds_load_b64 v[36:37], v48 offset:24976
	s_wait_dscnt 0x0
	ds_store_b64 v45, v[36:37] offset:25984
	ds_load_b64 v[36:37], v48 offset:24984
	s_wait_dscnt 0x0
	ds_store_b64 v45, v[36:37] offset:26496
.LBB131_847:                            ;   in Loop: Header=BB131_3 Depth=1
	s_or_b32 exec_lo, exec_lo, s10
	s_wait_dscnt 0x0
	s_barrier_signal -1
	s_barrier_wait -1
	s_and_saveexec_b32 s10, s14
	s_cbranch_execz .LBB131_849
; %bb.848:                              ;   in Loop: Header=BB131_3 Depth=1
	ds_load_b128 v[36:39], v5 offset:26000
	ds_load_b64 v[40:41], v5 offset:26520
	s_wait_dscnt 0x0
	v_mul_f64_e32 v[36:37], v[36:37], v[40:41]
	s_delay_alu instid0(VALU_DEP_1)
	v_mul_f64_e32 v[36:37], v[38:39], v[36:37]
	v_add_nc_u32_e64 v38, 0x6000, 0
	ds_store_2addr_b64 v38, v[36:37], v[36:37] offset0:179 offset1:242
.LBB131_849:                            ;   in Loop: Header=BB131_3 Depth=1
	s_or_b32 exec_lo, exec_lo, s10
	v_mov_b64_e32 v[36:37], 0
	s_wait_dscnt 0x0
	s_barrier_signal -1
	s_barrier_wait -1
	s_and_saveexec_b32 s10, s3
	s_cbranch_execz .LBB131_855
; %bb.850:                              ;   in Loop: Header=BB131_3 Depth=1
	ds_load_b64 v[36:37], v50 offset:24992
	ds_load_b64 v[38:39], v46 offset:24960
	s_wait_dscnt 0x0
	v_fma_f64 v[36:37], v[36:37], v[38:39], 0
	s_and_saveexec_b32 s12, s16
	s_cbranch_execnz .LBB131_1139
; %bb.851:                              ;   in Loop: Header=BB131_3 Depth=1
	s_or_b32 exec_lo, exec_lo, s12
	s_and_saveexec_b32 s12, s17
	s_cbranch_execnz .LBB131_1140
.LBB131_852:                            ;   in Loop: Header=BB131_3 Depth=1
	s_or_b32 exec_lo, exec_lo, s12
	s_and_saveexec_b32 s12, s1
	s_cbranch_execz .LBB131_854
.LBB131_853:                            ;   in Loop: Header=BB131_3 Depth=1
	ds_load_b64 v[38:39], v52 offset:26528
	ds_load_b64 v[40:41], v5 offset:24984
	s_wait_dscnt 0x0
	v_fmac_f64_e32 v[36:37], v[38:39], v[40:41]
.LBB131_854:                            ;   in Loop: Header=BB131_3 Depth=1
	s_or_b32 exec_lo, exec_lo, s12
	s_delay_alu instid0(VALU_DEP_1)
	v_xor_b32_e32 v37, 0x80000000, v37
.LBB131_855:                            ;   in Loop: Header=BB131_3 Depth=1
	s_or_b32 exec_lo, exec_lo, s10
	s_and_saveexec_b32 s10, s94
	s_cbranch_execz .LBB131_857
; %bb.856:                              ;   in Loop: Header=BB131_3 Depth=1
	ds_load_b64 v[38:39], v5 offset:27040
	s_wait_dscnt 0x0
	v_mul_f64_e32 v[36:37], v[36:37], v[38:39]
	ds_store_b64 v49, v[36:37]
.LBB131_857:                            ;   in Loop: Header=BB131_3 Depth=1
	s_or_b32 exec_lo, exec_lo, s10
	s_wait_dscnt 0x0
	s_barrier_signal -1
	s_barrier_wait -1
	s_and_saveexec_b32 s10, s95
	s_cbranch_execz .LBB131_859
; %bb.858:                              ;   in Loop: Header=BB131_3 Depth=1
	ds_load_b64 v[38:39], v47 offset:27040
	ds_load_b64 v[40:41], v49
	s_wait_dscnt 0x0
	v_fmac_f64_e32 v[36:37], v[38:39], v[40:41]
.LBB131_859:                            ;   in Loop: Header=BB131_3 Depth=1
	s_or_b32 exec_lo, exec_lo, s10
	s_barrier_signal -1
	s_barrier_wait -1
	s_and_saveexec_b32 s10, s96
	s_cbranch_execz .LBB131_861
; %bb.860:                              ;   in Loop: Header=BB131_3 Depth=1
	ds_load_b64 v[38:39], v5 offset:27560
	s_wait_dscnt 0x0
	v_mul_f64_e32 v[36:37], v[36:37], v[38:39]
	ds_store_b64 v49, v[36:37]
.LBB131_861:                            ;   in Loop: Header=BB131_3 Depth=1
	s_or_b32 exec_lo, exec_lo, s10
	s_wait_dscnt 0x0
	s_barrier_signal -1
	s_barrier_wait -1
	s_and_saveexec_b32 s10, s97
	s_cbranch_execz .LBB131_863
; %bb.862:                              ;   in Loop: Header=BB131_3 Depth=1
	ds_load_b64 v[38:39], v47 offset:27552
	ds_load_b64 v[40:41], v49
	s_wait_dscnt 0x0
	v_fmac_f64_e32 v[36:37], v[38:39], v[40:41]
.LBB131_863:                            ;   in Loop: Header=BB131_3 Depth=1
	s_or_b32 exec_lo, exec_lo, s10
	s_barrier_signal -1
	s_barrier_wait -1
	;; [unrolled: 23-line block ×3, first 2 shown]
	s_and_saveexec_b32 s10, s99
	s_cbranch_execz .LBB131_869
; %bb.868:                              ;   in Loop: Header=BB131_3 Depth=1
	ds_load_b64 v[38:39], v5 offset:28600
	s_wait_dscnt 0x0
	v_mul_f64_e32 v[36:37], v[36:37], v[38:39]
	ds_store_b64 v49, v[36:37]
.LBB131_869:                            ;   in Loop: Header=BB131_3 Depth=1
	s_or_b32 exec_lo, exec_lo, s10
	s_wait_dscnt 0x0
	s_barrier_signal -1
	s_barrier_wait -1
	s_barrier_signal -1
	s_barrier_wait -1
	s_and_saveexec_b32 s10, s3
; %bb.870:                              ;   in Loop: Header=BB131_3 Depth=1
	s_delay_alu instid0(VALU_DEP_1)
	v_xor_b32_e32 v37, 0x80000000, v37
	ds_store_b64 v50, v[36:37] offset:24992
; %bb.871:                              ;   in Loop: Header=BB131_3 Depth=1
	s_or_b32 exec_lo, exec_lo, s10
	s_wait_dscnt 0x0
	s_barrier_signal -1
	s_barrier_wait -1
	s_barrier_signal -1
	s_barrier_wait -1
	s_and_saveexec_b32 s10, s100
	s_cbranch_execz .LBB131_873
; %bb.872:                              ;   in Loop: Header=BB131_3 Depth=1
	ds_load_b64 v[36:37], v53 offset:24992
	s_wait_dscnt 0x0
	ds_store_b64 v54, v[36:37] offset:27008
	ds_load_b64 v[36:37], v53 offset:25000
	s_wait_dscnt 0x0
	ds_store_b64 v54, v[36:37] offset:27520
	ds_load_b64 v[36:37], v53 offset:25008
	s_wait_dscnt 0x0
	ds_store_b64 v54, v[36:37] offset:28032
	ds_load_b64 v[36:37], v53 offset:25016
	s_wait_dscnt 0x0
	ds_store_b64 v54, v[36:37] offset:28544
.LBB131_873:                            ;   in Loop: Header=BB131_3 Depth=1
	s_or_b32 exec_lo, exec_lo, s10
	s_wait_dscnt 0x0
	s_barrier_signal -1
	s_barrier_wait -1
	s_and_saveexec_b32 s10, s14
	s_cbranch_execz .LBB131_875
; %bb.874:                              ;   in Loop: Header=BB131_3 Depth=1
	ds_load_b128 v[36:39], v5 offset:27040
	ds_load_b64 v[40:41], v5 offset:27560
	s_wait_dscnt 0x0
	v_mul_f64_e32 v[36:37], v[36:37], v[40:41]
	s_delay_alu instid0(VALU_DEP_1)
	v_mul_f64_e32 v[36:37], v[38:39], v[36:37]
	v_add_nc_u32_e64 v38, 0x6800, 0
	ds_store_2addr_b64 v38, v[36:37], v[36:37] offset0:53 offset1:116
.LBB131_875:                            ;   in Loop: Header=BB131_3 Depth=1
	s_or_b32 exec_lo, exec_lo, s10
	v_mov_b64_e32 v[36:37], 0
	s_wait_dscnt 0x0
	s_barrier_signal -1
	s_barrier_wait -1
	s_and_saveexec_b32 s10, s1
	s_cbranch_execz .LBB131_879
; %bb.876:                              ;   in Loop: Header=BB131_3 Depth=1
	ds_load_b64 v[36:37], v43 offset:27056
	ds_load_b64 v[38:39], v44 offset:27040
	s_wait_dscnt 0x0
	v_fma_f64 v[36:37], v[36:37], v[38:39], 0
	s_and_saveexec_b32 s12, s15
	s_cbranch_execz .LBB131_878
; %bb.877:                              ;   in Loop: Header=BB131_3 Depth=1
	ds_load_b64 v[38:39], v54 offset:27568
	ds_load_b64 v[40:41], v5 offset:27048
	s_wait_dscnt 0x0
	v_fmac_f64_e32 v[36:37], v[38:39], v[40:41]
.LBB131_878:                            ;   in Loop: Header=BB131_3 Depth=1
	s_or_b32 exec_lo, exec_lo, s12
	s_delay_alu instid0(VALU_DEP_1)
	v_xor_b32_e32 v37, 0x80000000, v37
.LBB131_879:                            ;   in Loop: Header=BB131_3 Depth=1
	s_or_b32 exec_lo, exec_lo, s10
	s_and_saveexec_b32 s10, s91
	s_cbranch_execz .LBB131_881
; %bb.880:                              ;   in Loop: Header=BB131_3 Depth=1
	ds_load_b64 v[38:39], v5 offset:28080
	s_wait_dscnt 0x0
	v_mul_f64_e32 v[36:37], v[36:37], v[38:39]
	ds_store_b64 v3, v[36:37]
.LBB131_881:                            ;   in Loop: Header=BB131_3 Depth=1
	s_or_b32 exec_lo, exec_lo, s10
	s_wait_dscnt 0x0
	s_barrier_signal -1
	s_barrier_wait -1
	s_and_saveexec_b32 s10, s92
	s_cbranch_execz .LBB131_883
; %bb.882:                              ;   in Loop: Header=BB131_3 Depth=1
	ds_load_b64 v[38:39], v5 offset:28088
	ds_load_b64 v[40:41], v3
	s_wait_dscnt 0x0
	v_fmac_f64_e32 v[36:37], v[38:39], v[40:41]
.LBB131_883:                            ;   in Loop: Header=BB131_3 Depth=1
	s_or_b32 exec_lo, exec_lo, s10
	s_barrier_signal -1
	s_barrier_wait -1
	s_and_saveexec_b32 s10, s92
	s_cbranch_execz .LBB131_885
; %bb.884:                              ;   in Loop: Header=BB131_3 Depth=1
	ds_load_b64 v[38:39], v5 offset:28600
	s_wait_dscnt 0x0
	v_mul_f64_e32 v[36:37], v[36:37], v[38:39]
	ds_store_b64 v3, v[36:37]
.LBB131_885:                            ;   in Loop: Header=BB131_3 Depth=1
	s_or_b32 exec_lo, exec_lo, s10
	s_wait_dscnt 0x0
	s_barrier_signal -1
	s_barrier_wait -1
	s_barrier_signal -1
	s_barrier_wait -1
	s_and_saveexec_b32 s10, s1
; %bb.886:                              ;   in Loop: Header=BB131_3 Depth=1
	s_delay_alu instid0(VALU_DEP_1)
	v_xor_b32_e32 v37, 0x80000000, v37
	ds_store_b64 v43, v[36:37] offset:27056
; %bb.887:                              ;   in Loop: Header=BB131_3 Depth=1
	s_or_b32 exec_lo, exec_lo, s10
	s_wait_dscnt 0x0
	s_barrier_signal -1
	s_barrier_wait -1
	s_barrier_signal -1
	s_barrier_wait -1
	s_and_saveexec_b32 s10, s93
	s_cbranch_execz .LBB131_889
; %bb.888:                              ;   in Loop: Header=BB131_3 Depth=1
	ds_load_b64 v[36:37], v57 offset:27056
	s_wait_dscnt 0x0
	ds_store_b64 v54, v[36:37] offset:28064
	ds_load_b64 v[36:37], v57 offset:27064
	s_wait_dscnt 0x0
	ds_store_b64 v54, v[36:37] offset:28576
.LBB131_889:                            ;   in Loop: Header=BB131_3 Depth=1
	s_or_b32 exec_lo, exec_lo, s10
	s_wait_dscnt 0x0
	s_barrier_signal -1
	s_barrier_wait -1
	s_and_saveexec_b32 s10, s14
	s_cbranch_execz .LBB131_891
; %bb.890:                              ;   in Loop: Header=BB131_3 Depth=1
	ds_load_b128 v[36:39], v5 offset:28080
	ds_load_b64 v[40:41], v5 offset:28600
	s_wait_dscnt 0x0
	v_mul_f64_e32 v[36:37], v[36:37], v[40:41]
	s_delay_alu instid0(VALU_DEP_1)
	v_mul_f64_e32 v[36:37], v[38:39], v[36:37]
	v_add_nc_u32_e64 v38, 0x6800, 0
	ds_store_2addr_b64 v38, v[36:37], v[36:37] offset0:183 offset1:246
.LBB131_891:                            ;   in Loop: Header=BB131_3 Depth=1
	s_or_b32 exec_lo, exec_lo, s10
	v_mov_b64_e32 v[36:37], 0
	s_wait_dscnt 0x0
	s_barrier_signal -1
	s_barrier_wait -1
	s_and_saveexec_b32 s10, s4
	s_cbranch_execz .LBB131_901
; %bb.892:                              ;   in Loop: Header=BB131_3 Depth=1
	ds_load_b64 v[36:37], v59 offset:25024
	ds_load_b64 v[38:39], v55 offset:24960
	s_wait_dscnt 0x0
	v_fma_f64 v[36:37], v[36:37], v[38:39], 0
	s_and_saveexec_b32 s12, s18
	s_cbranch_execnz .LBB131_1141
; %bb.893:                              ;   in Loop: Header=BB131_3 Depth=1
	s_or_b32 exec_lo, exec_lo, s12
	s_and_saveexec_b32 s12, s19
	s_cbranch_execnz .LBB131_1142
.LBB131_894:                            ;   in Loop: Header=BB131_3 Depth=1
	s_or_b32 exec_lo, exec_lo, s12
	s_and_saveexec_b32 s12, s20
	s_cbranch_execnz .LBB131_1143
.LBB131_895:                            ;   in Loop: Header=BB131_3 Depth=1
	s_or_b32 exec_lo, exec_lo, s12
	s_and_saveexec_b32 s12, s21
	s_cbranch_execnz .LBB131_1144
.LBB131_896:                            ;   in Loop: Header=BB131_3 Depth=1
	s_or_b32 exec_lo, exec_lo, s12
	s_and_saveexec_b32 s12, s22
	s_cbranch_execnz .LBB131_1145
.LBB131_897:                            ;   in Loop: Header=BB131_3 Depth=1
	s_or_b32 exec_lo, exec_lo, s12
	s_and_saveexec_b32 s12, s3
	s_cbranch_execnz .LBB131_1146
.LBB131_898:                            ;   in Loop: Header=BB131_3 Depth=1
	s_or_b32 exec_lo, exec_lo, s12
	s_and_saveexec_b32 s12, s17
	s_cbranch_execz .LBB131_900
.LBB131_899:                            ;   in Loop: Header=BB131_3 Depth=1
	ds_load_b64 v[38:39], v61 offset:28608
	ds_load_b64 v[40:41], v5 offset:25016
	s_wait_dscnt 0x0
	v_fmac_f64_e32 v[36:37], v[38:39], v[40:41]
.LBB131_900:                            ;   in Loop: Header=BB131_3 Depth=1
	s_or_b32 exec_lo, exec_lo, s12
	s_delay_alu instid0(VALU_DEP_1)
	v_xor_b32_e32 v37, 0x80000000, v37
.LBB131_901:                            ;   in Loop: Header=BB131_3 Depth=1
	s_or_b32 exec_lo, exec_lo, s10
	s_and_saveexec_b32 s10, s101
	s_cbranch_execz .LBB131_903
; %bb.902:                              ;   in Loop: Header=BB131_3 Depth=1
	ds_load_b64 v[38:39], v5 offset:29120
	s_wait_dscnt 0x0
	v_mul_f64_e32 v[36:37], v[36:37], v[38:39]
	ds_store_b64 v58, v[36:37]
.LBB131_903:                            ;   in Loop: Header=BB131_3 Depth=1
	s_or_b32 exec_lo, exec_lo, s10
	s_wait_dscnt 0x0
	s_barrier_signal -1
	s_barrier_wait -1
	s_and_saveexec_b32 s10, s102
	s_cbranch_execz .LBB131_905
; %bb.904:                              ;   in Loop: Header=BB131_3 Depth=1
	ds_load_b64 v[38:39], v56 offset:29120
	ds_load_b64 v[40:41], v58
	s_wait_dscnt 0x0
	v_fmac_f64_e32 v[36:37], v[38:39], v[40:41]
.LBB131_905:                            ;   in Loop: Header=BB131_3 Depth=1
	s_or_b32 exec_lo, exec_lo, s10
	s_barrier_signal -1
	s_barrier_wait -1
	s_and_saveexec_b32 s10, s103
	s_cbranch_execz .LBB131_907
; %bb.906:                              ;   in Loop: Header=BB131_3 Depth=1
	ds_load_b64 v[38:39], v5 offset:29640
	s_wait_dscnt 0x0
	v_mul_f64_e32 v[36:37], v[36:37], v[38:39]
	ds_store_b64 v58, v[36:37]
.LBB131_907:                            ;   in Loop: Header=BB131_3 Depth=1
	s_or_b32 exec_lo, exec_lo, s10
	s_wait_dscnt 0x0
	s_barrier_signal -1
	s_barrier_wait -1
	s_and_saveexec_b32 s10, s104
	s_cbranch_execz .LBB131_909
; %bb.908:                              ;   in Loop: Header=BB131_3 Depth=1
	ds_load_b64 v[38:39], v56 offset:29632
	ds_load_b64 v[40:41], v58
	s_wait_dscnt 0x0
	v_fmac_f64_e32 v[36:37], v[38:39], v[40:41]
.LBB131_909:                            ;   in Loop: Header=BB131_3 Depth=1
	s_or_b32 exec_lo, exec_lo, s10
	s_barrier_signal -1
	s_barrier_wait -1
	s_and_saveexec_b32 s10, vcc_hi
	s_cbranch_execz .LBB131_911
; %bb.910:                              ;   in Loop: Header=BB131_3 Depth=1
	ds_load_b64 v[38:39], v5 offset:30160
	s_wait_dscnt 0x0
	v_mul_f64_e32 v[36:37], v[36:37], v[38:39]
	ds_store_b64 v58, v[36:37]
.LBB131_911:                            ;   in Loop: Header=BB131_3 Depth=1
	s_or_b32 exec_lo, exec_lo, s10
	s_wait_dscnt 0x0
	s_barrier_signal -1
	s_barrier_wait -1
	s_and_saveexec_b32 s10, s36
	s_cbranch_execz .LBB131_913
; %bb.912:                              ;   in Loop: Header=BB131_3 Depth=1
	ds_load_b64 v[38:39], v56 offset:30144
	ds_load_b64 v[40:41], v58
	s_wait_dscnt 0x0
	v_fmac_f64_e32 v[36:37], v[38:39], v[40:41]
.LBB131_913:                            ;   in Loop: Header=BB131_3 Depth=1
	s_or_b32 exec_lo, exec_lo, s10
	s_barrier_signal -1
	s_barrier_wait -1
	s_and_saveexec_b32 s10, s37
	s_cbranch_execz .LBB131_915
; %bb.914:                              ;   in Loop: Header=BB131_3 Depth=1
	ds_load_b64 v[38:39], v5 offset:30680
	s_wait_dscnt 0x0
	v_mul_f64_e32 v[36:37], v[36:37], v[38:39]
	ds_store_b64 v58, v[36:37]
.LBB131_915:                            ;   in Loop: Header=BB131_3 Depth=1
	s_or_b32 exec_lo, exec_lo, s10
	s_wait_dscnt 0x0
	s_barrier_signal -1
	s_barrier_wait -1
	s_and_saveexec_b32 s10, s38
	s_cbranch_execz .LBB131_917
; %bb.916:                              ;   in Loop: Header=BB131_3 Depth=1
	ds_load_b64 v[38:39], v56 offset:30656
	ds_load_b64 v[40:41], v58
	s_wait_dscnt 0x0
	v_fmac_f64_e32 v[36:37], v[38:39], v[40:41]
.LBB131_917:                            ;   in Loop: Header=BB131_3 Depth=1
	s_or_b32 exec_lo, exec_lo, s10
	s_barrier_signal -1
	s_barrier_wait -1
	s_and_saveexec_b32 s10, s39
	;; [unrolled: 23-line block ×5, first 2 shown]
	s_cbranch_execz .LBB131_931
; %bb.930:                              ;   in Loop: Header=BB131_3 Depth=1
	ds_load_b64 v[38:39], v5 offset:32760
	s_wait_dscnt 0x0
	v_mul_f64_e32 v[36:37], v[36:37], v[38:39]
	ds_store_b64 v58, v[36:37]
.LBB131_931:                            ;   in Loop: Header=BB131_3 Depth=1
	s_or_b32 exec_lo, exec_lo, s10
	s_wait_dscnt 0x0
	s_barrier_signal -1
	s_barrier_wait -1
	s_barrier_signal -1
	s_barrier_wait -1
	s_and_saveexec_b32 s10, s4
; %bb.932:                              ;   in Loop: Header=BB131_3 Depth=1
	s_delay_alu instid0(VALU_DEP_1)
	v_xor_b32_e32 v37, 0x80000000, v37
	ds_store_b64 v59, v[36:37] offset:25024
; %bb.933:                              ;   in Loop: Header=BB131_3 Depth=1
	s_or_b32 exec_lo, exec_lo, s10
	s_wait_dscnt 0x0
	s_barrier_signal -1
	s_barrier_wait -1
	s_barrier_signal -1
	s_barrier_wait -1
	s_and_saveexec_b32 s10, s45
	s_cbranch_execz .LBB131_935
; %bb.934:                              ;   in Loop: Header=BB131_3 Depth=1
	ds_load_b64 v[36:37], v63 offset:25024
	s_wait_dscnt 0x0
	ds_store_b64 v71, v[36:37] offset:29056
	ds_load_b64 v[36:37], v63 offset:25032
	s_wait_dscnt 0x0
	ds_store_b64 v71, v[36:37] offset:29568
	;; [unrolled: 3-line block ×8, first 2 shown]
.LBB131_935:                            ;   in Loop: Header=BB131_3 Depth=1
	s_or_b32 exec_lo, exec_lo, s10
	s_wait_dscnt 0x0
	s_barrier_signal -1
	s_barrier_wait -1
	s_and_saveexec_b32 s10, s14
	s_cbranch_execz .LBB131_937
; %bb.936:                              ;   in Loop: Header=BB131_3 Depth=1
	ds_load_b128 v[36:39], v5 offset:29120
	ds_load_b64 v[40:41], v5 offset:29640
	s_wait_dscnt 0x0
	v_mul_f64_e32 v[36:37], v[36:37], v[40:41]
	s_delay_alu instid0(VALU_DEP_1)
	v_mul_f64_e32 v[36:37], v[38:39], v[36:37]
	v_add_nc_u32_e64 v38, 0x7000, 0
	ds_store_2addr_b64 v38, v[36:37], v[36:37] offset0:57 offset1:120
.LBB131_937:                            ;   in Loop: Header=BB131_3 Depth=1
	s_or_b32 exec_lo, exec_lo, s10
	v_mov_b64_e32 v[36:37], 0
	s_wait_dscnt 0x0
	s_barrier_signal -1
	s_barrier_wait -1
	s_and_saveexec_b32 s10, s1
	s_cbranch_execz .LBB131_941
; %bb.938:                              ;   in Loop: Header=BB131_3 Depth=1
	ds_load_b64 v[36:37], v43 offset:29136
	ds_load_b64 v[38:39], v44 offset:29120
	s_wait_dscnt 0x0
	v_fma_f64 v[36:37], v[36:37], v[38:39], 0
	s_and_saveexec_b32 s12, s15
	s_cbranch_execz .LBB131_940
; %bb.939:                              ;   in Loop: Header=BB131_3 Depth=1
	ds_load_b64 v[38:39], v71 offset:29648
	ds_load_b64 v[40:41], v5 offset:29128
	s_wait_dscnt 0x0
	v_fmac_f64_e32 v[36:37], v[38:39], v[40:41]
.LBB131_940:                            ;   in Loop: Header=BB131_3 Depth=1
	s_or_b32 exec_lo, exec_lo, s12
	s_delay_alu instid0(VALU_DEP_1)
	v_xor_b32_e32 v37, 0x80000000, v37
.LBB131_941:                            ;   in Loop: Header=BB131_3 Depth=1
	s_or_b32 exec_lo, exec_lo, s10
	s_and_saveexec_b32 s10, s91
	s_cbranch_execz .LBB131_943
; %bb.942:                              ;   in Loop: Header=BB131_3 Depth=1
	ds_load_b64 v[38:39], v5 offset:30160
	s_wait_dscnt 0x0
	v_mul_f64_e32 v[36:37], v[36:37], v[38:39]
	ds_store_b64 v3, v[36:37]
.LBB131_943:                            ;   in Loop: Header=BB131_3 Depth=1
	s_or_b32 exec_lo, exec_lo, s10
	s_wait_dscnt 0x0
	s_barrier_signal -1
	s_barrier_wait -1
	s_and_saveexec_b32 s10, s92
	s_cbranch_execz .LBB131_945
; %bb.944:                              ;   in Loop: Header=BB131_3 Depth=1
	ds_load_b64 v[38:39], v5 offset:30168
	ds_load_b64 v[40:41], v3
	s_wait_dscnt 0x0
	v_fmac_f64_e32 v[36:37], v[38:39], v[40:41]
.LBB131_945:                            ;   in Loop: Header=BB131_3 Depth=1
	s_or_b32 exec_lo, exec_lo, s10
	s_barrier_signal -1
	s_barrier_wait -1
	s_and_saveexec_b32 s10, s92
	s_cbranch_execz .LBB131_947
; %bb.946:                              ;   in Loop: Header=BB131_3 Depth=1
	ds_load_b64 v[38:39], v5 offset:30680
	s_wait_dscnt 0x0
	v_mul_f64_e32 v[36:37], v[36:37], v[38:39]
	ds_store_b64 v3, v[36:37]
.LBB131_947:                            ;   in Loop: Header=BB131_3 Depth=1
	s_or_b32 exec_lo, exec_lo, s10
	s_wait_dscnt 0x0
	s_barrier_signal -1
	s_barrier_wait -1
	s_barrier_signal -1
	s_barrier_wait -1
	s_and_saveexec_b32 s10, s1
; %bb.948:                              ;   in Loop: Header=BB131_3 Depth=1
	s_delay_alu instid0(VALU_DEP_1)
	v_xor_b32_e32 v37, 0x80000000, v37
	ds_store_b64 v43, v[36:37] offset:29136
; %bb.949:                              ;   in Loop: Header=BB131_3 Depth=1
	s_or_b32 exec_lo, exec_lo, s10
	s_wait_dscnt 0x0
	s_barrier_signal -1
	s_barrier_wait -1
	s_barrier_signal -1
	s_barrier_wait -1
	s_and_saveexec_b32 s10, s93
	s_cbranch_execz .LBB131_951
; %bb.950:                              ;   in Loop: Header=BB131_3 Depth=1
	ds_load_b64 v[36:37], v72 offset:29136
	s_wait_dscnt 0x0
	ds_store_b64 v71, v[36:37] offset:30144
	ds_load_b64 v[36:37], v72 offset:29144
	s_wait_dscnt 0x0
	ds_store_b64 v71, v[36:37] offset:30656
.LBB131_951:                            ;   in Loop: Header=BB131_3 Depth=1
	s_or_b32 exec_lo, exec_lo, s10
	s_wait_dscnt 0x0
	s_barrier_signal -1
	s_barrier_wait -1
	s_and_saveexec_b32 s10, s14
	s_cbranch_execz .LBB131_953
; %bb.952:                              ;   in Loop: Header=BB131_3 Depth=1
	ds_load_b128 v[36:39], v5 offset:30160
	ds_load_b64 v[40:41], v5 offset:30680
	s_wait_dscnt 0x0
	v_mul_f64_e32 v[36:37], v[36:37], v[40:41]
	s_delay_alu instid0(VALU_DEP_1)
	v_mul_f64_e32 v[36:37], v[38:39], v[36:37]
	v_add_nc_u32_e64 v38, 0x7000, 0
	ds_store_2addr_b64 v38, v[36:37], v[36:37] offset0:187 offset1:250
.LBB131_953:                            ;   in Loop: Header=BB131_3 Depth=1
	s_or_b32 exec_lo, exec_lo, s10
	v_mov_b64_e32 v[36:37], 0
	s_wait_dscnt 0x0
	s_barrier_signal -1
	s_barrier_wait -1
	s_and_saveexec_b32 s10, s3
	s_cbranch_execz .LBB131_959
; %bb.954:                              ;   in Loop: Header=BB131_3 Depth=1
	ds_load_b64 v[36:37], v50 offset:29152
	ds_load_b64 v[38:39], v46 offset:29120
	s_wait_dscnt 0x0
	v_fma_f64 v[36:37], v[36:37], v[38:39], 0
	s_and_saveexec_b32 s12, s16
	s_cbranch_execnz .LBB131_1147
; %bb.955:                              ;   in Loop: Header=BB131_3 Depth=1
	s_or_b32 exec_lo, exec_lo, s12
	s_and_saveexec_b32 s12, s17
	s_cbranch_execnz .LBB131_1148
.LBB131_956:                            ;   in Loop: Header=BB131_3 Depth=1
	s_or_b32 exec_lo, exec_lo, s12
	s_and_saveexec_b32 s12, s1
	s_cbranch_execz .LBB131_958
.LBB131_957:                            ;   in Loop: Header=BB131_3 Depth=1
	ds_load_b64 v[38:39], v73 offset:30688
	ds_load_b64 v[40:41], v5 offset:29144
	s_wait_dscnt 0x0
	v_fmac_f64_e32 v[36:37], v[38:39], v[40:41]
.LBB131_958:                            ;   in Loop: Header=BB131_3 Depth=1
	s_or_b32 exec_lo, exec_lo, s12
	s_delay_alu instid0(VALU_DEP_1)
	v_xor_b32_e32 v37, 0x80000000, v37
.LBB131_959:                            ;   in Loop: Header=BB131_3 Depth=1
	s_or_b32 exec_lo, exec_lo, s10
	s_and_saveexec_b32 s10, s94
	s_cbranch_execz .LBB131_961
; %bb.960:                              ;   in Loop: Header=BB131_3 Depth=1
	ds_load_b64 v[38:39], v5 offset:31200
	s_wait_dscnt 0x0
	v_mul_f64_e32 v[36:37], v[36:37], v[38:39]
	ds_store_b64 v49, v[36:37]
.LBB131_961:                            ;   in Loop: Header=BB131_3 Depth=1
	s_or_b32 exec_lo, exec_lo, s10
	s_wait_dscnt 0x0
	s_barrier_signal -1
	s_barrier_wait -1
	s_and_saveexec_b32 s10, s95
	s_cbranch_execz .LBB131_963
; %bb.962:                              ;   in Loop: Header=BB131_3 Depth=1
	ds_load_b64 v[38:39], v47 offset:31200
	ds_load_b64 v[40:41], v49
	s_wait_dscnt 0x0
	v_fmac_f64_e32 v[36:37], v[38:39], v[40:41]
.LBB131_963:                            ;   in Loop: Header=BB131_3 Depth=1
	s_or_b32 exec_lo, exec_lo, s10
	s_barrier_signal -1
	s_barrier_wait -1
	s_and_saveexec_b32 s10, s96
	s_cbranch_execz .LBB131_965
; %bb.964:                              ;   in Loop: Header=BB131_3 Depth=1
	ds_load_b64 v[38:39], v5 offset:31720
	s_wait_dscnt 0x0
	v_mul_f64_e32 v[36:37], v[36:37], v[38:39]
	ds_store_b64 v49, v[36:37]
.LBB131_965:                            ;   in Loop: Header=BB131_3 Depth=1
	s_or_b32 exec_lo, exec_lo, s10
	s_wait_dscnt 0x0
	s_barrier_signal -1
	s_barrier_wait -1
	s_and_saveexec_b32 s10, s97
	s_cbranch_execz .LBB131_967
; %bb.966:                              ;   in Loop: Header=BB131_3 Depth=1
	ds_load_b64 v[38:39], v47 offset:31712
	ds_load_b64 v[40:41], v49
	s_wait_dscnt 0x0
	v_fmac_f64_e32 v[36:37], v[38:39], v[40:41]
.LBB131_967:                            ;   in Loop: Header=BB131_3 Depth=1
	s_or_b32 exec_lo, exec_lo, s10
	s_barrier_signal -1
	s_barrier_wait -1
	;; [unrolled: 23-line block ×3, first 2 shown]
	s_and_saveexec_b32 s10, s99
	s_cbranch_execz .LBB131_973
; %bb.972:                              ;   in Loop: Header=BB131_3 Depth=1
	ds_load_b64 v[38:39], v5 offset:32760
	s_wait_dscnt 0x0
	v_mul_f64_e32 v[36:37], v[36:37], v[38:39]
	ds_store_b64 v49, v[36:37]
.LBB131_973:                            ;   in Loop: Header=BB131_3 Depth=1
	s_or_b32 exec_lo, exec_lo, s10
	s_wait_dscnt 0x0
	s_barrier_signal -1
	s_barrier_wait -1
	s_barrier_signal -1
	s_barrier_wait -1
	s_and_saveexec_b32 s10, s3
; %bb.974:                              ;   in Loop: Header=BB131_3 Depth=1
	s_delay_alu instid0(VALU_DEP_1)
	v_xor_b32_e32 v37, 0x80000000, v37
	ds_store_b64 v50, v[36:37] offset:29152
; %bb.975:                              ;   in Loop: Header=BB131_3 Depth=1
	s_or_b32 exec_lo, exec_lo, s10
	s_wait_dscnt 0x0
	s_barrier_signal -1
	s_barrier_wait -1
	s_barrier_signal -1
	s_barrier_wait -1
	s_and_saveexec_b32 s10, s100
	s_cbranch_execz .LBB131_977
; %bb.976:                              ;   in Loop: Header=BB131_3 Depth=1
	ds_load_b64 v[36:37], v74 offset:29152
	s_wait_dscnt 0x0
	ds_store_b64 v77, v[36:37] offset:31168
	ds_load_b64 v[36:37], v74 offset:29160
	s_wait_dscnt 0x0
	ds_store_b64 v77, v[36:37] offset:31680
	;; [unrolled: 3-line block ×4, first 2 shown]
.LBB131_977:                            ;   in Loop: Header=BB131_3 Depth=1
	s_or_b32 exec_lo, exec_lo, s10
	s_wait_dscnt 0x0
	s_barrier_signal -1
	s_barrier_wait -1
	s_and_saveexec_b32 s10, s14
	s_cbranch_execz .LBB131_979
; %bb.978:                              ;   in Loop: Header=BB131_3 Depth=1
	ds_load_b128 v[36:39], v5 offset:31200
	ds_load_b64 v[40:41], v5 offset:31720
	s_wait_dscnt 0x0
	v_mul_f64_e32 v[36:37], v[36:37], v[40:41]
	s_delay_alu instid0(VALU_DEP_1)
	v_mul_f64_e32 v[36:37], v[38:39], v[36:37]
	v_add_nc_u32_e64 v38, 0x7800, 0
	ds_store_2addr_b64 v38, v[36:37], v[36:37] offset0:61 offset1:124
.LBB131_979:                            ;   in Loop: Header=BB131_3 Depth=1
	s_or_b32 exec_lo, exec_lo, s10
	v_mov_b64_e32 v[36:37], 0
	s_wait_dscnt 0x0
	s_barrier_signal -1
	s_barrier_wait -1
	s_and_saveexec_b32 s10, s1
	s_cbranch_execz .LBB131_983
; %bb.980:                              ;   in Loop: Header=BB131_3 Depth=1
	ds_load_b64 v[36:37], v43 offset:31216
	ds_load_b64 v[38:39], v44 offset:31200
	s_wait_dscnt 0x0
	v_fma_f64 v[36:37], v[36:37], v[38:39], 0
	s_and_saveexec_b32 s12, s15
	s_cbranch_execz .LBB131_982
; %bb.981:                              ;   in Loop: Header=BB131_3 Depth=1
	ds_load_b64 v[38:39], v77 offset:31728
	ds_load_b64 v[40:41], v5 offset:31208
	s_wait_dscnt 0x0
	v_fmac_f64_e32 v[36:37], v[38:39], v[40:41]
.LBB131_982:                            ;   in Loop: Header=BB131_3 Depth=1
	s_or_b32 exec_lo, exec_lo, s12
	s_delay_alu instid0(VALU_DEP_1)
	v_xor_b32_e32 v37, 0x80000000, v37
.LBB131_983:                            ;   in Loop: Header=BB131_3 Depth=1
	s_or_b32 exec_lo, exec_lo, s10
	s_and_saveexec_b32 s10, s91
	s_cbranch_execz .LBB131_985
; %bb.984:                              ;   in Loop: Header=BB131_3 Depth=1
	ds_load_b64 v[38:39], v5 offset:32240
	s_wait_dscnt 0x0
	v_mul_f64_e32 v[36:37], v[36:37], v[38:39]
	ds_store_b64 v3, v[36:37]
.LBB131_985:                            ;   in Loop: Header=BB131_3 Depth=1
	s_or_b32 exec_lo, exec_lo, s10
	s_wait_dscnt 0x0
	s_barrier_signal -1
	s_barrier_wait -1
	s_and_saveexec_b32 s10, s92
	s_cbranch_execz .LBB131_987
; %bb.986:                              ;   in Loop: Header=BB131_3 Depth=1
	ds_load_b64 v[38:39], v5 offset:32248
	ds_load_b64 v[40:41], v3
	s_wait_dscnt 0x0
	v_fmac_f64_e32 v[36:37], v[38:39], v[40:41]
.LBB131_987:                            ;   in Loop: Header=BB131_3 Depth=1
	s_or_b32 exec_lo, exec_lo, s10
	s_barrier_signal -1
	s_barrier_wait -1
	s_and_saveexec_b32 s10, s92
	s_cbranch_execz .LBB131_989
; %bb.988:                              ;   in Loop: Header=BB131_3 Depth=1
	ds_load_b64 v[38:39], v5 offset:32760
	s_wait_dscnt 0x0
	v_mul_f64_e32 v[36:37], v[36:37], v[38:39]
	ds_store_b64 v3, v[36:37]
.LBB131_989:                            ;   in Loop: Header=BB131_3 Depth=1
	s_or_b32 exec_lo, exec_lo, s10
	s_wait_dscnt 0x0
	s_barrier_signal -1
	s_barrier_wait -1
	s_barrier_signal -1
	s_barrier_wait -1
	s_and_saveexec_b32 s10, s1
; %bb.990:                              ;   in Loop: Header=BB131_3 Depth=1
	s_delay_alu instid0(VALU_DEP_1)
	v_xor_b32_e32 v37, 0x80000000, v37
	ds_store_b64 v43, v[36:37] offset:31216
; %bb.991:                              ;   in Loop: Header=BB131_3 Depth=1
	s_or_b32 exec_lo, exec_lo, s10
	s_wait_dscnt 0x0
	s_barrier_signal -1
	s_barrier_wait -1
	s_barrier_signal -1
	s_barrier_wait -1
	s_and_saveexec_b32 s10, s93
	s_cbranch_execz .LBB131_993
; %bb.992:                              ;   in Loop: Header=BB131_3 Depth=1
	ds_load_b64 v[36:37], v79 offset:31216
	s_wait_dscnt 0x0
	ds_store_b64 v77, v[36:37] offset:32224
	ds_load_b64 v[36:37], v79 offset:31224
	s_wait_dscnt 0x0
	ds_store_b64 v77, v[36:37] offset:32736
.LBB131_993:                            ;   in Loop: Header=BB131_3 Depth=1
	s_or_b32 exec_lo, exec_lo, s10
	s_wait_dscnt 0x0
	s_barrier_signal -1
	s_barrier_wait -1
	s_and_saveexec_b32 s10, s14
	s_cbranch_execz .LBB131_995
; %bb.994:                              ;   in Loop: Header=BB131_3 Depth=1
	ds_load_b128 v[36:39], v5 offset:32240
	ds_load_b64 v[40:41], v5 offset:32760
	s_wait_dscnt 0x0
	v_mul_f64_e32 v[36:37], v[36:37], v[40:41]
	s_delay_alu instid0(VALU_DEP_1)
	v_mul_f64_e32 v[36:37], v[38:39], v[36:37]
	v_add_nc_u32_e64 v38, 0x7800, 0
	ds_store_2addr_b64 v38, v[36:37], v[36:37] offset0:191 offset1:254
.LBB131_995:                            ;   in Loop: Header=BB131_3 Depth=1
	s_or_b32 exec_lo, exec_lo, s10
.LBB131_996:                            ;   in Loop: Header=BB131_3 Depth=1
	v_add_nc_u64_e32 v[34:35], s[72:73], v[34:35]
	v_mov_b64_e32 v[36:37], 0
	s_wait_dscnt 0x0
	s_barrier_signal -1
	s_barrier_wait -1
	s_and_saveexec_b32 s10, s47
	s_cbranch_execz .LBB131_998
; %bb.997:                              ;   in Loop: Header=BB131_3 Depth=1
	v_lshl_add_u64 v[36:37], v[0:1], 3, v[34:35]
	flat_load_b64 v[36:37], v[36:37]
	s_wait_loadcnt_dscnt 0x0
	v_mul_f64_e64 v[36:37], v[36:37], -v[32:33]
.LBB131_998:                            ;   in Loop: Header=BB131_3 Depth=1
	s_or_b32 exec_lo, exec_lo, s10
	s_delay_alu instid0(SALU_CYCLE_1)
	s_and_not1_b32 vcc_lo, exec_lo, s48
	s_cbranch_vccnz .LBB131_1024
; %bb.999:                              ;   in Loop: Header=BB131_3 Depth=1
	v_mov_b32_e32 v94, -1
	s_lshl_b64 s[50:51], s[66:67], 2
	s_mov_b32 s10, 0
	s_add_nc_u64 s[84:85], s[82:83], s[50:51]
	s_branch .LBB131_1002
.LBB131_1000:                           ;   in Loop: Header=BB131_1002 Depth=2
	s_wait_xcnt 0x0
	ds_load_b64 v[32:33], v81 offset:384
	s_wait_loadcnt_dscnt 0x0
	v_fmac_f64_e32 v[36:37], v[38:39], v[32:33]
.LBB131_1001:                           ;   in Loop: Header=BB131_1002 Depth=2
	s_or_b32 exec_lo, exec_lo, s12
	s_add_co_i32 s10, s10, 1
	s_delay_alu instid0(SALU_CYCLE_1)
	s_cmp_eq_u32 s10, s86
	s_cbranch_scc1 .LBB131_1024
.LBB131_1002:                           ;   Parent Loop BB131_3 Depth=1
                                        ; =>  This Loop Header: Depth=2
                                        ;       Child Loop BB131_1004 Depth 3
	v_cmp_gt_i32_e32 vcc_lo, s10, v94
	s_and_b32 s50, s59, vcc_lo
	s_delay_alu instid0(SALU_CYCLE_1)
	s_and_saveexec_b32 s12, s50
	s_cbranch_execz .LBB131_1005
; %bb.1003:                             ;   in Loop: Header=BB131_1002 Depth=2
	global_load_b32 v94, v5, s[84:85]
	s_wait_loadcnt 0x0
	v_cmp_le_i32_e32 vcc_lo, s10, v94
	s_cbranch_vccnz .LBB131_1005
.LBB131_1004:                           ;   Parent Loop BB131_3 Depth=1
                                        ;     Parent Loop BB131_1002 Depth=2
                                        ; =>    This Inner Loop Header: Depth=3
	global_wb scope:SCOPE_DEV
	s_wait_storecnt 0x0
	global_inv scope:SCOPE_DEV
	global_load_b32 v94, v5, s[84:85]
	s_wait_loadcnt 0x0
	v_cmp_gt_i32_e32 vcc_lo, s10, v94
	s_cbranch_vccnz .LBB131_1004
.LBB131_1005:                           ;   in Loop: Header=BB131_1002 Depth=2
	s_or_b32 exec_lo, exec_lo, s12
	s_sub_co_i32 s12, s87, s10
	global_wb scope:SCOPE_DEV
	s_wait_storecnt 0x0
	global_inv scope:SCOPE_DEV
	s_lshl_b32 s50, s12, 6
	s_wait_loadcnt 0x0
	s_barrier_signal -1
	s_barrier_wait -1
	s_and_saveexec_b32 s51, s60
	s_cbranch_execz .LBB131_1009
; %bb.1006:                             ;   in Loop: Header=BB131_1002 Depth=2
	s_ashr_i32 s52, s50, 31
	v_mov_b64_e32 v[38:39], 0
	v_dual_mov_b32 v33, s52 :: v_dual_bitop2_b32 v32, s50, v4 bitop3:0x54
	s_mov_b32 s52, exec_lo
	s_delay_alu instid0(VALU_DEP_1)
	v_cmpx_gt_i64_e64 s[80:81], v[32:33]
	s_cbranch_execz .LBB131_1008
; %bb.1007:                             ;   in Loop: Header=BB131_1002 Depth=2
	v_mul_u64_e32 v[32:33], s[74:75], v[32:33]
	s_delay_alu instid0(VALU_DEP_1)
	v_lshl_add_u64 v[32:33], v[32:33], 3, v[34:35]
	flat_load_b64 v[38:39], v[32:33]
.LBB131_1008:                           ;   in Loop: Header=BB131_1002 Depth=2
	s_wait_xcnt 0x0
	s_or_b32 exec_lo, exec_lo, s52
	s_wait_loadcnt_dscnt 0x0
	ds_store_b64 v88, v[38:39]
.LBB131_1009:                           ;   in Loop: Header=BB131_1002 Depth=2
	s_or_b32 exec_lo, exec_lo, s51
	v_add_nc_u32_e32 v38, s50, v42
	s_cmp_lg_u32 s12, s49
	s_wait_dscnt 0x0
	s_cselect_b32 s50, -1, 0
	s_barrier_signal -1
	v_ashrrev_i32_e32 v39, 31, v38
	v_cmp_gt_i32_e32 vcc_lo, s80, v38
	s_barrier_wait -1
	s_delay_alu instid0(VALU_DEP_2) | instskip(SKIP_2) | instid1(SALU_CYCLE_1)
	v_lshl_add_u64 v[32:33], v[38:39], 3, v[30:31]
	v_cndmask_b32_e64 v39, 0, 1, s50
	s_and_b32 s51, vcc_lo, s0
	s_and_saveexec_b32 s12, s51
	s_cbranch_execz .LBB131_1013
; %bb.1010:                             ;   in Loop: Header=BB131_1002 Depth=2
	v_mov_b64_e32 v[40:41], v[22:23]
	s_and_not1_b32 vcc_lo, exec_lo, s50
	s_cbranch_vccnz .LBB131_1012
; %bb.1011:                             ;   in Loop: Header=BB131_1002 Depth=2
	flat_load_b64 v[40:41], v[32:33]
.LBB131_1012:                           ;   in Loop: Header=BB131_1002 Depth=2
	ds_load_b64 v[96:97], v81
	s_wait_loadcnt_dscnt 0x0
	v_fmac_f64_e32 v[36:37], v[40:41], v[96:97]
.LBB131_1013:                           ;   in Loop: Header=BB131_1002 Depth=2
	s_or_b32 exec_lo, exec_lo, s12
	v_add_nc_u32_e32 v40, 16, v38
	s_delay_alu instid0(VALU_DEP_1) | instskip(SKIP_1) | instid1(SALU_CYCLE_1)
	v_cmp_gt_i32_e32 vcc_lo, s80, v40
	s_and_b32 s50, vcc_lo, s0
	s_and_saveexec_b32 s12, s50
	s_cbranch_execz .LBB131_1017
; %bb.1014:                             ;   in Loop: Header=BB131_1002 Depth=2
	v_cmp_ne_u32_e32 vcc_lo, 1, v39
	v_mov_b64_e32 v[40:41], v[24:25]
	s_cbranch_vccnz .LBB131_1016
; %bb.1015:                             ;   in Loop: Header=BB131_1002 Depth=2
	flat_load_b64 v[40:41], v[32:33] offset:128
.LBB131_1016:                           ;   in Loop: Header=BB131_1002 Depth=2
	ds_load_b64 v[96:97], v81 offset:128
	s_wait_loadcnt_dscnt 0x0
	v_fmac_f64_e32 v[36:37], v[40:41], v[96:97]
.LBB131_1017:                           ;   in Loop: Header=BB131_1002 Depth=2
	s_or_b32 exec_lo, exec_lo, s12
	v_add_nc_u32_e32 v40, 32, v38
	s_delay_alu instid0(VALU_DEP_1) | instskip(SKIP_1) | instid1(SALU_CYCLE_1)
	v_cmp_gt_i32_e32 vcc_lo, s80, v40
	s_and_b32 s50, vcc_lo, s0
	s_and_saveexec_b32 s12, s50
	s_cbranch_execz .LBB131_1021
; %bb.1018:                             ;   in Loop: Header=BB131_1002 Depth=2
	v_cmp_ne_u32_e32 vcc_lo, 1, v39
	v_mov_b64_e32 v[40:41], v[26:27]
	s_cbranch_vccnz .LBB131_1020
; %bb.1019:                             ;   in Loop: Header=BB131_1002 Depth=2
	flat_load_b64 v[40:41], v[32:33] offset:256
.LBB131_1020:                           ;   in Loop: Header=BB131_1002 Depth=2
	ds_load_b64 v[96:97], v81 offset:256
	s_wait_loadcnt_dscnt 0x0
	v_fmac_f64_e32 v[36:37], v[40:41], v[96:97]
.LBB131_1021:                           ;   in Loop: Header=BB131_1002 Depth=2
	s_or_b32 exec_lo, exec_lo, s12
	v_add_nc_u32_e32 v38, 48, v38
	s_delay_alu instid0(VALU_DEP_1) | instskip(SKIP_1) | instid1(SALU_CYCLE_1)
	v_cmp_gt_i32_e32 vcc_lo, s80, v38
	s_and_b32 s50, vcc_lo, s0
	s_and_saveexec_b32 s12, s50
	s_cbranch_execz .LBB131_1001
; %bb.1022:                             ;   in Loop: Header=BB131_1002 Depth=2
	v_cmp_ne_u32_e32 vcc_lo, 1, v39
	v_mov_b64_e32 v[38:39], v[28:29]
	s_cbranch_vccnz .LBB131_1000
; %bb.1023:                             ;   in Loop: Header=BB131_1002 Depth=2
	flat_load_b64 v[38:39], v[32:33] offset:384
	s_branch .LBB131_1000
.LBB131_1024:                           ;   in Loop: Header=BB131_3 Depth=1
	ds_store_b64 v89, v[36:37]
	s_wait_dscnt 0x0
	s_barrier_signal -1
	s_barrier_wait -1
	s_and_saveexec_b32 s10, s2
	s_cbranch_execz .LBB131_1026
; %bb.1025:                             ;   in Loop: Header=BB131_3 Depth=1
	ds_load_2addr_stride64_b64 v[30:33], v90 offset0:1 offset1:2
	ds_load_2addr_stride64_b64 v[38:41], v90 offset0:3 offset1:4
	s_wait_dscnt 0x1
	v_add_f64_e32 v[30:31], v[36:37], v[30:31]
	s_delay_alu instid0(VALU_DEP_1) | instskip(SKIP_1) | instid1(VALU_DEP_1)
	v_add_f64_e32 v[30:31], v[30:31], v[32:33]
	s_wait_dscnt 0x0
	v_add_f64_e32 v[30:31], v[30:31], v[38:39]
	s_delay_alu instid0(VALU_DEP_1) | instskip(SKIP_4) | instid1(VALU_DEP_1)
	v_add_f64_e32 v[40:41], v[30:31], v[40:41]
	ds_load_2addr_stride64_b64 v[30:33], v90 offset0:5 offset1:6
	ds_load_2addr_stride64_b64 v[36:39], v90 offset0:7 offset1:8
	s_wait_dscnt 0x1
	v_add_f64_e32 v[30:31], v[40:41], v[30:31]
	v_add_f64_e32 v[30:31], v[30:31], v[32:33]
	s_wait_dscnt 0x0
	s_delay_alu instid0(VALU_DEP_1) | instskip(NEXT) | instid1(VALU_DEP_1)
	v_add_f64_e32 v[30:31], v[30:31], v[36:37]
	v_add_f64_e32 v[40:41], v[30:31], v[38:39]
	ds_load_2addr_stride64_b64 v[30:33], v90 offset0:9 offset1:10
	ds_load_2addr_stride64_b64 v[36:39], v90 offset0:11 offset1:12
	s_wait_dscnt 0x1
	v_add_f64_e32 v[30:31], v[40:41], v[30:31]
	s_delay_alu instid0(VALU_DEP_1) | instskip(SKIP_1) | instid1(VALU_DEP_1)
	v_add_f64_e32 v[30:31], v[30:31], v[32:33]
	s_wait_dscnt 0x0
	v_add_f64_e32 v[30:31], v[30:31], v[36:37]
	s_delay_alu instid0(VALU_DEP_1) | instskip(SKIP_4) | instid1(VALU_DEP_1)
	v_add_f64_e32 v[36:37], v[30:31], v[38:39]
	ds_load_2addr_stride64_b64 v[30:33], v90 offset0:13 offset1:14
	ds_load_b64 v[38:39], v90 offset:7680
	s_wait_dscnt 0x1
	v_add_f64_e32 v[30:31], v[36:37], v[30:31]
	v_add_f64_e32 v[30:31], v[30:31], v[32:33]
	s_wait_dscnt 0x0
	s_delay_alu instid0(VALU_DEP_1) | instskip(NEXT) | instid1(VALU_DEP_1)
	v_add_f64_e32 v[30:31], v[30:31], v[38:39]
	v_xor_b32_e32 v31, 0x80000000, v31
	s_delay_alu instid0(VALU_DEP_2) | instskip(NEXT) | instid1(VALU_DEP_2)
	v_cndmask_b32_e64 v36, v30, 0, s46
	v_cndmask_b32_e64 v37, v31, 0, s46
.LBB131_1026:                           ;   in Loop: Header=BB131_3 Depth=1
	s_or_b32 exec_lo, exec_lo, s10
	s_delay_alu instid0(SALU_CYCLE_1)
	s_and_not1_b32 vcc_lo, exec_lo, s90
	s_cbranch_vccnz .LBB131_1036
; %bb.1027:                             ;   in Loop: Header=BB131_3 Depth=1
	s_and_saveexec_b32 s10, s2
; %bb.1028:                             ;   in Loop: Header=BB131_3 Depth=1
	ds_store_b64 v92, v[36:37]
; %bb.1029:                             ;   in Loop: Header=BB131_3 Depth=1
	s_or_b32 exec_lo, exec_lo, s10
	v_mov_b64_e32 v[30:31], 0
	s_wait_dscnt 0x0
	s_barrier_signal -1
	s_barrier_wait -1
	s_and_saveexec_b32 s10, s6
	s_cbranch_execnz .LBB131_1092
; %bb.1030:                             ;   in Loop: Header=BB131_3 Depth=1
	s_or_b32 exec_lo, exec_lo, s10
	s_and_saveexec_b32 s10, s7
	s_cbranch_execnz .LBB131_1093
.LBB131_1031:                           ;   in Loop: Header=BB131_3 Depth=1
	s_or_b32 exec_lo, exec_lo, s10
	s_and_saveexec_b32 s10, s8
	s_cbranch_execnz .LBB131_1094
.LBB131_1032:                           ;   in Loop: Header=BB131_3 Depth=1
	s_or_b32 exec_lo, exec_lo, s10
	s_and_saveexec_b32 s10, s9
	s_cbranch_execz .LBB131_1034
.LBB131_1033:                           ;   in Loop: Header=BB131_3 Depth=1
	ds_load_b64 v[32:33], v91 offset:24576
	ds_load_b64 v[38:39], v81 offset:384
	s_wait_dscnt 0x0
	v_fmac_f64_e32 v[30:31], v[32:33], v[38:39]
.LBB131_1034:                           ;   in Loop: Header=BB131_3 Depth=1
	s_or_b32 exec_lo, exec_lo, s10
	s_mov_b32 s10, 0
	s_mov_b32 s84, 0
	ds_store_b64 v89, v[30:31]
	s_wait_dscnt 0x0
	s_barrier_signal -1
	s_barrier_wait -1
                                        ; implicit-def: $vgpr32_vgpr33
	s_and_saveexec_b32 s85, s2
	s_cbranch_execz .LBB131_1095
; %bb.1035:                             ;   in Loop: Header=BB131_3 Depth=1
	ds_load_2addr_stride64_b64 v[38:41], v90 offset0:1 offset1:2
	ds_load_2addr_stride64_b64 v[94:97], v90 offset0:3 offset1:4
	s_mov_b32 s84, exec_lo
	s_wait_dscnt 0x1
	v_add_f64_e32 v[30:31], v[30:31], v[38:39]
	s_delay_alu instid0(VALU_DEP_1) | instskip(SKIP_1) | instid1(VALU_DEP_1)
	v_add_f64_e32 v[30:31], v[40:41], v[30:31]
	s_wait_dscnt 0x0
	v_add_f64_e32 v[30:31], v[94:95], v[30:31]
	s_delay_alu instid0(VALU_DEP_1) | instskip(SKIP_4) | instid1(VALU_DEP_1)
	v_add_f64_e32 v[94:95], v[96:97], v[30:31]
	ds_load_2addr_stride64_b64 v[30:33], v90 offset0:5 offset1:6
	ds_load_2addr_stride64_b64 v[38:41], v90 offset0:7 offset1:8
	s_wait_dscnt 0x1
	v_add_f64_e32 v[30:31], v[30:31], v[94:95]
	v_add_f64_e32 v[30:31], v[32:33], v[30:31]
	s_wait_dscnt 0x0
	s_delay_alu instid0(VALU_DEP_1) | instskip(NEXT) | instid1(VALU_DEP_1)
	v_add_f64_e32 v[30:31], v[38:39], v[30:31]
	v_add_f64_e32 v[94:95], v[40:41], v[30:31]
	ds_load_2addr_stride64_b64 v[30:33], v90 offset0:9 offset1:10
	ds_load_2addr_stride64_b64 v[38:41], v90 offset0:11 offset1:12
	s_wait_dscnt 0x1
	v_add_f64_e32 v[30:31], v[30:31], v[94:95]
	s_delay_alu instid0(VALU_DEP_1) | instskip(SKIP_1) | instid1(VALU_DEP_1)
	v_add_f64_e32 v[30:31], v[32:33], v[30:31]
	s_wait_dscnt 0x0
	v_add_f64_e32 v[30:31], v[38:39], v[30:31]
	s_delay_alu instid0(VALU_DEP_1) | instskip(SKIP_4) | instid1(VALU_DEP_1)
	v_add_f64_e32 v[38:39], v[40:41], v[30:31]
	ds_load_2addr_stride64_b64 v[30:33], v90 offset0:13 offset1:14
	ds_load_b64 v[40:41], v90 offset:7680
	s_wait_dscnt 0x1
	v_add_f64_e32 v[30:31], v[30:31], v[38:39]
	v_add_f64_e32 v[30:31], v[32:33], v[30:31]
	s_wait_dscnt 0x0
	s_delay_alu instid0(VALU_DEP_1) | instskip(SKIP_1) | instid1(SALU_CYCLE_1)
	v_add_f64_e32 v[32:33], v[40:41], v[30:31]
	s_or_b32 exec_lo, exec_lo, s85
	s_and_b32 vcc_lo, exec_lo, s10
	s_cbranch_vccnz .LBB131_1037
	s_branch .LBB131_1096
.LBB131_1036:                           ;   in Loop: Header=BB131_3 Depth=1
	s_mov_b32 s84, 0
                                        ; implicit-def: $vgpr32_vgpr33
	s_cbranch_execz .LBB131_1096
.LBB131_1037:                           ;   in Loop: Header=BB131_3 Depth=1
	v_dual_mov_b32 v30, v93 :: v_dual_mov_b32 v31, v85
	s_mov_b32 s10, 63
	s_branch .LBB131_1039
.LBB131_1038:                           ;   in Loop: Header=BB131_1039 Depth=2
	s_or_b32 exec_lo, exec_lo, s12
	v_add_nc_u32_e32 v31, 0xfffff800, v31
	v_add_nc_u32_e32 v30, 4, v30
	s_add_co_i32 s10, s10, -4
	s_cmp_lg_u32 s85, 0
	s_barrier_signal -1
	s_barrier_wait -1
	s_cbranch_scc0 .LBB131_1055
.LBB131_1039:                           ;   Parent Loop BB131_3 Depth=1
                                        ; =>  This Inner Loop Header: Depth=2
	s_delay_alu instid0(VALU_DEP_1) | instskip(SKIP_2) | instid1(SALU_CYCLE_1)
	v_cmp_eq_u32_e32 vcc_lo, 0, v30
	v_add_nc_u32_e32 v32, v79, v45
	s_and_b32 s50, s2, vcc_lo
	s_and_saveexec_b32 s12, s50
	s_cbranch_execz .LBB131_1041
; %bb.1040:                             ;   in Loop: Header=BB131_1039 Depth=2
	ds_load_b64 v[38:39], v32
	s_wait_dscnt 0x0
	v_mul_f64_e32 v[36:37], v[36:37], v[38:39]
	ds_store_b64 v5, v[36:37] offset:41472
.LBB131_1041:                           ;   in Loop: Header=BB131_1039 Depth=2
	s_or_b32 exec_lo, exec_lo, s12
	v_cmp_gt_u32_e32 vcc_lo, s10, v2
	s_wait_dscnt 0x0
	s_barrier_signal -1
	s_barrier_wait -1
	s_and_b32 s50, s2, vcc_lo
	s_delay_alu instid0(SALU_CYCLE_1)
	s_and_saveexec_b32 s12, s50
	s_cbranch_execz .LBB131_1043
; %bb.1042:                             ;   in Loop: Header=BB131_1039 Depth=2
	ds_load_b64 v[38:39], v31 offset:1536
	ds_load_b64 v[40:41], v5 offset:41472
	s_wait_dscnt 0x0
	v_fmac_f64_e32 v[36:37], v[38:39], v[40:41]
.LBB131_1043:                           ;   in Loop: Header=BB131_1039 Depth=2
	s_or_b32 exec_lo, exec_lo, s12
	s_add_co_i32 s12, s10, -1
	s_delay_alu instid0(SALU_CYCLE_1) | instskip(SKIP_3) | instid1(SALU_CYCLE_1)
	v_cmp_eq_u32_e32 vcc_lo, s12, v2
	s_barrier_signal -1
	s_barrier_wait -1
	s_and_b32 s51, s2, vcc_lo
	s_and_saveexec_b32 s50, s51
	s_cbranch_execz .LBB131_1045
; %bb.1044:                             ;   in Loop: Header=BB131_1039 Depth=2
	ds_load_b64 v[38:39], v32
	s_wait_dscnt 0x0
	v_mul_f64_e32 v[36:37], v[36:37], v[38:39]
	ds_store_b64 v5, v[36:37] offset:41472
.LBB131_1045:                           ;   in Loop: Header=BB131_1039 Depth=2
	s_or_b32 exec_lo, exec_lo, s50
	v_cmp_gt_u32_e32 vcc_lo, s12, v2
	s_wait_dscnt 0x0
	s_barrier_signal -1
	s_barrier_wait -1
	s_and_b32 s50, s2, vcc_lo
	s_delay_alu instid0(SALU_CYCLE_1)
	s_and_saveexec_b32 s12, s50
	s_cbranch_execz .LBB131_1047
; %bb.1046:                             ;   in Loop: Header=BB131_1039 Depth=2
	ds_load_b64 v[38:39], v31 offset:1024
	ds_load_b64 v[40:41], v5 offset:41472
	s_wait_dscnt 0x0
	v_fmac_f64_e32 v[36:37], v[38:39], v[40:41]
.LBB131_1047:                           ;   in Loop: Header=BB131_1039 Depth=2
	s_or_b32 exec_lo, exec_lo, s12
	s_add_co_i32 s12, s10, -2
	s_delay_alu instid0(SALU_CYCLE_1) | instskip(SKIP_3) | instid1(SALU_CYCLE_1)
	v_cmp_eq_u32_e32 vcc_lo, s12, v2
	s_barrier_signal -1
	s_barrier_wait -1
	;; [unrolled: 30-line block ×3, first 2 shown]
	s_and_b32 s50, s2, vcc_lo
	s_and_saveexec_b32 s12, s50
	s_cbranch_execz .LBB131_1053
; %bb.1052:                             ;   in Loop: Header=BB131_1039 Depth=2
	ds_load_b64 v[32:33], v32
	s_wait_dscnt 0x0
	v_mul_f64_e32 v[36:37], v[36:37], v[32:33]
	ds_store_b64 v5, v[36:37] offset:41472
.LBB131_1053:                           ;   in Loop: Header=BB131_1039 Depth=2
	s_or_b32 exec_lo, exec_lo, s12
	v_cmp_gt_u32_e32 vcc_lo, s85, v2
	s_wait_dscnt 0x0
	s_barrier_signal -1
	s_barrier_wait -1
	s_and_b32 s50, s2, vcc_lo
	s_delay_alu instid0(SALU_CYCLE_1)
	s_and_saveexec_b32 s12, s50
	s_cbranch_execz .LBB131_1038
; %bb.1054:                             ;   in Loop: Header=BB131_1039 Depth=2
	ds_load_b64 v[32:33], v31
	ds_load_b64 v[38:39], v5 offset:41472
	s_wait_dscnt 0x0
	v_fmac_f64_e32 v[36:37], v[32:33], v[38:39]
	s_branch .LBB131_1038
.LBB131_1055:                           ;   in Loop: Header=BB131_3 Depth=1
	s_and_b32 vcc_lo, exec_lo, s88
	s_mov_b32 s10, -1
	s_cbranch_vccnz .LBB131_1097
; %bb.1056:                             ;   in Loop: Header=BB131_3 Depth=1
	s_and_not1_b32 vcc_lo, exec_lo, s10
	s_cbranch_vccz .LBB131_1098
.LBB131_1057:                           ;   in Loop: Header=BB131_3 Depth=1
	s_and_saveexec_b32 s10, s84
	s_cbranch_execz .LBB131_1059
.LBB131_1058:                           ;   in Loop: Header=BB131_3 Depth=1
	v_lshl_add_u64 v[30:31], v[18:19], 3, v[34:35]
	flat_store_b64 v[30:31], v[36:37]
.LBB131_1059:                           ;   in Loop: Header=BB131_3 Depth=1
	s_wait_xcnt 0x0
	s_or_b32 exec_lo, exec_lo, s10
	global_wb scope:SCOPE_DEV
	s_wait_storecnt_dscnt 0x0
	global_inv scope:SCOPE_DEV
	s_wait_loadcnt 0x0
	s_barrier_signal -1
	s_barrier_wait -1
	s_and_saveexec_b32 s10, s59
	s_cbranch_execz .LBB131_2
; %bb.1060:                             ;   in Loop: Header=BB131_3 Depth=1
	s_lshl_b64 s[50:51], s[66:67], 2
	s_delay_alu instid0(SALU_CYCLE_1)
	s_add_nc_u64 s[50:51], s[82:83], s[50:51]
	global_load_b32 v30, v5, s[50:51]
	s_wait_loadcnt 0x0
	v_add_nc_u32_e32 v30, 1, v30
	global_store_b32 v5, v30, s[50:51]
	s_branch .LBB131_2
.LBB131_1061:                           ;   in Loop: Header=BB131_3 Depth=1
	s_mov_b32 s12, exec_lo
	v_readlane_b32 s50, v102, 19
	s_and_b32 s50, s12, s50
	s_delay_alu instid0(SALU_CYCLE_1)
	s_xor_b32 s12, s50, s12
	s_mov_b32 exec_lo, s50
	s_cbranch_execz .LBB131_1065
; %bb.1062:                             ;   in Loop: Header=BB131_3 Depth=1
	s_mov_b32 s50, exec_lo
	v_readlane_b32 s51, v101, 29
	s_and_b32 s51, s50, s51
	s_delay_alu instid0(SALU_CYCLE_1)
	s_mov_b32 exec_lo, s51
; %bb.1063:                             ;   in Loop: Header=BB131_3 Depth=1
	ds_store_b64 v75, v[20:21]
; %bb.1064:                             ;   in Loop: Header=BB131_3 Depth=1
	s_or_b32 exec_lo, exec_lo, s50
.LBB131_1065:                           ;   in Loop: Header=BB131_3 Depth=1
	s_and_not1_saveexec_b32 s12, s12
	s_cbranch_execz .LBB131_1067
; %bb.1066:                             ;   in Loop: Header=BB131_3 Depth=1
	v_lshl_add_u64 v[38:39], v[10:11], 3, v[36:37]
	flat_load_b64 v[38:39], v[38:39]
	s_wait_loadcnt_dscnt 0x0
	v_div_scale_f64 v[40:41], null, v[38:39], v[38:39], 1.0
	s_delay_alu instid0(VALU_DEP_1) | instskip(SKIP_1) | instid1(TRANS32_DEP_1)
	v_rcp_f64_e32 v[94:95], v[40:41]
	v_nop
	v_fma_f64 v[96:97], -v[40:41], v[94:95], 1.0
	s_delay_alu instid0(VALU_DEP_1) | instskip(NEXT) | instid1(VALU_DEP_1)
	v_fmac_f64_e32 v[94:95], v[94:95], v[96:97]
	v_fma_f64 v[96:97], -v[40:41], v[94:95], 1.0
	s_delay_alu instid0(VALU_DEP_1) | instskip(SKIP_1) | instid1(VALU_DEP_1)
	v_fmac_f64_e32 v[94:95], v[94:95], v[96:97]
	v_div_scale_f64 v[96:97], vcc_lo, 1.0, v[38:39], 1.0
	v_mul_f64_e32 v[98:99], v[96:97], v[94:95]
	s_delay_alu instid0(VALU_DEP_1) | instskip(NEXT) | instid1(VALU_DEP_1)
	v_fma_f64 v[40:41], -v[40:41], v[98:99], v[96:97]
	v_div_fmas_f64 v[40:41], v[40:41], v[94:95], v[98:99]
	s_delay_alu instid0(VALU_DEP_1)
	v_div_fixup_f64 v[38:39], v[40:41], v[38:39], 1.0
	ds_store_b64 v75, v[38:39]
.LBB131_1067:                           ;   in Loop: Header=BB131_3 Depth=1
	s_or_b32 exec_lo, exec_lo, s12
	s_and_not1_saveexec_b32 s10, s10
	s_cbranch_execz .LBB131_16
.LBB131_1068:                           ;   in Loop: Header=BB131_3 Depth=1
	v_lshl_add_u64 v[38:39], v[10:11], 3, v[36:37]
	flat_load_b64 v[38:39], v[38:39]
	s_wait_loadcnt_dscnt 0x0
	v_xor_b32_e32 v39, 0x80000000, v39
	ds_store_b64 v75, v[38:39]
	s_or_b32 exec_lo, exec_lo, s10
	s_and_saveexec_b32 s10, s7
	s_delay_alu instid0(SALU_CYCLE_1)
	s_xor_b32 s10, exec_lo, s10
	s_cbranch_execz .LBB131_17
.LBB131_1069:                           ;   in Loop: Header=BB131_3 Depth=1
	s_mov_b32 s12, exec_lo
	v_readlane_b32 s50, v102, 21
	s_and_b32 s50, s12, s50
	s_delay_alu instid0(SALU_CYCLE_1)
	s_xor_b32 s12, s50, s12
	s_mov_b32 exec_lo, s50
	s_cbranch_execz .LBB131_1073
; %bb.1070:                             ;   in Loop: Header=BB131_3 Depth=1
	s_mov_b32 s50, exec_lo
	v_readlane_b32 s51, v101, 30
	s_and_b32 s51, s50, s51
	s_delay_alu instid0(SALU_CYCLE_1)
	s_mov_b32 exec_lo, s51
; %bb.1071:                             ;   in Loop: Header=BB131_3 Depth=1
	ds_store_b64 v76, v[20:21]
; %bb.1072:                             ;   in Loop: Header=BB131_3 Depth=1
	s_or_b32 exec_lo, exec_lo, s50
.LBB131_1073:                           ;   in Loop: Header=BB131_3 Depth=1
	s_and_not1_saveexec_b32 s12, s12
	s_cbranch_execz .LBB131_1075
; %bb.1074:                             ;   in Loop: Header=BB131_3 Depth=1
	v_lshl_add_u64 v[38:39], v[12:13], 3, v[36:37]
	flat_load_b64 v[38:39], v[38:39]
	s_wait_loadcnt_dscnt 0x0
	v_div_scale_f64 v[40:41], null, v[38:39], v[38:39], 1.0
	s_delay_alu instid0(VALU_DEP_1) | instskip(SKIP_1) | instid1(TRANS32_DEP_1)
	v_rcp_f64_e32 v[94:95], v[40:41]
	v_nop
	v_fma_f64 v[96:97], -v[40:41], v[94:95], 1.0
	s_delay_alu instid0(VALU_DEP_1) | instskip(NEXT) | instid1(VALU_DEP_1)
	v_fmac_f64_e32 v[94:95], v[94:95], v[96:97]
	v_fma_f64 v[96:97], -v[40:41], v[94:95], 1.0
	s_delay_alu instid0(VALU_DEP_1) | instskip(SKIP_1) | instid1(VALU_DEP_1)
	v_fmac_f64_e32 v[94:95], v[94:95], v[96:97]
	v_div_scale_f64 v[96:97], vcc_lo, 1.0, v[38:39], 1.0
	v_mul_f64_e32 v[98:99], v[96:97], v[94:95]
	s_delay_alu instid0(VALU_DEP_1) | instskip(NEXT) | instid1(VALU_DEP_1)
	v_fma_f64 v[40:41], -v[40:41], v[98:99], v[96:97]
	v_div_fmas_f64 v[40:41], v[40:41], v[94:95], v[98:99]
	s_delay_alu instid0(VALU_DEP_1)
	v_div_fixup_f64 v[38:39], v[40:41], v[38:39], 1.0
	ds_store_b64 v76, v[38:39]
.LBB131_1075:                           ;   in Loop: Header=BB131_3 Depth=1
	s_or_b32 exec_lo, exec_lo, s12
	s_and_not1_saveexec_b32 s10, s10
	s_cbranch_execz .LBB131_18
.LBB131_1076:                           ;   in Loop: Header=BB131_3 Depth=1
	v_lshl_add_u64 v[38:39], v[12:13], 3, v[36:37]
	flat_load_b64 v[38:39], v[38:39]
	s_wait_loadcnt_dscnt 0x0
	v_xor_b32_e32 v39, 0x80000000, v39
	ds_store_b64 v76, v[38:39]
	s_or_b32 exec_lo, exec_lo, s10
	s_and_saveexec_b32 s10, s8
	s_delay_alu instid0(SALU_CYCLE_1)
	s_xor_b32 s10, exec_lo, s10
	s_cbranch_execz .LBB131_19
.LBB131_1077:                           ;   in Loop: Header=BB131_3 Depth=1
	s_mov_b32 s12, exec_lo
	v_readlane_b32 s50, v102, 23
	s_and_b32 s50, s12, s50
	s_delay_alu instid0(SALU_CYCLE_1)
	s_xor_b32 s12, s50, s12
	s_mov_b32 exec_lo, s50
	s_cbranch_execz .LBB131_1081
; %bb.1078:                             ;   in Loop: Header=BB131_3 Depth=1
	s_mov_b32 s50, exec_lo
	v_readlane_b32 s51, v101, 31
	s_and_b32 s51, s50, s51
	s_delay_alu instid0(SALU_CYCLE_1)
	s_mov_b32 exec_lo, s51
; %bb.1079:                             ;   in Loop: Header=BB131_3 Depth=1
	ds_store_b64 v78, v[20:21]
; %bb.1080:                             ;   in Loop: Header=BB131_3 Depth=1
	s_or_b32 exec_lo, exec_lo, s50
.LBB131_1081:                           ;   in Loop: Header=BB131_3 Depth=1
	s_and_not1_saveexec_b32 s12, s12
	s_cbranch_execz .LBB131_1083
; %bb.1082:                             ;   in Loop: Header=BB131_3 Depth=1
	v_lshl_add_u64 v[38:39], v[14:15], 3, v[36:37]
	flat_load_b64 v[38:39], v[38:39]
	s_wait_loadcnt_dscnt 0x0
	v_div_scale_f64 v[40:41], null, v[38:39], v[38:39], 1.0
	s_delay_alu instid0(VALU_DEP_1) | instskip(SKIP_1) | instid1(TRANS32_DEP_1)
	v_rcp_f64_e32 v[94:95], v[40:41]
	v_nop
	v_fma_f64 v[96:97], -v[40:41], v[94:95], 1.0
	s_delay_alu instid0(VALU_DEP_1) | instskip(NEXT) | instid1(VALU_DEP_1)
	v_fmac_f64_e32 v[94:95], v[94:95], v[96:97]
	v_fma_f64 v[96:97], -v[40:41], v[94:95], 1.0
	s_delay_alu instid0(VALU_DEP_1) | instskip(SKIP_1) | instid1(VALU_DEP_1)
	v_fmac_f64_e32 v[94:95], v[94:95], v[96:97]
	v_div_scale_f64 v[96:97], vcc_lo, 1.0, v[38:39], 1.0
	v_mul_f64_e32 v[98:99], v[96:97], v[94:95]
	s_delay_alu instid0(VALU_DEP_1) | instskip(NEXT) | instid1(VALU_DEP_1)
	v_fma_f64 v[40:41], -v[40:41], v[98:99], v[96:97]
	v_div_fmas_f64 v[40:41], v[40:41], v[94:95], v[98:99]
	s_delay_alu instid0(VALU_DEP_1)
	v_div_fixup_f64 v[38:39], v[40:41], v[38:39], 1.0
	ds_store_b64 v78, v[38:39]
.LBB131_1083:                           ;   in Loop: Header=BB131_3 Depth=1
	s_or_b32 exec_lo, exec_lo, s12
	s_and_not1_saveexec_b32 s10, s10
	s_cbranch_execz .LBB131_20
.LBB131_1084:                           ;   in Loop: Header=BB131_3 Depth=1
	v_lshl_add_u64 v[38:39], v[14:15], 3, v[36:37]
	flat_load_b64 v[38:39], v[38:39]
	s_wait_loadcnt_dscnt 0x0
	v_xor_b32_e32 v39, 0x80000000, v39
	ds_store_b64 v78, v[38:39]
	s_or_b32 exec_lo, exec_lo, s10
	s_and_saveexec_b32 s10, s9
	s_delay_alu instid0(SALU_CYCLE_1)
	s_xor_b32 s10, exec_lo, s10
	s_cbranch_execz .LBB131_21
.LBB131_1085:                           ;   in Loop: Header=BB131_3 Depth=1
	s_mov_b32 s12, exec_lo
	v_readlane_b32 s50, v102, 25
	s_and_b32 s50, s12, s50
	s_delay_alu instid0(SALU_CYCLE_1)
	s_xor_b32 s12, s50, s12
	s_mov_b32 exec_lo, s50
	s_cbranch_execz .LBB131_1089
; %bb.1086:                             ;   in Loop: Header=BB131_3 Depth=1
	s_mov_b32 s50, exec_lo
	v_readlane_b32 s51, v100, 0
	s_and_b32 s51, s50, s51
	s_delay_alu instid0(SALU_CYCLE_1)
	s_mov_b32 exec_lo, s51
; %bb.1087:                             ;   in Loop: Header=BB131_3 Depth=1
	ds_store_b64 v80, v[20:21]
; %bb.1088:                             ;   in Loop: Header=BB131_3 Depth=1
	s_or_b32 exec_lo, exec_lo, s50
.LBB131_1089:                           ;   in Loop: Header=BB131_3 Depth=1
	s_and_not1_saveexec_b32 s12, s12
	s_cbranch_execz .LBB131_1091
; %bb.1090:                             ;   in Loop: Header=BB131_3 Depth=1
	v_lshl_add_u64 v[38:39], v[16:17], 3, v[36:37]
	flat_load_b64 v[38:39], v[38:39]
	s_wait_loadcnt_dscnt 0x0
	v_div_scale_f64 v[40:41], null, v[38:39], v[38:39], 1.0
	s_delay_alu instid0(VALU_DEP_1) | instskip(SKIP_1) | instid1(TRANS32_DEP_1)
	v_rcp_f64_e32 v[94:95], v[40:41]
	v_nop
	v_fma_f64 v[96:97], -v[40:41], v[94:95], 1.0
	s_delay_alu instid0(VALU_DEP_1) | instskip(NEXT) | instid1(VALU_DEP_1)
	v_fmac_f64_e32 v[94:95], v[94:95], v[96:97]
	v_fma_f64 v[96:97], -v[40:41], v[94:95], 1.0
	s_delay_alu instid0(VALU_DEP_1) | instskip(SKIP_1) | instid1(VALU_DEP_1)
	v_fmac_f64_e32 v[94:95], v[94:95], v[96:97]
	v_div_scale_f64 v[96:97], vcc_lo, 1.0, v[38:39], 1.0
	v_mul_f64_e32 v[98:99], v[96:97], v[94:95]
	s_delay_alu instid0(VALU_DEP_1) | instskip(NEXT) | instid1(VALU_DEP_1)
	v_fma_f64 v[40:41], -v[40:41], v[98:99], v[96:97]
	v_div_fmas_f64 v[40:41], v[40:41], v[94:95], v[98:99]
	s_delay_alu instid0(VALU_DEP_1)
	v_div_fixup_f64 v[38:39], v[40:41], v[38:39], 1.0
	ds_store_b64 v80, v[38:39]
.LBB131_1091:                           ;   in Loop: Header=BB131_3 Depth=1
	s_or_b32 exec_lo, exec_lo, s12
	s_and_not1_saveexec_b32 s10, s10
	s_cbranch_execnz .LBB131_22
	s_branch .LBB131_23
.LBB131_1092:                           ;   in Loop: Header=BB131_3 Depth=1
	ds_load_b64 v[30:31], v91
	ds_load_b64 v[32:33], v81
	s_wait_dscnt 0x0
	v_fma_f64 v[30:31], v[30:31], v[32:33], 0
	s_or_b32 exec_lo, exec_lo, s10
	s_and_saveexec_b32 s10, s7
	s_cbranch_execz .LBB131_1031
.LBB131_1093:                           ;   in Loop: Header=BB131_3 Depth=1
	ds_load_b64 v[32:33], v91 offset:8192
	ds_load_b64 v[38:39], v81 offset:128
	s_wait_dscnt 0x0
	v_fmac_f64_e32 v[30:31], v[32:33], v[38:39]
	s_or_b32 exec_lo, exec_lo, s10
	s_and_saveexec_b32 s10, s8
	s_cbranch_execz .LBB131_1032
.LBB131_1094:                           ;   in Loop: Header=BB131_3 Depth=1
	ds_load_b64 v[32:33], v91 offset:16384
	ds_load_b64 v[38:39], v81 offset:256
	s_wait_dscnt 0x0
	v_fmac_f64_e32 v[30:31], v[32:33], v[38:39]
	s_or_b32 exec_lo, exec_lo, s10
	s_and_saveexec_b32 s10, s9
	s_cbranch_execnz .LBB131_1033
	s_branch .LBB131_1034
.LBB131_1095:                           ;   in Loop: Header=BB131_3 Depth=1
	s_or_b32 exec_lo, exec_lo, s85
	s_delay_alu instid0(SALU_CYCLE_1)
	s_and_b32 vcc_lo, exec_lo, s10
	s_cbranch_vccnz .LBB131_1037
.LBB131_1096:                           ;   in Loop: Header=BB131_3 Depth=1
	s_delay_alu instid0(VALU_DEP_1)
	v_mov_b64_e32 v[36:37], v[32:33]
	s_and_saveexec_b32 s10, s84
	s_cbranch_execnz .LBB131_1058
	s_branch .LBB131_1059
.LBB131_1097:                           ;   in Loop: Header=BB131_3 Depth=1
	s_and_not1_b32 s12, s84, exec_lo
	s_and_b32 s50, s2, exec_lo
	s_delay_alu instid0(SALU_CYCLE_1)
	s_or_b32 s84, s12, s50
	s_cbranch_execnz .LBB131_1057
.LBB131_1098:                           ;   in Loop: Header=BB131_3 Depth=1
	v_readlane_b32 s12, v102, 10
	s_and_not1_b32 s10, s84, exec_lo
	s_and_b32 s12, s12, exec_lo
	s_delay_alu instid0(SALU_CYCLE_1) | instskip(NEXT) | instid1(SALU_CYCLE_1)
	s_or_b32 s84, s10, s12
	s_and_saveexec_b32 s10, s84
	s_cbranch_execnz .LBB131_1058
	s_branch .LBB131_1059
.LBB131_1099:                           ;   in Loop: Header=BB131_3 Depth=1
	ds_load_b64 v[38:39], v51 offset:544
	ds_load_b64 v[40:41], v46 offset:8
	s_wait_dscnt 0x0
	v_fmac_f64_e32 v[36:37], v[38:39], v[40:41]
	s_or_b32 exec_lo, exec_lo, s12
	s_and_saveexec_b32 s12, s17
	s_cbranch_execz .LBB131_88
.LBB131_1100:                           ;   in Loop: Header=BB131_3 Depth=1
	ds_load_b64 v[38:39], v50 offset:1056
	ds_load_b64 v[40:41], v46 offset:16
	s_wait_dscnt 0x0
	v_fmac_f64_e32 v[36:37], v[38:39], v[40:41]
	s_or_b32 exec_lo, exec_lo, s12
	s_and_saveexec_b32 s12, s1
	s_cbranch_execnz .LBB131_89
	s_branch .LBB131_90
.LBB131_1101:                           ;   in Loop: Header=BB131_3 Depth=1
	ds_load_b64 v[38:39], v60 offset:576
	ds_load_b64 v[40:41], v55 offset:8
	s_wait_dscnt 0x0
	v_fmac_f64_e32 v[36:37], v[38:39], v[40:41]
	s_or_b32 exec_lo, exec_lo, s12
	s_and_saveexec_b32 s12, s19
	s_cbranch_execz .LBB131_130
.LBB131_1102:                           ;   in Loop: Header=BB131_3 Depth=1
	ds_load_b64 v[38:39], v60 offset:1088
	ds_load_b64 v[40:41], v55 offset:16
	s_wait_dscnt 0x0
	v_fmac_f64_e32 v[36:37], v[38:39], v[40:41]
	s_or_b32 exec_lo, exec_lo, s12
	s_and_saveexec_b32 s12, s20
	s_cbranch_execz .LBB131_131
.LBB131_1103:                           ;   in Loop: Header=BB131_3 Depth=1
	ds_load_b64 v[38:39], v60 offset:1600
	ds_load_b64 v[40:41], v55 offset:24
	s_wait_dscnt 0x0
	v_fmac_f64_e32 v[36:37], v[38:39], v[40:41]
	s_or_b32 exec_lo, exec_lo, s12
	s_and_saveexec_b32 s12, s21
	s_cbranch_execz .LBB131_132
.LBB131_1104:                           ;   in Loop: Header=BB131_3 Depth=1
	ds_load_b64 v[38:39], v59 offset:2112
	ds_load_b64 v[40:41], v55 offset:32
	s_wait_dscnt 0x0
	v_fmac_f64_e32 v[36:37], v[38:39], v[40:41]
	s_or_b32 exec_lo, exec_lo, s12
	s_and_saveexec_b32 s12, s22
	s_cbranch_execz .LBB131_133
.LBB131_1105:                           ;   in Loop: Header=BB131_3 Depth=1
	ds_load_b64 v[38:39], v60 offset:2624
	ds_load_b64 v[40:41], v55 offset:40
	s_wait_dscnt 0x0
	v_fmac_f64_e32 v[36:37], v[38:39], v[40:41]
	s_or_b32 exec_lo, exec_lo, s12
	s_and_saveexec_b32 s12, s3
	s_cbranch_execz .LBB131_134
.LBB131_1106:                           ;   in Loop: Header=BB131_3 Depth=1
	ds_load_b64 v[38:39], v59 offset:3136
	ds_load_b64 v[40:41], v55 offset:48
	s_wait_dscnt 0x0
	v_fmac_f64_e32 v[36:37], v[38:39], v[40:41]
	s_or_b32 exec_lo, exec_lo, s12
	s_and_saveexec_b32 s12, s17
	s_cbranch_execnz .LBB131_135
	s_branch .LBB131_136
.LBB131_1107:                           ;   in Loop: Header=BB131_3 Depth=1
	ds_load_b64 v[38:39], v51 offset:4704
	ds_load_b64 v[40:41], v46 offset:4168
	s_wait_dscnt 0x0
	v_fmac_f64_e32 v[36:37], v[38:39], v[40:41]
	s_or_b32 exec_lo, exec_lo, s12
	s_and_saveexec_b32 s12, s17
	s_cbranch_execz .LBB131_192
.LBB131_1108:                           ;   in Loop: Header=BB131_3 Depth=1
	ds_load_b64 v[38:39], v50 offset:5216
	ds_load_b64 v[40:41], v46 offset:4176
	s_wait_dscnt 0x0
	v_fmac_f64_e32 v[36:37], v[38:39], v[40:41]
	s_or_b32 exec_lo, exec_lo, s12
	s_and_saveexec_b32 s12, s1
	s_cbranch_execnz .LBB131_193
	s_branch .LBB131_194
.LBB131_1109:                           ;   in Loop: Header=BB131_3 Depth=1
	ds_load_b64 v[38:39], v67 offset:5760
	ds_load_b64 v[40:41], v62 offset:88
	s_wait_dscnt 0x0
	v_fmac_f64_e32 v[36:37], v[38:39], v[40:41]
	s_or_b32 exec_lo, exec_lo, s10
	s_and_saveexec_b32 s10, s4
	s_cbranch_execz .LBB131_254
.LBB131_1110:                           ;   in Loop: Header=BB131_3 Depth=1
	ds_load_b64 v[38:39], v66 offset:6272
	ds_load_b64 v[40:41], v62 offset:96
	s_wait_dscnt 0x0
	v_fmac_f64_e32 v[36:37], v[38:39], v[40:41]
	s_or_b32 exec_lo, exec_lo, s10
	s_and_saveexec_b32 s10, s19
	s_cbranch_execz .LBB131_255
.LBB131_1111:                           ;   in Loop: Header=BB131_3 Depth=1
	ds_load_b64 v[38:39], v67 offset:6784
	ds_load_b64 v[40:41], v62 offset:104
	s_wait_dscnt 0x0
	v_fmac_f64_e32 v[36:37], v[38:39], v[40:41]
	s_or_b32 exec_lo, exec_lo, s10
	s_and_saveexec_b32 s10, s21
	s_cbranch_execz .LBB131_256
.LBB131_1112:                           ;   in Loop: Header=BB131_3 Depth=1
	ds_load_b64 v[38:39], v66 offset:7296
	ds_load_b64 v[40:41], v62 offset:112
	s_wait_dscnt 0x0
	v_fmac_f64_e32 v[36:37], v[38:39], v[40:41]
	s_or_b32 exec_lo, exec_lo, s10
	s_and_saveexec_b32 s10, s3
	s_cbranch_execnz .LBB131_257
	s_branch .LBB131_258
.LBB131_1113:                           ;   in Loop: Header=BB131_3 Depth=1
	ds_load_b64 v[38:39], v51 offset:8864
	ds_load_b64 v[40:41], v46 offset:8328
	s_wait_dscnt 0x0
	v_fmac_f64_e32 v[36:37], v[38:39], v[40:41]
	s_or_b32 exec_lo, exec_lo, s12
	s_and_saveexec_b32 s12, s17
	s_cbranch_execz .LBB131_346
.LBB131_1114:                           ;   in Loop: Header=BB131_3 Depth=1
	ds_load_b64 v[38:39], v50 offset:9376
	ds_load_b64 v[40:41], v46 offset:8336
	s_wait_dscnt 0x0
	v_fmac_f64_e32 v[36:37], v[38:39], v[40:41]
	s_or_b32 exec_lo, exec_lo, s12
	s_and_saveexec_b32 s12, s1
	s_cbranch_execnz .LBB131_347
	s_branch .LBB131_348
.LBB131_1115:                           ;   in Loop: Header=BB131_3 Depth=1
	ds_load_b64 v[38:39], v60 offset:8896
	ds_load_b64 v[40:41], v55 offset:8328
	s_wait_dscnt 0x0
	v_fmac_f64_e32 v[36:37], v[38:39], v[40:41]
	s_or_b32 exec_lo, exec_lo, s12
	s_and_saveexec_b32 s12, s19
	s_cbranch_execz .LBB131_388
.LBB131_1116:                           ;   in Loop: Header=BB131_3 Depth=1
	ds_load_b64 v[38:39], v60 offset:9408
	ds_load_b64 v[40:41], v55 offset:8336
	s_wait_dscnt 0x0
	v_fmac_f64_e32 v[36:37], v[38:39], v[40:41]
	s_or_b32 exec_lo, exec_lo, s12
	s_and_saveexec_b32 s12, s20
	s_cbranch_execz .LBB131_389
.LBB131_1117:                           ;   in Loop: Header=BB131_3 Depth=1
	ds_load_b64 v[38:39], v60 offset:9920
	ds_load_b64 v[40:41], v55 offset:8344
	s_wait_dscnt 0x0
	v_fmac_f64_e32 v[36:37], v[38:39], v[40:41]
	s_or_b32 exec_lo, exec_lo, s12
	s_and_saveexec_b32 s12, s21
	s_cbranch_execz .LBB131_390
.LBB131_1118:                           ;   in Loop: Header=BB131_3 Depth=1
	ds_load_b64 v[38:39], v59 offset:10432
	ds_load_b64 v[40:41], v55 offset:8352
	s_wait_dscnt 0x0
	v_fmac_f64_e32 v[36:37], v[38:39], v[40:41]
	s_or_b32 exec_lo, exec_lo, s12
	s_and_saveexec_b32 s12, s22
	s_cbranch_execz .LBB131_391
.LBB131_1119:                           ;   in Loop: Header=BB131_3 Depth=1
	ds_load_b64 v[38:39], v60 offset:10944
	ds_load_b64 v[40:41], v55 offset:8360
	s_wait_dscnt 0x0
	v_fmac_f64_e32 v[36:37], v[38:39], v[40:41]
	s_or_b32 exec_lo, exec_lo, s12
	s_and_saveexec_b32 s12, s3
	s_cbranch_execz .LBB131_392
.LBB131_1120:                           ;   in Loop: Header=BB131_3 Depth=1
	ds_load_b64 v[38:39], v59 offset:11456
	ds_load_b64 v[40:41], v55 offset:8368
	s_wait_dscnt 0x0
	v_fmac_f64_e32 v[36:37], v[38:39], v[40:41]
	s_or_b32 exec_lo, exec_lo, s12
	s_and_saveexec_b32 s12, s17
	s_cbranch_execnz .LBB131_393
	s_branch .LBB131_394
.LBB131_1121:                           ;   in Loop: Header=BB131_3 Depth=1
	ds_load_b64 v[38:39], v51 offset:13024
	ds_load_b64 v[40:41], v46 offset:12488
	s_wait_dscnt 0x0
	v_fmac_f64_e32 v[36:37], v[38:39], v[40:41]
	s_or_b32 exec_lo, exec_lo, s12
	s_and_saveexec_b32 s12, s17
	s_cbranch_execz .LBB131_450
.LBB131_1122:                           ;   in Loop: Header=BB131_3 Depth=1
	ds_load_b64 v[38:39], v50 offset:13536
	ds_load_b64 v[40:41], v46 offset:12496
	s_wait_dscnt 0x0
	v_fmac_f64_e32 v[36:37], v[38:39], v[40:41]
	s_or_b32 exec_lo, exec_lo, s12
	s_and_saveexec_b32 s12, s1
	s_cbranch_execnz .LBB131_451
	s_branch .LBB131_452
.LBB131_1123:                           ;   in Loop: Header=BB131_3 Depth=1
	ds_load_b64 v[40:41], v87 offset:15104
	ds_load_b64 v[94:95], v38 offset:232
	s_wait_dscnt 0x0
	v_fmac_f64_e32 v[36:37], v[40:41], v[94:95]
	s_or_b32 exec_lo, exec_lo, s10
	s_and_saveexec_b32 s10, s4
	s_cbranch_execz .LBB131_548
.LBB131_1124:                           ;   in Loop: Header=BB131_3 Depth=1
	ds_load_b64 v[40:41], v87 offset:15616
	ds_load_b64 v[38:39], v38 offset:240
	s_wait_dscnt 0x0
	v_fmac_f64_e32 v[36:37], v[40:41], v[38:39]
	s_or_b32 exec_lo, exec_lo, s10
	s_and_saveexec_b32 s10, s21
	s_cbranch_execnz .LBB131_549
	s_branch .LBB131_550
.LBB131_1125:                           ;   in Loop: Header=BB131_3 Depth=1
	ds_load_b64 v[38:39], v51 offset:17184
	ds_load_b64 v[40:41], v46 offset:16648
	s_wait_dscnt 0x0
	v_fmac_f64_e32 v[36:37], v[38:39], v[40:41]
	s_or_b32 exec_lo, exec_lo, s12
	s_and_saveexec_b32 s12, s17
	s_cbranch_execz .LBB131_594
.LBB131_1126:                           ;   in Loop: Header=BB131_3 Depth=1
	ds_load_b64 v[38:39], v50 offset:17696
	ds_load_b64 v[40:41], v46 offset:16656
	s_wait_dscnt 0x0
	v_fmac_f64_e32 v[36:37], v[38:39], v[40:41]
	s_or_b32 exec_lo, exec_lo, s12
	s_and_saveexec_b32 s12, s1
	s_cbranch_execnz .LBB131_595
	s_branch .LBB131_596
.LBB131_1127:                           ;   in Loop: Header=BB131_3 Depth=1
	ds_load_b64 v[38:39], v60 offset:17216
	ds_load_b64 v[40:41], v55 offset:16648
	s_wait_dscnt 0x0
	v_fmac_f64_e32 v[36:37], v[38:39], v[40:41]
	s_or_b32 exec_lo, exec_lo, s12
	s_and_saveexec_b32 s12, s19
	s_cbranch_execz .LBB131_636
.LBB131_1128:                           ;   in Loop: Header=BB131_3 Depth=1
	ds_load_b64 v[38:39], v60 offset:17728
	ds_load_b64 v[40:41], v55 offset:16656
	s_wait_dscnt 0x0
	v_fmac_f64_e32 v[36:37], v[38:39], v[40:41]
	s_or_b32 exec_lo, exec_lo, s12
	s_and_saveexec_b32 s12, s20
	s_cbranch_execz .LBB131_637
.LBB131_1129:                           ;   in Loop: Header=BB131_3 Depth=1
	ds_load_b64 v[38:39], v60 offset:18240
	ds_load_b64 v[40:41], v55 offset:16664
	s_wait_dscnt 0x0
	v_fmac_f64_e32 v[36:37], v[38:39], v[40:41]
	s_or_b32 exec_lo, exec_lo, s12
	s_and_saveexec_b32 s12, s21
	s_cbranch_execz .LBB131_638
.LBB131_1130:                           ;   in Loop: Header=BB131_3 Depth=1
	ds_load_b64 v[38:39], v59 offset:18752
	ds_load_b64 v[40:41], v55 offset:16672
	s_wait_dscnt 0x0
	v_fmac_f64_e32 v[36:37], v[38:39], v[40:41]
	s_or_b32 exec_lo, exec_lo, s12
	s_and_saveexec_b32 s12, s22
	s_cbranch_execz .LBB131_639
.LBB131_1131:                           ;   in Loop: Header=BB131_3 Depth=1
	ds_load_b64 v[38:39], v60 offset:19264
	ds_load_b64 v[40:41], v55 offset:16680
	s_wait_dscnt 0x0
	v_fmac_f64_e32 v[36:37], v[38:39], v[40:41]
	s_or_b32 exec_lo, exec_lo, s12
	s_and_saveexec_b32 s12, s3
	s_cbranch_execz .LBB131_640
.LBB131_1132:                           ;   in Loop: Header=BB131_3 Depth=1
	ds_load_b64 v[38:39], v59 offset:19776
	ds_load_b64 v[40:41], v55 offset:16688
	s_wait_dscnt 0x0
	v_fmac_f64_e32 v[36:37], v[38:39], v[40:41]
	s_or_b32 exec_lo, exec_lo, s12
	s_and_saveexec_b32 s12, s17
	s_cbranch_execnz .LBB131_641
	s_branch .LBB131_642
.LBB131_1133:                           ;   in Loop: Header=BB131_3 Depth=1
	ds_load_b64 v[38:39], v51 offset:21344
	ds_load_b64 v[40:41], v46 offset:20808
	s_wait_dscnt 0x0
	v_fmac_f64_e32 v[36:37], v[38:39], v[40:41]
	s_or_b32 exec_lo, exec_lo, s12
	s_and_saveexec_b32 s12, s17
	s_cbranch_execz .LBB131_698
.LBB131_1134:                           ;   in Loop: Header=BB131_3 Depth=1
	ds_load_b64 v[38:39], v50 offset:21856
	ds_load_b64 v[40:41], v46 offset:20816
	s_wait_dscnt 0x0
	v_fmac_f64_e32 v[36:37], v[38:39], v[40:41]
	s_or_b32 exec_lo, exec_lo, s12
	s_and_saveexec_b32 s12, s1
	s_cbranch_execnz .LBB131_699
	s_branch .LBB131_700
.LBB131_1135:                           ;   in Loop: Header=BB131_3 Depth=1
	ds_load_b64 v[38:39], v67 offset:22400
	ds_load_b64 v[40:41], v62 offset:16728
	s_wait_dscnt 0x0
	v_fmac_f64_e32 v[36:37], v[38:39], v[40:41]
	s_or_b32 exec_lo, exec_lo, s10
	s_and_saveexec_b32 s10, s4
	s_cbranch_execz .LBB131_760
.LBB131_1136:                           ;   in Loop: Header=BB131_3 Depth=1
	ds_load_b64 v[38:39], v66 offset:22912
	ds_load_b64 v[40:41], v62 offset:16736
	s_wait_dscnt 0x0
	v_fmac_f64_e32 v[36:37], v[38:39], v[40:41]
	s_or_b32 exec_lo, exec_lo, s10
	s_and_saveexec_b32 s10, s19
	s_cbranch_execz .LBB131_761
.LBB131_1137:                           ;   in Loop: Header=BB131_3 Depth=1
	ds_load_b64 v[38:39], v67 offset:23424
	ds_load_b64 v[40:41], v62 offset:16744
	s_wait_dscnt 0x0
	v_fmac_f64_e32 v[36:37], v[38:39], v[40:41]
	s_or_b32 exec_lo, exec_lo, s10
	s_and_saveexec_b32 s10, s21
	s_cbranch_execz .LBB131_762
.LBB131_1138:                           ;   in Loop: Header=BB131_3 Depth=1
	ds_load_b64 v[38:39], v66 offset:23936
	ds_load_b64 v[40:41], v62 offset:16752
	s_wait_dscnt 0x0
	v_fmac_f64_e32 v[36:37], v[38:39], v[40:41]
	s_or_b32 exec_lo, exec_lo, s10
	s_and_saveexec_b32 s10, s3
	s_cbranch_execnz .LBB131_763
	s_branch .LBB131_764
.LBB131_1139:                           ;   in Loop: Header=BB131_3 Depth=1
	ds_load_b64 v[38:39], v51 offset:25504
	ds_load_b64 v[40:41], v46 offset:24968
	s_wait_dscnt 0x0
	v_fmac_f64_e32 v[36:37], v[38:39], v[40:41]
	s_or_b32 exec_lo, exec_lo, s12
	s_and_saveexec_b32 s12, s17
	s_cbranch_execz .LBB131_852
.LBB131_1140:                           ;   in Loop: Header=BB131_3 Depth=1
	ds_load_b64 v[38:39], v50 offset:26016
	ds_load_b64 v[40:41], v46 offset:24976
	s_wait_dscnt 0x0
	v_fmac_f64_e32 v[36:37], v[38:39], v[40:41]
	s_or_b32 exec_lo, exec_lo, s12
	s_and_saveexec_b32 s12, s1
	s_cbranch_execnz .LBB131_853
	s_branch .LBB131_854
.LBB131_1141:                           ;   in Loop: Header=BB131_3 Depth=1
	ds_load_b64 v[38:39], v60 offset:25536
	ds_load_b64 v[40:41], v55 offset:24968
	s_wait_dscnt 0x0
	v_fmac_f64_e32 v[36:37], v[38:39], v[40:41]
	s_or_b32 exec_lo, exec_lo, s12
	s_and_saveexec_b32 s12, s19
	s_cbranch_execz .LBB131_894
.LBB131_1142:                           ;   in Loop: Header=BB131_3 Depth=1
	ds_load_b64 v[38:39], v60 offset:26048
	ds_load_b64 v[40:41], v55 offset:24976
	s_wait_dscnt 0x0
	v_fmac_f64_e32 v[36:37], v[38:39], v[40:41]
	s_or_b32 exec_lo, exec_lo, s12
	s_and_saveexec_b32 s12, s20
	s_cbranch_execz .LBB131_895
.LBB131_1143:                           ;   in Loop: Header=BB131_3 Depth=1
	ds_load_b64 v[38:39], v60 offset:26560
	ds_load_b64 v[40:41], v55 offset:24984
	s_wait_dscnt 0x0
	v_fmac_f64_e32 v[36:37], v[38:39], v[40:41]
	s_or_b32 exec_lo, exec_lo, s12
	s_and_saveexec_b32 s12, s21
	s_cbranch_execz .LBB131_896
.LBB131_1144:                           ;   in Loop: Header=BB131_3 Depth=1
	ds_load_b64 v[38:39], v59 offset:27072
	ds_load_b64 v[40:41], v55 offset:24992
	s_wait_dscnt 0x0
	v_fmac_f64_e32 v[36:37], v[38:39], v[40:41]
	s_or_b32 exec_lo, exec_lo, s12
	s_and_saveexec_b32 s12, s22
	s_cbranch_execz .LBB131_897
.LBB131_1145:                           ;   in Loop: Header=BB131_3 Depth=1
	ds_load_b64 v[38:39], v60 offset:27584
	ds_load_b64 v[40:41], v55 offset:25000
	s_wait_dscnt 0x0
	v_fmac_f64_e32 v[36:37], v[38:39], v[40:41]
	s_or_b32 exec_lo, exec_lo, s12
	s_and_saveexec_b32 s12, s3
	s_cbranch_execz .LBB131_898
.LBB131_1146:                           ;   in Loop: Header=BB131_3 Depth=1
	ds_load_b64 v[38:39], v59 offset:28096
	ds_load_b64 v[40:41], v55 offset:25008
	s_wait_dscnt 0x0
	v_fmac_f64_e32 v[36:37], v[38:39], v[40:41]
	s_or_b32 exec_lo, exec_lo, s12
	s_and_saveexec_b32 s12, s17
	s_cbranch_execnz .LBB131_899
	s_branch .LBB131_900
.LBB131_1147:                           ;   in Loop: Header=BB131_3 Depth=1
	ds_load_b64 v[38:39], v51 offset:29664
	ds_load_b64 v[40:41], v46 offset:29128
	s_wait_dscnt 0x0
	v_fmac_f64_e32 v[36:37], v[38:39], v[40:41]
	s_or_b32 exec_lo, exec_lo, s12
	s_and_saveexec_b32 s12, s17
	s_cbranch_execz .LBB131_956
.LBB131_1148:                           ;   in Loop: Header=BB131_3 Depth=1
	ds_load_b64 v[38:39], v50 offset:30176
	ds_load_b64 v[40:41], v46 offset:29136
	s_wait_dscnt 0x0
	v_fmac_f64_e32 v[36:37], v[38:39], v[40:41]
	s_or_b32 exec_lo, exec_lo, s12
	s_and_saveexec_b32 s12, s1
	s_cbranch_execnz .LBB131_957
	s_branch .LBB131_958
.LBB131_1149:
	s_endpgm
	.section	.rodata,"a",@progbits
	.p2align	6, 0x0
	.amdhsa_kernel _ZL19rocblas_trsv_deviceILi64ELi16ELb1ELb1ELb0ELb0EdPKdPKS1_PKPdEviT7_lllT6_T8_lllPii
		.amdhsa_group_segment_fixed_size 41480
		.amdhsa_private_segment_fixed_size 0
		.amdhsa_kernarg_size 352
		.amdhsa_user_sgpr_count 2
		.amdhsa_user_sgpr_dispatch_ptr 0
		.amdhsa_user_sgpr_queue_ptr 0
		.amdhsa_user_sgpr_kernarg_segment_ptr 1
		.amdhsa_user_sgpr_dispatch_id 0
		.amdhsa_user_sgpr_kernarg_preload_length 0
		.amdhsa_user_sgpr_kernarg_preload_offset 0
		.amdhsa_user_sgpr_private_segment_size 0
		.amdhsa_wavefront_size32 1
		.amdhsa_uses_dynamic_stack 0
		.amdhsa_enable_private_segment 0
		.amdhsa_system_sgpr_workgroup_id_x 1
		.amdhsa_system_sgpr_workgroup_id_y 0
		.amdhsa_system_sgpr_workgroup_id_z 1
		.amdhsa_system_sgpr_workgroup_info 0
		.amdhsa_system_vgpr_workitem_id 1
		.amdhsa_next_free_vgpr 103
		.amdhsa_next_free_sgpr 105
		.amdhsa_named_barrier_count 0
		.amdhsa_reserve_vcc 1
		.amdhsa_float_round_mode_32 0
		.amdhsa_float_round_mode_16_64 0
		.amdhsa_float_denorm_mode_32 3
		.amdhsa_float_denorm_mode_16_64 3
		.amdhsa_fp16_overflow 0
		.amdhsa_memory_ordered 1
		.amdhsa_forward_progress 1
		.amdhsa_inst_pref_size 255
		.amdhsa_round_robin_scheduling 0
		.amdhsa_exception_fp_ieee_invalid_op 0
		.amdhsa_exception_fp_denorm_src 0
		.amdhsa_exception_fp_ieee_div_zero 0
		.amdhsa_exception_fp_ieee_overflow 0
		.amdhsa_exception_fp_ieee_underflow 0
		.amdhsa_exception_fp_ieee_inexact 0
		.amdhsa_exception_int_div_zero 0
	.end_amdhsa_kernel
	.section	.text._ZL19rocblas_trsv_deviceILi64ELi16ELb1ELb1ELb0ELb0EdPKdPKS1_PKPdEviT7_lllT6_T8_lllPii,"axG",@progbits,_ZL19rocblas_trsv_deviceILi64ELi16ELb1ELb1ELb0ELb0EdPKdPKS1_PKPdEviT7_lllT6_T8_lllPii,comdat
.Lfunc_end131:
	.size	_ZL19rocblas_trsv_deviceILi64ELi16ELb1ELb1ELb0ELb0EdPKdPKS1_PKPdEviT7_lllT6_T8_lllPii, .Lfunc_end131-_ZL19rocblas_trsv_deviceILi64ELi16ELb1ELb1ELb0ELb0EdPKdPKS1_PKPdEviT7_lllT6_T8_lllPii
                                        ; -- End function
	.set _ZL19rocblas_trsv_deviceILi64ELi16ELb1ELb1ELb0ELb0EdPKdPKS1_PKPdEviT7_lllT6_T8_lllPii.num_vgpr, 103
	.set _ZL19rocblas_trsv_deviceILi64ELi16ELb1ELb1ELb0ELb0EdPKdPKS1_PKPdEviT7_lllT6_T8_lllPii.num_agpr, 0
	.set _ZL19rocblas_trsv_deviceILi64ELi16ELb1ELb1ELb0ELb0EdPKdPKS1_PKPdEviT7_lllT6_T8_lllPii.numbered_sgpr, 105
	.set _ZL19rocblas_trsv_deviceILi64ELi16ELb1ELb1ELb0ELb0EdPKdPKS1_PKPdEviT7_lllT6_T8_lllPii.num_named_barrier, 0
	.set _ZL19rocblas_trsv_deviceILi64ELi16ELb1ELb1ELb0ELb0EdPKdPKS1_PKPdEviT7_lllT6_T8_lllPii.private_seg_size, 0
	.set _ZL19rocblas_trsv_deviceILi64ELi16ELb1ELb1ELb0ELb0EdPKdPKS1_PKPdEviT7_lllT6_T8_lllPii.uses_vcc, 1
	.set _ZL19rocblas_trsv_deviceILi64ELi16ELb1ELb1ELb0ELb0EdPKdPKS1_PKPdEviT7_lllT6_T8_lllPii.uses_flat_scratch, 0
	.set _ZL19rocblas_trsv_deviceILi64ELi16ELb1ELb1ELb0ELb0EdPKdPKS1_PKPdEviT7_lllT6_T8_lllPii.has_dyn_sized_stack, 0
	.set _ZL19rocblas_trsv_deviceILi64ELi16ELb1ELb1ELb0ELb0EdPKdPKS1_PKPdEviT7_lllT6_T8_lllPii.has_recursion, 0
	.set _ZL19rocblas_trsv_deviceILi64ELi16ELb1ELb1ELb0ELb0EdPKdPKS1_PKPdEviT7_lllT6_T8_lllPii.has_indirect_call, 0
	.section	.AMDGPU.csdata,"",@progbits
; Kernel info:
; codeLenInByte = 35712
; TotalNumSgprs: 107
; NumVgprs: 103
; ScratchSize: 0
; MemoryBound: 0
; FloatMode: 240
; IeeeMode: 1
; LDSByteSize: 41480 bytes/workgroup (compile time only)
; SGPRBlocks: 0
; VGPRBlocks: 6
; NumSGPRsForWavesPerEU: 107
; NumVGPRsForWavesPerEU: 103
; NamedBarCnt: 0
; Occupancy: 9
; WaveLimiterHint : 1
; COMPUTE_PGM_RSRC2:SCRATCH_EN: 0
; COMPUTE_PGM_RSRC2:USER_SGPR: 2
; COMPUTE_PGM_RSRC2:TRAP_HANDLER: 0
; COMPUTE_PGM_RSRC2:TGID_X_EN: 1
; COMPUTE_PGM_RSRC2:TGID_Y_EN: 0
; COMPUTE_PGM_RSRC2:TGID_Z_EN: 1
; COMPUTE_PGM_RSRC2:TIDIG_COMP_CNT: 1
	.section	.text._ZL19rocblas_trsv_deviceILi64ELi16ELb1ELb1ELb1ELb0EdPKdPKS1_PKPdEviT7_lllT6_T8_lllPii,"axG",@progbits,_ZL19rocblas_trsv_deviceILi64ELi16ELb1ELb1ELb1ELb0EdPKdPKS1_PKPdEviT7_lllT6_T8_lllPii,comdat
	.globl	_ZL19rocblas_trsv_deviceILi64ELi16ELb1ELb1ELb1ELb0EdPKdPKS1_PKPdEviT7_lllT6_T8_lllPii ; -- Begin function _ZL19rocblas_trsv_deviceILi64ELi16ELb1ELb1ELb1ELb0EdPKdPKS1_PKPdEviT7_lllT6_T8_lllPii
	.p2align	8
	.type	_ZL19rocblas_trsv_deviceILi64ELi16ELb1ELb1ELb1ELb0EdPKdPKS1_PKPdEviT7_lllT6_T8_lllPii,@function
_ZL19rocblas_trsv_deviceILi64ELi16ELb1ELb1ELb1ELb0EdPKdPKS1_PKPdEviT7_lllT6_T8_lllPii: ; @_ZL19rocblas_trsv_deviceILi64ELi16ELb1ELb1ELb1ELb0EdPKdPKS1_PKPdEviT7_lllT6_T8_lllPii
; %bb.0:
	s_load_b32 s6, s[0:1], 0x58
	s_bfe_u32 s2, ttmp6, 0x40014
	s_lshr_b32 s3, ttmp7, 16
	s_add_co_i32 s2, s2, 1
	s_bfe_u32 s5, ttmp6, 0x40008
	s_mul_i32 s4, s3, s2
	s_getreg_b32 s2, hwreg(HW_REG_IB_STS2, 6, 4)
	s_add_co_i32 s5, s5, s4
	s_cmp_eq_u32 s2, 0
	s_mov_b32 s67, 0
	s_cselect_b32 s66, s3, s5
                                        ; implicit-def: $vgpr102 : SGPR spill to VGPR lane
	s_wait_kmcnt 0x0
	s_cmp_ge_u32 s66, s6
	v_writelane_b32 v102, s6, 0
	s_cbranch_scc1 .LBB132_1149
; %bb.1:
	s_clause 0x2
	s_load_b32 s3, s[0:1], 0x6c
	s_load_b32 s87, s[0:1], 0x60
	;; [unrolled: 1-line block ×3, first 2 shown]
	s_bfe_u32 s5, ttmp6, 0x4000c
	s_and_b32 s4, ttmp6, 15
	s_add_co_i32 s5, s5, 1
	s_clause 0x1
	s_load_b64 s[12:13], s[0:1], 0x18
	s_load_b256 s[68:75], s[0:1], 0x28
	s_mul_i32 s5, ttmp9, s5
	s_clause 0x1
	s_load_b64 s[82:83], s[0:1], 0x50
	s_load_b128 s[76:79], s[0:1], 0x8
	s_add_co_i32 s4, s4, s5
	s_cmp_eq_u32 s2, 0
	v_and_b32_e32 v2, 0x3ff, v0
	s_cselect_b32 s86, ttmp9, s4
	v_bfe_u32 v42, v0, 10, 10
	v_mov_b32_e32 v5, 0
                                        ; implicit-def: $vgpr101 : SGPR spill to VGPR lane
                                        ; implicit-def: $vgpr100 : SGPR spill to VGPR lane
	s_delay_alu instid0(VALU_DEP_3) | instskip(SKIP_1) | instid1(VALU_DEP_4)
	v_dual_lshlrev_b32 v21, 6, v2 :: v_dual_bitop2_b32 v68, 31, v0 bitop3:0x40
	v_lshlrev_b32_e32 v45, 3, v2
	v_lshl_add_u32 v30, v42, 6, v2
	s_wait_kmcnt 0x0
	s_and_b32 s0, s3, 0xffff
	s_add_co_i32 s87, s87, -1
	s_add_co_i32 s1, s80, -1
	s_ashr_i32 s81, s80, 31
	s_ashr_i32 s2, s1, 31
	s_lshr_b32 s3, s81, 26
	s_lshr_b32 s2, s2, 26
	s_add_co_i32 s3, s80, s3
	s_add_co_i32 s1, s1, s2
	s_and_not1_b32 s3, s3, 63
	s_sub_co_i32 s49, s87, s86
	s_ashr_i32 s1, s1, 6
	s_sub_co_i32 s15, s80, s3
	s_cmp_eq_u32 s1, s49
	v_dual_mov_b32 v3, v5 :: v_dual_add_nc_u32 v20, 16, v42
	s_cselect_b32 s1, -1, 0
	s_cmp_lg_u32 s15, 0
	v_cmp_gt_u32_e64 s4, 2, v2
	s_cselect_b32 s2, -1, 0
	v_add_nc_u32_e32 v12, v20, v21
	s_and_b32 s18, s2, s1
	s_add_nc_u64 s[2:3], s[12:13], 1
	s_xor_b32 s88, s18, -1
	s_cmp_lg_u32 s86, 0
	v_cmp_le_i32_e64 s14, s15, v2
	s_cselect_b32 s1, -1, 0
	s_lshl_b32 s16, s49, 6
	s_delay_alu instid0(SALU_CYCLE_1)
	v_dual_add_nc_u32 v1, v42, v21 :: v_dual_add_nc_u32 v22, s16, v42
	s_cmp_lt_i32 s86, 5
	v_mad_nc_u64_u32 v[16:17], s2, s16, v[2:3]
	s_cselect_b32 vcc_lo, -1, 0
	v_add_nc_u32_e32 v10, s16, v2
	v_dual_cndmask_b32 v23, v30, v1 :: v_dual_add_nc_u32 v6, 64, v22
	v_and_b32_e32 v1, 1, v0
	v_lshl_add_u32 v3, v20, 6, v2
	s_ashr_i32 s17, s16, 31
	s_delay_alu instid0(VALU_DEP_3)
	v_ashrrev_i32_e32 v7, 31, v6
	v_writelane_b32 v102, s1, 1
	s_or_b32 vcc_lo, vcc_lo, s18
	s_mul_i32 s1, s2, s17
	s_mul_i32 s2, s3, s16
	v_cmp_eq_u32_e64 s3, 1, v1
	v_dual_cndmask_b32 v24, v3, v12 :: v_dual_ashrrev_i32 v11, 31, v10
	v_dual_lshrrev_b32 v3, 10, v0 :: v_dual_lshrrev_b32 v12, 1, v30
	v_add3_u32 v17, s1, s2, v17
	v_lshlrev_b32_e32 v13, 3, v1
	v_cmp_gt_u32_e64 s1, 4, v30
	s_xor_b32 s2, s3, -1
	v_bitop3_b32 v31, v0, v3, 0x3ff bitop3:0xa8
	v_lshl_add_u32 v3, v12, 3, 0x8000
	v_lshl_or_b32 v43, v12, 9, v13
	v_mul_u32_u24_e32 v44, 0x208, v12
	s_and_b32 s91, s2, s1
	v_dual_lshrrev_b32 v1, 2, v30 :: v_dual_bitop2_b32 v12, 3, v0 bitop3:0x40
	v_cmp_eq_u32_e64 s2, 0, v42
	s_and_b32 s92, s3, s1
	v_cmp_gt_u32_e64 s3, 16, v30
	v_dual_lshlrev_b32 v13, 3, v1 :: v_dual_lshlrev_b32 v47, 3, v12
	v_mul_u32_u24_e32 v46, 0x208, v1
	s_and_b32 s93, s2, s4
	v_cmp_eq_u32_e64 s4, 0, v12
	v_cmp_ne_u32_e64 s5, 0, v12
	v_lshl_or_b32 v50, v1, 9, v47
	v_dual_sub_nc_u32 v14, v46, v13 :: v_dual_lshrrev_b32 v1, 3, v30
	s_and_b32 s94, s4, s3
	v_cmp_eq_u32_e64 s4, 1, v12
	v_cmp_lt_u32_e64 s6, 1, v12
	s_delay_alu instid0(VALU_DEP_3)
	v_add_nc_u32_e32 v51, v14, v47
	v_cmp_eq_u32_e64 s8, 2, v12
	s_and_b32 s95, s5, s3
	v_cmp_eq_u32_e64 s5, 3, v12
	s_and_b32 s96, s4, s3
	v_cmp_gt_u32_e64 s4, 4, v2
	v_and_b32_e32 v12, 7, v0
	s_and_b32 s97, s6, s3
	s_and_b32 s99, s5, s3
	;; [unrolled: 1-line block ×4, first 2 shown]
	v_cmp_gt_u32_e64 s4, 64, v30
	v_cmp_eq_u32_e64 s5, 0, v12
	v_cmp_ne_u32_e64 s6, 0, v12
	v_cmp_eq_u32_e64 s8, 1, v12
	v_dual_lshlrev_b32 v56, 3, v12 :: v_dual_bitop2_b32 v14, -8, v30 bitop3:0x40
	s_and_b32 s101, s5, s4
	s_and_b32 s102, s6, s4
	v_cmp_lt_u32_e64 s5, 1, v12
	v_cmp_eq_u32_e64 s6, 2, v12
	v_mul_u32_u24_e32 v55, 0x208, v1
	s_and_b32 s103, s8, s4
	v_cmp_lt_u32_e64 s8, 2, v12
	s_and_b32 s104, s5, s4
	v_cmp_lt_u32_e64 s5, 3, v12
	s_and_b32 vcc_hi, s6, s4
	v_cmp_eq_u32_e64 s6, 4, v12
	v_cmp_eq_u32_e64 s9, 3, v12
	v_sub_nc_u32_e32 v15, v55, v14
	s_and_b32 s38, s5, s4
	v_cmp_lt_u32_e64 s5, 4, v12
	s_and_b32 s39, s6, s4
	v_cmp_eq_u32_e64 s6, 6, v12
	s_and_b32 s36, s8, s4
	s_and_b32 s37, s9, s4
	v_cmp_eq_u32_e64 s8, 5, v12
	v_cmp_lt_u32_e64 s9, 5, v12
	s_and_b32 s40, s5, s4
	s_and_b32 s43, s6, s4
	v_cmp_eq_u32_e64 s5, 7, v12
	v_cmp_gt_u32_e64 s6, 8, v2
	v_and_b32_e32 v12, 15, v0
	s_and_b32 s41, s8, s4
	s_and_b32 s42, s9, s4
	;; [unrolled: 1-line block ×4, first 2 shown]
	v_cmp_gt_u32_e64 s5, 0x100, v30
	v_cmp_eq_u32_e64 s6, 0, v12
	v_cmp_ne_u32_e64 s8, 0, v12
	v_cmp_eq_u32_e64 s9, 1, v12
	v_cmp_eq_u32_e64 s10, 2, v12
	s_and_b32 s46, s14, s18
	s_and_b32 s6, s6, s5
	;; [unrolled: 1-line block ×3, first 2 shown]
	v_writelane_b32 v102, s6, 2
	v_cmp_lt_u32_e64 s6, 1, v12
	v_cmp_gt_i32_e64 s7, s15, v2
	v_dual_add_nc_u32 v26, 32, v42 :: v_dual_add_nc_u32 v27, 48, v42
	v_writelane_b32 v102, s8, 3
	s_and_b32 s8, s9, s5
	s_and_b32 s6, s6, s5
	v_cmp_lt_u32_e64 s9, 3, v12
	v_add_nc_u32_e32 v29, 0x50, v22
	v_writelane_b32 v102, s8, 4
	v_cmp_lt_u32_e64 s8, 2, v12
	s_xor_b32 s90, vcc_lo, -1
	s_and_b32 s53, s9, s5
	v_cmp_eq_u32_e64 s9, 6, v12
	v_writelane_b32 v102, s6, 5
	s_and_b32 s6, s10, s5
	s_and_b32 s8, s8, s5
	v_cmp_lt_u32_e64 s10, 4, v12
	s_and_b32 s58, s9, s5
	v_writelane_b32 v102, s6, 6
	v_cmp_eq_u32_e64 s6, 3, v12
	v_cmp_lt_u32_e64 s9, 8, v12
	s_and_b32 s55, s10, s5
	v_cmp_eq_u32_e64 s10, 7, v12
	v_writelane_b32 v102, s8, 7
	s_and_b32 s6, s6, s5
	v_cmp_eq_u32_e64 s8, 4, v12
	s_and_b32 s11, s9, s5
	s_and_b32 s62, s10, s5
	v_writelane_b32 v102, s6, 8
	v_cmp_eq_u32_e64 s6, 5, v12
	s_and_b32 s54, s8, s5
	v_cmp_lt_u32_e64 s8, 5, v12
	v_cmp_lt_u32_e64 s10, 9, v12
	v_cmp_eq_u32_e64 s9, 11, v12
	s_and_b32 s56, s6, s5
	v_cmp_lt_u32_e64 s6, 6, v12
	s_and_b32 s57, s8, s5
	v_cmp_lt_u32_e64 s8, 7, v12
	s_and_b32 s25, s10, s5
	v_cmp_eq_u32_e64 s10, 12, v12
	s_and_b32 s61, s6, s5
	v_cmp_eq_u32_e64 s6, 8, v12
	;; [unrolled: 2-line block ×3, first 2 shown]
	s_and_b32 s31, s9, s5
	s_and_b32 s24, s10, s5
	;; [unrolled: 1-line block ×3, first 2 shown]
	v_cmp_eq_u32_e64 s6, 10, v12
	s_and_b32 s23, s8, s5
	v_cmp_lt_u32_e64 s8, 10, v12
	v_cmp_lt_u32_e64 s9, 13, v12
	v_cmp_eq_u32_e64 s10, 15, v12
	s_and_b32 s27, s6, s5
	v_cmp_lt_u32_e64 s6, 11, v12
	s_and_b32 s29, s8, s5
	v_cmp_lt_u32_e64 s8, 12, v12
	s_and_b32 s30, s9, s5
	s_and_b32 s89, s10, s5
	;; [unrolled: 1-line block ×3, first 2 shown]
	v_cmp_eq_u32_e64 s6, 13, v12
	s_and_b32 s26, s8, s5
	v_cmp_eq_u32_e64 s8, 14, v12
	v_mad_u32_u24 v4, v42, s0, v2
	v_cmp_gt_i32_e64 s0, s80, v10
	s_and_b32 s28, s6, s5
	v_cmp_gt_u32_e64 s6, 16, v2
	s_and_b32 s33, s8, s5
	s_xor_b32 s8, s46, -1
	v_add_nc_u32_e32 v32, 0x60, v22
	s_and_b32 s47, s2, s8
	s_and_b32 s65, s2, s6
	v_cmp_gt_u32_e64 s6, 32, v2
	v_cmp_gt_i32_e64 s8, s80, v29
	v_lshl_add_u32 v29, v26, 6, v2
	v_add_nc_u32_e32 v49, 0x8000, v13
	v_mul_i32_i24_e32 v13, 0xfffffe08, v2
	s_and_b32 s6, s2, s6
	s_cmp_gt_i32 s86, 0
	v_writelane_b32 v102, s6, 9
	s_cselect_b32 s48, -1, 0
	s_and_b32 s7, s2, s7
	v_mul_lo_u32 v28, v13, 6
	v_mul_u32_u24_e32 v25, 0x1f8, v2
	v_writelane_b32 v102, s7, 10
	v_cmp_gt_i32_e64 s7, s80, v6
	v_add_nc_u32_e32 v22, 0x70, v22
	v_cmp_gt_i32_e64 s9, s80, v32
	v_lshl_or_b32 v59, v1, 9, v56
	v_dual_add_nc_u32 v60, v15, v56 :: v_dual_lshrrev_b32 v1, 4, v30
	s_and_b32 s7, s7, s0
	v_lshl_add_u32 v32, v27, 6, v2
	v_writelane_b32 v102, s7, 11
	s_and_b32 s7, s8, s0
	v_mad_u32 v25, v25, 7, v28
	v_dual_add_nc_u32 v28, v26, v21 :: v_dual_add_nc_u32 v21, v27, v21
	v_writelane_b32 v102, s7, 12
	v_cmp_gt_i32_e64 s10, s80, v22
	s_and_b32 s7, s9, s0
	v_dual_cndmask_b32 v21, v32, v21 :: v_dual_add_nc_u32 v58, 0x8000, v14
	v_writelane_b32 v102, s7, 13
	v_dual_lshlrev_b32 v14, 3, v1 :: v_dual_lshlrev_b32 v64, 3, v12
	v_mul_u32_u24_e32 v62, 0x208, v1
	v_cndmask_b32_e32 v22, v29, v28, vcc_lo
	s_and_b32 s7, s10, s0
	v_cmp_le_i32_e32 vcc_lo, s15, v42
	v_cmp_le_u32_e64 s6, v2, v42
	v_writelane_b32 v102, s7, 14
	v_cmp_le_i32_e64 s7, s15, v20
	v_sub_nc_u32_e32 v15, v62, v14
	s_or_b32 s8, vcc_lo, s14
	v_lshl_or_b32 v66, v1, 9, v64
	s_or_b32 s8, s8, s6
	s_or_b32 s10, s7, s14
	v_cmp_le_u32_e64 s7, v2, v20
	v_writelane_b32 v102, s8, 15
	v_dual_add_nc_u32 v67, v15, v64 :: v_dual_lshrrev_b32 v1, 5, v30
	v_cmp_le_i32_e32 vcc_lo, s15, v26
	v_cmp_le_u32_e64 s8, v2, v26
	s_or_b32 s10, s10, s7
	v_cmp_le_i32_e64 s9, s15, v27
	v_writelane_b32 v102, s10, 16
	v_mul_u64_e32 v[8:9], s[12:13], v[10:11]
	v_add_nc_u32_e32 v65, 0x8000, v14
	v_dual_lshlrev_b32 v69, 3, v1 :: v_dual_lshlrev_b32 v70, 9, v1
	v_mul_u64_e32 v[0:1], s[74:75], v[10:11]
	v_mad_nc_u64_u32 v[10:11], s12, v42, v[16:17]
	v_mad_nc_u64_u32 v[12:13], s12, v20, v[16:17]
	;; [unrolled: 1-line block ×4, first 2 shown]
	s_or_b32 s12, vcc_lo, s14
	v_cmp_ne_u32_e64 s15, v2, v27
	s_or_b32 s10, s12, s8
	v_cmp_ne_u32_e64 s12, v2, v20
	v_writelane_b32 v102, s10, 17
	s_or_b32 s10, s9, s14
	v_cmp_le_u32_e64 s9, v2, v27
	v_mad_u32 v11, s13, v42, v11
	v_mad_u32 v13, s13, v20, v13
	;; [unrolled: 1-line block ×4, first 2 shown]
	s_or_b32 s10, s10, s9
	v_cmp_ne_u32_e64 s13, v2, v26
	v_writelane_b32 v102, s10, 18
	v_cmp_ne_u32_e64 s10, v2, v42
	v_mad_u32_u24 v48, 0x1f8, v2, v45
	v_add_nc_u64_e32 v[18:19], s[16:17], v[4:5]
	v_dual_lshlrev_b32 v76, 3, v24 :: v_dual_lshlrev_b32 v78, 3, v22
	s_delay_alu instid0(VALU_DEP_4)
	v_writelane_b32 v102, s10, 19
	s_or_b32 s10, s14, s10
	v_mad_i32_i24 v52, 0xfffffe08, v2, v48
	v_dual_lshlrev_b32 v22, 3, v42 :: v_dual_lshlrev_b32 v80, 3, v21
	v_writelane_b32 v102, s10, 20
	s_or_b32 s10, s14, s12
	s_delay_alu instid0(VALU_DEP_3)
	v_mad_u32_u24 v53, 0x1f8, v2, v52
	v_mul_u64_e32 v[18:19], s[74:75], v[18:19]
	v_mul_u32_u24_e32 v83, 0x208, v68
	v_writelane_b32 v102, s12, 21
	v_lshlrev_b32_e32 v21, 9, v68
	v_mad_i32_i24 v54, 0xfffffe08, v2, v53
	v_mul_u32_u24_e32 v33, 0x1f0, v2
	v_or_b32_e32 v32, v20, v2
	v_writelane_b32 v102, s10, 22
	s_or_b32 s10, s14, s13
	v_mad_u32_u24 v57, 0x1f8, v2, v54
	v_sub_nc_u32_e32 v21, v83, v21
	v_dual_sub_nc_u32 v25, v25, v33 :: v_dual_lshlrev_b32 v75, 3, v23
	v_writelane_b32 v102, s13, 23
	s_delay_alu instid0(VALU_DEP_4)
	v_mad_i32_i24 v61, 0xfffffe08, v2, v57
	v_or_b32_e32 v81, 0xa000, v22
	v_or_b32_e32 v33, v26, v2
	;; [unrolled: 1-line block ×3, first 2 shown]
	v_writelane_b32 v102, s10, 24
	s_or_b32 s10, s14, s15
	v_mad_u32_u24 v63, 0x1f8, v2, v61
	v_add_nc_u32_e32 v92, v81, v45
	v_add_nc_u32_e32 v84, 0x4100, v21
	v_writelane_b32 v102, s15, 25
	v_cmp_lt_u32_e32 vcc_lo, 0x3ff, v30
	v_mad_i32_i24 v71, 0xfffffe08, v2, v63
	v_mov_b64_e32 v[20:21], 0
	v_add_nc_u32_e32 v85, 0x7800, v25
	v_writelane_b32 v102, s10, 26
	v_cmp_gt_u32_e64 s10, 0xf0, v30
	v_mad_u32_u24 v72, 0x1f8, v2, v71
	v_add_nc_u32_e32 v86, 0x8000, v69
	v_lshl_or_b32 v87, v68, 3, v70
	v_lshl_add_u32 v88, v4, 3, 0xa000
	v_writelane_b32 v102, s10, 27
	v_cmp_gt_u32_e64 s10, 0xe0, v30
	v_mad_i32_i24 v73, 0xfffffe08, v2, v72
	v_lshl_add_u32 v89, v30, 3, 0x8000
	v_add_nc_u32_e32 v90, 0x8000, v45
	v_subrev_nc_u32_e32 v93, 63, v2
	v_writelane_b32 v102, s10, 28
	v_cmp_gt_u32_e64 s10, 0xd0, v30
	v_mad_u32_u24 v74, 0x1f8, v2, v73
	v_lshl_add_u32 v91, v42, 9, v73
	v_cmp_eq_u32_e64 s14, 0, v31
	v_cmp_gt_u32_e64 s15, 2, v30
	v_writelane_b32 v102, s10, 29
	v_cmp_gt_u32_e64 s10, 0xc0, v30
	v_mad_i32_i24 v77, 0xfffffe08, v2, v74
	v_cmp_gt_u32_e64 s16, 12, v30
	v_cmp_gt_u32_e64 s17, 8, v30
	;; [unrolled: 1-line block ×3, first 2 shown]
	v_writelane_b32 v102, s10, 30
	v_cmp_gt_u32_e64 s10, 0xb0, v30
	v_mad_u32_u24 v79, 0x1f8, v2, v77
	v_cmp_gt_u32_e64 s19, 48, v30
	v_cmp_gt_u32_e64 s20, 40, v30
	;; [unrolled: 1-line block ×3, first 2 shown]
	v_writelane_b32 v102, s10, 31
	v_cmp_gt_u32_e64 s10, 0xa0, v30
	v_add_nc_u32_e32 v82, v79, v22
	v_cmp_gt_u32_e64 s22, 24, v30
	v_cmp_gt_u32_e64 s35, 0x400, v30
	v_cmp_eq_u32_e64 s59, 0, v4
	v_writelane_b32 v101, s10, 0
	v_cmp_gt_u32_e64 s10, 0x90, v30
	v_cmp_gt_u32_e64 s60, 64, v4
	s_add_co_i32 s49, s49, 1
	s_xor_b32 s13, vcc_lo, -1
	s_lshl_b64 s[78:79], s[78:79], 3
	v_writelane_b32 v101, s10, 1
	v_cmp_gt_u32_e64 s10, 0x80, v30
	s_lshl_b64 s[72:73], s[72:73], 3
                                        ; implicit-def: $vgpr22_vgpr23
                                        ; implicit-def: $vgpr24_vgpr25
                                        ; implicit-def: $vgpr26_vgpr27
                                        ; implicit-def: $vgpr28_vgpr29
	v_writelane_b32 v101, s10, 2
	v_cmp_gt_u32_e64 s10, 0x70, v30
	s_delay_alu instid0(VALU_DEP_1) | instskip(SKIP_1) | instid1(VALU_DEP_1)
	v_writelane_b32 v101, s10, 3
	v_cmp_gt_u32_e64 s10, 0x60, v30
	v_writelane_b32 v101, s10, 4
	v_cmp_gt_u32_e64 s10, 0x50, v30
	s_delay_alu instid0(VALU_DEP_1) | instskip(SKIP_1) | instid1(VALU_DEP_1)
	v_writelane_b32 v101, s10, 5
	v_cmp_gt_u32_e64 s10, 0x3e0, v30
	;; [unrolled: 5-line block ×15, first 2 shown]
	v_writelane_b32 v100, s10, 0
	s_branch .LBB132_3
.LBB132_2:                              ;   in Loop: Header=BB132_3 Depth=1
	s_wait_xcnt 0x0
	s_or_b32 exec_lo, exec_lo, s10
	v_readlane_b32 s10, v102, 0
	s_add_co_i32 s66, s66, 0x10000
	global_wb scope:SCOPE_DEV
	s_wait_storecnt 0x0
	global_inv scope:SCOPE_DEV
	s_cmp_lt_u32 s66, s10
	s_cbranch_scc0 .LBB132_1149
.LBB132_3:                              ; =>This Loop Header: Depth=1
                                        ;     Child Loop BB132_553 Depth 2
                                        ;     Child Loop BB132_1002 Depth 2
                                        ;       Child Loop BB132_1004 Depth 3
                                        ;     Child Loop BB132_1039 Depth 2
	v_mov_b32_e32 v32, s66
	v_readlane_b32 s10, v102, 1
	s_clause 0x1
	global_load_b64 v[30:31], v32, s[76:77] scale_offset
	global_load_b64 v[34:35], v32, s[70:71] scale_offset
	global_load_b64 v[32:33], v5, s[68:69]
	s_and_not1_b32 vcc_lo, exec_lo, s10
	s_wait_loadcnt 0x2
	v_add_nc_u64_e32 v[36:37], s[78:79], v[30:31]
	s_delay_alu instid0(VALU_DEP_1)
	v_lshl_add_u64 v[30:31], v[8:9], 3, v[36:37]
	s_cbranch_vccnz .LBB132_13
; %bb.4:                                ;   in Loop: Header=BB132_3 Depth=1
	v_mov_b64_e32 v[24:25], 0
	v_mov_b64_e32 v[22:23], 0
	s_delay_alu instid0(VALU_DEP_3)
	v_lshl_add_u64 v[38:39], v[6:7], 3, v[30:31]
	s_wait_loadcnt 0x0
	s_barrier_signal -1
	s_barrier_wait -1
	s_wait_xcnt 0x0
	s_mov_b32 s10, exec_lo
	v_readlane_b32 s12, v102, 11
	s_and_b32 s12, s10, s12
	s_delay_alu instid0(SALU_CYCLE_1)
	s_mov_b32 exec_lo, s12
	s_cbranch_execz .LBB132_6
; %bb.5:                                ;   in Loop: Header=BB132_3 Depth=1
	flat_load_b64 v[22:23], v[38:39]
.LBB132_6:                              ;   in Loop: Header=BB132_3 Depth=1
	s_wait_xcnt 0x0
	s_or_b32 exec_lo, exec_lo, s10
	s_wait_loadcnt_dscnt 0x0
	s_barrier_signal -1
	s_barrier_wait -1
	s_mov_b32 s10, exec_lo
	v_readlane_b32 s12, v102, 12
	s_and_b32 s12, s10, s12
	s_delay_alu instid0(SALU_CYCLE_1)
	s_mov_b32 exec_lo, s12
	s_cbranch_execz .LBB132_8
; %bb.7:                                ;   in Loop: Header=BB132_3 Depth=1
	flat_load_b64 v[24:25], v[38:39] offset:128
.LBB132_8:                              ;   in Loop: Header=BB132_3 Depth=1
	s_wait_xcnt 0x0
	s_or_b32 exec_lo, exec_lo, s10
	v_mov_b64_e32 v[28:29], 0
	v_mov_b64_e32 v[26:27], 0
	s_wait_loadcnt_dscnt 0x0
	s_barrier_signal -1
	s_barrier_wait -1
	s_mov_b32 s10, exec_lo
	v_readlane_b32 s12, v102, 13
	s_and_b32 s12, s10, s12
	s_delay_alu instid0(SALU_CYCLE_1)
	s_mov_b32 exec_lo, s12
	s_cbranch_execz .LBB132_10
; %bb.9:                                ;   in Loop: Header=BB132_3 Depth=1
	flat_load_b64 v[26:27], v[38:39] offset:256
.LBB132_10:                             ;   in Loop: Header=BB132_3 Depth=1
	s_wait_xcnt 0x0
	s_or_b32 exec_lo, exec_lo, s10
	s_wait_loadcnt_dscnt 0x0
	s_barrier_signal -1
	s_barrier_wait -1
	s_mov_b32 s10, exec_lo
	v_readlane_b32 s12, v102, 14
	s_and_b32 s12, s10, s12
	s_delay_alu instid0(SALU_CYCLE_1)
	s_mov_b32 exec_lo, s12
	s_cbranch_execz .LBB132_12
; %bb.11:                               ;   in Loop: Header=BB132_3 Depth=1
	flat_load_b64 v[28:29], v[38:39] offset:384
.LBB132_12:                             ;   in Loop: Header=BB132_3 Depth=1
	s_wait_xcnt 0x0
	s_or_b32 exec_lo, exec_lo, s10
.LBB132_13:                             ;   in Loop: Header=BB132_3 Depth=1
	s_delay_alu instid0(SALU_CYCLE_1)
	s_and_not1_b32 vcc_lo, exec_lo, s88
	s_mov_b32 s10, -1
	s_cbranch_vccnz .LBB132_24
; %bb.14:                               ;   in Loop: Header=BB132_3 Depth=1
	s_wait_xcnt 0x0
	s_and_saveexec_b32 s10, s6
	s_delay_alu instid0(SALU_CYCLE_1)
	s_xor_b32 s10, exec_lo, s10
	s_cbranch_execnz .LBB132_1061
; %bb.15:                               ;   in Loop: Header=BB132_3 Depth=1
	s_and_not1_saveexec_b32 s10, s10
	s_cbranch_execnz .LBB132_1068
.LBB132_16:                             ;   in Loop: Header=BB132_3 Depth=1
	s_or_b32 exec_lo, exec_lo, s10
	s_and_saveexec_b32 s10, s7
	s_delay_alu instid0(SALU_CYCLE_1)
	s_xor_b32 s10, exec_lo, s10
	s_cbranch_execnz .LBB132_1069
.LBB132_17:                             ;   in Loop: Header=BB132_3 Depth=1
	s_and_not1_saveexec_b32 s10, s10
	s_cbranch_execnz .LBB132_1076
.LBB132_18:                             ;   in Loop: Header=BB132_3 Depth=1
	s_or_b32 exec_lo, exec_lo, s10
	s_and_saveexec_b32 s10, s8
	s_delay_alu instid0(SALU_CYCLE_1)
	s_xor_b32 s10, exec_lo, s10
	s_cbranch_execnz .LBB132_1077
.LBB132_19:                             ;   in Loop: Header=BB132_3 Depth=1
	s_and_not1_saveexec_b32 s10, s10
	s_cbranch_execnz .LBB132_1084
.LBB132_20:                             ;   in Loop: Header=BB132_3 Depth=1
	s_or_b32 exec_lo, exec_lo, s10
	s_and_saveexec_b32 s10, s9
	s_delay_alu instid0(SALU_CYCLE_1)
	s_xor_b32 s10, exec_lo, s10
	s_cbranch_execnz .LBB132_1085
.LBB132_21:                             ;   in Loop: Header=BB132_3 Depth=1
	s_and_not1_saveexec_b32 s10, s10
	s_cbranch_execz .LBB132_23
.LBB132_22:                             ;   in Loop: Header=BB132_3 Depth=1
	v_lshl_add_u64 v[38:39], v[16:17], 3, v[36:37]
	flat_load_b64 v[38:39], v[38:39]
	s_wait_loadcnt_dscnt 0x0
	v_xor_b32_e32 v39, 0x80000000, v39
	ds_store_b64 v80, v[38:39]
.LBB132_23:                             ;   in Loop: Header=BB132_3 Depth=1
	s_or_b32 exec_lo, exec_lo, s10
	s_mov_b32 s10, 0
.LBB132_24:                             ;   in Loop: Header=BB132_3 Depth=1
	s_delay_alu instid0(SALU_CYCLE_1)
	s_and_b32 vcc_lo, exec_lo, s10
	s_cbranch_vccz .LBB132_66
; %bb.25:                               ;   in Loop: Header=BB132_3 Depth=1
	s_wait_xcnt 0x0
	s_mov_b32 s10, exec_lo
	v_readlane_b32 s12, v102, 15
	s_and_b32 s12, s10, s12
	s_delay_alu instid0(SALU_CYCLE_1)
	s_xor_b32 s10, s12, s10
	s_mov_b32 exec_lo, s12
	s_cbranch_execz .LBB132_33
; %bb.26:                               ;   in Loop: Header=BB132_3 Depth=1
	s_mov_b32 s12, exec_lo
	v_readlane_b32 s50, v102, 20
	s_and_b32 s50, s12, s50
	s_delay_alu instid0(SALU_CYCLE_1)
	s_xor_b32 s12, s50, s12
	s_mov_b32 exec_lo, s50
	s_cbranch_execz .LBB132_30
; %bb.27:                               ;   in Loop: Header=BB132_3 Depth=1
	s_mov_b32 s50, exec_lo
	v_readlane_b32 s51, v101, 29
	s_and_b32 s51, s50, s51
	s_delay_alu instid0(SALU_CYCLE_1)
	s_mov_b32 exec_lo, s51
; %bb.28:                               ;   in Loop: Header=BB132_3 Depth=1
	ds_store_b64 v82, v[20:21]
; %bb.29:                               ;   in Loop: Header=BB132_3 Depth=1
	s_or_b32 exec_lo, exec_lo, s50
.LBB132_30:                             ;   in Loop: Header=BB132_3 Depth=1
	s_and_not1_saveexec_b32 s12, s12
	s_cbranch_execz .LBB132_32
; %bb.31:                               ;   in Loop: Header=BB132_3 Depth=1
	v_lshl_add_u64 v[38:39], v[10:11], 3, v[36:37]
	flat_load_b64 v[38:39], v[38:39]
	s_wait_loadcnt_dscnt 0x0
	v_div_scale_f64 v[40:41], null, v[38:39], v[38:39], 1.0
	s_delay_alu instid0(VALU_DEP_1) | instskip(SKIP_1) | instid1(TRANS32_DEP_1)
	v_rcp_f64_e32 v[94:95], v[40:41]
	v_nop
	v_fma_f64 v[96:97], -v[40:41], v[94:95], 1.0
	s_delay_alu instid0(VALU_DEP_1) | instskip(NEXT) | instid1(VALU_DEP_1)
	v_fmac_f64_e32 v[94:95], v[94:95], v[96:97]
	v_fma_f64 v[96:97], -v[40:41], v[94:95], 1.0
	s_delay_alu instid0(VALU_DEP_1) | instskip(SKIP_1) | instid1(VALU_DEP_1)
	v_fmac_f64_e32 v[94:95], v[94:95], v[96:97]
	v_div_scale_f64 v[96:97], vcc_lo, 1.0, v[38:39], 1.0
	v_mul_f64_e32 v[98:99], v[96:97], v[94:95]
	s_delay_alu instid0(VALU_DEP_1) | instskip(NEXT) | instid1(VALU_DEP_1)
	v_fma_f64 v[40:41], -v[40:41], v[98:99], v[96:97]
	v_div_fmas_f64 v[40:41], v[40:41], v[94:95], v[98:99]
	s_delay_alu instid0(VALU_DEP_1)
	v_div_fixup_f64 v[38:39], v[40:41], v[38:39], 1.0
	ds_store_b64 v82, v[38:39]
.LBB132_32:                             ;   in Loop: Header=BB132_3 Depth=1
	s_or_b32 exec_lo, exec_lo, s12
.LBB132_33:                             ;   in Loop: Header=BB132_3 Depth=1
	s_and_not1_saveexec_b32 s10, s10
	s_cbranch_execz .LBB132_35
; %bb.34:                               ;   in Loop: Header=BB132_3 Depth=1
	v_lshl_add_u64 v[38:39], v[10:11], 3, v[36:37]
	flat_load_b64 v[38:39], v[38:39]
	s_wait_loadcnt_dscnt 0x0
	v_xor_b32_e32 v39, 0x80000000, v39
	ds_store_b64 v82, v[38:39]
.LBB132_35:                             ;   in Loop: Header=BB132_3 Depth=1
	s_or_b32 exec_lo, exec_lo, s10
	s_delay_alu instid0(SALU_CYCLE_1) | instskip(SKIP_2) | instid1(SALU_CYCLE_1)
	s_mov_b32 s10, exec_lo
	v_readlane_b32 s12, v102, 16
	s_and_b32 s12, s10, s12
	s_xor_b32 s10, s12, s10
	s_mov_b32 exec_lo, s12
	s_cbranch_execz .LBB132_43
; %bb.36:                               ;   in Loop: Header=BB132_3 Depth=1
	s_mov_b32 s12, exec_lo
	v_readlane_b32 s50, v102, 22
	s_and_b32 s50, s12, s50
	s_delay_alu instid0(SALU_CYCLE_1)
	s_xor_b32 s12, s50, s12
	s_mov_b32 exec_lo, s50
	s_cbranch_execz .LBB132_40
; %bb.37:                               ;   in Loop: Header=BB132_3 Depth=1
	s_mov_b32 s50, exec_lo
	v_readlane_b32 s51, v101, 30
	s_and_b32 s51, s50, s51
	s_delay_alu instid0(SALU_CYCLE_1)
	s_mov_b32 exec_lo, s51
; %bb.38:                               ;   in Loop: Header=BB132_3 Depth=1
	ds_store_b64 v76, v[20:21]
; %bb.39:                               ;   in Loop: Header=BB132_3 Depth=1
	s_or_b32 exec_lo, exec_lo, s50
.LBB132_40:                             ;   in Loop: Header=BB132_3 Depth=1
	s_and_not1_saveexec_b32 s12, s12
	s_cbranch_execz .LBB132_42
; %bb.41:                               ;   in Loop: Header=BB132_3 Depth=1
	v_lshl_add_u64 v[38:39], v[12:13], 3, v[36:37]
	flat_load_b64 v[38:39], v[38:39]
	s_wait_loadcnt_dscnt 0x0
	v_div_scale_f64 v[40:41], null, v[38:39], v[38:39], 1.0
	s_delay_alu instid0(VALU_DEP_1) | instskip(SKIP_1) | instid1(TRANS32_DEP_1)
	v_rcp_f64_e32 v[94:95], v[40:41]
	v_nop
	v_fma_f64 v[96:97], -v[40:41], v[94:95], 1.0
	s_delay_alu instid0(VALU_DEP_1) | instskip(NEXT) | instid1(VALU_DEP_1)
	v_fmac_f64_e32 v[94:95], v[94:95], v[96:97]
	v_fma_f64 v[96:97], -v[40:41], v[94:95], 1.0
	s_delay_alu instid0(VALU_DEP_1) | instskip(SKIP_1) | instid1(VALU_DEP_1)
	v_fmac_f64_e32 v[94:95], v[94:95], v[96:97]
	v_div_scale_f64 v[96:97], vcc_lo, 1.0, v[38:39], 1.0
	v_mul_f64_e32 v[98:99], v[96:97], v[94:95]
	s_delay_alu instid0(VALU_DEP_1) | instskip(NEXT) | instid1(VALU_DEP_1)
	v_fma_f64 v[40:41], -v[40:41], v[98:99], v[96:97]
	v_div_fmas_f64 v[40:41], v[40:41], v[94:95], v[98:99]
	s_delay_alu instid0(VALU_DEP_1)
	v_div_fixup_f64 v[38:39], v[40:41], v[38:39], 1.0
	ds_store_b64 v76, v[38:39]
.LBB132_42:                             ;   in Loop: Header=BB132_3 Depth=1
	s_or_b32 exec_lo, exec_lo, s12
.LBB132_43:                             ;   in Loop: Header=BB132_3 Depth=1
	s_and_not1_saveexec_b32 s10, s10
	s_cbranch_execz .LBB132_45
; %bb.44:                               ;   in Loop: Header=BB132_3 Depth=1
	v_lshl_add_u64 v[38:39], v[12:13], 3, v[36:37]
	flat_load_b64 v[38:39], v[38:39]
	s_wait_loadcnt_dscnt 0x0
	v_xor_b32_e32 v39, 0x80000000, v39
	ds_store_b64 v76, v[38:39]
.LBB132_45:                             ;   in Loop: Header=BB132_3 Depth=1
	s_or_b32 exec_lo, exec_lo, s10
	s_delay_alu instid0(SALU_CYCLE_1) | instskip(SKIP_2) | instid1(SALU_CYCLE_1)
	s_mov_b32 s10, exec_lo
	v_readlane_b32 s12, v102, 17
	s_and_b32 s12, s10, s12
	;; [unrolled: 63-line block ×3, first 2 shown]
	s_xor_b32 s10, s12, s10
	s_mov_b32 exec_lo, s12
	s_cbranch_execz .LBB132_63
; %bb.56:                               ;   in Loop: Header=BB132_3 Depth=1
	s_mov_b32 s12, exec_lo
	v_readlane_b32 s50, v102, 26
	s_and_b32 s50, s12, s50
	s_delay_alu instid0(SALU_CYCLE_1)
	s_xor_b32 s12, s50, s12
	s_mov_b32 exec_lo, s50
	s_cbranch_execz .LBB132_60
; %bb.57:                               ;   in Loop: Header=BB132_3 Depth=1
	s_mov_b32 s50, exec_lo
	v_readlane_b32 s51, v100, 0
	s_and_b32 s51, s50, s51
	s_delay_alu instid0(SALU_CYCLE_1)
	s_mov_b32 exec_lo, s51
; %bb.58:                               ;   in Loop: Header=BB132_3 Depth=1
	ds_store_b64 v80, v[20:21]
; %bb.59:                               ;   in Loop: Header=BB132_3 Depth=1
	s_or_b32 exec_lo, exec_lo, s50
                                        ; implicit-def: $vgpr36_vgpr37
.LBB132_60:                             ;   in Loop: Header=BB132_3 Depth=1
	s_and_not1_saveexec_b32 s12, s12
	s_cbranch_execz .LBB132_62
; %bb.61:                               ;   in Loop: Header=BB132_3 Depth=1
	v_lshl_add_u64 v[36:37], v[16:17], 3, v[36:37]
	flat_load_b64 v[36:37], v[36:37]
	s_wait_loadcnt_dscnt 0x0
	v_div_scale_f64 v[38:39], null, v[36:37], v[36:37], 1.0
	s_delay_alu instid0(VALU_DEP_1) | instskip(SKIP_1) | instid1(TRANS32_DEP_1)
	v_rcp_f64_e32 v[40:41], v[38:39]
	v_nop
	v_fma_f64 v[94:95], -v[38:39], v[40:41], 1.0
	s_delay_alu instid0(VALU_DEP_1) | instskip(NEXT) | instid1(VALU_DEP_1)
	v_fmac_f64_e32 v[40:41], v[40:41], v[94:95]
	v_fma_f64 v[94:95], -v[38:39], v[40:41], 1.0
	s_delay_alu instid0(VALU_DEP_1) | instskip(SKIP_1) | instid1(VALU_DEP_1)
	v_fmac_f64_e32 v[40:41], v[40:41], v[94:95]
	v_div_scale_f64 v[94:95], vcc_lo, 1.0, v[36:37], 1.0
	v_mul_f64_e32 v[96:97], v[94:95], v[40:41]
	s_delay_alu instid0(VALU_DEP_1) | instskip(NEXT) | instid1(VALU_DEP_1)
	v_fma_f64 v[38:39], -v[38:39], v[96:97], v[94:95]
	v_div_fmas_f64 v[38:39], v[38:39], v[40:41], v[96:97]
	s_delay_alu instid0(VALU_DEP_1)
	v_div_fixup_f64 v[36:37], v[38:39], v[36:37], 1.0
	ds_store_b64 v80, v[36:37]
.LBB132_62:                             ;   in Loop: Header=BB132_3 Depth=1
	s_or_b32 exec_lo, exec_lo, s12
                                        ; implicit-def: $vgpr36_vgpr37
.LBB132_63:                             ;   in Loop: Header=BB132_3 Depth=1
	s_and_not1_saveexec_b32 s10, s10
	s_cbranch_execz .LBB132_65
; %bb.64:                               ;   in Loop: Header=BB132_3 Depth=1
	v_lshl_add_u64 v[36:37], v[16:17], 3, v[36:37]
	flat_load_b64 v[36:37], v[36:37]
	s_wait_loadcnt_dscnt 0x0
	v_xor_b32_e32 v37, 0x80000000, v37
	ds_store_b64 v80, v[36:37]
.LBB132_65:                             ;   in Loop: Header=BB132_3 Depth=1
	s_or_b32 exec_lo, exec_lo, s10
.LBB132_66:                             ;   in Loop: Header=BB132_3 Depth=1
	s_delay_alu instid0(SALU_CYCLE_1)
	s_and_not1_b32 vcc_lo, exec_lo, s90
	s_wait_loadcnt_dscnt 0x0
	s_barrier_signal -1
	s_barrier_wait -1
	s_cbranch_vccnz .LBB132_996
; %bb.67:                               ;   in Loop: Header=BB132_3 Depth=1
	s_and_saveexec_b32 s10, s14
	s_cbranch_execz .LBB132_69
; %bb.68:                               ;   in Loop: Header=BB132_3 Depth=1
	ds_load_b128 v[36:39], v5
	ds_load_b64 v[40:41], v5 offset:520
	s_wait_dscnt 0x0
	v_mul_f64_e32 v[36:37], v[36:37], v[40:41]
	s_delay_alu instid0(VALU_DEP_1)
	v_mul_f64_e32 v[36:37], v[38:39], v[36:37]
	ds_store_2addr_b64 v5, v[36:37], v[36:37] offset0:1 offset1:64
.LBB132_69:                             ;   in Loop: Header=BB132_3 Depth=1
	s_or_b32 exec_lo, exec_lo, s10
	v_mov_b64_e32 v[36:37], 0
	s_wait_dscnt 0x0
	s_barrier_signal -1
	s_barrier_wait -1
	s_and_saveexec_b32 s10, s1
	s_cbranch_execz .LBB132_73
; %bb.70:                               ;   in Loop: Header=BB132_3 Depth=1
	ds_load_b64 v[36:37], v43 offset:16
	ds_load_b64 v[38:39], v44
	s_wait_dscnt 0x0
	v_fma_f64 v[36:37], v[36:37], v[38:39], 0
	s_and_saveexec_b32 s12, s15
	s_cbranch_execz .LBB132_72
; %bb.71:                               ;   in Loop: Header=BB132_3 Depth=1
	ds_load_b64 v[38:39], v45 offset:528
	ds_load_b64 v[40:41], v5 offset:8
	s_wait_dscnt 0x0
	v_fmac_f64_e32 v[36:37], v[38:39], v[40:41]
.LBB132_72:                             ;   in Loop: Header=BB132_3 Depth=1
	s_or_b32 exec_lo, exec_lo, s12
	s_delay_alu instid0(VALU_DEP_1)
	v_xor_b32_e32 v37, 0x80000000, v37
.LBB132_73:                             ;   in Loop: Header=BB132_3 Depth=1
	s_or_b32 exec_lo, exec_lo, s10
	s_and_saveexec_b32 s10, s91
	s_cbranch_execz .LBB132_75
; %bb.74:                               ;   in Loop: Header=BB132_3 Depth=1
	ds_load_b64 v[38:39], v5 offset:1040
	s_wait_dscnt 0x0
	v_mul_f64_e32 v[36:37], v[36:37], v[38:39]
	ds_store_b64 v3, v[36:37]
.LBB132_75:                             ;   in Loop: Header=BB132_3 Depth=1
	s_or_b32 exec_lo, exec_lo, s10
	s_wait_dscnt 0x0
	s_barrier_signal -1
	s_barrier_wait -1
	s_and_saveexec_b32 s10, s92
	s_cbranch_execz .LBB132_77
; %bb.76:                               ;   in Loop: Header=BB132_3 Depth=1
	ds_load_b64 v[38:39], v5 offset:1048
	ds_load_b64 v[40:41], v3
	s_wait_dscnt 0x0
	v_fmac_f64_e32 v[36:37], v[38:39], v[40:41]
.LBB132_77:                             ;   in Loop: Header=BB132_3 Depth=1
	s_or_b32 exec_lo, exec_lo, s10
	s_barrier_signal -1
	s_barrier_wait -1
	s_and_saveexec_b32 s10, s92
	s_cbranch_execz .LBB132_79
; %bb.78:                               ;   in Loop: Header=BB132_3 Depth=1
	ds_load_b64 v[38:39], v5 offset:1560
	s_wait_dscnt 0x0
	v_mul_f64_e32 v[36:37], v[36:37], v[38:39]
	ds_store_b64 v3, v[36:37]
.LBB132_79:                             ;   in Loop: Header=BB132_3 Depth=1
	s_or_b32 exec_lo, exec_lo, s10
	s_wait_dscnt 0x0
	s_barrier_signal -1
	s_barrier_wait -1
	s_barrier_signal -1
	s_barrier_wait -1
	s_and_saveexec_b32 s10, s1
; %bb.80:                               ;   in Loop: Header=BB132_3 Depth=1
	s_delay_alu instid0(VALU_DEP_1)
	v_xor_b32_e32 v37, 0x80000000, v37
	ds_store_b64 v43, v[36:37] offset:16
; %bb.81:                               ;   in Loop: Header=BB132_3 Depth=1
	s_or_b32 exec_lo, exec_lo, s10
	s_wait_dscnt 0x0
	s_barrier_signal -1
	s_barrier_wait -1
	s_barrier_signal -1
	s_barrier_wait -1
	s_and_saveexec_b32 s10, s93
	s_cbranch_execz .LBB132_83
; %bb.82:                               ;   in Loop: Header=BB132_3 Depth=1
	ds_load_b64 v[36:37], v48 offset:16
	s_wait_dscnt 0x0
	ds_store_b64 v45, v[36:37] offset:1024
	ds_load_b64 v[36:37], v48 offset:24
	s_wait_dscnt 0x0
	ds_store_b64 v45, v[36:37] offset:1536
.LBB132_83:                             ;   in Loop: Header=BB132_3 Depth=1
	s_or_b32 exec_lo, exec_lo, s10
	s_wait_dscnt 0x0
	s_barrier_signal -1
	s_barrier_wait -1
	s_and_saveexec_b32 s10, s14
	s_cbranch_execz .LBB132_85
; %bb.84:                               ;   in Loop: Header=BB132_3 Depth=1
	ds_load_b128 v[36:39], v5 offset:1040
	ds_load_b64 v[40:41], v5 offset:1560
	s_wait_dscnt 0x0
	v_mul_f64_e32 v[36:37], v[36:37], v[40:41]
	s_delay_alu instid0(VALU_DEP_1)
	v_mul_f64_e32 v[36:37], v[38:39], v[36:37]
	ds_store_2addr_b64 v5, v[36:37], v[36:37] offset0:131 offset1:194
.LBB132_85:                             ;   in Loop: Header=BB132_3 Depth=1
	s_or_b32 exec_lo, exec_lo, s10
	v_mov_b64_e32 v[36:37], 0
	s_wait_dscnt 0x0
	s_barrier_signal -1
	s_barrier_wait -1
	s_and_saveexec_b32 s10, s3
	s_cbranch_execz .LBB132_91
; %bb.86:                               ;   in Loop: Header=BB132_3 Depth=1
	ds_load_b64 v[36:37], v50 offset:32
	ds_load_b64 v[38:39], v46
	s_wait_dscnt 0x0
	v_fma_f64 v[36:37], v[36:37], v[38:39], 0
	s_and_saveexec_b32 s12, s16
	s_cbranch_execnz .LBB132_1099
; %bb.87:                               ;   in Loop: Header=BB132_3 Depth=1
	s_or_b32 exec_lo, exec_lo, s12
	s_and_saveexec_b32 s12, s17
	s_cbranch_execnz .LBB132_1100
.LBB132_88:                             ;   in Loop: Header=BB132_3 Depth=1
	s_or_b32 exec_lo, exec_lo, s12
	s_and_saveexec_b32 s12, s1
	s_cbranch_execz .LBB132_90
.LBB132_89:                             ;   in Loop: Header=BB132_3 Depth=1
	ds_load_b64 v[38:39], v52 offset:1568
	ds_load_b64 v[40:41], v5 offset:24
	s_wait_dscnt 0x0
	v_fmac_f64_e32 v[36:37], v[38:39], v[40:41]
.LBB132_90:                             ;   in Loop: Header=BB132_3 Depth=1
	s_or_b32 exec_lo, exec_lo, s12
	s_delay_alu instid0(VALU_DEP_1)
	v_xor_b32_e32 v37, 0x80000000, v37
.LBB132_91:                             ;   in Loop: Header=BB132_3 Depth=1
	s_or_b32 exec_lo, exec_lo, s10
	s_and_saveexec_b32 s10, s94
	s_cbranch_execz .LBB132_93
; %bb.92:                               ;   in Loop: Header=BB132_3 Depth=1
	ds_load_b64 v[38:39], v5 offset:2080
	s_wait_dscnt 0x0
	v_mul_f64_e32 v[36:37], v[36:37], v[38:39]
	ds_store_b64 v49, v[36:37]
.LBB132_93:                             ;   in Loop: Header=BB132_3 Depth=1
	s_or_b32 exec_lo, exec_lo, s10
	s_wait_dscnt 0x0
	s_barrier_signal -1
	s_barrier_wait -1
	s_and_saveexec_b32 s10, s95
	s_cbranch_execz .LBB132_95
; %bb.94:                               ;   in Loop: Header=BB132_3 Depth=1
	ds_load_b64 v[38:39], v47 offset:2080
	ds_load_b64 v[40:41], v49
	s_wait_dscnt 0x0
	v_fmac_f64_e32 v[36:37], v[38:39], v[40:41]
.LBB132_95:                             ;   in Loop: Header=BB132_3 Depth=1
	s_or_b32 exec_lo, exec_lo, s10
	s_barrier_signal -1
	s_barrier_wait -1
	s_and_saveexec_b32 s10, s96
	s_cbranch_execz .LBB132_97
; %bb.96:                               ;   in Loop: Header=BB132_3 Depth=1
	ds_load_b64 v[38:39], v5 offset:2600
	s_wait_dscnt 0x0
	v_mul_f64_e32 v[36:37], v[36:37], v[38:39]
	ds_store_b64 v49, v[36:37]
.LBB132_97:                             ;   in Loop: Header=BB132_3 Depth=1
	s_or_b32 exec_lo, exec_lo, s10
	s_wait_dscnt 0x0
	s_barrier_signal -1
	s_barrier_wait -1
	s_and_saveexec_b32 s10, s97
	s_cbranch_execz .LBB132_99
; %bb.98:                               ;   in Loop: Header=BB132_3 Depth=1
	ds_load_b64 v[38:39], v47 offset:2592
	ds_load_b64 v[40:41], v49
	s_wait_dscnt 0x0
	v_fmac_f64_e32 v[36:37], v[38:39], v[40:41]
.LBB132_99:                             ;   in Loop: Header=BB132_3 Depth=1
	s_or_b32 exec_lo, exec_lo, s10
	s_barrier_signal -1
	s_barrier_wait -1
	s_and_saveexec_b32 s10, s98
	s_cbranch_execz .LBB132_101
; %bb.100:                              ;   in Loop: Header=BB132_3 Depth=1
	ds_load_b64 v[38:39], v5 offset:3120
	s_wait_dscnt 0x0
	v_mul_f64_e32 v[36:37], v[36:37], v[38:39]
	ds_store_b64 v49, v[36:37]
.LBB132_101:                            ;   in Loop: Header=BB132_3 Depth=1
	s_or_b32 exec_lo, exec_lo, s10
	s_wait_dscnt 0x0
	s_barrier_signal -1
	s_barrier_wait -1
	s_and_saveexec_b32 s10, s99
	s_cbranch_execz .LBB132_103
; %bb.102:                              ;   in Loop: Header=BB132_3 Depth=1
	ds_load_b64 v[38:39], v5 offset:3128
	ds_load_b64 v[40:41], v49
	s_wait_dscnt 0x0
	v_fmac_f64_e32 v[36:37], v[38:39], v[40:41]
.LBB132_103:                            ;   in Loop: Header=BB132_3 Depth=1
	s_or_b32 exec_lo, exec_lo, s10
	s_barrier_signal -1
	s_barrier_wait -1
	s_and_saveexec_b32 s10, s99
	s_cbranch_execz .LBB132_105
; %bb.104:                              ;   in Loop: Header=BB132_3 Depth=1
	ds_load_b64 v[38:39], v5 offset:3640
	s_wait_dscnt 0x0
	v_mul_f64_e32 v[36:37], v[36:37], v[38:39]
	ds_store_b64 v49, v[36:37]
.LBB132_105:                            ;   in Loop: Header=BB132_3 Depth=1
	s_or_b32 exec_lo, exec_lo, s10
	s_wait_dscnt 0x0
	s_barrier_signal -1
	s_barrier_wait -1
	s_barrier_signal -1
	s_barrier_wait -1
	s_and_saveexec_b32 s10, s3
; %bb.106:                              ;   in Loop: Header=BB132_3 Depth=1
	s_delay_alu instid0(VALU_DEP_1)
	v_xor_b32_e32 v37, 0x80000000, v37
	ds_store_b64 v50, v[36:37] offset:32
; %bb.107:                              ;   in Loop: Header=BB132_3 Depth=1
	s_or_b32 exec_lo, exec_lo, s10
	s_wait_dscnt 0x0
	s_barrier_signal -1
	s_barrier_wait -1
	s_barrier_signal -1
	s_barrier_wait -1
	s_and_saveexec_b32 s10, s100
	s_cbranch_execz .LBB132_109
; %bb.108:                              ;   in Loop: Header=BB132_3 Depth=1
	ds_load_b64 v[36:37], v53 offset:32
	s_wait_dscnt 0x0
	ds_store_b64 v54, v[36:37] offset:2048
	ds_load_b64 v[36:37], v53 offset:40
	s_wait_dscnt 0x0
	ds_store_b64 v54, v[36:37] offset:2560
	;; [unrolled: 3-line block ×4, first 2 shown]
.LBB132_109:                            ;   in Loop: Header=BB132_3 Depth=1
	s_or_b32 exec_lo, exec_lo, s10
	s_wait_dscnt 0x0
	s_barrier_signal -1
	s_barrier_wait -1
	s_and_saveexec_b32 s10, s14
	s_cbranch_execz .LBB132_111
; %bb.110:                              ;   in Loop: Header=BB132_3 Depth=1
	ds_load_b128 v[36:39], v5 offset:2080
	ds_load_b64 v[40:41], v5 offset:2600
	s_wait_dscnt 0x0
	v_mul_f64_e32 v[36:37], v[36:37], v[40:41]
	s_delay_alu instid0(VALU_DEP_1)
	v_mul_f64_e32 v[36:37], v[38:39], v[36:37]
	v_add_nc_u32_e64 v38, 0x800, 0
	ds_store_2addr_b64 v38, v[36:37], v[36:37] offset0:5 offset1:68
.LBB132_111:                            ;   in Loop: Header=BB132_3 Depth=1
	s_or_b32 exec_lo, exec_lo, s10
	v_mov_b64_e32 v[36:37], 0
	s_wait_dscnt 0x0
	s_barrier_signal -1
	s_barrier_wait -1
	s_and_saveexec_b32 s10, s1
	s_cbranch_execz .LBB132_115
; %bb.112:                              ;   in Loop: Header=BB132_3 Depth=1
	ds_load_b64 v[36:37], v43 offset:2096
	ds_load_b64 v[38:39], v44 offset:2080
	s_wait_dscnt 0x0
	v_fma_f64 v[36:37], v[36:37], v[38:39], 0
	s_and_saveexec_b32 s12, s15
	s_cbranch_execz .LBB132_114
; %bb.113:                              ;   in Loop: Header=BB132_3 Depth=1
	ds_load_b64 v[38:39], v54 offset:2608
	ds_load_b64 v[40:41], v5 offset:2088
	s_wait_dscnt 0x0
	v_fmac_f64_e32 v[36:37], v[38:39], v[40:41]
.LBB132_114:                            ;   in Loop: Header=BB132_3 Depth=1
	s_or_b32 exec_lo, exec_lo, s12
	s_delay_alu instid0(VALU_DEP_1)
	v_xor_b32_e32 v37, 0x80000000, v37
.LBB132_115:                            ;   in Loop: Header=BB132_3 Depth=1
	s_or_b32 exec_lo, exec_lo, s10
	s_and_saveexec_b32 s10, s91
	s_cbranch_execz .LBB132_117
; %bb.116:                              ;   in Loop: Header=BB132_3 Depth=1
	ds_load_b64 v[38:39], v5 offset:3120
	s_wait_dscnt 0x0
	v_mul_f64_e32 v[36:37], v[36:37], v[38:39]
	ds_store_b64 v3, v[36:37]
.LBB132_117:                            ;   in Loop: Header=BB132_3 Depth=1
	s_or_b32 exec_lo, exec_lo, s10
	s_wait_dscnt 0x0
	s_barrier_signal -1
	s_barrier_wait -1
	s_and_saveexec_b32 s10, s92
	s_cbranch_execz .LBB132_119
; %bb.118:                              ;   in Loop: Header=BB132_3 Depth=1
	ds_load_b64 v[38:39], v5 offset:3128
	ds_load_b64 v[40:41], v3
	s_wait_dscnt 0x0
	v_fmac_f64_e32 v[36:37], v[38:39], v[40:41]
.LBB132_119:                            ;   in Loop: Header=BB132_3 Depth=1
	s_or_b32 exec_lo, exec_lo, s10
	s_barrier_signal -1
	s_barrier_wait -1
	s_and_saveexec_b32 s10, s92
	s_cbranch_execz .LBB132_121
; %bb.120:                              ;   in Loop: Header=BB132_3 Depth=1
	ds_load_b64 v[38:39], v5 offset:3640
	s_wait_dscnt 0x0
	v_mul_f64_e32 v[36:37], v[36:37], v[38:39]
	ds_store_b64 v3, v[36:37]
.LBB132_121:                            ;   in Loop: Header=BB132_3 Depth=1
	s_or_b32 exec_lo, exec_lo, s10
	s_wait_dscnt 0x0
	s_barrier_signal -1
	s_barrier_wait -1
	s_barrier_signal -1
	s_barrier_wait -1
	s_and_saveexec_b32 s10, s1
; %bb.122:                              ;   in Loop: Header=BB132_3 Depth=1
	s_delay_alu instid0(VALU_DEP_1)
	v_xor_b32_e32 v37, 0x80000000, v37
	ds_store_b64 v43, v[36:37] offset:2096
; %bb.123:                              ;   in Loop: Header=BB132_3 Depth=1
	s_or_b32 exec_lo, exec_lo, s10
	s_wait_dscnt 0x0
	s_barrier_signal -1
	s_barrier_wait -1
	s_barrier_signal -1
	s_barrier_wait -1
	s_and_saveexec_b32 s10, s93
	s_cbranch_execz .LBB132_125
; %bb.124:                              ;   in Loop: Header=BB132_3 Depth=1
	ds_load_b64 v[36:37], v57 offset:2096
	s_wait_dscnt 0x0
	ds_store_b64 v54, v[36:37] offset:3104
	ds_load_b64 v[36:37], v57 offset:2104
	s_wait_dscnt 0x0
	ds_store_b64 v54, v[36:37] offset:3616
.LBB132_125:                            ;   in Loop: Header=BB132_3 Depth=1
	s_or_b32 exec_lo, exec_lo, s10
	s_wait_dscnt 0x0
	s_barrier_signal -1
	s_barrier_wait -1
	s_and_saveexec_b32 s10, s14
	s_cbranch_execz .LBB132_127
; %bb.126:                              ;   in Loop: Header=BB132_3 Depth=1
	ds_load_b128 v[36:39], v5 offset:3120
	ds_load_b64 v[40:41], v5 offset:3640
	s_wait_dscnt 0x0
	v_mul_f64_e32 v[36:37], v[36:37], v[40:41]
	s_delay_alu instid0(VALU_DEP_1)
	v_mul_f64_e32 v[36:37], v[38:39], v[36:37]
	v_add_nc_u32_e64 v38, 0x800, 0
	ds_store_2addr_b64 v38, v[36:37], v[36:37] offset0:135 offset1:198
.LBB132_127:                            ;   in Loop: Header=BB132_3 Depth=1
	s_or_b32 exec_lo, exec_lo, s10
	v_mov_b64_e32 v[36:37], 0
	s_wait_dscnt 0x0
	s_barrier_signal -1
	s_barrier_wait -1
	s_and_saveexec_b32 s10, s4
	s_cbranch_execz .LBB132_137
; %bb.128:                              ;   in Loop: Header=BB132_3 Depth=1
	ds_load_b64 v[36:37], v59 offset:64
	ds_load_b64 v[38:39], v55
	s_wait_dscnt 0x0
	v_fma_f64 v[36:37], v[36:37], v[38:39], 0
	s_and_saveexec_b32 s12, s18
	s_cbranch_execnz .LBB132_1101
; %bb.129:                              ;   in Loop: Header=BB132_3 Depth=1
	s_or_b32 exec_lo, exec_lo, s12
	s_and_saveexec_b32 s12, s19
	s_cbranch_execnz .LBB132_1102
.LBB132_130:                            ;   in Loop: Header=BB132_3 Depth=1
	s_or_b32 exec_lo, exec_lo, s12
	s_and_saveexec_b32 s12, s20
	s_cbranch_execnz .LBB132_1103
.LBB132_131:                            ;   in Loop: Header=BB132_3 Depth=1
	s_or_b32 exec_lo, exec_lo, s12
	s_and_saveexec_b32 s12, s21
	s_cbranch_execnz .LBB132_1104
.LBB132_132:                            ;   in Loop: Header=BB132_3 Depth=1
	s_or_b32 exec_lo, exec_lo, s12
	s_and_saveexec_b32 s12, s22
	s_cbranch_execnz .LBB132_1105
.LBB132_133:                            ;   in Loop: Header=BB132_3 Depth=1
	s_or_b32 exec_lo, exec_lo, s12
	s_and_saveexec_b32 s12, s3
	s_cbranch_execnz .LBB132_1106
.LBB132_134:                            ;   in Loop: Header=BB132_3 Depth=1
	s_or_b32 exec_lo, exec_lo, s12
	s_and_saveexec_b32 s12, s17
	s_cbranch_execz .LBB132_136
.LBB132_135:                            ;   in Loop: Header=BB132_3 Depth=1
	ds_load_b64 v[38:39], v61 offset:3648
	ds_load_b64 v[40:41], v5 offset:56
	s_wait_dscnt 0x0
	v_fmac_f64_e32 v[36:37], v[38:39], v[40:41]
.LBB132_136:                            ;   in Loop: Header=BB132_3 Depth=1
	s_or_b32 exec_lo, exec_lo, s12
	s_delay_alu instid0(VALU_DEP_1)
	v_xor_b32_e32 v37, 0x80000000, v37
.LBB132_137:                            ;   in Loop: Header=BB132_3 Depth=1
	s_or_b32 exec_lo, exec_lo, s10
	s_and_saveexec_b32 s10, s101
	s_cbranch_execz .LBB132_139
; %bb.138:                              ;   in Loop: Header=BB132_3 Depth=1
	ds_load_b64 v[38:39], v5 offset:4160
	s_wait_dscnt 0x0
	v_mul_f64_e32 v[36:37], v[36:37], v[38:39]
	ds_store_b64 v58, v[36:37]
.LBB132_139:                            ;   in Loop: Header=BB132_3 Depth=1
	s_or_b32 exec_lo, exec_lo, s10
	s_wait_dscnt 0x0
	s_barrier_signal -1
	s_barrier_wait -1
	s_and_saveexec_b32 s10, s102
	s_cbranch_execz .LBB132_141
; %bb.140:                              ;   in Loop: Header=BB132_3 Depth=1
	ds_load_b64 v[38:39], v56 offset:4160
	ds_load_b64 v[40:41], v58
	s_wait_dscnt 0x0
	v_fmac_f64_e32 v[36:37], v[38:39], v[40:41]
.LBB132_141:                            ;   in Loop: Header=BB132_3 Depth=1
	s_or_b32 exec_lo, exec_lo, s10
	s_barrier_signal -1
	s_barrier_wait -1
	s_and_saveexec_b32 s10, s103
	s_cbranch_execz .LBB132_143
; %bb.142:                              ;   in Loop: Header=BB132_3 Depth=1
	ds_load_b64 v[38:39], v5 offset:4680
	s_wait_dscnt 0x0
	v_mul_f64_e32 v[36:37], v[36:37], v[38:39]
	ds_store_b64 v58, v[36:37]
.LBB132_143:                            ;   in Loop: Header=BB132_3 Depth=1
	s_or_b32 exec_lo, exec_lo, s10
	s_wait_dscnt 0x0
	s_barrier_signal -1
	s_barrier_wait -1
	s_and_saveexec_b32 s10, s104
	s_cbranch_execz .LBB132_145
; %bb.144:                              ;   in Loop: Header=BB132_3 Depth=1
	ds_load_b64 v[38:39], v56 offset:4672
	ds_load_b64 v[40:41], v58
	s_wait_dscnt 0x0
	v_fmac_f64_e32 v[36:37], v[38:39], v[40:41]
.LBB132_145:                            ;   in Loop: Header=BB132_3 Depth=1
	s_or_b32 exec_lo, exec_lo, s10
	s_barrier_signal -1
	s_barrier_wait -1
	s_and_saveexec_b32 s10, vcc_hi
	s_cbranch_execz .LBB132_147
; %bb.146:                              ;   in Loop: Header=BB132_3 Depth=1
	ds_load_b64 v[38:39], v5 offset:5200
	s_wait_dscnt 0x0
	v_mul_f64_e32 v[36:37], v[36:37], v[38:39]
	ds_store_b64 v58, v[36:37]
.LBB132_147:                            ;   in Loop: Header=BB132_3 Depth=1
	s_or_b32 exec_lo, exec_lo, s10
	s_wait_dscnt 0x0
	s_barrier_signal -1
	s_barrier_wait -1
	s_and_saveexec_b32 s10, s36
	s_cbranch_execz .LBB132_149
; %bb.148:                              ;   in Loop: Header=BB132_3 Depth=1
	ds_load_b64 v[38:39], v56 offset:5184
	ds_load_b64 v[40:41], v58
	s_wait_dscnt 0x0
	v_fmac_f64_e32 v[36:37], v[38:39], v[40:41]
.LBB132_149:                            ;   in Loop: Header=BB132_3 Depth=1
	s_or_b32 exec_lo, exec_lo, s10
	s_barrier_signal -1
	s_barrier_wait -1
	s_and_saveexec_b32 s10, s37
	s_cbranch_execz .LBB132_151
; %bb.150:                              ;   in Loop: Header=BB132_3 Depth=1
	ds_load_b64 v[38:39], v5 offset:5720
	s_wait_dscnt 0x0
	v_mul_f64_e32 v[36:37], v[36:37], v[38:39]
	ds_store_b64 v58, v[36:37]
.LBB132_151:                            ;   in Loop: Header=BB132_3 Depth=1
	s_or_b32 exec_lo, exec_lo, s10
	s_wait_dscnt 0x0
	s_barrier_signal -1
	s_barrier_wait -1
	s_and_saveexec_b32 s10, s38
	s_cbranch_execz .LBB132_153
; %bb.152:                              ;   in Loop: Header=BB132_3 Depth=1
	ds_load_b64 v[38:39], v56 offset:5696
	ds_load_b64 v[40:41], v58
	s_wait_dscnt 0x0
	v_fmac_f64_e32 v[36:37], v[38:39], v[40:41]
.LBB132_153:                            ;   in Loop: Header=BB132_3 Depth=1
	s_or_b32 exec_lo, exec_lo, s10
	s_barrier_signal -1
	s_barrier_wait -1
	s_and_saveexec_b32 s10, s39
	;; [unrolled: 23-line block ×5, first 2 shown]
	s_cbranch_execz .LBB132_167
; %bb.166:                              ;   in Loop: Header=BB132_3 Depth=1
	ds_load_b64 v[38:39], v5 offset:7800
	s_wait_dscnt 0x0
	v_mul_f64_e32 v[36:37], v[36:37], v[38:39]
	ds_store_b64 v58, v[36:37]
.LBB132_167:                            ;   in Loop: Header=BB132_3 Depth=1
	s_or_b32 exec_lo, exec_lo, s10
	s_wait_dscnt 0x0
	s_barrier_signal -1
	s_barrier_wait -1
	s_barrier_signal -1
	s_barrier_wait -1
	s_and_saveexec_b32 s10, s4
; %bb.168:                              ;   in Loop: Header=BB132_3 Depth=1
	s_delay_alu instid0(VALU_DEP_1)
	v_xor_b32_e32 v37, 0x80000000, v37
	ds_store_b64 v59, v[36:37] offset:64
; %bb.169:                              ;   in Loop: Header=BB132_3 Depth=1
	s_or_b32 exec_lo, exec_lo, s10
	s_wait_dscnt 0x0
	s_barrier_signal -1
	s_barrier_wait -1
	s_barrier_signal -1
	s_barrier_wait -1
	s_and_saveexec_b32 s10, s45
	s_cbranch_execz .LBB132_171
; %bb.170:                              ;   in Loop: Header=BB132_3 Depth=1
	ds_load_b64 v[36:37], v63 offset:64
	s_wait_dscnt 0x0
	ds_store_b64 v71, v[36:37] offset:4096
	ds_load_b64 v[36:37], v63 offset:72
	s_wait_dscnt 0x0
	ds_store_b64 v71, v[36:37] offset:4608
	;; [unrolled: 3-line block ×8, first 2 shown]
.LBB132_171:                            ;   in Loop: Header=BB132_3 Depth=1
	s_or_b32 exec_lo, exec_lo, s10
	s_wait_dscnt 0x0
	s_barrier_signal -1
	s_barrier_wait -1
	s_and_saveexec_b32 s10, s14
	s_cbranch_execz .LBB132_173
; %bb.172:                              ;   in Loop: Header=BB132_3 Depth=1
	ds_load_b128 v[36:39], v5 offset:4160
	ds_load_b64 v[40:41], v5 offset:4680
	s_wait_dscnt 0x0
	v_mul_f64_e32 v[36:37], v[36:37], v[40:41]
	s_delay_alu instid0(VALU_DEP_1)
	v_mul_f64_e32 v[36:37], v[38:39], v[36:37]
	v_add_nc_u32_e64 v38, 0x1000, 0
	ds_store_2addr_b64 v38, v[36:37], v[36:37] offset0:9 offset1:72
.LBB132_173:                            ;   in Loop: Header=BB132_3 Depth=1
	s_or_b32 exec_lo, exec_lo, s10
	v_mov_b64_e32 v[36:37], 0
	s_wait_dscnt 0x0
	s_barrier_signal -1
	s_barrier_wait -1
	s_and_saveexec_b32 s10, s1
	s_cbranch_execz .LBB132_177
; %bb.174:                              ;   in Loop: Header=BB132_3 Depth=1
	ds_load_b64 v[36:37], v43 offset:4176
	ds_load_b64 v[38:39], v44 offset:4160
	s_wait_dscnt 0x0
	v_fma_f64 v[36:37], v[36:37], v[38:39], 0
	s_and_saveexec_b32 s12, s15
	s_cbranch_execz .LBB132_176
; %bb.175:                              ;   in Loop: Header=BB132_3 Depth=1
	ds_load_b64 v[38:39], v71 offset:4688
	ds_load_b64 v[40:41], v5 offset:4168
	s_wait_dscnt 0x0
	v_fmac_f64_e32 v[36:37], v[38:39], v[40:41]
.LBB132_176:                            ;   in Loop: Header=BB132_3 Depth=1
	s_or_b32 exec_lo, exec_lo, s12
	s_delay_alu instid0(VALU_DEP_1)
	v_xor_b32_e32 v37, 0x80000000, v37
.LBB132_177:                            ;   in Loop: Header=BB132_3 Depth=1
	s_or_b32 exec_lo, exec_lo, s10
	s_and_saveexec_b32 s10, s91
	s_cbranch_execz .LBB132_179
; %bb.178:                              ;   in Loop: Header=BB132_3 Depth=1
	ds_load_b64 v[38:39], v5 offset:5200
	s_wait_dscnt 0x0
	v_mul_f64_e32 v[36:37], v[36:37], v[38:39]
	ds_store_b64 v3, v[36:37]
.LBB132_179:                            ;   in Loop: Header=BB132_3 Depth=1
	s_or_b32 exec_lo, exec_lo, s10
	s_wait_dscnt 0x0
	s_barrier_signal -1
	s_barrier_wait -1
	s_and_saveexec_b32 s10, s92
	s_cbranch_execz .LBB132_181
; %bb.180:                              ;   in Loop: Header=BB132_3 Depth=1
	ds_load_b64 v[38:39], v5 offset:5208
	ds_load_b64 v[40:41], v3
	s_wait_dscnt 0x0
	v_fmac_f64_e32 v[36:37], v[38:39], v[40:41]
.LBB132_181:                            ;   in Loop: Header=BB132_3 Depth=1
	s_or_b32 exec_lo, exec_lo, s10
	s_barrier_signal -1
	s_barrier_wait -1
	s_and_saveexec_b32 s10, s92
	s_cbranch_execz .LBB132_183
; %bb.182:                              ;   in Loop: Header=BB132_3 Depth=1
	ds_load_b64 v[38:39], v5 offset:5720
	s_wait_dscnt 0x0
	v_mul_f64_e32 v[36:37], v[36:37], v[38:39]
	ds_store_b64 v3, v[36:37]
.LBB132_183:                            ;   in Loop: Header=BB132_3 Depth=1
	s_or_b32 exec_lo, exec_lo, s10
	s_wait_dscnt 0x0
	s_barrier_signal -1
	s_barrier_wait -1
	s_barrier_signal -1
	s_barrier_wait -1
	s_and_saveexec_b32 s10, s1
; %bb.184:                              ;   in Loop: Header=BB132_3 Depth=1
	s_delay_alu instid0(VALU_DEP_1)
	v_xor_b32_e32 v37, 0x80000000, v37
	ds_store_b64 v43, v[36:37] offset:4176
; %bb.185:                              ;   in Loop: Header=BB132_3 Depth=1
	s_or_b32 exec_lo, exec_lo, s10
	s_wait_dscnt 0x0
	s_barrier_signal -1
	s_barrier_wait -1
	s_barrier_signal -1
	s_barrier_wait -1
	s_and_saveexec_b32 s10, s93
	s_cbranch_execz .LBB132_187
; %bb.186:                              ;   in Loop: Header=BB132_3 Depth=1
	ds_load_b64 v[36:37], v72 offset:4176
	s_wait_dscnt 0x0
	ds_store_b64 v71, v[36:37] offset:5184
	ds_load_b64 v[36:37], v72 offset:4184
	s_wait_dscnt 0x0
	ds_store_b64 v71, v[36:37] offset:5696
.LBB132_187:                            ;   in Loop: Header=BB132_3 Depth=1
	s_or_b32 exec_lo, exec_lo, s10
	s_wait_dscnt 0x0
	s_barrier_signal -1
	s_barrier_wait -1
	s_and_saveexec_b32 s10, s14
	s_cbranch_execz .LBB132_189
; %bb.188:                              ;   in Loop: Header=BB132_3 Depth=1
	ds_load_b128 v[36:39], v5 offset:5200
	ds_load_b64 v[40:41], v5 offset:5720
	s_wait_dscnt 0x0
	v_mul_f64_e32 v[36:37], v[36:37], v[40:41]
	s_delay_alu instid0(VALU_DEP_1)
	v_mul_f64_e32 v[36:37], v[38:39], v[36:37]
	v_add_nc_u32_e64 v38, 0x1000, 0
	ds_store_2addr_b64 v38, v[36:37], v[36:37] offset0:139 offset1:202
.LBB132_189:                            ;   in Loop: Header=BB132_3 Depth=1
	s_or_b32 exec_lo, exec_lo, s10
	v_mov_b64_e32 v[36:37], 0
	s_wait_dscnt 0x0
	s_barrier_signal -1
	s_barrier_wait -1
	s_and_saveexec_b32 s10, s3
	s_cbranch_execz .LBB132_195
; %bb.190:                              ;   in Loop: Header=BB132_3 Depth=1
	ds_load_b64 v[36:37], v50 offset:4192
	ds_load_b64 v[38:39], v46 offset:4160
	s_wait_dscnt 0x0
	v_fma_f64 v[36:37], v[36:37], v[38:39], 0
	s_and_saveexec_b32 s12, s16
	s_cbranch_execnz .LBB132_1107
; %bb.191:                              ;   in Loop: Header=BB132_3 Depth=1
	s_or_b32 exec_lo, exec_lo, s12
	s_and_saveexec_b32 s12, s17
	s_cbranch_execnz .LBB132_1108
.LBB132_192:                            ;   in Loop: Header=BB132_3 Depth=1
	s_or_b32 exec_lo, exec_lo, s12
	s_and_saveexec_b32 s12, s1
	s_cbranch_execz .LBB132_194
.LBB132_193:                            ;   in Loop: Header=BB132_3 Depth=1
	ds_load_b64 v[38:39], v73 offset:5728
	ds_load_b64 v[40:41], v5 offset:4184
	s_wait_dscnt 0x0
	v_fmac_f64_e32 v[36:37], v[38:39], v[40:41]
.LBB132_194:                            ;   in Loop: Header=BB132_3 Depth=1
	s_or_b32 exec_lo, exec_lo, s12
	s_delay_alu instid0(VALU_DEP_1)
	v_xor_b32_e32 v37, 0x80000000, v37
.LBB132_195:                            ;   in Loop: Header=BB132_3 Depth=1
	s_or_b32 exec_lo, exec_lo, s10
	s_and_saveexec_b32 s10, s94
	s_cbranch_execz .LBB132_197
; %bb.196:                              ;   in Loop: Header=BB132_3 Depth=1
	ds_load_b64 v[38:39], v5 offset:6240
	s_wait_dscnt 0x0
	v_mul_f64_e32 v[36:37], v[36:37], v[38:39]
	ds_store_b64 v49, v[36:37]
.LBB132_197:                            ;   in Loop: Header=BB132_3 Depth=1
	s_or_b32 exec_lo, exec_lo, s10
	s_wait_dscnt 0x0
	s_barrier_signal -1
	s_barrier_wait -1
	s_and_saveexec_b32 s10, s95
	s_cbranch_execz .LBB132_199
; %bb.198:                              ;   in Loop: Header=BB132_3 Depth=1
	ds_load_b64 v[38:39], v47 offset:6240
	ds_load_b64 v[40:41], v49
	s_wait_dscnt 0x0
	v_fmac_f64_e32 v[36:37], v[38:39], v[40:41]
.LBB132_199:                            ;   in Loop: Header=BB132_3 Depth=1
	s_or_b32 exec_lo, exec_lo, s10
	s_barrier_signal -1
	s_barrier_wait -1
	s_and_saveexec_b32 s10, s96
	s_cbranch_execz .LBB132_201
; %bb.200:                              ;   in Loop: Header=BB132_3 Depth=1
	ds_load_b64 v[38:39], v5 offset:6760
	s_wait_dscnt 0x0
	v_mul_f64_e32 v[36:37], v[36:37], v[38:39]
	ds_store_b64 v49, v[36:37]
.LBB132_201:                            ;   in Loop: Header=BB132_3 Depth=1
	s_or_b32 exec_lo, exec_lo, s10
	s_wait_dscnt 0x0
	s_barrier_signal -1
	s_barrier_wait -1
	s_and_saveexec_b32 s10, s97
	s_cbranch_execz .LBB132_203
; %bb.202:                              ;   in Loop: Header=BB132_3 Depth=1
	ds_load_b64 v[38:39], v47 offset:6752
	ds_load_b64 v[40:41], v49
	s_wait_dscnt 0x0
	v_fmac_f64_e32 v[36:37], v[38:39], v[40:41]
.LBB132_203:                            ;   in Loop: Header=BB132_3 Depth=1
	s_or_b32 exec_lo, exec_lo, s10
	s_barrier_signal -1
	s_barrier_wait -1
	s_and_saveexec_b32 s10, s98
	s_cbranch_execz .LBB132_205
; %bb.204:                              ;   in Loop: Header=BB132_3 Depth=1
	ds_load_b64 v[38:39], v5 offset:7280
	s_wait_dscnt 0x0
	v_mul_f64_e32 v[36:37], v[36:37], v[38:39]
	ds_store_b64 v49, v[36:37]
.LBB132_205:                            ;   in Loop: Header=BB132_3 Depth=1
	s_or_b32 exec_lo, exec_lo, s10
	s_wait_dscnt 0x0
	s_barrier_signal -1
	s_barrier_wait -1
	s_and_saveexec_b32 s10, s99
	s_cbranch_execz .LBB132_207
; %bb.206:                              ;   in Loop: Header=BB132_3 Depth=1
	ds_load_b64 v[38:39], v5 offset:7288
	ds_load_b64 v[40:41], v49
	s_wait_dscnt 0x0
	v_fmac_f64_e32 v[36:37], v[38:39], v[40:41]
.LBB132_207:                            ;   in Loop: Header=BB132_3 Depth=1
	s_or_b32 exec_lo, exec_lo, s10
	s_barrier_signal -1
	s_barrier_wait -1
	s_and_saveexec_b32 s10, s99
	s_cbranch_execz .LBB132_209
; %bb.208:                              ;   in Loop: Header=BB132_3 Depth=1
	ds_load_b64 v[38:39], v5 offset:7800
	s_wait_dscnt 0x0
	v_mul_f64_e32 v[36:37], v[36:37], v[38:39]
	ds_store_b64 v49, v[36:37]
.LBB132_209:                            ;   in Loop: Header=BB132_3 Depth=1
	s_or_b32 exec_lo, exec_lo, s10
	s_wait_dscnt 0x0
	s_barrier_signal -1
	s_barrier_wait -1
	s_barrier_signal -1
	s_barrier_wait -1
	s_and_saveexec_b32 s10, s3
; %bb.210:                              ;   in Loop: Header=BB132_3 Depth=1
	s_delay_alu instid0(VALU_DEP_1)
	v_xor_b32_e32 v37, 0x80000000, v37
	ds_store_b64 v50, v[36:37] offset:4192
; %bb.211:                              ;   in Loop: Header=BB132_3 Depth=1
	s_or_b32 exec_lo, exec_lo, s10
	s_wait_dscnt 0x0
	s_barrier_signal -1
	s_barrier_wait -1
	s_barrier_signal -1
	s_barrier_wait -1
	s_and_saveexec_b32 s10, s100
	s_cbranch_execz .LBB132_213
; %bb.212:                              ;   in Loop: Header=BB132_3 Depth=1
	ds_load_b64 v[36:37], v74 offset:4192
	s_wait_dscnt 0x0
	ds_store_b64 v77, v[36:37] offset:6208
	ds_load_b64 v[36:37], v74 offset:4200
	s_wait_dscnt 0x0
	ds_store_b64 v77, v[36:37] offset:6720
	;; [unrolled: 3-line block ×4, first 2 shown]
.LBB132_213:                            ;   in Loop: Header=BB132_3 Depth=1
	s_or_b32 exec_lo, exec_lo, s10
	s_wait_dscnt 0x0
	s_barrier_signal -1
	s_barrier_wait -1
	s_and_saveexec_b32 s10, s14
	s_cbranch_execz .LBB132_215
; %bb.214:                              ;   in Loop: Header=BB132_3 Depth=1
	ds_load_b128 v[36:39], v5 offset:6240
	ds_load_b64 v[40:41], v5 offset:6760
	s_wait_dscnt 0x0
	v_mul_f64_e32 v[36:37], v[36:37], v[40:41]
	s_delay_alu instid0(VALU_DEP_1)
	v_mul_f64_e32 v[36:37], v[38:39], v[36:37]
	v_add_nc_u32_e64 v38, 0x1800, 0
	ds_store_2addr_b64 v38, v[36:37], v[36:37] offset0:13 offset1:76
.LBB132_215:                            ;   in Loop: Header=BB132_3 Depth=1
	s_or_b32 exec_lo, exec_lo, s10
	v_mov_b64_e32 v[36:37], 0
	s_wait_dscnt 0x0
	s_barrier_signal -1
	s_barrier_wait -1
	s_and_saveexec_b32 s10, s1
	s_cbranch_execz .LBB132_219
; %bb.216:                              ;   in Loop: Header=BB132_3 Depth=1
	ds_load_b64 v[36:37], v43 offset:6256
	ds_load_b64 v[38:39], v44 offset:6240
	s_wait_dscnt 0x0
	v_fma_f64 v[36:37], v[36:37], v[38:39], 0
	s_and_saveexec_b32 s12, s15
	s_cbranch_execz .LBB132_218
; %bb.217:                              ;   in Loop: Header=BB132_3 Depth=1
	ds_load_b64 v[38:39], v77 offset:6768
	ds_load_b64 v[40:41], v5 offset:6248
	s_wait_dscnt 0x0
	v_fmac_f64_e32 v[36:37], v[38:39], v[40:41]
.LBB132_218:                            ;   in Loop: Header=BB132_3 Depth=1
	s_or_b32 exec_lo, exec_lo, s12
	s_delay_alu instid0(VALU_DEP_1)
	v_xor_b32_e32 v37, 0x80000000, v37
.LBB132_219:                            ;   in Loop: Header=BB132_3 Depth=1
	s_or_b32 exec_lo, exec_lo, s10
	s_and_saveexec_b32 s10, s91
	s_cbranch_execz .LBB132_221
; %bb.220:                              ;   in Loop: Header=BB132_3 Depth=1
	ds_load_b64 v[38:39], v5 offset:7280
	s_wait_dscnt 0x0
	v_mul_f64_e32 v[36:37], v[36:37], v[38:39]
	ds_store_b64 v3, v[36:37]
.LBB132_221:                            ;   in Loop: Header=BB132_3 Depth=1
	s_or_b32 exec_lo, exec_lo, s10
	s_wait_dscnt 0x0
	s_barrier_signal -1
	s_barrier_wait -1
	s_and_saveexec_b32 s10, s92
	s_cbranch_execz .LBB132_223
; %bb.222:                              ;   in Loop: Header=BB132_3 Depth=1
	ds_load_b64 v[38:39], v5 offset:7288
	ds_load_b64 v[40:41], v3
	s_wait_dscnt 0x0
	v_fmac_f64_e32 v[36:37], v[38:39], v[40:41]
.LBB132_223:                            ;   in Loop: Header=BB132_3 Depth=1
	s_or_b32 exec_lo, exec_lo, s10
	s_barrier_signal -1
	s_barrier_wait -1
	s_and_saveexec_b32 s10, s92
	s_cbranch_execz .LBB132_225
; %bb.224:                              ;   in Loop: Header=BB132_3 Depth=1
	ds_load_b64 v[38:39], v5 offset:7800
	s_wait_dscnt 0x0
	v_mul_f64_e32 v[36:37], v[36:37], v[38:39]
	ds_store_b64 v3, v[36:37]
.LBB132_225:                            ;   in Loop: Header=BB132_3 Depth=1
	s_or_b32 exec_lo, exec_lo, s10
	s_wait_dscnt 0x0
	s_barrier_signal -1
	s_barrier_wait -1
	s_barrier_signal -1
	s_barrier_wait -1
	s_and_saveexec_b32 s10, s1
; %bb.226:                              ;   in Loop: Header=BB132_3 Depth=1
	s_delay_alu instid0(VALU_DEP_1)
	v_xor_b32_e32 v37, 0x80000000, v37
	ds_store_b64 v43, v[36:37] offset:6256
; %bb.227:                              ;   in Loop: Header=BB132_3 Depth=1
	s_or_b32 exec_lo, exec_lo, s10
	s_wait_dscnt 0x0
	s_barrier_signal -1
	s_barrier_wait -1
	s_barrier_signal -1
	s_barrier_wait -1
	s_and_saveexec_b32 s10, s93
	s_cbranch_execz .LBB132_229
; %bb.228:                              ;   in Loop: Header=BB132_3 Depth=1
	ds_load_b64 v[36:37], v79 offset:6256
	s_wait_dscnt 0x0
	ds_store_b64 v77, v[36:37] offset:7264
	ds_load_b64 v[36:37], v79 offset:6264
	s_wait_dscnt 0x0
	ds_store_b64 v77, v[36:37] offset:7776
.LBB132_229:                            ;   in Loop: Header=BB132_3 Depth=1
	s_or_b32 exec_lo, exec_lo, s10
	s_wait_dscnt 0x0
	s_barrier_signal -1
	s_barrier_wait -1
	s_and_saveexec_b32 s10, s14
	s_cbranch_execz .LBB132_231
; %bb.230:                              ;   in Loop: Header=BB132_3 Depth=1
	ds_load_b128 v[36:39], v5 offset:7280
	ds_load_b64 v[40:41], v5 offset:7800
	s_wait_dscnt 0x0
	v_mul_f64_e32 v[36:37], v[36:37], v[40:41]
	s_delay_alu instid0(VALU_DEP_1)
	v_mul_f64_e32 v[36:37], v[38:39], v[36:37]
	v_add_nc_u32_e64 v38, 0x1800, 0
	ds_store_2addr_b64 v38, v[36:37], v[36:37] offset0:143 offset1:206
.LBB132_231:                            ;   in Loop: Header=BB132_3 Depth=1
	s_or_b32 exec_lo, exec_lo, s10
	v_mov_b64_e32 v[36:37], 0
	s_wait_dscnt 0x0
	s_barrier_signal -1
	s_barrier_wait -1
	s_and_saveexec_b32 s84, s5
	s_cbranch_execz .LBB132_259
; %bb.232:                              ;   in Loop: Header=BB132_3 Depth=1
	ds_load_b64 v[36:37], v66 offset:128
	ds_load_b64 v[38:39], v62
	s_wait_dscnt 0x0
	v_fma_f64 v[36:37], v[36:37], v[38:39], 0
	s_mov_b32 s10, exec_lo
	v_readlane_b32 s12, v102, 27
	s_and_b32 s12, s10, s12
	s_delay_alu instid0(SALU_CYCLE_1)
	s_mov_b32 exec_lo, s12
	s_cbranch_execz .LBB132_234
; %bb.233:                              ;   in Loop: Header=BB132_3 Depth=1
	ds_load_b64 v[38:39], v67 offset:640
	ds_load_b64 v[40:41], v62 offset:8
	s_wait_dscnt 0x0
	v_fmac_f64_e32 v[36:37], v[38:39], v[40:41]
.LBB132_234:                            ;   in Loop: Header=BB132_3 Depth=1
	s_or_b32 exec_lo, exec_lo, s10
	s_delay_alu instid0(SALU_CYCLE_1) | instskip(SKIP_2) | instid1(SALU_CYCLE_1)
	s_mov_b32 s10, exec_lo
	v_readlane_b32 s12, v102, 28
	s_and_b32 s12, s10, s12
	s_mov_b32 exec_lo, s12
	s_cbranch_execz .LBB132_236
; %bb.235:                              ;   in Loop: Header=BB132_3 Depth=1
	ds_load_b64 v[38:39], v67 offset:1152
	ds_load_b64 v[40:41], v62 offset:16
	s_wait_dscnt 0x0
	v_fmac_f64_e32 v[36:37], v[38:39], v[40:41]
.LBB132_236:                            ;   in Loop: Header=BB132_3 Depth=1
	s_or_b32 exec_lo, exec_lo, s10
	s_delay_alu instid0(SALU_CYCLE_1) | instskip(SKIP_2) | instid1(SALU_CYCLE_1)
	s_mov_b32 s10, exec_lo
	v_readlane_b32 s12, v102, 29
	s_and_b32 s12, s10, s12
	;; [unrolled: 13-line block ×10, first 2 shown]
	s_mov_b32 exec_lo, s12
	s_cbranch_execnz .LBB132_1109
; %bb.253:                              ;   in Loop: Header=BB132_3 Depth=1
	s_or_b32 exec_lo, exec_lo, s10
	s_and_saveexec_b32 s10, s4
	s_cbranch_execnz .LBB132_1110
.LBB132_254:                            ;   in Loop: Header=BB132_3 Depth=1
	s_or_b32 exec_lo, exec_lo, s10
	s_and_saveexec_b32 s10, s19
	s_cbranch_execnz .LBB132_1111
.LBB132_255:                            ;   in Loop: Header=BB132_3 Depth=1
	s_or_b32 exec_lo, exec_lo, s10
	s_and_saveexec_b32 s10, s21
	s_cbranch_execnz .LBB132_1112
.LBB132_256:                            ;   in Loop: Header=BB132_3 Depth=1
	s_or_b32 exec_lo, exec_lo, s10
	s_and_saveexec_b32 s10, s3
	s_cbranch_execz .LBB132_258
.LBB132_257:                            ;   in Loop: Header=BB132_3 Depth=1
	ds_load_b64 v[38:39], v45 offset:7808
	ds_load_b64 v[40:41], v5 offset:120
	s_wait_dscnt 0x0
	v_fmac_f64_e32 v[36:37], v[38:39], v[40:41]
.LBB132_258:                            ;   in Loop: Header=BB132_3 Depth=1
	s_or_b32 exec_lo, exec_lo, s10
	s_delay_alu instid0(VALU_DEP_1)
	v_xor_b32_e32 v37, 0x80000000, v37
.LBB132_259:                            ;   in Loop: Header=BB132_3 Depth=1
	s_or_b32 exec_lo, exec_lo, s84
	s_delay_alu instid0(SALU_CYCLE_1) | instskip(SKIP_2) | instid1(SALU_CYCLE_1)
	s_mov_b32 s10, exec_lo
	v_readlane_b32 s12, v102, 2
	s_and_b32 s12, s10, s12
	s_mov_b32 exec_lo, s12
	s_cbranch_execz .LBB132_261
; %bb.260:                              ;   in Loop: Header=BB132_3 Depth=1
	ds_load_b64 v[38:39], v5 offset:8320
	s_wait_dscnt 0x0
	v_mul_f64_e32 v[36:37], v[36:37], v[38:39]
	ds_store_b64 v65, v[36:37]
.LBB132_261:                            ;   in Loop: Header=BB132_3 Depth=1
	s_or_b32 exec_lo, exec_lo, s10
	s_wait_dscnt 0x0
	s_barrier_signal -1
	s_barrier_wait -1
	s_mov_b32 s10, exec_lo
	v_readlane_b32 s12, v102, 3
	s_and_b32 s12, s10, s12
	s_delay_alu instid0(SALU_CYCLE_1)
	s_mov_b32 exec_lo, s12
	s_cbranch_execz .LBB132_263
; %bb.262:                              ;   in Loop: Header=BB132_3 Depth=1
	ds_load_b64 v[38:39], v64 offset:8320
	ds_load_b64 v[40:41], v65
	s_wait_dscnt 0x0
	v_fmac_f64_e32 v[36:37], v[38:39], v[40:41]
.LBB132_263:                            ;   in Loop: Header=BB132_3 Depth=1
	s_or_b32 exec_lo, exec_lo, s10
	s_barrier_signal -1
	s_barrier_wait -1
	s_mov_b32 s10, exec_lo
	v_readlane_b32 s12, v102, 4
	s_and_b32 s12, s10, s12
	s_delay_alu instid0(SALU_CYCLE_1)
	s_mov_b32 exec_lo, s12
	s_cbranch_execz .LBB132_265
; %bb.264:                              ;   in Loop: Header=BB132_3 Depth=1
	ds_load_b64 v[38:39], v5 offset:8840
	s_wait_dscnt 0x0
	v_mul_f64_e32 v[36:37], v[36:37], v[38:39]
	ds_store_b64 v65, v[36:37]
.LBB132_265:                            ;   in Loop: Header=BB132_3 Depth=1
	s_or_b32 exec_lo, exec_lo, s10
	s_wait_dscnt 0x0
	s_barrier_signal -1
	s_barrier_wait -1
	s_mov_b32 s10, exec_lo
	v_readlane_b32 s12, v102, 5
	s_and_b32 s12, s10, s12
	s_delay_alu instid0(SALU_CYCLE_1)
	s_mov_b32 exec_lo, s12
	s_cbranch_execz .LBB132_267
; %bb.266:                              ;   in Loop: Header=BB132_3 Depth=1
	ds_load_b64 v[38:39], v64 offset:8832
	ds_load_b64 v[40:41], v65
	s_wait_dscnt 0x0
	v_fmac_f64_e32 v[36:37], v[38:39], v[40:41]
.LBB132_267:                            ;   in Loop: Header=BB132_3 Depth=1
	s_or_b32 exec_lo, exec_lo, s10
	s_barrier_signal -1
	s_barrier_wait -1
	s_mov_b32 s10, exec_lo
	v_readlane_b32 s12, v102, 6
	s_and_b32 s12, s10, s12
	s_delay_alu instid0(SALU_CYCLE_1)
	;; [unrolled: 31-line block ×3, first 2 shown]
	s_mov_b32 exec_lo, s12
	s_cbranch_execz .LBB132_273
; %bb.272:                              ;   in Loop: Header=BB132_3 Depth=1
	ds_load_b64 v[38:39], v5 offset:9880
	s_wait_dscnt 0x0
	v_mul_f64_e32 v[36:37], v[36:37], v[38:39]
	ds_store_b64 v65, v[36:37]
.LBB132_273:                            ;   in Loop: Header=BB132_3 Depth=1
	s_or_b32 exec_lo, exec_lo, s10
	s_wait_dscnt 0x0
	s_barrier_signal -1
	s_barrier_wait -1
	s_and_saveexec_b32 s10, s53
	s_cbranch_execz .LBB132_275
; %bb.274:                              ;   in Loop: Header=BB132_3 Depth=1
	ds_load_b64 v[38:39], v64 offset:9856
	ds_load_b64 v[40:41], v65
	s_wait_dscnt 0x0
	v_fmac_f64_e32 v[36:37], v[38:39], v[40:41]
.LBB132_275:                            ;   in Loop: Header=BB132_3 Depth=1
	s_or_b32 exec_lo, exec_lo, s10
	s_barrier_signal -1
	s_barrier_wait -1
	s_and_saveexec_b32 s10, s54
	s_cbranch_execz .LBB132_277
; %bb.276:                              ;   in Loop: Header=BB132_3 Depth=1
	ds_load_b64 v[38:39], v5 offset:10400
	s_wait_dscnt 0x0
	v_mul_f64_e32 v[36:37], v[36:37], v[38:39]
	ds_store_b64 v65, v[36:37]
.LBB132_277:                            ;   in Loop: Header=BB132_3 Depth=1
	s_or_b32 exec_lo, exec_lo, s10
	s_wait_dscnt 0x0
	s_barrier_signal -1
	s_barrier_wait -1
	s_and_saveexec_b32 s10, s55
	s_cbranch_execz .LBB132_279
; %bb.278:                              ;   in Loop: Header=BB132_3 Depth=1
	ds_load_b64 v[38:39], v64 offset:10368
	ds_load_b64 v[40:41], v65
	s_wait_dscnt 0x0
	v_fmac_f64_e32 v[36:37], v[38:39], v[40:41]
.LBB132_279:                            ;   in Loop: Header=BB132_3 Depth=1
	s_or_b32 exec_lo, exec_lo, s10
	s_barrier_signal -1
	s_barrier_wait -1
	s_and_saveexec_b32 s10, s56
	;; [unrolled: 23-line block ×12, first 2 shown]
	s_cbranch_execz .LBB132_321
; %bb.320:                              ;   in Loop: Header=BB132_3 Depth=1
	ds_load_b64 v[38:39], v5 offset:16120
	s_wait_dscnt 0x0
	v_mul_f64_e32 v[36:37], v[36:37], v[38:39]
	ds_store_b64 v65, v[36:37]
.LBB132_321:                            ;   in Loop: Header=BB132_3 Depth=1
	s_or_b32 exec_lo, exec_lo, s10
	s_wait_dscnt 0x0
	s_barrier_signal -1
	s_barrier_wait -1
	s_barrier_signal -1
	s_barrier_wait -1
	s_and_saveexec_b32 s10, s5
; %bb.322:                              ;   in Loop: Header=BB132_3 Depth=1
	s_delay_alu instid0(VALU_DEP_1)
	v_xor_b32_e32 v37, 0x80000000, v37
	ds_store_b64 v66, v[36:37] offset:128
; %bb.323:                              ;   in Loop: Header=BB132_3 Depth=1
	s_or_b32 exec_lo, exec_lo, s10
	s_wait_dscnt 0x0
	s_barrier_signal -1
	s_barrier_wait -1
	s_barrier_signal -1
	s_barrier_wait -1
	s_and_saveexec_b32 s10, s65
	s_cbranch_execz .LBB132_325
; %bb.324:                              ;   in Loop: Header=BB132_3 Depth=1
	ds_load_b64 v[36:37], v48 offset:128
	s_wait_dscnt 0x0
	ds_store_b64 v52, v[36:37] offset:8192
	ds_load_b64 v[36:37], v48 offset:136
	s_wait_dscnt 0x0
	ds_store_b64 v52, v[36:37] offset:8704
	;; [unrolled: 3-line block ×16, first 2 shown]
.LBB132_325:                            ;   in Loop: Header=BB132_3 Depth=1
	s_or_b32 exec_lo, exec_lo, s10
	s_wait_dscnt 0x0
	s_barrier_signal -1
	s_barrier_wait -1
	s_and_saveexec_b32 s10, s14
	s_cbranch_execz .LBB132_327
; %bb.326:                              ;   in Loop: Header=BB132_3 Depth=1
	ds_load_b128 v[36:39], v5 offset:8320
	ds_load_b64 v[40:41], v5 offset:8840
	s_wait_dscnt 0x0
	v_mul_f64_e32 v[36:37], v[36:37], v[40:41]
	s_delay_alu instid0(VALU_DEP_1)
	v_mul_f64_e32 v[36:37], v[38:39], v[36:37]
	v_add_nc_u32_e64 v38, 0x2000, 0
	ds_store_2addr_b64 v38, v[36:37], v[36:37] offset0:17 offset1:80
.LBB132_327:                            ;   in Loop: Header=BB132_3 Depth=1
	s_or_b32 exec_lo, exec_lo, s10
	v_mov_b64_e32 v[36:37], 0
	s_wait_dscnt 0x0
	s_barrier_signal -1
	s_barrier_wait -1
	s_and_saveexec_b32 s10, s1
	s_cbranch_execz .LBB132_331
; %bb.328:                              ;   in Loop: Header=BB132_3 Depth=1
	ds_load_b64 v[36:37], v43 offset:8336
	ds_load_b64 v[38:39], v44 offset:8320
	s_wait_dscnt 0x0
	v_fma_f64 v[36:37], v[36:37], v[38:39], 0
	s_and_saveexec_b32 s12, s15
	s_cbranch_execz .LBB132_330
; %bb.329:                              ;   in Loop: Header=BB132_3 Depth=1
	ds_load_b64 v[38:39], v45 offset:8848
	ds_load_b64 v[40:41], v5 offset:8328
	s_wait_dscnt 0x0
	v_fmac_f64_e32 v[36:37], v[38:39], v[40:41]
.LBB132_330:                            ;   in Loop: Header=BB132_3 Depth=1
	s_or_b32 exec_lo, exec_lo, s12
	s_delay_alu instid0(VALU_DEP_1)
	v_xor_b32_e32 v37, 0x80000000, v37
.LBB132_331:                            ;   in Loop: Header=BB132_3 Depth=1
	s_or_b32 exec_lo, exec_lo, s10
	s_and_saveexec_b32 s10, s91
	s_cbranch_execz .LBB132_333
; %bb.332:                              ;   in Loop: Header=BB132_3 Depth=1
	ds_load_b64 v[38:39], v5 offset:9360
	s_wait_dscnt 0x0
	v_mul_f64_e32 v[36:37], v[36:37], v[38:39]
	ds_store_b64 v3, v[36:37]
.LBB132_333:                            ;   in Loop: Header=BB132_3 Depth=1
	s_or_b32 exec_lo, exec_lo, s10
	s_wait_dscnt 0x0
	s_barrier_signal -1
	s_barrier_wait -1
	s_and_saveexec_b32 s10, s92
	s_cbranch_execz .LBB132_335
; %bb.334:                              ;   in Loop: Header=BB132_3 Depth=1
	ds_load_b64 v[38:39], v5 offset:9368
	ds_load_b64 v[40:41], v3
	s_wait_dscnt 0x0
	v_fmac_f64_e32 v[36:37], v[38:39], v[40:41]
.LBB132_335:                            ;   in Loop: Header=BB132_3 Depth=1
	s_or_b32 exec_lo, exec_lo, s10
	s_barrier_signal -1
	s_barrier_wait -1
	s_and_saveexec_b32 s10, s92
	s_cbranch_execz .LBB132_337
; %bb.336:                              ;   in Loop: Header=BB132_3 Depth=1
	ds_load_b64 v[38:39], v5 offset:9880
	s_wait_dscnt 0x0
	v_mul_f64_e32 v[36:37], v[36:37], v[38:39]
	ds_store_b64 v3, v[36:37]
.LBB132_337:                            ;   in Loop: Header=BB132_3 Depth=1
	s_or_b32 exec_lo, exec_lo, s10
	s_wait_dscnt 0x0
	s_barrier_signal -1
	s_barrier_wait -1
	s_barrier_signal -1
	s_barrier_wait -1
	s_and_saveexec_b32 s10, s1
; %bb.338:                              ;   in Loop: Header=BB132_3 Depth=1
	s_delay_alu instid0(VALU_DEP_1)
	v_xor_b32_e32 v37, 0x80000000, v37
	ds_store_b64 v43, v[36:37] offset:8336
; %bb.339:                              ;   in Loop: Header=BB132_3 Depth=1
	s_or_b32 exec_lo, exec_lo, s10
	s_wait_dscnt 0x0
	s_barrier_signal -1
	s_barrier_wait -1
	s_barrier_signal -1
	s_barrier_wait -1
	s_and_saveexec_b32 s10, s93
	s_cbranch_execz .LBB132_341
; %bb.340:                              ;   in Loop: Header=BB132_3 Depth=1
	ds_load_b64 v[36:37], v48 offset:8336
	s_wait_dscnt 0x0
	ds_store_b64 v45, v[36:37] offset:9344
	ds_load_b64 v[36:37], v48 offset:8344
	s_wait_dscnt 0x0
	ds_store_b64 v45, v[36:37] offset:9856
.LBB132_341:                            ;   in Loop: Header=BB132_3 Depth=1
	s_or_b32 exec_lo, exec_lo, s10
	s_wait_dscnt 0x0
	s_barrier_signal -1
	s_barrier_wait -1
	s_and_saveexec_b32 s10, s14
	s_cbranch_execz .LBB132_343
; %bb.342:                              ;   in Loop: Header=BB132_3 Depth=1
	ds_load_b128 v[36:39], v5 offset:9360
	ds_load_b64 v[40:41], v5 offset:9880
	s_wait_dscnt 0x0
	v_mul_f64_e32 v[36:37], v[36:37], v[40:41]
	s_delay_alu instid0(VALU_DEP_1)
	v_mul_f64_e32 v[36:37], v[38:39], v[36:37]
	v_add_nc_u32_e64 v38, 0x2000, 0
	ds_store_2addr_b64 v38, v[36:37], v[36:37] offset0:147 offset1:210
.LBB132_343:                            ;   in Loop: Header=BB132_3 Depth=1
	s_or_b32 exec_lo, exec_lo, s10
	v_mov_b64_e32 v[36:37], 0
	s_wait_dscnt 0x0
	s_barrier_signal -1
	s_barrier_wait -1
	s_and_saveexec_b32 s10, s3
	s_cbranch_execz .LBB132_349
; %bb.344:                              ;   in Loop: Header=BB132_3 Depth=1
	ds_load_b64 v[36:37], v50 offset:8352
	ds_load_b64 v[38:39], v46 offset:8320
	s_wait_dscnt 0x0
	v_fma_f64 v[36:37], v[36:37], v[38:39], 0
	s_and_saveexec_b32 s12, s16
	s_cbranch_execnz .LBB132_1113
; %bb.345:                              ;   in Loop: Header=BB132_3 Depth=1
	s_or_b32 exec_lo, exec_lo, s12
	s_and_saveexec_b32 s12, s17
	s_cbranch_execnz .LBB132_1114
.LBB132_346:                            ;   in Loop: Header=BB132_3 Depth=1
	s_or_b32 exec_lo, exec_lo, s12
	s_and_saveexec_b32 s12, s1
	s_cbranch_execz .LBB132_348
.LBB132_347:                            ;   in Loop: Header=BB132_3 Depth=1
	ds_load_b64 v[38:39], v52 offset:9888
	ds_load_b64 v[40:41], v5 offset:8344
	s_wait_dscnt 0x0
	v_fmac_f64_e32 v[36:37], v[38:39], v[40:41]
.LBB132_348:                            ;   in Loop: Header=BB132_3 Depth=1
	s_or_b32 exec_lo, exec_lo, s12
	s_delay_alu instid0(VALU_DEP_1)
	v_xor_b32_e32 v37, 0x80000000, v37
.LBB132_349:                            ;   in Loop: Header=BB132_3 Depth=1
	s_or_b32 exec_lo, exec_lo, s10
	s_and_saveexec_b32 s10, s94
	s_cbranch_execz .LBB132_351
; %bb.350:                              ;   in Loop: Header=BB132_3 Depth=1
	ds_load_b64 v[38:39], v5 offset:10400
	s_wait_dscnt 0x0
	v_mul_f64_e32 v[36:37], v[36:37], v[38:39]
	ds_store_b64 v49, v[36:37]
.LBB132_351:                            ;   in Loop: Header=BB132_3 Depth=1
	s_or_b32 exec_lo, exec_lo, s10
	s_wait_dscnt 0x0
	s_barrier_signal -1
	s_barrier_wait -1
	s_and_saveexec_b32 s10, s95
	s_cbranch_execz .LBB132_353
; %bb.352:                              ;   in Loop: Header=BB132_3 Depth=1
	ds_load_b64 v[38:39], v47 offset:10400
	ds_load_b64 v[40:41], v49
	s_wait_dscnt 0x0
	v_fmac_f64_e32 v[36:37], v[38:39], v[40:41]
.LBB132_353:                            ;   in Loop: Header=BB132_3 Depth=1
	s_or_b32 exec_lo, exec_lo, s10
	s_barrier_signal -1
	s_barrier_wait -1
	s_and_saveexec_b32 s10, s96
	s_cbranch_execz .LBB132_355
; %bb.354:                              ;   in Loop: Header=BB132_3 Depth=1
	ds_load_b64 v[38:39], v5 offset:10920
	s_wait_dscnt 0x0
	v_mul_f64_e32 v[36:37], v[36:37], v[38:39]
	ds_store_b64 v49, v[36:37]
.LBB132_355:                            ;   in Loop: Header=BB132_3 Depth=1
	s_or_b32 exec_lo, exec_lo, s10
	s_wait_dscnt 0x0
	s_barrier_signal -1
	s_barrier_wait -1
	s_and_saveexec_b32 s10, s97
	s_cbranch_execz .LBB132_357
; %bb.356:                              ;   in Loop: Header=BB132_3 Depth=1
	ds_load_b64 v[38:39], v47 offset:10912
	ds_load_b64 v[40:41], v49
	s_wait_dscnt 0x0
	v_fmac_f64_e32 v[36:37], v[38:39], v[40:41]
.LBB132_357:                            ;   in Loop: Header=BB132_3 Depth=1
	s_or_b32 exec_lo, exec_lo, s10
	s_barrier_signal -1
	s_barrier_wait -1
	;; [unrolled: 23-line block ×3, first 2 shown]
	s_and_saveexec_b32 s10, s99
	s_cbranch_execz .LBB132_363
; %bb.362:                              ;   in Loop: Header=BB132_3 Depth=1
	ds_load_b64 v[38:39], v5 offset:11960
	s_wait_dscnt 0x0
	v_mul_f64_e32 v[36:37], v[36:37], v[38:39]
	ds_store_b64 v49, v[36:37]
.LBB132_363:                            ;   in Loop: Header=BB132_3 Depth=1
	s_or_b32 exec_lo, exec_lo, s10
	s_wait_dscnt 0x0
	s_barrier_signal -1
	s_barrier_wait -1
	s_barrier_signal -1
	s_barrier_wait -1
	s_and_saveexec_b32 s10, s3
; %bb.364:                              ;   in Loop: Header=BB132_3 Depth=1
	s_delay_alu instid0(VALU_DEP_1)
	v_xor_b32_e32 v37, 0x80000000, v37
	ds_store_b64 v50, v[36:37] offset:8352
; %bb.365:                              ;   in Loop: Header=BB132_3 Depth=1
	s_or_b32 exec_lo, exec_lo, s10
	s_wait_dscnt 0x0
	s_barrier_signal -1
	s_barrier_wait -1
	s_barrier_signal -1
	s_barrier_wait -1
	s_and_saveexec_b32 s10, s100
	s_cbranch_execz .LBB132_367
; %bb.366:                              ;   in Loop: Header=BB132_3 Depth=1
	ds_load_b64 v[36:37], v53 offset:8352
	s_wait_dscnt 0x0
	ds_store_b64 v54, v[36:37] offset:10368
	ds_load_b64 v[36:37], v53 offset:8360
	s_wait_dscnt 0x0
	ds_store_b64 v54, v[36:37] offset:10880
	ds_load_b64 v[36:37], v53 offset:8368
	s_wait_dscnt 0x0
	ds_store_b64 v54, v[36:37] offset:11392
	ds_load_b64 v[36:37], v53 offset:8376
	s_wait_dscnt 0x0
	ds_store_b64 v54, v[36:37] offset:11904
.LBB132_367:                            ;   in Loop: Header=BB132_3 Depth=1
	s_or_b32 exec_lo, exec_lo, s10
	s_wait_dscnt 0x0
	s_barrier_signal -1
	s_barrier_wait -1
	s_and_saveexec_b32 s10, s14
	s_cbranch_execz .LBB132_369
; %bb.368:                              ;   in Loop: Header=BB132_3 Depth=1
	ds_load_b128 v[36:39], v5 offset:10400
	ds_load_b64 v[40:41], v5 offset:10920
	s_wait_dscnt 0x0
	v_mul_f64_e32 v[36:37], v[36:37], v[40:41]
	s_delay_alu instid0(VALU_DEP_1)
	v_mul_f64_e32 v[36:37], v[38:39], v[36:37]
	v_add_nc_u32_e64 v38, 0x2800, 0
	ds_store_2addr_b64 v38, v[36:37], v[36:37] offset0:21 offset1:84
.LBB132_369:                            ;   in Loop: Header=BB132_3 Depth=1
	s_or_b32 exec_lo, exec_lo, s10
	v_mov_b64_e32 v[36:37], 0
	s_wait_dscnt 0x0
	s_barrier_signal -1
	s_barrier_wait -1
	s_and_saveexec_b32 s10, s1
	s_cbranch_execz .LBB132_373
; %bb.370:                              ;   in Loop: Header=BB132_3 Depth=1
	ds_load_b64 v[36:37], v43 offset:10416
	ds_load_b64 v[38:39], v44 offset:10400
	s_wait_dscnt 0x0
	v_fma_f64 v[36:37], v[36:37], v[38:39], 0
	s_and_saveexec_b32 s12, s15
	s_cbranch_execz .LBB132_372
; %bb.371:                              ;   in Loop: Header=BB132_3 Depth=1
	ds_load_b64 v[38:39], v54 offset:10928
	ds_load_b64 v[40:41], v5 offset:10408
	s_wait_dscnt 0x0
	v_fmac_f64_e32 v[36:37], v[38:39], v[40:41]
.LBB132_372:                            ;   in Loop: Header=BB132_3 Depth=1
	s_or_b32 exec_lo, exec_lo, s12
	s_delay_alu instid0(VALU_DEP_1)
	v_xor_b32_e32 v37, 0x80000000, v37
.LBB132_373:                            ;   in Loop: Header=BB132_3 Depth=1
	s_or_b32 exec_lo, exec_lo, s10
	s_and_saveexec_b32 s10, s91
	s_cbranch_execz .LBB132_375
; %bb.374:                              ;   in Loop: Header=BB132_3 Depth=1
	ds_load_b64 v[38:39], v5 offset:11440
	s_wait_dscnt 0x0
	v_mul_f64_e32 v[36:37], v[36:37], v[38:39]
	ds_store_b64 v3, v[36:37]
.LBB132_375:                            ;   in Loop: Header=BB132_3 Depth=1
	s_or_b32 exec_lo, exec_lo, s10
	s_wait_dscnt 0x0
	s_barrier_signal -1
	s_barrier_wait -1
	s_and_saveexec_b32 s10, s92
	s_cbranch_execz .LBB132_377
; %bb.376:                              ;   in Loop: Header=BB132_3 Depth=1
	ds_load_b64 v[38:39], v5 offset:11448
	ds_load_b64 v[40:41], v3
	s_wait_dscnt 0x0
	v_fmac_f64_e32 v[36:37], v[38:39], v[40:41]
.LBB132_377:                            ;   in Loop: Header=BB132_3 Depth=1
	s_or_b32 exec_lo, exec_lo, s10
	s_barrier_signal -1
	s_barrier_wait -1
	s_and_saveexec_b32 s10, s92
	s_cbranch_execz .LBB132_379
; %bb.378:                              ;   in Loop: Header=BB132_3 Depth=1
	ds_load_b64 v[38:39], v5 offset:11960
	s_wait_dscnt 0x0
	v_mul_f64_e32 v[36:37], v[36:37], v[38:39]
	ds_store_b64 v3, v[36:37]
.LBB132_379:                            ;   in Loop: Header=BB132_3 Depth=1
	s_or_b32 exec_lo, exec_lo, s10
	s_wait_dscnt 0x0
	s_barrier_signal -1
	s_barrier_wait -1
	s_barrier_signal -1
	s_barrier_wait -1
	s_and_saveexec_b32 s10, s1
; %bb.380:                              ;   in Loop: Header=BB132_3 Depth=1
	s_delay_alu instid0(VALU_DEP_1)
	v_xor_b32_e32 v37, 0x80000000, v37
	ds_store_b64 v43, v[36:37] offset:10416
; %bb.381:                              ;   in Loop: Header=BB132_3 Depth=1
	s_or_b32 exec_lo, exec_lo, s10
	s_wait_dscnt 0x0
	s_barrier_signal -1
	s_barrier_wait -1
	s_barrier_signal -1
	s_barrier_wait -1
	s_and_saveexec_b32 s10, s93
	s_cbranch_execz .LBB132_383
; %bb.382:                              ;   in Loop: Header=BB132_3 Depth=1
	ds_load_b64 v[36:37], v57 offset:10416
	s_wait_dscnt 0x0
	ds_store_b64 v54, v[36:37] offset:11424
	ds_load_b64 v[36:37], v57 offset:10424
	s_wait_dscnt 0x0
	ds_store_b64 v54, v[36:37] offset:11936
.LBB132_383:                            ;   in Loop: Header=BB132_3 Depth=1
	s_or_b32 exec_lo, exec_lo, s10
	s_wait_dscnt 0x0
	s_barrier_signal -1
	s_barrier_wait -1
	s_and_saveexec_b32 s10, s14
	s_cbranch_execz .LBB132_385
; %bb.384:                              ;   in Loop: Header=BB132_3 Depth=1
	ds_load_b128 v[36:39], v5 offset:11440
	ds_load_b64 v[40:41], v5 offset:11960
	s_wait_dscnt 0x0
	v_mul_f64_e32 v[36:37], v[36:37], v[40:41]
	s_delay_alu instid0(VALU_DEP_1)
	v_mul_f64_e32 v[36:37], v[38:39], v[36:37]
	v_add_nc_u32_e64 v38, 0x2800, 0
	ds_store_2addr_b64 v38, v[36:37], v[36:37] offset0:151 offset1:214
.LBB132_385:                            ;   in Loop: Header=BB132_3 Depth=1
	s_or_b32 exec_lo, exec_lo, s10
	v_mov_b64_e32 v[36:37], 0
	s_wait_dscnt 0x0
	s_barrier_signal -1
	s_barrier_wait -1
	s_and_saveexec_b32 s10, s4
	s_cbranch_execz .LBB132_395
; %bb.386:                              ;   in Loop: Header=BB132_3 Depth=1
	ds_load_b64 v[36:37], v59 offset:8384
	ds_load_b64 v[38:39], v55 offset:8320
	s_wait_dscnt 0x0
	v_fma_f64 v[36:37], v[36:37], v[38:39], 0
	s_and_saveexec_b32 s12, s18
	s_cbranch_execnz .LBB132_1115
; %bb.387:                              ;   in Loop: Header=BB132_3 Depth=1
	s_or_b32 exec_lo, exec_lo, s12
	s_and_saveexec_b32 s12, s19
	s_cbranch_execnz .LBB132_1116
.LBB132_388:                            ;   in Loop: Header=BB132_3 Depth=1
	s_or_b32 exec_lo, exec_lo, s12
	s_and_saveexec_b32 s12, s20
	s_cbranch_execnz .LBB132_1117
.LBB132_389:                            ;   in Loop: Header=BB132_3 Depth=1
	s_or_b32 exec_lo, exec_lo, s12
	s_and_saveexec_b32 s12, s21
	s_cbranch_execnz .LBB132_1118
.LBB132_390:                            ;   in Loop: Header=BB132_3 Depth=1
	s_or_b32 exec_lo, exec_lo, s12
	s_and_saveexec_b32 s12, s22
	s_cbranch_execnz .LBB132_1119
.LBB132_391:                            ;   in Loop: Header=BB132_3 Depth=1
	s_or_b32 exec_lo, exec_lo, s12
	s_and_saveexec_b32 s12, s3
	s_cbranch_execnz .LBB132_1120
.LBB132_392:                            ;   in Loop: Header=BB132_3 Depth=1
	s_or_b32 exec_lo, exec_lo, s12
	s_and_saveexec_b32 s12, s17
	s_cbranch_execz .LBB132_394
.LBB132_393:                            ;   in Loop: Header=BB132_3 Depth=1
	ds_load_b64 v[38:39], v61 offset:11968
	ds_load_b64 v[40:41], v5 offset:8376
	s_wait_dscnt 0x0
	v_fmac_f64_e32 v[36:37], v[38:39], v[40:41]
.LBB132_394:                            ;   in Loop: Header=BB132_3 Depth=1
	s_or_b32 exec_lo, exec_lo, s12
	s_delay_alu instid0(VALU_DEP_1)
	v_xor_b32_e32 v37, 0x80000000, v37
.LBB132_395:                            ;   in Loop: Header=BB132_3 Depth=1
	s_or_b32 exec_lo, exec_lo, s10
	s_and_saveexec_b32 s10, s101
	s_cbranch_execz .LBB132_397
; %bb.396:                              ;   in Loop: Header=BB132_3 Depth=1
	ds_load_b64 v[38:39], v5 offset:12480
	s_wait_dscnt 0x0
	v_mul_f64_e32 v[36:37], v[36:37], v[38:39]
	ds_store_b64 v58, v[36:37]
.LBB132_397:                            ;   in Loop: Header=BB132_3 Depth=1
	s_or_b32 exec_lo, exec_lo, s10
	s_wait_dscnt 0x0
	s_barrier_signal -1
	s_barrier_wait -1
	s_and_saveexec_b32 s10, s102
	s_cbranch_execz .LBB132_399
; %bb.398:                              ;   in Loop: Header=BB132_3 Depth=1
	ds_load_b64 v[38:39], v56 offset:12480
	ds_load_b64 v[40:41], v58
	s_wait_dscnt 0x0
	v_fmac_f64_e32 v[36:37], v[38:39], v[40:41]
.LBB132_399:                            ;   in Loop: Header=BB132_3 Depth=1
	s_or_b32 exec_lo, exec_lo, s10
	s_barrier_signal -1
	s_barrier_wait -1
	s_and_saveexec_b32 s10, s103
	s_cbranch_execz .LBB132_401
; %bb.400:                              ;   in Loop: Header=BB132_3 Depth=1
	ds_load_b64 v[38:39], v5 offset:13000
	s_wait_dscnt 0x0
	v_mul_f64_e32 v[36:37], v[36:37], v[38:39]
	ds_store_b64 v58, v[36:37]
.LBB132_401:                            ;   in Loop: Header=BB132_3 Depth=1
	s_or_b32 exec_lo, exec_lo, s10
	s_wait_dscnt 0x0
	s_barrier_signal -1
	s_barrier_wait -1
	s_and_saveexec_b32 s10, s104
	s_cbranch_execz .LBB132_403
; %bb.402:                              ;   in Loop: Header=BB132_3 Depth=1
	ds_load_b64 v[38:39], v56 offset:12992
	ds_load_b64 v[40:41], v58
	s_wait_dscnt 0x0
	v_fmac_f64_e32 v[36:37], v[38:39], v[40:41]
.LBB132_403:                            ;   in Loop: Header=BB132_3 Depth=1
	s_or_b32 exec_lo, exec_lo, s10
	s_barrier_signal -1
	s_barrier_wait -1
	s_and_saveexec_b32 s10, vcc_hi
	s_cbranch_execz .LBB132_405
; %bb.404:                              ;   in Loop: Header=BB132_3 Depth=1
	ds_load_b64 v[38:39], v5 offset:13520
	s_wait_dscnt 0x0
	v_mul_f64_e32 v[36:37], v[36:37], v[38:39]
	ds_store_b64 v58, v[36:37]
.LBB132_405:                            ;   in Loop: Header=BB132_3 Depth=1
	s_or_b32 exec_lo, exec_lo, s10
	s_wait_dscnt 0x0
	s_barrier_signal -1
	s_barrier_wait -1
	s_and_saveexec_b32 s10, s36
	s_cbranch_execz .LBB132_407
; %bb.406:                              ;   in Loop: Header=BB132_3 Depth=1
	ds_load_b64 v[38:39], v56 offset:13504
	ds_load_b64 v[40:41], v58
	s_wait_dscnt 0x0
	v_fmac_f64_e32 v[36:37], v[38:39], v[40:41]
.LBB132_407:                            ;   in Loop: Header=BB132_3 Depth=1
	s_or_b32 exec_lo, exec_lo, s10
	s_barrier_signal -1
	s_barrier_wait -1
	s_and_saveexec_b32 s10, s37
	s_cbranch_execz .LBB132_409
; %bb.408:                              ;   in Loop: Header=BB132_3 Depth=1
	ds_load_b64 v[38:39], v5 offset:14040
	s_wait_dscnt 0x0
	v_mul_f64_e32 v[36:37], v[36:37], v[38:39]
	ds_store_b64 v58, v[36:37]
.LBB132_409:                            ;   in Loop: Header=BB132_3 Depth=1
	s_or_b32 exec_lo, exec_lo, s10
	s_wait_dscnt 0x0
	s_barrier_signal -1
	s_barrier_wait -1
	s_and_saveexec_b32 s10, s38
	s_cbranch_execz .LBB132_411
; %bb.410:                              ;   in Loop: Header=BB132_3 Depth=1
	ds_load_b64 v[38:39], v56 offset:14016
	ds_load_b64 v[40:41], v58
	s_wait_dscnt 0x0
	v_fmac_f64_e32 v[36:37], v[38:39], v[40:41]
.LBB132_411:                            ;   in Loop: Header=BB132_3 Depth=1
	s_or_b32 exec_lo, exec_lo, s10
	s_barrier_signal -1
	s_barrier_wait -1
	s_and_saveexec_b32 s10, s39
	;; [unrolled: 23-line block ×5, first 2 shown]
	s_cbranch_execz .LBB132_425
; %bb.424:                              ;   in Loop: Header=BB132_3 Depth=1
	ds_load_b64 v[38:39], v5 offset:16120
	s_wait_dscnt 0x0
	v_mul_f64_e32 v[36:37], v[36:37], v[38:39]
	ds_store_b64 v58, v[36:37]
.LBB132_425:                            ;   in Loop: Header=BB132_3 Depth=1
	s_or_b32 exec_lo, exec_lo, s10
	s_wait_dscnt 0x0
	s_barrier_signal -1
	s_barrier_wait -1
	s_barrier_signal -1
	s_barrier_wait -1
	s_and_saveexec_b32 s10, s4
; %bb.426:                              ;   in Loop: Header=BB132_3 Depth=1
	s_delay_alu instid0(VALU_DEP_1)
	v_xor_b32_e32 v37, 0x80000000, v37
	ds_store_b64 v59, v[36:37] offset:8384
; %bb.427:                              ;   in Loop: Header=BB132_3 Depth=1
	s_or_b32 exec_lo, exec_lo, s10
	s_wait_dscnt 0x0
	s_barrier_signal -1
	s_barrier_wait -1
	s_barrier_signal -1
	s_barrier_wait -1
	s_and_saveexec_b32 s10, s45
	s_cbranch_execz .LBB132_429
; %bb.428:                              ;   in Loop: Header=BB132_3 Depth=1
	ds_load_b64 v[36:37], v63 offset:8384
	s_wait_dscnt 0x0
	ds_store_b64 v71, v[36:37] offset:12416
	ds_load_b64 v[36:37], v63 offset:8392
	s_wait_dscnt 0x0
	ds_store_b64 v71, v[36:37] offset:12928
	;; [unrolled: 3-line block ×8, first 2 shown]
.LBB132_429:                            ;   in Loop: Header=BB132_3 Depth=1
	s_or_b32 exec_lo, exec_lo, s10
	s_wait_dscnt 0x0
	s_barrier_signal -1
	s_barrier_wait -1
	s_and_saveexec_b32 s10, s14
	s_cbranch_execz .LBB132_431
; %bb.430:                              ;   in Loop: Header=BB132_3 Depth=1
	ds_load_b128 v[36:39], v5 offset:12480
	ds_load_b64 v[40:41], v5 offset:13000
	s_wait_dscnt 0x0
	v_mul_f64_e32 v[36:37], v[36:37], v[40:41]
	s_delay_alu instid0(VALU_DEP_1)
	v_mul_f64_e32 v[36:37], v[38:39], v[36:37]
	v_add_nc_u32_e64 v38, 0x3000, 0
	ds_store_2addr_b64 v38, v[36:37], v[36:37] offset0:25 offset1:88
.LBB132_431:                            ;   in Loop: Header=BB132_3 Depth=1
	s_or_b32 exec_lo, exec_lo, s10
	v_mov_b64_e32 v[36:37], 0
	s_wait_dscnt 0x0
	s_barrier_signal -1
	s_barrier_wait -1
	s_and_saveexec_b32 s10, s1
	s_cbranch_execz .LBB132_435
; %bb.432:                              ;   in Loop: Header=BB132_3 Depth=1
	ds_load_b64 v[36:37], v43 offset:12496
	ds_load_b64 v[38:39], v44 offset:12480
	s_wait_dscnt 0x0
	v_fma_f64 v[36:37], v[36:37], v[38:39], 0
	s_and_saveexec_b32 s12, s15
	s_cbranch_execz .LBB132_434
; %bb.433:                              ;   in Loop: Header=BB132_3 Depth=1
	ds_load_b64 v[38:39], v71 offset:13008
	ds_load_b64 v[40:41], v5 offset:12488
	s_wait_dscnt 0x0
	v_fmac_f64_e32 v[36:37], v[38:39], v[40:41]
.LBB132_434:                            ;   in Loop: Header=BB132_3 Depth=1
	s_or_b32 exec_lo, exec_lo, s12
	s_delay_alu instid0(VALU_DEP_1)
	v_xor_b32_e32 v37, 0x80000000, v37
.LBB132_435:                            ;   in Loop: Header=BB132_3 Depth=1
	s_or_b32 exec_lo, exec_lo, s10
	s_and_saveexec_b32 s10, s91
	s_cbranch_execz .LBB132_437
; %bb.436:                              ;   in Loop: Header=BB132_3 Depth=1
	ds_load_b64 v[38:39], v5 offset:13520
	s_wait_dscnt 0x0
	v_mul_f64_e32 v[36:37], v[36:37], v[38:39]
	ds_store_b64 v3, v[36:37]
.LBB132_437:                            ;   in Loop: Header=BB132_3 Depth=1
	s_or_b32 exec_lo, exec_lo, s10
	s_wait_dscnt 0x0
	s_barrier_signal -1
	s_barrier_wait -1
	s_and_saveexec_b32 s10, s92
	s_cbranch_execz .LBB132_439
; %bb.438:                              ;   in Loop: Header=BB132_3 Depth=1
	ds_load_b64 v[38:39], v5 offset:13528
	ds_load_b64 v[40:41], v3
	s_wait_dscnt 0x0
	v_fmac_f64_e32 v[36:37], v[38:39], v[40:41]
.LBB132_439:                            ;   in Loop: Header=BB132_3 Depth=1
	s_or_b32 exec_lo, exec_lo, s10
	s_barrier_signal -1
	s_barrier_wait -1
	s_and_saveexec_b32 s10, s92
	s_cbranch_execz .LBB132_441
; %bb.440:                              ;   in Loop: Header=BB132_3 Depth=1
	ds_load_b64 v[38:39], v5 offset:14040
	s_wait_dscnt 0x0
	v_mul_f64_e32 v[36:37], v[36:37], v[38:39]
	ds_store_b64 v3, v[36:37]
.LBB132_441:                            ;   in Loop: Header=BB132_3 Depth=1
	s_or_b32 exec_lo, exec_lo, s10
	s_wait_dscnt 0x0
	s_barrier_signal -1
	s_barrier_wait -1
	s_barrier_signal -1
	s_barrier_wait -1
	s_and_saveexec_b32 s10, s1
; %bb.442:                              ;   in Loop: Header=BB132_3 Depth=1
	s_delay_alu instid0(VALU_DEP_1)
	v_xor_b32_e32 v37, 0x80000000, v37
	ds_store_b64 v43, v[36:37] offset:12496
; %bb.443:                              ;   in Loop: Header=BB132_3 Depth=1
	s_or_b32 exec_lo, exec_lo, s10
	s_wait_dscnt 0x0
	s_barrier_signal -1
	s_barrier_wait -1
	s_barrier_signal -1
	s_barrier_wait -1
	s_and_saveexec_b32 s10, s93
	s_cbranch_execz .LBB132_445
; %bb.444:                              ;   in Loop: Header=BB132_3 Depth=1
	ds_load_b64 v[36:37], v72 offset:12496
	s_wait_dscnt 0x0
	ds_store_b64 v71, v[36:37] offset:13504
	ds_load_b64 v[36:37], v72 offset:12504
	s_wait_dscnt 0x0
	ds_store_b64 v71, v[36:37] offset:14016
.LBB132_445:                            ;   in Loop: Header=BB132_3 Depth=1
	s_or_b32 exec_lo, exec_lo, s10
	s_wait_dscnt 0x0
	s_barrier_signal -1
	s_barrier_wait -1
	s_and_saveexec_b32 s10, s14
	s_cbranch_execz .LBB132_447
; %bb.446:                              ;   in Loop: Header=BB132_3 Depth=1
	ds_load_b128 v[36:39], v5 offset:13520
	ds_load_b64 v[40:41], v5 offset:14040
	s_wait_dscnt 0x0
	v_mul_f64_e32 v[36:37], v[36:37], v[40:41]
	s_delay_alu instid0(VALU_DEP_1)
	v_mul_f64_e32 v[36:37], v[38:39], v[36:37]
	v_add_nc_u32_e64 v38, 0x3000, 0
	ds_store_2addr_b64 v38, v[36:37], v[36:37] offset0:155 offset1:218
.LBB132_447:                            ;   in Loop: Header=BB132_3 Depth=1
	s_or_b32 exec_lo, exec_lo, s10
	v_mov_b64_e32 v[36:37], 0
	s_wait_dscnt 0x0
	s_barrier_signal -1
	s_barrier_wait -1
	s_and_saveexec_b32 s10, s3
	s_cbranch_execz .LBB132_453
; %bb.448:                              ;   in Loop: Header=BB132_3 Depth=1
	ds_load_b64 v[36:37], v50 offset:12512
	ds_load_b64 v[38:39], v46 offset:12480
	s_wait_dscnt 0x0
	v_fma_f64 v[36:37], v[36:37], v[38:39], 0
	s_and_saveexec_b32 s12, s16
	s_cbranch_execnz .LBB132_1121
; %bb.449:                              ;   in Loop: Header=BB132_3 Depth=1
	s_or_b32 exec_lo, exec_lo, s12
	s_and_saveexec_b32 s12, s17
	s_cbranch_execnz .LBB132_1122
.LBB132_450:                            ;   in Loop: Header=BB132_3 Depth=1
	s_or_b32 exec_lo, exec_lo, s12
	s_and_saveexec_b32 s12, s1
	s_cbranch_execz .LBB132_452
.LBB132_451:                            ;   in Loop: Header=BB132_3 Depth=1
	ds_load_b64 v[38:39], v73 offset:14048
	ds_load_b64 v[40:41], v5 offset:12504
	s_wait_dscnt 0x0
	v_fmac_f64_e32 v[36:37], v[38:39], v[40:41]
.LBB132_452:                            ;   in Loop: Header=BB132_3 Depth=1
	s_or_b32 exec_lo, exec_lo, s12
	s_delay_alu instid0(VALU_DEP_1)
	v_xor_b32_e32 v37, 0x80000000, v37
.LBB132_453:                            ;   in Loop: Header=BB132_3 Depth=1
	s_or_b32 exec_lo, exec_lo, s10
	s_and_saveexec_b32 s10, s94
	s_cbranch_execz .LBB132_455
; %bb.454:                              ;   in Loop: Header=BB132_3 Depth=1
	ds_load_b64 v[38:39], v5 offset:14560
	s_wait_dscnt 0x0
	v_mul_f64_e32 v[36:37], v[36:37], v[38:39]
	ds_store_b64 v49, v[36:37]
.LBB132_455:                            ;   in Loop: Header=BB132_3 Depth=1
	s_or_b32 exec_lo, exec_lo, s10
	s_wait_dscnt 0x0
	s_barrier_signal -1
	s_barrier_wait -1
	s_and_saveexec_b32 s10, s95
	s_cbranch_execz .LBB132_457
; %bb.456:                              ;   in Loop: Header=BB132_3 Depth=1
	ds_load_b64 v[38:39], v47 offset:14560
	ds_load_b64 v[40:41], v49
	s_wait_dscnt 0x0
	v_fmac_f64_e32 v[36:37], v[38:39], v[40:41]
.LBB132_457:                            ;   in Loop: Header=BB132_3 Depth=1
	s_or_b32 exec_lo, exec_lo, s10
	s_barrier_signal -1
	s_barrier_wait -1
	s_and_saveexec_b32 s10, s96
	s_cbranch_execz .LBB132_459
; %bb.458:                              ;   in Loop: Header=BB132_3 Depth=1
	ds_load_b64 v[38:39], v5 offset:15080
	s_wait_dscnt 0x0
	v_mul_f64_e32 v[36:37], v[36:37], v[38:39]
	ds_store_b64 v49, v[36:37]
.LBB132_459:                            ;   in Loop: Header=BB132_3 Depth=1
	s_or_b32 exec_lo, exec_lo, s10
	s_wait_dscnt 0x0
	s_barrier_signal -1
	s_barrier_wait -1
	s_and_saveexec_b32 s10, s97
	s_cbranch_execz .LBB132_461
; %bb.460:                              ;   in Loop: Header=BB132_3 Depth=1
	ds_load_b64 v[38:39], v47 offset:15072
	ds_load_b64 v[40:41], v49
	s_wait_dscnt 0x0
	v_fmac_f64_e32 v[36:37], v[38:39], v[40:41]
.LBB132_461:                            ;   in Loop: Header=BB132_3 Depth=1
	s_or_b32 exec_lo, exec_lo, s10
	s_barrier_signal -1
	s_barrier_wait -1
	;; [unrolled: 23-line block ×3, first 2 shown]
	s_and_saveexec_b32 s10, s99
	s_cbranch_execz .LBB132_467
; %bb.466:                              ;   in Loop: Header=BB132_3 Depth=1
	ds_load_b64 v[38:39], v5 offset:16120
	s_wait_dscnt 0x0
	v_mul_f64_e32 v[36:37], v[36:37], v[38:39]
	ds_store_b64 v49, v[36:37]
.LBB132_467:                            ;   in Loop: Header=BB132_3 Depth=1
	s_or_b32 exec_lo, exec_lo, s10
	s_wait_dscnt 0x0
	s_barrier_signal -1
	s_barrier_wait -1
	s_barrier_signal -1
	s_barrier_wait -1
	s_and_saveexec_b32 s10, s3
; %bb.468:                              ;   in Loop: Header=BB132_3 Depth=1
	s_delay_alu instid0(VALU_DEP_1)
	v_xor_b32_e32 v37, 0x80000000, v37
	ds_store_b64 v50, v[36:37] offset:12512
; %bb.469:                              ;   in Loop: Header=BB132_3 Depth=1
	s_or_b32 exec_lo, exec_lo, s10
	s_wait_dscnt 0x0
	s_barrier_signal -1
	s_barrier_wait -1
	s_barrier_signal -1
	s_barrier_wait -1
	s_and_saveexec_b32 s10, s100
	s_cbranch_execz .LBB132_471
; %bb.470:                              ;   in Loop: Header=BB132_3 Depth=1
	ds_load_b64 v[36:37], v74 offset:12512
	s_wait_dscnt 0x0
	ds_store_b64 v77, v[36:37] offset:14528
	ds_load_b64 v[36:37], v74 offset:12520
	s_wait_dscnt 0x0
	ds_store_b64 v77, v[36:37] offset:15040
	;; [unrolled: 3-line block ×4, first 2 shown]
.LBB132_471:                            ;   in Loop: Header=BB132_3 Depth=1
	s_or_b32 exec_lo, exec_lo, s10
	s_wait_dscnt 0x0
	s_barrier_signal -1
	s_barrier_wait -1
	s_and_saveexec_b32 s10, s14
	s_cbranch_execz .LBB132_473
; %bb.472:                              ;   in Loop: Header=BB132_3 Depth=1
	ds_load_b128 v[36:39], v5 offset:14560
	ds_load_b64 v[40:41], v5 offset:15080
	s_wait_dscnt 0x0
	v_mul_f64_e32 v[36:37], v[36:37], v[40:41]
	s_delay_alu instid0(VALU_DEP_1)
	v_mul_f64_e32 v[36:37], v[38:39], v[36:37]
	v_add_nc_u32_e64 v38, 0x3800, 0
	ds_store_2addr_b64 v38, v[36:37], v[36:37] offset0:29 offset1:92
.LBB132_473:                            ;   in Loop: Header=BB132_3 Depth=1
	s_or_b32 exec_lo, exec_lo, s10
	v_mov_b64_e32 v[36:37], 0
	s_wait_dscnt 0x0
	s_barrier_signal -1
	s_barrier_wait -1
	s_and_saveexec_b32 s10, s1
	s_cbranch_execz .LBB132_477
; %bb.474:                              ;   in Loop: Header=BB132_3 Depth=1
	ds_load_b64 v[36:37], v43 offset:14576
	ds_load_b64 v[38:39], v44 offset:14560
	s_wait_dscnt 0x0
	v_fma_f64 v[36:37], v[36:37], v[38:39], 0
	s_and_saveexec_b32 s12, s15
	s_cbranch_execz .LBB132_476
; %bb.475:                              ;   in Loop: Header=BB132_3 Depth=1
	ds_load_b64 v[38:39], v77 offset:15088
	ds_load_b64 v[40:41], v5 offset:14568
	s_wait_dscnt 0x0
	v_fmac_f64_e32 v[36:37], v[38:39], v[40:41]
.LBB132_476:                            ;   in Loop: Header=BB132_3 Depth=1
	s_or_b32 exec_lo, exec_lo, s12
	s_delay_alu instid0(VALU_DEP_1)
	v_xor_b32_e32 v37, 0x80000000, v37
.LBB132_477:                            ;   in Loop: Header=BB132_3 Depth=1
	s_or_b32 exec_lo, exec_lo, s10
	s_and_saveexec_b32 s10, s91
	s_cbranch_execz .LBB132_479
; %bb.478:                              ;   in Loop: Header=BB132_3 Depth=1
	ds_load_b64 v[38:39], v5 offset:15600
	s_wait_dscnt 0x0
	v_mul_f64_e32 v[36:37], v[36:37], v[38:39]
	ds_store_b64 v3, v[36:37]
.LBB132_479:                            ;   in Loop: Header=BB132_3 Depth=1
	s_or_b32 exec_lo, exec_lo, s10
	s_wait_dscnt 0x0
	s_barrier_signal -1
	s_barrier_wait -1
	s_and_saveexec_b32 s10, s92
	s_cbranch_execz .LBB132_481
; %bb.480:                              ;   in Loop: Header=BB132_3 Depth=1
	ds_load_b64 v[38:39], v5 offset:15608
	ds_load_b64 v[40:41], v3
	s_wait_dscnt 0x0
	v_fmac_f64_e32 v[36:37], v[38:39], v[40:41]
.LBB132_481:                            ;   in Loop: Header=BB132_3 Depth=1
	s_or_b32 exec_lo, exec_lo, s10
	s_barrier_signal -1
	s_barrier_wait -1
	s_and_saveexec_b32 s10, s92
	s_cbranch_execz .LBB132_483
; %bb.482:                              ;   in Loop: Header=BB132_3 Depth=1
	ds_load_b64 v[38:39], v5 offset:16120
	s_wait_dscnt 0x0
	v_mul_f64_e32 v[36:37], v[36:37], v[38:39]
	ds_store_b64 v3, v[36:37]
.LBB132_483:                            ;   in Loop: Header=BB132_3 Depth=1
	s_or_b32 exec_lo, exec_lo, s10
	s_wait_dscnt 0x0
	s_barrier_signal -1
	s_barrier_wait -1
	s_barrier_signal -1
	s_barrier_wait -1
	s_and_saveexec_b32 s10, s1
; %bb.484:                              ;   in Loop: Header=BB132_3 Depth=1
	s_delay_alu instid0(VALU_DEP_1)
	v_xor_b32_e32 v37, 0x80000000, v37
	ds_store_b64 v43, v[36:37] offset:14576
; %bb.485:                              ;   in Loop: Header=BB132_3 Depth=1
	s_or_b32 exec_lo, exec_lo, s10
	s_wait_dscnt 0x0
	s_barrier_signal -1
	s_barrier_wait -1
	s_barrier_signal -1
	s_barrier_wait -1
	s_and_saveexec_b32 s10, s93
	s_cbranch_execz .LBB132_487
; %bb.486:                              ;   in Loop: Header=BB132_3 Depth=1
	ds_load_b64 v[36:37], v79 offset:14576
	s_wait_dscnt 0x0
	ds_store_b64 v77, v[36:37] offset:15584
	ds_load_b64 v[36:37], v79 offset:14584
	s_wait_dscnt 0x0
	ds_store_b64 v77, v[36:37] offset:16096
.LBB132_487:                            ;   in Loop: Header=BB132_3 Depth=1
	s_or_b32 exec_lo, exec_lo, s10
	s_wait_dscnt 0x0
	s_barrier_signal -1
	s_barrier_wait -1
	s_and_saveexec_b32 s10, s14
	s_cbranch_execz .LBB132_489
; %bb.488:                              ;   in Loop: Header=BB132_3 Depth=1
	ds_load_b128 v[36:39], v5 offset:15600
	ds_load_b64 v[40:41], v5 offset:16120
	s_wait_dscnt 0x0
	v_mul_f64_e32 v[36:37], v[36:37], v[40:41]
	s_delay_alu instid0(VALU_DEP_1)
	v_mul_f64_e32 v[36:37], v[38:39], v[36:37]
	v_add_nc_u32_e64 v38, 0x3800, 0
	ds_store_2addr_b64 v38, v[36:37], v[36:37] offset0:159 offset1:222
.LBB132_489:                            ;   in Loop: Header=BB132_3 Depth=1
	s_or_b32 exec_lo, exec_lo, s10
	v_mov_b64_e32 v[36:37], 0
	s_wait_dscnt 0x0
	s_barrier_signal -1
	s_barrier_wait -1
	s_and_saveexec_b32 s84, s35
	s_cbranch_execz .LBB132_551
; %bb.490:                              ;   in Loop: Header=BB132_3 Depth=1
	v_add_nc_u32_e32 v38, v70, v69
	ds_load_b64 v[36:37], v87 offset:256
	ds_load_b64 v[40:41], v38
	s_wait_dscnt 0x0
	v_fma_f64 v[36:37], v[36:37], v[40:41], 0
	s_mov_b32 s10, exec_lo
	v_readlane_b32 s12, v101, 6
	s_and_b32 s12, s10, s12
	s_delay_alu instid0(SALU_CYCLE_1)
	s_mov_b32 exec_lo, s12
	s_cbranch_execz .LBB132_492
; %bb.491:                              ;   in Loop: Header=BB132_3 Depth=1
	ds_load_b64 v[40:41], v87 offset:768
	ds_load_b64 v[94:95], v38 offset:8
	s_wait_dscnt 0x0
	v_fmac_f64_e32 v[36:37], v[40:41], v[94:95]
.LBB132_492:                            ;   in Loop: Header=BB132_3 Depth=1
	s_or_b32 exec_lo, exec_lo, s10
	s_delay_alu instid0(SALU_CYCLE_1) | instskip(SKIP_2) | instid1(SALU_CYCLE_1)
	s_mov_b32 s10, exec_lo
	v_readlane_b32 s12, v101, 7
	s_and_b32 s12, s10, s12
	s_mov_b32 exec_lo, s12
	s_cbranch_execz .LBB132_494
; %bb.493:                              ;   in Loop: Header=BB132_3 Depth=1
	ds_load_b64 v[40:41], v87 offset:1280
	ds_load_b64 v[94:95], v38 offset:16
	s_wait_dscnt 0x0
	v_fmac_f64_e32 v[36:37], v[40:41], v[94:95]
.LBB132_494:                            ;   in Loop: Header=BB132_3 Depth=1
	s_or_b32 exec_lo, exec_lo, s10
	s_delay_alu instid0(SALU_CYCLE_1) | instskip(SKIP_2) | instid1(SALU_CYCLE_1)
	s_mov_b32 s10, exec_lo
	v_readlane_b32 s12, v101, 8
	s_and_b32 s12, s10, s12
	;; [unrolled: 13-line block ×22, first 2 shown]
	s_mov_b32 exec_lo, s12
	s_cbranch_execz .LBB132_536
; %bb.535:                              ;   in Loop: Header=BB132_3 Depth=1
	ds_load_b64 v[40:41], v87 offset:12032
	ds_load_b64 v[94:95], v38 offset:184
	s_wait_dscnt 0x0
	v_fmac_f64_e32 v[36:37], v[40:41], v[94:95]
.LBB132_536:                            ;   in Loop: Header=BB132_3 Depth=1
	s_or_b32 exec_lo, exec_lo, s10
	s_and_saveexec_b32 s10, s5
	s_cbranch_execz .LBB132_538
; %bb.537:                              ;   in Loop: Header=BB132_3 Depth=1
	ds_load_b64 v[40:41], v87 offset:12544
	ds_load_b64 v[94:95], v38 offset:192
	s_wait_dscnt 0x0
	v_fmac_f64_e32 v[36:37], v[40:41], v[94:95]
.LBB132_538:                            ;   in Loop: Header=BB132_3 Depth=1
	s_or_b32 exec_lo, exec_lo, s10
	s_delay_alu instid0(SALU_CYCLE_1) | instskip(SKIP_2) | instid1(SALU_CYCLE_1)
	s_mov_b32 s10, exec_lo
	v_readlane_b32 s12, v102, 28
	s_and_b32 s12, s10, s12
	s_mov_b32 exec_lo, s12
	s_cbranch_execz .LBB132_540
; %bb.539:                              ;   in Loop: Header=BB132_3 Depth=1
	ds_load_b64 v[40:41], v87 offset:13056
	ds_load_b64 v[94:95], v38 offset:200
	s_wait_dscnt 0x0
	v_fmac_f64_e32 v[36:37], v[40:41], v[94:95]
.LBB132_540:                            ;   in Loop: Header=BB132_3 Depth=1
	s_or_b32 exec_lo, exec_lo, s10
	s_delay_alu instid0(SALU_CYCLE_1) | instskip(SKIP_2) | instid1(SALU_CYCLE_1)
	s_mov_b32 s10, exec_lo
	v_readlane_b32 s12, v102, 30
	s_and_b32 s12, s10, s12
	s_mov_b32 exec_lo, s12
	;; [unrolled: 13-line block ×5, first 2 shown]
	s_cbranch_execnz .LBB132_1123
; %bb.547:                              ;   in Loop: Header=BB132_3 Depth=1
	s_or_b32 exec_lo, exec_lo, s10
	s_and_saveexec_b32 s10, s4
	s_cbranch_execnz .LBB132_1124
.LBB132_548:                            ;   in Loop: Header=BB132_3 Depth=1
	s_or_b32 exec_lo, exec_lo, s10
	s_and_saveexec_b32 s10, s21
	s_cbranch_execz .LBB132_550
.LBB132_549:                            ;   in Loop: Header=BB132_3 Depth=1
	ds_load_b64 v[38:39], v45 offset:16128
	ds_load_b64 v[40:41], v5 offset:248
	s_wait_dscnt 0x0
	v_fmac_f64_e32 v[36:37], v[38:39], v[40:41]
.LBB132_550:                            ;   in Loop: Header=BB132_3 Depth=1
	s_or_b32 exec_lo, exec_lo, s10
	s_delay_alu instid0(VALU_DEP_1)
	v_xor_b32_e32 v37, 0x80000000, v37
.LBB132_551:                            ;   in Loop: Header=BB132_3 Depth=1
	s_or_b32 exec_lo, exec_lo, s84
	v_dual_mov_b32 v38, v68 :: v_dual_mov_b32 v39, v84
	s_mov_b32 s10, 0
	s_branch .LBB132_553
.LBB132_552:                            ;   in Loop: Header=BB132_553 Depth=2
	s_or_b32 exec_lo, exec_lo, s12
	v_add_nc_u32_e32 v39, 0x800, v39
	v_add_nc_u32_e32 v38, -4, v38
	s_add_co_i32 s10, s10, 4
	s_delay_alu instid0(SALU_CYCLE_1)
	s_cmp_eq_u32 s10, 32
	s_barrier_signal -1
	s_barrier_wait -1
	s_cbranch_scc1 .LBB132_569
.LBB132_553:                            ;   Parent Loop BB132_3 Depth=1
                                        ; =>  This Inner Loop Header: Depth=2
	s_delay_alu instid0(VALU_DEP_1) | instskip(SKIP_1) | instid1(SALU_CYCLE_1)
	v_cmp_eq_u32_e32 vcc_lo, 0, v38
	s_and_b32 s50, s13, vcc_lo
	s_and_saveexec_b32 s12, s50
	s_cbranch_execz .LBB132_555
; %bb.554:                              ;   in Loop: Header=BB132_553 Depth=2
	ds_load_b64 v[40:41], v83 offset:16640
	s_wait_dscnt 0x0
	v_mul_f64_e32 v[36:37], v[36:37], v[40:41]
	ds_store_b64 v86, v[36:37]
.LBB132_555:                            ;   in Loop: Header=BB132_553 Depth=2
	s_or_b32 exec_lo, exec_lo, s12
	v_cmp_lt_u32_e32 vcc_lo, s10, v68
	s_wait_dscnt 0x0
	s_barrier_signal -1
	s_barrier_wait -1
	s_and_b32 s50, s13, vcc_lo
	s_delay_alu instid0(SALU_CYCLE_1)
	s_and_saveexec_b32 s12, s50
	s_cbranch_execz .LBB132_557
; %bb.556:                              ;   in Loop: Header=BB132_553 Depth=2
	ds_load_b64 v[40:41], v39
	ds_load_b64 v[94:95], v86
	s_wait_dscnt 0x0
	v_fmac_f64_e32 v[36:37], v[40:41], v[94:95]
.LBB132_557:                            ;   in Loop: Header=BB132_553 Depth=2
	s_or_b32 exec_lo, exec_lo, s12
	s_or_b32 s12, s10, 1
	s_delay_alu instid0(SALU_CYCLE_1) | instskip(SKIP_3) | instid1(SALU_CYCLE_1)
	v_cmp_eq_u32_e32 vcc_lo, s12, v68
	s_barrier_signal -1
	s_barrier_wait -1
	s_and_b32 s51, s13, vcc_lo
	s_and_saveexec_b32 s50, s51
	s_cbranch_execz .LBB132_559
; %bb.558:                              ;   in Loop: Header=BB132_553 Depth=2
	ds_load_b64 v[40:41], v83 offset:16640
	s_wait_dscnt 0x0
	v_mul_f64_e32 v[36:37], v[36:37], v[40:41]
	ds_store_b64 v86, v[36:37]
.LBB132_559:                            ;   in Loop: Header=BB132_553 Depth=2
	s_or_b32 exec_lo, exec_lo, s50
	v_cmp_lt_u32_e32 vcc_lo, s12, v68
	s_wait_dscnt 0x0
	s_barrier_signal -1
	s_barrier_wait -1
	s_and_b32 s50, s13, vcc_lo
	s_delay_alu instid0(SALU_CYCLE_1)
	s_and_saveexec_b32 s12, s50
	s_cbranch_execz .LBB132_561
; %bb.560:                              ;   in Loop: Header=BB132_553 Depth=2
	ds_load_b64 v[40:41], v39 offset:512
	ds_load_b64 v[94:95], v86
	s_wait_dscnt 0x0
	v_fmac_f64_e32 v[36:37], v[40:41], v[94:95]
.LBB132_561:                            ;   in Loop: Header=BB132_553 Depth=2
	s_or_b32 exec_lo, exec_lo, s12
	s_or_b32 s12, s10, 2
	s_delay_alu instid0(SALU_CYCLE_1) | instskip(SKIP_3) | instid1(SALU_CYCLE_1)
	v_cmp_eq_u32_e32 vcc_lo, s12, v68
	s_barrier_signal -1
	s_barrier_wait -1
	s_and_b32 s51, s13, vcc_lo
	s_and_saveexec_b32 s50, s51
	s_cbranch_execz .LBB132_563
; %bb.562:                              ;   in Loop: Header=BB132_553 Depth=2
	ds_load_b64 v[40:41], v83 offset:16640
	s_wait_dscnt 0x0
	v_mul_f64_e32 v[36:37], v[36:37], v[40:41]
	ds_store_b64 v86, v[36:37]
.LBB132_563:                            ;   in Loop: Header=BB132_553 Depth=2
	s_or_b32 exec_lo, exec_lo, s50
	v_cmp_lt_u32_e32 vcc_lo, s12, v68
	s_wait_dscnt 0x0
	s_barrier_signal -1
	s_barrier_wait -1
	s_and_b32 s50, s13, vcc_lo
	s_delay_alu instid0(SALU_CYCLE_1)
	s_and_saveexec_b32 s12, s50
	s_cbranch_execz .LBB132_565
; %bb.564:                              ;   in Loop: Header=BB132_553 Depth=2
	ds_load_b64 v[40:41], v39 offset:1024
	ds_load_b64 v[94:95], v86
	s_wait_dscnt 0x0
	v_fmac_f64_e32 v[36:37], v[40:41], v[94:95]
.LBB132_565:                            ;   in Loop: Header=BB132_553 Depth=2
	s_or_b32 exec_lo, exec_lo, s12
	s_or_b32 s12, s10, 3
	s_delay_alu instid0(SALU_CYCLE_1) | instskip(SKIP_3) | instid1(SALU_CYCLE_1)
	v_cmp_eq_u32_e32 vcc_lo, s12, v68
	s_barrier_signal -1
	s_barrier_wait -1
	s_and_b32 s51, s13, vcc_lo
	s_and_saveexec_b32 s50, s51
	s_cbranch_execz .LBB132_567
; %bb.566:                              ;   in Loop: Header=BB132_553 Depth=2
	ds_load_b64 v[40:41], v83 offset:16640
	s_wait_dscnt 0x0
	v_mul_f64_e32 v[36:37], v[36:37], v[40:41]
	ds_store_b64 v86, v[36:37]
.LBB132_567:                            ;   in Loop: Header=BB132_553 Depth=2
	s_or_b32 exec_lo, exec_lo, s50
	v_cmp_lt_u32_e32 vcc_lo, s12, v68
	s_wait_dscnt 0x0
	s_barrier_signal -1
	s_barrier_wait -1
	s_and_b32 s50, s13, vcc_lo
	s_delay_alu instid0(SALU_CYCLE_1)
	s_and_saveexec_b32 s12, s50
	s_cbranch_execz .LBB132_552
; %bb.568:                              ;   in Loop: Header=BB132_553 Depth=2
	ds_load_b64 v[40:41], v39 offset:1536
	ds_load_b64 v[94:95], v86
	s_wait_dscnt 0x0
	v_fmac_f64_e32 v[36:37], v[40:41], v[94:95]
	s_branch .LBB132_552
.LBB132_569:                            ;   in Loop: Header=BB132_3 Depth=1
	s_and_saveexec_b32 s10, s35
; %bb.570:                              ;   in Loop: Header=BB132_3 Depth=1
	s_delay_alu instid0(VALU_DEP_3)
	v_xor_b32_e32 v37, 0x80000000, v37
	ds_store_b64 v87, v[36:37] offset:256
; %bb.571:                              ;   in Loop: Header=BB132_3 Depth=1
	s_or_b32 exec_lo, exec_lo, s10
	s_wait_dscnt 0x0
	s_barrier_signal -1
	s_barrier_wait -1
	s_barrier_signal -1
	s_barrier_wait -1
	s_mov_b32 s10, exec_lo
	v_readlane_b32 s12, v102, 9
	s_and_b32 s12, s10, s12
	s_delay_alu instid0(SALU_CYCLE_1)
	s_mov_b32 exec_lo, s12
	s_cbranch_execz .LBB132_573
; %bb.572:                              ;   in Loop: Header=BB132_3 Depth=1
	ds_load_b64 v[36:37], v48 offset:256
	s_wait_dscnt 0x0
	ds_store_b64 v52, v[36:37] offset:16384
	ds_load_b64 v[36:37], v48 offset:264
	s_wait_dscnt 0x0
	ds_store_b64 v52, v[36:37] offset:16896
	;; [unrolled: 3-line block ×32, first 2 shown]
.LBB132_573:                            ;   in Loop: Header=BB132_3 Depth=1
	s_or_b32 exec_lo, exec_lo, s10
	s_wait_dscnt 0x0
	s_barrier_signal -1
	s_barrier_wait -1
	s_and_saveexec_b32 s10, s14
	s_cbranch_execz .LBB132_575
; %bb.574:                              ;   in Loop: Header=BB132_3 Depth=1
	ds_load_b128 v[36:39], v5 offset:16640
	ds_load_b64 v[40:41], v5 offset:17160
	s_wait_dscnt 0x0
	v_mul_f64_e32 v[36:37], v[36:37], v[40:41]
	s_delay_alu instid0(VALU_DEP_1)
	v_mul_f64_e32 v[36:37], v[38:39], v[36:37]
	v_add_nc_u32_e64 v38, 0x4000, 0
	ds_store_2addr_b64 v38, v[36:37], v[36:37] offset0:33 offset1:96
.LBB132_575:                            ;   in Loop: Header=BB132_3 Depth=1
	s_or_b32 exec_lo, exec_lo, s10
	v_mov_b64_e32 v[36:37], 0
	s_wait_dscnt 0x0
	s_barrier_signal -1
	s_barrier_wait -1
	s_and_saveexec_b32 s10, s1
	s_cbranch_execz .LBB132_579
; %bb.576:                              ;   in Loop: Header=BB132_3 Depth=1
	ds_load_b64 v[36:37], v43 offset:16656
	ds_load_b64 v[38:39], v44 offset:16640
	s_wait_dscnt 0x0
	v_fma_f64 v[36:37], v[36:37], v[38:39], 0
	s_and_saveexec_b32 s12, s15
	s_cbranch_execz .LBB132_578
; %bb.577:                              ;   in Loop: Header=BB132_3 Depth=1
	ds_load_b64 v[38:39], v45 offset:17168
	ds_load_b64 v[40:41], v5 offset:16648
	s_wait_dscnt 0x0
	v_fmac_f64_e32 v[36:37], v[38:39], v[40:41]
.LBB132_578:                            ;   in Loop: Header=BB132_3 Depth=1
	s_or_b32 exec_lo, exec_lo, s12
	s_delay_alu instid0(VALU_DEP_1)
	v_xor_b32_e32 v37, 0x80000000, v37
.LBB132_579:                            ;   in Loop: Header=BB132_3 Depth=1
	s_or_b32 exec_lo, exec_lo, s10
	s_and_saveexec_b32 s10, s91
	s_cbranch_execz .LBB132_581
; %bb.580:                              ;   in Loop: Header=BB132_3 Depth=1
	ds_load_b64 v[38:39], v5 offset:17680
	s_wait_dscnt 0x0
	v_mul_f64_e32 v[36:37], v[36:37], v[38:39]
	ds_store_b64 v3, v[36:37]
.LBB132_581:                            ;   in Loop: Header=BB132_3 Depth=1
	s_or_b32 exec_lo, exec_lo, s10
	s_wait_dscnt 0x0
	s_barrier_signal -1
	s_barrier_wait -1
	s_and_saveexec_b32 s10, s92
	s_cbranch_execz .LBB132_583
; %bb.582:                              ;   in Loop: Header=BB132_3 Depth=1
	ds_load_b64 v[38:39], v5 offset:17688
	ds_load_b64 v[40:41], v3
	s_wait_dscnt 0x0
	v_fmac_f64_e32 v[36:37], v[38:39], v[40:41]
.LBB132_583:                            ;   in Loop: Header=BB132_3 Depth=1
	s_or_b32 exec_lo, exec_lo, s10
	s_barrier_signal -1
	s_barrier_wait -1
	s_and_saveexec_b32 s10, s92
	s_cbranch_execz .LBB132_585
; %bb.584:                              ;   in Loop: Header=BB132_3 Depth=1
	ds_load_b64 v[38:39], v5 offset:18200
	s_wait_dscnt 0x0
	v_mul_f64_e32 v[36:37], v[36:37], v[38:39]
	ds_store_b64 v3, v[36:37]
.LBB132_585:                            ;   in Loop: Header=BB132_3 Depth=1
	s_or_b32 exec_lo, exec_lo, s10
	s_wait_dscnt 0x0
	s_barrier_signal -1
	s_barrier_wait -1
	s_barrier_signal -1
	s_barrier_wait -1
	s_and_saveexec_b32 s10, s1
; %bb.586:                              ;   in Loop: Header=BB132_3 Depth=1
	s_delay_alu instid0(VALU_DEP_1)
	v_xor_b32_e32 v37, 0x80000000, v37
	ds_store_b64 v43, v[36:37] offset:16656
; %bb.587:                              ;   in Loop: Header=BB132_3 Depth=1
	s_or_b32 exec_lo, exec_lo, s10
	s_wait_dscnt 0x0
	s_barrier_signal -1
	s_barrier_wait -1
	s_barrier_signal -1
	s_barrier_wait -1
	s_and_saveexec_b32 s10, s93
	s_cbranch_execz .LBB132_589
; %bb.588:                              ;   in Loop: Header=BB132_3 Depth=1
	ds_load_b64 v[36:37], v48 offset:16656
	s_wait_dscnt 0x0
	ds_store_b64 v45, v[36:37] offset:17664
	ds_load_b64 v[36:37], v48 offset:16664
	s_wait_dscnt 0x0
	ds_store_b64 v45, v[36:37] offset:18176
.LBB132_589:                            ;   in Loop: Header=BB132_3 Depth=1
	s_or_b32 exec_lo, exec_lo, s10
	s_wait_dscnt 0x0
	s_barrier_signal -1
	s_barrier_wait -1
	s_and_saveexec_b32 s10, s14
	s_cbranch_execz .LBB132_591
; %bb.590:                              ;   in Loop: Header=BB132_3 Depth=1
	ds_load_b128 v[36:39], v5 offset:17680
	ds_load_b64 v[40:41], v5 offset:18200
	s_wait_dscnt 0x0
	v_mul_f64_e32 v[36:37], v[36:37], v[40:41]
	s_delay_alu instid0(VALU_DEP_1)
	v_mul_f64_e32 v[36:37], v[38:39], v[36:37]
	v_add_nc_u32_e64 v38, 0x4000, 0
	ds_store_2addr_b64 v38, v[36:37], v[36:37] offset0:163 offset1:226
.LBB132_591:                            ;   in Loop: Header=BB132_3 Depth=1
	s_or_b32 exec_lo, exec_lo, s10
	v_mov_b64_e32 v[36:37], 0
	s_wait_dscnt 0x0
	s_barrier_signal -1
	s_barrier_wait -1
	s_and_saveexec_b32 s10, s3
	s_cbranch_execz .LBB132_597
; %bb.592:                              ;   in Loop: Header=BB132_3 Depth=1
	ds_load_b64 v[36:37], v50 offset:16672
	ds_load_b64 v[38:39], v46 offset:16640
	s_wait_dscnt 0x0
	v_fma_f64 v[36:37], v[36:37], v[38:39], 0
	s_and_saveexec_b32 s12, s16
	s_cbranch_execnz .LBB132_1125
; %bb.593:                              ;   in Loop: Header=BB132_3 Depth=1
	s_or_b32 exec_lo, exec_lo, s12
	s_and_saveexec_b32 s12, s17
	s_cbranch_execnz .LBB132_1126
.LBB132_594:                            ;   in Loop: Header=BB132_3 Depth=1
	s_or_b32 exec_lo, exec_lo, s12
	s_and_saveexec_b32 s12, s1
	s_cbranch_execz .LBB132_596
.LBB132_595:                            ;   in Loop: Header=BB132_3 Depth=1
	ds_load_b64 v[38:39], v52 offset:18208
	ds_load_b64 v[40:41], v5 offset:16664
	s_wait_dscnt 0x0
	v_fmac_f64_e32 v[36:37], v[38:39], v[40:41]
.LBB132_596:                            ;   in Loop: Header=BB132_3 Depth=1
	s_or_b32 exec_lo, exec_lo, s12
	s_delay_alu instid0(VALU_DEP_1)
	v_xor_b32_e32 v37, 0x80000000, v37
.LBB132_597:                            ;   in Loop: Header=BB132_3 Depth=1
	s_or_b32 exec_lo, exec_lo, s10
	s_and_saveexec_b32 s10, s94
	s_cbranch_execz .LBB132_599
; %bb.598:                              ;   in Loop: Header=BB132_3 Depth=1
	ds_load_b64 v[38:39], v5 offset:18720
	s_wait_dscnt 0x0
	v_mul_f64_e32 v[36:37], v[36:37], v[38:39]
	ds_store_b64 v49, v[36:37]
.LBB132_599:                            ;   in Loop: Header=BB132_3 Depth=1
	s_or_b32 exec_lo, exec_lo, s10
	s_wait_dscnt 0x0
	s_barrier_signal -1
	s_barrier_wait -1
	s_and_saveexec_b32 s10, s95
	s_cbranch_execz .LBB132_601
; %bb.600:                              ;   in Loop: Header=BB132_3 Depth=1
	ds_load_b64 v[38:39], v47 offset:18720
	ds_load_b64 v[40:41], v49
	s_wait_dscnt 0x0
	v_fmac_f64_e32 v[36:37], v[38:39], v[40:41]
.LBB132_601:                            ;   in Loop: Header=BB132_3 Depth=1
	s_or_b32 exec_lo, exec_lo, s10
	s_barrier_signal -1
	s_barrier_wait -1
	s_and_saveexec_b32 s10, s96
	s_cbranch_execz .LBB132_603
; %bb.602:                              ;   in Loop: Header=BB132_3 Depth=1
	ds_load_b64 v[38:39], v5 offset:19240
	s_wait_dscnt 0x0
	v_mul_f64_e32 v[36:37], v[36:37], v[38:39]
	ds_store_b64 v49, v[36:37]
.LBB132_603:                            ;   in Loop: Header=BB132_3 Depth=1
	s_or_b32 exec_lo, exec_lo, s10
	s_wait_dscnt 0x0
	s_barrier_signal -1
	s_barrier_wait -1
	s_and_saveexec_b32 s10, s97
	s_cbranch_execz .LBB132_605
; %bb.604:                              ;   in Loop: Header=BB132_3 Depth=1
	ds_load_b64 v[38:39], v47 offset:19232
	ds_load_b64 v[40:41], v49
	s_wait_dscnt 0x0
	v_fmac_f64_e32 v[36:37], v[38:39], v[40:41]
.LBB132_605:                            ;   in Loop: Header=BB132_3 Depth=1
	s_or_b32 exec_lo, exec_lo, s10
	s_barrier_signal -1
	s_barrier_wait -1
	;; [unrolled: 23-line block ×3, first 2 shown]
	s_and_saveexec_b32 s10, s99
	s_cbranch_execz .LBB132_611
; %bb.610:                              ;   in Loop: Header=BB132_3 Depth=1
	ds_load_b64 v[38:39], v5 offset:20280
	s_wait_dscnt 0x0
	v_mul_f64_e32 v[36:37], v[36:37], v[38:39]
	ds_store_b64 v49, v[36:37]
.LBB132_611:                            ;   in Loop: Header=BB132_3 Depth=1
	s_or_b32 exec_lo, exec_lo, s10
	s_wait_dscnt 0x0
	s_barrier_signal -1
	s_barrier_wait -1
	s_barrier_signal -1
	s_barrier_wait -1
	s_and_saveexec_b32 s10, s3
; %bb.612:                              ;   in Loop: Header=BB132_3 Depth=1
	s_delay_alu instid0(VALU_DEP_1)
	v_xor_b32_e32 v37, 0x80000000, v37
	ds_store_b64 v50, v[36:37] offset:16672
; %bb.613:                              ;   in Loop: Header=BB132_3 Depth=1
	s_or_b32 exec_lo, exec_lo, s10
	s_wait_dscnt 0x0
	s_barrier_signal -1
	s_barrier_wait -1
	s_barrier_signal -1
	s_barrier_wait -1
	s_and_saveexec_b32 s10, s100
	s_cbranch_execz .LBB132_615
; %bb.614:                              ;   in Loop: Header=BB132_3 Depth=1
	ds_load_b64 v[36:37], v53 offset:16672
	s_wait_dscnt 0x0
	ds_store_b64 v54, v[36:37] offset:18688
	ds_load_b64 v[36:37], v53 offset:16680
	s_wait_dscnt 0x0
	ds_store_b64 v54, v[36:37] offset:19200
	;; [unrolled: 3-line block ×4, first 2 shown]
.LBB132_615:                            ;   in Loop: Header=BB132_3 Depth=1
	s_or_b32 exec_lo, exec_lo, s10
	s_wait_dscnt 0x0
	s_barrier_signal -1
	s_barrier_wait -1
	s_and_saveexec_b32 s10, s14
	s_cbranch_execz .LBB132_617
; %bb.616:                              ;   in Loop: Header=BB132_3 Depth=1
	ds_load_b128 v[36:39], v5 offset:18720
	ds_load_b64 v[40:41], v5 offset:19240
	s_wait_dscnt 0x0
	v_mul_f64_e32 v[36:37], v[36:37], v[40:41]
	s_delay_alu instid0(VALU_DEP_1)
	v_mul_f64_e32 v[36:37], v[38:39], v[36:37]
	v_add_nc_u32_e64 v38, 0x4800, 0
	ds_store_2addr_b64 v38, v[36:37], v[36:37] offset0:37 offset1:100
.LBB132_617:                            ;   in Loop: Header=BB132_3 Depth=1
	s_or_b32 exec_lo, exec_lo, s10
	v_mov_b64_e32 v[36:37], 0
	s_wait_dscnt 0x0
	s_barrier_signal -1
	s_barrier_wait -1
	s_and_saveexec_b32 s10, s1
	s_cbranch_execz .LBB132_621
; %bb.618:                              ;   in Loop: Header=BB132_3 Depth=1
	ds_load_b64 v[36:37], v43 offset:18736
	ds_load_b64 v[38:39], v44 offset:18720
	s_wait_dscnt 0x0
	v_fma_f64 v[36:37], v[36:37], v[38:39], 0
	s_and_saveexec_b32 s12, s15
	s_cbranch_execz .LBB132_620
; %bb.619:                              ;   in Loop: Header=BB132_3 Depth=1
	ds_load_b64 v[38:39], v54 offset:19248
	ds_load_b64 v[40:41], v5 offset:18728
	s_wait_dscnt 0x0
	v_fmac_f64_e32 v[36:37], v[38:39], v[40:41]
.LBB132_620:                            ;   in Loop: Header=BB132_3 Depth=1
	s_or_b32 exec_lo, exec_lo, s12
	s_delay_alu instid0(VALU_DEP_1)
	v_xor_b32_e32 v37, 0x80000000, v37
.LBB132_621:                            ;   in Loop: Header=BB132_3 Depth=1
	s_or_b32 exec_lo, exec_lo, s10
	s_and_saveexec_b32 s10, s91
	s_cbranch_execz .LBB132_623
; %bb.622:                              ;   in Loop: Header=BB132_3 Depth=1
	ds_load_b64 v[38:39], v5 offset:19760
	s_wait_dscnt 0x0
	v_mul_f64_e32 v[36:37], v[36:37], v[38:39]
	ds_store_b64 v3, v[36:37]
.LBB132_623:                            ;   in Loop: Header=BB132_3 Depth=1
	s_or_b32 exec_lo, exec_lo, s10
	s_wait_dscnt 0x0
	s_barrier_signal -1
	s_barrier_wait -1
	s_and_saveexec_b32 s10, s92
	s_cbranch_execz .LBB132_625
; %bb.624:                              ;   in Loop: Header=BB132_3 Depth=1
	ds_load_b64 v[38:39], v5 offset:19768
	ds_load_b64 v[40:41], v3
	s_wait_dscnt 0x0
	v_fmac_f64_e32 v[36:37], v[38:39], v[40:41]
.LBB132_625:                            ;   in Loop: Header=BB132_3 Depth=1
	s_or_b32 exec_lo, exec_lo, s10
	s_barrier_signal -1
	s_barrier_wait -1
	s_and_saveexec_b32 s10, s92
	s_cbranch_execz .LBB132_627
; %bb.626:                              ;   in Loop: Header=BB132_3 Depth=1
	ds_load_b64 v[38:39], v5 offset:20280
	s_wait_dscnt 0x0
	v_mul_f64_e32 v[36:37], v[36:37], v[38:39]
	ds_store_b64 v3, v[36:37]
.LBB132_627:                            ;   in Loop: Header=BB132_3 Depth=1
	s_or_b32 exec_lo, exec_lo, s10
	s_wait_dscnt 0x0
	s_barrier_signal -1
	s_barrier_wait -1
	s_barrier_signal -1
	s_barrier_wait -1
	s_and_saveexec_b32 s10, s1
; %bb.628:                              ;   in Loop: Header=BB132_3 Depth=1
	s_delay_alu instid0(VALU_DEP_1)
	v_xor_b32_e32 v37, 0x80000000, v37
	ds_store_b64 v43, v[36:37] offset:18736
; %bb.629:                              ;   in Loop: Header=BB132_3 Depth=1
	s_or_b32 exec_lo, exec_lo, s10
	s_wait_dscnt 0x0
	s_barrier_signal -1
	s_barrier_wait -1
	s_barrier_signal -1
	s_barrier_wait -1
	s_and_saveexec_b32 s10, s93
	s_cbranch_execz .LBB132_631
; %bb.630:                              ;   in Loop: Header=BB132_3 Depth=1
	ds_load_b64 v[36:37], v57 offset:18736
	s_wait_dscnt 0x0
	ds_store_b64 v54, v[36:37] offset:19744
	ds_load_b64 v[36:37], v57 offset:18744
	s_wait_dscnt 0x0
	ds_store_b64 v54, v[36:37] offset:20256
.LBB132_631:                            ;   in Loop: Header=BB132_3 Depth=1
	s_or_b32 exec_lo, exec_lo, s10
	s_wait_dscnt 0x0
	s_barrier_signal -1
	s_barrier_wait -1
	s_and_saveexec_b32 s10, s14
	s_cbranch_execz .LBB132_633
; %bb.632:                              ;   in Loop: Header=BB132_3 Depth=1
	ds_load_b128 v[36:39], v5 offset:19760
	ds_load_b64 v[40:41], v5 offset:20280
	s_wait_dscnt 0x0
	v_mul_f64_e32 v[36:37], v[36:37], v[40:41]
	s_delay_alu instid0(VALU_DEP_1)
	v_mul_f64_e32 v[36:37], v[38:39], v[36:37]
	v_add_nc_u32_e64 v38, 0x4800, 0
	ds_store_2addr_b64 v38, v[36:37], v[36:37] offset0:167 offset1:230
.LBB132_633:                            ;   in Loop: Header=BB132_3 Depth=1
	s_or_b32 exec_lo, exec_lo, s10
	v_mov_b64_e32 v[36:37], 0
	s_wait_dscnt 0x0
	s_barrier_signal -1
	s_barrier_wait -1
	s_and_saveexec_b32 s10, s4
	s_cbranch_execz .LBB132_643
; %bb.634:                              ;   in Loop: Header=BB132_3 Depth=1
	ds_load_b64 v[36:37], v59 offset:16704
	ds_load_b64 v[38:39], v55 offset:16640
	s_wait_dscnt 0x0
	v_fma_f64 v[36:37], v[36:37], v[38:39], 0
	s_and_saveexec_b32 s12, s18
	s_cbranch_execnz .LBB132_1127
; %bb.635:                              ;   in Loop: Header=BB132_3 Depth=1
	s_or_b32 exec_lo, exec_lo, s12
	s_and_saveexec_b32 s12, s19
	s_cbranch_execnz .LBB132_1128
.LBB132_636:                            ;   in Loop: Header=BB132_3 Depth=1
	s_or_b32 exec_lo, exec_lo, s12
	s_and_saveexec_b32 s12, s20
	s_cbranch_execnz .LBB132_1129
.LBB132_637:                            ;   in Loop: Header=BB132_3 Depth=1
	s_or_b32 exec_lo, exec_lo, s12
	s_and_saveexec_b32 s12, s21
	s_cbranch_execnz .LBB132_1130
.LBB132_638:                            ;   in Loop: Header=BB132_3 Depth=1
	s_or_b32 exec_lo, exec_lo, s12
	s_and_saveexec_b32 s12, s22
	s_cbranch_execnz .LBB132_1131
.LBB132_639:                            ;   in Loop: Header=BB132_3 Depth=1
	s_or_b32 exec_lo, exec_lo, s12
	s_and_saveexec_b32 s12, s3
	s_cbranch_execnz .LBB132_1132
.LBB132_640:                            ;   in Loop: Header=BB132_3 Depth=1
	s_or_b32 exec_lo, exec_lo, s12
	s_and_saveexec_b32 s12, s17
	s_cbranch_execz .LBB132_642
.LBB132_641:                            ;   in Loop: Header=BB132_3 Depth=1
	ds_load_b64 v[38:39], v61 offset:20288
	ds_load_b64 v[40:41], v5 offset:16696
	s_wait_dscnt 0x0
	v_fmac_f64_e32 v[36:37], v[38:39], v[40:41]
.LBB132_642:                            ;   in Loop: Header=BB132_3 Depth=1
	s_or_b32 exec_lo, exec_lo, s12
	s_delay_alu instid0(VALU_DEP_1)
	v_xor_b32_e32 v37, 0x80000000, v37
.LBB132_643:                            ;   in Loop: Header=BB132_3 Depth=1
	s_or_b32 exec_lo, exec_lo, s10
	s_and_saveexec_b32 s10, s101
	s_cbranch_execz .LBB132_645
; %bb.644:                              ;   in Loop: Header=BB132_3 Depth=1
	ds_load_b64 v[38:39], v5 offset:20800
	s_wait_dscnt 0x0
	v_mul_f64_e32 v[36:37], v[36:37], v[38:39]
	ds_store_b64 v58, v[36:37]
.LBB132_645:                            ;   in Loop: Header=BB132_3 Depth=1
	s_or_b32 exec_lo, exec_lo, s10
	s_wait_dscnt 0x0
	s_barrier_signal -1
	s_barrier_wait -1
	s_and_saveexec_b32 s10, s102
	s_cbranch_execz .LBB132_647
; %bb.646:                              ;   in Loop: Header=BB132_3 Depth=1
	ds_load_b64 v[38:39], v56 offset:20800
	ds_load_b64 v[40:41], v58
	s_wait_dscnt 0x0
	v_fmac_f64_e32 v[36:37], v[38:39], v[40:41]
.LBB132_647:                            ;   in Loop: Header=BB132_3 Depth=1
	s_or_b32 exec_lo, exec_lo, s10
	s_barrier_signal -1
	s_barrier_wait -1
	s_and_saveexec_b32 s10, s103
	s_cbranch_execz .LBB132_649
; %bb.648:                              ;   in Loop: Header=BB132_3 Depth=1
	ds_load_b64 v[38:39], v5 offset:21320
	s_wait_dscnt 0x0
	v_mul_f64_e32 v[36:37], v[36:37], v[38:39]
	ds_store_b64 v58, v[36:37]
.LBB132_649:                            ;   in Loop: Header=BB132_3 Depth=1
	s_or_b32 exec_lo, exec_lo, s10
	s_wait_dscnt 0x0
	s_barrier_signal -1
	s_barrier_wait -1
	s_and_saveexec_b32 s10, s104
	s_cbranch_execz .LBB132_651
; %bb.650:                              ;   in Loop: Header=BB132_3 Depth=1
	ds_load_b64 v[38:39], v56 offset:21312
	ds_load_b64 v[40:41], v58
	s_wait_dscnt 0x0
	v_fmac_f64_e32 v[36:37], v[38:39], v[40:41]
.LBB132_651:                            ;   in Loop: Header=BB132_3 Depth=1
	s_or_b32 exec_lo, exec_lo, s10
	s_barrier_signal -1
	s_barrier_wait -1
	s_and_saveexec_b32 s10, vcc_hi
	s_cbranch_execz .LBB132_653
; %bb.652:                              ;   in Loop: Header=BB132_3 Depth=1
	ds_load_b64 v[38:39], v5 offset:21840
	s_wait_dscnt 0x0
	v_mul_f64_e32 v[36:37], v[36:37], v[38:39]
	ds_store_b64 v58, v[36:37]
.LBB132_653:                            ;   in Loop: Header=BB132_3 Depth=1
	s_or_b32 exec_lo, exec_lo, s10
	s_wait_dscnt 0x0
	s_barrier_signal -1
	s_barrier_wait -1
	s_and_saveexec_b32 s10, s36
	s_cbranch_execz .LBB132_655
; %bb.654:                              ;   in Loop: Header=BB132_3 Depth=1
	ds_load_b64 v[38:39], v56 offset:21824
	ds_load_b64 v[40:41], v58
	s_wait_dscnt 0x0
	v_fmac_f64_e32 v[36:37], v[38:39], v[40:41]
.LBB132_655:                            ;   in Loop: Header=BB132_3 Depth=1
	s_or_b32 exec_lo, exec_lo, s10
	s_barrier_signal -1
	s_barrier_wait -1
	s_and_saveexec_b32 s10, s37
	s_cbranch_execz .LBB132_657
; %bb.656:                              ;   in Loop: Header=BB132_3 Depth=1
	ds_load_b64 v[38:39], v5 offset:22360
	s_wait_dscnt 0x0
	v_mul_f64_e32 v[36:37], v[36:37], v[38:39]
	ds_store_b64 v58, v[36:37]
.LBB132_657:                            ;   in Loop: Header=BB132_3 Depth=1
	s_or_b32 exec_lo, exec_lo, s10
	s_wait_dscnt 0x0
	s_barrier_signal -1
	s_barrier_wait -1
	s_and_saveexec_b32 s10, s38
	s_cbranch_execz .LBB132_659
; %bb.658:                              ;   in Loop: Header=BB132_3 Depth=1
	ds_load_b64 v[38:39], v56 offset:22336
	ds_load_b64 v[40:41], v58
	s_wait_dscnt 0x0
	v_fmac_f64_e32 v[36:37], v[38:39], v[40:41]
.LBB132_659:                            ;   in Loop: Header=BB132_3 Depth=1
	s_or_b32 exec_lo, exec_lo, s10
	s_barrier_signal -1
	s_barrier_wait -1
	s_and_saveexec_b32 s10, s39
	;; [unrolled: 23-line block ×5, first 2 shown]
	s_cbranch_execz .LBB132_673
; %bb.672:                              ;   in Loop: Header=BB132_3 Depth=1
	ds_load_b64 v[38:39], v5 offset:24440
	s_wait_dscnt 0x0
	v_mul_f64_e32 v[36:37], v[36:37], v[38:39]
	ds_store_b64 v58, v[36:37]
.LBB132_673:                            ;   in Loop: Header=BB132_3 Depth=1
	s_or_b32 exec_lo, exec_lo, s10
	s_wait_dscnt 0x0
	s_barrier_signal -1
	s_barrier_wait -1
	s_barrier_signal -1
	s_barrier_wait -1
	s_and_saveexec_b32 s10, s4
; %bb.674:                              ;   in Loop: Header=BB132_3 Depth=1
	s_delay_alu instid0(VALU_DEP_1)
	v_xor_b32_e32 v37, 0x80000000, v37
	ds_store_b64 v59, v[36:37] offset:16704
; %bb.675:                              ;   in Loop: Header=BB132_3 Depth=1
	s_or_b32 exec_lo, exec_lo, s10
	s_wait_dscnt 0x0
	s_barrier_signal -1
	s_barrier_wait -1
	s_barrier_signal -1
	s_barrier_wait -1
	s_and_saveexec_b32 s10, s45
	s_cbranch_execz .LBB132_677
; %bb.676:                              ;   in Loop: Header=BB132_3 Depth=1
	ds_load_b64 v[36:37], v63 offset:16704
	s_wait_dscnt 0x0
	ds_store_b64 v71, v[36:37] offset:20736
	ds_load_b64 v[36:37], v63 offset:16712
	s_wait_dscnt 0x0
	ds_store_b64 v71, v[36:37] offset:21248
	;; [unrolled: 3-line block ×8, first 2 shown]
.LBB132_677:                            ;   in Loop: Header=BB132_3 Depth=1
	s_or_b32 exec_lo, exec_lo, s10
	s_wait_dscnt 0x0
	s_barrier_signal -1
	s_barrier_wait -1
	s_and_saveexec_b32 s10, s14
	s_cbranch_execz .LBB132_679
; %bb.678:                              ;   in Loop: Header=BB132_3 Depth=1
	ds_load_b128 v[36:39], v5 offset:20800
	ds_load_b64 v[40:41], v5 offset:21320
	s_wait_dscnt 0x0
	v_mul_f64_e32 v[36:37], v[36:37], v[40:41]
	s_delay_alu instid0(VALU_DEP_1)
	v_mul_f64_e32 v[36:37], v[38:39], v[36:37]
	v_add_nc_u32_e64 v38, 0x5000, 0
	ds_store_2addr_b64 v38, v[36:37], v[36:37] offset0:41 offset1:104
.LBB132_679:                            ;   in Loop: Header=BB132_3 Depth=1
	s_or_b32 exec_lo, exec_lo, s10
	v_mov_b64_e32 v[36:37], 0
	s_wait_dscnt 0x0
	s_barrier_signal -1
	s_barrier_wait -1
	s_and_saveexec_b32 s10, s1
	s_cbranch_execz .LBB132_683
; %bb.680:                              ;   in Loop: Header=BB132_3 Depth=1
	ds_load_b64 v[36:37], v43 offset:20816
	ds_load_b64 v[38:39], v44 offset:20800
	s_wait_dscnt 0x0
	v_fma_f64 v[36:37], v[36:37], v[38:39], 0
	s_and_saveexec_b32 s12, s15
	s_cbranch_execz .LBB132_682
; %bb.681:                              ;   in Loop: Header=BB132_3 Depth=1
	ds_load_b64 v[38:39], v71 offset:21328
	ds_load_b64 v[40:41], v5 offset:20808
	s_wait_dscnt 0x0
	v_fmac_f64_e32 v[36:37], v[38:39], v[40:41]
.LBB132_682:                            ;   in Loop: Header=BB132_3 Depth=1
	s_or_b32 exec_lo, exec_lo, s12
	s_delay_alu instid0(VALU_DEP_1)
	v_xor_b32_e32 v37, 0x80000000, v37
.LBB132_683:                            ;   in Loop: Header=BB132_3 Depth=1
	s_or_b32 exec_lo, exec_lo, s10
	s_and_saveexec_b32 s10, s91
	s_cbranch_execz .LBB132_685
; %bb.684:                              ;   in Loop: Header=BB132_3 Depth=1
	ds_load_b64 v[38:39], v5 offset:21840
	s_wait_dscnt 0x0
	v_mul_f64_e32 v[36:37], v[36:37], v[38:39]
	ds_store_b64 v3, v[36:37]
.LBB132_685:                            ;   in Loop: Header=BB132_3 Depth=1
	s_or_b32 exec_lo, exec_lo, s10
	s_wait_dscnt 0x0
	s_barrier_signal -1
	s_barrier_wait -1
	s_and_saveexec_b32 s10, s92
	s_cbranch_execz .LBB132_687
; %bb.686:                              ;   in Loop: Header=BB132_3 Depth=1
	ds_load_b64 v[38:39], v5 offset:21848
	ds_load_b64 v[40:41], v3
	s_wait_dscnt 0x0
	v_fmac_f64_e32 v[36:37], v[38:39], v[40:41]
.LBB132_687:                            ;   in Loop: Header=BB132_3 Depth=1
	s_or_b32 exec_lo, exec_lo, s10
	s_barrier_signal -1
	s_barrier_wait -1
	s_and_saveexec_b32 s10, s92
	s_cbranch_execz .LBB132_689
; %bb.688:                              ;   in Loop: Header=BB132_3 Depth=1
	ds_load_b64 v[38:39], v5 offset:22360
	s_wait_dscnt 0x0
	v_mul_f64_e32 v[36:37], v[36:37], v[38:39]
	ds_store_b64 v3, v[36:37]
.LBB132_689:                            ;   in Loop: Header=BB132_3 Depth=1
	s_or_b32 exec_lo, exec_lo, s10
	s_wait_dscnt 0x0
	s_barrier_signal -1
	s_barrier_wait -1
	s_barrier_signal -1
	s_barrier_wait -1
	s_and_saveexec_b32 s10, s1
; %bb.690:                              ;   in Loop: Header=BB132_3 Depth=1
	s_delay_alu instid0(VALU_DEP_1)
	v_xor_b32_e32 v37, 0x80000000, v37
	ds_store_b64 v43, v[36:37] offset:20816
; %bb.691:                              ;   in Loop: Header=BB132_3 Depth=1
	s_or_b32 exec_lo, exec_lo, s10
	s_wait_dscnt 0x0
	s_barrier_signal -1
	s_barrier_wait -1
	s_barrier_signal -1
	s_barrier_wait -1
	s_and_saveexec_b32 s10, s93
	s_cbranch_execz .LBB132_693
; %bb.692:                              ;   in Loop: Header=BB132_3 Depth=1
	ds_load_b64 v[36:37], v72 offset:20816
	s_wait_dscnt 0x0
	ds_store_b64 v71, v[36:37] offset:21824
	ds_load_b64 v[36:37], v72 offset:20824
	s_wait_dscnt 0x0
	ds_store_b64 v71, v[36:37] offset:22336
.LBB132_693:                            ;   in Loop: Header=BB132_3 Depth=1
	s_or_b32 exec_lo, exec_lo, s10
	s_wait_dscnt 0x0
	s_barrier_signal -1
	s_barrier_wait -1
	s_and_saveexec_b32 s10, s14
	s_cbranch_execz .LBB132_695
; %bb.694:                              ;   in Loop: Header=BB132_3 Depth=1
	ds_load_b128 v[36:39], v5 offset:21840
	ds_load_b64 v[40:41], v5 offset:22360
	s_wait_dscnt 0x0
	v_mul_f64_e32 v[36:37], v[36:37], v[40:41]
	s_delay_alu instid0(VALU_DEP_1)
	v_mul_f64_e32 v[36:37], v[38:39], v[36:37]
	v_add_nc_u32_e64 v38, 0x5000, 0
	ds_store_2addr_b64 v38, v[36:37], v[36:37] offset0:171 offset1:234
.LBB132_695:                            ;   in Loop: Header=BB132_3 Depth=1
	s_or_b32 exec_lo, exec_lo, s10
	v_mov_b64_e32 v[36:37], 0
	s_wait_dscnt 0x0
	s_barrier_signal -1
	s_barrier_wait -1
	s_and_saveexec_b32 s10, s3
	s_cbranch_execz .LBB132_701
; %bb.696:                              ;   in Loop: Header=BB132_3 Depth=1
	ds_load_b64 v[36:37], v50 offset:20832
	ds_load_b64 v[38:39], v46 offset:20800
	s_wait_dscnt 0x0
	v_fma_f64 v[36:37], v[36:37], v[38:39], 0
	s_and_saveexec_b32 s12, s16
	s_cbranch_execnz .LBB132_1133
; %bb.697:                              ;   in Loop: Header=BB132_3 Depth=1
	s_or_b32 exec_lo, exec_lo, s12
	s_and_saveexec_b32 s12, s17
	s_cbranch_execnz .LBB132_1134
.LBB132_698:                            ;   in Loop: Header=BB132_3 Depth=1
	s_or_b32 exec_lo, exec_lo, s12
	s_and_saveexec_b32 s12, s1
	s_cbranch_execz .LBB132_700
.LBB132_699:                            ;   in Loop: Header=BB132_3 Depth=1
	ds_load_b64 v[38:39], v73 offset:22368
	ds_load_b64 v[40:41], v5 offset:20824
	s_wait_dscnt 0x0
	v_fmac_f64_e32 v[36:37], v[38:39], v[40:41]
.LBB132_700:                            ;   in Loop: Header=BB132_3 Depth=1
	s_or_b32 exec_lo, exec_lo, s12
	s_delay_alu instid0(VALU_DEP_1)
	v_xor_b32_e32 v37, 0x80000000, v37
.LBB132_701:                            ;   in Loop: Header=BB132_3 Depth=1
	s_or_b32 exec_lo, exec_lo, s10
	s_and_saveexec_b32 s10, s94
	s_cbranch_execz .LBB132_703
; %bb.702:                              ;   in Loop: Header=BB132_3 Depth=1
	ds_load_b64 v[38:39], v5 offset:22880
	s_wait_dscnt 0x0
	v_mul_f64_e32 v[36:37], v[36:37], v[38:39]
	ds_store_b64 v49, v[36:37]
.LBB132_703:                            ;   in Loop: Header=BB132_3 Depth=1
	s_or_b32 exec_lo, exec_lo, s10
	s_wait_dscnt 0x0
	s_barrier_signal -1
	s_barrier_wait -1
	s_and_saveexec_b32 s10, s95
	s_cbranch_execz .LBB132_705
; %bb.704:                              ;   in Loop: Header=BB132_3 Depth=1
	ds_load_b64 v[38:39], v47 offset:22880
	ds_load_b64 v[40:41], v49
	s_wait_dscnt 0x0
	v_fmac_f64_e32 v[36:37], v[38:39], v[40:41]
.LBB132_705:                            ;   in Loop: Header=BB132_3 Depth=1
	s_or_b32 exec_lo, exec_lo, s10
	s_barrier_signal -1
	s_barrier_wait -1
	s_and_saveexec_b32 s10, s96
	s_cbranch_execz .LBB132_707
; %bb.706:                              ;   in Loop: Header=BB132_3 Depth=1
	ds_load_b64 v[38:39], v5 offset:23400
	s_wait_dscnt 0x0
	v_mul_f64_e32 v[36:37], v[36:37], v[38:39]
	ds_store_b64 v49, v[36:37]
.LBB132_707:                            ;   in Loop: Header=BB132_3 Depth=1
	s_or_b32 exec_lo, exec_lo, s10
	s_wait_dscnt 0x0
	s_barrier_signal -1
	s_barrier_wait -1
	s_and_saveexec_b32 s10, s97
	s_cbranch_execz .LBB132_709
; %bb.708:                              ;   in Loop: Header=BB132_3 Depth=1
	ds_load_b64 v[38:39], v47 offset:23392
	ds_load_b64 v[40:41], v49
	s_wait_dscnt 0x0
	v_fmac_f64_e32 v[36:37], v[38:39], v[40:41]
.LBB132_709:                            ;   in Loop: Header=BB132_3 Depth=1
	s_or_b32 exec_lo, exec_lo, s10
	s_barrier_signal -1
	s_barrier_wait -1
	;; [unrolled: 23-line block ×3, first 2 shown]
	s_and_saveexec_b32 s10, s99
	s_cbranch_execz .LBB132_715
; %bb.714:                              ;   in Loop: Header=BB132_3 Depth=1
	ds_load_b64 v[38:39], v5 offset:24440
	s_wait_dscnt 0x0
	v_mul_f64_e32 v[36:37], v[36:37], v[38:39]
	ds_store_b64 v49, v[36:37]
.LBB132_715:                            ;   in Loop: Header=BB132_3 Depth=1
	s_or_b32 exec_lo, exec_lo, s10
	s_wait_dscnt 0x0
	s_barrier_signal -1
	s_barrier_wait -1
	s_barrier_signal -1
	s_barrier_wait -1
	s_and_saveexec_b32 s10, s3
; %bb.716:                              ;   in Loop: Header=BB132_3 Depth=1
	s_delay_alu instid0(VALU_DEP_1)
	v_xor_b32_e32 v37, 0x80000000, v37
	ds_store_b64 v50, v[36:37] offset:20832
; %bb.717:                              ;   in Loop: Header=BB132_3 Depth=1
	s_or_b32 exec_lo, exec_lo, s10
	s_wait_dscnt 0x0
	s_barrier_signal -1
	s_barrier_wait -1
	s_barrier_signal -1
	s_barrier_wait -1
	s_and_saveexec_b32 s10, s100
	s_cbranch_execz .LBB132_719
; %bb.718:                              ;   in Loop: Header=BB132_3 Depth=1
	ds_load_b64 v[36:37], v74 offset:20832
	s_wait_dscnt 0x0
	ds_store_b64 v77, v[36:37] offset:22848
	ds_load_b64 v[36:37], v74 offset:20840
	s_wait_dscnt 0x0
	ds_store_b64 v77, v[36:37] offset:23360
	;; [unrolled: 3-line block ×4, first 2 shown]
.LBB132_719:                            ;   in Loop: Header=BB132_3 Depth=1
	s_or_b32 exec_lo, exec_lo, s10
	s_wait_dscnt 0x0
	s_barrier_signal -1
	s_barrier_wait -1
	s_and_saveexec_b32 s10, s14
	s_cbranch_execz .LBB132_721
; %bb.720:                              ;   in Loop: Header=BB132_3 Depth=1
	ds_load_b128 v[36:39], v5 offset:22880
	ds_load_b64 v[40:41], v5 offset:23400
	s_wait_dscnt 0x0
	v_mul_f64_e32 v[36:37], v[36:37], v[40:41]
	s_delay_alu instid0(VALU_DEP_1)
	v_mul_f64_e32 v[36:37], v[38:39], v[36:37]
	v_add_nc_u32_e64 v38, 0x5800, 0
	ds_store_2addr_b64 v38, v[36:37], v[36:37] offset0:45 offset1:108
.LBB132_721:                            ;   in Loop: Header=BB132_3 Depth=1
	s_or_b32 exec_lo, exec_lo, s10
	v_mov_b64_e32 v[36:37], 0
	s_wait_dscnt 0x0
	s_barrier_signal -1
	s_barrier_wait -1
	s_and_saveexec_b32 s10, s1
	s_cbranch_execz .LBB132_725
; %bb.722:                              ;   in Loop: Header=BB132_3 Depth=1
	ds_load_b64 v[36:37], v43 offset:22896
	ds_load_b64 v[38:39], v44 offset:22880
	s_wait_dscnt 0x0
	v_fma_f64 v[36:37], v[36:37], v[38:39], 0
	s_and_saveexec_b32 s12, s15
	s_cbranch_execz .LBB132_724
; %bb.723:                              ;   in Loop: Header=BB132_3 Depth=1
	ds_load_b64 v[38:39], v77 offset:23408
	ds_load_b64 v[40:41], v5 offset:22888
	s_wait_dscnt 0x0
	v_fmac_f64_e32 v[36:37], v[38:39], v[40:41]
.LBB132_724:                            ;   in Loop: Header=BB132_3 Depth=1
	s_or_b32 exec_lo, exec_lo, s12
	s_delay_alu instid0(VALU_DEP_1)
	v_xor_b32_e32 v37, 0x80000000, v37
.LBB132_725:                            ;   in Loop: Header=BB132_3 Depth=1
	s_or_b32 exec_lo, exec_lo, s10
	s_and_saveexec_b32 s10, s91
	s_cbranch_execz .LBB132_727
; %bb.726:                              ;   in Loop: Header=BB132_3 Depth=1
	ds_load_b64 v[38:39], v5 offset:23920
	s_wait_dscnt 0x0
	v_mul_f64_e32 v[36:37], v[36:37], v[38:39]
	ds_store_b64 v3, v[36:37]
.LBB132_727:                            ;   in Loop: Header=BB132_3 Depth=1
	s_or_b32 exec_lo, exec_lo, s10
	s_wait_dscnt 0x0
	s_barrier_signal -1
	s_barrier_wait -1
	s_and_saveexec_b32 s10, s92
	s_cbranch_execz .LBB132_729
; %bb.728:                              ;   in Loop: Header=BB132_3 Depth=1
	ds_load_b64 v[38:39], v5 offset:23928
	ds_load_b64 v[40:41], v3
	s_wait_dscnt 0x0
	v_fmac_f64_e32 v[36:37], v[38:39], v[40:41]
.LBB132_729:                            ;   in Loop: Header=BB132_3 Depth=1
	s_or_b32 exec_lo, exec_lo, s10
	s_barrier_signal -1
	s_barrier_wait -1
	s_and_saveexec_b32 s10, s92
	s_cbranch_execz .LBB132_731
; %bb.730:                              ;   in Loop: Header=BB132_3 Depth=1
	ds_load_b64 v[38:39], v5 offset:24440
	s_wait_dscnt 0x0
	v_mul_f64_e32 v[36:37], v[36:37], v[38:39]
	ds_store_b64 v3, v[36:37]
.LBB132_731:                            ;   in Loop: Header=BB132_3 Depth=1
	s_or_b32 exec_lo, exec_lo, s10
	s_wait_dscnt 0x0
	s_barrier_signal -1
	s_barrier_wait -1
	s_barrier_signal -1
	s_barrier_wait -1
	s_and_saveexec_b32 s10, s1
; %bb.732:                              ;   in Loop: Header=BB132_3 Depth=1
	s_delay_alu instid0(VALU_DEP_1)
	v_xor_b32_e32 v37, 0x80000000, v37
	ds_store_b64 v43, v[36:37] offset:22896
; %bb.733:                              ;   in Loop: Header=BB132_3 Depth=1
	s_or_b32 exec_lo, exec_lo, s10
	s_wait_dscnt 0x0
	s_barrier_signal -1
	s_barrier_wait -1
	s_barrier_signal -1
	s_barrier_wait -1
	s_and_saveexec_b32 s10, s93
	s_cbranch_execz .LBB132_735
; %bb.734:                              ;   in Loop: Header=BB132_3 Depth=1
	ds_load_b64 v[36:37], v79 offset:22896
	s_wait_dscnt 0x0
	ds_store_b64 v77, v[36:37] offset:23904
	ds_load_b64 v[36:37], v79 offset:22904
	s_wait_dscnt 0x0
	ds_store_b64 v77, v[36:37] offset:24416
.LBB132_735:                            ;   in Loop: Header=BB132_3 Depth=1
	s_or_b32 exec_lo, exec_lo, s10
	s_wait_dscnt 0x0
	s_barrier_signal -1
	s_barrier_wait -1
	s_and_saveexec_b32 s10, s14
	s_cbranch_execz .LBB132_737
; %bb.736:                              ;   in Loop: Header=BB132_3 Depth=1
	ds_load_b128 v[36:39], v5 offset:23920
	ds_load_b64 v[40:41], v5 offset:24440
	s_wait_dscnt 0x0
	v_mul_f64_e32 v[36:37], v[36:37], v[40:41]
	s_delay_alu instid0(VALU_DEP_1)
	v_mul_f64_e32 v[36:37], v[38:39], v[36:37]
	v_add_nc_u32_e64 v38, 0x5800, 0
	ds_store_2addr_b64 v38, v[36:37], v[36:37] offset0:175 offset1:238
.LBB132_737:                            ;   in Loop: Header=BB132_3 Depth=1
	s_or_b32 exec_lo, exec_lo, s10
	v_mov_b64_e32 v[36:37], 0
	s_wait_dscnt 0x0
	s_barrier_signal -1
	s_barrier_wait -1
	s_and_saveexec_b32 s84, s5
	s_cbranch_execz .LBB132_765
; %bb.738:                              ;   in Loop: Header=BB132_3 Depth=1
	ds_load_b64 v[36:37], v66 offset:16768
	ds_load_b64 v[38:39], v62 offset:16640
	s_wait_dscnt 0x0
	v_fma_f64 v[36:37], v[36:37], v[38:39], 0
	s_mov_b32 s10, exec_lo
	v_readlane_b32 s12, v102, 27
	s_and_b32 s12, s10, s12
	s_delay_alu instid0(SALU_CYCLE_1)
	s_mov_b32 exec_lo, s12
	s_cbranch_execz .LBB132_740
; %bb.739:                              ;   in Loop: Header=BB132_3 Depth=1
	ds_load_b64 v[38:39], v67 offset:17280
	ds_load_b64 v[40:41], v62 offset:16648
	s_wait_dscnt 0x0
	v_fmac_f64_e32 v[36:37], v[38:39], v[40:41]
.LBB132_740:                            ;   in Loop: Header=BB132_3 Depth=1
	s_or_b32 exec_lo, exec_lo, s10
	s_delay_alu instid0(SALU_CYCLE_1) | instskip(SKIP_2) | instid1(SALU_CYCLE_1)
	s_mov_b32 s10, exec_lo
	v_readlane_b32 s12, v102, 28
	s_and_b32 s12, s10, s12
	s_mov_b32 exec_lo, s12
	s_cbranch_execz .LBB132_742
; %bb.741:                              ;   in Loop: Header=BB132_3 Depth=1
	ds_load_b64 v[38:39], v67 offset:17792
	ds_load_b64 v[40:41], v62 offset:16656
	s_wait_dscnt 0x0
	v_fmac_f64_e32 v[36:37], v[38:39], v[40:41]
.LBB132_742:                            ;   in Loop: Header=BB132_3 Depth=1
	s_or_b32 exec_lo, exec_lo, s10
	s_delay_alu instid0(SALU_CYCLE_1) | instskip(SKIP_2) | instid1(SALU_CYCLE_1)
	s_mov_b32 s10, exec_lo
	v_readlane_b32 s12, v102, 29
	s_and_b32 s12, s10, s12
	;; [unrolled: 13-line block ×10, first 2 shown]
	s_mov_b32 exec_lo, s12
	s_cbranch_execnz .LBB132_1135
; %bb.759:                              ;   in Loop: Header=BB132_3 Depth=1
	s_or_b32 exec_lo, exec_lo, s10
	s_and_saveexec_b32 s10, s4
	s_cbranch_execnz .LBB132_1136
.LBB132_760:                            ;   in Loop: Header=BB132_3 Depth=1
	s_or_b32 exec_lo, exec_lo, s10
	s_and_saveexec_b32 s10, s19
	s_cbranch_execnz .LBB132_1137
.LBB132_761:                            ;   in Loop: Header=BB132_3 Depth=1
	s_or_b32 exec_lo, exec_lo, s10
	s_and_saveexec_b32 s10, s21
	s_cbranch_execnz .LBB132_1138
.LBB132_762:                            ;   in Loop: Header=BB132_3 Depth=1
	s_or_b32 exec_lo, exec_lo, s10
	s_and_saveexec_b32 s10, s3
	s_cbranch_execz .LBB132_764
.LBB132_763:                            ;   in Loop: Header=BB132_3 Depth=1
	ds_load_b64 v[38:39], v45 offset:24448
	ds_load_b64 v[40:41], v5 offset:16760
	s_wait_dscnt 0x0
	v_fmac_f64_e32 v[36:37], v[38:39], v[40:41]
.LBB132_764:                            ;   in Loop: Header=BB132_3 Depth=1
	s_or_b32 exec_lo, exec_lo, s10
	s_delay_alu instid0(VALU_DEP_1)
	v_xor_b32_e32 v37, 0x80000000, v37
.LBB132_765:                            ;   in Loop: Header=BB132_3 Depth=1
	s_or_b32 exec_lo, exec_lo, s84
	s_delay_alu instid0(SALU_CYCLE_1) | instskip(SKIP_2) | instid1(SALU_CYCLE_1)
	s_mov_b32 s10, exec_lo
	v_readlane_b32 s12, v102, 2
	s_and_b32 s12, s10, s12
	s_mov_b32 exec_lo, s12
	s_cbranch_execz .LBB132_767
; %bb.766:                              ;   in Loop: Header=BB132_3 Depth=1
	ds_load_b64 v[38:39], v5 offset:24960
	s_wait_dscnt 0x0
	v_mul_f64_e32 v[36:37], v[36:37], v[38:39]
	ds_store_b64 v65, v[36:37]
.LBB132_767:                            ;   in Loop: Header=BB132_3 Depth=1
	s_or_b32 exec_lo, exec_lo, s10
	s_wait_dscnt 0x0
	s_barrier_signal -1
	s_barrier_wait -1
	s_mov_b32 s10, exec_lo
	v_readlane_b32 s12, v102, 3
	s_and_b32 s12, s10, s12
	s_delay_alu instid0(SALU_CYCLE_1)
	s_mov_b32 exec_lo, s12
	s_cbranch_execz .LBB132_769
; %bb.768:                              ;   in Loop: Header=BB132_3 Depth=1
	ds_load_b64 v[38:39], v64 offset:24960
	ds_load_b64 v[40:41], v65
	s_wait_dscnt 0x0
	v_fmac_f64_e32 v[36:37], v[38:39], v[40:41]
.LBB132_769:                            ;   in Loop: Header=BB132_3 Depth=1
	s_or_b32 exec_lo, exec_lo, s10
	s_barrier_signal -1
	s_barrier_wait -1
	s_mov_b32 s10, exec_lo
	v_readlane_b32 s12, v102, 4
	s_and_b32 s12, s10, s12
	s_delay_alu instid0(SALU_CYCLE_1)
	s_mov_b32 exec_lo, s12
	s_cbranch_execz .LBB132_771
; %bb.770:                              ;   in Loop: Header=BB132_3 Depth=1
	ds_load_b64 v[38:39], v5 offset:25480
	s_wait_dscnt 0x0
	v_mul_f64_e32 v[36:37], v[36:37], v[38:39]
	ds_store_b64 v65, v[36:37]
.LBB132_771:                            ;   in Loop: Header=BB132_3 Depth=1
	s_or_b32 exec_lo, exec_lo, s10
	s_wait_dscnt 0x0
	s_barrier_signal -1
	s_barrier_wait -1
	s_mov_b32 s10, exec_lo
	v_readlane_b32 s12, v102, 5
	s_and_b32 s12, s10, s12
	s_delay_alu instid0(SALU_CYCLE_1)
	s_mov_b32 exec_lo, s12
	s_cbranch_execz .LBB132_773
; %bb.772:                              ;   in Loop: Header=BB132_3 Depth=1
	ds_load_b64 v[38:39], v64 offset:25472
	ds_load_b64 v[40:41], v65
	s_wait_dscnt 0x0
	v_fmac_f64_e32 v[36:37], v[38:39], v[40:41]
.LBB132_773:                            ;   in Loop: Header=BB132_3 Depth=1
	s_or_b32 exec_lo, exec_lo, s10
	s_barrier_signal -1
	s_barrier_wait -1
	s_mov_b32 s10, exec_lo
	v_readlane_b32 s12, v102, 6
	s_and_b32 s12, s10, s12
	s_delay_alu instid0(SALU_CYCLE_1)
	;; [unrolled: 31-line block ×3, first 2 shown]
	s_mov_b32 exec_lo, s12
	s_cbranch_execz .LBB132_779
; %bb.778:                              ;   in Loop: Header=BB132_3 Depth=1
	ds_load_b64 v[38:39], v5 offset:26520
	s_wait_dscnt 0x0
	v_mul_f64_e32 v[36:37], v[36:37], v[38:39]
	ds_store_b64 v65, v[36:37]
.LBB132_779:                            ;   in Loop: Header=BB132_3 Depth=1
	s_or_b32 exec_lo, exec_lo, s10
	s_wait_dscnt 0x0
	s_barrier_signal -1
	s_barrier_wait -1
	s_and_saveexec_b32 s10, s53
	s_cbranch_execz .LBB132_781
; %bb.780:                              ;   in Loop: Header=BB132_3 Depth=1
	ds_load_b64 v[38:39], v64 offset:26496
	ds_load_b64 v[40:41], v65
	s_wait_dscnt 0x0
	v_fmac_f64_e32 v[36:37], v[38:39], v[40:41]
.LBB132_781:                            ;   in Loop: Header=BB132_3 Depth=1
	s_or_b32 exec_lo, exec_lo, s10
	s_barrier_signal -1
	s_barrier_wait -1
	s_and_saveexec_b32 s10, s54
	s_cbranch_execz .LBB132_783
; %bb.782:                              ;   in Loop: Header=BB132_3 Depth=1
	ds_load_b64 v[38:39], v5 offset:27040
	s_wait_dscnt 0x0
	v_mul_f64_e32 v[36:37], v[36:37], v[38:39]
	ds_store_b64 v65, v[36:37]
.LBB132_783:                            ;   in Loop: Header=BB132_3 Depth=1
	s_or_b32 exec_lo, exec_lo, s10
	s_wait_dscnt 0x0
	s_barrier_signal -1
	s_barrier_wait -1
	s_and_saveexec_b32 s10, s55
	s_cbranch_execz .LBB132_785
; %bb.784:                              ;   in Loop: Header=BB132_3 Depth=1
	ds_load_b64 v[38:39], v64 offset:27008
	ds_load_b64 v[40:41], v65
	s_wait_dscnt 0x0
	v_fmac_f64_e32 v[36:37], v[38:39], v[40:41]
.LBB132_785:                            ;   in Loop: Header=BB132_3 Depth=1
	s_or_b32 exec_lo, exec_lo, s10
	s_barrier_signal -1
	s_barrier_wait -1
	s_and_saveexec_b32 s10, s56
	;; [unrolled: 23-line block ×12, first 2 shown]
	s_cbranch_execz .LBB132_827
; %bb.826:                              ;   in Loop: Header=BB132_3 Depth=1
	ds_load_b64 v[38:39], v5 offset:32760
	s_wait_dscnt 0x0
	v_mul_f64_e32 v[36:37], v[36:37], v[38:39]
	ds_store_b64 v65, v[36:37]
.LBB132_827:                            ;   in Loop: Header=BB132_3 Depth=1
	s_or_b32 exec_lo, exec_lo, s10
	s_wait_dscnt 0x0
	s_barrier_signal -1
	s_barrier_wait -1
	s_barrier_signal -1
	s_barrier_wait -1
	s_and_saveexec_b32 s10, s5
; %bb.828:                              ;   in Loop: Header=BB132_3 Depth=1
	s_delay_alu instid0(VALU_DEP_1)
	v_xor_b32_e32 v37, 0x80000000, v37
	ds_store_b64 v66, v[36:37] offset:16768
; %bb.829:                              ;   in Loop: Header=BB132_3 Depth=1
	s_or_b32 exec_lo, exec_lo, s10
	s_wait_dscnt 0x0
	s_barrier_signal -1
	s_barrier_wait -1
	s_barrier_signal -1
	s_barrier_wait -1
	s_and_saveexec_b32 s10, s65
	s_cbranch_execz .LBB132_831
; %bb.830:                              ;   in Loop: Header=BB132_3 Depth=1
	ds_load_b64 v[36:37], v48 offset:16768
	s_wait_dscnt 0x0
	ds_store_b64 v52, v[36:37] offset:24832
	ds_load_b64 v[36:37], v48 offset:16776
	s_wait_dscnt 0x0
	ds_store_b64 v52, v[36:37] offset:25344
	;; [unrolled: 3-line block ×16, first 2 shown]
.LBB132_831:                            ;   in Loop: Header=BB132_3 Depth=1
	s_or_b32 exec_lo, exec_lo, s10
	s_wait_dscnt 0x0
	s_barrier_signal -1
	s_barrier_wait -1
	s_and_saveexec_b32 s10, s14
	s_cbranch_execz .LBB132_833
; %bb.832:                              ;   in Loop: Header=BB132_3 Depth=1
	ds_load_b128 v[36:39], v5 offset:24960
	ds_load_b64 v[40:41], v5 offset:25480
	s_wait_dscnt 0x0
	v_mul_f64_e32 v[36:37], v[36:37], v[40:41]
	s_delay_alu instid0(VALU_DEP_1)
	v_mul_f64_e32 v[36:37], v[38:39], v[36:37]
	v_add_nc_u32_e64 v38, 0x6000, 0
	ds_store_2addr_b64 v38, v[36:37], v[36:37] offset0:49 offset1:112
.LBB132_833:                            ;   in Loop: Header=BB132_3 Depth=1
	s_or_b32 exec_lo, exec_lo, s10
	v_mov_b64_e32 v[36:37], 0
	s_wait_dscnt 0x0
	s_barrier_signal -1
	s_barrier_wait -1
	s_and_saveexec_b32 s10, s1
	s_cbranch_execz .LBB132_837
; %bb.834:                              ;   in Loop: Header=BB132_3 Depth=1
	ds_load_b64 v[36:37], v43 offset:24976
	ds_load_b64 v[38:39], v44 offset:24960
	s_wait_dscnt 0x0
	v_fma_f64 v[36:37], v[36:37], v[38:39], 0
	s_and_saveexec_b32 s12, s15
	s_cbranch_execz .LBB132_836
; %bb.835:                              ;   in Loop: Header=BB132_3 Depth=1
	ds_load_b64 v[38:39], v45 offset:25488
	ds_load_b64 v[40:41], v5 offset:24968
	s_wait_dscnt 0x0
	v_fmac_f64_e32 v[36:37], v[38:39], v[40:41]
.LBB132_836:                            ;   in Loop: Header=BB132_3 Depth=1
	s_or_b32 exec_lo, exec_lo, s12
	s_delay_alu instid0(VALU_DEP_1)
	v_xor_b32_e32 v37, 0x80000000, v37
.LBB132_837:                            ;   in Loop: Header=BB132_3 Depth=1
	s_or_b32 exec_lo, exec_lo, s10
	s_and_saveexec_b32 s10, s91
	s_cbranch_execz .LBB132_839
; %bb.838:                              ;   in Loop: Header=BB132_3 Depth=1
	ds_load_b64 v[38:39], v5 offset:26000
	s_wait_dscnt 0x0
	v_mul_f64_e32 v[36:37], v[36:37], v[38:39]
	ds_store_b64 v3, v[36:37]
.LBB132_839:                            ;   in Loop: Header=BB132_3 Depth=1
	s_or_b32 exec_lo, exec_lo, s10
	s_wait_dscnt 0x0
	s_barrier_signal -1
	s_barrier_wait -1
	s_and_saveexec_b32 s10, s92
	s_cbranch_execz .LBB132_841
; %bb.840:                              ;   in Loop: Header=BB132_3 Depth=1
	ds_load_b64 v[38:39], v5 offset:26008
	ds_load_b64 v[40:41], v3
	s_wait_dscnt 0x0
	v_fmac_f64_e32 v[36:37], v[38:39], v[40:41]
.LBB132_841:                            ;   in Loop: Header=BB132_3 Depth=1
	s_or_b32 exec_lo, exec_lo, s10
	s_barrier_signal -1
	s_barrier_wait -1
	s_and_saveexec_b32 s10, s92
	s_cbranch_execz .LBB132_843
; %bb.842:                              ;   in Loop: Header=BB132_3 Depth=1
	ds_load_b64 v[38:39], v5 offset:26520
	s_wait_dscnt 0x0
	v_mul_f64_e32 v[36:37], v[36:37], v[38:39]
	ds_store_b64 v3, v[36:37]
.LBB132_843:                            ;   in Loop: Header=BB132_3 Depth=1
	s_or_b32 exec_lo, exec_lo, s10
	s_wait_dscnt 0x0
	s_barrier_signal -1
	s_barrier_wait -1
	s_barrier_signal -1
	s_barrier_wait -1
	s_and_saveexec_b32 s10, s1
; %bb.844:                              ;   in Loop: Header=BB132_3 Depth=1
	s_delay_alu instid0(VALU_DEP_1)
	v_xor_b32_e32 v37, 0x80000000, v37
	ds_store_b64 v43, v[36:37] offset:24976
; %bb.845:                              ;   in Loop: Header=BB132_3 Depth=1
	s_or_b32 exec_lo, exec_lo, s10
	s_wait_dscnt 0x0
	s_barrier_signal -1
	s_barrier_wait -1
	s_barrier_signal -1
	s_barrier_wait -1
	s_and_saveexec_b32 s10, s93
	s_cbranch_execz .LBB132_847
; %bb.846:                              ;   in Loop: Header=BB132_3 Depth=1
	ds_load_b64 v[36:37], v48 offset:24976
	s_wait_dscnt 0x0
	ds_store_b64 v45, v[36:37] offset:25984
	ds_load_b64 v[36:37], v48 offset:24984
	s_wait_dscnt 0x0
	ds_store_b64 v45, v[36:37] offset:26496
.LBB132_847:                            ;   in Loop: Header=BB132_3 Depth=1
	s_or_b32 exec_lo, exec_lo, s10
	s_wait_dscnt 0x0
	s_barrier_signal -1
	s_barrier_wait -1
	s_and_saveexec_b32 s10, s14
	s_cbranch_execz .LBB132_849
; %bb.848:                              ;   in Loop: Header=BB132_3 Depth=1
	ds_load_b128 v[36:39], v5 offset:26000
	ds_load_b64 v[40:41], v5 offset:26520
	s_wait_dscnt 0x0
	v_mul_f64_e32 v[36:37], v[36:37], v[40:41]
	s_delay_alu instid0(VALU_DEP_1)
	v_mul_f64_e32 v[36:37], v[38:39], v[36:37]
	v_add_nc_u32_e64 v38, 0x6000, 0
	ds_store_2addr_b64 v38, v[36:37], v[36:37] offset0:179 offset1:242
.LBB132_849:                            ;   in Loop: Header=BB132_3 Depth=1
	s_or_b32 exec_lo, exec_lo, s10
	v_mov_b64_e32 v[36:37], 0
	s_wait_dscnt 0x0
	s_barrier_signal -1
	s_barrier_wait -1
	s_and_saveexec_b32 s10, s3
	s_cbranch_execz .LBB132_855
; %bb.850:                              ;   in Loop: Header=BB132_3 Depth=1
	ds_load_b64 v[36:37], v50 offset:24992
	ds_load_b64 v[38:39], v46 offset:24960
	s_wait_dscnt 0x0
	v_fma_f64 v[36:37], v[36:37], v[38:39], 0
	s_and_saveexec_b32 s12, s16
	s_cbranch_execnz .LBB132_1139
; %bb.851:                              ;   in Loop: Header=BB132_3 Depth=1
	s_or_b32 exec_lo, exec_lo, s12
	s_and_saveexec_b32 s12, s17
	s_cbranch_execnz .LBB132_1140
.LBB132_852:                            ;   in Loop: Header=BB132_3 Depth=1
	s_or_b32 exec_lo, exec_lo, s12
	s_and_saveexec_b32 s12, s1
	s_cbranch_execz .LBB132_854
.LBB132_853:                            ;   in Loop: Header=BB132_3 Depth=1
	ds_load_b64 v[38:39], v52 offset:26528
	ds_load_b64 v[40:41], v5 offset:24984
	s_wait_dscnt 0x0
	v_fmac_f64_e32 v[36:37], v[38:39], v[40:41]
.LBB132_854:                            ;   in Loop: Header=BB132_3 Depth=1
	s_or_b32 exec_lo, exec_lo, s12
	s_delay_alu instid0(VALU_DEP_1)
	v_xor_b32_e32 v37, 0x80000000, v37
.LBB132_855:                            ;   in Loop: Header=BB132_3 Depth=1
	s_or_b32 exec_lo, exec_lo, s10
	s_and_saveexec_b32 s10, s94
	s_cbranch_execz .LBB132_857
; %bb.856:                              ;   in Loop: Header=BB132_3 Depth=1
	ds_load_b64 v[38:39], v5 offset:27040
	s_wait_dscnt 0x0
	v_mul_f64_e32 v[36:37], v[36:37], v[38:39]
	ds_store_b64 v49, v[36:37]
.LBB132_857:                            ;   in Loop: Header=BB132_3 Depth=1
	s_or_b32 exec_lo, exec_lo, s10
	s_wait_dscnt 0x0
	s_barrier_signal -1
	s_barrier_wait -1
	s_and_saveexec_b32 s10, s95
	s_cbranch_execz .LBB132_859
; %bb.858:                              ;   in Loop: Header=BB132_3 Depth=1
	ds_load_b64 v[38:39], v47 offset:27040
	ds_load_b64 v[40:41], v49
	s_wait_dscnt 0x0
	v_fmac_f64_e32 v[36:37], v[38:39], v[40:41]
.LBB132_859:                            ;   in Loop: Header=BB132_3 Depth=1
	s_or_b32 exec_lo, exec_lo, s10
	s_barrier_signal -1
	s_barrier_wait -1
	s_and_saveexec_b32 s10, s96
	s_cbranch_execz .LBB132_861
; %bb.860:                              ;   in Loop: Header=BB132_3 Depth=1
	ds_load_b64 v[38:39], v5 offset:27560
	s_wait_dscnt 0x0
	v_mul_f64_e32 v[36:37], v[36:37], v[38:39]
	ds_store_b64 v49, v[36:37]
.LBB132_861:                            ;   in Loop: Header=BB132_3 Depth=1
	s_or_b32 exec_lo, exec_lo, s10
	s_wait_dscnt 0x0
	s_barrier_signal -1
	s_barrier_wait -1
	s_and_saveexec_b32 s10, s97
	s_cbranch_execz .LBB132_863
; %bb.862:                              ;   in Loop: Header=BB132_3 Depth=1
	ds_load_b64 v[38:39], v47 offset:27552
	ds_load_b64 v[40:41], v49
	s_wait_dscnt 0x0
	v_fmac_f64_e32 v[36:37], v[38:39], v[40:41]
.LBB132_863:                            ;   in Loop: Header=BB132_3 Depth=1
	s_or_b32 exec_lo, exec_lo, s10
	s_barrier_signal -1
	s_barrier_wait -1
	;; [unrolled: 23-line block ×3, first 2 shown]
	s_and_saveexec_b32 s10, s99
	s_cbranch_execz .LBB132_869
; %bb.868:                              ;   in Loop: Header=BB132_3 Depth=1
	ds_load_b64 v[38:39], v5 offset:28600
	s_wait_dscnt 0x0
	v_mul_f64_e32 v[36:37], v[36:37], v[38:39]
	ds_store_b64 v49, v[36:37]
.LBB132_869:                            ;   in Loop: Header=BB132_3 Depth=1
	s_or_b32 exec_lo, exec_lo, s10
	s_wait_dscnt 0x0
	s_barrier_signal -1
	s_barrier_wait -1
	s_barrier_signal -1
	s_barrier_wait -1
	s_and_saveexec_b32 s10, s3
; %bb.870:                              ;   in Loop: Header=BB132_3 Depth=1
	s_delay_alu instid0(VALU_DEP_1)
	v_xor_b32_e32 v37, 0x80000000, v37
	ds_store_b64 v50, v[36:37] offset:24992
; %bb.871:                              ;   in Loop: Header=BB132_3 Depth=1
	s_or_b32 exec_lo, exec_lo, s10
	s_wait_dscnt 0x0
	s_barrier_signal -1
	s_barrier_wait -1
	s_barrier_signal -1
	s_barrier_wait -1
	s_and_saveexec_b32 s10, s100
	s_cbranch_execz .LBB132_873
; %bb.872:                              ;   in Loop: Header=BB132_3 Depth=1
	ds_load_b64 v[36:37], v53 offset:24992
	s_wait_dscnt 0x0
	ds_store_b64 v54, v[36:37] offset:27008
	ds_load_b64 v[36:37], v53 offset:25000
	s_wait_dscnt 0x0
	ds_store_b64 v54, v[36:37] offset:27520
	;; [unrolled: 3-line block ×4, first 2 shown]
.LBB132_873:                            ;   in Loop: Header=BB132_3 Depth=1
	s_or_b32 exec_lo, exec_lo, s10
	s_wait_dscnt 0x0
	s_barrier_signal -1
	s_barrier_wait -1
	s_and_saveexec_b32 s10, s14
	s_cbranch_execz .LBB132_875
; %bb.874:                              ;   in Loop: Header=BB132_3 Depth=1
	ds_load_b128 v[36:39], v5 offset:27040
	ds_load_b64 v[40:41], v5 offset:27560
	s_wait_dscnt 0x0
	v_mul_f64_e32 v[36:37], v[36:37], v[40:41]
	s_delay_alu instid0(VALU_DEP_1)
	v_mul_f64_e32 v[36:37], v[38:39], v[36:37]
	v_add_nc_u32_e64 v38, 0x6800, 0
	ds_store_2addr_b64 v38, v[36:37], v[36:37] offset0:53 offset1:116
.LBB132_875:                            ;   in Loop: Header=BB132_3 Depth=1
	s_or_b32 exec_lo, exec_lo, s10
	v_mov_b64_e32 v[36:37], 0
	s_wait_dscnt 0x0
	s_barrier_signal -1
	s_barrier_wait -1
	s_and_saveexec_b32 s10, s1
	s_cbranch_execz .LBB132_879
; %bb.876:                              ;   in Loop: Header=BB132_3 Depth=1
	ds_load_b64 v[36:37], v43 offset:27056
	ds_load_b64 v[38:39], v44 offset:27040
	s_wait_dscnt 0x0
	v_fma_f64 v[36:37], v[36:37], v[38:39], 0
	s_and_saveexec_b32 s12, s15
	s_cbranch_execz .LBB132_878
; %bb.877:                              ;   in Loop: Header=BB132_3 Depth=1
	ds_load_b64 v[38:39], v54 offset:27568
	ds_load_b64 v[40:41], v5 offset:27048
	s_wait_dscnt 0x0
	v_fmac_f64_e32 v[36:37], v[38:39], v[40:41]
.LBB132_878:                            ;   in Loop: Header=BB132_3 Depth=1
	s_or_b32 exec_lo, exec_lo, s12
	s_delay_alu instid0(VALU_DEP_1)
	v_xor_b32_e32 v37, 0x80000000, v37
.LBB132_879:                            ;   in Loop: Header=BB132_3 Depth=1
	s_or_b32 exec_lo, exec_lo, s10
	s_and_saveexec_b32 s10, s91
	s_cbranch_execz .LBB132_881
; %bb.880:                              ;   in Loop: Header=BB132_3 Depth=1
	ds_load_b64 v[38:39], v5 offset:28080
	s_wait_dscnt 0x0
	v_mul_f64_e32 v[36:37], v[36:37], v[38:39]
	ds_store_b64 v3, v[36:37]
.LBB132_881:                            ;   in Loop: Header=BB132_3 Depth=1
	s_or_b32 exec_lo, exec_lo, s10
	s_wait_dscnt 0x0
	s_barrier_signal -1
	s_barrier_wait -1
	s_and_saveexec_b32 s10, s92
	s_cbranch_execz .LBB132_883
; %bb.882:                              ;   in Loop: Header=BB132_3 Depth=1
	ds_load_b64 v[38:39], v5 offset:28088
	ds_load_b64 v[40:41], v3
	s_wait_dscnt 0x0
	v_fmac_f64_e32 v[36:37], v[38:39], v[40:41]
.LBB132_883:                            ;   in Loop: Header=BB132_3 Depth=1
	s_or_b32 exec_lo, exec_lo, s10
	s_barrier_signal -1
	s_barrier_wait -1
	s_and_saveexec_b32 s10, s92
	s_cbranch_execz .LBB132_885
; %bb.884:                              ;   in Loop: Header=BB132_3 Depth=1
	ds_load_b64 v[38:39], v5 offset:28600
	s_wait_dscnt 0x0
	v_mul_f64_e32 v[36:37], v[36:37], v[38:39]
	ds_store_b64 v3, v[36:37]
.LBB132_885:                            ;   in Loop: Header=BB132_3 Depth=1
	s_or_b32 exec_lo, exec_lo, s10
	s_wait_dscnt 0x0
	s_barrier_signal -1
	s_barrier_wait -1
	s_barrier_signal -1
	s_barrier_wait -1
	s_and_saveexec_b32 s10, s1
; %bb.886:                              ;   in Loop: Header=BB132_3 Depth=1
	s_delay_alu instid0(VALU_DEP_1)
	v_xor_b32_e32 v37, 0x80000000, v37
	ds_store_b64 v43, v[36:37] offset:27056
; %bb.887:                              ;   in Loop: Header=BB132_3 Depth=1
	s_or_b32 exec_lo, exec_lo, s10
	s_wait_dscnt 0x0
	s_barrier_signal -1
	s_barrier_wait -1
	s_barrier_signal -1
	s_barrier_wait -1
	s_and_saveexec_b32 s10, s93
	s_cbranch_execz .LBB132_889
; %bb.888:                              ;   in Loop: Header=BB132_3 Depth=1
	ds_load_b64 v[36:37], v57 offset:27056
	s_wait_dscnt 0x0
	ds_store_b64 v54, v[36:37] offset:28064
	ds_load_b64 v[36:37], v57 offset:27064
	s_wait_dscnt 0x0
	ds_store_b64 v54, v[36:37] offset:28576
.LBB132_889:                            ;   in Loop: Header=BB132_3 Depth=1
	s_or_b32 exec_lo, exec_lo, s10
	s_wait_dscnt 0x0
	s_barrier_signal -1
	s_barrier_wait -1
	s_and_saveexec_b32 s10, s14
	s_cbranch_execz .LBB132_891
; %bb.890:                              ;   in Loop: Header=BB132_3 Depth=1
	ds_load_b128 v[36:39], v5 offset:28080
	ds_load_b64 v[40:41], v5 offset:28600
	s_wait_dscnt 0x0
	v_mul_f64_e32 v[36:37], v[36:37], v[40:41]
	s_delay_alu instid0(VALU_DEP_1)
	v_mul_f64_e32 v[36:37], v[38:39], v[36:37]
	v_add_nc_u32_e64 v38, 0x6800, 0
	ds_store_2addr_b64 v38, v[36:37], v[36:37] offset0:183 offset1:246
.LBB132_891:                            ;   in Loop: Header=BB132_3 Depth=1
	s_or_b32 exec_lo, exec_lo, s10
	v_mov_b64_e32 v[36:37], 0
	s_wait_dscnt 0x0
	s_barrier_signal -1
	s_barrier_wait -1
	s_and_saveexec_b32 s10, s4
	s_cbranch_execz .LBB132_901
; %bb.892:                              ;   in Loop: Header=BB132_3 Depth=1
	ds_load_b64 v[36:37], v59 offset:25024
	ds_load_b64 v[38:39], v55 offset:24960
	s_wait_dscnt 0x0
	v_fma_f64 v[36:37], v[36:37], v[38:39], 0
	s_and_saveexec_b32 s12, s18
	s_cbranch_execnz .LBB132_1141
; %bb.893:                              ;   in Loop: Header=BB132_3 Depth=1
	s_or_b32 exec_lo, exec_lo, s12
	s_and_saveexec_b32 s12, s19
	s_cbranch_execnz .LBB132_1142
.LBB132_894:                            ;   in Loop: Header=BB132_3 Depth=1
	s_or_b32 exec_lo, exec_lo, s12
	s_and_saveexec_b32 s12, s20
	s_cbranch_execnz .LBB132_1143
.LBB132_895:                            ;   in Loop: Header=BB132_3 Depth=1
	s_or_b32 exec_lo, exec_lo, s12
	s_and_saveexec_b32 s12, s21
	s_cbranch_execnz .LBB132_1144
.LBB132_896:                            ;   in Loop: Header=BB132_3 Depth=1
	s_or_b32 exec_lo, exec_lo, s12
	s_and_saveexec_b32 s12, s22
	s_cbranch_execnz .LBB132_1145
.LBB132_897:                            ;   in Loop: Header=BB132_3 Depth=1
	s_or_b32 exec_lo, exec_lo, s12
	s_and_saveexec_b32 s12, s3
	s_cbranch_execnz .LBB132_1146
.LBB132_898:                            ;   in Loop: Header=BB132_3 Depth=1
	s_or_b32 exec_lo, exec_lo, s12
	s_and_saveexec_b32 s12, s17
	s_cbranch_execz .LBB132_900
.LBB132_899:                            ;   in Loop: Header=BB132_3 Depth=1
	ds_load_b64 v[38:39], v61 offset:28608
	ds_load_b64 v[40:41], v5 offset:25016
	s_wait_dscnt 0x0
	v_fmac_f64_e32 v[36:37], v[38:39], v[40:41]
.LBB132_900:                            ;   in Loop: Header=BB132_3 Depth=1
	s_or_b32 exec_lo, exec_lo, s12
	s_delay_alu instid0(VALU_DEP_1)
	v_xor_b32_e32 v37, 0x80000000, v37
.LBB132_901:                            ;   in Loop: Header=BB132_3 Depth=1
	s_or_b32 exec_lo, exec_lo, s10
	s_and_saveexec_b32 s10, s101
	s_cbranch_execz .LBB132_903
; %bb.902:                              ;   in Loop: Header=BB132_3 Depth=1
	ds_load_b64 v[38:39], v5 offset:29120
	s_wait_dscnt 0x0
	v_mul_f64_e32 v[36:37], v[36:37], v[38:39]
	ds_store_b64 v58, v[36:37]
.LBB132_903:                            ;   in Loop: Header=BB132_3 Depth=1
	s_or_b32 exec_lo, exec_lo, s10
	s_wait_dscnt 0x0
	s_barrier_signal -1
	s_barrier_wait -1
	s_and_saveexec_b32 s10, s102
	s_cbranch_execz .LBB132_905
; %bb.904:                              ;   in Loop: Header=BB132_3 Depth=1
	ds_load_b64 v[38:39], v56 offset:29120
	ds_load_b64 v[40:41], v58
	s_wait_dscnt 0x0
	v_fmac_f64_e32 v[36:37], v[38:39], v[40:41]
.LBB132_905:                            ;   in Loop: Header=BB132_3 Depth=1
	s_or_b32 exec_lo, exec_lo, s10
	s_barrier_signal -1
	s_barrier_wait -1
	s_and_saveexec_b32 s10, s103
	s_cbranch_execz .LBB132_907
; %bb.906:                              ;   in Loop: Header=BB132_3 Depth=1
	ds_load_b64 v[38:39], v5 offset:29640
	s_wait_dscnt 0x0
	v_mul_f64_e32 v[36:37], v[36:37], v[38:39]
	ds_store_b64 v58, v[36:37]
.LBB132_907:                            ;   in Loop: Header=BB132_3 Depth=1
	s_or_b32 exec_lo, exec_lo, s10
	s_wait_dscnt 0x0
	s_barrier_signal -1
	s_barrier_wait -1
	s_and_saveexec_b32 s10, s104
	s_cbranch_execz .LBB132_909
; %bb.908:                              ;   in Loop: Header=BB132_3 Depth=1
	ds_load_b64 v[38:39], v56 offset:29632
	ds_load_b64 v[40:41], v58
	s_wait_dscnt 0x0
	v_fmac_f64_e32 v[36:37], v[38:39], v[40:41]
.LBB132_909:                            ;   in Loop: Header=BB132_3 Depth=1
	s_or_b32 exec_lo, exec_lo, s10
	s_barrier_signal -1
	s_barrier_wait -1
	s_and_saveexec_b32 s10, vcc_hi
	s_cbranch_execz .LBB132_911
; %bb.910:                              ;   in Loop: Header=BB132_3 Depth=1
	ds_load_b64 v[38:39], v5 offset:30160
	s_wait_dscnt 0x0
	v_mul_f64_e32 v[36:37], v[36:37], v[38:39]
	ds_store_b64 v58, v[36:37]
.LBB132_911:                            ;   in Loop: Header=BB132_3 Depth=1
	s_or_b32 exec_lo, exec_lo, s10
	s_wait_dscnt 0x0
	s_barrier_signal -1
	s_barrier_wait -1
	s_and_saveexec_b32 s10, s36
	s_cbranch_execz .LBB132_913
; %bb.912:                              ;   in Loop: Header=BB132_3 Depth=1
	ds_load_b64 v[38:39], v56 offset:30144
	ds_load_b64 v[40:41], v58
	s_wait_dscnt 0x0
	v_fmac_f64_e32 v[36:37], v[38:39], v[40:41]
.LBB132_913:                            ;   in Loop: Header=BB132_3 Depth=1
	s_or_b32 exec_lo, exec_lo, s10
	s_barrier_signal -1
	s_barrier_wait -1
	s_and_saveexec_b32 s10, s37
	s_cbranch_execz .LBB132_915
; %bb.914:                              ;   in Loop: Header=BB132_3 Depth=1
	ds_load_b64 v[38:39], v5 offset:30680
	s_wait_dscnt 0x0
	v_mul_f64_e32 v[36:37], v[36:37], v[38:39]
	ds_store_b64 v58, v[36:37]
.LBB132_915:                            ;   in Loop: Header=BB132_3 Depth=1
	s_or_b32 exec_lo, exec_lo, s10
	s_wait_dscnt 0x0
	s_barrier_signal -1
	s_barrier_wait -1
	s_and_saveexec_b32 s10, s38
	s_cbranch_execz .LBB132_917
; %bb.916:                              ;   in Loop: Header=BB132_3 Depth=1
	ds_load_b64 v[38:39], v56 offset:30656
	ds_load_b64 v[40:41], v58
	s_wait_dscnt 0x0
	v_fmac_f64_e32 v[36:37], v[38:39], v[40:41]
.LBB132_917:                            ;   in Loop: Header=BB132_3 Depth=1
	s_or_b32 exec_lo, exec_lo, s10
	s_barrier_signal -1
	s_barrier_wait -1
	s_and_saveexec_b32 s10, s39
	;; [unrolled: 23-line block ×5, first 2 shown]
	s_cbranch_execz .LBB132_931
; %bb.930:                              ;   in Loop: Header=BB132_3 Depth=1
	ds_load_b64 v[38:39], v5 offset:32760
	s_wait_dscnt 0x0
	v_mul_f64_e32 v[36:37], v[36:37], v[38:39]
	ds_store_b64 v58, v[36:37]
.LBB132_931:                            ;   in Loop: Header=BB132_3 Depth=1
	s_or_b32 exec_lo, exec_lo, s10
	s_wait_dscnt 0x0
	s_barrier_signal -1
	s_barrier_wait -1
	s_barrier_signal -1
	s_barrier_wait -1
	s_and_saveexec_b32 s10, s4
; %bb.932:                              ;   in Loop: Header=BB132_3 Depth=1
	s_delay_alu instid0(VALU_DEP_1)
	v_xor_b32_e32 v37, 0x80000000, v37
	ds_store_b64 v59, v[36:37] offset:25024
; %bb.933:                              ;   in Loop: Header=BB132_3 Depth=1
	s_or_b32 exec_lo, exec_lo, s10
	s_wait_dscnt 0x0
	s_barrier_signal -1
	s_barrier_wait -1
	s_barrier_signal -1
	s_barrier_wait -1
	s_and_saveexec_b32 s10, s45
	s_cbranch_execz .LBB132_935
; %bb.934:                              ;   in Loop: Header=BB132_3 Depth=1
	ds_load_b64 v[36:37], v63 offset:25024
	s_wait_dscnt 0x0
	ds_store_b64 v71, v[36:37] offset:29056
	ds_load_b64 v[36:37], v63 offset:25032
	s_wait_dscnt 0x0
	ds_store_b64 v71, v[36:37] offset:29568
	;; [unrolled: 3-line block ×8, first 2 shown]
.LBB132_935:                            ;   in Loop: Header=BB132_3 Depth=1
	s_or_b32 exec_lo, exec_lo, s10
	s_wait_dscnt 0x0
	s_barrier_signal -1
	s_barrier_wait -1
	s_and_saveexec_b32 s10, s14
	s_cbranch_execz .LBB132_937
; %bb.936:                              ;   in Loop: Header=BB132_3 Depth=1
	ds_load_b128 v[36:39], v5 offset:29120
	ds_load_b64 v[40:41], v5 offset:29640
	s_wait_dscnt 0x0
	v_mul_f64_e32 v[36:37], v[36:37], v[40:41]
	s_delay_alu instid0(VALU_DEP_1)
	v_mul_f64_e32 v[36:37], v[38:39], v[36:37]
	v_add_nc_u32_e64 v38, 0x7000, 0
	ds_store_2addr_b64 v38, v[36:37], v[36:37] offset0:57 offset1:120
.LBB132_937:                            ;   in Loop: Header=BB132_3 Depth=1
	s_or_b32 exec_lo, exec_lo, s10
	v_mov_b64_e32 v[36:37], 0
	s_wait_dscnt 0x0
	s_barrier_signal -1
	s_barrier_wait -1
	s_and_saveexec_b32 s10, s1
	s_cbranch_execz .LBB132_941
; %bb.938:                              ;   in Loop: Header=BB132_3 Depth=1
	ds_load_b64 v[36:37], v43 offset:29136
	ds_load_b64 v[38:39], v44 offset:29120
	s_wait_dscnt 0x0
	v_fma_f64 v[36:37], v[36:37], v[38:39], 0
	s_and_saveexec_b32 s12, s15
	s_cbranch_execz .LBB132_940
; %bb.939:                              ;   in Loop: Header=BB132_3 Depth=1
	ds_load_b64 v[38:39], v71 offset:29648
	ds_load_b64 v[40:41], v5 offset:29128
	s_wait_dscnt 0x0
	v_fmac_f64_e32 v[36:37], v[38:39], v[40:41]
.LBB132_940:                            ;   in Loop: Header=BB132_3 Depth=1
	s_or_b32 exec_lo, exec_lo, s12
	s_delay_alu instid0(VALU_DEP_1)
	v_xor_b32_e32 v37, 0x80000000, v37
.LBB132_941:                            ;   in Loop: Header=BB132_3 Depth=1
	s_or_b32 exec_lo, exec_lo, s10
	s_and_saveexec_b32 s10, s91
	s_cbranch_execz .LBB132_943
; %bb.942:                              ;   in Loop: Header=BB132_3 Depth=1
	ds_load_b64 v[38:39], v5 offset:30160
	s_wait_dscnt 0x0
	v_mul_f64_e32 v[36:37], v[36:37], v[38:39]
	ds_store_b64 v3, v[36:37]
.LBB132_943:                            ;   in Loop: Header=BB132_3 Depth=1
	s_or_b32 exec_lo, exec_lo, s10
	s_wait_dscnt 0x0
	s_barrier_signal -1
	s_barrier_wait -1
	s_and_saveexec_b32 s10, s92
	s_cbranch_execz .LBB132_945
; %bb.944:                              ;   in Loop: Header=BB132_3 Depth=1
	ds_load_b64 v[38:39], v5 offset:30168
	ds_load_b64 v[40:41], v3
	s_wait_dscnt 0x0
	v_fmac_f64_e32 v[36:37], v[38:39], v[40:41]
.LBB132_945:                            ;   in Loop: Header=BB132_3 Depth=1
	s_or_b32 exec_lo, exec_lo, s10
	s_barrier_signal -1
	s_barrier_wait -1
	s_and_saveexec_b32 s10, s92
	s_cbranch_execz .LBB132_947
; %bb.946:                              ;   in Loop: Header=BB132_3 Depth=1
	ds_load_b64 v[38:39], v5 offset:30680
	s_wait_dscnt 0x0
	v_mul_f64_e32 v[36:37], v[36:37], v[38:39]
	ds_store_b64 v3, v[36:37]
.LBB132_947:                            ;   in Loop: Header=BB132_3 Depth=1
	s_or_b32 exec_lo, exec_lo, s10
	s_wait_dscnt 0x0
	s_barrier_signal -1
	s_barrier_wait -1
	s_barrier_signal -1
	s_barrier_wait -1
	s_and_saveexec_b32 s10, s1
; %bb.948:                              ;   in Loop: Header=BB132_3 Depth=1
	s_delay_alu instid0(VALU_DEP_1)
	v_xor_b32_e32 v37, 0x80000000, v37
	ds_store_b64 v43, v[36:37] offset:29136
; %bb.949:                              ;   in Loop: Header=BB132_3 Depth=1
	s_or_b32 exec_lo, exec_lo, s10
	s_wait_dscnt 0x0
	s_barrier_signal -1
	s_barrier_wait -1
	s_barrier_signal -1
	s_barrier_wait -1
	s_and_saveexec_b32 s10, s93
	s_cbranch_execz .LBB132_951
; %bb.950:                              ;   in Loop: Header=BB132_3 Depth=1
	ds_load_b64 v[36:37], v72 offset:29136
	s_wait_dscnt 0x0
	ds_store_b64 v71, v[36:37] offset:30144
	ds_load_b64 v[36:37], v72 offset:29144
	s_wait_dscnt 0x0
	ds_store_b64 v71, v[36:37] offset:30656
.LBB132_951:                            ;   in Loop: Header=BB132_3 Depth=1
	s_or_b32 exec_lo, exec_lo, s10
	s_wait_dscnt 0x0
	s_barrier_signal -1
	s_barrier_wait -1
	s_and_saveexec_b32 s10, s14
	s_cbranch_execz .LBB132_953
; %bb.952:                              ;   in Loop: Header=BB132_3 Depth=1
	ds_load_b128 v[36:39], v5 offset:30160
	ds_load_b64 v[40:41], v5 offset:30680
	s_wait_dscnt 0x0
	v_mul_f64_e32 v[36:37], v[36:37], v[40:41]
	s_delay_alu instid0(VALU_DEP_1)
	v_mul_f64_e32 v[36:37], v[38:39], v[36:37]
	v_add_nc_u32_e64 v38, 0x7000, 0
	ds_store_2addr_b64 v38, v[36:37], v[36:37] offset0:187 offset1:250
.LBB132_953:                            ;   in Loop: Header=BB132_3 Depth=1
	s_or_b32 exec_lo, exec_lo, s10
	v_mov_b64_e32 v[36:37], 0
	s_wait_dscnt 0x0
	s_barrier_signal -1
	s_barrier_wait -1
	s_and_saveexec_b32 s10, s3
	s_cbranch_execz .LBB132_959
; %bb.954:                              ;   in Loop: Header=BB132_3 Depth=1
	ds_load_b64 v[36:37], v50 offset:29152
	ds_load_b64 v[38:39], v46 offset:29120
	s_wait_dscnt 0x0
	v_fma_f64 v[36:37], v[36:37], v[38:39], 0
	s_and_saveexec_b32 s12, s16
	s_cbranch_execnz .LBB132_1147
; %bb.955:                              ;   in Loop: Header=BB132_3 Depth=1
	s_or_b32 exec_lo, exec_lo, s12
	s_and_saveexec_b32 s12, s17
	s_cbranch_execnz .LBB132_1148
.LBB132_956:                            ;   in Loop: Header=BB132_3 Depth=1
	s_or_b32 exec_lo, exec_lo, s12
	s_and_saveexec_b32 s12, s1
	s_cbranch_execz .LBB132_958
.LBB132_957:                            ;   in Loop: Header=BB132_3 Depth=1
	ds_load_b64 v[38:39], v73 offset:30688
	ds_load_b64 v[40:41], v5 offset:29144
	s_wait_dscnt 0x0
	v_fmac_f64_e32 v[36:37], v[38:39], v[40:41]
.LBB132_958:                            ;   in Loop: Header=BB132_3 Depth=1
	s_or_b32 exec_lo, exec_lo, s12
	s_delay_alu instid0(VALU_DEP_1)
	v_xor_b32_e32 v37, 0x80000000, v37
.LBB132_959:                            ;   in Loop: Header=BB132_3 Depth=1
	s_or_b32 exec_lo, exec_lo, s10
	s_and_saveexec_b32 s10, s94
	s_cbranch_execz .LBB132_961
; %bb.960:                              ;   in Loop: Header=BB132_3 Depth=1
	ds_load_b64 v[38:39], v5 offset:31200
	s_wait_dscnt 0x0
	v_mul_f64_e32 v[36:37], v[36:37], v[38:39]
	ds_store_b64 v49, v[36:37]
.LBB132_961:                            ;   in Loop: Header=BB132_3 Depth=1
	s_or_b32 exec_lo, exec_lo, s10
	s_wait_dscnt 0x0
	s_barrier_signal -1
	s_barrier_wait -1
	s_and_saveexec_b32 s10, s95
	s_cbranch_execz .LBB132_963
; %bb.962:                              ;   in Loop: Header=BB132_3 Depth=1
	ds_load_b64 v[38:39], v47 offset:31200
	ds_load_b64 v[40:41], v49
	s_wait_dscnt 0x0
	v_fmac_f64_e32 v[36:37], v[38:39], v[40:41]
.LBB132_963:                            ;   in Loop: Header=BB132_3 Depth=1
	s_or_b32 exec_lo, exec_lo, s10
	s_barrier_signal -1
	s_barrier_wait -1
	s_and_saveexec_b32 s10, s96
	s_cbranch_execz .LBB132_965
; %bb.964:                              ;   in Loop: Header=BB132_3 Depth=1
	ds_load_b64 v[38:39], v5 offset:31720
	s_wait_dscnt 0x0
	v_mul_f64_e32 v[36:37], v[36:37], v[38:39]
	ds_store_b64 v49, v[36:37]
.LBB132_965:                            ;   in Loop: Header=BB132_3 Depth=1
	s_or_b32 exec_lo, exec_lo, s10
	s_wait_dscnt 0x0
	s_barrier_signal -1
	s_barrier_wait -1
	s_and_saveexec_b32 s10, s97
	s_cbranch_execz .LBB132_967
; %bb.966:                              ;   in Loop: Header=BB132_3 Depth=1
	ds_load_b64 v[38:39], v47 offset:31712
	ds_load_b64 v[40:41], v49
	s_wait_dscnt 0x0
	v_fmac_f64_e32 v[36:37], v[38:39], v[40:41]
.LBB132_967:                            ;   in Loop: Header=BB132_3 Depth=1
	s_or_b32 exec_lo, exec_lo, s10
	s_barrier_signal -1
	s_barrier_wait -1
	;; [unrolled: 23-line block ×3, first 2 shown]
	s_and_saveexec_b32 s10, s99
	s_cbranch_execz .LBB132_973
; %bb.972:                              ;   in Loop: Header=BB132_3 Depth=1
	ds_load_b64 v[38:39], v5 offset:32760
	s_wait_dscnt 0x0
	v_mul_f64_e32 v[36:37], v[36:37], v[38:39]
	ds_store_b64 v49, v[36:37]
.LBB132_973:                            ;   in Loop: Header=BB132_3 Depth=1
	s_or_b32 exec_lo, exec_lo, s10
	s_wait_dscnt 0x0
	s_barrier_signal -1
	s_barrier_wait -1
	s_barrier_signal -1
	s_barrier_wait -1
	s_and_saveexec_b32 s10, s3
; %bb.974:                              ;   in Loop: Header=BB132_3 Depth=1
	s_delay_alu instid0(VALU_DEP_1)
	v_xor_b32_e32 v37, 0x80000000, v37
	ds_store_b64 v50, v[36:37] offset:29152
; %bb.975:                              ;   in Loop: Header=BB132_3 Depth=1
	s_or_b32 exec_lo, exec_lo, s10
	s_wait_dscnt 0x0
	s_barrier_signal -1
	s_barrier_wait -1
	s_barrier_signal -1
	s_barrier_wait -1
	s_and_saveexec_b32 s10, s100
	s_cbranch_execz .LBB132_977
; %bb.976:                              ;   in Loop: Header=BB132_3 Depth=1
	ds_load_b64 v[36:37], v74 offset:29152
	s_wait_dscnt 0x0
	ds_store_b64 v77, v[36:37] offset:31168
	ds_load_b64 v[36:37], v74 offset:29160
	s_wait_dscnt 0x0
	ds_store_b64 v77, v[36:37] offset:31680
	;; [unrolled: 3-line block ×4, first 2 shown]
.LBB132_977:                            ;   in Loop: Header=BB132_3 Depth=1
	s_or_b32 exec_lo, exec_lo, s10
	s_wait_dscnt 0x0
	s_barrier_signal -1
	s_barrier_wait -1
	s_and_saveexec_b32 s10, s14
	s_cbranch_execz .LBB132_979
; %bb.978:                              ;   in Loop: Header=BB132_3 Depth=1
	ds_load_b128 v[36:39], v5 offset:31200
	ds_load_b64 v[40:41], v5 offset:31720
	s_wait_dscnt 0x0
	v_mul_f64_e32 v[36:37], v[36:37], v[40:41]
	s_delay_alu instid0(VALU_DEP_1)
	v_mul_f64_e32 v[36:37], v[38:39], v[36:37]
	v_add_nc_u32_e64 v38, 0x7800, 0
	ds_store_2addr_b64 v38, v[36:37], v[36:37] offset0:61 offset1:124
.LBB132_979:                            ;   in Loop: Header=BB132_3 Depth=1
	s_or_b32 exec_lo, exec_lo, s10
	v_mov_b64_e32 v[36:37], 0
	s_wait_dscnt 0x0
	s_barrier_signal -1
	s_barrier_wait -1
	s_and_saveexec_b32 s10, s1
	s_cbranch_execz .LBB132_983
; %bb.980:                              ;   in Loop: Header=BB132_3 Depth=1
	ds_load_b64 v[36:37], v43 offset:31216
	ds_load_b64 v[38:39], v44 offset:31200
	s_wait_dscnt 0x0
	v_fma_f64 v[36:37], v[36:37], v[38:39], 0
	s_and_saveexec_b32 s12, s15
	s_cbranch_execz .LBB132_982
; %bb.981:                              ;   in Loop: Header=BB132_3 Depth=1
	ds_load_b64 v[38:39], v77 offset:31728
	ds_load_b64 v[40:41], v5 offset:31208
	s_wait_dscnt 0x0
	v_fmac_f64_e32 v[36:37], v[38:39], v[40:41]
.LBB132_982:                            ;   in Loop: Header=BB132_3 Depth=1
	s_or_b32 exec_lo, exec_lo, s12
	s_delay_alu instid0(VALU_DEP_1)
	v_xor_b32_e32 v37, 0x80000000, v37
.LBB132_983:                            ;   in Loop: Header=BB132_3 Depth=1
	s_or_b32 exec_lo, exec_lo, s10
	s_and_saveexec_b32 s10, s91
	s_cbranch_execz .LBB132_985
; %bb.984:                              ;   in Loop: Header=BB132_3 Depth=1
	ds_load_b64 v[38:39], v5 offset:32240
	s_wait_dscnt 0x0
	v_mul_f64_e32 v[36:37], v[36:37], v[38:39]
	ds_store_b64 v3, v[36:37]
.LBB132_985:                            ;   in Loop: Header=BB132_3 Depth=1
	s_or_b32 exec_lo, exec_lo, s10
	s_wait_dscnt 0x0
	s_barrier_signal -1
	s_barrier_wait -1
	s_and_saveexec_b32 s10, s92
	s_cbranch_execz .LBB132_987
; %bb.986:                              ;   in Loop: Header=BB132_3 Depth=1
	ds_load_b64 v[38:39], v5 offset:32248
	ds_load_b64 v[40:41], v3
	s_wait_dscnt 0x0
	v_fmac_f64_e32 v[36:37], v[38:39], v[40:41]
.LBB132_987:                            ;   in Loop: Header=BB132_3 Depth=1
	s_or_b32 exec_lo, exec_lo, s10
	s_barrier_signal -1
	s_barrier_wait -1
	s_and_saveexec_b32 s10, s92
	s_cbranch_execz .LBB132_989
; %bb.988:                              ;   in Loop: Header=BB132_3 Depth=1
	ds_load_b64 v[38:39], v5 offset:32760
	s_wait_dscnt 0x0
	v_mul_f64_e32 v[36:37], v[36:37], v[38:39]
	ds_store_b64 v3, v[36:37]
.LBB132_989:                            ;   in Loop: Header=BB132_3 Depth=1
	s_or_b32 exec_lo, exec_lo, s10
	s_wait_dscnt 0x0
	s_barrier_signal -1
	s_barrier_wait -1
	s_barrier_signal -1
	s_barrier_wait -1
	s_and_saveexec_b32 s10, s1
; %bb.990:                              ;   in Loop: Header=BB132_3 Depth=1
	s_delay_alu instid0(VALU_DEP_1)
	v_xor_b32_e32 v37, 0x80000000, v37
	ds_store_b64 v43, v[36:37] offset:31216
; %bb.991:                              ;   in Loop: Header=BB132_3 Depth=1
	s_or_b32 exec_lo, exec_lo, s10
	s_wait_dscnt 0x0
	s_barrier_signal -1
	s_barrier_wait -1
	s_barrier_signal -1
	s_barrier_wait -1
	s_and_saveexec_b32 s10, s93
	s_cbranch_execz .LBB132_993
; %bb.992:                              ;   in Loop: Header=BB132_3 Depth=1
	ds_load_b64 v[36:37], v79 offset:31216
	s_wait_dscnt 0x0
	ds_store_b64 v77, v[36:37] offset:32224
	ds_load_b64 v[36:37], v79 offset:31224
	s_wait_dscnt 0x0
	ds_store_b64 v77, v[36:37] offset:32736
.LBB132_993:                            ;   in Loop: Header=BB132_3 Depth=1
	s_or_b32 exec_lo, exec_lo, s10
	s_wait_dscnt 0x0
	s_barrier_signal -1
	s_barrier_wait -1
	s_and_saveexec_b32 s10, s14
	s_cbranch_execz .LBB132_995
; %bb.994:                              ;   in Loop: Header=BB132_3 Depth=1
	ds_load_b128 v[36:39], v5 offset:32240
	ds_load_b64 v[40:41], v5 offset:32760
	s_wait_dscnt 0x0
	v_mul_f64_e32 v[36:37], v[36:37], v[40:41]
	s_delay_alu instid0(VALU_DEP_1)
	v_mul_f64_e32 v[36:37], v[38:39], v[36:37]
	v_add_nc_u32_e64 v38, 0x7800, 0
	ds_store_2addr_b64 v38, v[36:37], v[36:37] offset0:191 offset1:254
.LBB132_995:                            ;   in Loop: Header=BB132_3 Depth=1
	s_or_b32 exec_lo, exec_lo, s10
.LBB132_996:                            ;   in Loop: Header=BB132_3 Depth=1
	v_add_nc_u64_e32 v[34:35], s[72:73], v[34:35]
	v_mov_b64_e32 v[36:37], 0
	s_wait_dscnt 0x0
	s_barrier_signal -1
	s_barrier_wait -1
	s_and_saveexec_b32 s10, s47
	s_cbranch_execz .LBB132_998
; %bb.997:                              ;   in Loop: Header=BB132_3 Depth=1
	v_lshl_add_u64 v[36:37], v[0:1], 3, v[34:35]
	flat_load_b64 v[36:37], v[36:37]
	s_wait_loadcnt_dscnt 0x0
	v_mul_f64_e64 v[36:37], v[36:37], -v[32:33]
.LBB132_998:                            ;   in Loop: Header=BB132_3 Depth=1
	s_or_b32 exec_lo, exec_lo, s10
	s_delay_alu instid0(SALU_CYCLE_1)
	s_and_not1_b32 vcc_lo, exec_lo, s48
	s_cbranch_vccnz .LBB132_1024
; %bb.999:                              ;   in Loop: Header=BB132_3 Depth=1
	v_mov_b32_e32 v94, -1
	s_lshl_b64 s[50:51], s[66:67], 2
	s_mov_b32 s10, 0
	s_add_nc_u64 s[84:85], s[82:83], s[50:51]
	s_branch .LBB132_1002
.LBB132_1000:                           ;   in Loop: Header=BB132_1002 Depth=2
	s_wait_xcnt 0x0
	ds_load_b64 v[32:33], v81 offset:384
	s_wait_loadcnt_dscnt 0x0
	v_fmac_f64_e32 v[36:37], v[38:39], v[32:33]
.LBB132_1001:                           ;   in Loop: Header=BB132_1002 Depth=2
	s_or_b32 exec_lo, exec_lo, s12
	s_add_co_i32 s10, s10, 1
	s_delay_alu instid0(SALU_CYCLE_1)
	s_cmp_eq_u32 s10, s86
	s_cbranch_scc1 .LBB132_1024
.LBB132_1002:                           ;   Parent Loop BB132_3 Depth=1
                                        ; =>  This Loop Header: Depth=2
                                        ;       Child Loop BB132_1004 Depth 3
	v_cmp_gt_i32_e32 vcc_lo, s10, v94
	s_and_b32 s50, s59, vcc_lo
	s_delay_alu instid0(SALU_CYCLE_1)
	s_and_saveexec_b32 s12, s50
	s_cbranch_execz .LBB132_1005
; %bb.1003:                             ;   in Loop: Header=BB132_1002 Depth=2
	global_load_b32 v94, v5, s[84:85]
	s_wait_loadcnt 0x0
	v_cmp_le_i32_e32 vcc_lo, s10, v94
	s_cbranch_vccnz .LBB132_1005
.LBB132_1004:                           ;   Parent Loop BB132_3 Depth=1
                                        ;     Parent Loop BB132_1002 Depth=2
                                        ; =>    This Inner Loop Header: Depth=3
	global_wb scope:SCOPE_DEV
	s_wait_storecnt 0x0
	global_inv scope:SCOPE_DEV
	global_load_b32 v94, v5, s[84:85]
	s_wait_loadcnt 0x0
	v_cmp_gt_i32_e32 vcc_lo, s10, v94
	s_cbranch_vccnz .LBB132_1004
.LBB132_1005:                           ;   in Loop: Header=BB132_1002 Depth=2
	s_or_b32 exec_lo, exec_lo, s12
	s_sub_co_i32 s12, s87, s10
	global_wb scope:SCOPE_DEV
	s_wait_storecnt 0x0
	global_inv scope:SCOPE_DEV
	s_lshl_b32 s50, s12, 6
	s_wait_loadcnt 0x0
	s_barrier_signal -1
	s_barrier_wait -1
	s_and_saveexec_b32 s51, s60
	s_cbranch_execz .LBB132_1009
; %bb.1006:                             ;   in Loop: Header=BB132_1002 Depth=2
	s_ashr_i32 s52, s50, 31
	v_mov_b64_e32 v[38:39], 0
	v_dual_mov_b32 v33, s52 :: v_dual_bitop2_b32 v32, s50, v4 bitop3:0x54
	s_mov_b32 s52, exec_lo
	s_delay_alu instid0(VALU_DEP_1)
	v_cmpx_gt_i64_e64 s[80:81], v[32:33]
	s_cbranch_execz .LBB132_1008
; %bb.1007:                             ;   in Loop: Header=BB132_1002 Depth=2
	v_mul_u64_e32 v[32:33], s[74:75], v[32:33]
	s_delay_alu instid0(VALU_DEP_1)
	v_lshl_add_u64 v[32:33], v[32:33], 3, v[34:35]
	flat_load_b64 v[38:39], v[32:33]
.LBB132_1008:                           ;   in Loop: Header=BB132_1002 Depth=2
	s_wait_xcnt 0x0
	s_or_b32 exec_lo, exec_lo, s52
	s_wait_loadcnt_dscnt 0x0
	ds_store_b64 v88, v[38:39]
.LBB132_1009:                           ;   in Loop: Header=BB132_1002 Depth=2
	s_or_b32 exec_lo, exec_lo, s51
	v_add_nc_u32_e32 v38, s50, v42
	s_cmp_lg_u32 s12, s49
	s_wait_dscnt 0x0
	s_cselect_b32 s50, -1, 0
	s_barrier_signal -1
	v_ashrrev_i32_e32 v39, 31, v38
	v_cmp_gt_i32_e32 vcc_lo, s80, v38
	s_barrier_wait -1
	s_delay_alu instid0(VALU_DEP_2) | instskip(SKIP_2) | instid1(SALU_CYCLE_1)
	v_lshl_add_u64 v[32:33], v[38:39], 3, v[30:31]
	v_cndmask_b32_e64 v39, 0, 1, s50
	s_and_b32 s51, vcc_lo, s0
	s_and_saveexec_b32 s12, s51
	s_cbranch_execz .LBB132_1013
; %bb.1010:                             ;   in Loop: Header=BB132_1002 Depth=2
	v_mov_b64_e32 v[40:41], v[22:23]
	s_and_not1_b32 vcc_lo, exec_lo, s50
	s_cbranch_vccnz .LBB132_1012
; %bb.1011:                             ;   in Loop: Header=BB132_1002 Depth=2
	flat_load_b64 v[40:41], v[32:33]
.LBB132_1012:                           ;   in Loop: Header=BB132_1002 Depth=2
	ds_load_b64 v[96:97], v81
	s_wait_loadcnt_dscnt 0x0
	v_fmac_f64_e32 v[36:37], v[40:41], v[96:97]
.LBB132_1013:                           ;   in Loop: Header=BB132_1002 Depth=2
	s_or_b32 exec_lo, exec_lo, s12
	v_add_nc_u32_e32 v40, 16, v38
	s_delay_alu instid0(VALU_DEP_1) | instskip(SKIP_1) | instid1(SALU_CYCLE_1)
	v_cmp_gt_i32_e32 vcc_lo, s80, v40
	s_and_b32 s50, vcc_lo, s0
	s_and_saveexec_b32 s12, s50
	s_cbranch_execz .LBB132_1017
; %bb.1014:                             ;   in Loop: Header=BB132_1002 Depth=2
	v_cmp_ne_u32_e32 vcc_lo, 1, v39
	v_mov_b64_e32 v[40:41], v[24:25]
	s_cbranch_vccnz .LBB132_1016
; %bb.1015:                             ;   in Loop: Header=BB132_1002 Depth=2
	flat_load_b64 v[40:41], v[32:33] offset:128
.LBB132_1016:                           ;   in Loop: Header=BB132_1002 Depth=2
	ds_load_b64 v[96:97], v81 offset:128
	s_wait_loadcnt_dscnt 0x0
	v_fmac_f64_e32 v[36:37], v[40:41], v[96:97]
.LBB132_1017:                           ;   in Loop: Header=BB132_1002 Depth=2
	s_or_b32 exec_lo, exec_lo, s12
	v_add_nc_u32_e32 v40, 32, v38
	s_delay_alu instid0(VALU_DEP_1) | instskip(SKIP_1) | instid1(SALU_CYCLE_1)
	v_cmp_gt_i32_e32 vcc_lo, s80, v40
	s_and_b32 s50, vcc_lo, s0
	s_and_saveexec_b32 s12, s50
	s_cbranch_execz .LBB132_1021
; %bb.1018:                             ;   in Loop: Header=BB132_1002 Depth=2
	v_cmp_ne_u32_e32 vcc_lo, 1, v39
	v_mov_b64_e32 v[40:41], v[26:27]
	s_cbranch_vccnz .LBB132_1020
; %bb.1019:                             ;   in Loop: Header=BB132_1002 Depth=2
	flat_load_b64 v[40:41], v[32:33] offset:256
.LBB132_1020:                           ;   in Loop: Header=BB132_1002 Depth=2
	ds_load_b64 v[96:97], v81 offset:256
	s_wait_loadcnt_dscnt 0x0
	v_fmac_f64_e32 v[36:37], v[40:41], v[96:97]
.LBB132_1021:                           ;   in Loop: Header=BB132_1002 Depth=2
	s_or_b32 exec_lo, exec_lo, s12
	v_add_nc_u32_e32 v38, 48, v38
	s_delay_alu instid0(VALU_DEP_1) | instskip(SKIP_1) | instid1(SALU_CYCLE_1)
	v_cmp_gt_i32_e32 vcc_lo, s80, v38
	s_and_b32 s50, vcc_lo, s0
	s_and_saveexec_b32 s12, s50
	s_cbranch_execz .LBB132_1001
; %bb.1022:                             ;   in Loop: Header=BB132_1002 Depth=2
	v_cmp_ne_u32_e32 vcc_lo, 1, v39
	v_mov_b64_e32 v[38:39], v[28:29]
	s_cbranch_vccnz .LBB132_1000
; %bb.1023:                             ;   in Loop: Header=BB132_1002 Depth=2
	flat_load_b64 v[38:39], v[32:33] offset:384
	s_branch .LBB132_1000
.LBB132_1024:                           ;   in Loop: Header=BB132_3 Depth=1
	ds_store_b64 v89, v[36:37]
	s_wait_dscnt 0x0
	s_barrier_signal -1
	s_barrier_wait -1
	s_and_saveexec_b32 s10, s2
	s_cbranch_execz .LBB132_1026
; %bb.1025:                             ;   in Loop: Header=BB132_3 Depth=1
	ds_load_2addr_stride64_b64 v[30:33], v90 offset0:1 offset1:2
	ds_load_2addr_stride64_b64 v[38:41], v90 offset0:3 offset1:4
	s_wait_dscnt 0x1
	v_add_f64_e32 v[30:31], v[36:37], v[30:31]
	s_delay_alu instid0(VALU_DEP_1) | instskip(SKIP_1) | instid1(VALU_DEP_1)
	v_add_f64_e32 v[30:31], v[30:31], v[32:33]
	s_wait_dscnt 0x0
	v_add_f64_e32 v[30:31], v[30:31], v[38:39]
	s_delay_alu instid0(VALU_DEP_1) | instskip(SKIP_4) | instid1(VALU_DEP_1)
	v_add_f64_e32 v[40:41], v[30:31], v[40:41]
	ds_load_2addr_stride64_b64 v[30:33], v90 offset0:5 offset1:6
	ds_load_2addr_stride64_b64 v[36:39], v90 offset0:7 offset1:8
	s_wait_dscnt 0x1
	v_add_f64_e32 v[30:31], v[40:41], v[30:31]
	v_add_f64_e32 v[30:31], v[30:31], v[32:33]
	s_wait_dscnt 0x0
	s_delay_alu instid0(VALU_DEP_1) | instskip(NEXT) | instid1(VALU_DEP_1)
	v_add_f64_e32 v[30:31], v[30:31], v[36:37]
	v_add_f64_e32 v[40:41], v[30:31], v[38:39]
	ds_load_2addr_stride64_b64 v[30:33], v90 offset0:9 offset1:10
	ds_load_2addr_stride64_b64 v[36:39], v90 offset0:11 offset1:12
	s_wait_dscnt 0x1
	v_add_f64_e32 v[30:31], v[40:41], v[30:31]
	s_delay_alu instid0(VALU_DEP_1) | instskip(SKIP_1) | instid1(VALU_DEP_1)
	v_add_f64_e32 v[30:31], v[30:31], v[32:33]
	s_wait_dscnt 0x0
	v_add_f64_e32 v[30:31], v[30:31], v[36:37]
	s_delay_alu instid0(VALU_DEP_1) | instskip(SKIP_4) | instid1(VALU_DEP_1)
	v_add_f64_e32 v[36:37], v[30:31], v[38:39]
	ds_load_2addr_stride64_b64 v[30:33], v90 offset0:13 offset1:14
	ds_load_b64 v[38:39], v90 offset:7680
	s_wait_dscnt 0x1
	v_add_f64_e32 v[30:31], v[36:37], v[30:31]
	v_add_f64_e32 v[30:31], v[30:31], v[32:33]
	s_wait_dscnt 0x0
	s_delay_alu instid0(VALU_DEP_1) | instskip(NEXT) | instid1(VALU_DEP_1)
	v_add_f64_e32 v[30:31], v[30:31], v[38:39]
	v_xor_b32_e32 v31, 0x80000000, v31
	s_delay_alu instid0(VALU_DEP_2) | instskip(NEXT) | instid1(VALU_DEP_2)
	v_cndmask_b32_e64 v36, v30, 0, s46
	v_cndmask_b32_e64 v37, v31, 0, s46
.LBB132_1026:                           ;   in Loop: Header=BB132_3 Depth=1
	s_or_b32 exec_lo, exec_lo, s10
	s_delay_alu instid0(SALU_CYCLE_1)
	s_and_not1_b32 vcc_lo, exec_lo, s90
	s_cbranch_vccnz .LBB132_1036
; %bb.1027:                             ;   in Loop: Header=BB132_3 Depth=1
	s_and_saveexec_b32 s10, s2
; %bb.1028:                             ;   in Loop: Header=BB132_3 Depth=1
	ds_store_b64 v92, v[36:37]
; %bb.1029:                             ;   in Loop: Header=BB132_3 Depth=1
	s_or_b32 exec_lo, exec_lo, s10
	v_mov_b64_e32 v[30:31], 0
	s_wait_dscnt 0x0
	s_barrier_signal -1
	s_barrier_wait -1
	s_and_saveexec_b32 s10, s6
	s_cbranch_execnz .LBB132_1092
; %bb.1030:                             ;   in Loop: Header=BB132_3 Depth=1
	s_or_b32 exec_lo, exec_lo, s10
	s_and_saveexec_b32 s10, s7
	s_cbranch_execnz .LBB132_1093
.LBB132_1031:                           ;   in Loop: Header=BB132_3 Depth=1
	s_or_b32 exec_lo, exec_lo, s10
	s_and_saveexec_b32 s10, s8
	s_cbranch_execnz .LBB132_1094
.LBB132_1032:                           ;   in Loop: Header=BB132_3 Depth=1
	s_or_b32 exec_lo, exec_lo, s10
	s_and_saveexec_b32 s10, s9
	s_cbranch_execz .LBB132_1034
.LBB132_1033:                           ;   in Loop: Header=BB132_3 Depth=1
	ds_load_b64 v[32:33], v91 offset:24576
	ds_load_b64 v[38:39], v81 offset:384
	s_wait_dscnt 0x0
	v_fmac_f64_e32 v[30:31], v[32:33], v[38:39]
.LBB132_1034:                           ;   in Loop: Header=BB132_3 Depth=1
	s_or_b32 exec_lo, exec_lo, s10
	s_mov_b32 s10, 0
	s_mov_b32 s84, 0
	ds_store_b64 v89, v[30:31]
	s_wait_dscnt 0x0
	s_barrier_signal -1
	s_barrier_wait -1
                                        ; implicit-def: $vgpr32_vgpr33
	s_and_saveexec_b32 s85, s2
	s_cbranch_execz .LBB132_1095
; %bb.1035:                             ;   in Loop: Header=BB132_3 Depth=1
	ds_load_2addr_stride64_b64 v[38:41], v90 offset0:1 offset1:2
	ds_load_2addr_stride64_b64 v[94:97], v90 offset0:3 offset1:4
	s_mov_b32 s84, exec_lo
	s_wait_dscnt 0x1
	v_add_f64_e32 v[30:31], v[30:31], v[38:39]
	s_delay_alu instid0(VALU_DEP_1) | instskip(SKIP_1) | instid1(VALU_DEP_1)
	v_add_f64_e32 v[30:31], v[40:41], v[30:31]
	s_wait_dscnt 0x0
	v_add_f64_e32 v[30:31], v[94:95], v[30:31]
	s_delay_alu instid0(VALU_DEP_1) | instskip(SKIP_4) | instid1(VALU_DEP_1)
	v_add_f64_e32 v[94:95], v[96:97], v[30:31]
	ds_load_2addr_stride64_b64 v[30:33], v90 offset0:5 offset1:6
	ds_load_2addr_stride64_b64 v[38:41], v90 offset0:7 offset1:8
	s_wait_dscnt 0x1
	v_add_f64_e32 v[30:31], v[30:31], v[94:95]
	v_add_f64_e32 v[30:31], v[32:33], v[30:31]
	s_wait_dscnt 0x0
	s_delay_alu instid0(VALU_DEP_1) | instskip(NEXT) | instid1(VALU_DEP_1)
	v_add_f64_e32 v[30:31], v[38:39], v[30:31]
	v_add_f64_e32 v[94:95], v[40:41], v[30:31]
	ds_load_2addr_stride64_b64 v[30:33], v90 offset0:9 offset1:10
	ds_load_2addr_stride64_b64 v[38:41], v90 offset0:11 offset1:12
	s_wait_dscnt 0x1
	v_add_f64_e32 v[30:31], v[30:31], v[94:95]
	s_delay_alu instid0(VALU_DEP_1) | instskip(SKIP_1) | instid1(VALU_DEP_1)
	v_add_f64_e32 v[30:31], v[32:33], v[30:31]
	s_wait_dscnt 0x0
	v_add_f64_e32 v[30:31], v[38:39], v[30:31]
	s_delay_alu instid0(VALU_DEP_1) | instskip(SKIP_4) | instid1(VALU_DEP_1)
	v_add_f64_e32 v[38:39], v[40:41], v[30:31]
	ds_load_2addr_stride64_b64 v[30:33], v90 offset0:13 offset1:14
	ds_load_b64 v[40:41], v90 offset:7680
	s_wait_dscnt 0x1
	v_add_f64_e32 v[30:31], v[30:31], v[38:39]
	v_add_f64_e32 v[30:31], v[32:33], v[30:31]
	s_wait_dscnt 0x0
	s_delay_alu instid0(VALU_DEP_1) | instskip(SKIP_1) | instid1(SALU_CYCLE_1)
	v_add_f64_e32 v[32:33], v[40:41], v[30:31]
	s_or_b32 exec_lo, exec_lo, s85
	s_and_b32 vcc_lo, exec_lo, s10
	s_cbranch_vccnz .LBB132_1037
	s_branch .LBB132_1096
.LBB132_1036:                           ;   in Loop: Header=BB132_3 Depth=1
	s_mov_b32 s84, 0
                                        ; implicit-def: $vgpr32_vgpr33
	s_cbranch_execz .LBB132_1096
.LBB132_1037:                           ;   in Loop: Header=BB132_3 Depth=1
	v_dual_mov_b32 v30, v93 :: v_dual_mov_b32 v31, v85
	s_mov_b32 s10, 63
	s_branch .LBB132_1039
.LBB132_1038:                           ;   in Loop: Header=BB132_1039 Depth=2
	s_or_b32 exec_lo, exec_lo, s12
	v_add_nc_u32_e32 v31, 0xfffff800, v31
	v_add_nc_u32_e32 v30, 4, v30
	s_add_co_i32 s10, s10, -4
	s_cmp_lg_u32 s85, 0
	s_barrier_signal -1
	s_barrier_wait -1
	s_cbranch_scc0 .LBB132_1055
.LBB132_1039:                           ;   Parent Loop BB132_3 Depth=1
                                        ; =>  This Inner Loop Header: Depth=2
	s_delay_alu instid0(VALU_DEP_1) | instskip(SKIP_2) | instid1(SALU_CYCLE_1)
	v_cmp_eq_u32_e32 vcc_lo, 0, v30
	v_add_nc_u32_e32 v32, v79, v45
	s_and_b32 s50, s2, vcc_lo
	s_and_saveexec_b32 s12, s50
	s_cbranch_execz .LBB132_1041
; %bb.1040:                             ;   in Loop: Header=BB132_1039 Depth=2
	ds_load_b64 v[38:39], v32
	s_wait_dscnt 0x0
	v_mul_f64_e32 v[36:37], v[36:37], v[38:39]
	ds_store_b64 v5, v[36:37] offset:41472
.LBB132_1041:                           ;   in Loop: Header=BB132_1039 Depth=2
	s_or_b32 exec_lo, exec_lo, s12
	v_cmp_gt_u32_e32 vcc_lo, s10, v2
	s_wait_dscnt 0x0
	s_barrier_signal -1
	s_barrier_wait -1
	s_and_b32 s50, s2, vcc_lo
	s_delay_alu instid0(SALU_CYCLE_1)
	s_and_saveexec_b32 s12, s50
	s_cbranch_execz .LBB132_1043
; %bb.1042:                             ;   in Loop: Header=BB132_1039 Depth=2
	ds_load_b64 v[38:39], v31 offset:1536
	ds_load_b64 v[40:41], v5 offset:41472
	s_wait_dscnt 0x0
	v_fmac_f64_e32 v[36:37], v[38:39], v[40:41]
.LBB132_1043:                           ;   in Loop: Header=BB132_1039 Depth=2
	s_or_b32 exec_lo, exec_lo, s12
	s_add_co_i32 s12, s10, -1
	s_delay_alu instid0(SALU_CYCLE_1) | instskip(SKIP_3) | instid1(SALU_CYCLE_1)
	v_cmp_eq_u32_e32 vcc_lo, s12, v2
	s_barrier_signal -1
	s_barrier_wait -1
	s_and_b32 s51, s2, vcc_lo
	s_and_saveexec_b32 s50, s51
	s_cbranch_execz .LBB132_1045
; %bb.1044:                             ;   in Loop: Header=BB132_1039 Depth=2
	ds_load_b64 v[38:39], v32
	s_wait_dscnt 0x0
	v_mul_f64_e32 v[36:37], v[36:37], v[38:39]
	ds_store_b64 v5, v[36:37] offset:41472
.LBB132_1045:                           ;   in Loop: Header=BB132_1039 Depth=2
	s_or_b32 exec_lo, exec_lo, s50
	v_cmp_gt_u32_e32 vcc_lo, s12, v2
	s_wait_dscnt 0x0
	s_barrier_signal -1
	s_barrier_wait -1
	s_and_b32 s50, s2, vcc_lo
	s_delay_alu instid0(SALU_CYCLE_1)
	s_and_saveexec_b32 s12, s50
	s_cbranch_execz .LBB132_1047
; %bb.1046:                             ;   in Loop: Header=BB132_1039 Depth=2
	ds_load_b64 v[38:39], v31 offset:1024
	ds_load_b64 v[40:41], v5 offset:41472
	s_wait_dscnt 0x0
	v_fmac_f64_e32 v[36:37], v[38:39], v[40:41]
.LBB132_1047:                           ;   in Loop: Header=BB132_1039 Depth=2
	s_or_b32 exec_lo, exec_lo, s12
	s_add_co_i32 s12, s10, -2
	s_delay_alu instid0(SALU_CYCLE_1) | instskip(SKIP_3) | instid1(SALU_CYCLE_1)
	v_cmp_eq_u32_e32 vcc_lo, s12, v2
	s_barrier_signal -1
	s_barrier_wait -1
	;; [unrolled: 30-line block ×3, first 2 shown]
	s_and_b32 s50, s2, vcc_lo
	s_and_saveexec_b32 s12, s50
	s_cbranch_execz .LBB132_1053
; %bb.1052:                             ;   in Loop: Header=BB132_1039 Depth=2
	ds_load_b64 v[32:33], v32
	s_wait_dscnt 0x0
	v_mul_f64_e32 v[36:37], v[36:37], v[32:33]
	ds_store_b64 v5, v[36:37] offset:41472
.LBB132_1053:                           ;   in Loop: Header=BB132_1039 Depth=2
	s_or_b32 exec_lo, exec_lo, s12
	v_cmp_gt_u32_e32 vcc_lo, s85, v2
	s_wait_dscnt 0x0
	s_barrier_signal -1
	s_barrier_wait -1
	s_and_b32 s50, s2, vcc_lo
	s_delay_alu instid0(SALU_CYCLE_1)
	s_and_saveexec_b32 s12, s50
	s_cbranch_execz .LBB132_1038
; %bb.1054:                             ;   in Loop: Header=BB132_1039 Depth=2
	ds_load_b64 v[32:33], v31
	ds_load_b64 v[38:39], v5 offset:41472
	s_wait_dscnt 0x0
	v_fmac_f64_e32 v[36:37], v[32:33], v[38:39]
	s_branch .LBB132_1038
.LBB132_1055:                           ;   in Loop: Header=BB132_3 Depth=1
	s_and_b32 vcc_lo, exec_lo, s88
	s_mov_b32 s10, -1
	s_cbranch_vccnz .LBB132_1097
; %bb.1056:                             ;   in Loop: Header=BB132_3 Depth=1
	s_and_not1_b32 vcc_lo, exec_lo, s10
	s_cbranch_vccz .LBB132_1098
.LBB132_1057:                           ;   in Loop: Header=BB132_3 Depth=1
	s_and_saveexec_b32 s10, s84
	s_cbranch_execz .LBB132_1059
.LBB132_1058:                           ;   in Loop: Header=BB132_3 Depth=1
	v_lshl_add_u64 v[30:31], v[18:19], 3, v[34:35]
	flat_store_b64 v[30:31], v[36:37]
.LBB132_1059:                           ;   in Loop: Header=BB132_3 Depth=1
	s_wait_xcnt 0x0
	s_or_b32 exec_lo, exec_lo, s10
	global_wb scope:SCOPE_DEV
	s_wait_storecnt_dscnt 0x0
	global_inv scope:SCOPE_DEV
	s_wait_loadcnt 0x0
	s_barrier_signal -1
	s_barrier_wait -1
	s_and_saveexec_b32 s10, s59
	s_cbranch_execz .LBB132_2
; %bb.1060:                             ;   in Loop: Header=BB132_3 Depth=1
	s_lshl_b64 s[50:51], s[66:67], 2
	s_delay_alu instid0(SALU_CYCLE_1)
	s_add_nc_u64 s[50:51], s[82:83], s[50:51]
	global_load_b32 v30, v5, s[50:51]
	s_wait_loadcnt 0x0
	v_add_nc_u32_e32 v30, 1, v30
	global_store_b32 v5, v30, s[50:51]
	s_branch .LBB132_2
.LBB132_1061:                           ;   in Loop: Header=BB132_3 Depth=1
	s_mov_b32 s12, exec_lo
	v_readlane_b32 s50, v102, 19
	s_and_b32 s50, s12, s50
	s_delay_alu instid0(SALU_CYCLE_1)
	s_xor_b32 s12, s50, s12
	s_mov_b32 exec_lo, s50
	s_cbranch_execz .LBB132_1065
; %bb.1062:                             ;   in Loop: Header=BB132_3 Depth=1
	s_mov_b32 s50, exec_lo
	v_readlane_b32 s51, v101, 29
	s_and_b32 s51, s50, s51
	s_delay_alu instid0(SALU_CYCLE_1)
	s_mov_b32 exec_lo, s51
; %bb.1063:                             ;   in Loop: Header=BB132_3 Depth=1
	ds_store_b64 v75, v[20:21]
; %bb.1064:                             ;   in Loop: Header=BB132_3 Depth=1
	s_or_b32 exec_lo, exec_lo, s50
.LBB132_1065:                           ;   in Loop: Header=BB132_3 Depth=1
	s_and_not1_saveexec_b32 s12, s12
	s_cbranch_execz .LBB132_1067
; %bb.1066:                             ;   in Loop: Header=BB132_3 Depth=1
	v_lshl_add_u64 v[38:39], v[10:11], 3, v[36:37]
	flat_load_b64 v[38:39], v[38:39]
	s_wait_loadcnt_dscnt 0x0
	v_div_scale_f64 v[40:41], null, v[38:39], v[38:39], 1.0
	s_delay_alu instid0(VALU_DEP_1) | instskip(SKIP_1) | instid1(TRANS32_DEP_1)
	v_rcp_f64_e32 v[94:95], v[40:41]
	v_nop
	v_fma_f64 v[96:97], -v[40:41], v[94:95], 1.0
	s_delay_alu instid0(VALU_DEP_1) | instskip(NEXT) | instid1(VALU_DEP_1)
	v_fmac_f64_e32 v[94:95], v[94:95], v[96:97]
	v_fma_f64 v[96:97], -v[40:41], v[94:95], 1.0
	s_delay_alu instid0(VALU_DEP_1) | instskip(SKIP_1) | instid1(VALU_DEP_1)
	v_fmac_f64_e32 v[94:95], v[94:95], v[96:97]
	v_div_scale_f64 v[96:97], vcc_lo, 1.0, v[38:39], 1.0
	v_mul_f64_e32 v[98:99], v[96:97], v[94:95]
	s_delay_alu instid0(VALU_DEP_1) | instskip(NEXT) | instid1(VALU_DEP_1)
	v_fma_f64 v[40:41], -v[40:41], v[98:99], v[96:97]
	v_div_fmas_f64 v[40:41], v[40:41], v[94:95], v[98:99]
	s_delay_alu instid0(VALU_DEP_1)
	v_div_fixup_f64 v[38:39], v[40:41], v[38:39], 1.0
	ds_store_b64 v75, v[38:39]
.LBB132_1067:                           ;   in Loop: Header=BB132_3 Depth=1
	s_or_b32 exec_lo, exec_lo, s12
	s_and_not1_saveexec_b32 s10, s10
	s_cbranch_execz .LBB132_16
.LBB132_1068:                           ;   in Loop: Header=BB132_3 Depth=1
	v_lshl_add_u64 v[38:39], v[10:11], 3, v[36:37]
	flat_load_b64 v[38:39], v[38:39]
	s_wait_loadcnt_dscnt 0x0
	v_xor_b32_e32 v39, 0x80000000, v39
	ds_store_b64 v75, v[38:39]
	s_or_b32 exec_lo, exec_lo, s10
	s_and_saveexec_b32 s10, s7
	s_delay_alu instid0(SALU_CYCLE_1)
	s_xor_b32 s10, exec_lo, s10
	s_cbranch_execz .LBB132_17
.LBB132_1069:                           ;   in Loop: Header=BB132_3 Depth=1
	s_mov_b32 s12, exec_lo
	v_readlane_b32 s50, v102, 21
	s_and_b32 s50, s12, s50
	s_delay_alu instid0(SALU_CYCLE_1)
	s_xor_b32 s12, s50, s12
	s_mov_b32 exec_lo, s50
	s_cbranch_execz .LBB132_1073
; %bb.1070:                             ;   in Loop: Header=BB132_3 Depth=1
	s_mov_b32 s50, exec_lo
	v_readlane_b32 s51, v101, 30
	s_and_b32 s51, s50, s51
	s_delay_alu instid0(SALU_CYCLE_1)
	s_mov_b32 exec_lo, s51
; %bb.1071:                             ;   in Loop: Header=BB132_3 Depth=1
	ds_store_b64 v76, v[20:21]
; %bb.1072:                             ;   in Loop: Header=BB132_3 Depth=1
	s_or_b32 exec_lo, exec_lo, s50
.LBB132_1073:                           ;   in Loop: Header=BB132_3 Depth=1
	s_and_not1_saveexec_b32 s12, s12
	s_cbranch_execz .LBB132_1075
; %bb.1074:                             ;   in Loop: Header=BB132_3 Depth=1
	v_lshl_add_u64 v[38:39], v[12:13], 3, v[36:37]
	flat_load_b64 v[38:39], v[38:39]
	s_wait_loadcnt_dscnt 0x0
	v_div_scale_f64 v[40:41], null, v[38:39], v[38:39], 1.0
	s_delay_alu instid0(VALU_DEP_1) | instskip(SKIP_1) | instid1(TRANS32_DEP_1)
	v_rcp_f64_e32 v[94:95], v[40:41]
	v_nop
	v_fma_f64 v[96:97], -v[40:41], v[94:95], 1.0
	s_delay_alu instid0(VALU_DEP_1) | instskip(NEXT) | instid1(VALU_DEP_1)
	v_fmac_f64_e32 v[94:95], v[94:95], v[96:97]
	v_fma_f64 v[96:97], -v[40:41], v[94:95], 1.0
	s_delay_alu instid0(VALU_DEP_1) | instskip(SKIP_1) | instid1(VALU_DEP_1)
	v_fmac_f64_e32 v[94:95], v[94:95], v[96:97]
	v_div_scale_f64 v[96:97], vcc_lo, 1.0, v[38:39], 1.0
	v_mul_f64_e32 v[98:99], v[96:97], v[94:95]
	s_delay_alu instid0(VALU_DEP_1) | instskip(NEXT) | instid1(VALU_DEP_1)
	v_fma_f64 v[40:41], -v[40:41], v[98:99], v[96:97]
	v_div_fmas_f64 v[40:41], v[40:41], v[94:95], v[98:99]
	s_delay_alu instid0(VALU_DEP_1)
	v_div_fixup_f64 v[38:39], v[40:41], v[38:39], 1.0
	ds_store_b64 v76, v[38:39]
.LBB132_1075:                           ;   in Loop: Header=BB132_3 Depth=1
	s_or_b32 exec_lo, exec_lo, s12
	s_and_not1_saveexec_b32 s10, s10
	s_cbranch_execz .LBB132_18
.LBB132_1076:                           ;   in Loop: Header=BB132_3 Depth=1
	v_lshl_add_u64 v[38:39], v[12:13], 3, v[36:37]
	flat_load_b64 v[38:39], v[38:39]
	s_wait_loadcnt_dscnt 0x0
	v_xor_b32_e32 v39, 0x80000000, v39
	ds_store_b64 v76, v[38:39]
	s_or_b32 exec_lo, exec_lo, s10
	s_and_saveexec_b32 s10, s8
	s_delay_alu instid0(SALU_CYCLE_1)
	s_xor_b32 s10, exec_lo, s10
	s_cbranch_execz .LBB132_19
.LBB132_1077:                           ;   in Loop: Header=BB132_3 Depth=1
	s_mov_b32 s12, exec_lo
	v_readlane_b32 s50, v102, 23
	s_and_b32 s50, s12, s50
	s_delay_alu instid0(SALU_CYCLE_1)
	s_xor_b32 s12, s50, s12
	s_mov_b32 exec_lo, s50
	s_cbranch_execz .LBB132_1081
; %bb.1078:                             ;   in Loop: Header=BB132_3 Depth=1
	s_mov_b32 s50, exec_lo
	v_readlane_b32 s51, v101, 31
	s_and_b32 s51, s50, s51
	s_delay_alu instid0(SALU_CYCLE_1)
	s_mov_b32 exec_lo, s51
; %bb.1079:                             ;   in Loop: Header=BB132_3 Depth=1
	ds_store_b64 v78, v[20:21]
; %bb.1080:                             ;   in Loop: Header=BB132_3 Depth=1
	s_or_b32 exec_lo, exec_lo, s50
.LBB132_1081:                           ;   in Loop: Header=BB132_3 Depth=1
	s_and_not1_saveexec_b32 s12, s12
	s_cbranch_execz .LBB132_1083
; %bb.1082:                             ;   in Loop: Header=BB132_3 Depth=1
	v_lshl_add_u64 v[38:39], v[14:15], 3, v[36:37]
	flat_load_b64 v[38:39], v[38:39]
	s_wait_loadcnt_dscnt 0x0
	v_div_scale_f64 v[40:41], null, v[38:39], v[38:39], 1.0
	s_delay_alu instid0(VALU_DEP_1) | instskip(SKIP_1) | instid1(TRANS32_DEP_1)
	v_rcp_f64_e32 v[94:95], v[40:41]
	v_nop
	v_fma_f64 v[96:97], -v[40:41], v[94:95], 1.0
	s_delay_alu instid0(VALU_DEP_1) | instskip(NEXT) | instid1(VALU_DEP_1)
	v_fmac_f64_e32 v[94:95], v[94:95], v[96:97]
	v_fma_f64 v[96:97], -v[40:41], v[94:95], 1.0
	s_delay_alu instid0(VALU_DEP_1) | instskip(SKIP_1) | instid1(VALU_DEP_1)
	v_fmac_f64_e32 v[94:95], v[94:95], v[96:97]
	v_div_scale_f64 v[96:97], vcc_lo, 1.0, v[38:39], 1.0
	v_mul_f64_e32 v[98:99], v[96:97], v[94:95]
	s_delay_alu instid0(VALU_DEP_1) | instskip(NEXT) | instid1(VALU_DEP_1)
	v_fma_f64 v[40:41], -v[40:41], v[98:99], v[96:97]
	v_div_fmas_f64 v[40:41], v[40:41], v[94:95], v[98:99]
	s_delay_alu instid0(VALU_DEP_1)
	v_div_fixup_f64 v[38:39], v[40:41], v[38:39], 1.0
	ds_store_b64 v78, v[38:39]
.LBB132_1083:                           ;   in Loop: Header=BB132_3 Depth=1
	s_or_b32 exec_lo, exec_lo, s12
	s_and_not1_saveexec_b32 s10, s10
	s_cbranch_execz .LBB132_20
.LBB132_1084:                           ;   in Loop: Header=BB132_3 Depth=1
	v_lshl_add_u64 v[38:39], v[14:15], 3, v[36:37]
	flat_load_b64 v[38:39], v[38:39]
	s_wait_loadcnt_dscnt 0x0
	v_xor_b32_e32 v39, 0x80000000, v39
	ds_store_b64 v78, v[38:39]
	s_or_b32 exec_lo, exec_lo, s10
	s_and_saveexec_b32 s10, s9
	s_delay_alu instid0(SALU_CYCLE_1)
	s_xor_b32 s10, exec_lo, s10
	s_cbranch_execz .LBB132_21
.LBB132_1085:                           ;   in Loop: Header=BB132_3 Depth=1
	s_mov_b32 s12, exec_lo
	v_readlane_b32 s50, v102, 25
	s_and_b32 s50, s12, s50
	s_delay_alu instid0(SALU_CYCLE_1)
	s_xor_b32 s12, s50, s12
	s_mov_b32 exec_lo, s50
	s_cbranch_execz .LBB132_1089
; %bb.1086:                             ;   in Loop: Header=BB132_3 Depth=1
	s_mov_b32 s50, exec_lo
	v_readlane_b32 s51, v100, 0
	s_and_b32 s51, s50, s51
	s_delay_alu instid0(SALU_CYCLE_1)
	s_mov_b32 exec_lo, s51
; %bb.1087:                             ;   in Loop: Header=BB132_3 Depth=1
	ds_store_b64 v80, v[20:21]
; %bb.1088:                             ;   in Loop: Header=BB132_3 Depth=1
	s_or_b32 exec_lo, exec_lo, s50
.LBB132_1089:                           ;   in Loop: Header=BB132_3 Depth=1
	s_and_not1_saveexec_b32 s12, s12
	s_cbranch_execz .LBB132_1091
; %bb.1090:                             ;   in Loop: Header=BB132_3 Depth=1
	v_lshl_add_u64 v[38:39], v[16:17], 3, v[36:37]
	flat_load_b64 v[38:39], v[38:39]
	s_wait_loadcnt_dscnt 0x0
	v_div_scale_f64 v[40:41], null, v[38:39], v[38:39], 1.0
	s_delay_alu instid0(VALU_DEP_1) | instskip(SKIP_1) | instid1(TRANS32_DEP_1)
	v_rcp_f64_e32 v[94:95], v[40:41]
	v_nop
	v_fma_f64 v[96:97], -v[40:41], v[94:95], 1.0
	s_delay_alu instid0(VALU_DEP_1) | instskip(NEXT) | instid1(VALU_DEP_1)
	v_fmac_f64_e32 v[94:95], v[94:95], v[96:97]
	v_fma_f64 v[96:97], -v[40:41], v[94:95], 1.0
	s_delay_alu instid0(VALU_DEP_1) | instskip(SKIP_1) | instid1(VALU_DEP_1)
	v_fmac_f64_e32 v[94:95], v[94:95], v[96:97]
	v_div_scale_f64 v[96:97], vcc_lo, 1.0, v[38:39], 1.0
	v_mul_f64_e32 v[98:99], v[96:97], v[94:95]
	s_delay_alu instid0(VALU_DEP_1) | instskip(NEXT) | instid1(VALU_DEP_1)
	v_fma_f64 v[40:41], -v[40:41], v[98:99], v[96:97]
	v_div_fmas_f64 v[40:41], v[40:41], v[94:95], v[98:99]
	s_delay_alu instid0(VALU_DEP_1)
	v_div_fixup_f64 v[38:39], v[40:41], v[38:39], 1.0
	ds_store_b64 v80, v[38:39]
.LBB132_1091:                           ;   in Loop: Header=BB132_3 Depth=1
	s_or_b32 exec_lo, exec_lo, s12
	s_and_not1_saveexec_b32 s10, s10
	s_cbranch_execnz .LBB132_22
	s_branch .LBB132_23
.LBB132_1092:                           ;   in Loop: Header=BB132_3 Depth=1
	ds_load_b64 v[30:31], v91
	ds_load_b64 v[32:33], v81
	s_wait_dscnt 0x0
	v_fma_f64 v[30:31], v[30:31], v[32:33], 0
	s_or_b32 exec_lo, exec_lo, s10
	s_and_saveexec_b32 s10, s7
	s_cbranch_execz .LBB132_1031
.LBB132_1093:                           ;   in Loop: Header=BB132_3 Depth=1
	ds_load_b64 v[32:33], v91 offset:8192
	ds_load_b64 v[38:39], v81 offset:128
	s_wait_dscnt 0x0
	v_fmac_f64_e32 v[30:31], v[32:33], v[38:39]
	s_or_b32 exec_lo, exec_lo, s10
	s_and_saveexec_b32 s10, s8
	s_cbranch_execz .LBB132_1032
.LBB132_1094:                           ;   in Loop: Header=BB132_3 Depth=1
	ds_load_b64 v[32:33], v91 offset:16384
	ds_load_b64 v[38:39], v81 offset:256
	s_wait_dscnt 0x0
	v_fmac_f64_e32 v[30:31], v[32:33], v[38:39]
	s_or_b32 exec_lo, exec_lo, s10
	s_and_saveexec_b32 s10, s9
	s_cbranch_execnz .LBB132_1033
	s_branch .LBB132_1034
.LBB132_1095:                           ;   in Loop: Header=BB132_3 Depth=1
	s_or_b32 exec_lo, exec_lo, s85
	s_delay_alu instid0(SALU_CYCLE_1)
	s_and_b32 vcc_lo, exec_lo, s10
	s_cbranch_vccnz .LBB132_1037
.LBB132_1096:                           ;   in Loop: Header=BB132_3 Depth=1
	s_delay_alu instid0(VALU_DEP_1)
	v_mov_b64_e32 v[36:37], v[32:33]
	s_and_saveexec_b32 s10, s84
	s_cbranch_execnz .LBB132_1058
	s_branch .LBB132_1059
.LBB132_1097:                           ;   in Loop: Header=BB132_3 Depth=1
	s_and_not1_b32 s12, s84, exec_lo
	s_and_b32 s50, s2, exec_lo
	s_delay_alu instid0(SALU_CYCLE_1)
	s_or_b32 s84, s12, s50
	s_cbranch_execnz .LBB132_1057
.LBB132_1098:                           ;   in Loop: Header=BB132_3 Depth=1
	v_readlane_b32 s12, v102, 10
	s_and_not1_b32 s10, s84, exec_lo
	s_and_b32 s12, s12, exec_lo
	s_delay_alu instid0(SALU_CYCLE_1) | instskip(NEXT) | instid1(SALU_CYCLE_1)
	s_or_b32 s84, s10, s12
	s_and_saveexec_b32 s10, s84
	s_cbranch_execnz .LBB132_1058
	s_branch .LBB132_1059
.LBB132_1099:                           ;   in Loop: Header=BB132_3 Depth=1
	ds_load_b64 v[38:39], v51 offset:544
	ds_load_b64 v[40:41], v46 offset:8
	s_wait_dscnt 0x0
	v_fmac_f64_e32 v[36:37], v[38:39], v[40:41]
	s_or_b32 exec_lo, exec_lo, s12
	s_and_saveexec_b32 s12, s17
	s_cbranch_execz .LBB132_88
.LBB132_1100:                           ;   in Loop: Header=BB132_3 Depth=1
	ds_load_b64 v[38:39], v50 offset:1056
	ds_load_b64 v[40:41], v46 offset:16
	s_wait_dscnt 0x0
	v_fmac_f64_e32 v[36:37], v[38:39], v[40:41]
	s_or_b32 exec_lo, exec_lo, s12
	s_and_saveexec_b32 s12, s1
	s_cbranch_execnz .LBB132_89
	s_branch .LBB132_90
.LBB132_1101:                           ;   in Loop: Header=BB132_3 Depth=1
	ds_load_b64 v[38:39], v60 offset:576
	ds_load_b64 v[40:41], v55 offset:8
	s_wait_dscnt 0x0
	v_fmac_f64_e32 v[36:37], v[38:39], v[40:41]
	s_or_b32 exec_lo, exec_lo, s12
	s_and_saveexec_b32 s12, s19
	s_cbranch_execz .LBB132_130
.LBB132_1102:                           ;   in Loop: Header=BB132_3 Depth=1
	ds_load_b64 v[38:39], v60 offset:1088
	ds_load_b64 v[40:41], v55 offset:16
	s_wait_dscnt 0x0
	v_fmac_f64_e32 v[36:37], v[38:39], v[40:41]
	s_or_b32 exec_lo, exec_lo, s12
	s_and_saveexec_b32 s12, s20
	s_cbranch_execz .LBB132_131
.LBB132_1103:                           ;   in Loop: Header=BB132_3 Depth=1
	ds_load_b64 v[38:39], v60 offset:1600
	ds_load_b64 v[40:41], v55 offset:24
	s_wait_dscnt 0x0
	v_fmac_f64_e32 v[36:37], v[38:39], v[40:41]
	s_or_b32 exec_lo, exec_lo, s12
	s_and_saveexec_b32 s12, s21
	s_cbranch_execz .LBB132_132
.LBB132_1104:                           ;   in Loop: Header=BB132_3 Depth=1
	ds_load_b64 v[38:39], v59 offset:2112
	ds_load_b64 v[40:41], v55 offset:32
	s_wait_dscnt 0x0
	v_fmac_f64_e32 v[36:37], v[38:39], v[40:41]
	s_or_b32 exec_lo, exec_lo, s12
	s_and_saveexec_b32 s12, s22
	s_cbranch_execz .LBB132_133
.LBB132_1105:                           ;   in Loop: Header=BB132_3 Depth=1
	ds_load_b64 v[38:39], v60 offset:2624
	ds_load_b64 v[40:41], v55 offset:40
	s_wait_dscnt 0x0
	v_fmac_f64_e32 v[36:37], v[38:39], v[40:41]
	s_or_b32 exec_lo, exec_lo, s12
	s_and_saveexec_b32 s12, s3
	s_cbranch_execz .LBB132_134
.LBB132_1106:                           ;   in Loop: Header=BB132_3 Depth=1
	ds_load_b64 v[38:39], v59 offset:3136
	ds_load_b64 v[40:41], v55 offset:48
	s_wait_dscnt 0x0
	v_fmac_f64_e32 v[36:37], v[38:39], v[40:41]
	s_or_b32 exec_lo, exec_lo, s12
	s_and_saveexec_b32 s12, s17
	s_cbranch_execnz .LBB132_135
	s_branch .LBB132_136
.LBB132_1107:                           ;   in Loop: Header=BB132_3 Depth=1
	ds_load_b64 v[38:39], v51 offset:4704
	ds_load_b64 v[40:41], v46 offset:4168
	s_wait_dscnt 0x0
	v_fmac_f64_e32 v[36:37], v[38:39], v[40:41]
	s_or_b32 exec_lo, exec_lo, s12
	s_and_saveexec_b32 s12, s17
	s_cbranch_execz .LBB132_192
.LBB132_1108:                           ;   in Loop: Header=BB132_3 Depth=1
	ds_load_b64 v[38:39], v50 offset:5216
	ds_load_b64 v[40:41], v46 offset:4176
	s_wait_dscnt 0x0
	v_fmac_f64_e32 v[36:37], v[38:39], v[40:41]
	s_or_b32 exec_lo, exec_lo, s12
	s_and_saveexec_b32 s12, s1
	s_cbranch_execnz .LBB132_193
	s_branch .LBB132_194
.LBB132_1109:                           ;   in Loop: Header=BB132_3 Depth=1
	ds_load_b64 v[38:39], v67 offset:5760
	ds_load_b64 v[40:41], v62 offset:88
	s_wait_dscnt 0x0
	v_fmac_f64_e32 v[36:37], v[38:39], v[40:41]
	s_or_b32 exec_lo, exec_lo, s10
	s_and_saveexec_b32 s10, s4
	s_cbranch_execz .LBB132_254
.LBB132_1110:                           ;   in Loop: Header=BB132_3 Depth=1
	ds_load_b64 v[38:39], v66 offset:6272
	ds_load_b64 v[40:41], v62 offset:96
	s_wait_dscnt 0x0
	v_fmac_f64_e32 v[36:37], v[38:39], v[40:41]
	s_or_b32 exec_lo, exec_lo, s10
	s_and_saveexec_b32 s10, s19
	s_cbranch_execz .LBB132_255
.LBB132_1111:                           ;   in Loop: Header=BB132_3 Depth=1
	ds_load_b64 v[38:39], v67 offset:6784
	ds_load_b64 v[40:41], v62 offset:104
	s_wait_dscnt 0x0
	v_fmac_f64_e32 v[36:37], v[38:39], v[40:41]
	s_or_b32 exec_lo, exec_lo, s10
	s_and_saveexec_b32 s10, s21
	s_cbranch_execz .LBB132_256
.LBB132_1112:                           ;   in Loop: Header=BB132_3 Depth=1
	ds_load_b64 v[38:39], v66 offset:7296
	ds_load_b64 v[40:41], v62 offset:112
	s_wait_dscnt 0x0
	v_fmac_f64_e32 v[36:37], v[38:39], v[40:41]
	s_or_b32 exec_lo, exec_lo, s10
	s_and_saveexec_b32 s10, s3
	s_cbranch_execnz .LBB132_257
	s_branch .LBB132_258
.LBB132_1113:                           ;   in Loop: Header=BB132_3 Depth=1
	ds_load_b64 v[38:39], v51 offset:8864
	ds_load_b64 v[40:41], v46 offset:8328
	s_wait_dscnt 0x0
	v_fmac_f64_e32 v[36:37], v[38:39], v[40:41]
	s_or_b32 exec_lo, exec_lo, s12
	s_and_saveexec_b32 s12, s17
	s_cbranch_execz .LBB132_346
.LBB132_1114:                           ;   in Loop: Header=BB132_3 Depth=1
	ds_load_b64 v[38:39], v50 offset:9376
	ds_load_b64 v[40:41], v46 offset:8336
	s_wait_dscnt 0x0
	v_fmac_f64_e32 v[36:37], v[38:39], v[40:41]
	s_or_b32 exec_lo, exec_lo, s12
	s_and_saveexec_b32 s12, s1
	s_cbranch_execnz .LBB132_347
	s_branch .LBB132_348
.LBB132_1115:                           ;   in Loop: Header=BB132_3 Depth=1
	ds_load_b64 v[38:39], v60 offset:8896
	ds_load_b64 v[40:41], v55 offset:8328
	s_wait_dscnt 0x0
	v_fmac_f64_e32 v[36:37], v[38:39], v[40:41]
	s_or_b32 exec_lo, exec_lo, s12
	s_and_saveexec_b32 s12, s19
	s_cbranch_execz .LBB132_388
.LBB132_1116:                           ;   in Loop: Header=BB132_3 Depth=1
	ds_load_b64 v[38:39], v60 offset:9408
	ds_load_b64 v[40:41], v55 offset:8336
	s_wait_dscnt 0x0
	v_fmac_f64_e32 v[36:37], v[38:39], v[40:41]
	s_or_b32 exec_lo, exec_lo, s12
	s_and_saveexec_b32 s12, s20
	s_cbranch_execz .LBB132_389
.LBB132_1117:                           ;   in Loop: Header=BB132_3 Depth=1
	ds_load_b64 v[38:39], v60 offset:9920
	ds_load_b64 v[40:41], v55 offset:8344
	s_wait_dscnt 0x0
	v_fmac_f64_e32 v[36:37], v[38:39], v[40:41]
	s_or_b32 exec_lo, exec_lo, s12
	s_and_saveexec_b32 s12, s21
	s_cbranch_execz .LBB132_390
.LBB132_1118:                           ;   in Loop: Header=BB132_3 Depth=1
	ds_load_b64 v[38:39], v59 offset:10432
	ds_load_b64 v[40:41], v55 offset:8352
	s_wait_dscnt 0x0
	v_fmac_f64_e32 v[36:37], v[38:39], v[40:41]
	s_or_b32 exec_lo, exec_lo, s12
	s_and_saveexec_b32 s12, s22
	s_cbranch_execz .LBB132_391
.LBB132_1119:                           ;   in Loop: Header=BB132_3 Depth=1
	ds_load_b64 v[38:39], v60 offset:10944
	ds_load_b64 v[40:41], v55 offset:8360
	s_wait_dscnt 0x0
	v_fmac_f64_e32 v[36:37], v[38:39], v[40:41]
	s_or_b32 exec_lo, exec_lo, s12
	s_and_saveexec_b32 s12, s3
	s_cbranch_execz .LBB132_392
.LBB132_1120:                           ;   in Loop: Header=BB132_3 Depth=1
	ds_load_b64 v[38:39], v59 offset:11456
	ds_load_b64 v[40:41], v55 offset:8368
	s_wait_dscnt 0x0
	v_fmac_f64_e32 v[36:37], v[38:39], v[40:41]
	s_or_b32 exec_lo, exec_lo, s12
	s_and_saveexec_b32 s12, s17
	s_cbranch_execnz .LBB132_393
	s_branch .LBB132_394
.LBB132_1121:                           ;   in Loop: Header=BB132_3 Depth=1
	ds_load_b64 v[38:39], v51 offset:13024
	ds_load_b64 v[40:41], v46 offset:12488
	s_wait_dscnt 0x0
	v_fmac_f64_e32 v[36:37], v[38:39], v[40:41]
	s_or_b32 exec_lo, exec_lo, s12
	s_and_saveexec_b32 s12, s17
	s_cbranch_execz .LBB132_450
.LBB132_1122:                           ;   in Loop: Header=BB132_3 Depth=1
	ds_load_b64 v[38:39], v50 offset:13536
	ds_load_b64 v[40:41], v46 offset:12496
	s_wait_dscnt 0x0
	v_fmac_f64_e32 v[36:37], v[38:39], v[40:41]
	s_or_b32 exec_lo, exec_lo, s12
	s_and_saveexec_b32 s12, s1
	s_cbranch_execnz .LBB132_451
	s_branch .LBB132_452
.LBB132_1123:                           ;   in Loop: Header=BB132_3 Depth=1
	ds_load_b64 v[40:41], v87 offset:15104
	ds_load_b64 v[94:95], v38 offset:232
	s_wait_dscnt 0x0
	v_fmac_f64_e32 v[36:37], v[40:41], v[94:95]
	s_or_b32 exec_lo, exec_lo, s10
	s_and_saveexec_b32 s10, s4
	s_cbranch_execz .LBB132_548
.LBB132_1124:                           ;   in Loop: Header=BB132_3 Depth=1
	ds_load_b64 v[40:41], v87 offset:15616
	ds_load_b64 v[38:39], v38 offset:240
	s_wait_dscnt 0x0
	v_fmac_f64_e32 v[36:37], v[40:41], v[38:39]
	s_or_b32 exec_lo, exec_lo, s10
	s_and_saveexec_b32 s10, s21
	s_cbranch_execnz .LBB132_549
	s_branch .LBB132_550
.LBB132_1125:                           ;   in Loop: Header=BB132_3 Depth=1
	ds_load_b64 v[38:39], v51 offset:17184
	ds_load_b64 v[40:41], v46 offset:16648
	s_wait_dscnt 0x0
	v_fmac_f64_e32 v[36:37], v[38:39], v[40:41]
	s_or_b32 exec_lo, exec_lo, s12
	s_and_saveexec_b32 s12, s17
	s_cbranch_execz .LBB132_594
.LBB132_1126:                           ;   in Loop: Header=BB132_3 Depth=1
	ds_load_b64 v[38:39], v50 offset:17696
	ds_load_b64 v[40:41], v46 offset:16656
	s_wait_dscnt 0x0
	v_fmac_f64_e32 v[36:37], v[38:39], v[40:41]
	s_or_b32 exec_lo, exec_lo, s12
	s_and_saveexec_b32 s12, s1
	s_cbranch_execnz .LBB132_595
	s_branch .LBB132_596
.LBB132_1127:                           ;   in Loop: Header=BB132_3 Depth=1
	ds_load_b64 v[38:39], v60 offset:17216
	ds_load_b64 v[40:41], v55 offset:16648
	s_wait_dscnt 0x0
	v_fmac_f64_e32 v[36:37], v[38:39], v[40:41]
	s_or_b32 exec_lo, exec_lo, s12
	s_and_saveexec_b32 s12, s19
	s_cbranch_execz .LBB132_636
.LBB132_1128:                           ;   in Loop: Header=BB132_3 Depth=1
	ds_load_b64 v[38:39], v60 offset:17728
	ds_load_b64 v[40:41], v55 offset:16656
	s_wait_dscnt 0x0
	v_fmac_f64_e32 v[36:37], v[38:39], v[40:41]
	s_or_b32 exec_lo, exec_lo, s12
	s_and_saveexec_b32 s12, s20
	s_cbranch_execz .LBB132_637
.LBB132_1129:                           ;   in Loop: Header=BB132_3 Depth=1
	ds_load_b64 v[38:39], v60 offset:18240
	ds_load_b64 v[40:41], v55 offset:16664
	s_wait_dscnt 0x0
	v_fmac_f64_e32 v[36:37], v[38:39], v[40:41]
	s_or_b32 exec_lo, exec_lo, s12
	s_and_saveexec_b32 s12, s21
	s_cbranch_execz .LBB132_638
.LBB132_1130:                           ;   in Loop: Header=BB132_3 Depth=1
	ds_load_b64 v[38:39], v59 offset:18752
	ds_load_b64 v[40:41], v55 offset:16672
	s_wait_dscnt 0x0
	v_fmac_f64_e32 v[36:37], v[38:39], v[40:41]
	s_or_b32 exec_lo, exec_lo, s12
	s_and_saveexec_b32 s12, s22
	s_cbranch_execz .LBB132_639
.LBB132_1131:                           ;   in Loop: Header=BB132_3 Depth=1
	ds_load_b64 v[38:39], v60 offset:19264
	ds_load_b64 v[40:41], v55 offset:16680
	s_wait_dscnt 0x0
	v_fmac_f64_e32 v[36:37], v[38:39], v[40:41]
	s_or_b32 exec_lo, exec_lo, s12
	s_and_saveexec_b32 s12, s3
	s_cbranch_execz .LBB132_640
.LBB132_1132:                           ;   in Loop: Header=BB132_3 Depth=1
	ds_load_b64 v[38:39], v59 offset:19776
	ds_load_b64 v[40:41], v55 offset:16688
	s_wait_dscnt 0x0
	v_fmac_f64_e32 v[36:37], v[38:39], v[40:41]
	s_or_b32 exec_lo, exec_lo, s12
	s_and_saveexec_b32 s12, s17
	s_cbranch_execnz .LBB132_641
	s_branch .LBB132_642
.LBB132_1133:                           ;   in Loop: Header=BB132_3 Depth=1
	ds_load_b64 v[38:39], v51 offset:21344
	ds_load_b64 v[40:41], v46 offset:20808
	s_wait_dscnt 0x0
	v_fmac_f64_e32 v[36:37], v[38:39], v[40:41]
	s_or_b32 exec_lo, exec_lo, s12
	s_and_saveexec_b32 s12, s17
	s_cbranch_execz .LBB132_698
.LBB132_1134:                           ;   in Loop: Header=BB132_3 Depth=1
	ds_load_b64 v[38:39], v50 offset:21856
	ds_load_b64 v[40:41], v46 offset:20816
	s_wait_dscnt 0x0
	v_fmac_f64_e32 v[36:37], v[38:39], v[40:41]
	s_or_b32 exec_lo, exec_lo, s12
	s_and_saveexec_b32 s12, s1
	s_cbranch_execnz .LBB132_699
	s_branch .LBB132_700
.LBB132_1135:                           ;   in Loop: Header=BB132_3 Depth=1
	ds_load_b64 v[38:39], v67 offset:22400
	ds_load_b64 v[40:41], v62 offset:16728
	s_wait_dscnt 0x0
	v_fmac_f64_e32 v[36:37], v[38:39], v[40:41]
	s_or_b32 exec_lo, exec_lo, s10
	s_and_saveexec_b32 s10, s4
	s_cbranch_execz .LBB132_760
.LBB132_1136:                           ;   in Loop: Header=BB132_3 Depth=1
	ds_load_b64 v[38:39], v66 offset:22912
	ds_load_b64 v[40:41], v62 offset:16736
	s_wait_dscnt 0x0
	v_fmac_f64_e32 v[36:37], v[38:39], v[40:41]
	s_or_b32 exec_lo, exec_lo, s10
	s_and_saveexec_b32 s10, s19
	s_cbranch_execz .LBB132_761
.LBB132_1137:                           ;   in Loop: Header=BB132_3 Depth=1
	ds_load_b64 v[38:39], v67 offset:23424
	ds_load_b64 v[40:41], v62 offset:16744
	s_wait_dscnt 0x0
	v_fmac_f64_e32 v[36:37], v[38:39], v[40:41]
	s_or_b32 exec_lo, exec_lo, s10
	s_and_saveexec_b32 s10, s21
	s_cbranch_execz .LBB132_762
.LBB132_1138:                           ;   in Loop: Header=BB132_3 Depth=1
	ds_load_b64 v[38:39], v66 offset:23936
	ds_load_b64 v[40:41], v62 offset:16752
	s_wait_dscnt 0x0
	v_fmac_f64_e32 v[36:37], v[38:39], v[40:41]
	s_or_b32 exec_lo, exec_lo, s10
	s_and_saveexec_b32 s10, s3
	s_cbranch_execnz .LBB132_763
	s_branch .LBB132_764
.LBB132_1139:                           ;   in Loop: Header=BB132_3 Depth=1
	ds_load_b64 v[38:39], v51 offset:25504
	ds_load_b64 v[40:41], v46 offset:24968
	s_wait_dscnt 0x0
	v_fmac_f64_e32 v[36:37], v[38:39], v[40:41]
	s_or_b32 exec_lo, exec_lo, s12
	s_and_saveexec_b32 s12, s17
	s_cbranch_execz .LBB132_852
.LBB132_1140:                           ;   in Loop: Header=BB132_3 Depth=1
	ds_load_b64 v[38:39], v50 offset:26016
	ds_load_b64 v[40:41], v46 offset:24976
	s_wait_dscnt 0x0
	v_fmac_f64_e32 v[36:37], v[38:39], v[40:41]
	s_or_b32 exec_lo, exec_lo, s12
	s_and_saveexec_b32 s12, s1
	s_cbranch_execnz .LBB132_853
	s_branch .LBB132_854
.LBB132_1141:                           ;   in Loop: Header=BB132_3 Depth=1
	ds_load_b64 v[38:39], v60 offset:25536
	ds_load_b64 v[40:41], v55 offset:24968
	s_wait_dscnt 0x0
	v_fmac_f64_e32 v[36:37], v[38:39], v[40:41]
	s_or_b32 exec_lo, exec_lo, s12
	s_and_saveexec_b32 s12, s19
	s_cbranch_execz .LBB132_894
.LBB132_1142:                           ;   in Loop: Header=BB132_3 Depth=1
	ds_load_b64 v[38:39], v60 offset:26048
	ds_load_b64 v[40:41], v55 offset:24976
	s_wait_dscnt 0x0
	v_fmac_f64_e32 v[36:37], v[38:39], v[40:41]
	s_or_b32 exec_lo, exec_lo, s12
	s_and_saveexec_b32 s12, s20
	s_cbranch_execz .LBB132_895
.LBB132_1143:                           ;   in Loop: Header=BB132_3 Depth=1
	ds_load_b64 v[38:39], v60 offset:26560
	ds_load_b64 v[40:41], v55 offset:24984
	s_wait_dscnt 0x0
	v_fmac_f64_e32 v[36:37], v[38:39], v[40:41]
	s_or_b32 exec_lo, exec_lo, s12
	s_and_saveexec_b32 s12, s21
	s_cbranch_execz .LBB132_896
.LBB132_1144:                           ;   in Loop: Header=BB132_3 Depth=1
	ds_load_b64 v[38:39], v59 offset:27072
	ds_load_b64 v[40:41], v55 offset:24992
	s_wait_dscnt 0x0
	v_fmac_f64_e32 v[36:37], v[38:39], v[40:41]
	s_or_b32 exec_lo, exec_lo, s12
	s_and_saveexec_b32 s12, s22
	s_cbranch_execz .LBB132_897
.LBB132_1145:                           ;   in Loop: Header=BB132_3 Depth=1
	ds_load_b64 v[38:39], v60 offset:27584
	ds_load_b64 v[40:41], v55 offset:25000
	s_wait_dscnt 0x0
	v_fmac_f64_e32 v[36:37], v[38:39], v[40:41]
	s_or_b32 exec_lo, exec_lo, s12
	s_and_saveexec_b32 s12, s3
	s_cbranch_execz .LBB132_898
.LBB132_1146:                           ;   in Loop: Header=BB132_3 Depth=1
	ds_load_b64 v[38:39], v59 offset:28096
	ds_load_b64 v[40:41], v55 offset:25008
	s_wait_dscnt 0x0
	v_fmac_f64_e32 v[36:37], v[38:39], v[40:41]
	s_or_b32 exec_lo, exec_lo, s12
	s_and_saveexec_b32 s12, s17
	s_cbranch_execnz .LBB132_899
	s_branch .LBB132_900
.LBB132_1147:                           ;   in Loop: Header=BB132_3 Depth=1
	ds_load_b64 v[38:39], v51 offset:29664
	ds_load_b64 v[40:41], v46 offset:29128
	s_wait_dscnt 0x0
	v_fmac_f64_e32 v[36:37], v[38:39], v[40:41]
	s_or_b32 exec_lo, exec_lo, s12
	s_and_saveexec_b32 s12, s17
	s_cbranch_execz .LBB132_956
.LBB132_1148:                           ;   in Loop: Header=BB132_3 Depth=1
	ds_load_b64 v[38:39], v50 offset:30176
	ds_load_b64 v[40:41], v46 offset:29136
	s_wait_dscnt 0x0
	v_fmac_f64_e32 v[36:37], v[38:39], v[40:41]
	s_or_b32 exec_lo, exec_lo, s12
	s_and_saveexec_b32 s12, s1
	s_cbranch_execnz .LBB132_957
	s_branch .LBB132_958
.LBB132_1149:
	s_endpgm
	.section	.rodata,"a",@progbits
	.p2align	6, 0x0
	.amdhsa_kernel _ZL19rocblas_trsv_deviceILi64ELi16ELb1ELb1ELb1ELb0EdPKdPKS1_PKPdEviT7_lllT6_T8_lllPii
		.amdhsa_group_segment_fixed_size 41480
		.amdhsa_private_segment_fixed_size 0
		.amdhsa_kernarg_size 352
		.amdhsa_user_sgpr_count 2
		.amdhsa_user_sgpr_dispatch_ptr 0
		.amdhsa_user_sgpr_queue_ptr 0
		.amdhsa_user_sgpr_kernarg_segment_ptr 1
		.amdhsa_user_sgpr_dispatch_id 0
		.amdhsa_user_sgpr_kernarg_preload_length 0
		.amdhsa_user_sgpr_kernarg_preload_offset 0
		.amdhsa_user_sgpr_private_segment_size 0
		.amdhsa_wavefront_size32 1
		.amdhsa_uses_dynamic_stack 0
		.amdhsa_enable_private_segment 0
		.amdhsa_system_sgpr_workgroup_id_x 1
		.amdhsa_system_sgpr_workgroup_id_y 0
		.amdhsa_system_sgpr_workgroup_id_z 1
		.amdhsa_system_sgpr_workgroup_info 0
		.amdhsa_system_vgpr_workitem_id 1
		.amdhsa_next_free_vgpr 103
		.amdhsa_next_free_sgpr 105
		.amdhsa_named_barrier_count 0
		.amdhsa_reserve_vcc 1
		.amdhsa_float_round_mode_32 0
		.amdhsa_float_round_mode_16_64 0
		.amdhsa_float_denorm_mode_32 3
		.amdhsa_float_denorm_mode_16_64 3
		.amdhsa_fp16_overflow 0
		.amdhsa_memory_ordered 1
		.amdhsa_forward_progress 1
		.amdhsa_inst_pref_size 255
		.amdhsa_round_robin_scheduling 0
		.amdhsa_exception_fp_ieee_invalid_op 0
		.amdhsa_exception_fp_denorm_src 0
		.amdhsa_exception_fp_ieee_div_zero 0
		.amdhsa_exception_fp_ieee_overflow 0
		.amdhsa_exception_fp_ieee_underflow 0
		.amdhsa_exception_fp_ieee_inexact 0
		.amdhsa_exception_int_div_zero 0
	.end_amdhsa_kernel
	.section	.text._ZL19rocblas_trsv_deviceILi64ELi16ELb1ELb1ELb1ELb0EdPKdPKS1_PKPdEviT7_lllT6_T8_lllPii,"axG",@progbits,_ZL19rocblas_trsv_deviceILi64ELi16ELb1ELb1ELb1ELb0EdPKdPKS1_PKPdEviT7_lllT6_T8_lllPii,comdat
.Lfunc_end132:
	.size	_ZL19rocblas_trsv_deviceILi64ELi16ELb1ELb1ELb1ELb0EdPKdPKS1_PKPdEviT7_lllT6_T8_lllPii, .Lfunc_end132-_ZL19rocblas_trsv_deviceILi64ELi16ELb1ELb1ELb1ELb0EdPKdPKS1_PKPdEviT7_lllT6_T8_lllPii
                                        ; -- End function
	.set _ZL19rocblas_trsv_deviceILi64ELi16ELb1ELb1ELb1ELb0EdPKdPKS1_PKPdEviT7_lllT6_T8_lllPii.num_vgpr, 103
	.set _ZL19rocblas_trsv_deviceILi64ELi16ELb1ELb1ELb1ELb0EdPKdPKS1_PKPdEviT7_lllT6_T8_lllPii.num_agpr, 0
	.set _ZL19rocblas_trsv_deviceILi64ELi16ELb1ELb1ELb1ELb0EdPKdPKS1_PKPdEviT7_lllT6_T8_lllPii.numbered_sgpr, 105
	.set _ZL19rocblas_trsv_deviceILi64ELi16ELb1ELb1ELb1ELb0EdPKdPKS1_PKPdEviT7_lllT6_T8_lllPii.num_named_barrier, 0
	.set _ZL19rocblas_trsv_deviceILi64ELi16ELb1ELb1ELb1ELb0EdPKdPKS1_PKPdEviT7_lllT6_T8_lllPii.private_seg_size, 0
	.set _ZL19rocblas_trsv_deviceILi64ELi16ELb1ELb1ELb1ELb0EdPKdPKS1_PKPdEviT7_lllT6_T8_lllPii.uses_vcc, 1
	.set _ZL19rocblas_trsv_deviceILi64ELi16ELb1ELb1ELb1ELb0EdPKdPKS1_PKPdEviT7_lllT6_T8_lllPii.uses_flat_scratch, 0
	.set _ZL19rocblas_trsv_deviceILi64ELi16ELb1ELb1ELb1ELb0EdPKdPKS1_PKPdEviT7_lllT6_T8_lllPii.has_dyn_sized_stack, 0
	.set _ZL19rocblas_trsv_deviceILi64ELi16ELb1ELb1ELb1ELb0EdPKdPKS1_PKPdEviT7_lllT6_T8_lllPii.has_recursion, 0
	.set _ZL19rocblas_trsv_deviceILi64ELi16ELb1ELb1ELb1ELb0EdPKdPKS1_PKPdEviT7_lllT6_T8_lllPii.has_indirect_call, 0
	.section	.AMDGPU.csdata,"",@progbits
; Kernel info:
; codeLenInByte = 35712
; TotalNumSgprs: 107
; NumVgprs: 103
; ScratchSize: 0
; MemoryBound: 0
; FloatMode: 240
; IeeeMode: 1
; LDSByteSize: 41480 bytes/workgroup (compile time only)
; SGPRBlocks: 0
; VGPRBlocks: 6
; NumSGPRsForWavesPerEU: 107
; NumVGPRsForWavesPerEU: 103
; NamedBarCnt: 0
; Occupancy: 9
; WaveLimiterHint : 1
; COMPUTE_PGM_RSRC2:SCRATCH_EN: 0
; COMPUTE_PGM_RSRC2:USER_SGPR: 2
; COMPUTE_PGM_RSRC2:TRAP_HANDLER: 0
; COMPUTE_PGM_RSRC2:TGID_X_EN: 1
; COMPUTE_PGM_RSRC2:TGID_Y_EN: 0
; COMPUTE_PGM_RSRC2:TGID_Z_EN: 1
; COMPUTE_PGM_RSRC2:TIDIG_COMP_CNT: 1
	.section	.text._ZL19rocblas_trsv_deviceILi64ELi16ELb0ELb0ELb0ELb1EddPKPKdPKPdEviT7_lllT6_T8_lllPii,"axG",@progbits,_ZL19rocblas_trsv_deviceILi64ELi16ELb0ELb0ELb0ELb1EddPKPKdPKPdEviT7_lllT6_T8_lllPii,comdat
	.globl	_ZL19rocblas_trsv_deviceILi64ELi16ELb0ELb0ELb0ELb1EddPKPKdPKPdEviT7_lllT6_T8_lllPii ; -- Begin function _ZL19rocblas_trsv_deviceILi64ELi16ELb0ELb0ELb0ELb1EddPKPKdPKPdEviT7_lllT6_T8_lllPii
	.p2align	8
	.type	_ZL19rocblas_trsv_deviceILi64ELi16ELb0ELb0ELb0ELb1EddPKPKdPKPdEviT7_lllT6_T8_lllPii,@function
_ZL19rocblas_trsv_deviceILi64ELi16ELb0ELb0ELb0ELb1EddPKPKdPKPdEviT7_lllT6_T8_lllPii: ; @_ZL19rocblas_trsv_deviceILi64ELi16ELb0ELb0ELb0ELb1EddPKPKdPKPdEviT7_lllT6_T8_lllPii
; %bb.0:
	s_load_b32 s6, s[0:1], 0x58
	s_bfe_u32 s2, ttmp6, 0x40014
	s_lshr_b32 s3, ttmp7, 16
	s_add_co_i32 s2, s2, 1
	s_bfe_u32 s5, ttmp6, 0x40008
	s_mul_i32 s4, s3, s2
	s_getreg_b32 s2, hwreg(HW_REG_IB_STS2, 6, 4)
	s_add_co_i32 s5, s5, s4
	s_cmp_eq_u32 s2, 0
	s_mov_b32 s67, 0
	s_cselect_b32 s66, s3, s5
                                        ; implicit-def: $vgpr88 : SGPR spill to VGPR lane
	s_wait_kmcnt 0x0
	s_cmp_ge_u32 s66, s6
	v_writelane_b32 v88, s6, 0
	s_cbranch_scc1 .LBB133_1055
; %bb.1:
	s_clause 0x2
	s_load_b32 s3, s[0:1], 0x6c
	s_load_b32 s97, s[0:1], 0x60
	;; [unrolled: 1-line block ×3, first 2 shown]
	s_bfe_u32 s5, ttmp6, 0x4000c
	s_and_b32 s4, ttmp6, 15
	s_add_co_i32 s5, s5, 1
	s_clause 0x1
	s_load_b64 s[82:83], s[0:1], 0x18
	s_load_b128 s[76:79], s[0:1], 0x8
	s_mul_i32 s5, ttmp9, s5
	s_load_b256 s[68:75], s[0:1], 0x28
	s_add_co_i32 s4, s4, s5
	s_cmp_eq_u32 s2, 0
	s_load_b64 s[84:85], s[0:1], 0x50
	s_cselect_b32 s96, ttmp9, s4
	v_bfe_u32 v2, v0, 10, 10
	v_and_b32_e32 v4, 0x3ff, v0
	v_dual_mov_b32 v7, 0 :: v_dual_lshrrev_b32 v1, 10, v0
                                        ; implicit-def: $vgpr87 : SGPR spill to VGPR lane
	v_mov_b64_e32 v[24:25], 0
	s_delay_alu instid0(VALU_DEP_4)
	v_lshl_add_u32 v70, v2, 3, 0xa000
	s_wait_kmcnt 0x0
	s_and_b32 s2, s3, 0xffff
	s_add_co_i32 s97, s97, -1
	s_add_co_i32 s0, s80, -1
	s_ashr_i32 s81, s80, 31
	s_ashr_i32 s1, s0, 31
	s_lshr_b32 s3, s81, 26
	s_lshr_b32 s1, s1, 26
	s_add_co_i32 s3, s80, s3
	s_add_co_i32 s0, s0, s1
	s_and_not1_b32 s3, s3, 63
	s_sub_co_i32 s19, s97, s96
	s_ashr_i32 s0, s0, 6
	s_sub_co_i32 s14, s80, s3
	s_cmp_eq_u32 s0, s19
	v_lshl_add_u32 v43, v2, 6, v4
	s_cselect_b32 s0, -1, 0
	s_cmp_lg_u32 s14, 0
	v_and_b32_e32 v3, 1, v0
	s_cselect_b32 s1, -1, 0
	v_lshrrev_b32_e32 v5, 1, v43
	s_and_b32 s9, s1, s0
	v_bitop3_b32 v42, v0, v1, 0x3ff bitop3:0xa8
	s_xor_b32 s98, s9, -1
	s_cmp_lg_u32 s96, 0
	v_mad_u32_u24 v6, v2, s2, v4
	s_cselect_b32 s0, -1, 0
	s_lshl_b32 s10, s19, 6
	s_delay_alu instid0(SALU_CYCLE_1)
	v_dual_lshlrev_b32 v1, 9, v5 :: v_dual_add_nc_u32 v14, s10, v2
	s_ashr_i32 s11, s10, 31
	v_add_nc_u32_e32 v8, s10, v4
	v_writelane_b32 v88, s0, 1
	s_add_nc_u64 s[0:1], s[82:83], 1
	v_add_nc_u32_e32 v12, 64, v14
	s_cmp_gt_i32 s96, 4
	s_mul_u64 s[12:13], s[0:1], s[10:11]
	s_cselect_b32 s1, -1, 0
	v_dual_ashrrev_i32 v9, 31, v8 :: v_dual_lshlrev_b32 v49, 3, v3
	v_dual_ashrrev_i32 v13, 31, v12 :: v_dual_sub_nc_u32 v48, 0, v1
	s_and_b32 s100, s1, s98
	v_cmp_gt_u32_e64 s1, 4, v43
	v_cmp_eq_u32_e64 s2, 1, v3
	s_delay_alu instid0(VALU_DEP_3)
	v_mul_u64_e32 v[10:11], s[82:83], v[12:13]
	v_cmp_eq_u32_e64 s3, 0, v3
	v_dual_sub_nc_u32 v51, v49, v1 :: v_dual_bitop2_b32 v13, 3, v0 bitop3:0x40
	v_dual_lshlrev_b32 v50, 3, v4 :: v_dual_lshrrev_b32 v3, 2, v43
	s_and_b32 s101, s2, s1
	s_and_b32 s102, s3, s1
	v_cmp_gt_u32_e64 s2, 16, v43
	v_cmp_eq_u32_e64 s3, 3, v13
	v_cmp_ne_u32_e64 s4, 3, v13
	v_cmp_eq_u32_e64 s5, 2, v13
	v_dual_lshlrev_b32 v1, 9, v3 :: v_dual_lshlrev_b32 v54, 3, v13
	s_and_b32 s103, s3, s2
	s_and_b32 s104, s4, s2
	v_cmp_gt_u32_e64 s3, 2, v13
	v_cmp_eq_u32_e64 s4, 1, v13
	s_and_b32 vcc_hi, s5, s2
	v_cmp_eq_u32_e64 s5, 0, v13
	v_dual_sub_nc_u32 v55, v54, v1 :: v_dual_bitop2_b32 v15, 7, v0 bitop3:0x40
	s_and_b32 s31, s3, s2
	s_and_b32 s33, s4, s2
	;; [unrolled: 1-line block ×3, first 2 shown]
	v_cmp_gt_u32_e64 s3, 64, v43
	v_cmp_eq_u32_e64 s4, 7, v15
	v_cmp_ne_u32_e64 s5, 7, v15
	v_cmp_eq_u32_e64 s6, 6, v15
	v_cmp_gt_u32_e64 s7, 6, v15
	v_cmp_eq_u32_e64 s8, 5, v15
	s_and_b32 s35, s4, s3
	s_and_b32 s36, s5, s3
	;; [unrolled: 1-line block ×4, first 2 shown]
	v_cmp_gt_u32_e64 s4, 5, v15
	v_cmp_eq_u32_e64 s5, 4, v15
	v_cmp_gt_u32_e64 s6, 4, v15
	v_cmp_eq_u32_e64 s7, 3, v15
	v_lshlrev_b32_e32 v58, 3, v15
	s_and_b32 s39, s8, s3
	v_cmp_gt_u32_e64 s8, 3, v15
	s_and_b32 s40, s4, s3
	s_and_b32 s41, s5, s3
	;; [unrolled: 1-line block ×4, first 2 shown]
	v_cmp_eq_u32_e64 s4, 2, v15
	v_cmp_gt_u32_e64 s5, 2, v15
	v_cmp_eq_u32_e64 s6, 1, v15
	v_cmp_eq_u32_e64 s7, 0, v15
	v_and_b32_e32 v15, 15, v0
	s_and_b32 s45, s4, s3
	s_and_b32 s46, s5, s3
	v_cmp_gt_u32_e64 s4, 0x100, v43
	s_and_b32 s47, s6, s3
	v_cmp_eq_u32_e64 s5, 15, v15
	v_cmp_ne_u32_e64 s6, 15, v15
	s_and_b32 s48, s7, s3
	v_cmp_eq_u32_e64 s7, 14, v15
	s_and_b32 s44, s8, s3
	s_and_b32 s5, s5, s4
	;; [unrolled: 1-line block ×3, first 2 shown]
	v_writelane_b32 v88, s5, 2
	v_cmp_gt_u32_e64 s8, 14, v15
	v_cmp_eq_u32_e64 s5, 13, v15
	v_lshl_add_u32 v52, v3, 3, 0x8000
	v_dual_sub_nc_u32 v53, 0, v1 :: v_dual_lshlrev_b32 v3, 6, v43
	v_writelane_b32 v88, s6, 3
	s_and_b32 s6, s7, s4
	s_and_b32 s5, s5, s4
	v_cmp_gt_u32_e64 s7, 12, v15
	v_and_b32_e32 v13, 0x1fff8, v43
	v_writelane_b32 v88, s6, 4
	s_and_b32 s6, s8, s4
	v_cmp_eq_u32_e64 s8, 11, v15
	v_and_b32_e32 v3, 0xfffffe00, v3
	v_lshrrev_b32_e32 v1, 4, v43
	v_writelane_b32 v88, s6, 5
	v_cmp_gt_u32_e64 s6, 13, v15
	v_add_nc_u32_e32 v56, 0x8000, v13
	s_delay_alu instid0(VALU_DEP_4)
	v_dual_sub_nc_u32 v57, 0, v3 :: v_dual_lshlrev_b32 v13, 9, v1
	v_writelane_b32 v88, s5, 6
	v_cmp_eq_u32_e64 s5, 12, v15
	s_and_b32 s6, s6, s4
	v_dual_sub_nc_u32 v59, v58, v3 :: v_dual_bitop2_b32 v64, 31, v0 bitop3:0x40
	v_writelane_b32 v88, s6, 7
	s_and_b32 s5, s5, s4
	v_cmp_gt_u32_e64 s6, 11, v15
	v_sub_nc_u32_e32 v61, 0, v13
	v_lshl_add_u32 v60, v1, 3, 0x8000
	v_writelane_b32 v88, s5, 8
	s_and_b32 s5, s7, s4
	s_and_b32 s25, s6, s4
	v_cmp_gt_u32_e64 s6, 10, v15
	v_cmp_eq_u32_e64 s7, 9, v15
	v_writelane_b32 v88, s5, 9
	s_and_b32 s5, s8, s4
	v_cmp_gt_u32_e64 s8, 9, v15
	s_and_b32 s29, s6, s4
	v_cmp_gt_u32_e64 s6, 8, v15
	v_writelane_b32 v88, s5, 10
	v_cmp_eq_u32_e64 s5, 10, v15
	s_and_b32 s57, s7, s4
	v_cmp_gt_u32_e64 s7, 7, v15
	s_and_b32 s60, s6, s4
	v_cmp_gt_u32_e64 s6, 6, v15
	s_and_b32 s27, s5, s4
	v_cmp_eq_u32_e64 s5, 8, v15
	s_and_b32 s58, s8, s4
	v_cmp_eq_u32_e64 s8, 6, v15
	s_and_b32 s64, s6, s4
	v_cmp_gt_u32_e64 s6, 5, v15
	s_and_b32 s59, s5, s4
	v_cmp_eq_u32_e64 s5, 7, v15
	s_and_b32 s62, s7, s4
	v_cmp_eq_u32_e64 s7, 4, v15
	s_and_b32 s22, s6, s4
	v_cmp_gt_u32_e64 s6, 3, v15
	s_and_b32 s61, s5, s4
	v_cmp_eq_u32_e64 s5, 5, v15
	s_and_b32 s63, s8, s4
	v_cmp_gt_u32_e64 s8, 4, v15
	s_and_b32 s99, s6, s4
	v_cmp_eq_u32_e64 s6, 0, v15
	s_and_b32 s20, s5, s4
	v_cmp_eq_u32_e64 s5, 3, v15
	s_and_b32 s24, s7, s4
	v_cmp_gt_u32_e64 s7, 2, v15
	s_and_b32 s51, s6, s4
	v_cmp_le_i32_e64 s6, s14, v4
	s_and_b32 s28, s5, s4
	v_cmp_eq_u32_e64 s5, 2, v15
	v_lshrrev_b32_e32 v1, 5, v43
	s_and_b32 s26, s8, s4
	v_cmp_eq_u32_e64 s8, 1, v15
	s_and_b32 s52, s6, s9
	s_and_b32 s65, s5, s4
	v_cmp_eq_u32_e64 s5, 0, v2
	v_cmp_gt_i32_e32 vcc_lo, s14, v4
	v_dual_lshlrev_b32 v62, 3, v15 :: v_dual_lshlrev_b32 v0, 9, v1
	s_and_b32 s49, s7, s4
	v_dual_lshlrev_b32 v66, 3, v64 :: v_dual_add_nc_u32 v74, v70, v50
	s_xor_b32 s7, s52, -1
	s_and_b32 s50, s8, s4
	s_and_b32 s53, s5, s7
	s_cmp_gt_i32 s96, 0
	v_cmp_gt_i32_e64 s0, s80, v8
	v_sub_nc_u32_e32 v63, v62, v13
	v_lshl_add_u32 v65, v1, 3, 0x8000
	v_dual_sub_nc_u32 v67, 0, v0 :: v_dual_sub_nc_u32 v68, v66, v0
	s_cselect_b32 s54, -1, 0
	v_add_nc_u64_e32 v[0:1], s[10:11], v[6:7]
	v_add_nc_u32_e32 v3, 0x50, v14
	v_cmp_gt_i32_e64 s7, s80, v12
	s_and_b32 s11, s5, vcc_lo
	v_add_nc_u32_e32 v13, 0x60, v14
	v_writelane_b32 v88, s11, 11
	v_cmp_gt_i32_e64 s8, s80, v3
	s_and_b32 s7, s0, s7
	v_dual_mov_b32 v39, v7 :: v_dual_add_nc_u32 v14, 0x70, v14
	v_writelane_b32 v88, s7, 12
	v_cmp_gt_i32_e64 s9, s80, v13
	s_and_b32 s7, s0, s8
	v_dual_add_nc_u32 v40, 16, v2 :: v_dual_add_nc_u32 v38, 32, v2
	v_add_nc_u32_e32 v36, 48, v2
	v_writelane_b32 v88, s7, 13
	v_cmp_gt_i32_e64 s10, s80, v14
	s_and_b32 s7, s0, s9
	v_cmp_le_i32_e32 vcc_lo, s14, v2
	v_cmp_le_i32_e64 s8, s14, v38
	v_writelane_b32 v88, s7, 14
	v_cmp_le_i32_e64 s7, s14, v40
	v_or_b32_e32 v44, v40, v4
	v_cmp_le_i32_e64 s9, s14, v36
	s_and_b32 s10, s0, s10
	s_or_b32 s8, s8, s6
	v_writelane_b32 v88, s10, 15
	s_or_b32 s10, vcc_lo, s6
	s_or_b32 s7, s7, s6
	s_or_b32 s6, s9, s6
	v_cmp_le_u32_e64 s9, v2, v4
	v_cmp_le_u32_e64 s11, v40, v4
	v_dual_mov_b32 v41, v7 :: v_dual_add_nc_u32 v72, 0x8000, v50
	v_mov_b32_e32 v3, v7
	s_delay_alu instid0(VALU_DEP_4)
	v_writelane_b32 v88, s9, 16
	s_or_b32 s9, s10, s9
	s_or_b32 s7, s7, s11
	v_dual_mov_b32 v37, v7 :: v_dual_bitop2_b32 v45, v38, v4 bitop3:0x54
	v_writelane_b32 v88, s9, 17
	v_cmp_le_u32_e64 s9, v36, v4
	v_mul_u64_e32 v[0:1], s[74:75], v[0:1]
	v_mul_u64_e32 v[14:15], s[74:75], v[8:9]
	;; [unrolled: 1-line block ×3, first 2 shown]
	v_writelane_b32 v88, s11, 18
	s_or_b32 s6, s6, s9
	v_mul_u64_e32 v[18:19], s[82:83], v[40:41]
	v_mul_u64_e32 v[20:21], s[82:83], v[38:39]
	;; [unrolled: 1-line block ×3, first 2 shown]
	v_writelane_b32 v88, s7, 19
	v_cmp_le_u32_e64 s7, v38, v4
	v_dual_lshlrev_b32 v12, 3, v4 :: v_dual_bitop2_b32 v46, v36, v4 bitop3:0x54
	v_cmp_lt_u32_e32 vcc_lo, 0x3ff, v43
	v_mov_b64_e32 v[26:27], 1.0
	s_delay_alu instid0(VALU_DEP_4)
	v_writelane_b32 v88, s7, 20
	s_or_b32 s7, s8, s7
                                        ; implicit-def: $vgpr86 : SGPR spill to VGPR lane
	v_lshl_add_u32 v5, v5, 3, 0x8000
	v_lshl_add_u32 v69, v6, 3, 0xa000
	;; [unrolled: 1-line block ×3, first 2 shown]
	v_writelane_b32 v88, s7, 21
	v_lshl_add_u32 v73, v2, 9, v50
	v_lshl_add_u32 v75, v40, 9, v50
	;; [unrolled: 1-line block ×4, first 2 shown]
	v_writelane_b32 v88, s9, 22
	v_or_b32_e32 v78, 0x3800, v66
	v_subrev_nc_u32_e32 v79, 31, v64
	v_add_nc_u32_e32 v3, 0x7800, v50
	s_lshl_b64 s[86:87], s[12:13], 3
	v_writelane_b32 v88, s6, 23
	v_cmp_gt_u32_e64 s6, 0xf0, v43
	v_mov_b32_e32 v13, v7
	v_subrev_nc_u32_e32 v80, 63, v4
	v_cmp_eq_u32_e64 s10, 0, v42
	v_cmp_gt_u32_e64 s11, 2, v43
	v_writelane_b32 v88, s6, 24
	v_cmp_gt_u32_e64 s6, 0xe0, v43
	v_cmp_gt_u32_e64 s12, 12, v43
	;; [unrolled: 1-line block ×5, first 2 shown]
	v_writelane_b32 v88, s6, 25
	v_cmp_gt_u32_e64 s6, 0xd0, v43
	v_cmp_gt_u32_e64 s16, 40, v43
	;; [unrolled: 1-line block ×5, first 2 shown]
	v_writelane_b32 v88, s6, 26
	v_cmp_gt_u32_e64 s6, 0xc0, v43
	v_cmp_eq_u32_e64 s55, 0, v6
	v_cmp_gt_u32_e64 s56, 64, v6
	s_add_co_i32 s19, s19, 1
	s_xor_b32 s7, vcc_lo, -1
	v_writelane_b32 v88, s6, 27
	v_cmp_gt_u32_e64 s6, 0xb0, v43
	s_lshl_b64 s[88:89], s[82:83], 7
	s_lshl_b64 s[90:91], s[82:83], 8
	s_mul_u64 s[92:93], s[82:83], 0x180
	s_lshl_b64 s[78:79], s[78:79], 3
	v_writelane_b32 v88, s6, 28
	v_cmp_gt_u32_e64 s6, 0xa0, v43
	s_lshl_b64 s[72:73], s[72:73], 3
                                        ; implicit-def: $vgpr28_vgpr29
                                        ; implicit-def: $vgpr30_vgpr31
                                        ; implicit-def: $vgpr32_vgpr33
                                        ; implicit-def: $vgpr34_vgpr35
	v_writelane_b32 v88, s6, 29
	v_cmp_gt_u32_e64 s6, 0x90, v43
	s_delay_alu instid0(VALU_DEP_1) | instskip(SKIP_1) | instid1(VALU_DEP_1)
	v_writelane_b32 v88, s6, 30
	v_cmp_gt_u32_e64 s6, 0x80, v43
	v_writelane_b32 v88, s6, 31
	v_cmp_gt_u32_e64 s6, 0x70, v43
	s_delay_alu instid0(VALU_DEP_1) | instskip(SKIP_1) | instid1(VALU_DEP_1)
	v_writelane_b32 v87, s6, 0
	v_cmp_gt_u32_e64 s6, 0x60, v43
	;; [unrolled: 5-line block ×14, first 2 shown]
	v_writelane_b32 v87, s6, 25
	v_cmp_le_u32_e64 s6, v4, v2
	s_delay_alu instid0(VALU_DEP_1) | instskip(SKIP_1) | instid1(VALU_DEP_1)
	v_writelane_b32 v87, s6, 26
	v_cmp_le_u32_e64 s6, v4, v40
	v_writelane_b32 v87, s6, 27
	v_cmp_le_u32_e64 s6, v4, v38
	s_delay_alu instid0(VALU_DEP_1) | instskip(SKIP_1) | instid1(VALU_DEP_1)
	v_writelane_b32 v87, s6, 28
	v_cmp_le_u32_e64 s6, v4, v36
	v_writelane_b32 v87, s6, 29
	v_cmp_gt_u32_e64 s6, 64, v42
	s_delay_alu instid0(VALU_DEP_1) | instskip(SKIP_1) | instid1(VALU_DEP_1)
	v_writelane_b32 v87, s6, 30
	v_cmp_gt_u32_e64 s6, 64, v44
	v_writelane_b32 v87, s6, 31
	v_cmp_gt_u32_e64 s6, 64, v45
	s_delay_alu instid0(VALU_DEP_1) | instskip(SKIP_1) | instid1(VALU_DEP_1)
	v_writelane_b32 v86, s6, 0
	v_cmp_gt_u32_e64 s6, 64, v46
	v_writelane_b32 v86, s6, 1
	s_branch .LBB133_3
.LBB133_2:                              ;   in Loop: Header=BB133_3 Depth=1
	s_wait_xcnt 0x0
	s_or_b32 exec_lo, exec_lo, s6
	v_readlane_b32 s6, v88, 0
	s_add_co_i32 s66, s66, 0x10000
	global_wb scope:SCOPE_DEV
	s_wait_storecnt 0x0
	global_inv scope:SCOPE_DEV
	s_cmp_lt_u32 s66, s6
	s_cbranch_scc0 .LBB133_1055
.LBB133_3:                              ; =>This Loop Header: Depth=1
                                        ;     Child Loop BB133_518 Depth 2
                                        ;     Child Loop BB133_935 Depth 2
                                        ;       Child Loop BB133_937 Depth 3
                                        ;     Child Loop BB133_975 Depth 2
	v_mov_b32_e32 v38, s66
	v_readlane_b32 s6, v88, 1
	s_clause 0x1
	global_load_b64 v[36:37], v38, s[76:77] scale_offset
	global_load_b64 v[38:39], v38, s[70:71] scale_offset
	s_and_not1_b32 vcc_lo, exec_lo, s6
	s_wait_loadcnt 0x1
	v_add_nc_u64_e32 v[36:37], s[78:79], v[36:37]
	s_cbranch_vccnz .LBB133_13
; %bb.4:                                ;   in Loop: Header=BB133_3 Depth=1
	s_delay_alu instid0(VALU_DEP_1)
	v_lshl_add_u64 v[32:33], v[10:11], 3, v[36:37]
	v_mov_b64_e32 v[30:31], 0
	v_mov_b64_e32 v[28:29], 0
	s_wait_loadcnt 0x0
	s_barrier_signal -1
	v_lshl_add_u64 v[40:41], v[8:9], 3, v[32:33]
	s_barrier_wait -1
	s_wait_xcnt 0x0
	s_mov_b32 s6, exec_lo
	v_readlane_b32 s8, v88, 12
	s_and_b32 s8, s6, s8
	s_delay_alu instid0(SALU_CYCLE_1)
	s_mov_b32 exec_lo, s8
	s_cbranch_execz .LBB133_6
; %bb.5:                                ;   in Loop: Header=BB133_3 Depth=1
	flat_load_b64 v[28:29], v[40:41]
.LBB133_6:                              ;   in Loop: Header=BB133_3 Depth=1
	s_wait_xcnt 0x0
	s_or_b32 exec_lo, exec_lo, s6
	s_wait_loadcnt_dscnt 0x0
	s_barrier_signal -1
	s_barrier_wait -1
	s_mov_b32 s6, exec_lo
	v_readlane_b32 s8, v88, 13
	s_and_b32 s8, s6, s8
	s_delay_alu instid0(SALU_CYCLE_1)
	s_mov_b32 exec_lo, s8
	s_cbranch_execz .LBB133_8
; %bb.7:                                ;   in Loop: Header=BB133_3 Depth=1
	v_add_nc_u64_e32 v[30:31], s[88:89], v[40:41]
	flat_load_b64 v[30:31], v[30:31]
.LBB133_8:                              ;   in Loop: Header=BB133_3 Depth=1
	s_wait_xcnt 0x0
	s_or_b32 exec_lo, exec_lo, s6
	v_mov_b64_e32 v[34:35], 0
	v_mov_b64_e32 v[32:33], 0
	s_wait_loadcnt_dscnt 0x0
	s_barrier_signal -1
	s_barrier_wait -1
	s_mov_b32 s6, exec_lo
	v_readlane_b32 s8, v88, 14
	s_and_b32 s8, s6, s8
	s_delay_alu instid0(SALU_CYCLE_1)
	s_mov_b32 exec_lo, s8
	s_cbranch_execz .LBB133_10
; %bb.9:                                ;   in Loop: Header=BB133_3 Depth=1
	v_add_nc_u64_e32 v[32:33], s[90:91], v[40:41]
	flat_load_b64 v[32:33], v[32:33]
.LBB133_10:                             ;   in Loop: Header=BB133_3 Depth=1
	s_wait_xcnt 0x0
	s_or_b32 exec_lo, exec_lo, s6
	s_wait_loadcnt_dscnt 0x0
	s_barrier_signal -1
	s_barrier_wait -1
	s_mov_b32 s6, exec_lo
	v_readlane_b32 s8, v88, 15
	s_and_b32 s8, s6, s8
	s_delay_alu instid0(SALU_CYCLE_1)
	s_mov_b32 exec_lo, s8
	s_cbranch_execz .LBB133_12
; %bb.11:                               ;   in Loop: Header=BB133_3 Depth=1
	v_add_nc_u64_e32 v[34:35], s[92:93], v[40:41]
	flat_load_b64 v[34:35], v[34:35]
.LBB133_12:                             ;   in Loop: Header=BB133_3 Depth=1
	s_wait_xcnt 0x0
	s_or_b32 exec_lo, exec_lo, s6
.LBB133_13:                             ;   in Loop: Header=BB133_3 Depth=1
	s_delay_alu instid0(VALU_DEP_1) | instskip(SKIP_2) | instid1(VALU_DEP_1)
	v_add_nc_u64_e32 v[40:41], s[86:87], v[36:37]
	s_and_not1_b32 vcc_lo, exec_lo, s98
	s_mov_b32 s6, -1
	v_add_nc_u64_e32 v[40:41], v[40:41], v[12:13]
	s_cbranch_vccnz .LBB133_37
; %bb.14:                               ;   in Loop: Header=BB133_3 Depth=1
	s_mov_b32 s6, 0
	s_wait_xcnt 0x0
	s_mov_b32 s8, exec_lo
	v_readlane_b32 s9, v88, 16
	s_and_b32 s9, s8, s9
	s_delay_alu instid0(SALU_CYCLE_1)
	s_xor_b32 s8, s9, s8
	s_mov_b32 exec_lo, s9
	s_cbranch_execnz .LBB133_997
; %bb.15:                               ;   in Loop: Header=BB133_3 Depth=1
	s_or_saveexec_b32 s8, s8
	v_mov_b64_e32 v[42:43], 0
	s_xor_b32 exec_lo, exec_lo, s8
	s_cbranch_execnz .LBB133_998
.LBB133_16:                             ;   in Loop: Header=BB133_3 Depth=1
	s_or_b32 exec_lo, exec_lo, s8
	s_and_saveexec_b32 s8, s6
.LBB133_17:                             ;   in Loop: Header=BB133_3 Depth=1
	ds_store_b64 v73, v[42:43]
.LBB133_18:                             ;   in Loop: Header=BB133_3 Depth=1
	s_or_b32 exec_lo, exec_lo, s8
	s_delay_alu instid0(SALU_CYCLE_1) | instskip(SKIP_2) | instid1(SALU_CYCLE_1)
	s_mov_b32 s6, exec_lo
	v_readlane_b32 s8, v88, 18
	s_and_b32 s8, s6, s8
	s_xor_b32 s6, s8, s6
	s_mov_b32 exec_lo, s8
	s_cbranch_execz .LBB133_22
; %bb.19:                               ;   in Loop: Header=BB133_3 Depth=1
	s_mov_b32 s8, exec_lo
	v_readlane_b32 s9, v87, 31
	s_and_b32 s9, s8, s9
	s_delay_alu instid0(SALU_CYCLE_1)
	s_mov_b32 exec_lo, s9
; %bb.20:                               ;   in Loop: Header=BB133_3 Depth=1
	ds_store_b64 v75, v[24:25]
; %bb.21:                               ;   in Loop: Header=BB133_3 Depth=1
	s_or_b32 exec_lo, exec_lo, s8
.LBB133_22:                             ;   in Loop: Header=BB133_3 Depth=1
	s_and_not1_saveexec_b32 s6, s6
	s_cbranch_execz .LBB133_24
; %bb.23:                               ;   in Loop: Header=BB133_3 Depth=1
	v_lshl_add_u64 v[42:43], v[18:19], 3, v[40:41]
	flat_load_b64 v[42:43], v[42:43]
	s_wait_loadcnt_dscnt 0x0
	v_xor_b32_e32 v43, 0x80000000, v43
	ds_store_b64 v75, v[42:43]
.LBB133_24:                             ;   in Loop: Header=BB133_3 Depth=1
	s_or_b32 exec_lo, exec_lo, s6
	s_delay_alu instid0(SALU_CYCLE_1) | instskip(SKIP_2) | instid1(SALU_CYCLE_1)
	s_mov_b32 s6, exec_lo
	v_readlane_b32 s8, v88, 20
	s_and_b32 s8, s6, s8
	s_xor_b32 s6, s8, s6
	s_mov_b32 exec_lo, s8
	s_cbranch_execz .LBB133_28
; %bb.25:                               ;   in Loop: Header=BB133_3 Depth=1
	s_mov_b32 s8, exec_lo
	v_readlane_b32 s9, v86, 0
	s_and_b32 s9, s8, s9
	s_delay_alu instid0(SALU_CYCLE_1)
	s_mov_b32 exec_lo, s9
; %bb.26:                               ;   in Loop: Header=BB133_3 Depth=1
	ds_store_b64 v76, v[24:25]
; %bb.27:                               ;   in Loop: Header=BB133_3 Depth=1
	s_or_b32 exec_lo, exec_lo, s8
.LBB133_28:                             ;   in Loop: Header=BB133_3 Depth=1
	s_and_not1_saveexec_b32 s6, s6
	s_cbranch_execz .LBB133_30
; %bb.29:                               ;   in Loop: Header=BB133_3 Depth=1
	v_lshl_add_u64 v[42:43], v[20:21], 3, v[40:41]
	flat_load_b64 v[42:43], v[42:43]
	s_wait_loadcnt_dscnt 0x0
	v_xor_b32_e32 v43, 0x80000000, v43
	ds_store_b64 v76, v[42:43]
.LBB133_30:                             ;   in Loop: Header=BB133_3 Depth=1
	;; [unrolled: 28-line block ×3, first 2 shown]
	s_or_b32 exec_lo, exec_lo, s6
	s_mov_b32 s6, 0
.LBB133_37:                             ;   in Loop: Header=BB133_3 Depth=1
	s_delay_alu instid0(SALU_CYCLE_1)
	s_and_b32 vcc_lo, exec_lo, s6
	s_cbranch_vccz .LBB133_61
; %bb.38:                               ;   in Loop: Header=BB133_3 Depth=1
	s_mov_b32 s6, 0
	s_wait_xcnt 0x0
	s_mov_b32 s8, exec_lo
	v_readlane_b32 s9, v88, 17
	s_and_b32 s9, s8, s9
	s_delay_alu instid0(SALU_CYCLE_1)
	s_xor_b32 s8, s9, s8
	s_mov_b32 exec_lo, s9
	s_cbranch_execnz .LBB133_999
; %bb.39:                               ;   in Loop: Header=BB133_3 Depth=1
	s_or_saveexec_b32 s8, s8
	v_mov_b64_e32 v[42:43], 0
	s_xor_b32 exec_lo, exec_lo, s8
	s_cbranch_execnz .LBB133_1000
.LBB133_40:                             ;   in Loop: Header=BB133_3 Depth=1
	s_or_b32 exec_lo, exec_lo, s8
	s_and_saveexec_b32 s8, s6
.LBB133_41:                             ;   in Loop: Header=BB133_3 Depth=1
	ds_store_b64 v73, v[42:43]
.LBB133_42:                             ;   in Loop: Header=BB133_3 Depth=1
	s_or_b32 exec_lo, exec_lo, s8
	s_delay_alu instid0(SALU_CYCLE_1) | instskip(SKIP_2) | instid1(SALU_CYCLE_1)
	s_mov_b32 s6, exec_lo
	v_readlane_b32 s8, v88, 19
	s_and_b32 s8, s6, s8
	s_xor_b32 s6, s8, s6
	s_mov_b32 exec_lo, s8
	s_cbranch_execz .LBB133_46
; %bb.43:                               ;   in Loop: Header=BB133_3 Depth=1
	s_mov_b32 s8, exec_lo
	v_readlane_b32 s9, v87, 31
	s_and_b32 s9, s8, s9
	s_delay_alu instid0(SALU_CYCLE_1)
	s_mov_b32 exec_lo, s9
; %bb.44:                               ;   in Loop: Header=BB133_3 Depth=1
	ds_store_b64 v75, v[24:25]
; %bb.45:                               ;   in Loop: Header=BB133_3 Depth=1
	s_or_b32 exec_lo, exec_lo, s8
.LBB133_46:                             ;   in Loop: Header=BB133_3 Depth=1
	s_and_not1_saveexec_b32 s6, s6
	s_cbranch_execz .LBB133_48
; %bb.47:                               ;   in Loop: Header=BB133_3 Depth=1
	v_lshl_add_u64 v[42:43], v[18:19], 3, v[40:41]
	flat_load_b64 v[42:43], v[42:43]
	s_wait_loadcnt_dscnt 0x0
	v_xor_b32_e32 v43, 0x80000000, v43
	ds_store_b64 v75, v[42:43]
.LBB133_48:                             ;   in Loop: Header=BB133_3 Depth=1
	s_or_b32 exec_lo, exec_lo, s6
	s_delay_alu instid0(SALU_CYCLE_1) | instskip(SKIP_2) | instid1(SALU_CYCLE_1)
	s_mov_b32 s6, exec_lo
	v_readlane_b32 s8, v88, 21
	s_and_b32 s8, s6, s8
	s_xor_b32 s6, s8, s6
	s_mov_b32 exec_lo, s8
	s_cbranch_execz .LBB133_52
; %bb.49:                               ;   in Loop: Header=BB133_3 Depth=1
	s_mov_b32 s8, exec_lo
	v_readlane_b32 s9, v86, 0
	s_and_b32 s9, s8, s9
	s_delay_alu instid0(SALU_CYCLE_1)
	s_mov_b32 exec_lo, s9
; %bb.50:                               ;   in Loop: Header=BB133_3 Depth=1
	ds_store_b64 v76, v[24:25]
; %bb.51:                               ;   in Loop: Header=BB133_3 Depth=1
	s_or_b32 exec_lo, exec_lo, s8
.LBB133_52:                             ;   in Loop: Header=BB133_3 Depth=1
	s_and_not1_saveexec_b32 s6, s6
	s_cbranch_execz .LBB133_54
; %bb.53:                               ;   in Loop: Header=BB133_3 Depth=1
	v_lshl_add_u64 v[42:43], v[20:21], 3, v[40:41]
	flat_load_b64 v[42:43], v[42:43]
	s_wait_loadcnt_dscnt 0x0
	v_xor_b32_e32 v43, 0x80000000, v43
	ds_store_b64 v76, v[42:43]
.LBB133_54:                             ;   in Loop: Header=BB133_3 Depth=1
	s_or_b32 exec_lo, exec_lo, s6
	s_delay_alu instid0(SALU_CYCLE_1) | instskip(SKIP_2) | instid1(SALU_CYCLE_1)
	s_mov_b32 s6, exec_lo
	v_readlane_b32 s8, v88, 23
	s_and_b32 s8, s6, s8
	s_xor_b32 s6, s8, s6
	s_mov_b32 exec_lo, s8
	s_cbranch_execz .LBB133_58
; %bb.55:                               ;   in Loop: Header=BB133_3 Depth=1
	s_mov_b32 s8, exec_lo
	v_readlane_b32 s9, v86, 1
	s_and_b32 s9, s8, s9
	s_delay_alu instid0(SALU_CYCLE_1)
	s_mov_b32 exec_lo, s9
; %bb.56:                               ;   in Loop: Header=BB133_3 Depth=1
	ds_store_b64 v77, v[24:25]
; %bb.57:                               ;   in Loop: Header=BB133_3 Depth=1
	s_or_b32 exec_lo, exec_lo, s8
                                        ; implicit-def: $vgpr40_vgpr41
.LBB133_58:                             ;   in Loop: Header=BB133_3 Depth=1
	s_and_not1_saveexec_b32 s6, s6
	s_cbranch_execz .LBB133_60
; %bb.59:                               ;   in Loop: Header=BB133_3 Depth=1
	v_lshl_add_u64 v[40:41], v[22:23], 3, v[40:41]
	flat_load_b64 v[40:41], v[40:41]
	s_wait_loadcnt_dscnt 0x0
	v_xor_b32_e32 v41, 0x80000000, v41
	ds_store_b64 v77, v[40:41]
.LBB133_60:                             ;   in Loop: Header=BB133_3 Depth=1
	s_or_b32 exec_lo, exec_lo, s6
.LBB133_61:                             ;   in Loop: Header=BB133_3 Depth=1
	s_delay_alu instid0(SALU_CYCLE_1)
	s_and_not1_b32 vcc_lo, exec_lo, s100
	s_wait_loadcnt_dscnt 0x0
	s_barrier_signal -1
	s_barrier_wait -1
	s_cbranch_vccnz .LBB133_929
; %bb.62:                               ;   in Loop: Header=BB133_3 Depth=1
	s_and_saveexec_b32 s6, s10
; %bb.63:                               ;   in Loop: Header=BB133_3 Depth=1
	v_add_nc_u32_e64 v40, 0x7800, 0
	ds_store_2addr_b64 v40, v[26:27], v[26:27] offset0:190 offset1:255
; %bb.64:                               ;   in Loop: Header=BB133_3 Depth=1
	s_or_b32 exec_lo, exec_lo, s6
	v_mov_b64_e32 v[40:41], 0
	s_wait_dscnt 0x0
	s_barrier_signal -1
	s_barrier_wait -1
	global_wb scope:SCOPE_DEV
	s_wait_storecnt 0x0
	global_inv scope:SCOPE_DEV
	s_and_saveexec_b32 s6, s1
	s_cbranch_execz .LBB133_68
; %bb.65:                               ;   in Loop: Header=BB133_3 Depth=1
	ds_load_b64 v[40:41], v49 offset:32224
	ds_load_b64 v[42:43], v48 offset:32752
	s_wait_dscnt 0x0
	v_fma_f64 v[40:41], v[40:41], v[42:43], 0
	s_and_saveexec_b32 s8, s11
	s_cbranch_execz .LBB133_67
; %bb.66:                               ;   in Loop: Header=BB133_3 Depth=1
	ds_load_b64 v[42:43], v50 offset:32736
	ds_load_b64 v[44:45], v7 offset:32760
	s_wait_dscnt 0x0
	v_fmac_f64_e32 v[40:41], v[42:43], v[44:45]
.LBB133_67:                             ;   in Loop: Header=BB133_3 Depth=1
	s_or_b32 exec_lo, exec_lo, s8
.LBB133_68:                             ;   in Loop: Header=BB133_3 Depth=1
	s_delay_alu instid0(SALU_CYCLE_1)
	s_or_b32 exec_lo, exec_lo, s6
	s_and_saveexec_b32 s6, s101
; %bb.69:                               ;   in Loop: Header=BB133_3 Depth=1
	s_delay_alu instid0(VALU_DEP_1) | instskip(NEXT) | instid1(VALU_DEP_2)
	v_xor_b32_e32 v43, 0x80000000, v41
	v_mov_b32_e32 v42, v40
	ds_store_b64 v5, v[42:43]
; %bb.70:                               ;   in Loop: Header=BB133_3 Depth=1
	s_or_b32 exec_lo, exec_lo, s6
	s_wait_loadcnt_dscnt 0x0
	s_barrier_signal -1
	s_barrier_wait -1
	s_and_saveexec_b32 s6, s102
	s_cbranch_execz .LBB133_72
; %bb.71:                               ;   in Loop: Header=BB133_3 Depth=1
	ds_load_b64 v[42:43], v7 offset:31712
	ds_load_b64 v[44:45], v5
	s_wait_dscnt 0x0
	v_fma_f64 v[40:41], -v[42:43], v[44:45], v[40:41]
.LBB133_72:                             ;   in Loop: Header=BB133_3 Depth=1
	s_or_b32 exec_lo, exec_lo, s6
	s_barrier_signal -1
	s_barrier_wait -1
	s_and_saveexec_b32 s6, s102
; %bb.73:                               ;   in Loop: Header=BB133_3 Depth=1
	s_delay_alu instid0(VALU_DEP_1) | instskip(NEXT) | instid1(VALU_DEP_2)
	v_xor_b32_e32 v43, 0x80000000, v41
	v_mov_b32_e32 v42, v40
	ds_store_b64 v5, v[42:43]
; %bb.74:                               ;   in Loop: Header=BB133_3 Depth=1
	s_or_b32 exec_lo, exec_lo, s6
	s_wait_dscnt 0x0
	s_barrier_signal -1
	s_barrier_wait -1
	s_barrier_signal -1
	s_barrier_wait -1
	s_and_saveexec_b32 s6, s1
; %bb.75:                               ;   in Loop: Header=BB133_3 Depth=1
	ds_store_b64 v51, v[40:41] offset:32736
; %bb.76:                               ;   in Loop: Header=BB133_3 Depth=1
	s_or_b32 exec_lo, exec_lo, s6
	s_wait_dscnt 0x0
	s_barrier_signal -1
	s_barrier_wait -1
	s_barrier_signal -1
	s_barrier_wait -1
	s_and_saveexec_b32 s6, s10
; %bb.77:                               ;   in Loop: Header=BB133_3 Depth=1
	v_add_nc_u32_e64 v40, 0x7800, 0
	ds_store_2addr_b64 v40, v[26:27], v[26:27] offset0:60 offset1:125
; %bb.78:                               ;   in Loop: Header=BB133_3 Depth=1
	s_or_b32 exec_lo, exec_lo, s6
	v_mov_b64_e32 v[40:41], 0
	s_wait_dscnt 0x0
	s_barrier_signal -1
	s_barrier_wait -1
	global_wb scope:SCOPE_DEV
	s_wait_storecnt 0x0
	global_inv scope:SCOPE_DEV
	s_and_saveexec_b32 s8, s2
	s_cbranch_execz .LBB133_84
; %bb.79:                               ;   in Loop: Header=BB133_3 Depth=1
	ds_load_b64 v[40:41], v54 offset:31168
	ds_load_b64 v[42:43], v53 offset:32736
	s_wait_dscnt 0x0
	v_fma_f64 v[40:41], v[40:41], v[42:43], 0
	s_and_saveexec_b32 s6, s12
	s_cbranch_execnz .LBB133_1005
; %bb.80:                               ;   in Loop: Header=BB133_3 Depth=1
	s_or_b32 exec_lo, exec_lo, s6
	s_and_saveexec_b32 s6, s13
	s_cbranch_execnz .LBB133_1006
.LBB133_81:                             ;   in Loop: Header=BB133_3 Depth=1
	s_or_b32 exec_lo, exec_lo, s6
	s_and_saveexec_b32 s6, s1
	s_cbranch_execz .LBB133_83
.LBB133_82:                             ;   in Loop: Header=BB133_3 Depth=1
	ds_load_b64 v[42:43], v50 offset:32704
	ds_load_b64 v[44:45], v7 offset:32760
	s_wait_dscnt 0x0
	v_fmac_f64_e32 v[40:41], v[42:43], v[44:45]
.LBB133_83:                             ;   in Loop: Header=BB133_3 Depth=1
	s_or_b32 exec_lo, exec_lo, s6
.LBB133_84:                             ;   in Loop: Header=BB133_3 Depth=1
	s_delay_alu instid0(SALU_CYCLE_1)
	s_or_b32 exec_lo, exec_lo, s8
	s_and_saveexec_b32 s6, s103
; %bb.85:                               ;   in Loop: Header=BB133_3 Depth=1
	s_delay_alu instid0(VALU_DEP_1) | instskip(NEXT) | instid1(VALU_DEP_2)
	v_xor_b32_e32 v43, 0x80000000, v41
	v_mov_b32_e32 v42, v40
	ds_store_b64 v52, v[42:43]
; %bb.86:                               ;   in Loop: Header=BB133_3 Depth=1
	s_or_b32 exec_lo, exec_lo, s6
	s_wait_loadcnt_dscnt 0x0
	s_barrier_signal -1
	s_barrier_wait -1
	s_and_saveexec_b32 s6, s104
	s_cbranch_execz .LBB133_88
; %bb.87:                               ;   in Loop: Header=BB133_3 Depth=1
	ds_load_b64 v[42:43], v54 offset:30656
	ds_load_b64 v[44:45], v52
	s_wait_dscnt 0x0
	v_fma_f64 v[40:41], -v[42:43], v[44:45], v[40:41]
.LBB133_88:                             ;   in Loop: Header=BB133_3 Depth=1
	s_or_b32 exec_lo, exec_lo, s6
	s_barrier_signal -1
	s_barrier_wait -1
	s_and_saveexec_b32 s6, vcc_hi
; %bb.89:                               ;   in Loop: Header=BB133_3 Depth=1
	s_delay_alu instid0(VALU_DEP_1) | instskip(NEXT) | instid1(VALU_DEP_2)
	v_xor_b32_e32 v43, 0x80000000, v41
	v_mov_b32_e32 v42, v40
	ds_store_b64 v52, v[42:43]
; %bb.90:                               ;   in Loop: Header=BB133_3 Depth=1
	s_or_b32 exec_lo, exec_lo, s6
	s_wait_dscnt 0x0
	s_barrier_signal -1
	s_barrier_wait -1
	s_and_saveexec_b32 s6, s31
	s_cbranch_execz .LBB133_92
; %bb.91:                               ;   in Loop: Header=BB133_3 Depth=1
	ds_load_b64 v[42:43], v54 offset:30144
	ds_load_b64 v[44:45], v52
	s_wait_dscnt 0x0
	v_fma_f64 v[40:41], -v[42:43], v[44:45], v[40:41]
.LBB133_92:                             ;   in Loop: Header=BB133_3 Depth=1
	s_or_b32 exec_lo, exec_lo, s6
	s_barrier_signal -1
	s_barrier_wait -1
	s_and_saveexec_b32 s6, s33
; %bb.93:                               ;   in Loop: Header=BB133_3 Depth=1
	s_delay_alu instid0(VALU_DEP_1) | instskip(NEXT) | instid1(VALU_DEP_2)
	v_xor_b32_e32 v43, 0x80000000, v41
	v_mov_b32_e32 v42, v40
	ds_store_b64 v52, v[42:43]
; %bb.94:                               ;   in Loop: Header=BB133_3 Depth=1
	s_or_b32 exec_lo, exec_lo, s6
	s_wait_dscnt 0x0
	s_barrier_signal -1
	s_barrier_wait -1
	s_and_saveexec_b32 s6, s34
	s_cbranch_execz .LBB133_96
; %bb.95:                               ;   in Loop: Header=BB133_3 Depth=1
	ds_load_b64 v[42:43], v7 offset:29632
	ds_load_b64 v[44:45], v52
	s_wait_dscnt 0x0
	v_fma_f64 v[40:41], -v[42:43], v[44:45], v[40:41]
.LBB133_96:                             ;   in Loop: Header=BB133_3 Depth=1
	s_or_b32 exec_lo, exec_lo, s6
	s_barrier_signal -1
	s_barrier_wait -1
	s_and_saveexec_b32 s6, s34
; %bb.97:                               ;   in Loop: Header=BB133_3 Depth=1
	s_delay_alu instid0(VALU_DEP_1) | instskip(NEXT) | instid1(VALU_DEP_2)
	v_xor_b32_e32 v43, 0x80000000, v41
	v_mov_b32_e32 v42, v40
	ds_store_b64 v52, v[42:43]
; %bb.98:                               ;   in Loop: Header=BB133_3 Depth=1
	s_or_b32 exec_lo, exec_lo, s6
	s_wait_dscnt 0x0
	s_barrier_signal -1
	s_barrier_wait -1
	s_barrier_signal -1
	s_barrier_wait -1
	s_and_saveexec_b32 s6, s2
; %bb.99:                               ;   in Loop: Header=BB133_3 Depth=1
	ds_store_b64 v55, v[40:41] offset:32704
; %bb.100:                              ;   in Loop: Header=BB133_3 Depth=1
	s_or_b32 exec_lo, exec_lo, s6
	s_wait_dscnt 0x0
	s_barrier_signal -1
	s_barrier_wait -1
	s_barrier_signal -1
	s_barrier_wait -1
	s_and_saveexec_b32 s6, s10
; %bb.101:                              ;   in Loop: Header=BB133_3 Depth=1
	v_add_nc_u32_e64 v40, 0x7000, 0
	ds_store_2addr_b64 v40, v[26:27], v[26:27] offset0:186 offset1:251
; %bb.102:                              ;   in Loop: Header=BB133_3 Depth=1
	s_or_b32 exec_lo, exec_lo, s6
	v_mov_b64_e32 v[40:41], 0
	s_wait_dscnt 0x0
	s_barrier_signal -1
	s_barrier_wait -1
	global_wb scope:SCOPE_DEV
	s_wait_storecnt 0x0
	global_inv scope:SCOPE_DEV
	s_and_saveexec_b32 s6, s1
	s_cbranch_execz .LBB133_106
; %bb.103:                              ;   in Loop: Header=BB133_3 Depth=1
	ds_load_b64 v[40:41], v49 offset:30144
	ds_load_b64 v[42:43], v48 offset:30672
	s_wait_dscnt 0x0
	v_fma_f64 v[40:41], v[40:41], v[42:43], 0
	s_and_saveexec_b32 s8, s11
	s_cbranch_execz .LBB133_105
; %bb.104:                              ;   in Loop: Header=BB133_3 Depth=1
	ds_load_b64 v[42:43], v50 offset:30656
	ds_load_b64 v[44:45], v7 offset:30680
	s_wait_dscnt 0x0
	v_fmac_f64_e32 v[40:41], v[42:43], v[44:45]
.LBB133_105:                            ;   in Loop: Header=BB133_3 Depth=1
	s_or_b32 exec_lo, exec_lo, s8
.LBB133_106:                            ;   in Loop: Header=BB133_3 Depth=1
	s_delay_alu instid0(SALU_CYCLE_1)
	s_or_b32 exec_lo, exec_lo, s6
	s_and_saveexec_b32 s6, s101
; %bb.107:                              ;   in Loop: Header=BB133_3 Depth=1
	s_delay_alu instid0(VALU_DEP_1) | instskip(NEXT) | instid1(VALU_DEP_2)
	v_xor_b32_e32 v43, 0x80000000, v41
	v_mov_b32_e32 v42, v40
	ds_store_b64 v5, v[42:43]
; %bb.108:                              ;   in Loop: Header=BB133_3 Depth=1
	s_or_b32 exec_lo, exec_lo, s6
	s_wait_loadcnt_dscnt 0x0
	s_barrier_signal -1
	s_barrier_wait -1
	s_and_saveexec_b32 s6, s102
	s_cbranch_execz .LBB133_110
; %bb.109:                              ;   in Loop: Header=BB133_3 Depth=1
	ds_load_b64 v[42:43], v7 offset:29632
	ds_load_b64 v[44:45], v5
	s_wait_dscnt 0x0
	v_fma_f64 v[40:41], -v[42:43], v[44:45], v[40:41]
.LBB133_110:                            ;   in Loop: Header=BB133_3 Depth=1
	s_or_b32 exec_lo, exec_lo, s6
	s_barrier_signal -1
	s_barrier_wait -1
	s_and_saveexec_b32 s6, s102
; %bb.111:                              ;   in Loop: Header=BB133_3 Depth=1
	s_delay_alu instid0(VALU_DEP_1) | instskip(NEXT) | instid1(VALU_DEP_2)
	v_xor_b32_e32 v43, 0x80000000, v41
	v_mov_b32_e32 v42, v40
	ds_store_b64 v5, v[42:43]
; %bb.112:                              ;   in Loop: Header=BB133_3 Depth=1
	s_or_b32 exec_lo, exec_lo, s6
	s_wait_dscnt 0x0
	s_barrier_signal -1
	s_barrier_wait -1
	s_barrier_signal -1
	s_barrier_wait -1
	s_and_saveexec_b32 s6, s1
; %bb.113:                              ;   in Loop: Header=BB133_3 Depth=1
	ds_store_b64 v51, v[40:41] offset:30656
; %bb.114:                              ;   in Loop: Header=BB133_3 Depth=1
	s_or_b32 exec_lo, exec_lo, s6
	s_wait_dscnt 0x0
	s_barrier_signal -1
	s_barrier_wait -1
	s_barrier_signal -1
	s_barrier_wait -1
	s_and_saveexec_b32 s6, s10
; %bb.115:                              ;   in Loop: Header=BB133_3 Depth=1
	v_add_nc_u32_e64 v40, 0x7000, 0
	ds_store_2addr_b64 v40, v[26:27], v[26:27] offset0:56 offset1:121
; %bb.116:                              ;   in Loop: Header=BB133_3 Depth=1
	s_or_b32 exec_lo, exec_lo, s6
	v_mov_b64_e32 v[40:41], 0
	s_wait_dscnt 0x0
	s_barrier_signal -1
	s_barrier_wait -1
	global_wb scope:SCOPE_DEV
	s_wait_storecnt 0x0
	global_inv scope:SCOPE_DEV
	s_and_saveexec_b32 s8, s3
	s_cbranch_execz .LBB133_126
; %bb.117:                              ;   in Loop: Header=BB133_3 Depth=1
	ds_load_b64 v[40:41], v58 offset:29056
	ds_load_b64 v[42:43], v57 offset:32704
	s_wait_dscnt 0x0
	v_fma_f64 v[40:41], v[40:41], v[42:43], 0
	s_and_saveexec_b32 s6, s14
	s_cbranch_execnz .LBB133_1007
; %bb.118:                              ;   in Loop: Header=BB133_3 Depth=1
	s_or_b32 exec_lo, exec_lo, s6
	s_and_saveexec_b32 s6, s15
	s_cbranch_execnz .LBB133_1008
.LBB133_119:                            ;   in Loop: Header=BB133_3 Depth=1
	s_or_b32 exec_lo, exec_lo, s6
	s_and_saveexec_b32 s6, s16
	s_cbranch_execnz .LBB133_1009
.LBB133_120:                            ;   in Loop: Header=BB133_3 Depth=1
	s_or_b32 exec_lo, exec_lo, s6
	s_and_saveexec_b32 s6, s17
	s_cbranch_execnz .LBB133_1010
.LBB133_121:                            ;   in Loop: Header=BB133_3 Depth=1
	s_or_b32 exec_lo, exec_lo, s6
	s_and_saveexec_b32 s6, s18
	s_cbranch_execnz .LBB133_1011
.LBB133_122:                            ;   in Loop: Header=BB133_3 Depth=1
	s_or_b32 exec_lo, exec_lo, s6
	s_and_saveexec_b32 s6, s2
	s_cbranch_execnz .LBB133_1012
.LBB133_123:                            ;   in Loop: Header=BB133_3 Depth=1
	s_or_b32 exec_lo, exec_lo, s6
	s_and_saveexec_b32 s6, s13
	s_cbranch_execz .LBB133_125
.LBB133_124:                            ;   in Loop: Header=BB133_3 Depth=1
	ds_load_b64 v[42:43], v50 offset:32640
	ds_load_b64 v[44:45], v7 offset:32760
	s_wait_dscnt 0x0
	v_fmac_f64_e32 v[40:41], v[42:43], v[44:45]
.LBB133_125:                            ;   in Loop: Header=BB133_3 Depth=1
	s_or_b32 exec_lo, exec_lo, s6
.LBB133_126:                            ;   in Loop: Header=BB133_3 Depth=1
	s_delay_alu instid0(SALU_CYCLE_1)
	s_or_b32 exec_lo, exec_lo, s8
	s_and_saveexec_b32 s6, s35
; %bb.127:                              ;   in Loop: Header=BB133_3 Depth=1
	s_delay_alu instid0(VALU_DEP_1) | instskip(NEXT) | instid1(VALU_DEP_2)
	v_xor_b32_e32 v43, 0x80000000, v41
	v_mov_b32_e32 v42, v40
	ds_store_b64 v56, v[42:43]
; %bb.128:                              ;   in Loop: Header=BB133_3 Depth=1
	s_or_b32 exec_lo, exec_lo, s6
	s_wait_loadcnt_dscnt 0x0
	s_barrier_signal -1
	s_barrier_wait -1
	s_and_saveexec_b32 s6, s36
	s_cbranch_execz .LBB133_130
; %bb.129:                              ;   in Loop: Header=BB133_3 Depth=1
	ds_load_b64 v[42:43], v58 offset:28544
	ds_load_b64 v[44:45], v56
	s_wait_dscnt 0x0
	v_fma_f64 v[40:41], -v[42:43], v[44:45], v[40:41]
.LBB133_130:                            ;   in Loop: Header=BB133_3 Depth=1
	s_or_b32 exec_lo, exec_lo, s6
	s_barrier_signal -1
	s_barrier_wait -1
	s_and_saveexec_b32 s6, s37
; %bb.131:                              ;   in Loop: Header=BB133_3 Depth=1
	s_delay_alu instid0(VALU_DEP_1) | instskip(NEXT) | instid1(VALU_DEP_2)
	v_xor_b32_e32 v43, 0x80000000, v41
	v_mov_b32_e32 v42, v40
	ds_store_b64 v56, v[42:43]
; %bb.132:                              ;   in Loop: Header=BB133_3 Depth=1
	s_or_b32 exec_lo, exec_lo, s6
	s_wait_dscnt 0x0
	s_barrier_signal -1
	s_barrier_wait -1
	s_and_saveexec_b32 s6, s38
	s_cbranch_execz .LBB133_134
; %bb.133:                              ;   in Loop: Header=BB133_3 Depth=1
	ds_load_b64 v[42:43], v58 offset:28032
	ds_load_b64 v[44:45], v56
	s_wait_dscnt 0x0
	v_fma_f64 v[40:41], -v[42:43], v[44:45], v[40:41]
.LBB133_134:                            ;   in Loop: Header=BB133_3 Depth=1
	s_or_b32 exec_lo, exec_lo, s6
	s_barrier_signal -1
	s_barrier_wait -1
	s_and_saveexec_b32 s6, s39
; %bb.135:                              ;   in Loop: Header=BB133_3 Depth=1
	s_delay_alu instid0(VALU_DEP_1) | instskip(NEXT) | instid1(VALU_DEP_2)
	v_xor_b32_e32 v43, 0x80000000, v41
	v_mov_b32_e32 v42, v40
	ds_store_b64 v56, v[42:43]
; %bb.136:                              ;   in Loop: Header=BB133_3 Depth=1
	s_or_b32 exec_lo, exec_lo, s6
	s_wait_dscnt 0x0
	;; [unrolled: 22-line block ×7, first 2 shown]
	s_barrier_signal -1
	s_barrier_wait -1
	s_barrier_signal -1
	s_barrier_wait -1
	s_and_saveexec_b32 s6, s3
; %bb.157:                              ;   in Loop: Header=BB133_3 Depth=1
	ds_store_b64 v59, v[40:41] offset:32640
; %bb.158:                              ;   in Loop: Header=BB133_3 Depth=1
	s_or_b32 exec_lo, exec_lo, s6
	s_wait_dscnt 0x0
	s_barrier_signal -1
	s_barrier_wait -1
	s_barrier_signal -1
	s_barrier_wait -1
	s_and_saveexec_b32 s6, s10
; %bb.159:                              ;   in Loop: Header=BB133_3 Depth=1
	v_add_nc_u32_e64 v40, 0x6800, 0
	ds_store_2addr_b64 v40, v[26:27], v[26:27] offset0:182 offset1:247
; %bb.160:                              ;   in Loop: Header=BB133_3 Depth=1
	s_or_b32 exec_lo, exec_lo, s6
	v_mov_b64_e32 v[40:41], 0
	s_wait_dscnt 0x0
	s_barrier_signal -1
	s_barrier_wait -1
	global_wb scope:SCOPE_DEV
	s_wait_storecnt 0x0
	global_inv scope:SCOPE_DEV
	s_and_saveexec_b32 s6, s1
	s_cbranch_execz .LBB133_164
; %bb.161:                              ;   in Loop: Header=BB133_3 Depth=1
	ds_load_b64 v[40:41], v49 offset:28064
	ds_load_b64 v[42:43], v48 offset:28592
	s_wait_dscnt 0x0
	v_fma_f64 v[40:41], v[40:41], v[42:43], 0
	s_and_saveexec_b32 s8, s11
	s_cbranch_execz .LBB133_163
; %bb.162:                              ;   in Loop: Header=BB133_3 Depth=1
	ds_load_b64 v[42:43], v50 offset:28576
	ds_load_b64 v[44:45], v7 offset:28600
	s_wait_dscnt 0x0
	v_fmac_f64_e32 v[40:41], v[42:43], v[44:45]
.LBB133_163:                            ;   in Loop: Header=BB133_3 Depth=1
	s_or_b32 exec_lo, exec_lo, s8
.LBB133_164:                            ;   in Loop: Header=BB133_3 Depth=1
	s_delay_alu instid0(SALU_CYCLE_1)
	s_or_b32 exec_lo, exec_lo, s6
	s_and_saveexec_b32 s6, s101
; %bb.165:                              ;   in Loop: Header=BB133_3 Depth=1
	s_delay_alu instid0(VALU_DEP_1) | instskip(NEXT) | instid1(VALU_DEP_2)
	v_xor_b32_e32 v43, 0x80000000, v41
	v_mov_b32_e32 v42, v40
	ds_store_b64 v5, v[42:43]
; %bb.166:                              ;   in Loop: Header=BB133_3 Depth=1
	s_or_b32 exec_lo, exec_lo, s6
	s_wait_loadcnt_dscnt 0x0
	s_barrier_signal -1
	s_barrier_wait -1
	s_and_saveexec_b32 s6, s102
	s_cbranch_execz .LBB133_168
; %bb.167:                              ;   in Loop: Header=BB133_3 Depth=1
	ds_load_b64 v[42:43], v7 offset:27552
	ds_load_b64 v[44:45], v5
	s_wait_dscnt 0x0
	v_fma_f64 v[40:41], -v[42:43], v[44:45], v[40:41]
.LBB133_168:                            ;   in Loop: Header=BB133_3 Depth=1
	s_or_b32 exec_lo, exec_lo, s6
	s_barrier_signal -1
	s_barrier_wait -1
	s_and_saveexec_b32 s6, s102
; %bb.169:                              ;   in Loop: Header=BB133_3 Depth=1
	s_delay_alu instid0(VALU_DEP_1) | instskip(NEXT) | instid1(VALU_DEP_2)
	v_xor_b32_e32 v43, 0x80000000, v41
	v_mov_b32_e32 v42, v40
	ds_store_b64 v5, v[42:43]
; %bb.170:                              ;   in Loop: Header=BB133_3 Depth=1
	s_or_b32 exec_lo, exec_lo, s6
	s_wait_dscnt 0x0
	s_barrier_signal -1
	s_barrier_wait -1
	s_barrier_signal -1
	s_barrier_wait -1
	s_and_saveexec_b32 s6, s1
; %bb.171:                              ;   in Loop: Header=BB133_3 Depth=1
	ds_store_b64 v51, v[40:41] offset:28576
; %bb.172:                              ;   in Loop: Header=BB133_3 Depth=1
	s_or_b32 exec_lo, exec_lo, s6
	s_wait_dscnt 0x0
	s_barrier_signal -1
	s_barrier_wait -1
	s_barrier_signal -1
	s_barrier_wait -1
	s_and_saveexec_b32 s6, s10
; %bb.173:                              ;   in Loop: Header=BB133_3 Depth=1
	v_add_nc_u32_e64 v40, 0x6800, 0
	ds_store_2addr_b64 v40, v[26:27], v[26:27] offset0:52 offset1:117
; %bb.174:                              ;   in Loop: Header=BB133_3 Depth=1
	s_or_b32 exec_lo, exec_lo, s6
	v_mov_b64_e32 v[40:41], 0
	s_wait_dscnt 0x0
	s_barrier_signal -1
	s_barrier_wait -1
	global_wb scope:SCOPE_DEV
	s_wait_storecnt 0x0
	global_inv scope:SCOPE_DEV
	s_and_saveexec_b32 s8, s2
	s_cbranch_execz .LBB133_180
; %bb.175:                              ;   in Loop: Header=BB133_3 Depth=1
	ds_load_b64 v[40:41], v54 offset:27008
	ds_load_b64 v[42:43], v53 offset:28576
	s_wait_dscnt 0x0
	v_fma_f64 v[40:41], v[40:41], v[42:43], 0
	s_and_saveexec_b32 s6, s12
	s_cbranch_execnz .LBB133_1013
; %bb.176:                              ;   in Loop: Header=BB133_3 Depth=1
	s_or_b32 exec_lo, exec_lo, s6
	s_and_saveexec_b32 s6, s13
	s_cbranch_execnz .LBB133_1014
.LBB133_177:                            ;   in Loop: Header=BB133_3 Depth=1
	s_or_b32 exec_lo, exec_lo, s6
	s_and_saveexec_b32 s6, s1
	s_cbranch_execz .LBB133_179
.LBB133_178:                            ;   in Loop: Header=BB133_3 Depth=1
	ds_load_b64 v[42:43], v50 offset:28544
	ds_load_b64 v[44:45], v7 offset:28600
	s_wait_dscnt 0x0
	v_fmac_f64_e32 v[40:41], v[42:43], v[44:45]
.LBB133_179:                            ;   in Loop: Header=BB133_3 Depth=1
	s_or_b32 exec_lo, exec_lo, s6
.LBB133_180:                            ;   in Loop: Header=BB133_3 Depth=1
	s_delay_alu instid0(SALU_CYCLE_1)
	s_or_b32 exec_lo, exec_lo, s8
	s_and_saveexec_b32 s6, s103
; %bb.181:                              ;   in Loop: Header=BB133_3 Depth=1
	s_delay_alu instid0(VALU_DEP_1) | instskip(NEXT) | instid1(VALU_DEP_2)
	v_xor_b32_e32 v43, 0x80000000, v41
	v_mov_b32_e32 v42, v40
	ds_store_b64 v52, v[42:43]
; %bb.182:                              ;   in Loop: Header=BB133_3 Depth=1
	s_or_b32 exec_lo, exec_lo, s6
	s_wait_loadcnt_dscnt 0x0
	s_barrier_signal -1
	s_barrier_wait -1
	s_and_saveexec_b32 s6, s104
	s_cbranch_execz .LBB133_184
; %bb.183:                              ;   in Loop: Header=BB133_3 Depth=1
	ds_load_b64 v[42:43], v54 offset:26496
	ds_load_b64 v[44:45], v52
	s_wait_dscnt 0x0
	v_fma_f64 v[40:41], -v[42:43], v[44:45], v[40:41]
.LBB133_184:                            ;   in Loop: Header=BB133_3 Depth=1
	s_or_b32 exec_lo, exec_lo, s6
	s_barrier_signal -1
	s_barrier_wait -1
	s_and_saveexec_b32 s6, vcc_hi
; %bb.185:                              ;   in Loop: Header=BB133_3 Depth=1
	s_delay_alu instid0(VALU_DEP_1) | instskip(NEXT) | instid1(VALU_DEP_2)
	v_xor_b32_e32 v43, 0x80000000, v41
	v_mov_b32_e32 v42, v40
	ds_store_b64 v52, v[42:43]
; %bb.186:                              ;   in Loop: Header=BB133_3 Depth=1
	s_or_b32 exec_lo, exec_lo, s6
	s_wait_dscnt 0x0
	s_barrier_signal -1
	s_barrier_wait -1
	s_and_saveexec_b32 s6, s31
	s_cbranch_execz .LBB133_188
; %bb.187:                              ;   in Loop: Header=BB133_3 Depth=1
	ds_load_b64 v[42:43], v54 offset:25984
	ds_load_b64 v[44:45], v52
	s_wait_dscnt 0x0
	v_fma_f64 v[40:41], -v[42:43], v[44:45], v[40:41]
.LBB133_188:                            ;   in Loop: Header=BB133_3 Depth=1
	s_or_b32 exec_lo, exec_lo, s6
	s_barrier_signal -1
	s_barrier_wait -1
	s_and_saveexec_b32 s6, s33
; %bb.189:                              ;   in Loop: Header=BB133_3 Depth=1
	s_delay_alu instid0(VALU_DEP_1) | instskip(NEXT) | instid1(VALU_DEP_2)
	v_xor_b32_e32 v43, 0x80000000, v41
	v_mov_b32_e32 v42, v40
	ds_store_b64 v52, v[42:43]
; %bb.190:                              ;   in Loop: Header=BB133_3 Depth=1
	s_or_b32 exec_lo, exec_lo, s6
	s_wait_dscnt 0x0
	s_barrier_signal -1
	s_barrier_wait -1
	s_and_saveexec_b32 s6, s34
	s_cbranch_execz .LBB133_192
; %bb.191:                              ;   in Loop: Header=BB133_3 Depth=1
	ds_load_b64 v[42:43], v7 offset:25472
	ds_load_b64 v[44:45], v52
	s_wait_dscnt 0x0
	v_fma_f64 v[40:41], -v[42:43], v[44:45], v[40:41]
.LBB133_192:                            ;   in Loop: Header=BB133_3 Depth=1
	s_or_b32 exec_lo, exec_lo, s6
	s_barrier_signal -1
	s_barrier_wait -1
	s_and_saveexec_b32 s6, s34
; %bb.193:                              ;   in Loop: Header=BB133_3 Depth=1
	s_delay_alu instid0(VALU_DEP_1) | instskip(NEXT) | instid1(VALU_DEP_2)
	v_xor_b32_e32 v43, 0x80000000, v41
	v_mov_b32_e32 v42, v40
	ds_store_b64 v52, v[42:43]
; %bb.194:                              ;   in Loop: Header=BB133_3 Depth=1
	s_or_b32 exec_lo, exec_lo, s6
	s_wait_dscnt 0x0
	s_barrier_signal -1
	s_barrier_wait -1
	s_barrier_signal -1
	s_barrier_wait -1
	s_and_saveexec_b32 s6, s2
; %bb.195:                              ;   in Loop: Header=BB133_3 Depth=1
	ds_store_b64 v55, v[40:41] offset:28544
; %bb.196:                              ;   in Loop: Header=BB133_3 Depth=1
	s_or_b32 exec_lo, exec_lo, s6
	s_wait_dscnt 0x0
	s_barrier_signal -1
	s_barrier_wait -1
	s_barrier_signal -1
	s_barrier_wait -1
	s_and_saveexec_b32 s6, s10
; %bb.197:                              ;   in Loop: Header=BB133_3 Depth=1
	v_add_nc_u32_e64 v40, 0x6000, 0
	ds_store_2addr_b64 v40, v[26:27], v[26:27] offset0:178 offset1:243
; %bb.198:                              ;   in Loop: Header=BB133_3 Depth=1
	s_or_b32 exec_lo, exec_lo, s6
	v_mov_b64_e32 v[40:41], 0
	s_wait_dscnt 0x0
	s_barrier_signal -1
	s_barrier_wait -1
	global_wb scope:SCOPE_DEV
	s_wait_storecnt 0x0
	global_inv scope:SCOPE_DEV
	s_and_saveexec_b32 s6, s1
	s_cbranch_execz .LBB133_202
; %bb.199:                              ;   in Loop: Header=BB133_3 Depth=1
	ds_load_b64 v[40:41], v49 offset:25984
	ds_load_b64 v[42:43], v48 offset:26512
	s_wait_dscnt 0x0
	v_fma_f64 v[40:41], v[40:41], v[42:43], 0
	s_and_saveexec_b32 s8, s11
	s_cbranch_execz .LBB133_201
; %bb.200:                              ;   in Loop: Header=BB133_3 Depth=1
	ds_load_b64 v[42:43], v50 offset:26496
	ds_load_b64 v[44:45], v7 offset:26520
	s_wait_dscnt 0x0
	v_fmac_f64_e32 v[40:41], v[42:43], v[44:45]
.LBB133_201:                            ;   in Loop: Header=BB133_3 Depth=1
	s_or_b32 exec_lo, exec_lo, s8
.LBB133_202:                            ;   in Loop: Header=BB133_3 Depth=1
	s_delay_alu instid0(SALU_CYCLE_1)
	s_or_b32 exec_lo, exec_lo, s6
	s_and_saveexec_b32 s6, s101
; %bb.203:                              ;   in Loop: Header=BB133_3 Depth=1
	s_delay_alu instid0(VALU_DEP_1) | instskip(NEXT) | instid1(VALU_DEP_2)
	v_xor_b32_e32 v43, 0x80000000, v41
	v_mov_b32_e32 v42, v40
	ds_store_b64 v5, v[42:43]
; %bb.204:                              ;   in Loop: Header=BB133_3 Depth=1
	s_or_b32 exec_lo, exec_lo, s6
	s_wait_loadcnt_dscnt 0x0
	s_barrier_signal -1
	s_barrier_wait -1
	s_and_saveexec_b32 s6, s102
	s_cbranch_execz .LBB133_206
; %bb.205:                              ;   in Loop: Header=BB133_3 Depth=1
	ds_load_b64 v[42:43], v7 offset:25472
	ds_load_b64 v[44:45], v5
	s_wait_dscnt 0x0
	v_fma_f64 v[40:41], -v[42:43], v[44:45], v[40:41]
.LBB133_206:                            ;   in Loop: Header=BB133_3 Depth=1
	s_or_b32 exec_lo, exec_lo, s6
	s_barrier_signal -1
	s_barrier_wait -1
	s_and_saveexec_b32 s6, s102
; %bb.207:                              ;   in Loop: Header=BB133_3 Depth=1
	s_delay_alu instid0(VALU_DEP_1) | instskip(NEXT) | instid1(VALU_DEP_2)
	v_xor_b32_e32 v43, 0x80000000, v41
	v_mov_b32_e32 v42, v40
	ds_store_b64 v5, v[42:43]
; %bb.208:                              ;   in Loop: Header=BB133_3 Depth=1
	s_or_b32 exec_lo, exec_lo, s6
	s_wait_dscnt 0x0
	s_barrier_signal -1
	s_barrier_wait -1
	s_barrier_signal -1
	s_barrier_wait -1
	s_and_saveexec_b32 s6, s1
; %bb.209:                              ;   in Loop: Header=BB133_3 Depth=1
	ds_store_b64 v51, v[40:41] offset:26496
; %bb.210:                              ;   in Loop: Header=BB133_3 Depth=1
	s_or_b32 exec_lo, exec_lo, s6
	s_wait_dscnt 0x0
	s_barrier_signal -1
	s_barrier_wait -1
	s_barrier_signal -1
	s_barrier_wait -1
	s_and_saveexec_b32 s6, s10
; %bb.211:                              ;   in Loop: Header=BB133_3 Depth=1
	v_add_nc_u32_e64 v40, 0x6000, 0
	ds_store_2addr_b64 v40, v[26:27], v[26:27] offset0:48 offset1:113
; %bb.212:                              ;   in Loop: Header=BB133_3 Depth=1
	s_or_b32 exec_lo, exec_lo, s6
	v_mov_b64_e32 v[40:41], 0
	s_wait_dscnt 0x0
	s_barrier_signal -1
	s_barrier_wait -1
	global_wb scope:SCOPE_DEV
	s_wait_storecnt 0x0
	global_inv scope:SCOPE_DEV
	s_and_saveexec_b32 s8, s4
	s_cbranch_execz .LBB133_240
; %bb.213:                              ;   in Loop: Header=BB133_3 Depth=1
	ds_load_b64 v[40:41], v62 offset:24832
	ds_load_b64 v[42:43], v61 offset:32640
	s_wait_dscnt 0x0
	v_fma_f64 v[40:41], v[40:41], v[42:43], 0
	s_mov_b32 s6, exec_lo
	v_readlane_b32 s9, v88, 24
	s_and_b32 s9, s6, s9
	s_delay_alu instid0(SALU_CYCLE_1)
	s_mov_b32 exec_lo, s9
	s_cbranch_execz .LBB133_215
; %bb.214:                              ;   in Loop: Header=BB133_3 Depth=1
	ds_load_b64 v[42:43], v62 offset:25344
	ds_load_b64 v[44:45], v61 offset:32648
	s_wait_dscnt 0x0
	v_fmac_f64_e32 v[40:41], v[42:43], v[44:45]
.LBB133_215:                            ;   in Loop: Header=BB133_3 Depth=1
	s_or_b32 exec_lo, exec_lo, s6
	s_delay_alu instid0(SALU_CYCLE_1) | instskip(SKIP_2) | instid1(SALU_CYCLE_1)
	s_mov_b32 s6, exec_lo
	v_readlane_b32 s9, v88, 25
	s_and_b32 s9, s6, s9
	s_mov_b32 exec_lo, s9
	s_cbranch_execz .LBB133_217
; %bb.216:                              ;   in Loop: Header=BB133_3 Depth=1
	ds_load_b64 v[42:43], v62 offset:25856
	ds_load_b64 v[44:45], v61 offset:32656
	s_wait_dscnt 0x0
	v_fmac_f64_e32 v[40:41], v[42:43], v[44:45]
.LBB133_217:                            ;   in Loop: Header=BB133_3 Depth=1
	s_or_b32 exec_lo, exec_lo, s6
	s_delay_alu instid0(SALU_CYCLE_1) | instskip(SKIP_2) | instid1(SALU_CYCLE_1)
	s_mov_b32 s6, exec_lo
	v_readlane_b32 s9, v88, 26
	s_and_b32 s9, s6, s9
	;; [unrolled: 13-line block ×10, first 2 shown]
	s_mov_b32 exec_lo, s9
	s_cbranch_execnz .LBB133_1015
; %bb.234:                              ;   in Loop: Header=BB133_3 Depth=1
	s_or_b32 exec_lo, exec_lo, s6
	s_and_saveexec_b32 s6, s3
	s_cbranch_execnz .LBB133_1016
.LBB133_235:                            ;   in Loop: Header=BB133_3 Depth=1
	s_or_b32 exec_lo, exec_lo, s6
	s_and_saveexec_b32 s6, s15
	s_cbranch_execnz .LBB133_1017
.LBB133_236:                            ;   in Loop: Header=BB133_3 Depth=1
	s_or_b32 exec_lo, exec_lo, s6
	s_and_saveexec_b32 s6, s17
	s_cbranch_execnz .LBB133_1018
.LBB133_237:                            ;   in Loop: Header=BB133_3 Depth=1
	s_or_b32 exec_lo, exec_lo, s6
	s_and_saveexec_b32 s6, s2
	s_cbranch_execz .LBB133_239
.LBB133_238:                            ;   in Loop: Header=BB133_3 Depth=1
	ds_load_b64 v[42:43], v50 offset:32512
	ds_load_b64 v[44:45], v7 offset:32760
	s_wait_dscnt 0x0
	v_fmac_f64_e32 v[40:41], v[42:43], v[44:45]
.LBB133_239:                            ;   in Loop: Header=BB133_3 Depth=1
	s_or_b32 exec_lo, exec_lo, s6
.LBB133_240:                            ;   in Loop: Header=BB133_3 Depth=1
	s_delay_alu instid0(SALU_CYCLE_1) | instskip(NEXT) | instid1(SALU_CYCLE_1)
	s_or_b32 exec_lo, exec_lo, s8
	s_mov_b32 s6, exec_lo
	v_readlane_b32 s8, v88, 2
	s_and_b32 s8, s6, s8
	s_delay_alu instid0(SALU_CYCLE_1)
	s_mov_b32 exec_lo, s8
; %bb.241:                              ;   in Loop: Header=BB133_3 Depth=1
	v_xor_b32_e32 v43, 0x80000000, v41
	v_mov_b32_e32 v42, v40
	ds_store_b64 v60, v[42:43]
; %bb.242:                              ;   in Loop: Header=BB133_3 Depth=1
	s_or_b32 exec_lo, exec_lo, s6
	s_wait_loadcnt_dscnt 0x0
	s_barrier_signal -1
	s_barrier_wait -1
	s_mov_b32 s6, exec_lo
	v_readlane_b32 s8, v88, 3
	s_and_b32 s8, s6, s8
	s_delay_alu instid0(SALU_CYCLE_1)
	s_mov_b32 exec_lo, s8
	s_cbranch_execz .LBB133_244
; %bb.243:                              ;   in Loop: Header=BB133_3 Depth=1
	ds_load_b64 v[42:43], v62 offset:24320
	ds_load_b64 v[44:45], v60
	s_wait_dscnt 0x0
	v_fma_f64 v[40:41], -v[42:43], v[44:45], v[40:41]
.LBB133_244:                            ;   in Loop: Header=BB133_3 Depth=1
	s_or_b32 exec_lo, exec_lo, s6
	s_barrier_signal -1
	s_barrier_wait -1
	s_mov_b32 s6, exec_lo
	v_readlane_b32 s8, v88, 4
	s_and_b32 s8, s6, s8
	s_delay_alu instid0(SALU_CYCLE_1)
	s_mov_b32 exec_lo, s8
; %bb.245:                              ;   in Loop: Header=BB133_3 Depth=1
	v_xor_b32_e32 v43, 0x80000000, v41
	v_mov_b32_e32 v42, v40
	ds_store_b64 v60, v[42:43]
; %bb.246:                              ;   in Loop: Header=BB133_3 Depth=1
	s_or_b32 exec_lo, exec_lo, s6
	s_wait_dscnt 0x0
	s_barrier_signal -1
	s_barrier_wait -1
	s_mov_b32 s6, exec_lo
	v_readlane_b32 s8, v88, 5
	s_and_b32 s8, s6, s8
	s_delay_alu instid0(SALU_CYCLE_1)
	s_mov_b32 exec_lo, s8
	s_cbranch_execz .LBB133_248
; %bb.247:                              ;   in Loop: Header=BB133_3 Depth=1
	ds_load_b64 v[42:43], v62 offset:23808
	ds_load_b64 v[44:45], v60
	s_wait_dscnt 0x0
	v_fma_f64 v[40:41], -v[42:43], v[44:45], v[40:41]
.LBB133_248:                            ;   in Loop: Header=BB133_3 Depth=1
	s_or_b32 exec_lo, exec_lo, s6
	s_barrier_signal -1
	s_barrier_wait -1
	s_mov_b32 s6, exec_lo
	v_readlane_b32 s8, v88, 6
	s_and_b32 s8, s6, s8
	s_delay_alu instid0(SALU_CYCLE_1)
	s_mov_b32 exec_lo, s8
; %bb.249:                              ;   in Loop: Header=BB133_3 Depth=1
	v_xor_b32_e32 v43, 0x80000000, v41
	v_mov_b32_e32 v42, v40
	ds_store_b64 v60, v[42:43]
; %bb.250:                              ;   in Loop: Header=BB133_3 Depth=1
	s_or_b32 exec_lo, exec_lo, s6
	s_wait_dscnt 0x0
	s_barrier_signal -1
	s_barrier_wait -1
	s_mov_b32 s6, exec_lo
	v_readlane_b32 s8, v88, 7
	s_and_b32 s8, s6, s8
	s_delay_alu instid0(SALU_CYCLE_1)
	s_mov_b32 exec_lo, s8
	s_cbranch_execz .LBB133_252
; %bb.251:                              ;   in Loop: Header=BB133_3 Depth=1
	ds_load_b64 v[42:43], v62 offset:23296
	ds_load_b64 v[44:45], v60
	s_wait_dscnt 0x0
	v_fma_f64 v[40:41], -v[42:43], v[44:45], v[40:41]
.LBB133_252:                            ;   in Loop: Header=BB133_3 Depth=1
	s_or_b32 exec_lo, exec_lo, s6
	s_barrier_signal -1
	s_barrier_wait -1
	s_mov_b32 s6, exec_lo
	v_readlane_b32 s8, v88, 8
	s_and_b32 s8, s6, s8
	s_delay_alu instid0(SALU_CYCLE_1)
	s_mov_b32 exec_lo, s8
; %bb.253:                              ;   in Loop: Header=BB133_3 Depth=1
	v_xor_b32_e32 v43, 0x80000000, v41
	v_mov_b32_e32 v42, v40
	ds_store_b64 v60, v[42:43]
; %bb.254:                              ;   in Loop: Header=BB133_3 Depth=1
	s_or_b32 exec_lo, exec_lo, s6
	s_wait_dscnt 0x0
	s_barrier_signal -1
	s_barrier_wait -1
	s_mov_b32 s6, exec_lo
	v_readlane_b32 s8, v88, 9
	s_and_b32 s8, s6, s8
	s_delay_alu instid0(SALU_CYCLE_1)
	s_mov_b32 exec_lo, s8
	s_cbranch_execz .LBB133_256
; %bb.255:                              ;   in Loop: Header=BB133_3 Depth=1
	ds_load_b64 v[42:43], v62 offset:22784
	ds_load_b64 v[44:45], v60
	s_wait_dscnt 0x0
	v_fma_f64 v[40:41], -v[42:43], v[44:45], v[40:41]
.LBB133_256:                            ;   in Loop: Header=BB133_3 Depth=1
	s_or_b32 exec_lo, exec_lo, s6
	s_barrier_signal -1
	s_barrier_wait -1
	s_mov_b32 s6, exec_lo
	v_readlane_b32 s8, v88, 10
	s_and_b32 s8, s6, s8
	s_delay_alu instid0(SALU_CYCLE_1)
	s_mov_b32 exec_lo, s8
; %bb.257:                              ;   in Loop: Header=BB133_3 Depth=1
	v_xor_b32_e32 v43, 0x80000000, v41
	v_mov_b32_e32 v42, v40
	ds_store_b64 v60, v[42:43]
; %bb.258:                              ;   in Loop: Header=BB133_3 Depth=1
	s_or_b32 exec_lo, exec_lo, s6
	s_wait_dscnt 0x0
	s_barrier_signal -1
	s_barrier_wait -1
	s_and_saveexec_b32 s6, s25
	s_cbranch_execz .LBB133_260
; %bb.259:                              ;   in Loop: Header=BB133_3 Depth=1
	ds_load_b64 v[42:43], v62 offset:22272
	ds_load_b64 v[44:45], v60
	s_wait_dscnt 0x0
	v_fma_f64 v[40:41], -v[42:43], v[44:45], v[40:41]
.LBB133_260:                            ;   in Loop: Header=BB133_3 Depth=1
	s_or_b32 exec_lo, exec_lo, s6
	s_barrier_signal -1
	s_barrier_wait -1
	s_and_saveexec_b32 s6, s27
; %bb.261:                              ;   in Loop: Header=BB133_3 Depth=1
	s_delay_alu instid0(VALU_DEP_1) | instskip(NEXT) | instid1(VALU_DEP_2)
	v_xor_b32_e32 v43, 0x80000000, v41
	v_mov_b32_e32 v42, v40
	ds_store_b64 v60, v[42:43]
; %bb.262:                              ;   in Loop: Header=BB133_3 Depth=1
	s_or_b32 exec_lo, exec_lo, s6
	s_wait_dscnt 0x0
	s_barrier_signal -1
	s_barrier_wait -1
	s_and_saveexec_b32 s6, s29
	s_cbranch_execz .LBB133_264
; %bb.263:                              ;   in Loop: Header=BB133_3 Depth=1
	ds_load_b64 v[42:43], v62 offset:21760
	ds_load_b64 v[44:45], v60
	s_wait_dscnt 0x0
	v_fma_f64 v[40:41], -v[42:43], v[44:45], v[40:41]
.LBB133_264:                            ;   in Loop: Header=BB133_3 Depth=1
	s_or_b32 exec_lo, exec_lo, s6
	s_barrier_signal -1
	s_barrier_wait -1
	s_and_saveexec_b32 s6, s57
; %bb.265:                              ;   in Loop: Header=BB133_3 Depth=1
	s_delay_alu instid0(VALU_DEP_1) | instskip(NEXT) | instid1(VALU_DEP_2)
	v_xor_b32_e32 v43, 0x80000000, v41
	v_mov_b32_e32 v42, v40
	ds_store_b64 v60, v[42:43]
; %bb.266:                              ;   in Loop: Header=BB133_3 Depth=1
	s_or_b32 exec_lo, exec_lo, s6
	s_wait_dscnt 0x0
	;; [unrolled: 22-line block ×11, first 2 shown]
	s_barrier_signal -1
	s_barrier_wait -1
	s_barrier_signal -1
	s_barrier_wait -1
	s_and_saveexec_b32 s6, s4
; %bb.303:                              ;   in Loop: Header=BB133_3 Depth=1
	ds_store_b64 v63, v[40:41] offset:32512
; %bb.304:                              ;   in Loop: Header=BB133_3 Depth=1
	s_or_b32 exec_lo, exec_lo, s6
	s_wait_dscnt 0x0
	s_barrier_signal -1
	s_barrier_wait -1
	s_barrier_signal -1
	s_barrier_wait -1
	s_and_saveexec_b32 s6, s10
; %bb.305:                              ;   in Loop: Header=BB133_3 Depth=1
	v_add_nc_u32_e64 v40, 0x5800, 0
	ds_store_2addr_b64 v40, v[26:27], v[26:27] offset0:174 offset1:239
; %bb.306:                              ;   in Loop: Header=BB133_3 Depth=1
	s_or_b32 exec_lo, exec_lo, s6
	v_mov_b64_e32 v[40:41], 0
	s_wait_dscnt 0x0
	s_barrier_signal -1
	s_barrier_wait -1
	global_wb scope:SCOPE_DEV
	s_wait_storecnt 0x0
	global_inv scope:SCOPE_DEV
	s_and_saveexec_b32 s6, s1
	s_cbranch_execz .LBB133_310
; %bb.307:                              ;   in Loop: Header=BB133_3 Depth=1
	ds_load_b64 v[40:41], v49 offset:23904
	ds_load_b64 v[42:43], v48 offset:24432
	s_wait_dscnt 0x0
	v_fma_f64 v[40:41], v[40:41], v[42:43], 0
	s_and_saveexec_b32 s8, s11
	s_cbranch_execz .LBB133_309
; %bb.308:                              ;   in Loop: Header=BB133_3 Depth=1
	ds_load_b64 v[42:43], v50 offset:24416
	ds_load_b64 v[44:45], v7 offset:24440
	s_wait_dscnt 0x0
	v_fmac_f64_e32 v[40:41], v[42:43], v[44:45]
.LBB133_309:                            ;   in Loop: Header=BB133_3 Depth=1
	s_or_b32 exec_lo, exec_lo, s8
.LBB133_310:                            ;   in Loop: Header=BB133_3 Depth=1
	s_delay_alu instid0(SALU_CYCLE_1)
	s_or_b32 exec_lo, exec_lo, s6
	s_and_saveexec_b32 s6, s101
; %bb.311:                              ;   in Loop: Header=BB133_3 Depth=1
	s_delay_alu instid0(VALU_DEP_1) | instskip(NEXT) | instid1(VALU_DEP_2)
	v_xor_b32_e32 v43, 0x80000000, v41
	v_mov_b32_e32 v42, v40
	ds_store_b64 v5, v[42:43]
; %bb.312:                              ;   in Loop: Header=BB133_3 Depth=1
	s_or_b32 exec_lo, exec_lo, s6
	s_wait_loadcnt_dscnt 0x0
	s_barrier_signal -1
	s_barrier_wait -1
	s_and_saveexec_b32 s6, s102
	s_cbranch_execz .LBB133_314
; %bb.313:                              ;   in Loop: Header=BB133_3 Depth=1
	ds_load_b64 v[42:43], v7 offset:23392
	ds_load_b64 v[44:45], v5
	s_wait_dscnt 0x0
	v_fma_f64 v[40:41], -v[42:43], v[44:45], v[40:41]
.LBB133_314:                            ;   in Loop: Header=BB133_3 Depth=1
	s_or_b32 exec_lo, exec_lo, s6
	s_barrier_signal -1
	s_barrier_wait -1
	s_and_saveexec_b32 s6, s102
; %bb.315:                              ;   in Loop: Header=BB133_3 Depth=1
	s_delay_alu instid0(VALU_DEP_1) | instskip(NEXT) | instid1(VALU_DEP_2)
	v_xor_b32_e32 v43, 0x80000000, v41
	v_mov_b32_e32 v42, v40
	ds_store_b64 v5, v[42:43]
; %bb.316:                              ;   in Loop: Header=BB133_3 Depth=1
	s_or_b32 exec_lo, exec_lo, s6
	s_wait_dscnt 0x0
	s_barrier_signal -1
	s_barrier_wait -1
	s_barrier_signal -1
	s_barrier_wait -1
	s_and_saveexec_b32 s6, s1
; %bb.317:                              ;   in Loop: Header=BB133_3 Depth=1
	ds_store_b64 v51, v[40:41] offset:24416
; %bb.318:                              ;   in Loop: Header=BB133_3 Depth=1
	s_or_b32 exec_lo, exec_lo, s6
	s_wait_dscnt 0x0
	s_barrier_signal -1
	s_barrier_wait -1
	s_barrier_signal -1
	s_barrier_wait -1
	s_and_saveexec_b32 s6, s10
; %bb.319:                              ;   in Loop: Header=BB133_3 Depth=1
	v_add_nc_u32_e64 v40, 0x5800, 0
	ds_store_2addr_b64 v40, v[26:27], v[26:27] offset0:44 offset1:109
; %bb.320:                              ;   in Loop: Header=BB133_3 Depth=1
	s_or_b32 exec_lo, exec_lo, s6
	v_mov_b64_e32 v[40:41], 0
	s_wait_dscnt 0x0
	s_barrier_signal -1
	s_barrier_wait -1
	global_wb scope:SCOPE_DEV
	s_wait_storecnt 0x0
	global_inv scope:SCOPE_DEV
	s_and_saveexec_b32 s8, s2
	s_cbranch_execz .LBB133_326
; %bb.321:                              ;   in Loop: Header=BB133_3 Depth=1
	ds_load_b64 v[40:41], v54 offset:22848
	ds_load_b64 v[42:43], v53 offset:24416
	s_wait_dscnt 0x0
	v_fma_f64 v[40:41], v[40:41], v[42:43], 0
	s_and_saveexec_b32 s6, s12
	s_cbranch_execnz .LBB133_1019
; %bb.322:                              ;   in Loop: Header=BB133_3 Depth=1
	s_or_b32 exec_lo, exec_lo, s6
	s_and_saveexec_b32 s6, s13
	s_cbranch_execnz .LBB133_1020
.LBB133_323:                            ;   in Loop: Header=BB133_3 Depth=1
	s_or_b32 exec_lo, exec_lo, s6
	s_and_saveexec_b32 s6, s1
	s_cbranch_execz .LBB133_325
.LBB133_324:                            ;   in Loop: Header=BB133_3 Depth=1
	ds_load_b64 v[42:43], v50 offset:24384
	ds_load_b64 v[44:45], v7 offset:24440
	s_wait_dscnt 0x0
	v_fmac_f64_e32 v[40:41], v[42:43], v[44:45]
.LBB133_325:                            ;   in Loop: Header=BB133_3 Depth=1
	s_or_b32 exec_lo, exec_lo, s6
.LBB133_326:                            ;   in Loop: Header=BB133_3 Depth=1
	s_delay_alu instid0(SALU_CYCLE_1)
	s_or_b32 exec_lo, exec_lo, s8
	s_and_saveexec_b32 s6, s103
; %bb.327:                              ;   in Loop: Header=BB133_3 Depth=1
	s_delay_alu instid0(VALU_DEP_1) | instskip(NEXT) | instid1(VALU_DEP_2)
	v_xor_b32_e32 v43, 0x80000000, v41
	v_mov_b32_e32 v42, v40
	ds_store_b64 v52, v[42:43]
; %bb.328:                              ;   in Loop: Header=BB133_3 Depth=1
	s_or_b32 exec_lo, exec_lo, s6
	s_wait_loadcnt_dscnt 0x0
	s_barrier_signal -1
	s_barrier_wait -1
	s_and_saveexec_b32 s6, s104
	s_cbranch_execz .LBB133_330
; %bb.329:                              ;   in Loop: Header=BB133_3 Depth=1
	ds_load_b64 v[42:43], v54 offset:22336
	ds_load_b64 v[44:45], v52
	s_wait_dscnt 0x0
	v_fma_f64 v[40:41], -v[42:43], v[44:45], v[40:41]
.LBB133_330:                            ;   in Loop: Header=BB133_3 Depth=1
	s_or_b32 exec_lo, exec_lo, s6
	s_barrier_signal -1
	s_barrier_wait -1
	s_and_saveexec_b32 s6, vcc_hi
; %bb.331:                              ;   in Loop: Header=BB133_3 Depth=1
	s_delay_alu instid0(VALU_DEP_1) | instskip(NEXT) | instid1(VALU_DEP_2)
	v_xor_b32_e32 v43, 0x80000000, v41
	v_mov_b32_e32 v42, v40
	ds_store_b64 v52, v[42:43]
; %bb.332:                              ;   in Loop: Header=BB133_3 Depth=1
	s_or_b32 exec_lo, exec_lo, s6
	s_wait_dscnt 0x0
	s_barrier_signal -1
	s_barrier_wait -1
	s_and_saveexec_b32 s6, s31
	s_cbranch_execz .LBB133_334
; %bb.333:                              ;   in Loop: Header=BB133_3 Depth=1
	ds_load_b64 v[42:43], v54 offset:21824
	ds_load_b64 v[44:45], v52
	s_wait_dscnt 0x0
	v_fma_f64 v[40:41], -v[42:43], v[44:45], v[40:41]
.LBB133_334:                            ;   in Loop: Header=BB133_3 Depth=1
	s_or_b32 exec_lo, exec_lo, s6
	s_barrier_signal -1
	s_barrier_wait -1
	s_and_saveexec_b32 s6, s33
; %bb.335:                              ;   in Loop: Header=BB133_3 Depth=1
	s_delay_alu instid0(VALU_DEP_1) | instskip(NEXT) | instid1(VALU_DEP_2)
	v_xor_b32_e32 v43, 0x80000000, v41
	v_mov_b32_e32 v42, v40
	ds_store_b64 v52, v[42:43]
; %bb.336:                              ;   in Loop: Header=BB133_3 Depth=1
	s_or_b32 exec_lo, exec_lo, s6
	s_wait_dscnt 0x0
	s_barrier_signal -1
	s_barrier_wait -1
	s_and_saveexec_b32 s6, s34
	s_cbranch_execz .LBB133_338
; %bb.337:                              ;   in Loop: Header=BB133_3 Depth=1
	ds_load_b64 v[42:43], v7 offset:21312
	ds_load_b64 v[44:45], v52
	s_wait_dscnt 0x0
	v_fma_f64 v[40:41], -v[42:43], v[44:45], v[40:41]
.LBB133_338:                            ;   in Loop: Header=BB133_3 Depth=1
	s_or_b32 exec_lo, exec_lo, s6
	s_barrier_signal -1
	s_barrier_wait -1
	s_and_saveexec_b32 s6, s34
; %bb.339:                              ;   in Loop: Header=BB133_3 Depth=1
	s_delay_alu instid0(VALU_DEP_1) | instskip(NEXT) | instid1(VALU_DEP_2)
	v_xor_b32_e32 v43, 0x80000000, v41
	v_mov_b32_e32 v42, v40
	ds_store_b64 v52, v[42:43]
; %bb.340:                              ;   in Loop: Header=BB133_3 Depth=1
	s_or_b32 exec_lo, exec_lo, s6
	s_wait_dscnt 0x0
	s_barrier_signal -1
	s_barrier_wait -1
	s_barrier_signal -1
	s_barrier_wait -1
	s_and_saveexec_b32 s6, s2
; %bb.341:                              ;   in Loop: Header=BB133_3 Depth=1
	ds_store_b64 v55, v[40:41] offset:24384
; %bb.342:                              ;   in Loop: Header=BB133_3 Depth=1
	s_or_b32 exec_lo, exec_lo, s6
	s_wait_dscnt 0x0
	s_barrier_signal -1
	s_barrier_wait -1
	s_barrier_signal -1
	s_barrier_wait -1
	s_and_saveexec_b32 s6, s10
; %bb.343:                              ;   in Loop: Header=BB133_3 Depth=1
	v_add_nc_u32_e64 v40, 0x5000, 0
	ds_store_2addr_b64 v40, v[26:27], v[26:27] offset0:170 offset1:235
; %bb.344:                              ;   in Loop: Header=BB133_3 Depth=1
	s_or_b32 exec_lo, exec_lo, s6
	v_mov_b64_e32 v[40:41], 0
	s_wait_dscnt 0x0
	s_barrier_signal -1
	s_barrier_wait -1
	global_wb scope:SCOPE_DEV
	s_wait_storecnt 0x0
	global_inv scope:SCOPE_DEV
	s_and_saveexec_b32 s6, s1
	s_cbranch_execz .LBB133_348
; %bb.345:                              ;   in Loop: Header=BB133_3 Depth=1
	ds_load_b64 v[40:41], v49 offset:21824
	ds_load_b64 v[42:43], v48 offset:22352
	s_wait_dscnt 0x0
	v_fma_f64 v[40:41], v[40:41], v[42:43], 0
	s_and_saveexec_b32 s8, s11
	s_cbranch_execz .LBB133_347
; %bb.346:                              ;   in Loop: Header=BB133_3 Depth=1
	ds_load_b64 v[42:43], v50 offset:22336
	ds_load_b64 v[44:45], v7 offset:22360
	s_wait_dscnt 0x0
	v_fmac_f64_e32 v[40:41], v[42:43], v[44:45]
.LBB133_347:                            ;   in Loop: Header=BB133_3 Depth=1
	s_or_b32 exec_lo, exec_lo, s8
.LBB133_348:                            ;   in Loop: Header=BB133_3 Depth=1
	s_delay_alu instid0(SALU_CYCLE_1)
	s_or_b32 exec_lo, exec_lo, s6
	s_and_saveexec_b32 s6, s101
; %bb.349:                              ;   in Loop: Header=BB133_3 Depth=1
	s_delay_alu instid0(VALU_DEP_1) | instskip(NEXT) | instid1(VALU_DEP_2)
	v_xor_b32_e32 v43, 0x80000000, v41
	v_mov_b32_e32 v42, v40
	ds_store_b64 v5, v[42:43]
; %bb.350:                              ;   in Loop: Header=BB133_3 Depth=1
	s_or_b32 exec_lo, exec_lo, s6
	s_wait_loadcnt_dscnt 0x0
	s_barrier_signal -1
	s_barrier_wait -1
	s_and_saveexec_b32 s6, s102
	s_cbranch_execz .LBB133_352
; %bb.351:                              ;   in Loop: Header=BB133_3 Depth=1
	ds_load_b64 v[42:43], v7 offset:21312
	ds_load_b64 v[44:45], v5
	s_wait_dscnt 0x0
	v_fma_f64 v[40:41], -v[42:43], v[44:45], v[40:41]
.LBB133_352:                            ;   in Loop: Header=BB133_3 Depth=1
	s_or_b32 exec_lo, exec_lo, s6
	s_barrier_signal -1
	s_barrier_wait -1
	s_and_saveexec_b32 s6, s102
; %bb.353:                              ;   in Loop: Header=BB133_3 Depth=1
	s_delay_alu instid0(VALU_DEP_1) | instskip(NEXT) | instid1(VALU_DEP_2)
	v_xor_b32_e32 v43, 0x80000000, v41
	v_mov_b32_e32 v42, v40
	ds_store_b64 v5, v[42:43]
; %bb.354:                              ;   in Loop: Header=BB133_3 Depth=1
	s_or_b32 exec_lo, exec_lo, s6
	s_wait_dscnt 0x0
	s_barrier_signal -1
	s_barrier_wait -1
	s_barrier_signal -1
	s_barrier_wait -1
	s_and_saveexec_b32 s6, s1
; %bb.355:                              ;   in Loop: Header=BB133_3 Depth=1
	ds_store_b64 v51, v[40:41] offset:22336
; %bb.356:                              ;   in Loop: Header=BB133_3 Depth=1
	s_or_b32 exec_lo, exec_lo, s6
	s_wait_dscnt 0x0
	s_barrier_signal -1
	s_barrier_wait -1
	s_barrier_signal -1
	s_barrier_wait -1
	s_and_saveexec_b32 s6, s10
; %bb.357:                              ;   in Loop: Header=BB133_3 Depth=1
	v_add_nc_u32_e64 v40, 0x5000, 0
	ds_store_2addr_b64 v40, v[26:27], v[26:27] offset0:40 offset1:105
; %bb.358:                              ;   in Loop: Header=BB133_3 Depth=1
	s_or_b32 exec_lo, exec_lo, s6
	v_mov_b64_e32 v[40:41], 0
	s_wait_dscnt 0x0
	s_barrier_signal -1
	s_barrier_wait -1
	global_wb scope:SCOPE_DEV
	s_wait_storecnt 0x0
	global_inv scope:SCOPE_DEV
	s_and_saveexec_b32 s8, s3
	s_cbranch_execz .LBB133_368
; %bb.359:                              ;   in Loop: Header=BB133_3 Depth=1
	ds_load_b64 v[40:41], v58 offset:20736
	ds_load_b64 v[42:43], v57 offset:24384
	s_wait_dscnt 0x0
	v_fma_f64 v[40:41], v[40:41], v[42:43], 0
	s_and_saveexec_b32 s6, s14
	s_cbranch_execnz .LBB133_1021
; %bb.360:                              ;   in Loop: Header=BB133_3 Depth=1
	s_or_b32 exec_lo, exec_lo, s6
	s_and_saveexec_b32 s6, s15
	s_cbranch_execnz .LBB133_1022
.LBB133_361:                            ;   in Loop: Header=BB133_3 Depth=1
	s_or_b32 exec_lo, exec_lo, s6
	s_and_saveexec_b32 s6, s16
	s_cbranch_execnz .LBB133_1023
.LBB133_362:                            ;   in Loop: Header=BB133_3 Depth=1
	s_or_b32 exec_lo, exec_lo, s6
	s_and_saveexec_b32 s6, s17
	s_cbranch_execnz .LBB133_1024
.LBB133_363:                            ;   in Loop: Header=BB133_3 Depth=1
	s_or_b32 exec_lo, exec_lo, s6
	s_and_saveexec_b32 s6, s18
	s_cbranch_execnz .LBB133_1025
.LBB133_364:                            ;   in Loop: Header=BB133_3 Depth=1
	s_or_b32 exec_lo, exec_lo, s6
	s_and_saveexec_b32 s6, s2
	s_cbranch_execnz .LBB133_1026
.LBB133_365:                            ;   in Loop: Header=BB133_3 Depth=1
	s_or_b32 exec_lo, exec_lo, s6
	s_and_saveexec_b32 s6, s13
	s_cbranch_execz .LBB133_367
.LBB133_366:                            ;   in Loop: Header=BB133_3 Depth=1
	ds_load_b64 v[42:43], v50 offset:24320
	ds_load_b64 v[44:45], v7 offset:24440
	s_wait_dscnt 0x0
	v_fmac_f64_e32 v[40:41], v[42:43], v[44:45]
.LBB133_367:                            ;   in Loop: Header=BB133_3 Depth=1
	s_or_b32 exec_lo, exec_lo, s6
.LBB133_368:                            ;   in Loop: Header=BB133_3 Depth=1
	s_delay_alu instid0(SALU_CYCLE_1)
	s_or_b32 exec_lo, exec_lo, s8
	s_and_saveexec_b32 s6, s35
; %bb.369:                              ;   in Loop: Header=BB133_3 Depth=1
	s_delay_alu instid0(VALU_DEP_1) | instskip(NEXT) | instid1(VALU_DEP_2)
	v_xor_b32_e32 v43, 0x80000000, v41
	v_mov_b32_e32 v42, v40
	ds_store_b64 v56, v[42:43]
; %bb.370:                              ;   in Loop: Header=BB133_3 Depth=1
	s_or_b32 exec_lo, exec_lo, s6
	s_wait_loadcnt_dscnt 0x0
	s_barrier_signal -1
	s_barrier_wait -1
	s_and_saveexec_b32 s6, s36
	s_cbranch_execz .LBB133_372
; %bb.371:                              ;   in Loop: Header=BB133_3 Depth=1
	ds_load_b64 v[42:43], v58 offset:20224
	ds_load_b64 v[44:45], v56
	s_wait_dscnt 0x0
	v_fma_f64 v[40:41], -v[42:43], v[44:45], v[40:41]
.LBB133_372:                            ;   in Loop: Header=BB133_3 Depth=1
	s_or_b32 exec_lo, exec_lo, s6
	s_barrier_signal -1
	s_barrier_wait -1
	s_and_saveexec_b32 s6, s37
; %bb.373:                              ;   in Loop: Header=BB133_3 Depth=1
	s_delay_alu instid0(VALU_DEP_1) | instskip(NEXT) | instid1(VALU_DEP_2)
	v_xor_b32_e32 v43, 0x80000000, v41
	v_mov_b32_e32 v42, v40
	ds_store_b64 v56, v[42:43]
; %bb.374:                              ;   in Loop: Header=BB133_3 Depth=1
	s_or_b32 exec_lo, exec_lo, s6
	s_wait_dscnt 0x0
	s_barrier_signal -1
	s_barrier_wait -1
	s_and_saveexec_b32 s6, s38
	s_cbranch_execz .LBB133_376
; %bb.375:                              ;   in Loop: Header=BB133_3 Depth=1
	ds_load_b64 v[42:43], v58 offset:19712
	ds_load_b64 v[44:45], v56
	s_wait_dscnt 0x0
	v_fma_f64 v[40:41], -v[42:43], v[44:45], v[40:41]
.LBB133_376:                            ;   in Loop: Header=BB133_3 Depth=1
	s_or_b32 exec_lo, exec_lo, s6
	s_barrier_signal -1
	s_barrier_wait -1
	s_and_saveexec_b32 s6, s39
; %bb.377:                              ;   in Loop: Header=BB133_3 Depth=1
	s_delay_alu instid0(VALU_DEP_1) | instskip(NEXT) | instid1(VALU_DEP_2)
	v_xor_b32_e32 v43, 0x80000000, v41
	v_mov_b32_e32 v42, v40
	ds_store_b64 v56, v[42:43]
; %bb.378:                              ;   in Loop: Header=BB133_3 Depth=1
	s_or_b32 exec_lo, exec_lo, s6
	s_wait_dscnt 0x0
	;; [unrolled: 22-line block ×7, first 2 shown]
	s_barrier_signal -1
	s_barrier_wait -1
	s_barrier_signal -1
	s_barrier_wait -1
	s_and_saveexec_b32 s6, s3
; %bb.399:                              ;   in Loop: Header=BB133_3 Depth=1
	ds_store_b64 v59, v[40:41] offset:24320
; %bb.400:                              ;   in Loop: Header=BB133_3 Depth=1
	s_or_b32 exec_lo, exec_lo, s6
	s_wait_dscnt 0x0
	s_barrier_signal -1
	s_barrier_wait -1
	s_barrier_signal -1
	s_barrier_wait -1
	s_and_saveexec_b32 s6, s10
; %bb.401:                              ;   in Loop: Header=BB133_3 Depth=1
	v_add_nc_u32_e64 v40, 0x4800, 0
	ds_store_2addr_b64 v40, v[26:27], v[26:27] offset0:166 offset1:231
; %bb.402:                              ;   in Loop: Header=BB133_3 Depth=1
	s_or_b32 exec_lo, exec_lo, s6
	v_mov_b64_e32 v[40:41], 0
	s_wait_dscnt 0x0
	s_barrier_signal -1
	s_barrier_wait -1
	global_wb scope:SCOPE_DEV
	s_wait_storecnt 0x0
	global_inv scope:SCOPE_DEV
	s_and_saveexec_b32 s6, s1
	s_cbranch_execz .LBB133_406
; %bb.403:                              ;   in Loop: Header=BB133_3 Depth=1
	ds_load_b64 v[40:41], v49 offset:19744
	ds_load_b64 v[42:43], v48 offset:20272
	s_wait_dscnt 0x0
	v_fma_f64 v[40:41], v[40:41], v[42:43], 0
	s_and_saveexec_b32 s8, s11
	s_cbranch_execz .LBB133_405
; %bb.404:                              ;   in Loop: Header=BB133_3 Depth=1
	ds_load_b64 v[42:43], v50 offset:20256
	ds_load_b64 v[44:45], v7 offset:20280
	s_wait_dscnt 0x0
	v_fmac_f64_e32 v[40:41], v[42:43], v[44:45]
.LBB133_405:                            ;   in Loop: Header=BB133_3 Depth=1
	s_or_b32 exec_lo, exec_lo, s8
.LBB133_406:                            ;   in Loop: Header=BB133_3 Depth=1
	s_delay_alu instid0(SALU_CYCLE_1)
	s_or_b32 exec_lo, exec_lo, s6
	s_and_saveexec_b32 s6, s101
; %bb.407:                              ;   in Loop: Header=BB133_3 Depth=1
	s_delay_alu instid0(VALU_DEP_1) | instskip(NEXT) | instid1(VALU_DEP_2)
	v_xor_b32_e32 v43, 0x80000000, v41
	v_mov_b32_e32 v42, v40
	ds_store_b64 v5, v[42:43]
; %bb.408:                              ;   in Loop: Header=BB133_3 Depth=1
	s_or_b32 exec_lo, exec_lo, s6
	s_wait_loadcnt_dscnt 0x0
	s_barrier_signal -1
	s_barrier_wait -1
	s_and_saveexec_b32 s6, s102
	s_cbranch_execz .LBB133_410
; %bb.409:                              ;   in Loop: Header=BB133_3 Depth=1
	ds_load_b64 v[42:43], v7 offset:19232
	ds_load_b64 v[44:45], v5
	s_wait_dscnt 0x0
	v_fma_f64 v[40:41], -v[42:43], v[44:45], v[40:41]
.LBB133_410:                            ;   in Loop: Header=BB133_3 Depth=1
	s_or_b32 exec_lo, exec_lo, s6
	s_barrier_signal -1
	s_barrier_wait -1
	s_and_saveexec_b32 s6, s102
; %bb.411:                              ;   in Loop: Header=BB133_3 Depth=1
	s_delay_alu instid0(VALU_DEP_1) | instskip(NEXT) | instid1(VALU_DEP_2)
	v_xor_b32_e32 v43, 0x80000000, v41
	v_mov_b32_e32 v42, v40
	ds_store_b64 v5, v[42:43]
; %bb.412:                              ;   in Loop: Header=BB133_3 Depth=1
	s_or_b32 exec_lo, exec_lo, s6
	s_wait_dscnt 0x0
	s_barrier_signal -1
	s_barrier_wait -1
	s_barrier_signal -1
	s_barrier_wait -1
	s_and_saveexec_b32 s6, s1
; %bb.413:                              ;   in Loop: Header=BB133_3 Depth=1
	ds_store_b64 v51, v[40:41] offset:20256
; %bb.414:                              ;   in Loop: Header=BB133_3 Depth=1
	s_or_b32 exec_lo, exec_lo, s6
	s_wait_dscnt 0x0
	s_barrier_signal -1
	s_barrier_wait -1
	s_barrier_signal -1
	s_barrier_wait -1
	s_and_saveexec_b32 s6, s10
; %bb.415:                              ;   in Loop: Header=BB133_3 Depth=1
	v_add_nc_u32_e64 v40, 0x4800, 0
	ds_store_2addr_b64 v40, v[26:27], v[26:27] offset0:36 offset1:101
; %bb.416:                              ;   in Loop: Header=BB133_3 Depth=1
	s_or_b32 exec_lo, exec_lo, s6
	v_mov_b64_e32 v[40:41], 0
	s_wait_dscnt 0x0
	s_barrier_signal -1
	s_barrier_wait -1
	global_wb scope:SCOPE_DEV
	s_wait_storecnt 0x0
	global_inv scope:SCOPE_DEV
	s_and_saveexec_b32 s8, s2
	s_cbranch_execz .LBB133_422
; %bb.417:                              ;   in Loop: Header=BB133_3 Depth=1
	ds_load_b64 v[40:41], v54 offset:18688
	ds_load_b64 v[42:43], v53 offset:20256
	s_wait_dscnt 0x0
	v_fma_f64 v[40:41], v[40:41], v[42:43], 0
	s_and_saveexec_b32 s6, s12
	s_cbranch_execnz .LBB133_1027
; %bb.418:                              ;   in Loop: Header=BB133_3 Depth=1
	s_or_b32 exec_lo, exec_lo, s6
	s_and_saveexec_b32 s6, s13
	s_cbranch_execnz .LBB133_1028
.LBB133_419:                            ;   in Loop: Header=BB133_3 Depth=1
	s_or_b32 exec_lo, exec_lo, s6
	s_and_saveexec_b32 s6, s1
	s_cbranch_execz .LBB133_421
.LBB133_420:                            ;   in Loop: Header=BB133_3 Depth=1
	ds_load_b64 v[42:43], v50 offset:20224
	ds_load_b64 v[44:45], v7 offset:20280
	s_wait_dscnt 0x0
	v_fmac_f64_e32 v[40:41], v[42:43], v[44:45]
.LBB133_421:                            ;   in Loop: Header=BB133_3 Depth=1
	s_or_b32 exec_lo, exec_lo, s6
.LBB133_422:                            ;   in Loop: Header=BB133_3 Depth=1
	s_delay_alu instid0(SALU_CYCLE_1)
	s_or_b32 exec_lo, exec_lo, s8
	s_and_saveexec_b32 s6, s103
; %bb.423:                              ;   in Loop: Header=BB133_3 Depth=1
	s_delay_alu instid0(VALU_DEP_1) | instskip(NEXT) | instid1(VALU_DEP_2)
	v_xor_b32_e32 v43, 0x80000000, v41
	v_mov_b32_e32 v42, v40
	ds_store_b64 v52, v[42:43]
; %bb.424:                              ;   in Loop: Header=BB133_3 Depth=1
	s_or_b32 exec_lo, exec_lo, s6
	s_wait_loadcnt_dscnt 0x0
	s_barrier_signal -1
	s_barrier_wait -1
	s_and_saveexec_b32 s6, s104
	s_cbranch_execz .LBB133_426
; %bb.425:                              ;   in Loop: Header=BB133_3 Depth=1
	ds_load_b64 v[42:43], v54 offset:18176
	ds_load_b64 v[44:45], v52
	s_wait_dscnt 0x0
	v_fma_f64 v[40:41], -v[42:43], v[44:45], v[40:41]
.LBB133_426:                            ;   in Loop: Header=BB133_3 Depth=1
	s_or_b32 exec_lo, exec_lo, s6
	s_barrier_signal -1
	s_barrier_wait -1
	s_and_saveexec_b32 s6, vcc_hi
; %bb.427:                              ;   in Loop: Header=BB133_3 Depth=1
	s_delay_alu instid0(VALU_DEP_1) | instskip(NEXT) | instid1(VALU_DEP_2)
	v_xor_b32_e32 v43, 0x80000000, v41
	v_mov_b32_e32 v42, v40
	ds_store_b64 v52, v[42:43]
; %bb.428:                              ;   in Loop: Header=BB133_3 Depth=1
	s_or_b32 exec_lo, exec_lo, s6
	s_wait_dscnt 0x0
	s_barrier_signal -1
	s_barrier_wait -1
	s_and_saveexec_b32 s6, s31
	s_cbranch_execz .LBB133_430
; %bb.429:                              ;   in Loop: Header=BB133_3 Depth=1
	ds_load_b64 v[42:43], v54 offset:17664
	ds_load_b64 v[44:45], v52
	s_wait_dscnt 0x0
	v_fma_f64 v[40:41], -v[42:43], v[44:45], v[40:41]
.LBB133_430:                            ;   in Loop: Header=BB133_3 Depth=1
	s_or_b32 exec_lo, exec_lo, s6
	s_barrier_signal -1
	s_barrier_wait -1
	s_and_saveexec_b32 s6, s33
; %bb.431:                              ;   in Loop: Header=BB133_3 Depth=1
	s_delay_alu instid0(VALU_DEP_1) | instskip(NEXT) | instid1(VALU_DEP_2)
	v_xor_b32_e32 v43, 0x80000000, v41
	v_mov_b32_e32 v42, v40
	ds_store_b64 v52, v[42:43]
; %bb.432:                              ;   in Loop: Header=BB133_3 Depth=1
	s_or_b32 exec_lo, exec_lo, s6
	s_wait_dscnt 0x0
	s_barrier_signal -1
	s_barrier_wait -1
	s_and_saveexec_b32 s6, s34
	s_cbranch_execz .LBB133_434
; %bb.433:                              ;   in Loop: Header=BB133_3 Depth=1
	ds_load_b64 v[42:43], v7 offset:17152
	ds_load_b64 v[44:45], v52
	s_wait_dscnt 0x0
	v_fma_f64 v[40:41], -v[42:43], v[44:45], v[40:41]
.LBB133_434:                            ;   in Loop: Header=BB133_3 Depth=1
	s_or_b32 exec_lo, exec_lo, s6
	s_barrier_signal -1
	s_barrier_wait -1
	s_and_saveexec_b32 s6, s34
; %bb.435:                              ;   in Loop: Header=BB133_3 Depth=1
	s_delay_alu instid0(VALU_DEP_1) | instskip(NEXT) | instid1(VALU_DEP_2)
	v_xor_b32_e32 v43, 0x80000000, v41
	v_mov_b32_e32 v42, v40
	ds_store_b64 v52, v[42:43]
; %bb.436:                              ;   in Loop: Header=BB133_3 Depth=1
	s_or_b32 exec_lo, exec_lo, s6
	s_wait_dscnt 0x0
	s_barrier_signal -1
	s_barrier_wait -1
	s_barrier_signal -1
	s_barrier_wait -1
	s_and_saveexec_b32 s6, s2
; %bb.437:                              ;   in Loop: Header=BB133_3 Depth=1
	ds_store_b64 v55, v[40:41] offset:20224
; %bb.438:                              ;   in Loop: Header=BB133_3 Depth=1
	s_or_b32 exec_lo, exec_lo, s6
	s_wait_dscnt 0x0
	s_barrier_signal -1
	s_barrier_wait -1
	s_barrier_signal -1
	s_barrier_wait -1
	s_and_saveexec_b32 s6, s10
; %bb.439:                              ;   in Loop: Header=BB133_3 Depth=1
	v_add_nc_u32_e64 v40, 0x4000, 0
	ds_store_2addr_b64 v40, v[26:27], v[26:27] offset0:162 offset1:227
; %bb.440:                              ;   in Loop: Header=BB133_3 Depth=1
	s_or_b32 exec_lo, exec_lo, s6
	v_mov_b64_e32 v[40:41], 0
	s_wait_dscnt 0x0
	s_barrier_signal -1
	s_barrier_wait -1
	global_wb scope:SCOPE_DEV
	s_wait_storecnt 0x0
	global_inv scope:SCOPE_DEV
	s_and_saveexec_b32 s6, s1
	s_cbranch_execz .LBB133_444
; %bb.441:                              ;   in Loop: Header=BB133_3 Depth=1
	ds_load_b64 v[40:41], v49 offset:17664
	ds_load_b64 v[42:43], v48 offset:18192
	s_wait_dscnt 0x0
	v_fma_f64 v[40:41], v[40:41], v[42:43], 0
	s_and_saveexec_b32 s8, s11
	s_cbranch_execz .LBB133_443
; %bb.442:                              ;   in Loop: Header=BB133_3 Depth=1
	ds_load_b64 v[42:43], v50 offset:18176
	ds_load_b64 v[44:45], v7 offset:18200
	s_wait_dscnt 0x0
	v_fmac_f64_e32 v[40:41], v[42:43], v[44:45]
.LBB133_443:                            ;   in Loop: Header=BB133_3 Depth=1
	s_or_b32 exec_lo, exec_lo, s8
.LBB133_444:                            ;   in Loop: Header=BB133_3 Depth=1
	s_delay_alu instid0(SALU_CYCLE_1)
	s_or_b32 exec_lo, exec_lo, s6
	s_and_saveexec_b32 s6, s101
; %bb.445:                              ;   in Loop: Header=BB133_3 Depth=1
	s_delay_alu instid0(VALU_DEP_1) | instskip(NEXT) | instid1(VALU_DEP_2)
	v_xor_b32_e32 v43, 0x80000000, v41
	v_mov_b32_e32 v42, v40
	ds_store_b64 v5, v[42:43]
; %bb.446:                              ;   in Loop: Header=BB133_3 Depth=1
	s_or_b32 exec_lo, exec_lo, s6
	s_wait_loadcnt_dscnt 0x0
	s_barrier_signal -1
	s_barrier_wait -1
	s_and_saveexec_b32 s6, s102
	s_cbranch_execz .LBB133_448
; %bb.447:                              ;   in Loop: Header=BB133_3 Depth=1
	ds_load_b64 v[42:43], v7 offset:17152
	ds_load_b64 v[44:45], v5
	s_wait_dscnt 0x0
	v_fma_f64 v[40:41], -v[42:43], v[44:45], v[40:41]
.LBB133_448:                            ;   in Loop: Header=BB133_3 Depth=1
	s_or_b32 exec_lo, exec_lo, s6
	s_barrier_signal -1
	s_barrier_wait -1
	s_and_saveexec_b32 s6, s102
; %bb.449:                              ;   in Loop: Header=BB133_3 Depth=1
	s_delay_alu instid0(VALU_DEP_1) | instskip(NEXT) | instid1(VALU_DEP_2)
	v_xor_b32_e32 v43, 0x80000000, v41
	v_mov_b32_e32 v42, v40
	ds_store_b64 v5, v[42:43]
; %bb.450:                              ;   in Loop: Header=BB133_3 Depth=1
	s_or_b32 exec_lo, exec_lo, s6
	s_wait_dscnt 0x0
	s_barrier_signal -1
	s_barrier_wait -1
	s_barrier_signal -1
	s_barrier_wait -1
	s_and_saveexec_b32 s6, s1
; %bb.451:                              ;   in Loop: Header=BB133_3 Depth=1
	ds_store_b64 v51, v[40:41] offset:18176
; %bb.452:                              ;   in Loop: Header=BB133_3 Depth=1
	s_or_b32 exec_lo, exec_lo, s6
	s_wait_dscnt 0x0
	s_barrier_signal -1
	s_barrier_wait -1
	s_barrier_signal -1
	s_barrier_wait -1
	s_and_saveexec_b32 s6, s10
; %bb.453:                              ;   in Loop: Header=BB133_3 Depth=1
	v_add_nc_u32_e64 v40, 0x4000, 0
	ds_store_2addr_b64 v40, v[26:27], v[26:27] offset0:32 offset1:97
; %bb.454:                              ;   in Loop: Header=BB133_3 Depth=1
	s_or_b32 exec_lo, exec_lo, s6
	v_mov_b64_e32 v[40:41], 0
	s_wait_dscnt 0x0
	s_barrier_signal -1
	s_barrier_wait -1
	global_wb scope:SCOPE_DEV
	s_wait_storecnt 0x0
	global_inv scope:SCOPE_DEV
	s_and_saveexec_b32 s94, s30
	s_cbranch_execz .LBB133_516
; %bb.455:                              ;   in Loop: Header=BB133_3 Depth=1
	ds_load_b64 v[40:41], v66 offset:16384
	ds_load_b64 v[42:43], v67 offset:32512
	s_wait_dscnt 0x0
	v_fma_f64 v[40:41], v[40:41], v[42:43], 0
	s_mov_b32 s6, exec_lo
	v_readlane_b32 s8, v87, 3
	s_and_b32 s8, s6, s8
	s_delay_alu instid0(SALU_CYCLE_1)
	s_mov_b32 exec_lo, s8
	s_cbranch_execz .LBB133_457
; %bb.456:                              ;   in Loop: Header=BB133_3 Depth=1
	ds_load_b64 v[42:43], v66 offset:16896
	ds_load_b64 v[44:45], v67 offset:32520
	s_wait_dscnt 0x0
	v_fmac_f64_e32 v[40:41], v[42:43], v[44:45]
.LBB133_457:                            ;   in Loop: Header=BB133_3 Depth=1
	s_or_b32 exec_lo, exec_lo, s6
	s_delay_alu instid0(SALU_CYCLE_1) | instskip(SKIP_2) | instid1(SALU_CYCLE_1)
	s_mov_b32 s6, exec_lo
	v_readlane_b32 s8, v87, 4
	s_and_b32 s8, s6, s8
	s_mov_b32 exec_lo, s8
	s_cbranch_execz .LBB133_459
; %bb.458:                              ;   in Loop: Header=BB133_3 Depth=1
	ds_load_b64 v[42:43], v66 offset:17408
	ds_load_b64 v[44:45], v67 offset:32528
	s_wait_dscnt 0x0
	v_fmac_f64_e32 v[40:41], v[42:43], v[44:45]
.LBB133_459:                            ;   in Loop: Header=BB133_3 Depth=1
	s_or_b32 exec_lo, exec_lo, s6
	s_delay_alu instid0(SALU_CYCLE_1) | instskip(SKIP_2) | instid1(SALU_CYCLE_1)
	s_mov_b32 s6, exec_lo
	v_readlane_b32 s8, v87, 5
	s_and_b32 s8, s6, s8
	;; [unrolled: 13-line block ×22, first 2 shown]
	s_mov_b32 exec_lo, s8
	s_cbranch_execz .LBB133_501
; %bb.500:                              ;   in Loop: Header=BB133_3 Depth=1
	ds_load_b64 v[42:43], v66 offset:28160
	ds_load_b64 v[44:45], v67 offset:32696
	s_wait_dscnt 0x0
	v_fmac_f64_e32 v[40:41], v[42:43], v[44:45]
.LBB133_501:                            ;   in Loop: Header=BB133_3 Depth=1
	s_or_b32 exec_lo, exec_lo, s6
	s_and_saveexec_b32 s6, s4
	s_cbranch_execz .LBB133_503
; %bb.502:                              ;   in Loop: Header=BB133_3 Depth=1
	ds_load_b64 v[42:43], v66 offset:28672
	ds_load_b64 v[44:45], v67 offset:32704
	s_wait_dscnt 0x0
	v_fmac_f64_e32 v[40:41], v[42:43], v[44:45]
.LBB133_503:                            ;   in Loop: Header=BB133_3 Depth=1
	s_or_b32 exec_lo, exec_lo, s6
	s_delay_alu instid0(SALU_CYCLE_1) | instskip(SKIP_2) | instid1(SALU_CYCLE_1)
	s_mov_b32 s6, exec_lo
	v_readlane_b32 s8, v88, 25
	s_and_b32 s8, s6, s8
	s_mov_b32 exec_lo, s8
	s_cbranch_execz .LBB133_505
; %bb.504:                              ;   in Loop: Header=BB133_3 Depth=1
	ds_load_b64 v[42:43], v66 offset:29184
	ds_load_b64 v[44:45], v67 offset:32712
	s_wait_dscnt 0x0
	v_fmac_f64_e32 v[40:41], v[42:43], v[44:45]
.LBB133_505:                            ;   in Loop: Header=BB133_3 Depth=1
	s_or_b32 exec_lo, exec_lo, s6
	s_delay_alu instid0(SALU_CYCLE_1) | instskip(SKIP_2) | instid1(SALU_CYCLE_1)
	s_mov_b32 s6, exec_lo
	v_readlane_b32 s8, v88, 27
	s_and_b32 s8, s6, s8
	s_mov_b32 exec_lo, s8
	;; [unrolled: 13-line block ×5, first 2 shown]
	s_cbranch_execnz .LBB133_1029
; %bb.512:                              ;   in Loop: Header=BB133_3 Depth=1
	s_or_b32 exec_lo, exec_lo, s6
	s_and_saveexec_b32 s6, s3
	s_cbranch_execnz .LBB133_1030
.LBB133_513:                            ;   in Loop: Header=BB133_3 Depth=1
	s_or_b32 exec_lo, exec_lo, s6
	s_and_saveexec_b32 s6, s17
	s_delay_alu instid0(SALU_CYCLE_1)
	s_xor_b32 s6, exec_lo, s6
	s_cbranch_execz .LBB133_515
.LBB133_514:                            ;   in Loop: Header=BB133_3 Depth=1
	ds_load_b64 v[42:43], v50 offset:32256
	ds_load_b64 v[44:45], v7 offset:32760
	s_wait_dscnt 0x0
	v_fmac_f64_e32 v[40:41], v[42:43], v[44:45]
.LBB133_515:                            ;   in Loop: Header=BB133_3 Depth=1
	s_or_b32 exec_lo, exec_lo, s6
.LBB133_516:                            ;   in Loop: Header=BB133_3 Depth=1
	s_delay_alu instid0(SALU_CYCLE_1)
	s_or_b32 exec_lo, exec_lo, s94
	v_dual_mov_b32 v42, v79 :: v_dual_mov_b32 v43, v78
	s_mov_b32 s8, 31
	s_branch .LBB133_518
.LBB133_517:                            ;   in Loop: Header=BB133_518 Depth=2
	s_or_b32 exec_lo, exec_lo, s6
	v_add_nc_u32_e32 v43, 0xfffff800, v43
	v_add_nc_u32_e32 v42, 4, v42
	s_add_co_i32 s8, s8, -4
	s_cmp_eq_u32 s9, 0
	s_barrier_signal -1
	s_barrier_wait -1
	s_cbranch_scc1 .LBB133_534
.LBB133_518:                            ;   Parent Loop BB133_3 Depth=1
                                        ; =>  This Inner Loop Header: Depth=2
	s_delay_alu instid0(VALU_DEP_1) | instskip(SKIP_1) | instid1(SALU_CYCLE_1)
	v_cmp_eq_u32_e32 vcc_lo, 0, v42
	s_and_b32 s9, s7, vcc_lo
	s_and_saveexec_b32 s6, s9
; %bb.519:                              ;   in Loop: Header=BB133_518 Depth=2
	s_delay_alu instid0(VALU_DEP_3) | instskip(NEXT) | instid1(VALU_DEP_4)
	v_xor_b32_e32 v45, 0x80000000, v41
	v_mov_b32_e32 v44, v40
	ds_store_b64 v65, v[44:45]
; %bb.520:                              ;   in Loop: Header=BB133_518 Depth=2
	s_or_b32 exec_lo, exec_lo, s6
	v_cmp_gt_u32_e32 vcc_lo, s8, v64
	s_wait_loadcnt_dscnt 0x0
	s_barrier_signal -1
	s_barrier_wait -1
	s_and_b32 s9, s7, vcc_lo
	s_delay_alu instid0(SALU_CYCLE_1)
	s_and_saveexec_b32 s6, s9
	s_cbranch_execz .LBB133_522
; %bb.521:                              ;   in Loop: Header=BB133_518 Depth=2
	ds_load_b64 v[44:45], v43 offset:1536
	ds_load_b64 v[46:47], v65
	s_wait_dscnt 0x0
	v_fma_f64 v[40:41], -v[44:45], v[46:47], v[40:41]
.LBB133_522:                            ;   in Loop: Header=BB133_518 Depth=2
	s_or_b32 exec_lo, exec_lo, s6
	s_add_co_i32 s6, s8, -1
	s_delay_alu instid0(SALU_CYCLE_1) | instskip(SKIP_3) | instid1(SALU_CYCLE_1)
	v_cmp_eq_u32_e32 vcc_lo, s6, v64
	s_barrier_signal -1
	s_barrier_wait -1
	s_and_b32 s21, s7, vcc_lo
	s_and_saveexec_b32 s9, s21
; %bb.523:                              ;   in Loop: Header=BB133_518 Depth=2
	s_delay_alu instid0(VALU_DEP_2) | instskip(NEXT) | instid1(VALU_DEP_3)
	v_xor_b32_e32 v45, 0x80000000, v41
	v_mov_b32_e32 v44, v40
	ds_store_b64 v65, v[44:45]
; %bb.524:                              ;   in Loop: Header=BB133_518 Depth=2
	s_or_b32 exec_lo, exec_lo, s9
	v_cmp_gt_u32_e32 vcc_lo, s6, v64
	s_wait_dscnt 0x0
	s_barrier_signal -1
	s_barrier_wait -1
	s_and_b32 s9, s7, vcc_lo
	s_delay_alu instid0(SALU_CYCLE_1)
	s_and_saveexec_b32 s6, s9
	s_cbranch_execz .LBB133_526
; %bb.525:                              ;   in Loop: Header=BB133_518 Depth=2
	ds_load_b64 v[44:45], v43 offset:1024
	ds_load_b64 v[46:47], v65
	s_wait_dscnt 0x0
	v_fma_f64 v[40:41], -v[44:45], v[46:47], v[40:41]
.LBB133_526:                            ;   in Loop: Header=BB133_518 Depth=2
	s_or_b32 exec_lo, exec_lo, s6
	s_add_co_i32 s6, s8, -2
	s_delay_alu instid0(SALU_CYCLE_1) | instskip(SKIP_3) | instid1(SALU_CYCLE_1)
	v_cmp_eq_u32_e32 vcc_lo, s6, v64
	s_barrier_signal -1
	s_barrier_wait -1
	s_and_b32 s21, s7, vcc_lo
	s_and_saveexec_b32 s9, s21
; %bb.527:                              ;   in Loop: Header=BB133_518 Depth=2
	s_delay_alu instid0(VALU_DEP_2) | instskip(NEXT) | instid1(VALU_DEP_3)
	v_xor_b32_e32 v45, 0x80000000, v41
	v_mov_b32_e32 v44, v40
	ds_store_b64 v65, v[44:45]
; %bb.528:                              ;   in Loop: Header=BB133_518 Depth=2
	s_or_b32 exec_lo, exec_lo, s9
	v_cmp_gt_u32_e32 vcc_lo, s6, v64
	s_wait_dscnt 0x0
	;; [unrolled: 29-line block ×3, first 2 shown]
	s_barrier_signal -1
	s_barrier_wait -1
	s_and_b32 s21, s7, vcc_lo
	s_delay_alu instid0(SALU_CYCLE_1)
	s_and_saveexec_b32 s6, s21
	s_cbranch_execz .LBB133_517
; %bb.533:                              ;   in Loop: Header=BB133_518 Depth=2
	ds_load_b64 v[44:45], v43
	ds_load_b64 v[46:47], v65
	s_wait_dscnt 0x0
	v_fma_f64 v[40:41], -v[44:45], v[46:47], v[40:41]
	s_branch .LBB133_517
.LBB133_534:                            ;   in Loop: Header=BB133_3 Depth=1
	s_and_saveexec_b32 s6, s30
; %bb.535:                              ;   in Loop: Header=BB133_3 Depth=1
	ds_store_b64 v68, v[40:41] offset:32256
; %bb.536:                              ;   in Loop: Header=BB133_3 Depth=1
	s_or_b32 exec_lo, exec_lo, s6
	s_wait_dscnt 0x0
	s_barrier_signal -1
	s_barrier_wait -1
	s_barrier_signal -1
	s_barrier_wait -1
	s_and_saveexec_b32 s6, s10
; %bb.537:                              ;   in Loop: Header=BB133_3 Depth=1
	v_add_nc_u32_e64 v40, 0x3800, 0
	ds_store_2addr_b64 v40, v[26:27], v[26:27] offset0:158 offset1:223
; %bb.538:                              ;   in Loop: Header=BB133_3 Depth=1
	s_or_b32 exec_lo, exec_lo, s6
	v_mov_b64_e32 v[40:41], 0
	s_wait_dscnt 0x0
	s_barrier_signal -1
	s_barrier_wait -1
	global_wb scope:SCOPE_DEV
	s_wait_storecnt 0x0
	global_inv scope:SCOPE_DEV
	s_and_saveexec_b32 s6, s1
	s_cbranch_execz .LBB133_542
; %bb.539:                              ;   in Loop: Header=BB133_3 Depth=1
	ds_load_b64 v[40:41], v49 offset:15584
	ds_load_b64 v[42:43], v48 offset:16112
	s_wait_dscnt 0x0
	v_fma_f64 v[40:41], v[40:41], v[42:43], 0
	s_and_saveexec_b32 s8, s11
	s_cbranch_execz .LBB133_541
; %bb.540:                              ;   in Loop: Header=BB133_3 Depth=1
	ds_load_b64 v[42:43], v50 offset:16096
	ds_load_b64 v[44:45], v7 offset:16120
	s_wait_dscnt 0x0
	v_fmac_f64_e32 v[40:41], v[42:43], v[44:45]
.LBB133_541:                            ;   in Loop: Header=BB133_3 Depth=1
	s_or_b32 exec_lo, exec_lo, s8
.LBB133_542:                            ;   in Loop: Header=BB133_3 Depth=1
	s_delay_alu instid0(SALU_CYCLE_1)
	s_or_b32 exec_lo, exec_lo, s6
	s_and_saveexec_b32 s6, s101
; %bb.543:                              ;   in Loop: Header=BB133_3 Depth=1
	s_delay_alu instid0(VALU_DEP_1) | instskip(NEXT) | instid1(VALU_DEP_2)
	v_xor_b32_e32 v43, 0x80000000, v41
	v_mov_b32_e32 v42, v40
	ds_store_b64 v5, v[42:43]
; %bb.544:                              ;   in Loop: Header=BB133_3 Depth=1
	s_or_b32 exec_lo, exec_lo, s6
	s_wait_loadcnt_dscnt 0x0
	s_barrier_signal -1
	s_barrier_wait -1
	s_and_saveexec_b32 s6, s102
	s_cbranch_execz .LBB133_546
; %bb.545:                              ;   in Loop: Header=BB133_3 Depth=1
	ds_load_b64 v[42:43], v7 offset:15072
	ds_load_b64 v[44:45], v5
	s_wait_dscnt 0x0
	v_fma_f64 v[40:41], -v[42:43], v[44:45], v[40:41]
.LBB133_546:                            ;   in Loop: Header=BB133_3 Depth=1
	s_or_b32 exec_lo, exec_lo, s6
	s_barrier_signal -1
	s_barrier_wait -1
	s_and_saveexec_b32 s6, s102
; %bb.547:                              ;   in Loop: Header=BB133_3 Depth=1
	s_delay_alu instid0(VALU_DEP_1) | instskip(NEXT) | instid1(VALU_DEP_2)
	v_xor_b32_e32 v43, 0x80000000, v41
	v_mov_b32_e32 v42, v40
	ds_store_b64 v5, v[42:43]
; %bb.548:                              ;   in Loop: Header=BB133_3 Depth=1
	s_or_b32 exec_lo, exec_lo, s6
	s_wait_dscnt 0x0
	s_barrier_signal -1
	s_barrier_wait -1
	s_barrier_signal -1
	s_barrier_wait -1
	s_and_saveexec_b32 s6, s1
; %bb.549:                              ;   in Loop: Header=BB133_3 Depth=1
	ds_store_b64 v51, v[40:41] offset:16096
; %bb.550:                              ;   in Loop: Header=BB133_3 Depth=1
	s_or_b32 exec_lo, exec_lo, s6
	s_wait_dscnt 0x0
	s_barrier_signal -1
	s_barrier_wait -1
	s_barrier_signal -1
	s_barrier_wait -1
	s_and_saveexec_b32 s6, s10
; %bb.551:                              ;   in Loop: Header=BB133_3 Depth=1
	v_add_nc_u32_e64 v40, 0x3800, 0
	ds_store_2addr_b64 v40, v[26:27], v[26:27] offset0:28 offset1:93
; %bb.552:                              ;   in Loop: Header=BB133_3 Depth=1
	s_or_b32 exec_lo, exec_lo, s6
	v_mov_b64_e32 v[40:41], 0
	s_wait_dscnt 0x0
	s_barrier_signal -1
	s_barrier_wait -1
	global_wb scope:SCOPE_DEV
	s_wait_storecnt 0x0
	global_inv scope:SCOPE_DEV
	s_and_saveexec_b32 s8, s2
	s_cbranch_execz .LBB133_558
; %bb.553:                              ;   in Loop: Header=BB133_3 Depth=1
	ds_load_b64 v[40:41], v54 offset:14528
	ds_load_b64 v[42:43], v53 offset:16096
	s_wait_dscnt 0x0
	v_fma_f64 v[40:41], v[40:41], v[42:43], 0
	s_and_saveexec_b32 s6, s12
	s_cbranch_execnz .LBB133_1031
; %bb.554:                              ;   in Loop: Header=BB133_3 Depth=1
	s_or_b32 exec_lo, exec_lo, s6
	s_and_saveexec_b32 s6, s13
	s_cbranch_execnz .LBB133_1032
.LBB133_555:                            ;   in Loop: Header=BB133_3 Depth=1
	s_or_b32 exec_lo, exec_lo, s6
	s_and_saveexec_b32 s6, s1
	s_cbranch_execz .LBB133_557
.LBB133_556:                            ;   in Loop: Header=BB133_3 Depth=1
	ds_load_b64 v[42:43], v50 offset:16064
	ds_load_b64 v[44:45], v7 offset:16120
	s_wait_dscnt 0x0
	v_fmac_f64_e32 v[40:41], v[42:43], v[44:45]
.LBB133_557:                            ;   in Loop: Header=BB133_3 Depth=1
	s_or_b32 exec_lo, exec_lo, s6
.LBB133_558:                            ;   in Loop: Header=BB133_3 Depth=1
	s_delay_alu instid0(SALU_CYCLE_1)
	s_or_b32 exec_lo, exec_lo, s8
	s_and_saveexec_b32 s6, s103
; %bb.559:                              ;   in Loop: Header=BB133_3 Depth=1
	s_delay_alu instid0(VALU_DEP_1) | instskip(NEXT) | instid1(VALU_DEP_2)
	v_xor_b32_e32 v43, 0x80000000, v41
	v_mov_b32_e32 v42, v40
	ds_store_b64 v52, v[42:43]
; %bb.560:                              ;   in Loop: Header=BB133_3 Depth=1
	s_or_b32 exec_lo, exec_lo, s6
	s_wait_loadcnt_dscnt 0x0
	s_barrier_signal -1
	s_barrier_wait -1
	s_and_saveexec_b32 s6, s104
	s_cbranch_execz .LBB133_562
; %bb.561:                              ;   in Loop: Header=BB133_3 Depth=1
	ds_load_b64 v[42:43], v54 offset:14016
	ds_load_b64 v[44:45], v52
	s_wait_dscnt 0x0
	v_fma_f64 v[40:41], -v[42:43], v[44:45], v[40:41]
.LBB133_562:                            ;   in Loop: Header=BB133_3 Depth=1
	s_or_b32 exec_lo, exec_lo, s6
	s_barrier_signal -1
	s_barrier_wait -1
	s_and_saveexec_b32 s6, vcc_hi
; %bb.563:                              ;   in Loop: Header=BB133_3 Depth=1
	s_delay_alu instid0(VALU_DEP_1) | instskip(NEXT) | instid1(VALU_DEP_2)
	v_xor_b32_e32 v43, 0x80000000, v41
	v_mov_b32_e32 v42, v40
	ds_store_b64 v52, v[42:43]
; %bb.564:                              ;   in Loop: Header=BB133_3 Depth=1
	s_or_b32 exec_lo, exec_lo, s6
	s_wait_dscnt 0x0
	s_barrier_signal -1
	s_barrier_wait -1
	s_and_saveexec_b32 s6, s31
	s_cbranch_execz .LBB133_566
; %bb.565:                              ;   in Loop: Header=BB133_3 Depth=1
	ds_load_b64 v[42:43], v54 offset:13504
	ds_load_b64 v[44:45], v52
	s_wait_dscnt 0x0
	v_fma_f64 v[40:41], -v[42:43], v[44:45], v[40:41]
.LBB133_566:                            ;   in Loop: Header=BB133_3 Depth=1
	s_or_b32 exec_lo, exec_lo, s6
	s_barrier_signal -1
	s_barrier_wait -1
	s_and_saveexec_b32 s6, s33
; %bb.567:                              ;   in Loop: Header=BB133_3 Depth=1
	s_delay_alu instid0(VALU_DEP_1) | instskip(NEXT) | instid1(VALU_DEP_2)
	v_xor_b32_e32 v43, 0x80000000, v41
	v_mov_b32_e32 v42, v40
	ds_store_b64 v52, v[42:43]
; %bb.568:                              ;   in Loop: Header=BB133_3 Depth=1
	s_or_b32 exec_lo, exec_lo, s6
	s_wait_dscnt 0x0
	s_barrier_signal -1
	s_barrier_wait -1
	s_and_saveexec_b32 s6, s34
	s_cbranch_execz .LBB133_570
; %bb.569:                              ;   in Loop: Header=BB133_3 Depth=1
	ds_load_b64 v[42:43], v7 offset:12992
	ds_load_b64 v[44:45], v52
	s_wait_dscnt 0x0
	v_fma_f64 v[40:41], -v[42:43], v[44:45], v[40:41]
.LBB133_570:                            ;   in Loop: Header=BB133_3 Depth=1
	s_or_b32 exec_lo, exec_lo, s6
	s_barrier_signal -1
	s_barrier_wait -1
	s_and_saveexec_b32 s6, s34
; %bb.571:                              ;   in Loop: Header=BB133_3 Depth=1
	s_delay_alu instid0(VALU_DEP_1) | instskip(NEXT) | instid1(VALU_DEP_2)
	v_xor_b32_e32 v43, 0x80000000, v41
	v_mov_b32_e32 v42, v40
	ds_store_b64 v52, v[42:43]
; %bb.572:                              ;   in Loop: Header=BB133_3 Depth=1
	s_or_b32 exec_lo, exec_lo, s6
	s_wait_dscnt 0x0
	s_barrier_signal -1
	s_barrier_wait -1
	s_barrier_signal -1
	s_barrier_wait -1
	s_and_saveexec_b32 s6, s2
; %bb.573:                              ;   in Loop: Header=BB133_3 Depth=1
	ds_store_b64 v55, v[40:41] offset:16064
; %bb.574:                              ;   in Loop: Header=BB133_3 Depth=1
	s_or_b32 exec_lo, exec_lo, s6
	s_wait_dscnt 0x0
	s_barrier_signal -1
	s_barrier_wait -1
	s_barrier_signal -1
	s_barrier_wait -1
	s_and_saveexec_b32 s6, s10
; %bb.575:                              ;   in Loop: Header=BB133_3 Depth=1
	v_add_nc_u32_e64 v40, 0x3000, 0
	ds_store_2addr_b64 v40, v[26:27], v[26:27] offset0:154 offset1:219
; %bb.576:                              ;   in Loop: Header=BB133_3 Depth=1
	s_or_b32 exec_lo, exec_lo, s6
	v_mov_b64_e32 v[40:41], 0
	s_wait_dscnt 0x0
	s_barrier_signal -1
	s_barrier_wait -1
	global_wb scope:SCOPE_DEV
	s_wait_storecnt 0x0
	global_inv scope:SCOPE_DEV
	s_and_saveexec_b32 s6, s1
	s_cbranch_execz .LBB133_580
; %bb.577:                              ;   in Loop: Header=BB133_3 Depth=1
	ds_load_b64 v[40:41], v49 offset:13504
	ds_load_b64 v[42:43], v48 offset:14032
	s_wait_dscnt 0x0
	v_fma_f64 v[40:41], v[40:41], v[42:43], 0
	s_and_saveexec_b32 s8, s11
	s_cbranch_execz .LBB133_579
; %bb.578:                              ;   in Loop: Header=BB133_3 Depth=1
	ds_load_b64 v[42:43], v50 offset:14016
	ds_load_b64 v[44:45], v7 offset:14040
	s_wait_dscnt 0x0
	v_fmac_f64_e32 v[40:41], v[42:43], v[44:45]
.LBB133_579:                            ;   in Loop: Header=BB133_3 Depth=1
	s_or_b32 exec_lo, exec_lo, s8
.LBB133_580:                            ;   in Loop: Header=BB133_3 Depth=1
	s_delay_alu instid0(SALU_CYCLE_1)
	s_or_b32 exec_lo, exec_lo, s6
	s_and_saveexec_b32 s6, s101
; %bb.581:                              ;   in Loop: Header=BB133_3 Depth=1
	s_delay_alu instid0(VALU_DEP_1) | instskip(NEXT) | instid1(VALU_DEP_2)
	v_xor_b32_e32 v43, 0x80000000, v41
	v_mov_b32_e32 v42, v40
	ds_store_b64 v5, v[42:43]
; %bb.582:                              ;   in Loop: Header=BB133_3 Depth=1
	s_or_b32 exec_lo, exec_lo, s6
	s_wait_loadcnt_dscnt 0x0
	s_barrier_signal -1
	s_barrier_wait -1
	s_and_saveexec_b32 s6, s102
	s_cbranch_execz .LBB133_584
; %bb.583:                              ;   in Loop: Header=BB133_3 Depth=1
	ds_load_b64 v[42:43], v7 offset:12992
	ds_load_b64 v[44:45], v5
	s_wait_dscnt 0x0
	v_fma_f64 v[40:41], -v[42:43], v[44:45], v[40:41]
.LBB133_584:                            ;   in Loop: Header=BB133_3 Depth=1
	s_or_b32 exec_lo, exec_lo, s6
	s_barrier_signal -1
	s_barrier_wait -1
	s_and_saveexec_b32 s6, s102
; %bb.585:                              ;   in Loop: Header=BB133_3 Depth=1
	s_delay_alu instid0(VALU_DEP_1) | instskip(NEXT) | instid1(VALU_DEP_2)
	v_xor_b32_e32 v43, 0x80000000, v41
	v_mov_b32_e32 v42, v40
	ds_store_b64 v5, v[42:43]
; %bb.586:                              ;   in Loop: Header=BB133_3 Depth=1
	s_or_b32 exec_lo, exec_lo, s6
	s_wait_dscnt 0x0
	s_barrier_signal -1
	s_barrier_wait -1
	s_barrier_signal -1
	s_barrier_wait -1
	s_and_saveexec_b32 s6, s1
; %bb.587:                              ;   in Loop: Header=BB133_3 Depth=1
	ds_store_b64 v51, v[40:41] offset:14016
; %bb.588:                              ;   in Loop: Header=BB133_3 Depth=1
	s_or_b32 exec_lo, exec_lo, s6
	s_wait_dscnt 0x0
	s_barrier_signal -1
	s_barrier_wait -1
	s_barrier_signal -1
	s_barrier_wait -1
	s_and_saveexec_b32 s6, s10
; %bb.589:                              ;   in Loop: Header=BB133_3 Depth=1
	v_add_nc_u32_e64 v40, 0x3000, 0
	ds_store_2addr_b64 v40, v[26:27], v[26:27] offset0:24 offset1:89
; %bb.590:                              ;   in Loop: Header=BB133_3 Depth=1
	s_or_b32 exec_lo, exec_lo, s6
	v_mov_b64_e32 v[40:41], 0
	s_wait_dscnt 0x0
	s_barrier_signal -1
	s_barrier_wait -1
	global_wb scope:SCOPE_DEV
	s_wait_storecnt 0x0
	global_inv scope:SCOPE_DEV
	s_and_saveexec_b32 s8, s3
	s_cbranch_execz .LBB133_600
; %bb.591:                              ;   in Loop: Header=BB133_3 Depth=1
	ds_load_b64 v[40:41], v58 offset:12416
	ds_load_b64 v[42:43], v57 offset:16064
	s_wait_dscnt 0x0
	v_fma_f64 v[40:41], v[40:41], v[42:43], 0
	s_and_saveexec_b32 s6, s14
	s_cbranch_execnz .LBB133_1033
; %bb.592:                              ;   in Loop: Header=BB133_3 Depth=1
	s_or_b32 exec_lo, exec_lo, s6
	s_and_saveexec_b32 s6, s15
	s_cbranch_execnz .LBB133_1034
.LBB133_593:                            ;   in Loop: Header=BB133_3 Depth=1
	s_or_b32 exec_lo, exec_lo, s6
	s_and_saveexec_b32 s6, s16
	s_cbranch_execnz .LBB133_1035
.LBB133_594:                            ;   in Loop: Header=BB133_3 Depth=1
	s_or_b32 exec_lo, exec_lo, s6
	s_and_saveexec_b32 s6, s17
	s_cbranch_execnz .LBB133_1036
.LBB133_595:                            ;   in Loop: Header=BB133_3 Depth=1
	s_or_b32 exec_lo, exec_lo, s6
	s_and_saveexec_b32 s6, s18
	s_cbranch_execnz .LBB133_1037
.LBB133_596:                            ;   in Loop: Header=BB133_3 Depth=1
	s_or_b32 exec_lo, exec_lo, s6
	s_and_saveexec_b32 s6, s2
	s_cbranch_execnz .LBB133_1038
.LBB133_597:                            ;   in Loop: Header=BB133_3 Depth=1
	s_or_b32 exec_lo, exec_lo, s6
	s_and_saveexec_b32 s6, s13
	s_cbranch_execz .LBB133_599
.LBB133_598:                            ;   in Loop: Header=BB133_3 Depth=1
	ds_load_b64 v[42:43], v50 offset:16000
	ds_load_b64 v[44:45], v7 offset:16120
	s_wait_dscnt 0x0
	v_fmac_f64_e32 v[40:41], v[42:43], v[44:45]
.LBB133_599:                            ;   in Loop: Header=BB133_3 Depth=1
	s_or_b32 exec_lo, exec_lo, s6
.LBB133_600:                            ;   in Loop: Header=BB133_3 Depth=1
	s_delay_alu instid0(SALU_CYCLE_1)
	s_or_b32 exec_lo, exec_lo, s8
	s_and_saveexec_b32 s6, s35
; %bb.601:                              ;   in Loop: Header=BB133_3 Depth=1
	s_delay_alu instid0(VALU_DEP_1) | instskip(NEXT) | instid1(VALU_DEP_2)
	v_xor_b32_e32 v43, 0x80000000, v41
	v_mov_b32_e32 v42, v40
	ds_store_b64 v56, v[42:43]
; %bb.602:                              ;   in Loop: Header=BB133_3 Depth=1
	s_or_b32 exec_lo, exec_lo, s6
	s_wait_loadcnt_dscnt 0x0
	s_barrier_signal -1
	s_barrier_wait -1
	s_and_saveexec_b32 s6, s36
	s_cbranch_execz .LBB133_604
; %bb.603:                              ;   in Loop: Header=BB133_3 Depth=1
	ds_load_b64 v[42:43], v58 offset:11904
	ds_load_b64 v[44:45], v56
	s_wait_dscnt 0x0
	v_fma_f64 v[40:41], -v[42:43], v[44:45], v[40:41]
.LBB133_604:                            ;   in Loop: Header=BB133_3 Depth=1
	s_or_b32 exec_lo, exec_lo, s6
	s_barrier_signal -1
	s_barrier_wait -1
	s_and_saveexec_b32 s6, s37
; %bb.605:                              ;   in Loop: Header=BB133_3 Depth=1
	s_delay_alu instid0(VALU_DEP_1) | instskip(NEXT) | instid1(VALU_DEP_2)
	v_xor_b32_e32 v43, 0x80000000, v41
	v_mov_b32_e32 v42, v40
	ds_store_b64 v56, v[42:43]
; %bb.606:                              ;   in Loop: Header=BB133_3 Depth=1
	s_or_b32 exec_lo, exec_lo, s6
	s_wait_dscnt 0x0
	s_barrier_signal -1
	s_barrier_wait -1
	s_and_saveexec_b32 s6, s38
	s_cbranch_execz .LBB133_608
; %bb.607:                              ;   in Loop: Header=BB133_3 Depth=1
	ds_load_b64 v[42:43], v58 offset:11392
	ds_load_b64 v[44:45], v56
	s_wait_dscnt 0x0
	v_fma_f64 v[40:41], -v[42:43], v[44:45], v[40:41]
.LBB133_608:                            ;   in Loop: Header=BB133_3 Depth=1
	s_or_b32 exec_lo, exec_lo, s6
	s_barrier_signal -1
	s_barrier_wait -1
	s_and_saveexec_b32 s6, s39
; %bb.609:                              ;   in Loop: Header=BB133_3 Depth=1
	s_delay_alu instid0(VALU_DEP_1) | instskip(NEXT) | instid1(VALU_DEP_2)
	v_xor_b32_e32 v43, 0x80000000, v41
	v_mov_b32_e32 v42, v40
	ds_store_b64 v56, v[42:43]
; %bb.610:                              ;   in Loop: Header=BB133_3 Depth=1
	s_or_b32 exec_lo, exec_lo, s6
	s_wait_dscnt 0x0
	;; [unrolled: 22-line block ×7, first 2 shown]
	s_barrier_signal -1
	s_barrier_wait -1
	s_barrier_signal -1
	s_barrier_wait -1
	s_and_saveexec_b32 s6, s3
; %bb.631:                              ;   in Loop: Header=BB133_3 Depth=1
	ds_store_b64 v59, v[40:41] offset:16000
; %bb.632:                              ;   in Loop: Header=BB133_3 Depth=1
	s_or_b32 exec_lo, exec_lo, s6
	s_wait_dscnt 0x0
	s_barrier_signal -1
	s_barrier_wait -1
	s_barrier_signal -1
	s_barrier_wait -1
	s_and_saveexec_b32 s6, s10
; %bb.633:                              ;   in Loop: Header=BB133_3 Depth=1
	v_add_nc_u32_e64 v40, 0x2800, 0
	ds_store_2addr_b64 v40, v[26:27], v[26:27] offset0:150 offset1:215
; %bb.634:                              ;   in Loop: Header=BB133_3 Depth=1
	s_or_b32 exec_lo, exec_lo, s6
	v_mov_b64_e32 v[40:41], 0
	s_wait_dscnt 0x0
	s_barrier_signal -1
	s_barrier_wait -1
	global_wb scope:SCOPE_DEV
	s_wait_storecnt 0x0
	global_inv scope:SCOPE_DEV
	s_and_saveexec_b32 s6, s1
	s_cbranch_execz .LBB133_638
; %bb.635:                              ;   in Loop: Header=BB133_3 Depth=1
	ds_load_b64 v[40:41], v49 offset:11424
	ds_load_b64 v[42:43], v48 offset:11952
	s_wait_dscnt 0x0
	v_fma_f64 v[40:41], v[40:41], v[42:43], 0
	s_and_saveexec_b32 s8, s11
	s_cbranch_execz .LBB133_637
; %bb.636:                              ;   in Loop: Header=BB133_3 Depth=1
	ds_load_b64 v[42:43], v50 offset:11936
	ds_load_b64 v[44:45], v7 offset:11960
	s_wait_dscnt 0x0
	v_fmac_f64_e32 v[40:41], v[42:43], v[44:45]
.LBB133_637:                            ;   in Loop: Header=BB133_3 Depth=1
	s_or_b32 exec_lo, exec_lo, s8
.LBB133_638:                            ;   in Loop: Header=BB133_3 Depth=1
	s_delay_alu instid0(SALU_CYCLE_1)
	s_or_b32 exec_lo, exec_lo, s6
	s_and_saveexec_b32 s6, s101
; %bb.639:                              ;   in Loop: Header=BB133_3 Depth=1
	s_delay_alu instid0(VALU_DEP_1) | instskip(NEXT) | instid1(VALU_DEP_2)
	v_xor_b32_e32 v43, 0x80000000, v41
	v_mov_b32_e32 v42, v40
	ds_store_b64 v5, v[42:43]
; %bb.640:                              ;   in Loop: Header=BB133_3 Depth=1
	s_or_b32 exec_lo, exec_lo, s6
	s_wait_loadcnt_dscnt 0x0
	s_barrier_signal -1
	s_barrier_wait -1
	s_and_saveexec_b32 s6, s102
	s_cbranch_execz .LBB133_642
; %bb.641:                              ;   in Loop: Header=BB133_3 Depth=1
	ds_load_b64 v[42:43], v7 offset:10912
	ds_load_b64 v[44:45], v5
	s_wait_dscnt 0x0
	v_fma_f64 v[40:41], -v[42:43], v[44:45], v[40:41]
.LBB133_642:                            ;   in Loop: Header=BB133_3 Depth=1
	s_or_b32 exec_lo, exec_lo, s6
	s_barrier_signal -1
	s_barrier_wait -1
	s_and_saveexec_b32 s6, s102
; %bb.643:                              ;   in Loop: Header=BB133_3 Depth=1
	s_delay_alu instid0(VALU_DEP_1) | instskip(NEXT) | instid1(VALU_DEP_2)
	v_xor_b32_e32 v43, 0x80000000, v41
	v_mov_b32_e32 v42, v40
	ds_store_b64 v5, v[42:43]
; %bb.644:                              ;   in Loop: Header=BB133_3 Depth=1
	s_or_b32 exec_lo, exec_lo, s6
	s_wait_dscnt 0x0
	s_barrier_signal -1
	s_barrier_wait -1
	s_barrier_signal -1
	s_barrier_wait -1
	s_and_saveexec_b32 s6, s1
; %bb.645:                              ;   in Loop: Header=BB133_3 Depth=1
	ds_store_b64 v51, v[40:41] offset:11936
; %bb.646:                              ;   in Loop: Header=BB133_3 Depth=1
	s_or_b32 exec_lo, exec_lo, s6
	s_wait_dscnt 0x0
	s_barrier_signal -1
	s_barrier_wait -1
	s_barrier_signal -1
	s_barrier_wait -1
	s_and_saveexec_b32 s6, s10
; %bb.647:                              ;   in Loop: Header=BB133_3 Depth=1
	v_add_nc_u32_e64 v40, 0x2800, 0
	ds_store_2addr_b64 v40, v[26:27], v[26:27] offset0:20 offset1:85
; %bb.648:                              ;   in Loop: Header=BB133_3 Depth=1
	s_or_b32 exec_lo, exec_lo, s6
	v_mov_b64_e32 v[40:41], 0
	s_wait_dscnt 0x0
	s_barrier_signal -1
	s_barrier_wait -1
	global_wb scope:SCOPE_DEV
	s_wait_storecnt 0x0
	global_inv scope:SCOPE_DEV
	s_and_saveexec_b32 s8, s2
	s_cbranch_execz .LBB133_654
; %bb.649:                              ;   in Loop: Header=BB133_3 Depth=1
	ds_load_b64 v[40:41], v54 offset:10368
	ds_load_b64 v[42:43], v53 offset:11936
	s_wait_dscnt 0x0
	v_fma_f64 v[40:41], v[40:41], v[42:43], 0
	s_and_saveexec_b32 s6, s12
	s_cbranch_execnz .LBB133_1039
; %bb.650:                              ;   in Loop: Header=BB133_3 Depth=1
	s_or_b32 exec_lo, exec_lo, s6
	s_and_saveexec_b32 s6, s13
	s_cbranch_execnz .LBB133_1040
.LBB133_651:                            ;   in Loop: Header=BB133_3 Depth=1
	s_or_b32 exec_lo, exec_lo, s6
	s_and_saveexec_b32 s6, s1
	s_cbranch_execz .LBB133_653
.LBB133_652:                            ;   in Loop: Header=BB133_3 Depth=1
	ds_load_b64 v[42:43], v50 offset:11904
	ds_load_b64 v[44:45], v7 offset:11960
	s_wait_dscnt 0x0
	v_fmac_f64_e32 v[40:41], v[42:43], v[44:45]
.LBB133_653:                            ;   in Loop: Header=BB133_3 Depth=1
	s_or_b32 exec_lo, exec_lo, s6
.LBB133_654:                            ;   in Loop: Header=BB133_3 Depth=1
	s_delay_alu instid0(SALU_CYCLE_1)
	s_or_b32 exec_lo, exec_lo, s8
	s_and_saveexec_b32 s6, s103
; %bb.655:                              ;   in Loop: Header=BB133_3 Depth=1
	s_delay_alu instid0(VALU_DEP_1) | instskip(NEXT) | instid1(VALU_DEP_2)
	v_xor_b32_e32 v43, 0x80000000, v41
	v_mov_b32_e32 v42, v40
	ds_store_b64 v52, v[42:43]
; %bb.656:                              ;   in Loop: Header=BB133_3 Depth=1
	s_or_b32 exec_lo, exec_lo, s6
	s_wait_loadcnt_dscnt 0x0
	s_barrier_signal -1
	s_barrier_wait -1
	s_and_saveexec_b32 s6, s104
	s_cbranch_execz .LBB133_658
; %bb.657:                              ;   in Loop: Header=BB133_3 Depth=1
	ds_load_b64 v[42:43], v54 offset:9856
	ds_load_b64 v[44:45], v52
	s_wait_dscnt 0x0
	v_fma_f64 v[40:41], -v[42:43], v[44:45], v[40:41]
.LBB133_658:                            ;   in Loop: Header=BB133_3 Depth=1
	s_or_b32 exec_lo, exec_lo, s6
	s_barrier_signal -1
	s_barrier_wait -1
	s_and_saveexec_b32 s6, vcc_hi
; %bb.659:                              ;   in Loop: Header=BB133_3 Depth=1
	s_delay_alu instid0(VALU_DEP_1) | instskip(NEXT) | instid1(VALU_DEP_2)
	v_xor_b32_e32 v43, 0x80000000, v41
	v_mov_b32_e32 v42, v40
	ds_store_b64 v52, v[42:43]
; %bb.660:                              ;   in Loop: Header=BB133_3 Depth=1
	s_or_b32 exec_lo, exec_lo, s6
	s_wait_dscnt 0x0
	s_barrier_signal -1
	s_barrier_wait -1
	s_and_saveexec_b32 s6, s31
	s_cbranch_execz .LBB133_662
; %bb.661:                              ;   in Loop: Header=BB133_3 Depth=1
	ds_load_b64 v[42:43], v54 offset:9344
	ds_load_b64 v[44:45], v52
	s_wait_dscnt 0x0
	v_fma_f64 v[40:41], -v[42:43], v[44:45], v[40:41]
.LBB133_662:                            ;   in Loop: Header=BB133_3 Depth=1
	s_or_b32 exec_lo, exec_lo, s6
	s_barrier_signal -1
	s_barrier_wait -1
	s_and_saveexec_b32 s6, s33
; %bb.663:                              ;   in Loop: Header=BB133_3 Depth=1
	s_delay_alu instid0(VALU_DEP_1) | instskip(NEXT) | instid1(VALU_DEP_2)
	v_xor_b32_e32 v43, 0x80000000, v41
	v_mov_b32_e32 v42, v40
	ds_store_b64 v52, v[42:43]
; %bb.664:                              ;   in Loop: Header=BB133_3 Depth=1
	s_or_b32 exec_lo, exec_lo, s6
	s_wait_dscnt 0x0
	s_barrier_signal -1
	s_barrier_wait -1
	s_and_saveexec_b32 s6, s34
	s_cbranch_execz .LBB133_666
; %bb.665:                              ;   in Loop: Header=BB133_3 Depth=1
	ds_load_b64 v[42:43], v7 offset:8832
	ds_load_b64 v[44:45], v52
	s_wait_dscnt 0x0
	v_fma_f64 v[40:41], -v[42:43], v[44:45], v[40:41]
.LBB133_666:                            ;   in Loop: Header=BB133_3 Depth=1
	s_or_b32 exec_lo, exec_lo, s6
	s_barrier_signal -1
	s_barrier_wait -1
	s_and_saveexec_b32 s6, s34
; %bb.667:                              ;   in Loop: Header=BB133_3 Depth=1
	s_delay_alu instid0(VALU_DEP_1) | instskip(NEXT) | instid1(VALU_DEP_2)
	v_xor_b32_e32 v43, 0x80000000, v41
	v_mov_b32_e32 v42, v40
	ds_store_b64 v52, v[42:43]
; %bb.668:                              ;   in Loop: Header=BB133_3 Depth=1
	s_or_b32 exec_lo, exec_lo, s6
	s_wait_dscnt 0x0
	s_barrier_signal -1
	s_barrier_wait -1
	s_barrier_signal -1
	s_barrier_wait -1
	s_and_saveexec_b32 s6, s2
; %bb.669:                              ;   in Loop: Header=BB133_3 Depth=1
	ds_store_b64 v55, v[40:41] offset:11904
; %bb.670:                              ;   in Loop: Header=BB133_3 Depth=1
	s_or_b32 exec_lo, exec_lo, s6
	s_wait_dscnt 0x0
	s_barrier_signal -1
	s_barrier_wait -1
	s_barrier_signal -1
	s_barrier_wait -1
	s_and_saveexec_b32 s6, s10
; %bb.671:                              ;   in Loop: Header=BB133_3 Depth=1
	v_add_nc_u32_e64 v40, 0x2000, 0
	ds_store_2addr_b64 v40, v[26:27], v[26:27] offset0:146 offset1:211
; %bb.672:                              ;   in Loop: Header=BB133_3 Depth=1
	s_or_b32 exec_lo, exec_lo, s6
	v_mov_b64_e32 v[40:41], 0
	s_wait_dscnt 0x0
	s_barrier_signal -1
	s_barrier_wait -1
	global_wb scope:SCOPE_DEV
	s_wait_storecnt 0x0
	global_inv scope:SCOPE_DEV
	s_and_saveexec_b32 s6, s1
	s_cbranch_execz .LBB133_676
; %bb.673:                              ;   in Loop: Header=BB133_3 Depth=1
	ds_load_b64 v[40:41], v49 offset:9344
	ds_load_b64 v[42:43], v48 offset:9872
	s_wait_dscnt 0x0
	v_fma_f64 v[40:41], v[40:41], v[42:43], 0
	s_and_saveexec_b32 s8, s11
	s_cbranch_execz .LBB133_675
; %bb.674:                              ;   in Loop: Header=BB133_3 Depth=1
	ds_load_b64 v[42:43], v50 offset:9856
	ds_load_b64 v[44:45], v7 offset:9880
	s_wait_dscnt 0x0
	v_fmac_f64_e32 v[40:41], v[42:43], v[44:45]
.LBB133_675:                            ;   in Loop: Header=BB133_3 Depth=1
	s_or_b32 exec_lo, exec_lo, s8
.LBB133_676:                            ;   in Loop: Header=BB133_3 Depth=1
	s_delay_alu instid0(SALU_CYCLE_1)
	s_or_b32 exec_lo, exec_lo, s6
	s_and_saveexec_b32 s6, s101
; %bb.677:                              ;   in Loop: Header=BB133_3 Depth=1
	s_delay_alu instid0(VALU_DEP_1) | instskip(NEXT) | instid1(VALU_DEP_2)
	v_xor_b32_e32 v43, 0x80000000, v41
	v_mov_b32_e32 v42, v40
	ds_store_b64 v5, v[42:43]
; %bb.678:                              ;   in Loop: Header=BB133_3 Depth=1
	s_or_b32 exec_lo, exec_lo, s6
	s_wait_loadcnt_dscnt 0x0
	s_barrier_signal -1
	s_barrier_wait -1
	s_and_saveexec_b32 s6, s102
	s_cbranch_execz .LBB133_680
; %bb.679:                              ;   in Loop: Header=BB133_3 Depth=1
	ds_load_b64 v[42:43], v7 offset:8832
	ds_load_b64 v[44:45], v5
	s_wait_dscnt 0x0
	v_fma_f64 v[40:41], -v[42:43], v[44:45], v[40:41]
.LBB133_680:                            ;   in Loop: Header=BB133_3 Depth=1
	s_or_b32 exec_lo, exec_lo, s6
	s_barrier_signal -1
	s_barrier_wait -1
	s_and_saveexec_b32 s6, s102
; %bb.681:                              ;   in Loop: Header=BB133_3 Depth=1
	s_delay_alu instid0(VALU_DEP_1) | instskip(NEXT) | instid1(VALU_DEP_2)
	v_xor_b32_e32 v43, 0x80000000, v41
	v_mov_b32_e32 v42, v40
	ds_store_b64 v5, v[42:43]
; %bb.682:                              ;   in Loop: Header=BB133_3 Depth=1
	s_or_b32 exec_lo, exec_lo, s6
	s_wait_dscnt 0x0
	s_barrier_signal -1
	s_barrier_wait -1
	s_barrier_signal -1
	s_barrier_wait -1
	s_and_saveexec_b32 s6, s1
; %bb.683:                              ;   in Loop: Header=BB133_3 Depth=1
	ds_store_b64 v51, v[40:41] offset:9856
; %bb.684:                              ;   in Loop: Header=BB133_3 Depth=1
	s_or_b32 exec_lo, exec_lo, s6
	s_wait_dscnt 0x0
	s_barrier_signal -1
	s_barrier_wait -1
	s_barrier_signal -1
	s_barrier_wait -1
	s_and_saveexec_b32 s6, s10
; %bb.685:                              ;   in Loop: Header=BB133_3 Depth=1
	v_add_nc_u32_e64 v40, 0x2000, 0
	ds_store_2addr_b64 v40, v[26:27], v[26:27] offset0:16 offset1:81
; %bb.686:                              ;   in Loop: Header=BB133_3 Depth=1
	s_or_b32 exec_lo, exec_lo, s6
	v_mov_b64_e32 v[40:41], 0
	s_wait_dscnt 0x0
	s_barrier_signal -1
	s_barrier_wait -1
	global_wb scope:SCOPE_DEV
	s_wait_storecnt 0x0
	global_inv scope:SCOPE_DEV
	s_and_saveexec_b32 s8, s4
	s_cbranch_execz .LBB133_714
; %bb.687:                              ;   in Loop: Header=BB133_3 Depth=1
	ds_load_b64 v[40:41], v62 offset:8192
	ds_load_b64 v[42:43], v61 offset:16000
	s_wait_dscnt 0x0
	v_fma_f64 v[40:41], v[40:41], v[42:43], 0
	s_mov_b32 s6, exec_lo
	v_readlane_b32 s9, v88, 24
	s_and_b32 s9, s6, s9
	s_delay_alu instid0(SALU_CYCLE_1)
	s_mov_b32 exec_lo, s9
	s_cbranch_execz .LBB133_689
; %bb.688:                              ;   in Loop: Header=BB133_3 Depth=1
	ds_load_b64 v[42:43], v62 offset:8704
	ds_load_b64 v[44:45], v61 offset:16008
	s_wait_dscnt 0x0
	v_fmac_f64_e32 v[40:41], v[42:43], v[44:45]
.LBB133_689:                            ;   in Loop: Header=BB133_3 Depth=1
	s_or_b32 exec_lo, exec_lo, s6
	s_delay_alu instid0(SALU_CYCLE_1) | instskip(SKIP_2) | instid1(SALU_CYCLE_1)
	s_mov_b32 s6, exec_lo
	v_readlane_b32 s9, v88, 25
	s_and_b32 s9, s6, s9
	s_mov_b32 exec_lo, s9
	s_cbranch_execz .LBB133_691
; %bb.690:                              ;   in Loop: Header=BB133_3 Depth=1
	ds_load_b64 v[42:43], v62 offset:9216
	ds_load_b64 v[44:45], v61 offset:16016
	s_wait_dscnt 0x0
	v_fmac_f64_e32 v[40:41], v[42:43], v[44:45]
.LBB133_691:                            ;   in Loop: Header=BB133_3 Depth=1
	s_or_b32 exec_lo, exec_lo, s6
	s_delay_alu instid0(SALU_CYCLE_1) | instskip(SKIP_2) | instid1(SALU_CYCLE_1)
	s_mov_b32 s6, exec_lo
	v_readlane_b32 s9, v88, 26
	s_and_b32 s9, s6, s9
	;; [unrolled: 13-line block ×10, first 2 shown]
	s_mov_b32 exec_lo, s9
	s_cbranch_execnz .LBB133_1041
; %bb.708:                              ;   in Loop: Header=BB133_3 Depth=1
	s_or_b32 exec_lo, exec_lo, s6
	s_and_saveexec_b32 s6, s3
	s_cbranch_execnz .LBB133_1042
.LBB133_709:                            ;   in Loop: Header=BB133_3 Depth=1
	s_or_b32 exec_lo, exec_lo, s6
	s_and_saveexec_b32 s6, s15
	s_cbranch_execnz .LBB133_1043
.LBB133_710:                            ;   in Loop: Header=BB133_3 Depth=1
	s_or_b32 exec_lo, exec_lo, s6
	s_and_saveexec_b32 s6, s17
	s_cbranch_execnz .LBB133_1044
.LBB133_711:                            ;   in Loop: Header=BB133_3 Depth=1
	s_or_b32 exec_lo, exec_lo, s6
	s_and_saveexec_b32 s6, s2
	s_cbranch_execz .LBB133_713
.LBB133_712:                            ;   in Loop: Header=BB133_3 Depth=1
	ds_load_b64 v[42:43], v50 offset:15872
	ds_load_b64 v[44:45], v7 offset:16120
	s_wait_dscnt 0x0
	v_fmac_f64_e32 v[40:41], v[42:43], v[44:45]
.LBB133_713:                            ;   in Loop: Header=BB133_3 Depth=1
	s_or_b32 exec_lo, exec_lo, s6
.LBB133_714:                            ;   in Loop: Header=BB133_3 Depth=1
	s_delay_alu instid0(SALU_CYCLE_1) | instskip(NEXT) | instid1(SALU_CYCLE_1)
	s_or_b32 exec_lo, exec_lo, s8
	s_mov_b32 s6, exec_lo
	v_readlane_b32 s8, v88, 2
	s_and_b32 s8, s6, s8
	s_delay_alu instid0(SALU_CYCLE_1)
	s_mov_b32 exec_lo, s8
; %bb.715:                              ;   in Loop: Header=BB133_3 Depth=1
	v_xor_b32_e32 v43, 0x80000000, v41
	v_mov_b32_e32 v42, v40
	ds_store_b64 v60, v[42:43]
; %bb.716:                              ;   in Loop: Header=BB133_3 Depth=1
	s_or_b32 exec_lo, exec_lo, s6
	s_wait_loadcnt_dscnt 0x0
	s_barrier_signal -1
	s_barrier_wait -1
	s_mov_b32 s6, exec_lo
	v_readlane_b32 s8, v88, 3
	s_and_b32 s8, s6, s8
	s_delay_alu instid0(SALU_CYCLE_1)
	s_mov_b32 exec_lo, s8
	s_cbranch_execz .LBB133_718
; %bb.717:                              ;   in Loop: Header=BB133_3 Depth=1
	ds_load_b64 v[42:43], v62 offset:7680
	ds_load_b64 v[44:45], v60
	s_wait_dscnt 0x0
	v_fma_f64 v[40:41], -v[42:43], v[44:45], v[40:41]
.LBB133_718:                            ;   in Loop: Header=BB133_3 Depth=1
	s_or_b32 exec_lo, exec_lo, s6
	s_barrier_signal -1
	s_barrier_wait -1
	s_mov_b32 s6, exec_lo
	v_readlane_b32 s8, v88, 4
	s_and_b32 s8, s6, s8
	s_delay_alu instid0(SALU_CYCLE_1)
	s_mov_b32 exec_lo, s8
; %bb.719:                              ;   in Loop: Header=BB133_3 Depth=1
	v_xor_b32_e32 v43, 0x80000000, v41
	v_mov_b32_e32 v42, v40
	ds_store_b64 v60, v[42:43]
; %bb.720:                              ;   in Loop: Header=BB133_3 Depth=1
	s_or_b32 exec_lo, exec_lo, s6
	s_wait_dscnt 0x0
	s_barrier_signal -1
	s_barrier_wait -1
	s_mov_b32 s6, exec_lo
	v_readlane_b32 s8, v88, 5
	s_and_b32 s8, s6, s8
	s_delay_alu instid0(SALU_CYCLE_1)
	s_mov_b32 exec_lo, s8
	s_cbranch_execz .LBB133_722
; %bb.721:                              ;   in Loop: Header=BB133_3 Depth=1
	ds_load_b64 v[42:43], v62 offset:7168
	ds_load_b64 v[44:45], v60
	s_wait_dscnt 0x0
	v_fma_f64 v[40:41], -v[42:43], v[44:45], v[40:41]
.LBB133_722:                            ;   in Loop: Header=BB133_3 Depth=1
	s_or_b32 exec_lo, exec_lo, s6
	s_barrier_signal -1
	s_barrier_wait -1
	s_mov_b32 s6, exec_lo
	v_readlane_b32 s8, v88, 6
	s_and_b32 s8, s6, s8
	s_delay_alu instid0(SALU_CYCLE_1)
	s_mov_b32 exec_lo, s8
; %bb.723:                              ;   in Loop: Header=BB133_3 Depth=1
	v_xor_b32_e32 v43, 0x80000000, v41
	v_mov_b32_e32 v42, v40
	ds_store_b64 v60, v[42:43]
; %bb.724:                              ;   in Loop: Header=BB133_3 Depth=1
	s_or_b32 exec_lo, exec_lo, s6
	s_wait_dscnt 0x0
	;; [unrolled: 29-line block ×4, first 2 shown]
	s_barrier_signal -1
	s_barrier_wait -1
	s_and_saveexec_b32 s6, s25
	s_cbranch_execz .LBB133_734
; %bb.733:                              ;   in Loop: Header=BB133_3 Depth=1
	ds_load_b64 v[42:43], v62 offset:5632
	ds_load_b64 v[44:45], v60
	s_wait_dscnt 0x0
	v_fma_f64 v[40:41], -v[42:43], v[44:45], v[40:41]
.LBB133_734:                            ;   in Loop: Header=BB133_3 Depth=1
	s_or_b32 exec_lo, exec_lo, s6
	s_barrier_signal -1
	s_barrier_wait -1
	s_and_saveexec_b32 s6, s27
; %bb.735:                              ;   in Loop: Header=BB133_3 Depth=1
	s_delay_alu instid0(VALU_DEP_1) | instskip(NEXT) | instid1(VALU_DEP_2)
	v_xor_b32_e32 v43, 0x80000000, v41
	v_mov_b32_e32 v42, v40
	ds_store_b64 v60, v[42:43]
; %bb.736:                              ;   in Loop: Header=BB133_3 Depth=1
	s_or_b32 exec_lo, exec_lo, s6
	s_wait_dscnt 0x0
	s_barrier_signal -1
	s_barrier_wait -1
	s_and_saveexec_b32 s6, s29
	s_cbranch_execz .LBB133_738
; %bb.737:                              ;   in Loop: Header=BB133_3 Depth=1
	ds_load_b64 v[42:43], v62 offset:5120
	ds_load_b64 v[44:45], v60
	s_wait_dscnt 0x0
	v_fma_f64 v[40:41], -v[42:43], v[44:45], v[40:41]
.LBB133_738:                            ;   in Loop: Header=BB133_3 Depth=1
	s_or_b32 exec_lo, exec_lo, s6
	s_barrier_signal -1
	s_barrier_wait -1
	s_and_saveexec_b32 s6, s57
; %bb.739:                              ;   in Loop: Header=BB133_3 Depth=1
	s_delay_alu instid0(VALU_DEP_1) | instskip(NEXT) | instid1(VALU_DEP_2)
	v_xor_b32_e32 v43, 0x80000000, v41
	v_mov_b32_e32 v42, v40
	ds_store_b64 v60, v[42:43]
; %bb.740:                              ;   in Loop: Header=BB133_3 Depth=1
	s_or_b32 exec_lo, exec_lo, s6
	s_wait_dscnt 0x0
	;; [unrolled: 22-line block ×11, first 2 shown]
	s_barrier_signal -1
	s_barrier_wait -1
	s_barrier_signal -1
	s_barrier_wait -1
	s_and_saveexec_b32 s6, s4
; %bb.777:                              ;   in Loop: Header=BB133_3 Depth=1
	ds_store_b64 v63, v[40:41] offset:15872
; %bb.778:                              ;   in Loop: Header=BB133_3 Depth=1
	s_or_b32 exec_lo, exec_lo, s6
	s_wait_dscnt 0x0
	s_barrier_signal -1
	s_barrier_wait -1
	s_barrier_signal -1
	s_barrier_wait -1
	s_and_saveexec_b32 s6, s10
; %bb.779:                              ;   in Loop: Header=BB133_3 Depth=1
	v_add_nc_u32_e64 v40, 0x1800, 0
	ds_store_2addr_b64 v40, v[26:27], v[26:27] offset0:142 offset1:207
; %bb.780:                              ;   in Loop: Header=BB133_3 Depth=1
	s_or_b32 exec_lo, exec_lo, s6
	v_mov_b64_e32 v[40:41], 0
	s_wait_dscnt 0x0
	s_barrier_signal -1
	s_barrier_wait -1
	global_wb scope:SCOPE_DEV
	s_wait_storecnt 0x0
	global_inv scope:SCOPE_DEV
	s_and_saveexec_b32 s6, s1
	s_cbranch_execz .LBB133_784
; %bb.781:                              ;   in Loop: Header=BB133_3 Depth=1
	ds_load_b64 v[40:41], v49 offset:7264
	ds_load_b64 v[42:43], v48 offset:7792
	s_wait_dscnt 0x0
	v_fma_f64 v[40:41], v[40:41], v[42:43], 0
	s_and_saveexec_b32 s8, s11
	s_cbranch_execz .LBB133_783
; %bb.782:                              ;   in Loop: Header=BB133_3 Depth=1
	ds_load_b64 v[42:43], v50 offset:7776
	ds_load_b64 v[44:45], v7 offset:7800
	s_wait_dscnt 0x0
	v_fmac_f64_e32 v[40:41], v[42:43], v[44:45]
.LBB133_783:                            ;   in Loop: Header=BB133_3 Depth=1
	s_or_b32 exec_lo, exec_lo, s8
.LBB133_784:                            ;   in Loop: Header=BB133_3 Depth=1
	s_delay_alu instid0(SALU_CYCLE_1)
	s_or_b32 exec_lo, exec_lo, s6
	s_and_saveexec_b32 s6, s101
; %bb.785:                              ;   in Loop: Header=BB133_3 Depth=1
	s_delay_alu instid0(VALU_DEP_1) | instskip(NEXT) | instid1(VALU_DEP_2)
	v_xor_b32_e32 v43, 0x80000000, v41
	v_mov_b32_e32 v42, v40
	ds_store_b64 v5, v[42:43]
; %bb.786:                              ;   in Loop: Header=BB133_3 Depth=1
	s_or_b32 exec_lo, exec_lo, s6
	s_wait_loadcnt_dscnt 0x0
	s_barrier_signal -1
	s_barrier_wait -1
	s_and_saveexec_b32 s6, s102
	s_cbranch_execz .LBB133_788
; %bb.787:                              ;   in Loop: Header=BB133_3 Depth=1
	ds_load_b64 v[42:43], v7 offset:6752
	ds_load_b64 v[44:45], v5
	s_wait_dscnt 0x0
	v_fma_f64 v[40:41], -v[42:43], v[44:45], v[40:41]
.LBB133_788:                            ;   in Loop: Header=BB133_3 Depth=1
	s_or_b32 exec_lo, exec_lo, s6
	s_barrier_signal -1
	s_barrier_wait -1
	s_and_saveexec_b32 s6, s102
; %bb.789:                              ;   in Loop: Header=BB133_3 Depth=1
	s_delay_alu instid0(VALU_DEP_1) | instskip(NEXT) | instid1(VALU_DEP_2)
	v_xor_b32_e32 v43, 0x80000000, v41
	v_mov_b32_e32 v42, v40
	ds_store_b64 v5, v[42:43]
; %bb.790:                              ;   in Loop: Header=BB133_3 Depth=1
	s_or_b32 exec_lo, exec_lo, s6
	s_wait_dscnt 0x0
	s_barrier_signal -1
	s_barrier_wait -1
	s_barrier_signal -1
	s_barrier_wait -1
	s_and_saveexec_b32 s6, s1
; %bb.791:                              ;   in Loop: Header=BB133_3 Depth=1
	ds_store_b64 v51, v[40:41] offset:7776
; %bb.792:                              ;   in Loop: Header=BB133_3 Depth=1
	s_or_b32 exec_lo, exec_lo, s6
	s_wait_dscnt 0x0
	s_barrier_signal -1
	s_barrier_wait -1
	s_barrier_signal -1
	s_barrier_wait -1
	s_and_saveexec_b32 s6, s10
; %bb.793:                              ;   in Loop: Header=BB133_3 Depth=1
	v_add_nc_u32_e64 v40, 0x1800, 0
	ds_store_2addr_b64 v40, v[26:27], v[26:27] offset0:12 offset1:77
; %bb.794:                              ;   in Loop: Header=BB133_3 Depth=1
	s_or_b32 exec_lo, exec_lo, s6
	v_mov_b64_e32 v[40:41], 0
	s_wait_dscnt 0x0
	s_barrier_signal -1
	s_barrier_wait -1
	global_wb scope:SCOPE_DEV
	s_wait_storecnt 0x0
	global_inv scope:SCOPE_DEV
	s_and_saveexec_b32 s8, s2
	s_cbranch_execz .LBB133_800
; %bb.795:                              ;   in Loop: Header=BB133_3 Depth=1
	ds_load_b64 v[40:41], v54 offset:6208
	ds_load_b64 v[42:43], v53 offset:7776
	s_wait_dscnt 0x0
	v_fma_f64 v[40:41], v[40:41], v[42:43], 0
	s_and_saveexec_b32 s6, s12
	s_cbranch_execnz .LBB133_1045
; %bb.796:                              ;   in Loop: Header=BB133_3 Depth=1
	s_or_b32 exec_lo, exec_lo, s6
	s_and_saveexec_b32 s6, s13
	s_cbranch_execnz .LBB133_1046
.LBB133_797:                            ;   in Loop: Header=BB133_3 Depth=1
	s_or_b32 exec_lo, exec_lo, s6
	s_and_saveexec_b32 s6, s1
	s_cbranch_execz .LBB133_799
.LBB133_798:                            ;   in Loop: Header=BB133_3 Depth=1
	ds_load_b64 v[42:43], v50 offset:7744
	ds_load_b64 v[44:45], v7 offset:7800
	s_wait_dscnt 0x0
	v_fmac_f64_e32 v[40:41], v[42:43], v[44:45]
.LBB133_799:                            ;   in Loop: Header=BB133_3 Depth=1
	s_or_b32 exec_lo, exec_lo, s6
.LBB133_800:                            ;   in Loop: Header=BB133_3 Depth=1
	s_delay_alu instid0(SALU_CYCLE_1)
	s_or_b32 exec_lo, exec_lo, s8
	s_and_saveexec_b32 s6, s103
; %bb.801:                              ;   in Loop: Header=BB133_3 Depth=1
	s_delay_alu instid0(VALU_DEP_1) | instskip(NEXT) | instid1(VALU_DEP_2)
	v_xor_b32_e32 v43, 0x80000000, v41
	v_mov_b32_e32 v42, v40
	ds_store_b64 v52, v[42:43]
; %bb.802:                              ;   in Loop: Header=BB133_3 Depth=1
	s_or_b32 exec_lo, exec_lo, s6
	s_wait_loadcnt_dscnt 0x0
	s_barrier_signal -1
	s_barrier_wait -1
	s_and_saveexec_b32 s6, s104
	s_cbranch_execz .LBB133_804
; %bb.803:                              ;   in Loop: Header=BB133_3 Depth=1
	ds_load_b64 v[42:43], v54 offset:5696
	ds_load_b64 v[44:45], v52
	s_wait_dscnt 0x0
	v_fma_f64 v[40:41], -v[42:43], v[44:45], v[40:41]
.LBB133_804:                            ;   in Loop: Header=BB133_3 Depth=1
	s_or_b32 exec_lo, exec_lo, s6
	s_barrier_signal -1
	s_barrier_wait -1
	s_and_saveexec_b32 s6, vcc_hi
; %bb.805:                              ;   in Loop: Header=BB133_3 Depth=1
	s_delay_alu instid0(VALU_DEP_1) | instskip(NEXT) | instid1(VALU_DEP_2)
	v_xor_b32_e32 v43, 0x80000000, v41
	v_mov_b32_e32 v42, v40
	ds_store_b64 v52, v[42:43]
; %bb.806:                              ;   in Loop: Header=BB133_3 Depth=1
	s_or_b32 exec_lo, exec_lo, s6
	s_wait_dscnt 0x0
	s_barrier_signal -1
	s_barrier_wait -1
	s_and_saveexec_b32 s6, s31
	s_cbranch_execz .LBB133_808
; %bb.807:                              ;   in Loop: Header=BB133_3 Depth=1
	ds_load_b64 v[42:43], v54 offset:5184
	ds_load_b64 v[44:45], v52
	s_wait_dscnt 0x0
	v_fma_f64 v[40:41], -v[42:43], v[44:45], v[40:41]
.LBB133_808:                            ;   in Loop: Header=BB133_3 Depth=1
	s_or_b32 exec_lo, exec_lo, s6
	s_barrier_signal -1
	s_barrier_wait -1
	s_and_saveexec_b32 s6, s33
; %bb.809:                              ;   in Loop: Header=BB133_3 Depth=1
	s_delay_alu instid0(VALU_DEP_1) | instskip(NEXT) | instid1(VALU_DEP_2)
	v_xor_b32_e32 v43, 0x80000000, v41
	v_mov_b32_e32 v42, v40
	ds_store_b64 v52, v[42:43]
; %bb.810:                              ;   in Loop: Header=BB133_3 Depth=1
	s_or_b32 exec_lo, exec_lo, s6
	s_wait_dscnt 0x0
	s_barrier_signal -1
	s_barrier_wait -1
	s_and_saveexec_b32 s6, s34
	s_cbranch_execz .LBB133_812
; %bb.811:                              ;   in Loop: Header=BB133_3 Depth=1
	ds_load_b64 v[42:43], v7 offset:4672
	ds_load_b64 v[44:45], v52
	s_wait_dscnt 0x0
	v_fma_f64 v[40:41], -v[42:43], v[44:45], v[40:41]
.LBB133_812:                            ;   in Loop: Header=BB133_3 Depth=1
	s_or_b32 exec_lo, exec_lo, s6
	s_barrier_signal -1
	s_barrier_wait -1
	s_and_saveexec_b32 s6, s34
; %bb.813:                              ;   in Loop: Header=BB133_3 Depth=1
	s_delay_alu instid0(VALU_DEP_1) | instskip(NEXT) | instid1(VALU_DEP_2)
	v_xor_b32_e32 v43, 0x80000000, v41
	v_mov_b32_e32 v42, v40
	ds_store_b64 v52, v[42:43]
; %bb.814:                              ;   in Loop: Header=BB133_3 Depth=1
	s_or_b32 exec_lo, exec_lo, s6
	s_wait_dscnt 0x0
	s_barrier_signal -1
	s_barrier_wait -1
	s_barrier_signal -1
	s_barrier_wait -1
	s_and_saveexec_b32 s6, s2
; %bb.815:                              ;   in Loop: Header=BB133_3 Depth=1
	ds_store_b64 v55, v[40:41] offset:7744
; %bb.816:                              ;   in Loop: Header=BB133_3 Depth=1
	s_or_b32 exec_lo, exec_lo, s6
	s_wait_dscnt 0x0
	s_barrier_signal -1
	s_barrier_wait -1
	s_barrier_signal -1
	s_barrier_wait -1
	s_and_saveexec_b32 s6, s10
; %bb.817:                              ;   in Loop: Header=BB133_3 Depth=1
	v_add_nc_u32_e64 v40, 0x1000, 0
	ds_store_2addr_b64 v40, v[26:27], v[26:27] offset0:138 offset1:203
; %bb.818:                              ;   in Loop: Header=BB133_3 Depth=1
	s_or_b32 exec_lo, exec_lo, s6
	v_mov_b64_e32 v[40:41], 0
	s_wait_dscnt 0x0
	s_barrier_signal -1
	s_barrier_wait -1
	global_wb scope:SCOPE_DEV
	s_wait_storecnt 0x0
	global_inv scope:SCOPE_DEV
	s_and_saveexec_b32 s6, s1
	s_cbranch_execz .LBB133_822
; %bb.819:                              ;   in Loop: Header=BB133_3 Depth=1
	ds_load_b64 v[40:41], v49 offset:5184
	ds_load_b64 v[42:43], v48 offset:5712
	s_wait_dscnt 0x0
	v_fma_f64 v[40:41], v[40:41], v[42:43], 0
	s_and_saveexec_b32 s8, s11
	s_cbranch_execz .LBB133_821
; %bb.820:                              ;   in Loop: Header=BB133_3 Depth=1
	ds_load_b64 v[42:43], v50 offset:5696
	ds_load_b64 v[44:45], v7 offset:5720
	s_wait_dscnt 0x0
	v_fmac_f64_e32 v[40:41], v[42:43], v[44:45]
.LBB133_821:                            ;   in Loop: Header=BB133_3 Depth=1
	s_or_b32 exec_lo, exec_lo, s8
.LBB133_822:                            ;   in Loop: Header=BB133_3 Depth=1
	s_delay_alu instid0(SALU_CYCLE_1)
	s_or_b32 exec_lo, exec_lo, s6
	s_and_saveexec_b32 s6, s101
; %bb.823:                              ;   in Loop: Header=BB133_3 Depth=1
	s_delay_alu instid0(VALU_DEP_1) | instskip(NEXT) | instid1(VALU_DEP_2)
	v_xor_b32_e32 v43, 0x80000000, v41
	v_mov_b32_e32 v42, v40
	ds_store_b64 v5, v[42:43]
; %bb.824:                              ;   in Loop: Header=BB133_3 Depth=1
	s_or_b32 exec_lo, exec_lo, s6
	s_wait_loadcnt_dscnt 0x0
	s_barrier_signal -1
	s_barrier_wait -1
	s_and_saveexec_b32 s6, s102
	s_cbranch_execz .LBB133_826
; %bb.825:                              ;   in Loop: Header=BB133_3 Depth=1
	ds_load_b64 v[42:43], v7 offset:4672
	ds_load_b64 v[44:45], v5
	s_wait_dscnt 0x0
	v_fma_f64 v[40:41], -v[42:43], v[44:45], v[40:41]
.LBB133_826:                            ;   in Loop: Header=BB133_3 Depth=1
	s_or_b32 exec_lo, exec_lo, s6
	s_barrier_signal -1
	s_barrier_wait -1
	s_and_saveexec_b32 s6, s102
; %bb.827:                              ;   in Loop: Header=BB133_3 Depth=1
	s_delay_alu instid0(VALU_DEP_1) | instskip(NEXT) | instid1(VALU_DEP_2)
	v_xor_b32_e32 v43, 0x80000000, v41
	v_mov_b32_e32 v42, v40
	ds_store_b64 v5, v[42:43]
; %bb.828:                              ;   in Loop: Header=BB133_3 Depth=1
	s_or_b32 exec_lo, exec_lo, s6
	s_wait_dscnt 0x0
	s_barrier_signal -1
	s_barrier_wait -1
	s_barrier_signal -1
	s_barrier_wait -1
	s_and_saveexec_b32 s6, s1
; %bb.829:                              ;   in Loop: Header=BB133_3 Depth=1
	ds_store_b64 v51, v[40:41] offset:5696
; %bb.830:                              ;   in Loop: Header=BB133_3 Depth=1
	s_or_b32 exec_lo, exec_lo, s6
	s_wait_dscnt 0x0
	s_barrier_signal -1
	s_barrier_wait -1
	s_barrier_signal -1
	s_barrier_wait -1
	s_and_saveexec_b32 s6, s10
; %bb.831:                              ;   in Loop: Header=BB133_3 Depth=1
	v_add_nc_u32_e64 v40, 0x1000, 0
	ds_store_2addr_b64 v40, v[26:27], v[26:27] offset0:8 offset1:73
; %bb.832:                              ;   in Loop: Header=BB133_3 Depth=1
	s_or_b32 exec_lo, exec_lo, s6
	v_mov_b64_e32 v[40:41], 0
	s_wait_dscnt 0x0
	s_barrier_signal -1
	s_barrier_wait -1
	global_wb scope:SCOPE_DEV
	s_wait_storecnt 0x0
	global_inv scope:SCOPE_DEV
	s_and_saveexec_b32 s8, s3
	s_cbranch_execz .LBB133_842
; %bb.833:                              ;   in Loop: Header=BB133_3 Depth=1
	ds_load_b64 v[40:41], v58 offset:4096
	ds_load_b64 v[42:43], v57 offset:7744
	s_wait_dscnt 0x0
	v_fma_f64 v[40:41], v[40:41], v[42:43], 0
	s_and_saveexec_b32 s6, s14
	s_cbranch_execnz .LBB133_1047
; %bb.834:                              ;   in Loop: Header=BB133_3 Depth=1
	s_or_b32 exec_lo, exec_lo, s6
	s_and_saveexec_b32 s6, s15
	s_cbranch_execnz .LBB133_1048
.LBB133_835:                            ;   in Loop: Header=BB133_3 Depth=1
	s_or_b32 exec_lo, exec_lo, s6
	s_and_saveexec_b32 s6, s16
	s_cbranch_execnz .LBB133_1049
.LBB133_836:                            ;   in Loop: Header=BB133_3 Depth=1
	s_or_b32 exec_lo, exec_lo, s6
	s_and_saveexec_b32 s6, s17
	s_cbranch_execnz .LBB133_1050
.LBB133_837:                            ;   in Loop: Header=BB133_3 Depth=1
	s_or_b32 exec_lo, exec_lo, s6
	s_and_saveexec_b32 s6, s18
	s_cbranch_execnz .LBB133_1051
.LBB133_838:                            ;   in Loop: Header=BB133_3 Depth=1
	s_or_b32 exec_lo, exec_lo, s6
	s_and_saveexec_b32 s6, s2
	s_cbranch_execnz .LBB133_1052
.LBB133_839:                            ;   in Loop: Header=BB133_3 Depth=1
	s_or_b32 exec_lo, exec_lo, s6
	s_and_saveexec_b32 s6, s13
	s_cbranch_execz .LBB133_841
.LBB133_840:                            ;   in Loop: Header=BB133_3 Depth=1
	ds_load_b64 v[42:43], v50 offset:7680
	ds_load_b64 v[44:45], v7 offset:7800
	s_wait_dscnt 0x0
	v_fmac_f64_e32 v[40:41], v[42:43], v[44:45]
.LBB133_841:                            ;   in Loop: Header=BB133_3 Depth=1
	s_or_b32 exec_lo, exec_lo, s6
.LBB133_842:                            ;   in Loop: Header=BB133_3 Depth=1
	s_delay_alu instid0(SALU_CYCLE_1)
	s_or_b32 exec_lo, exec_lo, s8
	s_and_saveexec_b32 s6, s35
; %bb.843:                              ;   in Loop: Header=BB133_3 Depth=1
	s_delay_alu instid0(VALU_DEP_1) | instskip(NEXT) | instid1(VALU_DEP_2)
	v_xor_b32_e32 v43, 0x80000000, v41
	v_mov_b32_e32 v42, v40
	ds_store_b64 v56, v[42:43]
; %bb.844:                              ;   in Loop: Header=BB133_3 Depth=1
	s_or_b32 exec_lo, exec_lo, s6
	s_wait_loadcnt_dscnt 0x0
	s_barrier_signal -1
	s_barrier_wait -1
	s_and_saveexec_b32 s6, s36
	s_cbranch_execz .LBB133_846
; %bb.845:                              ;   in Loop: Header=BB133_3 Depth=1
	ds_load_b64 v[42:43], v58 offset:3584
	ds_load_b64 v[44:45], v56
	s_wait_dscnt 0x0
	v_fma_f64 v[40:41], -v[42:43], v[44:45], v[40:41]
.LBB133_846:                            ;   in Loop: Header=BB133_3 Depth=1
	s_or_b32 exec_lo, exec_lo, s6
	s_barrier_signal -1
	s_barrier_wait -1
	s_and_saveexec_b32 s6, s37
; %bb.847:                              ;   in Loop: Header=BB133_3 Depth=1
	s_delay_alu instid0(VALU_DEP_1) | instskip(NEXT) | instid1(VALU_DEP_2)
	v_xor_b32_e32 v43, 0x80000000, v41
	v_mov_b32_e32 v42, v40
	ds_store_b64 v56, v[42:43]
; %bb.848:                              ;   in Loop: Header=BB133_3 Depth=1
	s_or_b32 exec_lo, exec_lo, s6
	s_wait_dscnt 0x0
	s_barrier_signal -1
	s_barrier_wait -1
	s_and_saveexec_b32 s6, s38
	s_cbranch_execz .LBB133_850
; %bb.849:                              ;   in Loop: Header=BB133_3 Depth=1
	ds_load_b64 v[42:43], v58 offset:3072
	ds_load_b64 v[44:45], v56
	s_wait_dscnt 0x0
	v_fma_f64 v[40:41], -v[42:43], v[44:45], v[40:41]
.LBB133_850:                            ;   in Loop: Header=BB133_3 Depth=1
	s_or_b32 exec_lo, exec_lo, s6
	s_barrier_signal -1
	s_barrier_wait -1
	s_and_saveexec_b32 s6, s39
; %bb.851:                              ;   in Loop: Header=BB133_3 Depth=1
	s_delay_alu instid0(VALU_DEP_1) | instskip(NEXT) | instid1(VALU_DEP_2)
	v_xor_b32_e32 v43, 0x80000000, v41
	v_mov_b32_e32 v42, v40
	ds_store_b64 v56, v[42:43]
; %bb.852:                              ;   in Loop: Header=BB133_3 Depth=1
	s_or_b32 exec_lo, exec_lo, s6
	s_wait_dscnt 0x0
	;; [unrolled: 22-line block ×7, first 2 shown]
	s_barrier_signal -1
	s_barrier_wait -1
	s_barrier_signal -1
	s_barrier_wait -1
	s_and_saveexec_b32 s6, s3
; %bb.873:                              ;   in Loop: Header=BB133_3 Depth=1
	ds_store_b64 v59, v[40:41] offset:7680
; %bb.874:                              ;   in Loop: Header=BB133_3 Depth=1
	s_or_b32 exec_lo, exec_lo, s6
	s_wait_dscnt 0x0
	s_barrier_signal -1
	s_barrier_wait -1
	s_barrier_signal -1
	s_barrier_wait -1
	s_and_saveexec_b32 s6, s10
; %bb.875:                              ;   in Loop: Header=BB133_3 Depth=1
	v_add_nc_u32_e64 v40, 0x800, 0
	ds_store_2addr_b64 v40, v[26:27], v[26:27] offset0:134 offset1:199
; %bb.876:                              ;   in Loop: Header=BB133_3 Depth=1
	s_or_b32 exec_lo, exec_lo, s6
	v_mov_b64_e32 v[40:41], 0
	s_wait_dscnt 0x0
	s_barrier_signal -1
	s_barrier_wait -1
	global_wb scope:SCOPE_DEV
	s_wait_storecnt 0x0
	global_inv scope:SCOPE_DEV
	s_and_saveexec_b32 s6, s1
	s_cbranch_execz .LBB133_880
; %bb.877:                              ;   in Loop: Header=BB133_3 Depth=1
	ds_load_b64 v[40:41], v49 offset:3104
	ds_load_b64 v[42:43], v48 offset:3632
	s_wait_dscnt 0x0
	v_fma_f64 v[40:41], v[40:41], v[42:43], 0
	s_and_saveexec_b32 s8, s11
	s_cbranch_execz .LBB133_879
; %bb.878:                              ;   in Loop: Header=BB133_3 Depth=1
	ds_load_b64 v[42:43], v50 offset:3616
	ds_load_b64 v[44:45], v7 offset:3640
	s_wait_dscnt 0x0
	v_fmac_f64_e32 v[40:41], v[42:43], v[44:45]
.LBB133_879:                            ;   in Loop: Header=BB133_3 Depth=1
	s_or_b32 exec_lo, exec_lo, s8
.LBB133_880:                            ;   in Loop: Header=BB133_3 Depth=1
	s_delay_alu instid0(SALU_CYCLE_1)
	s_or_b32 exec_lo, exec_lo, s6
	s_and_saveexec_b32 s6, s101
; %bb.881:                              ;   in Loop: Header=BB133_3 Depth=1
	s_delay_alu instid0(VALU_DEP_1) | instskip(NEXT) | instid1(VALU_DEP_2)
	v_xor_b32_e32 v43, 0x80000000, v41
	v_mov_b32_e32 v42, v40
	ds_store_b64 v5, v[42:43]
; %bb.882:                              ;   in Loop: Header=BB133_3 Depth=1
	s_or_b32 exec_lo, exec_lo, s6
	s_wait_loadcnt_dscnt 0x0
	s_barrier_signal -1
	s_barrier_wait -1
	s_and_saveexec_b32 s6, s102
	s_cbranch_execz .LBB133_884
; %bb.883:                              ;   in Loop: Header=BB133_3 Depth=1
	ds_load_b64 v[42:43], v7 offset:2592
	ds_load_b64 v[44:45], v5
	s_wait_dscnt 0x0
	v_fma_f64 v[40:41], -v[42:43], v[44:45], v[40:41]
.LBB133_884:                            ;   in Loop: Header=BB133_3 Depth=1
	s_or_b32 exec_lo, exec_lo, s6
	s_barrier_signal -1
	s_barrier_wait -1
	s_and_saveexec_b32 s6, s102
; %bb.885:                              ;   in Loop: Header=BB133_3 Depth=1
	s_delay_alu instid0(VALU_DEP_1) | instskip(NEXT) | instid1(VALU_DEP_2)
	v_xor_b32_e32 v43, 0x80000000, v41
	v_mov_b32_e32 v42, v40
	ds_store_b64 v5, v[42:43]
; %bb.886:                              ;   in Loop: Header=BB133_3 Depth=1
	s_or_b32 exec_lo, exec_lo, s6
	s_wait_dscnt 0x0
	s_barrier_signal -1
	s_barrier_wait -1
	s_barrier_signal -1
	s_barrier_wait -1
	s_and_saveexec_b32 s6, s1
; %bb.887:                              ;   in Loop: Header=BB133_3 Depth=1
	ds_store_b64 v51, v[40:41] offset:3616
; %bb.888:                              ;   in Loop: Header=BB133_3 Depth=1
	s_or_b32 exec_lo, exec_lo, s6
	s_wait_dscnt 0x0
	s_barrier_signal -1
	s_barrier_wait -1
	s_barrier_signal -1
	s_barrier_wait -1
	s_and_saveexec_b32 s6, s10
; %bb.889:                              ;   in Loop: Header=BB133_3 Depth=1
	v_add_nc_u32_e64 v40, 0x800, 0
	ds_store_2addr_b64 v40, v[26:27], v[26:27] offset0:4 offset1:69
; %bb.890:                              ;   in Loop: Header=BB133_3 Depth=1
	s_or_b32 exec_lo, exec_lo, s6
	v_mov_b64_e32 v[40:41], 0
	s_wait_dscnt 0x0
	s_barrier_signal -1
	s_barrier_wait -1
	global_wb scope:SCOPE_DEV
	s_wait_storecnt 0x0
	global_inv scope:SCOPE_DEV
	s_and_saveexec_b32 s8, s2
	s_cbranch_execz .LBB133_896
; %bb.891:                              ;   in Loop: Header=BB133_3 Depth=1
	ds_load_b64 v[40:41], v54 offset:2048
	ds_load_b64 v[42:43], v53 offset:3616
	s_wait_dscnt 0x0
	v_fma_f64 v[40:41], v[40:41], v[42:43], 0
	s_and_saveexec_b32 s6, s12
	s_cbranch_execnz .LBB133_1053
; %bb.892:                              ;   in Loop: Header=BB133_3 Depth=1
	s_or_b32 exec_lo, exec_lo, s6
	s_and_saveexec_b32 s6, s13
	s_cbranch_execnz .LBB133_1054
.LBB133_893:                            ;   in Loop: Header=BB133_3 Depth=1
	s_or_b32 exec_lo, exec_lo, s6
	s_and_saveexec_b32 s6, s1
	s_cbranch_execz .LBB133_895
.LBB133_894:                            ;   in Loop: Header=BB133_3 Depth=1
	ds_load_b64 v[42:43], v50 offset:3584
	ds_load_b64 v[44:45], v7 offset:3640
	s_wait_dscnt 0x0
	v_fmac_f64_e32 v[40:41], v[42:43], v[44:45]
.LBB133_895:                            ;   in Loop: Header=BB133_3 Depth=1
	s_or_b32 exec_lo, exec_lo, s6
.LBB133_896:                            ;   in Loop: Header=BB133_3 Depth=1
	s_delay_alu instid0(SALU_CYCLE_1)
	s_or_b32 exec_lo, exec_lo, s8
	s_and_saveexec_b32 s6, s103
; %bb.897:                              ;   in Loop: Header=BB133_3 Depth=1
	s_delay_alu instid0(VALU_DEP_1) | instskip(NEXT) | instid1(VALU_DEP_2)
	v_xor_b32_e32 v43, 0x80000000, v41
	v_mov_b32_e32 v42, v40
	ds_store_b64 v52, v[42:43]
; %bb.898:                              ;   in Loop: Header=BB133_3 Depth=1
	s_or_b32 exec_lo, exec_lo, s6
	s_wait_loadcnt_dscnt 0x0
	s_barrier_signal -1
	s_barrier_wait -1
	s_and_saveexec_b32 s6, s104
	s_cbranch_execz .LBB133_900
; %bb.899:                              ;   in Loop: Header=BB133_3 Depth=1
	ds_load_b64 v[42:43], v54 offset:1536
	ds_load_b64 v[44:45], v52
	s_wait_dscnt 0x0
	v_fma_f64 v[40:41], -v[42:43], v[44:45], v[40:41]
.LBB133_900:                            ;   in Loop: Header=BB133_3 Depth=1
	s_or_b32 exec_lo, exec_lo, s6
	s_barrier_signal -1
	s_barrier_wait -1
	s_and_saveexec_b32 s6, vcc_hi
; %bb.901:                              ;   in Loop: Header=BB133_3 Depth=1
	s_delay_alu instid0(VALU_DEP_1) | instskip(NEXT) | instid1(VALU_DEP_2)
	v_xor_b32_e32 v43, 0x80000000, v41
	v_mov_b32_e32 v42, v40
	ds_store_b64 v52, v[42:43]
; %bb.902:                              ;   in Loop: Header=BB133_3 Depth=1
	s_or_b32 exec_lo, exec_lo, s6
	s_wait_dscnt 0x0
	s_barrier_signal -1
	s_barrier_wait -1
	s_and_saveexec_b32 s6, s31
	s_cbranch_execz .LBB133_904
; %bb.903:                              ;   in Loop: Header=BB133_3 Depth=1
	ds_load_b64 v[42:43], v54 offset:1024
	ds_load_b64 v[44:45], v52
	s_wait_dscnt 0x0
	v_fma_f64 v[40:41], -v[42:43], v[44:45], v[40:41]
.LBB133_904:                            ;   in Loop: Header=BB133_3 Depth=1
	s_or_b32 exec_lo, exec_lo, s6
	s_barrier_signal -1
	s_barrier_wait -1
	s_and_saveexec_b32 s6, s33
; %bb.905:                              ;   in Loop: Header=BB133_3 Depth=1
	s_delay_alu instid0(VALU_DEP_1) | instskip(NEXT) | instid1(VALU_DEP_2)
	v_xor_b32_e32 v43, 0x80000000, v41
	v_mov_b32_e32 v42, v40
	ds_store_b64 v52, v[42:43]
; %bb.906:                              ;   in Loop: Header=BB133_3 Depth=1
	s_or_b32 exec_lo, exec_lo, s6
	s_wait_dscnt 0x0
	s_barrier_signal -1
	s_barrier_wait -1
	s_and_saveexec_b32 s6, s34
	s_cbranch_execz .LBB133_908
; %bb.907:                              ;   in Loop: Header=BB133_3 Depth=1
	ds_load_b64 v[42:43], v7 offset:512
	ds_load_b64 v[44:45], v52
	s_wait_dscnt 0x0
	v_fma_f64 v[40:41], -v[42:43], v[44:45], v[40:41]
.LBB133_908:                            ;   in Loop: Header=BB133_3 Depth=1
	s_or_b32 exec_lo, exec_lo, s6
	s_barrier_signal -1
	s_barrier_wait -1
	s_and_saveexec_b32 s6, s34
; %bb.909:                              ;   in Loop: Header=BB133_3 Depth=1
	s_delay_alu instid0(VALU_DEP_1) | instskip(NEXT) | instid1(VALU_DEP_2)
	v_xor_b32_e32 v43, 0x80000000, v41
	v_mov_b32_e32 v42, v40
	ds_store_b64 v52, v[42:43]
; %bb.910:                              ;   in Loop: Header=BB133_3 Depth=1
	s_or_b32 exec_lo, exec_lo, s6
	s_wait_dscnt 0x0
	s_barrier_signal -1
	s_barrier_wait -1
	s_barrier_signal -1
	s_barrier_wait -1
	s_and_saveexec_b32 s6, s2
; %bb.911:                              ;   in Loop: Header=BB133_3 Depth=1
	ds_store_b64 v55, v[40:41] offset:3584
; %bb.912:                              ;   in Loop: Header=BB133_3 Depth=1
	s_or_b32 exec_lo, exec_lo, s6
	s_wait_dscnt 0x0
	s_barrier_signal -1
	s_barrier_wait -1
	s_barrier_signal -1
	s_barrier_wait -1
	s_and_saveexec_b32 s6, s10
; %bb.913:                              ;   in Loop: Header=BB133_3 Depth=1
	ds_store_2addr_b64 v7, v[26:27], v[26:27] offset0:130 offset1:195
; %bb.914:                              ;   in Loop: Header=BB133_3 Depth=1
	s_or_b32 exec_lo, exec_lo, s6
	v_mov_b64_e32 v[40:41], 0
	s_wait_dscnt 0x0
	s_barrier_signal -1
	s_barrier_wait -1
	global_wb scope:SCOPE_DEV
	s_wait_storecnt 0x0
	global_inv scope:SCOPE_DEV
	s_and_saveexec_b32 s6, s1
	s_cbranch_execz .LBB133_918
; %bb.915:                              ;   in Loop: Header=BB133_3 Depth=1
	ds_load_b64 v[40:41], v49 offset:1024
	ds_load_b64 v[42:43], v48 offset:1552
	s_wait_dscnt 0x0
	v_fma_f64 v[40:41], v[40:41], v[42:43], 0
	s_and_saveexec_b32 s8, s11
	s_cbranch_execz .LBB133_917
; %bb.916:                              ;   in Loop: Header=BB133_3 Depth=1
	ds_load_b64 v[42:43], v50 offset:1536
	ds_load_b64 v[44:45], v7 offset:1560
	s_wait_dscnt 0x0
	v_fmac_f64_e32 v[40:41], v[42:43], v[44:45]
.LBB133_917:                            ;   in Loop: Header=BB133_3 Depth=1
	s_or_b32 exec_lo, exec_lo, s8
.LBB133_918:                            ;   in Loop: Header=BB133_3 Depth=1
	s_delay_alu instid0(SALU_CYCLE_1)
	s_or_b32 exec_lo, exec_lo, s6
	s_and_saveexec_b32 s6, s101
; %bb.919:                              ;   in Loop: Header=BB133_3 Depth=1
	s_delay_alu instid0(VALU_DEP_1) | instskip(NEXT) | instid1(VALU_DEP_2)
	v_xor_b32_e32 v43, 0x80000000, v41
	v_mov_b32_e32 v42, v40
	ds_store_b64 v5, v[42:43]
; %bb.920:                              ;   in Loop: Header=BB133_3 Depth=1
	s_or_b32 exec_lo, exec_lo, s6
	s_wait_loadcnt_dscnt 0x0
	s_barrier_signal -1
	s_barrier_wait -1
	s_and_saveexec_b32 s6, s102
	s_cbranch_execz .LBB133_922
; %bb.921:                              ;   in Loop: Header=BB133_3 Depth=1
	ds_load_b64 v[42:43], v7 offset:512
	ds_load_b64 v[44:45], v5
	s_wait_dscnt 0x0
	v_fma_f64 v[40:41], -v[42:43], v[44:45], v[40:41]
.LBB133_922:                            ;   in Loop: Header=BB133_3 Depth=1
	s_or_b32 exec_lo, exec_lo, s6
	s_barrier_signal -1
	s_barrier_wait -1
	s_and_saveexec_b32 s6, s102
; %bb.923:                              ;   in Loop: Header=BB133_3 Depth=1
	s_delay_alu instid0(VALU_DEP_1) | instskip(NEXT) | instid1(VALU_DEP_2)
	v_xor_b32_e32 v43, 0x80000000, v41
	v_mov_b32_e32 v42, v40
	ds_store_b64 v5, v[42:43]
; %bb.924:                              ;   in Loop: Header=BB133_3 Depth=1
	s_or_b32 exec_lo, exec_lo, s6
	s_wait_dscnt 0x0
	s_barrier_signal -1
	s_barrier_wait -1
	s_barrier_signal -1
	s_barrier_wait -1
	s_and_saveexec_b32 s6, s1
; %bb.925:                              ;   in Loop: Header=BB133_3 Depth=1
	ds_store_b64 v51, v[40:41] offset:1536
; %bb.926:                              ;   in Loop: Header=BB133_3 Depth=1
	s_or_b32 exec_lo, exec_lo, s6
	s_wait_dscnt 0x0
	s_barrier_signal -1
	s_barrier_wait -1
	s_barrier_signal -1
	s_barrier_wait -1
	s_and_saveexec_b32 s6, s10
; %bb.927:                              ;   in Loop: Header=BB133_3 Depth=1
	ds_store_2addr_b64 v7, v[26:27], v[26:27] offset1:65
; %bb.928:                              ;   in Loop: Header=BB133_3 Depth=1
	s_or_b32 exec_lo, exec_lo, s6
.LBB133_929:                            ;   in Loop: Header=BB133_3 Depth=1
	v_add_nc_u64_e32 v[38:39], s[72:73], v[38:39]
	v_mov_b64_e32 v[40:41], 0
	s_wait_dscnt 0x0
	s_barrier_signal -1
	s_barrier_wait -1
	s_and_saveexec_b32 s6, s53
	s_cbranch_execz .LBB133_931
; %bb.930:                              ;   in Loop: Header=BB133_3 Depth=1
	v_lshl_add_u64 v[40:41], v[14:15], 3, v[38:39]
	flat_load_b64 v[40:41], v[40:41]
	s_wait_loadcnt_dscnt 0x0
	v_mul_f64_e64 v[40:41], v[40:41], -s[68:69]
.LBB133_931:                            ;   in Loop: Header=BB133_3 Depth=1
	s_or_b32 exec_lo, exec_lo, s6
	s_delay_alu instid0(SALU_CYCLE_1)
	s_and_not1_b32 vcc_lo, exec_lo, s54
	s_cbranch_vccnz .LBB133_957
; %bb.932:                              ;   in Loop: Header=BB133_3 Depth=1
	v_lshl_add_u64 v[36:37], v[8:9], 3, v[36:37]
	v_mov_b32_e32 v81, -1
	s_lshl_b64 s[8:9], s[66:67], 2
	s_delay_alu instid0(SALU_CYCLE_1)
	s_add_nc_u64 s[94:95], s[84:85], s[8:9]
	s_mov_b32 s8, 0
	s_branch .LBB133_935
.LBB133_933:                            ;   in Loop: Header=BB133_935 Depth=2
	s_wait_xcnt 0x0
	ds_load_b64 v[42:43], v70 offset:384
	s_wait_loadcnt_dscnt 0x0
	v_fmac_f64_e32 v[40:41], v[44:45], v[42:43]
.LBB133_934:                            ;   in Loop: Header=BB133_935 Depth=2
	s_or_b32 exec_lo, exec_lo, s6
	s_add_co_i32 s8, s8, 1
	s_delay_alu instid0(SALU_CYCLE_1)
	s_cmp_eq_u32 s8, s96
	s_cbranch_scc1 .LBB133_957
.LBB133_935:                            ;   Parent Loop BB133_3 Depth=1
                                        ; =>  This Loop Header: Depth=2
                                        ;       Child Loop BB133_937 Depth 3
	v_cmp_gt_i32_e32 vcc_lo, s8, v81
	s_and_b32 s9, s55, vcc_lo
	s_delay_alu instid0(SALU_CYCLE_1)
	s_and_saveexec_b32 s6, s9
	s_cbranch_execz .LBB133_938
; %bb.936:                              ;   in Loop: Header=BB133_935 Depth=2
	global_load_b32 v81, v7, s[94:95]
	s_wait_loadcnt 0x0
	v_cmp_le_i32_e32 vcc_lo, s8, v81
	s_cbranch_vccnz .LBB133_938
.LBB133_937:                            ;   Parent Loop BB133_3 Depth=1
                                        ;     Parent Loop BB133_935 Depth=2
                                        ; =>    This Inner Loop Header: Depth=3
	global_wb scope:SCOPE_DEV
	s_wait_storecnt 0x0
	global_inv scope:SCOPE_DEV
	global_load_b32 v81, v7, s[94:95]
	s_wait_loadcnt 0x0
	v_cmp_gt_i32_e32 vcc_lo, s8, v81
	s_cbranch_vccnz .LBB133_937
.LBB133_938:                            ;   in Loop: Header=BB133_935 Depth=2
	s_or_b32 exec_lo, exec_lo, s6
	s_sub_co_i32 s9, s97, s8
	global_wb scope:SCOPE_DEV
	s_wait_storecnt 0x0
	global_inv scope:SCOPE_DEV
	s_lshl_b32 s6, s9, 6
	s_wait_loadcnt 0x0
	s_barrier_signal -1
	s_barrier_wait -1
	s_and_saveexec_b32 s21, s56
	s_cbranch_execz .LBB133_942
; %bb.939:                              ;   in Loop: Header=BB133_935 Depth=2
	s_ashr_i32 s23, s6, 31
	v_mov_b64_e32 v[44:45], 0
	v_dual_mov_b32 v43, s23 :: v_dual_bitop2_b32 v42, s6, v6 bitop3:0x54
	s_mov_b32 s23, exec_lo
	s_delay_alu instid0(VALU_DEP_1)
	v_cmpx_gt_i64_e64 s[80:81], v[42:43]
	s_cbranch_execz .LBB133_941
; %bb.940:                              ;   in Loop: Header=BB133_935 Depth=2
	v_mul_u64_e32 v[42:43], s[74:75], v[42:43]
	s_delay_alu instid0(VALU_DEP_1)
	v_lshl_add_u64 v[42:43], v[42:43], 3, v[38:39]
	flat_load_b64 v[44:45], v[42:43]
.LBB133_941:                            ;   in Loop: Header=BB133_935 Depth=2
	s_wait_xcnt 0x0
	s_or_b32 exec_lo, exec_lo, s23
	s_wait_loadcnt_dscnt 0x0
	ds_store_b64 v69, v[44:45]
.LBB133_942:                            ;   in Loop: Header=BB133_935 Depth=2
	s_or_b32 exec_lo, exec_lo, s21
	v_add_nc_u32_e32 v44, s6, v2
	s_cmp_lg_u32 s9, s19
	s_wait_dscnt 0x0
	s_cselect_b32 s9, -1, 0
	s_barrier_signal -1
	v_ashrrev_i32_e32 v45, 31, v44
	v_cmp_gt_i32_e32 vcc_lo, s80, v44
	s_barrier_wait -1
	s_delay_alu instid0(VALU_DEP_2) | instskip(SKIP_2) | instid1(VALU_DEP_2)
	v_mul_u64_e32 v[42:43], s[82:83], v[44:45]
	v_cndmask_b32_e64 v45, 0, 1, s9
	s_and_b32 s21, s0, vcc_lo
	v_lshl_add_u64 v[42:43], v[42:43], 3, v[36:37]
	s_and_saveexec_b32 s6, s21
	s_cbranch_execz .LBB133_946
; %bb.943:                              ;   in Loop: Header=BB133_935 Depth=2
	v_mov_b64_e32 v[46:47], v[28:29]
	s_and_not1_b32 vcc_lo, exec_lo, s9
	s_cbranch_vccnz .LBB133_945
; %bb.944:                              ;   in Loop: Header=BB133_935 Depth=2
	flat_load_b64 v[46:47], v[42:43]
.LBB133_945:                            ;   in Loop: Header=BB133_935 Depth=2
	ds_load_b64 v[82:83], v70
	s_wait_loadcnt_dscnt 0x0
	v_fmac_f64_e32 v[40:41], v[46:47], v[82:83]
.LBB133_946:                            ;   in Loop: Header=BB133_935 Depth=2
	s_or_b32 exec_lo, exec_lo, s6
	v_add_nc_u32_e32 v46, 16, v44
	s_delay_alu instid0(VALU_DEP_1) | instskip(SKIP_1) | instid1(SALU_CYCLE_1)
	v_cmp_gt_i32_e32 vcc_lo, s80, v46
	s_and_b32 s9, s0, vcc_lo
	s_and_saveexec_b32 s6, s9
	s_cbranch_execz .LBB133_950
; %bb.947:                              ;   in Loop: Header=BB133_935 Depth=2
	v_cmp_ne_u32_e32 vcc_lo, 1, v45
	v_mov_b64_e32 v[46:47], v[30:31]
	s_cbranch_vccnz .LBB133_949
; %bb.948:                              ;   in Loop: Header=BB133_935 Depth=2
	v_add_nc_u64_e32 v[46:47], s[88:89], v[42:43]
	flat_load_b64 v[46:47], v[46:47]
.LBB133_949:                            ;   in Loop: Header=BB133_935 Depth=2
	ds_load_b64 v[82:83], v70 offset:128
	s_wait_loadcnt_dscnt 0x0
	v_fmac_f64_e32 v[40:41], v[46:47], v[82:83]
.LBB133_950:                            ;   in Loop: Header=BB133_935 Depth=2
	s_or_b32 exec_lo, exec_lo, s6
	v_add_nc_u32_e32 v46, 32, v44
	s_delay_alu instid0(VALU_DEP_1) | instskip(SKIP_1) | instid1(SALU_CYCLE_1)
	v_cmp_gt_i32_e32 vcc_lo, s80, v46
	s_and_b32 s9, s0, vcc_lo
	s_and_saveexec_b32 s6, s9
	s_cbranch_execz .LBB133_954
; %bb.951:                              ;   in Loop: Header=BB133_935 Depth=2
	v_cmp_ne_u32_e32 vcc_lo, 1, v45
	v_mov_b64_e32 v[46:47], v[32:33]
	s_cbranch_vccnz .LBB133_953
; %bb.952:                              ;   in Loop: Header=BB133_935 Depth=2
	v_add_nc_u64_e32 v[46:47], s[90:91], v[42:43]
	flat_load_b64 v[46:47], v[46:47]
.LBB133_953:                            ;   in Loop: Header=BB133_935 Depth=2
	ds_load_b64 v[82:83], v70 offset:256
	s_wait_loadcnt_dscnt 0x0
	v_fmac_f64_e32 v[40:41], v[46:47], v[82:83]
.LBB133_954:                            ;   in Loop: Header=BB133_935 Depth=2
	s_or_b32 exec_lo, exec_lo, s6
	v_add_nc_u32_e32 v44, 48, v44
	s_delay_alu instid0(VALU_DEP_1) | instskip(SKIP_1) | instid1(SALU_CYCLE_1)
	v_cmp_gt_i32_e32 vcc_lo, s80, v44
	s_and_b32 s9, s0, vcc_lo
	s_and_saveexec_b32 s6, s9
	s_cbranch_execz .LBB133_934
; %bb.955:                              ;   in Loop: Header=BB133_935 Depth=2
	v_cmp_ne_u32_e32 vcc_lo, 1, v45
	v_mov_b64_e32 v[44:45], v[34:35]
	s_cbranch_vccnz .LBB133_933
; %bb.956:                              ;   in Loop: Header=BB133_935 Depth=2
	v_add_nc_u64_e32 v[42:43], s[92:93], v[42:43]
	flat_load_b64 v[44:45], v[42:43]
	s_branch .LBB133_933
.LBB133_957:                            ;   in Loop: Header=BB133_3 Depth=1
	ds_store_b64 v71, v[40:41]
	s_wait_dscnt 0x0
	s_barrier_signal -1
	s_barrier_wait -1
	s_and_saveexec_b32 s8, s5
	s_cbranch_execz .LBB133_959
; %bb.958:                              ;   in Loop: Header=BB133_3 Depth=1
	ds_load_2addr_stride64_b64 v[42:45], v72 offset0:1 offset1:2
	ds_load_2addr_stride64_b64 v[82:85], v72 offset0:3 offset1:4
	s_wait_dscnt 0x1
	v_add_f64_e32 v[36:37], v[40:41], v[42:43]
	s_delay_alu instid0(VALU_DEP_1) | instskip(SKIP_4) | instid1(VALU_DEP_1)
	v_add_f64_e32 v[36:37], v[36:37], v[44:45]
	ds_load_2addr_stride64_b64 v[40:43], v72 offset0:5 offset1:6
	ds_load_2addr_stride64_b64 v[44:47], v72 offset0:7 offset1:8
	s_wait_dscnt 0x2
	v_add_f64_e32 v[36:37], v[36:37], v[82:83]
	v_add_f64_e32 v[36:37], v[36:37], v[84:85]
	s_wait_dscnt 0x1
	s_delay_alu instid0(VALU_DEP_1) | instskip(NEXT) | instid1(VALU_DEP_1)
	v_add_f64_e32 v[36:37], v[36:37], v[40:41]
	v_add_f64_e32 v[36:37], v[36:37], v[42:43]
	s_wait_dscnt 0x0
	s_delay_alu instid0(VALU_DEP_1) | instskip(NEXT) | instid1(VALU_DEP_1)
	v_add_f64_e32 v[36:37], v[36:37], v[44:45]
	v_add_f64_e32 v[36:37], v[36:37], v[46:47]
	ds_load_2addr_stride64_b64 v[40:43], v72 offset0:9 offset1:10
	ds_load_2addr_stride64_b64 v[44:47], v72 offset0:11 offset1:12
	s_wait_dscnt 0x1
	v_add_f64_e32 v[36:37], v[36:37], v[40:41]
	s_delay_alu instid0(VALU_DEP_1) | instskip(SKIP_1) | instid1(VALU_DEP_1)
	v_add_f64_e32 v[36:37], v[36:37], v[42:43]
	s_wait_dscnt 0x0
	v_add_f64_e32 v[36:37], v[36:37], v[44:45]
	ds_load_2addr_stride64_b64 v[40:43], v72 offset0:13 offset1:14
	ds_load_b64 v[44:45], v72 offset:7680
	v_add_f64_e32 v[36:37], v[36:37], v[46:47]
	s_wait_dscnt 0x1
	s_delay_alu instid0(VALU_DEP_1) | instskip(NEXT) | instid1(VALU_DEP_1)
	v_add_f64_e32 v[36:37], v[36:37], v[40:41]
	v_add_f64_e32 v[36:37], v[36:37], v[42:43]
	s_wait_dscnt 0x0
	s_delay_alu instid0(VALU_DEP_1) | instskip(NEXT) | instid1(VALU_DEP_1)
	v_add_f64_e32 v[36:37], v[36:37], v[44:45]
	v_xor_b32_e32 v37, 0x80000000, v37
	s_delay_alu instid0(VALU_DEP_2) | instskip(NEXT) | instid1(VALU_DEP_2)
	v_cndmask_b32_e64 v40, v36, 0, s52
	v_cndmask_b32_e64 v41, v37, 0, s52
.LBB133_959:                            ;   in Loop: Header=BB133_3 Depth=1
	s_or_b32 exec_lo, exec_lo, s8
	s_delay_alu instid0(SALU_CYCLE_1)
	s_and_not1_b32 vcc_lo, exec_lo, s100
	s_cbranch_vccnz .LBB133_972
; %bb.960:                              ;   in Loop: Header=BB133_3 Depth=1
	s_and_saveexec_b32 s6, s5
; %bb.961:                              ;   in Loop: Header=BB133_3 Depth=1
	ds_store_b64 v74, v[40:41]
; %bb.962:                              ;   in Loop: Header=BB133_3 Depth=1
	s_or_b32 exec_lo, exec_lo, s6
	v_mov_b64_e32 v[36:37], 0
	s_wait_dscnt 0x0
	s_barrier_signal -1
	s_barrier_wait -1
	s_mov_b32 s6, exec_lo
	v_readlane_b32 s8, v87, 26
	s_and_b32 s8, s6, s8
	s_delay_alu instid0(SALU_CYCLE_1)
	s_mov_b32 exec_lo, s8
	s_cbranch_execz .LBB133_964
; %bb.963:                              ;   in Loop: Header=BB133_3 Depth=1
	ds_load_b64 v[36:37], v73
	ds_load_b64 v[42:43], v70
	s_wait_dscnt 0x0
	v_fma_f64 v[36:37], v[36:37], v[42:43], 0
.LBB133_964:                            ;   in Loop: Header=BB133_3 Depth=1
	s_or_b32 exec_lo, exec_lo, s6
	s_delay_alu instid0(SALU_CYCLE_1) | instskip(SKIP_2) | instid1(SALU_CYCLE_1)
	s_mov_b32 s6, exec_lo
	v_readlane_b32 s8, v87, 27
	s_and_b32 s8, s6, s8
	s_mov_b32 exec_lo, s8
	s_cbranch_execz .LBB133_966
; %bb.965:                              ;   in Loop: Header=BB133_3 Depth=1
	ds_load_b64 v[42:43], v73 offset:8192
	ds_load_b64 v[44:45], v70 offset:128
	s_wait_dscnt 0x0
	v_fmac_f64_e32 v[36:37], v[42:43], v[44:45]
.LBB133_966:                            ;   in Loop: Header=BB133_3 Depth=1
	s_or_b32 exec_lo, exec_lo, s6
	s_delay_alu instid0(SALU_CYCLE_1) | instskip(SKIP_2) | instid1(SALU_CYCLE_1)
	s_mov_b32 s6, exec_lo
	v_readlane_b32 s8, v87, 28
	s_and_b32 s8, s6, s8
	s_mov_b32 exec_lo, s8
	s_cbranch_execz .LBB133_968
; %bb.967:                              ;   in Loop: Header=BB133_3 Depth=1
	ds_load_b64 v[42:43], v73 offset:16384
	ds_load_b64 v[44:45], v70 offset:256
	s_wait_dscnt 0x0
	v_fmac_f64_e32 v[36:37], v[42:43], v[44:45]
.LBB133_968:                            ;   in Loop: Header=BB133_3 Depth=1
	;; [unrolled: 13-line block ×3, first 2 shown]
	s_or_b32 exec_lo, exec_lo, s6
	s_mov_b32 s8, 0
	s_mov_b32 s94, 0
	ds_store_b64 v71, v[36:37]
	s_wait_dscnt 0x0
	s_barrier_signal -1
	s_barrier_wait -1
                                        ; implicit-def: $vgpr42_vgpr43
	s_and_saveexec_b32 s95, s5
	s_cbranch_execz .LBB133_1001
; %bb.971:                              ;   in Loop: Header=BB133_3 Depth=1
	ds_load_2addr_stride64_b64 v[42:45], v72 offset0:1 offset1:2
	ds_load_2addr_stride64_b64 v[82:85], v72 offset0:3 offset1:4
	s_mov_b32 s94, exec_lo
	s_wait_dscnt 0x1
	v_add_f64_e32 v[36:37], v[36:37], v[42:43]
	s_delay_alu instid0(VALU_DEP_1) | instskip(SKIP_1) | instid1(VALU_DEP_1)
	v_add_f64_e32 v[36:37], v[44:45], v[36:37]
	s_wait_dscnt 0x0
	v_add_f64_e32 v[36:37], v[82:83], v[36:37]
	s_delay_alu instid0(VALU_DEP_1) | instskip(SKIP_4) | instid1(VALU_DEP_1)
	v_add_f64_e32 v[36:37], v[84:85], v[36:37]
	ds_load_2addr_stride64_b64 v[42:45], v72 offset0:5 offset1:6
	ds_load_2addr_stride64_b64 v[82:85], v72 offset0:7 offset1:8
	s_wait_dscnt 0x1
	v_add_f64_e32 v[36:37], v[42:43], v[36:37]
	v_add_f64_e32 v[36:37], v[44:45], v[36:37]
	s_wait_dscnt 0x0
	s_delay_alu instid0(VALU_DEP_1) | instskip(NEXT) | instid1(VALU_DEP_1)
	v_add_f64_e32 v[36:37], v[82:83], v[36:37]
	v_add_f64_e32 v[36:37], v[84:85], v[36:37]
	ds_load_2addr_stride64_b64 v[42:45], v72 offset0:9 offset1:10
	ds_load_2addr_stride64_b64 v[82:85], v72 offset0:11 offset1:12
	s_wait_dscnt 0x1
	v_add_f64_e32 v[36:37], v[42:43], v[36:37]
	s_delay_alu instid0(VALU_DEP_1) | instskip(SKIP_4) | instid1(VALU_DEP_1)
	v_add_f64_e32 v[36:37], v[44:45], v[36:37]
	ds_load_2addr_stride64_b64 v[42:45], v72 offset0:13 offset1:14
	ds_load_b64 v[46:47], v72 offset:7680
	s_wait_dscnt 0x2
	v_add_f64_e32 v[36:37], v[82:83], v[36:37]
	v_add_f64_e32 v[36:37], v[84:85], v[36:37]
	s_wait_dscnt 0x1
	s_delay_alu instid0(VALU_DEP_1) | instskip(NEXT) | instid1(VALU_DEP_1)
	v_add_f64_e32 v[36:37], v[42:43], v[36:37]
	v_add_f64_e32 v[36:37], v[44:45], v[36:37]
	s_wait_dscnt 0x0
	s_delay_alu instid0(VALU_DEP_1) | instskip(SKIP_1) | instid1(SALU_CYCLE_1)
	v_add_f64_e32 v[42:43], v[46:47], v[36:37]
	s_or_b32 exec_lo, exec_lo, s95
	s_and_b32 vcc_lo, exec_lo, s8
	s_cbranch_vccnz .LBB133_973
	s_branch .LBB133_1002
.LBB133_972:                            ;   in Loop: Header=BB133_3 Depth=1
	s_mov_b32 s94, 0
                                        ; implicit-def: $vgpr42_vgpr43
	s_cbranch_execz .LBB133_1002
.LBB133_973:                            ;   in Loop: Header=BB133_3 Depth=1
	v_dual_mov_b32 v36, v80 :: v_dual_mov_b32 v37, v3
	s_mov_b32 s8, 63
	s_branch .LBB133_975
.LBB133_974:                            ;   in Loop: Header=BB133_975 Depth=2
	s_or_b32 exec_lo, exec_lo, s6
	v_add_nc_u32_e32 v37, 0xfffff800, v37
	v_add_nc_u32_e32 v36, 4, v36
	s_add_co_i32 s8, s8, -4
	s_cmp_lg_u32 s9, 0
	s_barrier_signal -1
	s_barrier_wait -1
	s_cbranch_scc0 .LBB133_991
.LBB133_975:                            ;   Parent Loop BB133_3 Depth=1
                                        ; =>  This Inner Loop Header: Depth=2
	s_delay_alu instid0(VALU_DEP_1) | instskip(SKIP_1) | instid1(SALU_CYCLE_1)
	v_cmp_eq_u32_e32 vcc_lo, 0, v36
	s_and_b32 s9, s5, vcc_lo
	s_and_saveexec_b32 s6, s9
; %bb.976:                              ;   in Loop: Header=BB133_975 Depth=2
	ds_store_b64 v7, v[40:41] offset:41472
; %bb.977:                              ;   in Loop: Header=BB133_975 Depth=2
	s_or_b32 exec_lo, exec_lo, s6
	v_cmp_gt_u32_e32 vcc_lo, s8, v4
	s_wait_dscnt 0x0
	s_barrier_signal -1
	s_barrier_wait -1
	s_and_b32 s9, s5, vcc_lo
	s_delay_alu instid0(SALU_CYCLE_1)
	s_and_saveexec_b32 s6, s9
	s_cbranch_execz .LBB133_979
; %bb.978:                              ;   in Loop: Header=BB133_975 Depth=2
	ds_load_b64 v[42:43], v37 offset:1536
	ds_load_b64 v[44:45], v7 offset:41472
	s_wait_dscnt 0x0
	v_fmac_f64_e32 v[40:41], v[42:43], v[44:45]
.LBB133_979:                            ;   in Loop: Header=BB133_975 Depth=2
	s_or_b32 exec_lo, exec_lo, s6
	s_add_co_i32 s6, s8, -1
	s_delay_alu instid0(SALU_CYCLE_1) | instskip(SKIP_3) | instid1(SALU_CYCLE_1)
	v_cmp_eq_u32_e32 vcc_lo, s6, v4
	s_barrier_signal -1
	s_barrier_wait -1
	s_and_b32 s21, s5, vcc_lo
	s_and_saveexec_b32 s9, s21
; %bb.980:                              ;   in Loop: Header=BB133_975 Depth=2
	ds_store_b64 v7, v[40:41] offset:41472
; %bb.981:                              ;   in Loop: Header=BB133_975 Depth=2
	s_or_b32 exec_lo, exec_lo, s9
	v_cmp_gt_u32_e32 vcc_lo, s6, v4
	s_wait_dscnt 0x0
	s_barrier_signal -1
	s_barrier_wait -1
	s_and_b32 s9, s5, vcc_lo
	s_delay_alu instid0(SALU_CYCLE_1)
	s_and_saveexec_b32 s6, s9
	s_cbranch_execz .LBB133_983
; %bb.982:                              ;   in Loop: Header=BB133_975 Depth=2
	ds_load_b64 v[42:43], v37 offset:1024
	ds_load_b64 v[44:45], v7 offset:41472
	s_wait_dscnt 0x0
	v_fmac_f64_e32 v[40:41], v[42:43], v[44:45]
.LBB133_983:                            ;   in Loop: Header=BB133_975 Depth=2
	s_or_b32 exec_lo, exec_lo, s6
	s_add_co_i32 s6, s8, -2
	s_delay_alu instid0(SALU_CYCLE_1) | instskip(SKIP_3) | instid1(SALU_CYCLE_1)
	v_cmp_eq_u32_e32 vcc_lo, s6, v4
	s_barrier_signal -1
	s_barrier_wait -1
	;; [unrolled: 26-line block ×3, first 2 shown]
	s_and_b32 s21, s5, vcc_lo
	s_and_saveexec_b32 s6, s21
; %bb.988:                              ;   in Loop: Header=BB133_975 Depth=2
	ds_store_b64 v7, v[40:41] offset:41472
; %bb.989:                              ;   in Loop: Header=BB133_975 Depth=2
	s_or_b32 exec_lo, exec_lo, s6
	v_cmp_gt_u32_e32 vcc_lo, s9, v4
	s_wait_dscnt 0x0
	s_barrier_signal -1
	s_barrier_wait -1
	s_and_b32 s21, s5, vcc_lo
	s_delay_alu instid0(SALU_CYCLE_1)
	s_and_saveexec_b32 s6, s21
	s_cbranch_execz .LBB133_974
; %bb.990:                              ;   in Loop: Header=BB133_975 Depth=2
	ds_load_b64 v[42:43], v37
	ds_load_b64 v[44:45], v7 offset:41472
	s_wait_dscnt 0x0
	v_fmac_f64_e32 v[40:41], v[42:43], v[44:45]
	s_branch .LBB133_974
.LBB133_991:                            ;   in Loop: Header=BB133_3 Depth=1
	s_and_b32 vcc_lo, exec_lo, s98
	s_mov_b32 s6, -1
	s_cbranch_vccnz .LBB133_1003
; %bb.992:                              ;   in Loop: Header=BB133_3 Depth=1
	s_and_not1_b32 vcc_lo, exec_lo, s6
	s_cbranch_vccz .LBB133_1004
.LBB133_993:                            ;   in Loop: Header=BB133_3 Depth=1
	s_and_saveexec_b32 s6, s94
	s_cbranch_execz .LBB133_995
.LBB133_994:                            ;   in Loop: Header=BB133_3 Depth=1
	v_lshl_add_u64 v[36:37], v[0:1], 3, v[38:39]
	flat_store_b64 v[36:37], v[40:41]
.LBB133_995:                            ;   in Loop: Header=BB133_3 Depth=1
	s_wait_xcnt 0x0
	s_or_b32 exec_lo, exec_lo, s6
	global_wb scope:SCOPE_DEV
	s_wait_storecnt_dscnt 0x0
	global_inv scope:SCOPE_DEV
	s_wait_loadcnt 0x0
	s_barrier_signal -1
	s_barrier_wait -1
	s_and_saveexec_b32 s6, s55
	s_cbranch_execz .LBB133_2
; %bb.996:                              ;   in Loop: Header=BB133_3 Depth=1
	s_lshl_b64 s[8:9], s[66:67], 2
	s_delay_alu instid0(SALU_CYCLE_1)
	s_add_nc_u64 s[8:9], s[84:85], s[8:9]
	global_load_b32 v36, v7, s[8:9]
	s_wait_loadcnt 0x0
	v_add_nc_u32_e32 v36, 1, v36
	global_store_b32 v7, v36, s[8:9]
	s_branch .LBB133_2
.LBB133_997:                            ;   in Loop: Header=BB133_3 Depth=1
	v_readlane_b32 s6, v87, 30
	s_and_b32 s6, s6, exec_lo
	s_or_saveexec_b32 s8, s8
	v_mov_b64_e32 v[42:43], 0
	s_xor_b32 exec_lo, exec_lo, s8
	s_cbranch_execz .LBB133_16
.LBB133_998:                            ;   in Loop: Header=BB133_3 Depth=1
	v_lshl_add_u64 v[42:43], v[16:17], 3, v[40:41]
	s_or_b32 s6, s6, exec_lo
	flat_load_b64 v[42:43], v[42:43]
	s_wait_loadcnt_dscnt 0x0
	v_xor_b32_e32 v43, 0x80000000, v43
	s_or_b32 exec_lo, exec_lo, s8
	s_and_saveexec_b32 s8, s6
	s_cbranch_execnz .LBB133_17
	s_branch .LBB133_18
.LBB133_999:                            ;   in Loop: Header=BB133_3 Depth=1
	v_readlane_b32 s6, v87, 30
	s_and_b32 s6, s6, exec_lo
	s_or_saveexec_b32 s8, s8
	v_mov_b64_e32 v[42:43], 0
	s_xor_b32 exec_lo, exec_lo, s8
	s_cbranch_execz .LBB133_40
.LBB133_1000:                           ;   in Loop: Header=BB133_3 Depth=1
	v_lshl_add_u64 v[42:43], v[16:17], 3, v[40:41]
	s_or_b32 s6, s6, exec_lo
	flat_load_b64 v[42:43], v[42:43]
	s_wait_loadcnt_dscnt 0x0
	v_xor_b32_e32 v43, 0x80000000, v43
	s_or_b32 exec_lo, exec_lo, s8
	s_and_saveexec_b32 s8, s6
	s_cbranch_execnz .LBB133_41
	s_branch .LBB133_42
.LBB133_1001:                           ;   in Loop: Header=BB133_3 Depth=1
	s_or_b32 exec_lo, exec_lo, s95
	s_delay_alu instid0(SALU_CYCLE_1)
	s_and_b32 vcc_lo, exec_lo, s8
	s_cbranch_vccnz .LBB133_973
.LBB133_1002:                           ;   in Loop: Header=BB133_3 Depth=1
	s_delay_alu instid0(VALU_DEP_1)
	v_mov_b64_e32 v[40:41], v[42:43]
	s_and_saveexec_b32 s6, s94
	s_cbranch_execnz .LBB133_994
	s_branch .LBB133_995
.LBB133_1003:                           ;   in Loop: Header=BB133_3 Depth=1
	s_and_not1_b32 s8, s94, exec_lo
	s_and_b32 s9, s5, exec_lo
	s_delay_alu instid0(SALU_CYCLE_1)
	s_or_b32 s94, s8, s9
	s_cbranch_execnz .LBB133_993
.LBB133_1004:                           ;   in Loop: Header=BB133_3 Depth=1
	v_readlane_b32 s8, v88, 11
	s_and_not1_b32 s6, s94, exec_lo
	s_and_b32 s8, s8, exec_lo
	s_delay_alu instid0(SALU_CYCLE_1) | instskip(NEXT) | instid1(SALU_CYCLE_1)
	s_or_b32 s94, s6, s8
	s_and_saveexec_b32 s6, s94
	s_cbranch_execnz .LBB133_994
	s_branch .LBB133_995
.LBB133_1005:                           ;   in Loop: Header=BB133_3 Depth=1
	ds_load_b64 v[42:43], v54 offset:31680
	ds_load_b64 v[44:45], v53 offset:32744
	s_wait_dscnt 0x0
	v_fmac_f64_e32 v[40:41], v[42:43], v[44:45]
	s_or_b32 exec_lo, exec_lo, s6
	s_and_saveexec_b32 s6, s13
	s_cbranch_execz .LBB133_81
.LBB133_1006:                           ;   in Loop: Header=BB133_3 Depth=1
	ds_load_b64 v[42:43], v54 offset:32192
	ds_load_b64 v[44:45], v53 offset:32752
	s_wait_dscnt 0x0
	v_fmac_f64_e32 v[40:41], v[42:43], v[44:45]
	s_or_b32 exec_lo, exec_lo, s6
	s_and_saveexec_b32 s6, s1
	s_cbranch_execnz .LBB133_82
	s_branch .LBB133_83
.LBB133_1007:                           ;   in Loop: Header=BB133_3 Depth=1
	ds_load_b64 v[42:43], v58 offset:29568
	ds_load_b64 v[44:45], v57 offset:32712
	s_wait_dscnt 0x0
	v_fmac_f64_e32 v[40:41], v[42:43], v[44:45]
	s_or_b32 exec_lo, exec_lo, s6
	s_and_saveexec_b32 s6, s15
	s_cbranch_execz .LBB133_119
.LBB133_1008:                           ;   in Loop: Header=BB133_3 Depth=1
	ds_load_b64 v[42:43], v58 offset:30080
	ds_load_b64 v[44:45], v57 offset:32720
	s_wait_dscnt 0x0
	v_fmac_f64_e32 v[40:41], v[42:43], v[44:45]
	s_or_b32 exec_lo, exec_lo, s6
	s_and_saveexec_b32 s6, s16
	s_cbranch_execz .LBB133_120
.LBB133_1009:                           ;   in Loop: Header=BB133_3 Depth=1
	ds_load_b64 v[42:43], v58 offset:30592
	ds_load_b64 v[44:45], v57 offset:32728
	s_wait_dscnt 0x0
	v_fmac_f64_e32 v[40:41], v[42:43], v[44:45]
	s_or_b32 exec_lo, exec_lo, s6
	s_and_saveexec_b32 s6, s17
	s_cbranch_execz .LBB133_121
.LBB133_1010:                           ;   in Loop: Header=BB133_3 Depth=1
	ds_load_b64 v[42:43], v58 offset:31104
	ds_load_b64 v[44:45], v57 offset:32736
	s_wait_dscnt 0x0
	v_fmac_f64_e32 v[40:41], v[42:43], v[44:45]
	s_or_b32 exec_lo, exec_lo, s6
	s_and_saveexec_b32 s6, s18
	s_cbranch_execz .LBB133_122
.LBB133_1011:                           ;   in Loop: Header=BB133_3 Depth=1
	ds_load_b64 v[42:43], v58 offset:31616
	ds_load_b64 v[44:45], v57 offset:32744
	s_wait_dscnt 0x0
	v_fmac_f64_e32 v[40:41], v[42:43], v[44:45]
	s_or_b32 exec_lo, exec_lo, s6
	s_and_saveexec_b32 s6, s2
	s_cbranch_execz .LBB133_123
.LBB133_1012:                           ;   in Loop: Header=BB133_3 Depth=1
	ds_load_b64 v[42:43], v58 offset:32128
	ds_load_b64 v[44:45], v57 offset:32752
	s_wait_dscnt 0x0
	v_fmac_f64_e32 v[40:41], v[42:43], v[44:45]
	s_or_b32 exec_lo, exec_lo, s6
	s_and_saveexec_b32 s6, s13
	s_cbranch_execnz .LBB133_124
	s_branch .LBB133_125
.LBB133_1013:                           ;   in Loop: Header=BB133_3 Depth=1
	ds_load_b64 v[42:43], v54 offset:27520
	ds_load_b64 v[44:45], v53 offset:28584
	s_wait_dscnt 0x0
	v_fmac_f64_e32 v[40:41], v[42:43], v[44:45]
	s_or_b32 exec_lo, exec_lo, s6
	s_and_saveexec_b32 s6, s13
	s_cbranch_execz .LBB133_177
.LBB133_1014:                           ;   in Loop: Header=BB133_3 Depth=1
	ds_load_b64 v[42:43], v54 offset:28032
	ds_load_b64 v[44:45], v53 offset:28592
	s_wait_dscnt 0x0
	v_fmac_f64_e32 v[40:41], v[42:43], v[44:45]
	s_or_b32 exec_lo, exec_lo, s6
	s_and_saveexec_b32 s6, s1
	s_cbranch_execnz .LBB133_178
	s_branch .LBB133_179
.LBB133_1015:                           ;   in Loop: Header=BB133_3 Depth=1
	ds_load_b64 v[42:43], v62 offset:30464
	ds_load_b64 v[44:45], v61 offset:32728
	s_wait_dscnt 0x0
	v_fmac_f64_e32 v[40:41], v[42:43], v[44:45]
	s_or_b32 exec_lo, exec_lo, s6
	s_and_saveexec_b32 s6, s3
	s_cbranch_execz .LBB133_235
.LBB133_1016:                           ;   in Loop: Header=BB133_3 Depth=1
	ds_load_b64 v[42:43], v62 offset:30976
	ds_load_b64 v[44:45], v61 offset:32736
	s_wait_dscnt 0x0
	v_fmac_f64_e32 v[40:41], v[42:43], v[44:45]
	s_or_b32 exec_lo, exec_lo, s6
	s_and_saveexec_b32 s6, s15
	s_cbranch_execz .LBB133_236
.LBB133_1017:                           ;   in Loop: Header=BB133_3 Depth=1
	ds_load_b64 v[42:43], v62 offset:31488
	ds_load_b64 v[44:45], v61 offset:32744
	s_wait_dscnt 0x0
	v_fmac_f64_e32 v[40:41], v[42:43], v[44:45]
	s_or_b32 exec_lo, exec_lo, s6
	s_and_saveexec_b32 s6, s17
	s_cbranch_execz .LBB133_237
.LBB133_1018:                           ;   in Loop: Header=BB133_3 Depth=1
	ds_load_b64 v[42:43], v62 offset:32000
	ds_load_b64 v[44:45], v61 offset:32752
	s_wait_dscnt 0x0
	v_fmac_f64_e32 v[40:41], v[42:43], v[44:45]
	s_or_b32 exec_lo, exec_lo, s6
	s_and_saveexec_b32 s6, s2
	s_cbranch_execnz .LBB133_238
	s_branch .LBB133_239
.LBB133_1019:                           ;   in Loop: Header=BB133_3 Depth=1
	ds_load_b64 v[42:43], v54 offset:23360
	ds_load_b64 v[44:45], v53 offset:24424
	s_wait_dscnt 0x0
	v_fmac_f64_e32 v[40:41], v[42:43], v[44:45]
	s_or_b32 exec_lo, exec_lo, s6
	s_and_saveexec_b32 s6, s13
	s_cbranch_execz .LBB133_323
.LBB133_1020:                           ;   in Loop: Header=BB133_3 Depth=1
	ds_load_b64 v[42:43], v54 offset:23872
	ds_load_b64 v[44:45], v53 offset:24432
	s_wait_dscnt 0x0
	v_fmac_f64_e32 v[40:41], v[42:43], v[44:45]
	s_or_b32 exec_lo, exec_lo, s6
	s_and_saveexec_b32 s6, s1
	s_cbranch_execnz .LBB133_324
	s_branch .LBB133_325
.LBB133_1021:                           ;   in Loop: Header=BB133_3 Depth=1
	ds_load_b64 v[42:43], v58 offset:21248
	ds_load_b64 v[44:45], v57 offset:24392
	s_wait_dscnt 0x0
	v_fmac_f64_e32 v[40:41], v[42:43], v[44:45]
	s_or_b32 exec_lo, exec_lo, s6
	s_and_saveexec_b32 s6, s15
	s_cbranch_execz .LBB133_361
.LBB133_1022:                           ;   in Loop: Header=BB133_3 Depth=1
	ds_load_b64 v[42:43], v58 offset:21760
	ds_load_b64 v[44:45], v57 offset:24400
	s_wait_dscnt 0x0
	v_fmac_f64_e32 v[40:41], v[42:43], v[44:45]
	s_or_b32 exec_lo, exec_lo, s6
	s_and_saveexec_b32 s6, s16
	s_cbranch_execz .LBB133_362
.LBB133_1023:                           ;   in Loop: Header=BB133_3 Depth=1
	ds_load_b64 v[42:43], v58 offset:22272
	ds_load_b64 v[44:45], v57 offset:24408
	s_wait_dscnt 0x0
	v_fmac_f64_e32 v[40:41], v[42:43], v[44:45]
	s_or_b32 exec_lo, exec_lo, s6
	s_and_saveexec_b32 s6, s17
	s_cbranch_execz .LBB133_363
.LBB133_1024:                           ;   in Loop: Header=BB133_3 Depth=1
	ds_load_b64 v[42:43], v58 offset:22784
	ds_load_b64 v[44:45], v57 offset:24416
	s_wait_dscnt 0x0
	v_fmac_f64_e32 v[40:41], v[42:43], v[44:45]
	s_or_b32 exec_lo, exec_lo, s6
	s_and_saveexec_b32 s6, s18
	s_cbranch_execz .LBB133_364
.LBB133_1025:                           ;   in Loop: Header=BB133_3 Depth=1
	ds_load_b64 v[42:43], v58 offset:23296
	ds_load_b64 v[44:45], v57 offset:24424
	s_wait_dscnt 0x0
	v_fmac_f64_e32 v[40:41], v[42:43], v[44:45]
	s_or_b32 exec_lo, exec_lo, s6
	s_and_saveexec_b32 s6, s2
	s_cbranch_execz .LBB133_365
.LBB133_1026:                           ;   in Loop: Header=BB133_3 Depth=1
	ds_load_b64 v[42:43], v58 offset:23808
	ds_load_b64 v[44:45], v57 offset:24432
	s_wait_dscnt 0x0
	v_fmac_f64_e32 v[40:41], v[42:43], v[44:45]
	s_or_b32 exec_lo, exec_lo, s6
	s_and_saveexec_b32 s6, s13
	s_cbranch_execnz .LBB133_366
	s_branch .LBB133_367
.LBB133_1027:                           ;   in Loop: Header=BB133_3 Depth=1
	ds_load_b64 v[42:43], v54 offset:19200
	ds_load_b64 v[44:45], v53 offset:20264
	s_wait_dscnt 0x0
	v_fmac_f64_e32 v[40:41], v[42:43], v[44:45]
	s_or_b32 exec_lo, exec_lo, s6
	s_and_saveexec_b32 s6, s13
	s_cbranch_execz .LBB133_419
.LBB133_1028:                           ;   in Loop: Header=BB133_3 Depth=1
	ds_load_b64 v[42:43], v54 offset:19712
	ds_load_b64 v[44:45], v53 offset:20272
	s_wait_dscnt 0x0
	v_fmac_f64_e32 v[40:41], v[42:43], v[44:45]
	s_or_b32 exec_lo, exec_lo, s6
	s_and_saveexec_b32 s6, s1
	s_cbranch_execnz .LBB133_420
	s_branch .LBB133_421
.LBB133_1029:                           ;   in Loop: Header=BB133_3 Depth=1
	ds_load_b64 v[42:43], v66 offset:31232
	ds_load_b64 v[44:45], v67 offset:32744
	s_wait_dscnt 0x0
	v_fmac_f64_e32 v[40:41], v[42:43], v[44:45]
	s_or_b32 exec_lo, exec_lo, s6
	s_and_saveexec_b32 s6, s3
	s_cbranch_execz .LBB133_513
.LBB133_1030:                           ;   in Loop: Header=BB133_3 Depth=1
	ds_load_b64 v[42:43], v66 offset:31744
	ds_load_b64 v[44:45], v67 offset:32752
	s_wait_dscnt 0x0
	v_fmac_f64_e32 v[40:41], v[42:43], v[44:45]
	s_or_b32 exec_lo, exec_lo, s6
	s_and_saveexec_b32 s6, s17
	s_delay_alu instid0(SALU_CYCLE_1)
	s_xor_b32 s6, exec_lo, s6
	s_cbranch_execnz .LBB133_514
	s_branch .LBB133_515
.LBB133_1031:                           ;   in Loop: Header=BB133_3 Depth=1
	ds_load_b64 v[42:43], v54 offset:15040
	ds_load_b64 v[44:45], v53 offset:16104
	s_wait_dscnt 0x0
	v_fmac_f64_e32 v[40:41], v[42:43], v[44:45]
	s_or_b32 exec_lo, exec_lo, s6
	s_and_saveexec_b32 s6, s13
	s_cbranch_execz .LBB133_555
.LBB133_1032:                           ;   in Loop: Header=BB133_3 Depth=1
	ds_load_b64 v[42:43], v54 offset:15552
	ds_load_b64 v[44:45], v53 offset:16112
	s_wait_dscnt 0x0
	v_fmac_f64_e32 v[40:41], v[42:43], v[44:45]
	s_or_b32 exec_lo, exec_lo, s6
	s_and_saveexec_b32 s6, s1
	s_cbranch_execnz .LBB133_556
	s_branch .LBB133_557
.LBB133_1033:                           ;   in Loop: Header=BB133_3 Depth=1
	ds_load_b64 v[42:43], v58 offset:12928
	ds_load_b64 v[44:45], v57 offset:16072
	s_wait_dscnt 0x0
	v_fmac_f64_e32 v[40:41], v[42:43], v[44:45]
	s_or_b32 exec_lo, exec_lo, s6
	s_and_saveexec_b32 s6, s15
	s_cbranch_execz .LBB133_593
.LBB133_1034:                           ;   in Loop: Header=BB133_3 Depth=1
	ds_load_b64 v[42:43], v58 offset:13440
	ds_load_b64 v[44:45], v57 offset:16080
	s_wait_dscnt 0x0
	v_fmac_f64_e32 v[40:41], v[42:43], v[44:45]
	s_or_b32 exec_lo, exec_lo, s6
	s_and_saveexec_b32 s6, s16
	s_cbranch_execz .LBB133_594
.LBB133_1035:                           ;   in Loop: Header=BB133_3 Depth=1
	ds_load_b64 v[42:43], v58 offset:13952
	ds_load_b64 v[44:45], v57 offset:16088
	s_wait_dscnt 0x0
	v_fmac_f64_e32 v[40:41], v[42:43], v[44:45]
	s_or_b32 exec_lo, exec_lo, s6
	s_and_saveexec_b32 s6, s17
	s_cbranch_execz .LBB133_595
.LBB133_1036:                           ;   in Loop: Header=BB133_3 Depth=1
	ds_load_b64 v[42:43], v58 offset:14464
	ds_load_b64 v[44:45], v57 offset:16096
	s_wait_dscnt 0x0
	v_fmac_f64_e32 v[40:41], v[42:43], v[44:45]
	s_or_b32 exec_lo, exec_lo, s6
	s_and_saveexec_b32 s6, s18
	s_cbranch_execz .LBB133_596
.LBB133_1037:                           ;   in Loop: Header=BB133_3 Depth=1
	ds_load_b64 v[42:43], v58 offset:14976
	ds_load_b64 v[44:45], v57 offset:16104
	s_wait_dscnt 0x0
	v_fmac_f64_e32 v[40:41], v[42:43], v[44:45]
	s_or_b32 exec_lo, exec_lo, s6
	s_and_saveexec_b32 s6, s2
	s_cbranch_execz .LBB133_597
.LBB133_1038:                           ;   in Loop: Header=BB133_3 Depth=1
	ds_load_b64 v[42:43], v58 offset:15488
	ds_load_b64 v[44:45], v57 offset:16112
	s_wait_dscnt 0x0
	v_fmac_f64_e32 v[40:41], v[42:43], v[44:45]
	s_or_b32 exec_lo, exec_lo, s6
	s_and_saveexec_b32 s6, s13
	s_cbranch_execnz .LBB133_598
	s_branch .LBB133_599
.LBB133_1039:                           ;   in Loop: Header=BB133_3 Depth=1
	ds_load_b64 v[42:43], v54 offset:10880
	ds_load_b64 v[44:45], v53 offset:11944
	s_wait_dscnt 0x0
	v_fmac_f64_e32 v[40:41], v[42:43], v[44:45]
	s_or_b32 exec_lo, exec_lo, s6
	s_and_saveexec_b32 s6, s13
	s_cbranch_execz .LBB133_651
.LBB133_1040:                           ;   in Loop: Header=BB133_3 Depth=1
	ds_load_b64 v[42:43], v54 offset:11392
	ds_load_b64 v[44:45], v53 offset:11952
	s_wait_dscnt 0x0
	v_fmac_f64_e32 v[40:41], v[42:43], v[44:45]
	s_or_b32 exec_lo, exec_lo, s6
	s_and_saveexec_b32 s6, s1
	s_cbranch_execnz .LBB133_652
	s_branch .LBB133_653
.LBB133_1041:                           ;   in Loop: Header=BB133_3 Depth=1
	ds_load_b64 v[42:43], v62 offset:13824
	ds_load_b64 v[44:45], v61 offset:16088
	s_wait_dscnt 0x0
	v_fmac_f64_e32 v[40:41], v[42:43], v[44:45]
	s_or_b32 exec_lo, exec_lo, s6
	s_and_saveexec_b32 s6, s3
	s_cbranch_execz .LBB133_709
.LBB133_1042:                           ;   in Loop: Header=BB133_3 Depth=1
	ds_load_b64 v[42:43], v62 offset:14336
	ds_load_b64 v[44:45], v61 offset:16096
	s_wait_dscnt 0x0
	v_fmac_f64_e32 v[40:41], v[42:43], v[44:45]
	s_or_b32 exec_lo, exec_lo, s6
	s_and_saveexec_b32 s6, s15
	s_cbranch_execz .LBB133_710
.LBB133_1043:                           ;   in Loop: Header=BB133_3 Depth=1
	ds_load_b64 v[42:43], v62 offset:14848
	ds_load_b64 v[44:45], v61 offset:16104
	s_wait_dscnt 0x0
	v_fmac_f64_e32 v[40:41], v[42:43], v[44:45]
	s_or_b32 exec_lo, exec_lo, s6
	s_and_saveexec_b32 s6, s17
	s_cbranch_execz .LBB133_711
.LBB133_1044:                           ;   in Loop: Header=BB133_3 Depth=1
	ds_load_b64 v[42:43], v62 offset:15360
	ds_load_b64 v[44:45], v61 offset:16112
	s_wait_dscnt 0x0
	v_fmac_f64_e32 v[40:41], v[42:43], v[44:45]
	s_or_b32 exec_lo, exec_lo, s6
	s_and_saveexec_b32 s6, s2
	s_cbranch_execnz .LBB133_712
	s_branch .LBB133_713
.LBB133_1045:                           ;   in Loop: Header=BB133_3 Depth=1
	ds_load_b64 v[42:43], v54 offset:6720
	ds_load_b64 v[44:45], v53 offset:7784
	s_wait_dscnt 0x0
	v_fmac_f64_e32 v[40:41], v[42:43], v[44:45]
	s_or_b32 exec_lo, exec_lo, s6
	s_and_saveexec_b32 s6, s13
	s_cbranch_execz .LBB133_797
.LBB133_1046:                           ;   in Loop: Header=BB133_3 Depth=1
	ds_load_b64 v[42:43], v54 offset:7232
	ds_load_b64 v[44:45], v53 offset:7792
	s_wait_dscnt 0x0
	v_fmac_f64_e32 v[40:41], v[42:43], v[44:45]
	s_or_b32 exec_lo, exec_lo, s6
	s_and_saveexec_b32 s6, s1
	s_cbranch_execnz .LBB133_798
	s_branch .LBB133_799
.LBB133_1047:                           ;   in Loop: Header=BB133_3 Depth=1
	ds_load_b64 v[42:43], v58 offset:4608
	ds_load_b64 v[44:45], v57 offset:7752
	s_wait_dscnt 0x0
	v_fmac_f64_e32 v[40:41], v[42:43], v[44:45]
	s_or_b32 exec_lo, exec_lo, s6
	s_and_saveexec_b32 s6, s15
	s_cbranch_execz .LBB133_835
.LBB133_1048:                           ;   in Loop: Header=BB133_3 Depth=1
	ds_load_b64 v[42:43], v58 offset:5120
	ds_load_b64 v[44:45], v57 offset:7760
	s_wait_dscnt 0x0
	v_fmac_f64_e32 v[40:41], v[42:43], v[44:45]
	s_or_b32 exec_lo, exec_lo, s6
	s_and_saveexec_b32 s6, s16
	s_cbranch_execz .LBB133_836
.LBB133_1049:                           ;   in Loop: Header=BB133_3 Depth=1
	ds_load_b64 v[42:43], v58 offset:5632
	ds_load_b64 v[44:45], v57 offset:7768
	s_wait_dscnt 0x0
	v_fmac_f64_e32 v[40:41], v[42:43], v[44:45]
	s_or_b32 exec_lo, exec_lo, s6
	s_and_saveexec_b32 s6, s17
	s_cbranch_execz .LBB133_837
.LBB133_1050:                           ;   in Loop: Header=BB133_3 Depth=1
	ds_load_b64 v[42:43], v58 offset:6144
	ds_load_b64 v[44:45], v57 offset:7776
	s_wait_dscnt 0x0
	v_fmac_f64_e32 v[40:41], v[42:43], v[44:45]
	s_or_b32 exec_lo, exec_lo, s6
	s_and_saveexec_b32 s6, s18
	s_cbranch_execz .LBB133_838
.LBB133_1051:                           ;   in Loop: Header=BB133_3 Depth=1
	ds_load_b64 v[42:43], v58 offset:6656
	ds_load_b64 v[44:45], v57 offset:7784
	s_wait_dscnt 0x0
	v_fmac_f64_e32 v[40:41], v[42:43], v[44:45]
	s_or_b32 exec_lo, exec_lo, s6
	s_and_saveexec_b32 s6, s2
	s_cbranch_execz .LBB133_839
.LBB133_1052:                           ;   in Loop: Header=BB133_3 Depth=1
	ds_load_b64 v[42:43], v58 offset:7168
	ds_load_b64 v[44:45], v57 offset:7792
	s_wait_dscnt 0x0
	v_fmac_f64_e32 v[40:41], v[42:43], v[44:45]
	s_or_b32 exec_lo, exec_lo, s6
	s_and_saveexec_b32 s6, s13
	s_cbranch_execnz .LBB133_840
	s_branch .LBB133_841
.LBB133_1053:                           ;   in Loop: Header=BB133_3 Depth=1
	ds_load_b64 v[42:43], v54 offset:2560
	ds_load_b64 v[44:45], v53 offset:3624
	s_wait_dscnt 0x0
	v_fmac_f64_e32 v[40:41], v[42:43], v[44:45]
	s_or_b32 exec_lo, exec_lo, s6
	s_and_saveexec_b32 s6, s13
	s_cbranch_execz .LBB133_893
.LBB133_1054:                           ;   in Loop: Header=BB133_3 Depth=1
	ds_load_b64 v[42:43], v54 offset:3072
	ds_load_b64 v[44:45], v53 offset:3632
	s_wait_dscnt 0x0
	v_fmac_f64_e32 v[40:41], v[42:43], v[44:45]
	s_or_b32 exec_lo, exec_lo, s6
	s_and_saveexec_b32 s6, s1
	s_cbranch_execnz .LBB133_894
	s_branch .LBB133_895
.LBB133_1055:
	s_endpgm
	.section	.rodata,"a",@progbits
	.p2align	6, 0x0
	.amdhsa_kernel _ZL19rocblas_trsv_deviceILi64ELi16ELb0ELb0ELb0ELb1EddPKPKdPKPdEviT7_lllT6_T8_lllPii
		.amdhsa_group_segment_fixed_size 41480
		.amdhsa_private_segment_fixed_size 0
		.amdhsa_kernarg_size 352
		.amdhsa_user_sgpr_count 2
		.amdhsa_user_sgpr_dispatch_ptr 0
		.amdhsa_user_sgpr_queue_ptr 0
		.amdhsa_user_sgpr_kernarg_segment_ptr 1
		.amdhsa_user_sgpr_dispatch_id 0
		.amdhsa_user_sgpr_kernarg_preload_length 0
		.amdhsa_user_sgpr_kernarg_preload_offset 0
		.amdhsa_user_sgpr_private_segment_size 0
		.amdhsa_wavefront_size32 1
		.amdhsa_uses_dynamic_stack 0
		.amdhsa_enable_private_segment 0
		.amdhsa_system_sgpr_workgroup_id_x 1
		.amdhsa_system_sgpr_workgroup_id_y 0
		.amdhsa_system_sgpr_workgroup_id_z 1
		.amdhsa_system_sgpr_workgroup_info 0
		.amdhsa_system_vgpr_workitem_id 1
		.amdhsa_next_free_vgpr 89
		.amdhsa_next_free_sgpr 105
		.amdhsa_named_barrier_count 0
		.amdhsa_reserve_vcc 1
		.amdhsa_float_round_mode_32 0
		.amdhsa_float_round_mode_16_64 0
		.amdhsa_float_denorm_mode_32 3
		.amdhsa_float_denorm_mode_16_64 3
		.amdhsa_fp16_overflow 0
		.amdhsa_memory_ordered 1
		.amdhsa_forward_progress 1
		.amdhsa_inst_pref_size 227
		.amdhsa_round_robin_scheduling 0
		.amdhsa_exception_fp_ieee_invalid_op 0
		.amdhsa_exception_fp_denorm_src 0
		.amdhsa_exception_fp_ieee_div_zero 0
		.amdhsa_exception_fp_ieee_overflow 0
		.amdhsa_exception_fp_ieee_underflow 0
		.amdhsa_exception_fp_ieee_inexact 0
		.amdhsa_exception_int_div_zero 0
	.end_amdhsa_kernel
	.section	.text._ZL19rocblas_trsv_deviceILi64ELi16ELb0ELb0ELb0ELb1EddPKPKdPKPdEviT7_lllT6_T8_lllPii,"axG",@progbits,_ZL19rocblas_trsv_deviceILi64ELi16ELb0ELb0ELb0ELb1EddPKPKdPKPdEviT7_lllT6_T8_lllPii,comdat
.Lfunc_end133:
	.size	_ZL19rocblas_trsv_deviceILi64ELi16ELb0ELb0ELb0ELb1EddPKPKdPKPdEviT7_lllT6_T8_lllPii, .Lfunc_end133-_ZL19rocblas_trsv_deviceILi64ELi16ELb0ELb0ELb0ELb1EddPKPKdPKPdEviT7_lllT6_T8_lllPii
                                        ; -- End function
	.set _ZL19rocblas_trsv_deviceILi64ELi16ELb0ELb0ELb0ELb1EddPKPKdPKPdEviT7_lllT6_T8_lllPii.num_vgpr, 89
	.set _ZL19rocblas_trsv_deviceILi64ELi16ELb0ELb0ELb0ELb1EddPKPKdPKPdEviT7_lllT6_T8_lllPii.num_agpr, 0
	.set _ZL19rocblas_trsv_deviceILi64ELi16ELb0ELb0ELb0ELb1EddPKPKdPKPdEviT7_lllT6_T8_lllPii.numbered_sgpr, 105
	.set _ZL19rocblas_trsv_deviceILi64ELi16ELb0ELb0ELb0ELb1EddPKPKdPKPdEviT7_lllT6_T8_lllPii.num_named_barrier, 0
	.set _ZL19rocblas_trsv_deviceILi64ELi16ELb0ELb0ELb0ELb1EddPKPKdPKPdEviT7_lllT6_T8_lllPii.private_seg_size, 0
	.set _ZL19rocblas_trsv_deviceILi64ELi16ELb0ELb0ELb0ELb1EddPKPKdPKPdEviT7_lllT6_T8_lllPii.uses_vcc, 1
	.set _ZL19rocblas_trsv_deviceILi64ELi16ELb0ELb0ELb0ELb1EddPKPKdPKPdEviT7_lllT6_T8_lllPii.uses_flat_scratch, 0
	.set _ZL19rocblas_trsv_deviceILi64ELi16ELb0ELb0ELb0ELb1EddPKPKdPKPdEviT7_lllT6_T8_lllPii.has_dyn_sized_stack, 0
	.set _ZL19rocblas_trsv_deviceILi64ELi16ELb0ELb0ELb0ELb1EddPKPKdPKPdEviT7_lllT6_T8_lllPii.has_recursion, 0
	.set _ZL19rocblas_trsv_deviceILi64ELi16ELb0ELb0ELb0ELb1EddPKPKdPKPdEviT7_lllT6_T8_lllPii.has_indirect_call, 0
	.section	.AMDGPU.csdata,"",@progbits
; Kernel info:
; codeLenInByte = 29036
; TotalNumSgprs: 107
; NumVgprs: 89
; ScratchSize: 0
; MemoryBound: 0
; FloatMode: 240
; IeeeMode: 1
; LDSByteSize: 41480 bytes/workgroup (compile time only)
; SGPRBlocks: 0
; VGPRBlocks: 5
; NumSGPRsForWavesPerEU: 107
; NumVGPRsForWavesPerEU: 89
; NamedBarCnt: 0
; Occupancy: 10
; WaveLimiterHint : 1
; COMPUTE_PGM_RSRC2:SCRATCH_EN: 0
; COMPUTE_PGM_RSRC2:USER_SGPR: 2
; COMPUTE_PGM_RSRC2:TRAP_HANDLER: 0
; COMPUTE_PGM_RSRC2:TGID_X_EN: 1
; COMPUTE_PGM_RSRC2:TGID_Y_EN: 0
; COMPUTE_PGM_RSRC2:TGID_Z_EN: 1
; COMPUTE_PGM_RSRC2:TIDIG_COMP_CNT: 1
	.section	.text._ZL19rocblas_trsv_deviceILi64ELi16ELb0ELb1ELb0ELb1EddPKPKdPKPdEviT7_lllT6_T8_lllPii,"axG",@progbits,_ZL19rocblas_trsv_deviceILi64ELi16ELb0ELb1ELb0ELb1EddPKPKdPKPdEviT7_lllT6_T8_lllPii,comdat
	.globl	_ZL19rocblas_trsv_deviceILi64ELi16ELb0ELb1ELb0ELb1EddPKPKdPKPdEviT7_lllT6_T8_lllPii ; -- Begin function _ZL19rocblas_trsv_deviceILi64ELi16ELb0ELb1ELb0ELb1EddPKPKdPKPdEviT7_lllT6_T8_lllPii
	.p2align	8
	.type	_ZL19rocblas_trsv_deviceILi64ELi16ELb0ELb1ELb0ELb1EddPKPKdPKPdEviT7_lllT6_T8_lllPii,@function
_ZL19rocblas_trsv_deviceILi64ELi16ELb0ELb1ELb0ELb1EddPKPKdPKPdEviT7_lllT6_T8_lllPii: ; @_ZL19rocblas_trsv_deviceILi64ELi16ELb0ELb1ELb0ELb1EddPKPKdPKPdEviT7_lllT6_T8_lllPii
; %bb.0:
	s_load_b32 s6, s[0:1], 0x58
	s_bfe_u32 s2, ttmp6, 0x40014
	s_lshr_b32 s3, ttmp7, 16
	s_add_co_i32 s2, s2, 1
	s_bfe_u32 s5, ttmp6, 0x40008
	s_mul_i32 s4, s3, s2
	s_getreg_b32 s2, hwreg(HW_REG_IB_STS2, 6, 4)
	s_add_co_i32 s5, s5, s4
	s_cmp_eq_u32 s2, 0
	s_mov_b32 s63, 0
	s_cselect_b32 s62, s3, s5
                                        ; implicit-def: $vgpr104 : SGPR spill to VGPR lane
	s_wait_kmcnt 0x0
	s_cmp_ge_u32 s62, s6
	v_writelane_b32 v104, s6, 0
	s_cbranch_scc1 .LBB134_1117
; %bb.1:
	s_clause 0x3
	s_load_b32 s3, s[0:1], 0x6c
	s_load_b32 s83, s[0:1], 0x0
	s_load_b64 s[12:13], s[0:1], 0x18
	s_load_b256 s[64:71], s[0:1], 0x28
	s_bfe_u32 s5, ttmp6, 0x4000c
	s_and_b32 s4, ttmp6, 15
	s_add_co_i32 s5, s5, 1
	s_clause 0x1
	s_load_b64 s[76:77], s[0:1], 0x50
	s_load_b128 s[72:75], s[0:1], 0x8
	s_mul_i32 s5, ttmp9, s5
	v_and_b32_e32 v8, 0x3ff, v0
	s_add_co_i32 s4, s4, s5
	s_cmp_eq_u32 s2, 0
	v_bfe_u32 v4, v0, 10, 10
	s_cselect_b32 s84, ttmp9, s4
	v_dual_mov_b32 v7, 0 :: v_dual_lshlrev_b32 v1, 6, v8
	v_cmp_gt_u32_e64 s5, 2, v8
	s_delay_alu instid0(VALU_DEP_3)
	v_add_nc_u32_e32 v2, 16, v4
	v_lshl_add_u32 v31, v4, 6, v8
	s_wait_kmcnt 0x0
	s_and_b32 s0, s3, 0xffff
	s_add_co_i32 s1, s83, -1
	s_ashr_i32 s2, s83, 31
	s_ashr_i32 s3, s1, 31
	s_lshr_b32 s2, s2, 26
	s_lshr_b32 s3, s3, 26
	s_add_co_i32 s2, s83, s2
	s_add_co_i32 s1, s1, s3
	s_and_not1_b32 s2, s2, 63
	s_ashr_i32 s1, s1, 6
	s_sub_co_i32 s18, s83, s2
	s_cmp_eq_u32 s1, s84
	v_sub_co_u32 v9, s3, s84, 1
	s_cselect_b32 s1, -1, 0
	s_cmp_lg_u32 s18, 0
	v_mov_b32_e32 v11, v7
	s_cselect_b32 s2, -1, 0
	s_lshl_b32 s14, s84, 6
	s_and_b32 s11, s2, s1
	v_dual_add_nc_u32 v3, s14, v4 :: v_dual_add_nc_u32 v5, v4, v1
	v_dual_add_nc_u32 v16, s14, v8 :: v_dual_add_nc_u32 v6, v2, v1
	v_mad_u32_u24 v10, v4, s0, v8
	s_xor_b32 s0, s3, -1
	s_xor_b32 s86, s11, -1
	s_cmp_lt_i32 s84, 5
	v_subrev_nc_u32_e32 v12, 64, v3
	s_cselect_b32 vcc_lo, -1, 0
	v_dual_cndmask_b32 v28, v31, v5 :: v_dual_ashrrev_i32 v17, 31, v16
	v_lshl_add_u32 v18, v2, 6, v8
	v_lshrrev_b32_e32 v5, 1, v31
	s_or_b32 vcc_lo, vcc_lo, s11
	v_ashrrev_i32_e32 v13, 31, v12
	s_delay_alu instid0(VALU_DEP_3) | instskip(NEXT) | instid1(VALU_DEP_3)
	v_dual_cndmask_b32 v29, v18, v6, vcc_lo :: v_dual_bitop2_b32 v19, 1, v0 bitop3:0x40
	v_dual_lshrrev_b32 v6, 10, v0 :: v_dual_lshlrev_b32 v18, 9, v5
	s_add_nc_u64 s[2:3], s[12:13], 1
	s_delay_alu instid0(VALU_DEP_2) | instskip(SKIP_1) | instid1(VALU_DEP_2)
	v_lshlrev_b32_e32 v54, 3, v19
	s_ashr_i32 s15, s14, 31
	v_bitop3_b32 v44, v0, v6, 0x3ff bitop3:0xa8
	v_sub_nc_u32_e32 v53, 0, v18
	s_mul_u64 s[16:17], s[2:3], s[14:15]
	v_lshl_add_u32 v52, v5, 3, 0x8000
	v_cmp_gt_u32_e64 s1, 4, v31
	v_cmp_eq_u32_e64 s3, 1, v19
	v_dual_lshlrev_b32 v55, 3, v8 :: v_dual_lshrrev_b32 v5, 2, v31
	v_cmp_eq_u32_e64 s4, 0, v19
	v_dual_sub_nc_u32 v56, v54, v18 :: v_dual_bitop2_b32 v6, 3, v0 bitop3:0x40
	v_cmp_eq_u32_e64 s2, 0, v4
	s_and_b32 s88, s3, s1
	s_and_b32 s89, s4, s1
	v_dual_lshlrev_b32 v18, 9, v5 :: v_dual_lshlrev_b32 v60, 3, v6
	v_cmp_gt_u32_e64 s3, 16, v31
	v_cmp_eq_u32_e64 s4, 3, v6
	s_and_b32 s90, s2, s5
	v_lshl_add_u32 v58, v5, 3, 0x8000
	v_dual_sub_nc_u32 v59, 0, v18 :: v_dual_lshlrev_b32 v5, 6, v31
	v_cmp_ne_u32_e64 s5, 3, v6
	s_and_b32 s91, s4, s3
	v_cmp_eq_u32_e64 s4, 2, v6
	v_cmp_gt_u32_e64 s6, 2, v6
	v_sub_nc_u32_e32 v63, v60, v18
	s_and_b32 s92, s5, s3
	v_cmp_eq_u32_e64 s5, 0, v6
	s_and_b32 s93, s4, s3
	v_cmp_gt_u32_e64 s4, 4, v8
	v_and_b32_e32 v5, 0xfffffe00, v5
	v_and_b32_e32 v18, 7, v0
	s_and_b32 s94, s6, s3
	s_and_b32 s96, s5, s3
	;; [unrolled: 1-line block ×3, first 2 shown]
	v_cmp_gt_u32_e64 s4, 64, v31
	v_sub_nc_u32_e32 v67, 0, v5
	v_cmp_eq_u32_e64 s5, 7, v18
	v_cmp_ne_u32_e64 s6, 7, v18
	v_cmp_eq_u32_e64 s8, 1, v6
	v_dual_lshlrev_b32 v68, 3, v18 :: v_dual_bitop2_b32 v6, -8, v31 bitop3:0x40
	s_and_b32 s98, s5, s4
	s_and_b32 s99, s6, s4
	v_cmp_gt_u32_e64 s5, 6, v18
	v_cmp_eq_u32_e64 s6, 5, v18
	s_and_b32 s95, s8, s3
	v_cmp_eq_u32_e64 s8, 6, v18
	v_add_nc_u32_e32 v66, 0x8000, v6
	s_and_b32 s101, s5, s4
	s_and_b32 s102, s6, s4
	v_cmp_gt_u32_e64 s5, 4, v18
	v_cmp_eq_u32_e64 s6, 3, v18
	s_and_b32 s100, s8, s4
	v_cmp_gt_u32_e64 s8, 5, v18
	v_cmp_eq_u32_e64 s9, 4, v18
	s_and_b32 vcc_hi, s5, s4
	v_cmp_eq_u32_e64 s5, 2, v18
	s_and_b32 s31, s6, s4
	v_cmp_eq_u32_e64 s6, 1, v18
	v_lshrrev_b32_e32 v6, 4, v31
	s_and_b32 s103, s8, s4
	s_and_b32 s104, s9, s4
	v_cmp_gt_u32_e64 s8, 3, v18
	v_cmp_gt_u32_e64 s9, 2, v18
	s_and_b32 s34, s5, s4
	v_cmp_eq_u32_e64 s5, 0, v18
	s_and_b32 s36, s6, s4
	v_cmp_gt_u32_e64 s6, 8, v8
	v_dual_sub_nc_u32 v72, v68, v5 :: v_dual_lshlrev_b32 v5, 9, v6
	v_and_b32_e32 v18, 15, v0
	s_and_b32 s37, s5, s4
	s_and_b32 s38, s2, s6
	v_cmp_gt_u32_e64 s5, 0x100, v31
	v_sub_nc_u32_e32 v75, 0, v5
	v_cmp_eq_u32_e64 s6, 15, v18
	v_writelane_b32 v104, s0, 1
	s_and_b32 s33, s8, s4
	v_cmp_ne_u32_e64 s8, 15, v18
	s_and_b32 s35, s9, s4
	s_and_b32 s6, s6, s5
	v_cmp_eq_u32_e64 s9, 14, v18
	v_writelane_b32 v104, s6, 2
	s_and_b32 s6, s8, s5
	v_cmp_gt_u32_e64 s10, 14, v18
	v_lshl_add_u32 v74, v6, 3, 0x8000
	s_and_b32 s8, s9, s5
	v_writelane_b32 v104, s6, 3
	v_cmp_eq_u32_e64 s6, 13, v18
	v_cmp_eq_u32_e64 s9, 12, v18
	v_dual_lshlrev_b32 v76, 3, v18 :: v_dual_lshrrev_b32 v6, 5, v31
	v_writelane_b32 v104, s8, 4
	s_and_b32 s8, s10, s5
	s_and_b32 s6, s6, s5
	v_cmp_eq_u32_e64 s10, 11, v18
	s_and_b32 s45, s9, s5
	v_writelane_b32 v104, s8, 5
	v_cmp_gt_u32_e64 s8, 13, v18
	v_cmp_gt_u32_e64 s9, 10, v18
	s_and_b32 s47, s10, s5
	v_cmp_gt_u32_e64 s10, 9, v18
	v_writelane_b32 v104, s6, 6
	v_cmp_gt_u32_e64 s6, 12, v18
	s_and_b32 s44, s8, s5
	v_cmp_gt_u32_e64 s8, 11, v18
	s_and_b32 s50, s9, s5
	s_and_b32 s52, s10, s5
	;; [unrolled: 1-line block ×3, first 2 shown]
	v_cmp_eq_u32_e64 s6, 10, v18
	s_and_b32 s48, s8, s5
	v_cmp_eq_u32_e64 s8, 9, v18
	v_cmp_eq_u32_e64 s9, 7, v18
	;; [unrolled: 1-line block ×3, first 2 shown]
	s_and_b32 s49, s6, s5
	v_cmp_eq_u32_e64 s6, 8, v18
	s_and_b32 s51, s8, s5
	v_cmp_gt_u32_e64 s8, 8, v18
	v_dual_sub_nc_u32 v78, v76, v5 :: v_dual_bitop2_b32 v77, 31, v0 bitop3:0x40
	s_and_b32 s53, s6, s5
	v_cmp_gt_u32_e64 s6, 7, v18
	s_and_b32 s54, s8, s5
	v_cmp_gt_u32_e64 s8, 6, v18
	s_and_b32 s19, s9, s5
	s_and_b32 s23, s10, s5
	;; [unrolled: 1-line block ×3, first 2 shown]
	v_cmp_eq_u32_e64 s6, 5, v18
	s_and_b32 s25, s8, s5
	v_cmp_eq_u32_e64 s8, 4, v18
	v_cmp_gt_u32_e64 s9, 5, v18
	v_cmp_gt_u32_e64 s10, 4, v18
	s_and_b32 s27, s6, s5
	v_cmp_eq_u32_e64 s6, 3, v18
	s_and_b32 s57, s8, s5
	v_cmp_gt_u32_e64 s8, 3, v18
	v_dual_lshlrev_b32 v0, 9, v6 :: v_dual_lshlrev_b32 v79, 3, v77
	s_and_b32 s59, s6, s5
	v_cmp_gt_u32_e64 s6, 2, v18
	s_and_b32 s60, s8, s5
	v_cmp_eq_u32_e64 s8, 0, v18
	s_and_b32 s29, s9, s5
	s_and_b32 s58, s10, s5
	;; [unrolled: 1-line block ×3, first 2 shown]
	v_cmp_gt_u32_e64 s6, 16, v8
	s_and_b32 s26, s8, s5
	v_cmp_le_i32_e64 s8, s18, v8
	v_cmp_eq_u32_e64 s9, 2, v18
	v_cmp_eq_u32_e64 s10, 1, v18
	s_and_b32 s28, s2, s6
	v_lshl_add_u32 v80, v6, 3, 0x8000
	v_dual_sub_nc_u32 v81, 0, v0 :: v_dual_sub_nc_u32 v82, v79, v0
	v_cmp_gt_u32_e64 s6, 32, v8
	v_subrev_nc_u32_e32 v5, 48, v3
	v_subrev_nc_u32_e32 v6, 32, v3
	v_dual_add_nc_u32 v3, -16, v3 :: v_dual_add_nc_u32 v0, 32, v4
	v_add_nc_u32_e32 v34, 48, v4
	s_and_b32 s85, s8, s11
	v_cmp_gt_i32_e64 s7, s18, v8
	s_and_b32 s20, s9, s5
	s_and_b32 s24, s10, s5
	s_xor_b32 s30, s85, -1
	v_cmp_gt_i32_e64 s9, s83, v5
	v_cmp_gt_i32_e64 s10, s83, v6
	v_cmp_gt_i32_e64 s11, s83, v3
	v_add_nc_u32_e32 v3, v0, v1
	v_lshl_add_u32 v5, v0, 6, v8
	v_add_nc_u32_e32 v1, v34, v1
	v_lshl_add_u32 v6, v34, 6, v8
	s_and_b32 s6, s2, s6
	s_xor_b32 s87, vcc_lo, -1
	v_writelane_b32 v104, s6, 7
	s_and_b32 s82, s2, s30
	s_cmp_gt_i32 s84, 0
	v_cmp_gt_i32_e64 s0, s83, v16
	v_dual_cndmask_b32 v30, v5, v3, vcc_lo :: v_dual_cndmask_b32 v32, v6, v1, vcc_lo
	v_add_nc_u32_e32 v6, s14, v10
	s_cselect_b32 s39, -1, 0
	v_cmp_gt_i32_e32 vcc_lo, s83, v12
	s_and_b32 s7, s2, s7
	v_mov_b32_e32 v3, v7
	v_writelane_b32 v104, s7, 8
	v_dual_mov_b32 v1, v7 :: v_dual_mov_b32 v35, v7
	s_and_b32 s7, vcc_lo, s0
	v_dual_mov_b32 v5, v7 :: v_dual_lshlrev_b32 v83, 3, v28
	v_writelane_b32 v104, s7, 9
	s_and_b32 s7, s9, s0
	v_cmp_le_i32_e64 s6, s18, v4
	v_mul_u64_e32 v[14:15], s[12:13], v[16:17]
	v_add_nc_u64_e32 v[26:27], s[14:15], v[10:11]
	v_writelane_b32 v104, s7, 10
	s_and_b32 s7, s10, s0
	v_mul_u64_e32 v[18:19], s[12:13], v[2:3]
	v_mul_u64_e32 v[20:21], s[12:13], v[0:1]
	;; [unrolled: 1-line block ×3, first 2 shown]
	v_writelane_b32 v104, s7, 11
	v_mul_u64_e32 v[24:25], s[12:13], v[4:5]
	v_cmp_le_i32_e64 s12, s18, v2
	v_cmp_le_i32_e64 s13, s18, v0
	;; [unrolled: 1-line block ×3, first 2 shown]
	s_or_b32 s15, s6, s8
	v_cmp_ge_u32_e64 s6, v8, v4
	s_and_b32 s7, s11, s0
	s_or_b32 s12, s12, s8
	v_writelane_b32 v104, s7, 12
	s_or_b32 s13, s13, s8
	s_or_b32 s14, s14, s8
	v_cmp_ge_u32_e64 s7, v8, v2
	s_or_b32 s8, s15, s6
	v_cmp_gt_u32_e64 s30, 0xf0, v31
	v_writelane_b32 v104, s8, 13
	v_cmp_gt_u32_e64 s41, 0x3e0, v31
	s_or_b32 s8, s12, s7
                                        ; implicit-def: $vgpr99 : SGPR spill to VGPR lane
	v_mad_u32_u24 v57, 0x1f8, v8, v55
	v_mul_u64_e32 v[16:17], s[70:71], v[16:17]
	v_writelane_b32 v104, s8, 14
	v_cmp_ge_u32_e64 s8, v8, v0
	v_mul_u64_e32 v[26:27], s[70:71], v[26:27]
	v_mad_i32_i24 v61, 0xfffffe08, v8, v57
	v_dual_lshlrev_b32 v85, 3, v29 :: v_dual_lshlrev_b32 v86, 3, v30
	s_or_b32 s9, s13, s8
	v_mul_u64_e32 v[28:29], s[70:71], v[6:7]
	v_writelane_b32 v104, s9, 15
	v_cmp_ge_u32_e64 s9, v8, v34
	v_mad_u32_u24 v62, 0x1f8, v8, v61
	v_lshlrev_b32_e32 v1, 3, v4
	v_dual_lshlrev_b32 v30, 3, v8 :: v_dual_bitop2_b32 v2, v2, v8 bitop3:0x54
	s_or_b32 s10, s14, s9
	s_delay_alu instid0(VALU_DEP_3)
	v_mad_i32_i24 v64, 0xfffffe08, v8, v62
	v_writelane_b32 v104, s10, 16
	v_or_b32_e32 v89, 0xa000, v1
	v_or_b32_e32 v3, v0, v8
	;; [unrolled: 1-line block ×3, first 2 shown]
	v_mad_u32_u24 v65, 0x1f8, v8, v64
	v_writelane_b32 v104, s30, 17
	v_cmp_gt_u32_e64 s30, 0xe0, v31
	v_add_nc_u32_e32 v95, v89, v55
	v_mov_b64_e32 v[34:35], 1.0
	v_mad_i32_i24 v69, 0xfffffe08, v8, v65
	v_cmp_lt_u32_e32 vcc_lo, 0x3ff, v31
	v_writelane_b32 v104, s30, 18
	v_cmp_gt_u32_e64 s30, 0xd0, v31
	v_lshl_add_u32 v91, v10, 3, 0xa000
	v_mad_u32_u24 v70, 0x1f8, v8, v69
	v_lshl_add_u32 v92, v31, 3, 0x8000
	v_add_nc_u32_e32 v93, 0x8000, v55
	v_writelane_b32 v104, s30, 19
	v_cmp_gt_u32_e64 s30, 0xc0, v31
	v_mad_i32_i24 v71, 0xfffffe08, v8, v70
	v_or_b32_e32 v96, 0x3800, v79
	s_lshl_b64 s[78:79], s[16:17], 3
	v_subrev_nc_u32_e32 v98, 31, v77
	v_writelane_b32 v104, s30, 20
	v_cmp_gt_u32_e64 s30, 0xb0, v31
	v_mad_u32_u24 v73, 0x1f8, v8, v71
	v_cmp_eq_u32_e64 s10, 0, v44
	v_cmp_gt_u32_e64 s11, 2, v31
	v_cmp_gt_u32_e64 s12, 12, v31
	v_writelane_b32 v104, s30, 21
	v_cmp_gt_u32_e64 s30, 0xa0, v31
	v_mad_i32_i24 v5, 0xfffffe08, v8, v73
	v_cmp_gt_u32_e64 s13, 8, v31
	v_cmp_gt_u32_e64 s14, 56, v31
	;; [unrolled: 1-line block ×3, first 2 shown]
	v_writelane_b32 v104, s30, 22
	v_cmp_gt_u32_e64 s30, 0x90, v31
	v_mad_u32_u24 v11, 0x1f8, v8, v5
	v_lshl_add_u32 v94, v4, 9, v5
	v_cmp_gt_u32_e64 s16, 40, v31
	v_cmp_gt_u32_e64 s17, 32, v31
	v_writelane_b32 v104, s30, 23
	v_cmp_gt_u32_e64 s30, 0x80, v31
	v_mad_i32_i24 v84, 0xfffffe08, v8, v11
	v_cmp_gt_u32_e64 s18, 24, v31
	v_cmp_eq_u32_e64 s55, 0, v10
	v_cmp_gt_u32_e64 s56, 64, v10
	v_writelane_b32 v104, s30, 24
	v_cmp_gt_u32_e64 s30, 0x70, v31
	v_mad_u32_u24 v88, 0x1f8, v8, v84
	v_lshlrev_b32_e32 v87, 3, v32
	v_mov_b64_e32 v[32:33], 0
	s_xor_b32 s40, vcc_lo, -1
	v_writelane_b32 v104, s30, 25
	v_cmp_gt_u32_e64 s30, 0x60, v31
	v_add_nc_u32_e32 v90, v88, v1
	v_mul_i32_i24_e32 v1, 0xfffffe08, v8
	s_lshl_b64 s[74:75], s[74:75], 3
	s_lshl_b64 s[68:69], s[68:69], 3
	v_writelane_b32 v104, s30, 26
	v_cmp_gt_u32_e64 s30, 0x50, v31
	v_mad_u32_u24 v0, 0x1f8, v8, v1
	v_mov_b32_e32 v1, 0x3ff00000
                                        ; implicit-def: $vgpr36_vgpr37
                                        ; implicit-def: $vgpr38_vgpr39
                                        ; implicit-def: $vgpr40_vgpr41
                                        ; implicit-def: $vgpr42_vgpr43
	s_delay_alu instid0(VALU_DEP_3) | instskip(NEXT) | instid1(VALU_DEP_3)
	v_writelane_b32 v104, s30, 27
	v_mad_u32 v97, v0, 7, v55
	v_cmp_gt_u32_e64 s30, 0x400, v31
	v_writelane_b32 v104, s41, 28
	v_cmp_gt_u32_e64 s41, 0x3c0, v31
	s_delay_alu instid0(VALU_DEP_1) | instskip(SKIP_1) | instid1(VALU_DEP_1)
	v_writelane_b32 v104, s41, 29
	v_cmp_gt_u32_e64 s41, 0x3a0, v31
	v_writelane_b32 v104, s41, 30
	v_cmp_gt_u32_e64 s41, 0x380, v31
	s_delay_alu instid0(VALU_DEP_1) | instskip(SKIP_1) | instid1(VALU_DEP_1)
	v_writelane_b32 v104, s41, 31
	;; [unrolled: 5-line block ×13, first 2 shown]
	v_cmp_gt_u32_e64 s41, 64, v45
	v_writelane_b32 v99, s41, 22
	s_branch .LBB134_3
.LBB134_2:                              ;   in Loop: Header=BB134_3 Depth=1
	s_wait_xcnt 0x0
	s_or_b32 exec_lo, exec_lo, s41
	v_readlane_b32 s41, v104, 0
	s_add_co_i32 s62, s62, 0x10000
	global_wb scope:SCOPE_DEV
	s_wait_storecnt 0x0
	global_inv scope:SCOPE_DEV
	s_cmp_lt_u32 s62, s41
	s_cbranch_scc0 .LBB134_1117
.LBB134_3:                              ; =>This Loop Header: Depth=1
                                        ;     Child Loop BB134_537 Depth 2
                                        ;     Child Loop BB134_986 Depth 2
                                        ;       Child Loop BB134_988 Depth 3
                                        ;     Child Loop BB134_1023 Depth 2
	v_mov_b32_e32 v0, s62
	v_readlane_b32 s41, v104, 1
	s_clause 0x1
	global_load_b64 v[2:3], v0, s[72:73] scale_offset
	global_load_b64 v[46:47], v0, s[66:67] scale_offset
	s_and_not1_b32 vcc_lo, exec_lo, s41
	s_wait_loadcnt 0x1
	v_add_nc_u64_e32 v[2:3], s[74:75], v[2:3]
	s_delay_alu instid0(VALU_DEP_1)
	v_lshl_add_u64 v[44:45], v[14:15], 3, v[2:3]
	s_cbranch_vccnz .LBB134_13
; %bb.4:                                ;   in Loop: Header=BB134_3 Depth=1
	v_mov_b64_e32 v[38:39], 0
	v_mov_b64_e32 v[36:37], 0
	s_delay_alu instid0(VALU_DEP_3)
	v_lshl_add_u64 v[48:49], v[12:13], 3, v[44:45]
	s_wait_loadcnt 0x0
	s_barrier_signal -1
	s_barrier_wait -1
	s_wait_xcnt 0x0
	s_mov_b32 s41, exec_lo
	v_readlane_b32 s42, v104, 9
	s_and_b32 s42, s41, s42
	s_delay_alu instid0(SALU_CYCLE_1)
	s_mov_b32 exec_lo, s42
	s_cbranch_execz .LBB134_6
; %bb.5:                                ;   in Loop: Header=BB134_3 Depth=1
	flat_load_b64 v[36:37], v[48:49]
.LBB134_6:                              ;   in Loop: Header=BB134_3 Depth=1
	s_wait_xcnt 0x0
	s_or_b32 exec_lo, exec_lo, s41
	s_wait_loadcnt_dscnt 0x0
	s_barrier_signal -1
	s_barrier_wait -1
	s_mov_b32 s41, exec_lo
	v_readlane_b32 s42, v104, 10
	s_and_b32 s42, s41, s42
	s_delay_alu instid0(SALU_CYCLE_1)
	s_mov_b32 exec_lo, s42
	s_cbranch_execz .LBB134_8
; %bb.7:                                ;   in Loop: Header=BB134_3 Depth=1
	flat_load_b64 v[38:39], v[48:49] offset:128
.LBB134_8:                              ;   in Loop: Header=BB134_3 Depth=1
	s_wait_xcnt 0x0
	s_or_b32 exec_lo, exec_lo, s41
	v_mov_b64_e32 v[42:43], 0
	v_mov_b64_e32 v[40:41], 0
	s_wait_loadcnt_dscnt 0x0
	s_barrier_signal -1
	s_barrier_wait -1
	s_mov_b32 s41, exec_lo
	v_readlane_b32 s42, v104, 11
	s_and_b32 s42, s41, s42
	s_delay_alu instid0(SALU_CYCLE_1)
	s_mov_b32 exec_lo, s42
	s_cbranch_execz .LBB134_10
; %bb.9:                                ;   in Loop: Header=BB134_3 Depth=1
	flat_load_b64 v[40:41], v[48:49] offset:256
.LBB134_10:                             ;   in Loop: Header=BB134_3 Depth=1
	s_wait_xcnt 0x0
	s_or_b32 exec_lo, exec_lo, s41
	s_wait_loadcnt_dscnt 0x0
	s_barrier_signal -1
	s_barrier_wait -1
	s_mov_b32 s41, exec_lo
	v_readlane_b32 s42, v104, 12
	s_and_b32 s42, s41, s42
	s_delay_alu instid0(SALU_CYCLE_1)
	s_mov_b32 exec_lo, s42
	s_cbranch_execz .LBB134_12
; %bb.11:                               ;   in Loop: Header=BB134_3 Depth=1
	flat_load_b64 v[42:43], v[48:49] offset:384
.LBB134_12:                             ;   in Loop: Header=BB134_3 Depth=1
	s_wait_xcnt 0x0
	s_or_b32 exec_lo, exec_lo, s41
.LBB134_13:                             ;   in Loop: Header=BB134_3 Depth=1
	v_add_nc_u64_e32 v[2:3], s[78:79], v[2:3]
	v_mov_b32_e32 v31, v7
	s_and_not1_b32 vcc_lo, exec_lo, s86
	s_mov_b32 s41, -1
	s_delay_alu instid0(VALU_DEP_1)
	v_add_nc_u64_e32 v[2:3], v[2:3], v[30:31]
	s_cbranch_vccnz .LBB134_24
; %bb.14:                               ;   in Loop: Header=BB134_3 Depth=1
	s_wait_xcnt 0x0
	s_and_saveexec_b32 s41, s6
	s_delay_alu instid0(SALU_CYCLE_1)
	s_xor_b32 s41, exec_lo, s41
	s_cbranch_execnz .LBB134_1044
; %bb.15:                               ;   in Loop: Header=BB134_3 Depth=1
	s_and_not1_saveexec_b32 s41, s41
	s_cbranch_execnz .LBB134_1047
.LBB134_16:                             ;   in Loop: Header=BB134_3 Depth=1
	s_or_b32 exec_lo, exec_lo, s41
	s_and_saveexec_b32 s41, s7
	s_delay_alu instid0(SALU_CYCLE_1)
	s_xor_b32 s41, exec_lo, s41
	s_cbranch_execnz .LBB134_1048
.LBB134_17:                             ;   in Loop: Header=BB134_3 Depth=1
	s_and_not1_saveexec_b32 s41, s41
	s_cbranch_execnz .LBB134_1051
.LBB134_18:                             ;   in Loop: Header=BB134_3 Depth=1
	s_or_b32 exec_lo, exec_lo, s41
	s_and_saveexec_b32 s41, s8
	s_delay_alu instid0(SALU_CYCLE_1)
	s_xor_b32 s41, exec_lo, s41
	s_cbranch_execnz .LBB134_1052
.LBB134_19:                             ;   in Loop: Header=BB134_3 Depth=1
	s_and_not1_saveexec_b32 s41, s41
	s_cbranch_execnz .LBB134_1055
.LBB134_20:                             ;   in Loop: Header=BB134_3 Depth=1
	s_or_b32 exec_lo, exec_lo, s41
	s_and_saveexec_b32 s41, s9
	s_delay_alu instid0(SALU_CYCLE_1)
	s_xor_b32 s41, exec_lo, s41
	s_cbranch_execnz .LBB134_1056
.LBB134_21:                             ;   in Loop: Header=BB134_3 Depth=1
	s_and_not1_saveexec_b32 s41, s41
	s_cbranch_execz .LBB134_23
.LBB134_22:                             ;   in Loop: Header=BB134_3 Depth=1
	v_lshl_add_u64 v[48:49], v[22:23], 3, v[2:3]
	flat_load_b64 v[48:49], v[48:49]
	s_wait_loadcnt_dscnt 0x0
	v_xor_b32_e32 v49, 0x80000000, v49
	ds_store_b64 v87, v[48:49]
.LBB134_23:                             ;   in Loop: Header=BB134_3 Depth=1
	s_or_b32 exec_lo, exec_lo, s41
	s_mov_b32 s41, 0
.LBB134_24:                             ;   in Loop: Header=BB134_3 Depth=1
	s_delay_alu instid0(SALU_CYCLE_1)
	s_and_b32 vcc_lo, exec_lo, s41
	s_cbranch_vccz .LBB134_50
; %bb.25:                               ;   in Loop: Header=BB134_3 Depth=1
	s_wait_xcnt 0x0
	s_mov_b32 s41, exec_lo
	v_readlane_b32 s42, v104, 13
	s_and_b32 s42, s41, s42
	s_delay_alu instid0(SALU_CYCLE_1)
	s_xor_b32 s41, s42, s41
	s_mov_b32 exec_lo, s42
	s_cbranch_execz .LBB134_29
; %bb.26:                               ;   in Loop: Header=BB134_3 Depth=1
	s_mov_b32 s42, exec_lo
	v_readlane_b32 s43, v99, 19
	s_and_b32 s43, s42, s43
	s_delay_alu instid0(SALU_CYCLE_1)
	s_mov_b32 exec_lo, s43
; %bb.27:                               ;   in Loop: Header=BB134_3 Depth=1
	ds_store_b64 v90, v[32:33]
; %bb.28:                               ;   in Loop: Header=BB134_3 Depth=1
	s_or_b32 exec_lo, exec_lo, s42
.LBB134_29:                             ;   in Loop: Header=BB134_3 Depth=1
	s_and_not1_saveexec_b32 s41, s41
	s_cbranch_execz .LBB134_31
; %bb.30:                               ;   in Loop: Header=BB134_3 Depth=1
	v_lshl_add_u64 v[48:49], v[24:25], 3, v[2:3]
	flat_load_b64 v[48:49], v[48:49]
	s_wait_loadcnt_dscnt 0x0
	v_xor_b32_e32 v49, 0x80000000, v49
	ds_store_b64 v90, v[48:49]
.LBB134_31:                             ;   in Loop: Header=BB134_3 Depth=1
	s_or_b32 exec_lo, exec_lo, s41
	s_delay_alu instid0(SALU_CYCLE_1) | instskip(SKIP_2) | instid1(SALU_CYCLE_1)
	s_mov_b32 s41, exec_lo
	v_readlane_b32 s42, v104, 14
	s_and_b32 s42, s41, s42
	s_xor_b32 s41, s42, s41
	s_mov_b32 exec_lo, s42
	s_cbranch_execz .LBB134_35
; %bb.32:                               ;   in Loop: Header=BB134_3 Depth=1
	s_mov_b32 s42, exec_lo
	v_readlane_b32 s43, v99, 20
	s_and_b32 s43, s42, s43
	s_delay_alu instid0(SALU_CYCLE_1)
	s_mov_b32 exec_lo, s43
; %bb.33:                               ;   in Loop: Header=BB134_3 Depth=1
	ds_store_b64 v85, v[32:33]
; %bb.34:                               ;   in Loop: Header=BB134_3 Depth=1
	s_or_b32 exec_lo, exec_lo, s42
.LBB134_35:                             ;   in Loop: Header=BB134_3 Depth=1
	s_and_not1_saveexec_b32 s41, s41
	s_cbranch_execz .LBB134_37
; %bb.36:                               ;   in Loop: Header=BB134_3 Depth=1
	v_lshl_add_u64 v[48:49], v[18:19], 3, v[2:3]
	flat_load_b64 v[48:49], v[48:49]
	s_wait_loadcnt_dscnt 0x0
	v_xor_b32_e32 v49, 0x80000000, v49
	ds_store_b64 v85, v[48:49]
.LBB134_37:                             ;   in Loop: Header=BB134_3 Depth=1
	s_or_b32 exec_lo, exec_lo, s41
	s_delay_alu instid0(SALU_CYCLE_1) | instskip(SKIP_2) | instid1(SALU_CYCLE_1)
	s_mov_b32 s41, exec_lo
	v_readlane_b32 s42, v104, 15
	s_and_b32 s42, s41, s42
	;; [unrolled: 28-line block ×3, first 2 shown]
	s_xor_b32 s41, s42, s41
	s_mov_b32 exec_lo, s42
	s_cbranch_execz .LBB134_47
; %bb.44:                               ;   in Loop: Header=BB134_3 Depth=1
	s_mov_b32 s42, exec_lo
	v_readlane_b32 s43, v99, 22
	s_and_b32 s43, s42, s43
	s_delay_alu instid0(SALU_CYCLE_1)
	s_mov_b32 exec_lo, s43
; %bb.45:                               ;   in Loop: Header=BB134_3 Depth=1
	ds_store_b64 v87, v[32:33]
; %bb.46:                               ;   in Loop: Header=BB134_3 Depth=1
	s_or_b32 exec_lo, exec_lo, s42
                                        ; implicit-def: $vgpr2_vgpr3
.LBB134_47:                             ;   in Loop: Header=BB134_3 Depth=1
	s_and_not1_saveexec_b32 s41, s41
	s_cbranch_execz .LBB134_49
; %bb.48:                               ;   in Loop: Header=BB134_3 Depth=1
	v_lshl_add_u64 v[2:3], v[22:23], 3, v[2:3]
	flat_load_b64 v[2:3], v[2:3]
	s_wait_loadcnt_dscnt 0x0
	v_xor_b32_e32 v3, 0x80000000, v3
	ds_store_b64 v87, v[2:3]
.LBB134_49:                             ;   in Loop: Header=BB134_3 Depth=1
	s_or_b32 exec_lo, exec_lo, s41
.LBB134_50:                             ;   in Loop: Header=BB134_3 Depth=1
	s_delay_alu instid0(SALU_CYCLE_1)
	s_and_not1_b32 vcc_lo, exec_lo, s87
	s_wait_loadcnt_dscnt 0x0
	s_barrier_signal -1
	s_barrier_wait -1
	s_cbranch_vccnz .LBB134_980
; %bb.51:                               ;   in Loop: Header=BB134_3 Depth=1
	s_wait_xcnt 0x0
	s_and_saveexec_b32 s41, s10
	s_cbranch_execz .LBB134_53
; %bb.52:                               ;   in Loop: Header=BB134_3 Depth=1
	ds_load_b64 v[2:3], v7 offset:32752
	v_mov_b32_e32 v0, v7
	ds_store_b64 v7, v[34:35] offset:32760
	s_wait_dscnt 0x1
	ds_store_b128 v7, v[0:3] offset:32240
.LBB134_53:                             ;   in Loop: Header=BB134_3 Depth=1
	s_or_b32 exec_lo, exec_lo, s41
	v_mov_b64_e32 v[2:3], 0
	s_wait_dscnt 0x0
	s_barrier_signal -1
	s_barrier_wait -1
	global_wb scope:SCOPE_DEV
	s_wait_storecnt 0x0
	global_inv scope:SCOPE_DEV
	s_and_saveexec_b32 s41, s1
	s_cbranch_execz .LBB134_57
; %bb.54:                               ;   in Loop: Header=BB134_3 Depth=1
	ds_load_b64 v[2:3], v54 offset:32224
	ds_load_b64 v[48:49], v53 offset:32752
	s_wait_dscnt 0x0
	v_fma_f64 v[2:3], v[2:3], v[48:49], 0
	s_and_saveexec_b32 s42, s11
	s_cbranch_execz .LBB134_56
; %bb.55:                               ;   in Loop: Header=BB134_3 Depth=1
	ds_load_b64 v[48:49], v55 offset:32736
	ds_load_b64 v[50:51], v7 offset:32760
	s_wait_dscnt 0x0
	v_fmac_f64_e32 v[2:3], v[48:49], v[50:51]
.LBB134_56:                             ;   in Loop: Header=BB134_3 Depth=1
	s_or_b32 exec_lo, exec_lo, s42
.LBB134_57:                             ;   in Loop: Header=BB134_3 Depth=1
	s_delay_alu instid0(SALU_CYCLE_1)
	s_or_b32 exec_lo, exec_lo, s41
	s_and_saveexec_b32 s41, s88
; %bb.58:                               ;   in Loop: Header=BB134_3 Depth=1
	s_delay_alu instid0(VALU_DEP_1) | instskip(NEXT) | instid1(VALU_DEP_2)
	v_xor_b32_e32 v49, 0x80000000, v3
	v_mov_b32_e32 v48, v2
	ds_store_b64 v52, v[48:49]
; %bb.59:                               ;   in Loop: Header=BB134_3 Depth=1
	s_or_b32 exec_lo, exec_lo, s41
	s_wait_loadcnt_dscnt 0x0
	s_barrier_signal -1
	s_barrier_wait -1
	s_and_saveexec_b32 s41, s89
	s_cbranch_execz .LBB134_61
; %bb.60:                               ;   in Loop: Header=BB134_3 Depth=1
	ds_load_b64 v[48:49], v7 offset:31712
	ds_load_b64 v[50:51], v52
	s_wait_dscnt 0x0
	v_fma_f64 v[2:3], -v[48:49], v[50:51], v[2:3]
.LBB134_61:                             ;   in Loop: Header=BB134_3 Depth=1
	s_or_b32 exec_lo, exec_lo, s41
	s_barrier_signal -1
	s_barrier_wait -1
	s_and_saveexec_b32 s41, s89
; %bb.62:                               ;   in Loop: Header=BB134_3 Depth=1
	s_delay_alu instid0(VALU_DEP_1) | instskip(NEXT) | instid1(VALU_DEP_2)
	v_xor_b32_e32 v49, 0x80000000, v3
	v_mov_b32_e32 v48, v2
	ds_store_b64 v52, v[48:49]
; %bb.63:                               ;   in Loop: Header=BB134_3 Depth=1
	s_or_b32 exec_lo, exec_lo, s41
	s_wait_dscnt 0x0
	s_barrier_signal -1
	s_barrier_wait -1
	s_barrier_signal -1
	s_barrier_wait -1
	s_and_saveexec_b32 s41, s1
; %bb.64:                               ;   in Loop: Header=BB134_3 Depth=1
	ds_store_b64 v56, v[2:3] offset:32736
; %bb.65:                               ;   in Loop: Header=BB134_3 Depth=1
	s_or_b32 exec_lo, exec_lo, s41
	s_wait_dscnt 0x0
	s_barrier_signal -1
	s_barrier_wait -1
	s_barrier_signal -1
	s_barrier_wait -1
	s_and_saveexec_b32 s41, s90
	s_cbranch_execz .LBB134_67
; %bb.66:                               ;   in Loop: Header=BB134_3 Depth=1
	ds_load_b64 v[2:3], v57 offset:32224
	s_wait_dscnt 0x0
	ds_store_b64 v55, v[2:3] offset:31216
	ds_load_b64 v[2:3], v57 offset:32232
	s_wait_dscnt 0x0
	ds_store_b64 v55, v[2:3] offset:31728
.LBB134_67:                             ;   in Loop: Header=BB134_3 Depth=1
	s_or_b32 exec_lo, exec_lo, s41
	s_wait_dscnt 0x0
	s_barrier_signal -1
	s_barrier_wait -1
	s_and_saveexec_b32 s41, s10
	s_cbranch_execz .LBB134_69
; %bb.68:                               ;   in Loop: Header=BB134_3 Depth=1
	ds_load_b64 v[2:3], v7 offset:31712
	v_mov_b32_e32 v0, v7
	ds_store_b64 v7, v[34:35] offset:31720
	s_wait_dscnt 0x1
	ds_store_b128 v7, v[0:3] offset:31200
.LBB134_69:                             ;   in Loop: Header=BB134_3 Depth=1
	s_or_b32 exec_lo, exec_lo, s41
	v_mov_b64_e32 v[2:3], 0
	s_wait_dscnt 0x0
	s_barrier_signal -1
	s_barrier_wait -1
	global_wb scope:SCOPE_DEV
	s_wait_storecnt 0x0
	global_inv scope:SCOPE_DEV
	s_and_saveexec_b32 s41, s3
	s_cbranch_execz .LBB134_75
; %bb.70:                               ;   in Loop: Header=BB134_3 Depth=1
	ds_load_b64 v[2:3], v60 offset:31168
	ds_load_b64 v[48:49], v59 offset:32736
	s_wait_dscnt 0x0
	v_fma_f64 v[2:3], v[2:3], v[48:49], 0
	s_and_saveexec_b32 s42, s12
	s_cbranch_execnz .LBB134_1067
; %bb.71:                               ;   in Loop: Header=BB134_3 Depth=1
	s_or_b32 exec_lo, exec_lo, s42
	s_and_saveexec_b32 s42, s13
	s_cbranch_execnz .LBB134_1068
.LBB134_72:                             ;   in Loop: Header=BB134_3 Depth=1
	s_or_b32 exec_lo, exec_lo, s42
	s_and_saveexec_b32 s42, s1
	s_cbranch_execz .LBB134_74
.LBB134_73:                             ;   in Loop: Header=BB134_3 Depth=1
	ds_load_b64 v[48:49], v61 offset:32704
	ds_load_b64 v[50:51], v7 offset:32760
	s_wait_dscnt 0x0
	v_fmac_f64_e32 v[2:3], v[48:49], v[50:51]
.LBB134_74:                             ;   in Loop: Header=BB134_3 Depth=1
	s_or_b32 exec_lo, exec_lo, s42
.LBB134_75:                             ;   in Loop: Header=BB134_3 Depth=1
	s_delay_alu instid0(SALU_CYCLE_1)
	s_or_b32 exec_lo, exec_lo, s41
	s_and_saveexec_b32 s41, s91
; %bb.76:                               ;   in Loop: Header=BB134_3 Depth=1
	s_delay_alu instid0(VALU_DEP_1) | instskip(NEXT) | instid1(VALU_DEP_2)
	v_xor_b32_e32 v49, 0x80000000, v3
	v_mov_b32_e32 v48, v2
	ds_store_b64 v58, v[48:49]
; %bb.77:                               ;   in Loop: Header=BB134_3 Depth=1
	s_or_b32 exec_lo, exec_lo, s41
	s_wait_loadcnt_dscnt 0x0
	s_barrier_signal -1
	s_barrier_wait -1
	s_and_saveexec_b32 s41, s92
	s_cbranch_execz .LBB134_79
; %bb.78:                               ;   in Loop: Header=BB134_3 Depth=1
	ds_load_b64 v[48:49], v60 offset:30656
	ds_load_b64 v[50:51], v58
	s_wait_dscnt 0x0
	v_fma_f64 v[2:3], -v[48:49], v[50:51], v[2:3]
.LBB134_79:                             ;   in Loop: Header=BB134_3 Depth=1
	s_or_b32 exec_lo, exec_lo, s41
	s_barrier_signal -1
	s_barrier_wait -1
	s_and_saveexec_b32 s41, s93
; %bb.80:                               ;   in Loop: Header=BB134_3 Depth=1
	s_delay_alu instid0(VALU_DEP_1) | instskip(NEXT) | instid1(VALU_DEP_2)
	v_xor_b32_e32 v49, 0x80000000, v3
	v_mov_b32_e32 v48, v2
	ds_store_b64 v58, v[48:49]
; %bb.81:                               ;   in Loop: Header=BB134_3 Depth=1
	s_or_b32 exec_lo, exec_lo, s41
	s_wait_dscnt 0x0
	s_barrier_signal -1
	s_barrier_wait -1
	s_and_saveexec_b32 s41, s94
	s_cbranch_execz .LBB134_83
; %bb.82:                               ;   in Loop: Header=BB134_3 Depth=1
	ds_load_b64 v[48:49], v60 offset:30144
	ds_load_b64 v[50:51], v58
	s_wait_dscnt 0x0
	v_fma_f64 v[2:3], -v[48:49], v[50:51], v[2:3]
.LBB134_83:                             ;   in Loop: Header=BB134_3 Depth=1
	s_or_b32 exec_lo, exec_lo, s41
	s_barrier_signal -1
	s_barrier_wait -1
	s_and_saveexec_b32 s41, s95
; %bb.84:                               ;   in Loop: Header=BB134_3 Depth=1
	s_delay_alu instid0(VALU_DEP_1) | instskip(NEXT) | instid1(VALU_DEP_2)
	v_xor_b32_e32 v49, 0x80000000, v3
	v_mov_b32_e32 v48, v2
	ds_store_b64 v58, v[48:49]
; %bb.85:                               ;   in Loop: Header=BB134_3 Depth=1
	s_or_b32 exec_lo, exec_lo, s41
	s_wait_dscnt 0x0
	;; [unrolled: 22-line block ×3, first 2 shown]
	s_barrier_signal -1
	s_barrier_wait -1
	s_barrier_signal -1
	s_barrier_wait -1
	s_and_saveexec_b32 s41, s3
; %bb.90:                               ;   in Loop: Header=BB134_3 Depth=1
	ds_store_b64 v63, v[2:3] offset:32704
; %bb.91:                               ;   in Loop: Header=BB134_3 Depth=1
	s_or_b32 exec_lo, exec_lo, s41
	s_wait_dscnt 0x0
	s_barrier_signal -1
	s_barrier_wait -1
	s_barrier_signal -1
	s_barrier_wait -1
	s_and_saveexec_b32 s41, s97
	s_cbranch_execz .LBB134_93
; %bb.92:                               ;   in Loop: Header=BB134_3 Depth=1
	ds_load_b64 v[2:3], v62 offset:31168
	s_wait_dscnt 0x0
	ds_store_b64 v64, v[2:3] offset:29152
	ds_load_b64 v[2:3], v62 offset:31176
	s_wait_dscnt 0x0
	ds_store_b64 v64, v[2:3] offset:29664
	;; [unrolled: 3-line block ×4, first 2 shown]
.LBB134_93:                             ;   in Loop: Header=BB134_3 Depth=1
	s_or_b32 exec_lo, exec_lo, s41
	s_wait_dscnt 0x0
	s_barrier_signal -1
	s_barrier_wait -1
	s_and_saveexec_b32 s41, s10
	s_cbranch_execz .LBB134_95
; %bb.94:                               ;   in Loop: Header=BB134_3 Depth=1
	ds_load_b64 v[2:3], v7 offset:30672
	v_mov_b32_e32 v0, v7
	ds_store_b64 v7, v[34:35] offset:30680
	s_wait_dscnt 0x1
	ds_store_b128 v7, v[0:3] offset:30160
.LBB134_95:                             ;   in Loop: Header=BB134_3 Depth=1
	s_or_b32 exec_lo, exec_lo, s41
	v_mov_b64_e32 v[2:3], 0
	s_wait_dscnt 0x0
	s_barrier_signal -1
	s_barrier_wait -1
	global_wb scope:SCOPE_DEV
	s_wait_storecnt 0x0
	global_inv scope:SCOPE_DEV
	s_and_saveexec_b32 s41, s1
	s_cbranch_execz .LBB134_99
; %bb.96:                               ;   in Loop: Header=BB134_3 Depth=1
	ds_load_b64 v[2:3], v54 offset:30144
	ds_load_b64 v[48:49], v53 offset:30672
	s_wait_dscnt 0x0
	v_fma_f64 v[2:3], v[2:3], v[48:49], 0
	s_and_saveexec_b32 s42, s11
	s_cbranch_execz .LBB134_98
; %bb.97:                               ;   in Loop: Header=BB134_3 Depth=1
	ds_load_b64 v[48:49], v64 offset:30656
	ds_load_b64 v[50:51], v7 offset:30680
	s_wait_dscnt 0x0
	v_fmac_f64_e32 v[2:3], v[48:49], v[50:51]
.LBB134_98:                             ;   in Loop: Header=BB134_3 Depth=1
	s_or_b32 exec_lo, exec_lo, s42
.LBB134_99:                             ;   in Loop: Header=BB134_3 Depth=1
	s_delay_alu instid0(SALU_CYCLE_1)
	s_or_b32 exec_lo, exec_lo, s41
	s_and_saveexec_b32 s41, s88
; %bb.100:                              ;   in Loop: Header=BB134_3 Depth=1
	s_delay_alu instid0(VALU_DEP_1) | instskip(NEXT) | instid1(VALU_DEP_2)
	v_xor_b32_e32 v49, 0x80000000, v3
	v_mov_b32_e32 v48, v2
	ds_store_b64 v52, v[48:49]
; %bb.101:                              ;   in Loop: Header=BB134_3 Depth=1
	s_or_b32 exec_lo, exec_lo, s41
	s_wait_loadcnt_dscnt 0x0
	s_barrier_signal -1
	s_barrier_wait -1
	s_and_saveexec_b32 s41, s89
	s_cbranch_execz .LBB134_103
; %bb.102:                              ;   in Loop: Header=BB134_3 Depth=1
	ds_load_b64 v[48:49], v7 offset:29632
	ds_load_b64 v[50:51], v52
	s_wait_dscnt 0x0
	v_fma_f64 v[2:3], -v[48:49], v[50:51], v[2:3]
.LBB134_103:                            ;   in Loop: Header=BB134_3 Depth=1
	s_or_b32 exec_lo, exec_lo, s41
	s_barrier_signal -1
	s_barrier_wait -1
	s_and_saveexec_b32 s41, s89
; %bb.104:                              ;   in Loop: Header=BB134_3 Depth=1
	s_delay_alu instid0(VALU_DEP_1) | instskip(NEXT) | instid1(VALU_DEP_2)
	v_xor_b32_e32 v49, 0x80000000, v3
	v_mov_b32_e32 v48, v2
	ds_store_b64 v52, v[48:49]
; %bb.105:                              ;   in Loop: Header=BB134_3 Depth=1
	s_or_b32 exec_lo, exec_lo, s41
	s_wait_dscnt 0x0
	s_barrier_signal -1
	s_barrier_wait -1
	s_barrier_signal -1
	s_barrier_wait -1
	s_and_saveexec_b32 s41, s1
; %bb.106:                              ;   in Loop: Header=BB134_3 Depth=1
	ds_store_b64 v56, v[2:3] offset:30656
; %bb.107:                              ;   in Loop: Header=BB134_3 Depth=1
	s_or_b32 exec_lo, exec_lo, s41
	s_wait_dscnt 0x0
	s_barrier_signal -1
	s_barrier_wait -1
	s_barrier_signal -1
	s_barrier_wait -1
	s_and_saveexec_b32 s41, s90
	s_cbranch_execz .LBB134_109
; %bb.108:                              ;   in Loop: Header=BB134_3 Depth=1
	ds_load_b64 v[2:3], v65 offset:30144
	s_wait_dscnt 0x0
	ds_store_b64 v64, v[2:3] offset:29136
	ds_load_b64 v[2:3], v65 offset:30152
	s_wait_dscnt 0x0
	ds_store_b64 v64, v[2:3] offset:29648
.LBB134_109:                            ;   in Loop: Header=BB134_3 Depth=1
	s_or_b32 exec_lo, exec_lo, s41
	s_wait_dscnt 0x0
	s_barrier_signal -1
	s_barrier_wait -1
	s_and_saveexec_b32 s41, s10
	s_cbranch_execz .LBB134_111
; %bb.110:                              ;   in Loop: Header=BB134_3 Depth=1
	ds_load_b64 v[2:3], v7 offset:29632
	v_mov_b32_e32 v0, v7
	ds_store_b64 v7, v[34:35] offset:29640
	s_wait_dscnt 0x1
	ds_store_b128 v7, v[0:3] offset:29120
.LBB134_111:                            ;   in Loop: Header=BB134_3 Depth=1
	s_or_b32 exec_lo, exec_lo, s41
	v_mov_b64_e32 v[2:3], 0
	s_wait_dscnt 0x0
	s_barrier_signal -1
	s_barrier_wait -1
	global_wb scope:SCOPE_DEV
	s_wait_storecnt 0x0
	global_inv scope:SCOPE_DEV
	s_and_saveexec_b32 s41, s4
	s_cbranch_execz .LBB134_121
; %bb.112:                              ;   in Loop: Header=BB134_3 Depth=1
	ds_load_b64 v[2:3], v68 offset:29056
	ds_load_b64 v[48:49], v67 offset:32704
	s_wait_dscnt 0x0
	v_fma_f64 v[2:3], v[2:3], v[48:49], 0
	s_and_saveexec_b32 s42, s14
	s_cbranch_execnz .LBB134_1069
; %bb.113:                              ;   in Loop: Header=BB134_3 Depth=1
	s_or_b32 exec_lo, exec_lo, s42
	s_and_saveexec_b32 s42, s15
	s_cbranch_execnz .LBB134_1070
.LBB134_114:                            ;   in Loop: Header=BB134_3 Depth=1
	s_or_b32 exec_lo, exec_lo, s42
	s_and_saveexec_b32 s42, s16
	s_cbranch_execnz .LBB134_1071
.LBB134_115:                            ;   in Loop: Header=BB134_3 Depth=1
	s_or_b32 exec_lo, exec_lo, s42
	s_and_saveexec_b32 s42, s17
	s_cbranch_execnz .LBB134_1072
.LBB134_116:                            ;   in Loop: Header=BB134_3 Depth=1
	s_or_b32 exec_lo, exec_lo, s42
	s_and_saveexec_b32 s42, s18
	s_cbranch_execnz .LBB134_1073
.LBB134_117:                            ;   in Loop: Header=BB134_3 Depth=1
	s_or_b32 exec_lo, exec_lo, s42
	s_and_saveexec_b32 s42, s3
	s_cbranch_execnz .LBB134_1074
.LBB134_118:                            ;   in Loop: Header=BB134_3 Depth=1
	s_or_b32 exec_lo, exec_lo, s42
	s_and_saveexec_b32 s42, s13
	s_cbranch_execz .LBB134_120
.LBB134_119:                            ;   in Loop: Header=BB134_3 Depth=1
	ds_load_b64 v[48:49], v69 offset:32640
	ds_load_b64 v[50:51], v7 offset:32760
	s_wait_dscnt 0x0
	v_fmac_f64_e32 v[2:3], v[48:49], v[50:51]
.LBB134_120:                            ;   in Loop: Header=BB134_3 Depth=1
	s_or_b32 exec_lo, exec_lo, s42
.LBB134_121:                            ;   in Loop: Header=BB134_3 Depth=1
	s_delay_alu instid0(SALU_CYCLE_1)
	s_or_b32 exec_lo, exec_lo, s41
	s_and_saveexec_b32 s41, s98
; %bb.122:                              ;   in Loop: Header=BB134_3 Depth=1
	s_delay_alu instid0(VALU_DEP_1) | instskip(NEXT) | instid1(VALU_DEP_2)
	v_xor_b32_e32 v49, 0x80000000, v3
	v_mov_b32_e32 v48, v2
	ds_store_b64 v66, v[48:49]
; %bb.123:                              ;   in Loop: Header=BB134_3 Depth=1
	s_or_b32 exec_lo, exec_lo, s41
	s_wait_loadcnt_dscnt 0x0
	s_barrier_signal -1
	s_barrier_wait -1
	s_and_saveexec_b32 s41, s99
	s_cbranch_execz .LBB134_125
; %bb.124:                              ;   in Loop: Header=BB134_3 Depth=1
	ds_load_b64 v[48:49], v68 offset:28544
	ds_load_b64 v[50:51], v66
	s_wait_dscnt 0x0
	v_fma_f64 v[2:3], -v[48:49], v[50:51], v[2:3]
.LBB134_125:                            ;   in Loop: Header=BB134_3 Depth=1
	s_or_b32 exec_lo, exec_lo, s41
	s_barrier_signal -1
	s_barrier_wait -1
	s_and_saveexec_b32 s41, s100
; %bb.126:                              ;   in Loop: Header=BB134_3 Depth=1
	s_delay_alu instid0(VALU_DEP_1) | instskip(NEXT) | instid1(VALU_DEP_2)
	v_xor_b32_e32 v49, 0x80000000, v3
	v_mov_b32_e32 v48, v2
	ds_store_b64 v66, v[48:49]
; %bb.127:                              ;   in Loop: Header=BB134_3 Depth=1
	s_or_b32 exec_lo, exec_lo, s41
	s_wait_dscnt 0x0
	s_barrier_signal -1
	s_barrier_wait -1
	s_and_saveexec_b32 s41, s101
	s_cbranch_execz .LBB134_129
; %bb.128:                              ;   in Loop: Header=BB134_3 Depth=1
	ds_load_b64 v[48:49], v68 offset:28032
	ds_load_b64 v[50:51], v66
	s_wait_dscnt 0x0
	v_fma_f64 v[2:3], -v[48:49], v[50:51], v[2:3]
.LBB134_129:                            ;   in Loop: Header=BB134_3 Depth=1
	s_or_b32 exec_lo, exec_lo, s41
	s_barrier_signal -1
	s_barrier_wait -1
	s_and_saveexec_b32 s41, s102
; %bb.130:                              ;   in Loop: Header=BB134_3 Depth=1
	s_delay_alu instid0(VALU_DEP_1) | instskip(NEXT) | instid1(VALU_DEP_2)
	v_xor_b32_e32 v49, 0x80000000, v3
	v_mov_b32_e32 v48, v2
	ds_store_b64 v66, v[48:49]
; %bb.131:                              ;   in Loop: Header=BB134_3 Depth=1
	s_or_b32 exec_lo, exec_lo, s41
	s_wait_dscnt 0x0
	;; [unrolled: 22-line block ×3, first 2 shown]
	s_barrier_signal -1
	s_barrier_wait -1
	s_and_saveexec_b32 s41, vcc_hi
	s_cbranch_execz .LBB134_137
; %bb.136:                              ;   in Loop: Header=BB134_3 Depth=1
	ds_load_b64 v[48:49], v68 offset:27008
	ds_load_b64 v[50:51], v66
	s_wait_dscnt 0x0
	v_fma_f64 v[2:3], -v[48:49], v[50:51], v[2:3]
.LBB134_137:                            ;   in Loop: Header=BB134_3 Depth=1
	s_or_b32 exec_lo, exec_lo, s41
	s_barrier_signal -1
	s_barrier_wait -1
	s_and_saveexec_b32 s41, s31
; %bb.138:                              ;   in Loop: Header=BB134_3 Depth=1
	s_delay_alu instid0(VALU_DEP_1) | instskip(NEXT) | instid1(VALU_DEP_2)
	v_xor_b32_e32 v49, 0x80000000, v3
	v_mov_b32_e32 v48, v2
	ds_store_b64 v66, v[48:49]
; %bb.139:                              ;   in Loop: Header=BB134_3 Depth=1
	s_or_b32 exec_lo, exec_lo, s41
	s_wait_dscnt 0x0
	s_barrier_signal -1
	s_barrier_wait -1
	s_and_saveexec_b32 s41, s33
	s_cbranch_execz .LBB134_141
; %bb.140:                              ;   in Loop: Header=BB134_3 Depth=1
	ds_load_b64 v[48:49], v68 offset:26496
	ds_load_b64 v[50:51], v66
	s_wait_dscnt 0x0
	v_fma_f64 v[2:3], -v[48:49], v[50:51], v[2:3]
.LBB134_141:                            ;   in Loop: Header=BB134_3 Depth=1
	s_or_b32 exec_lo, exec_lo, s41
	s_barrier_signal -1
	s_barrier_wait -1
	s_and_saveexec_b32 s41, s34
; %bb.142:                              ;   in Loop: Header=BB134_3 Depth=1
	s_delay_alu instid0(VALU_DEP_1) | instskip(NEXT) | instid1(VALU_DEP_2)
	v_xor_b32_e32 v49, 0x80000000, v3
	v_mov_b32_e32 v48, v2
	ds_store_b64 v66, v[48:49]
; %bb.143:                              ;   in Loop: Header=BB134_3 Depth=1
	s_or_b32 exec_lo, exec_lo, s41
	s_wait_dscnt 0x0
	s_barrier_signal -1
	s_barrier_wait -1
	s_and_saveexec_b32 s41, s35
	;; [unrolled: 22-line block ×3, first 2 shown]
	s_cbranch_execz .LBB134_149
; %bb.148:                              ;   in Loop: Header=BB134_3 Depth=1
	ds_load_b64 v[48:49], v7 offset:25472
	ds_load_b64 v[50:51], v66
	s_wait_dscnt 0x0
	v_fma_f64 v[2:3], -v[48:49], v[50:51], v[2:3]
.LBB134_149:                            ;   in Loop: Header=BB134_3 Depth=1
	s_or_b32 exec_lo, exec_lo, s41
	s_barrier_signal -1
	s_barrier_wait -1
	s_and_saveexec_b32 s41, s37
; %bb.150:                              ;   in Loop: Header=BB134_3 Depth=1
	s_delay_alu instid0(VALU_DEP_1) | instskip(NEXT) | instid1(VALU_DEP_2)
	v_xor_b32_e32 v49, 0x80000000, v3
	v_mov_b32_e32 v48, v2
	ds_store_b64 v66, v[48:49]
; %bb.151:                              ;   in Loop: Header=BB134_3 Depth=1
	s_or_b32 exec_lo, exec_lo, s41
	s_wait_dscnt 0x0
	s_barrier_signal -1
	s_barrier_wait -1
	s_barrier_signal -1
	s_barrier_wait -1
	s_and_saveexec_b32 s41, s4
; %bb.152:                              ;   in Loop: Header=BB134_3 Depth=1
	ds_store_b64 v72, v[2:3] offset:32640
; %bb.153:                              ;   in Loop: Header=BB134_3 Depth=1
	s_or_b32 exec_lo, exec_lo, s41
	s_wait_dscnt 0x0
	s_barrier_signal -1
	s_barrier_wait -1
	s_barrier_signal -1
	s_barrier_wait -1
	s_and_saveexec_b32 s41, s38
	s_cbranch_execz .LBB134_155
; %bb.154:                              ;   in Loop: Header=BB134_3 Depth=1
	ds_load_b64 v[2:3], v70 offset:29056
	s_wait_dscnt 0x0
	ds_store_b64 v71, v[2:3] offset:25024
	ds_load_b64 v[2:3], v70 offset:29064
	s_wait_dscnt 0x0
	ds_store_b64 v71, v[2:3] offset:25536
	;; [unrolled: 3-line block ×8, first 2 shown]
.LBB134_155:                            ;   in Loop: Header=BB134_3 Depth=1
	s_or_b32 exec_lo, exec_lo, s41
	s_wait_dscnt 0x0
	s_barrier_signal -1
	s_barrier_wait -1
	s_and_saveexec_b32 s41, s10
	s_cbranch_execz .LBB134_157
; %bb.156:                              ;   in Loop: Header=BB134_3 Depth=1
	ds_load_b64 v[2:3], v7 offset:28592
	v_mov_b32_e32 v0, v7
	ds_store_b64 v7, v[34:35] offset:28600
	s_wait_dscnt 0x1
	ds_store_b128 v7, v[0:3] offset:28080
.LBB134_157:                            ;   in Loop: Header=BB134_3 Depth=1
	s_or_b32 exec_lo, exec_lo, s41
	v_mov_b64_e32 v[2:3], 0
	s_wait_dscnt 0x0
	s_barrier_signal -1
	s_barrier_wait -1
	global_wb scope:SCOPE_DEV
	s_wait_storecnt 0x0
	global_inv scope:SCOPE_DEV
	s_and_saveexec_b32 s41, s1
	s_cbranch_execz .LBB134_161
; %bb.158:                              ;   in Loop: Header=BB134_3 Depth=1
	ds_load_b64 v[2:3], v54 offset:28064
	ds_load_b64 v[48:49], v53 offset:28592
	s_wait_dscnt 0x0
	v_fma_f64 v[2:3], v[2:3], v[48:49], 0
	s_and_saveexec_b32 s42, s11
	s_cbranch_execz .LBB134_160
; %bb.159:                              ;   in Loop: Header=BB134_3 Depth=1
	ds_load_b64 v[48:49], v71 offset:28576
	ds_load_b64 v[50:51], v7 offset:28600
	s_wait_dscnt 0x0
	v_fmac_f64_e32 v[2:3], v[48:49], v[50:51]
.LBB134_160:                            ;   in Loop: Header=BB134_3 Depth=1
	s_or_b32 exec_lo, exec_lo, s42
.LBB134_161:                            ;   in Loop: Header=BB134_3 Depth=1
	s_delay_alu instid0(SALU_CYCLE_1)
	s_or_b32 exec_lo, exec_lo, s41
	s_and_saveexec_b32 s41, s88
; %bb.162:                              ;   in Loop: Header=BB134_3 Depth=1
	s_delay_alu instid0(VALU_DEP_1) | instskip(NEXT) | instid1(VALU_DEP_2)
	v_xor_b32_e32 v49, 0x80000000, v3
	v_mov_b32_e32 v48, v2
	ds_store_b64 v52, v[48:49]
; %bb.163:                              ;   in Loop: Header=BB134_3 Depth=1
	s_or_b32 exec_lo, exec_lo, s41
	s_wait_loadcnt_dscnt 0x0
	s_barrier_signal -1
	s_barrier_wait -1
	s_and_saveexec_b32 s41, s89
	s_cbranch_execz .LBB134_165
; %bb.164:                              ;   in Loop: Header=BB134_3 Depth=1
	ds_load_b64 v[48:49], v7 offset:27552
	ds_load_b64 v[50:51], v52
	s_wait_dscnt 0x0
	v_fma_f64 v[2:3], -v[48:49], v[50:51], v[2:3]
.LBB134_165:                            ;   in Loop: Header=BB134_3 Depth=1
	s_or_b32 exec_lo, exec_lo, s41
	s_barrier_signal -1
	s_barrier_wait -1
	s_and_saveexec_b32 s41, s89
; %bb.166:                              ;   in Loop: Header=BB134_3 Depth=1
	s_delay_alu instid0(VALU_DEP_1) | instskip(NEXT) | instid1(VALU_DEP_2)
	v_xor_b32_e32 v49, 0x80000000, v3
	v_mov_b32_e32 v48, v2
	ds_store_b64 v52, v[48:49]
; %bb.167:                              ;   in Loop: Header=BB134_3 Depth=1
	s_or_b32 exec_lo, exec_lo, s41
	s_wait_dscnt 0x0
	s_barrier_signal -1
	s_barrier_wait -1
	s_barrier_signal -1
	s_barrier_wait -1
	s_and_saveexec_b32 s41, s1
; %bb.168:                              ;   in Loop: Header=BB134_3 Depth=1
	ds_store_b64 v56, v[2:3] offset:28576
; %bb.169:                              ;   in Loop: Header=BB134_3 Depth=1
	s_or_b32 exec_lo, exec_lo, s41
	s_wait_dscnt 0x0
	s_barrier_signal -1
	s_barrier_wait -1
	s_barrier_signal -1
	s_barrier_wait -1
	s_and_saveexec_b32 s41, s90
	s_cbranch_execz .LBB134_171
; %bb.170:                              ;   in Loop: Header=BB134_3 Depth=1
	ds_load_b64 v[2:3], v73 offset:28064
	s_wait_dscnt 0x0
	ds_store_b64 v71, v[2:3] offset:27056
	ds_load_b64 v[2:3], v73 offset:28072
	s_wait_dscnt 0x0
	ds_store_b64 v71, v[2:3] offset:27568
.LBB134_171:                            ;   in Loop: Header=BB134_3 Depth=1
	s_or_b32 exec_lo, exec_lo, s41
	s_wait_dscnt 0x0
	s_barrier_signal -1
	s_barrier_wait -1
	s_and_saveexec_b32 s41, s10
	s_cbranch_execz .LBB134_173
; %bb.172:                              ;   in Loop: Header=BB134_3 Depth=1
	ds_load_b64 v[2:3], v7 offset:27552
	v_mov_b32_e32 v0, v7
	ds_store_b64 v7, v[34:35] offset:27560
	s_wait_dscnt 0x1
	ds_store_b128 v7, v[0:3] offset:27040
.LBB134_173:                            ;   in Loop: Header=BB134_3 Depth=1
	s_or_b32 exec_lo, exec_lo, s41
	v_mov_b64_e32 v[2:3], 0
	s_wait_dscnt 0x0
	s_barrier_signal -1
	s_barrier_wait -1
	global_wb scope:SCOPE_DEV
	s_wait_storecnt 0x0
	global_inv scope:SCOPE_DEV
	s_and_saveexec_b32 s41, s3
	s_cbranch_execz .LBB134_179
; %bb.174:                              ;   in Loop: Header=BB134_3 Depth=1
	ds_load_b64 v[2:3], v60 offset:27008
	ds_load_b64 v[48:49], v59 offset:28576
	s_wait_dscnt 0x0
	v_fma_f64 v[2:3], v[2:3], v[48:49], 0
	s_and_saveexec_b32 s42, s12
	s_cbranch_execnz .LBB134_1075
; %bb.175:                              ;   in Loop: Header=BB134_3 Depth=1
	s_or_b32 exec_lo, exec_lo, s42
	s_and_saveexec_b32 s42, s13
	s_cbranch_execnz .LBB134_1076
.LBB134_176:                            ;   in Loop: Header=BB134_3 Depth=1
	s_or_b32 exec_lo, exec_lo, s42
	s_and_saveexec_b32 s42, s1
	s_cbranch_execz .LBB134_178
.LBB134_177:                            ;   in Loop: Header=BB134_3 Depth=1
	ds_load_b64 v[48:49], v5 offset:28544
	ds_load_b64 v[50:51], v7 offset:28600
	s_wait_dscnt 0x0
	v_fmac_f64_e32 v[2:3], v[48:49], v[50:51]
.LBB134_178:                            ;   in Loop: Header=BB134_3 Depth=1
	s_or_b32 exec_lo, exec_lo, s42
.LBB134_179:                            ;   in Loop: Header=BB134_3 Depth=1
	s_delay_alu instid0(SALU_CYCLE_1)
	s_or_b32 exec_lo, exec_lo, s41
	s_and_saveexec_b32 s41, s91
; %bb.180:                              ;   in Loop: Header=BB134_3 Depth=1
	s_delay_alu instid0(VALU_DEP_1) | instskip(NEXT) | instid1(VALU_DEP_2)
	v_xor_b32_e32 v49, 0x80000000, v3
	v_mov_b32_e32 v48, v2
	ds_store_b64 v58, v[48:49]
; %bb.181:                              ;   in Loop: Header=BB134_3 Depth=1
	s_or_b32 exec_lo, exec_lo, s41
	s_wait_loadcnt_dscnt 0x0
	s_barrier_signal -1
	s_barrier_wait -1
	s_and_saveexec_b32 s41, s92
	s_cbranch_execz .LBB134_183
; %bb.182:                              ;   in Loop: Header=BB134_3 Depth=1
	ds_load_b64 v[48:49], v60 offset:26496
	ds_load_b64 v[50:51], v58
	s_wait_dscnt 0x0
	v_fma_f64 v[2:3], -v[48:49], v[50:51], v[2:3]
.LBB134_183:                            ;   in Loop: Header=BB134_3 Depth=1
	s_or_b32 exec_lo, exec_lo, s41
	s_barrier_signal -1
	s_barrier_wait -1
	s_and_saveexec_b32 s41, s93
; %bb.184:                              ;   in Loop: Header=BB134_3 Depth=1
	s_delay_alu instid0(VALU_DEP_1) | instskip(NEXT) | instid1(VALU_DEP_2)
	v_xor_b32_e32 v49, 0x80000000, v3
	v_mov_b32_e32 v48, v2
	ds_store_b64 v58, v[48:49]
; %bb.185:                              ;   in Loop: Header=BB134_3 Depth=1
	s_or_b32 exec_lo, exec_lo, s41
	s_wait_dscnt 0x0
	s_barrier_signal -1
	s_barrier_wait -1
	s_and_saveexec_b32 s41, s94
	s_cbranch_execz .LBB134_187
; %bb.186:                              ;   in Loop: Header=BB134_3 Depth=1
	ds_load_b64 v[48:49], v60 offset:25984
	ds_load_b64 v[50:51], v58
	s_wait_dscnt 0x0
	v_fma_f64 v[2:3], -v[48:49], v[50:51], v[2:3]
.LBB134_187:                            ;   in Loop: Header=BB134_3 Depth=1
	s_or_b32 exec_lo, exec_lo, s41
	s_barrier_signal -1
	s_barrier_wait -1
	s_and_saveexec_b32 s41, s95
; %bb.188:                              ;   in Loop: Header=BB134_3 Depth=1
	s_delay_alu instid0(VALU_DEP_1) | instskip(NEXT) | instid1(VALU_DEP_2)
	v_xor_b32_e32 v49, 0x80000000, v3
	v_mov_b32_e32 v48, v2
	ds_store_b64 v58, v[48:49]
; %bb.189:                              ;   in Loop: Header=BB134_3 Depth=1
	s_or_b32 exec_lo, exec_lo, s41
	s_wait_dscnt 0x0
	;; [unrolled: 22-line block ×3, first 2 shown]
	s_barrier_signal -1
	s_barrier_wait -1
	s_barrier_signal -1
	s_barrier_wait -1
	s_and_saveexec_b32 s41, s3
; %bb.194:                              ;   in Loop: Header=BB134_3 Depth=1
	ds_store_b64 v63, v[2:3] offset:28544
; %bb.195:                              ;   in Loop: Header=BB134_3 Depth=1
	s_or_b32 exec_lo, exec_lo, s41
	s_wait_dscnt 0x0
	s_barrier_signal -1
	s_barrier_wait -1
	s_barrier_signal -1
	s_barrier_wait -1
	s_and_saveexec_b32 s41, s97
	s_cbranch_execz .LBB134_197
; %bb.196:                              ;   in Loop: Header=BB134_3 Depth=1
	ds_load_b64 v[2:3], v11 offset:27008
	s_wait_dscnt 0x0
	ds_store_b64 v84, v[2:3] offset:24992
	ds_load_b64 v[2:3], v11 offset:27016
	s_wait_dscnt 0x0
	ds_store_b64 v84, v[2:3] offset:25504
	;; [unrolled: 3-line block ×4, first 2 shown]
.LBB134_197:                            ;   in Loop: Header=BB134_3 Depth=1
	s_or_b32 exec_lo, exec_lo, s41
	s_wait_dscnt 0x0
	s_barrier_signal -1
	s_barrier_wait -1
	s_and_saveexec_b32 s41, s10
	s_cbranch_execz .LBB134_199
; %bb.198:                              ;   in Loop: Header=BB134_3 Depth=1
	ds_load_b64 v[2:3], v7 offset:26512
	v_mov_b32_e32 v0, v7
	ds_store_b64 v7, v[34:35] offset:26520
	s_wait_dscnt 0x1
	ds_store_b128 v7, v[0:3] offset:26000
.LBB134_199:                            ;   in Loop: Header=BB134_3 Depth=1
	s_or_b32 exec_lo, exec_lo, s41
	v_mov_b64_e32 v[2:3], 0
	s_wait_dscnt 0x0
	s_barrier_signal -1
	s_barrier_wait -1
	global_wb scope:SCOPE_DEV
	s_wait_storecnt 0x0
	global_inv scope:SCOPE_DEV
	s_and_saveexec_b32 s41, s1
	s_cbranch_execz .LBB134_203
; %bb.200:                              ;   in Loop: Header=BB134_3 Depth=1
	ds_load_b64 v[2:3], v54 offset:25984
	ds_load_b64 v[48:49], v53 offset:26512
	s_wait_dscnt 0x0
	v_fma_f64 v[2:3], v[2:3], v[48:49], 0
	s_and_saveexec_b32 s42, s11
	s_cbranch_execz .LBB134_202
; %bb.201:                              ;   in Loop: Header=BB134_3 Depth=1
	ds_load_b64 v[48:49], v84 offset:26496
	ds_load_b64 v[50:51], v7 offset:26520
	s_wait_dscnt 0x0
	v_fmac_f64_e32 v[2:3], v[48:49], v[50:51]
.LBB134_202:                            ;   in Loop: Header=BB134_3 Depth=1
	s_or_b32 exec_lo, exec_lo, s42
.LBB134_203:                            ;   in Loop: Header=BB134_3 Depth=1
	s_delay_alu instid0(SALU_CYCLE_1)
	s_or_b32 exec_lo, exec_lo, s41
	s_and_saveexec_b32 s41, s88
; %bb.204:                              ;   in Loop: Header=BB134_3 Depth=1
	s_delay_alu instid0(VALU_DEP_1) | instskip(NEXT) | instid1(VALU_DEP_2)
	v_xor_b32_e32 v49, 0x80000000, v3
	v_mov_b32_e32 v48, v2
	ds_store_b64 v52, v[48:49]
; %bb.205:                              ;   in Loop: Header=BB134_3 Depth=1
	s_or_b32 exec_lo, exec_lo, s41
	s_wait_loadcnt_dscnt 0x0
	s_barrier_signal -1
	s_barrier_wait -1
	s_and_saveexec_b32 s41, s89
	s_cbranch_execz .LBB134_207
; %bb.206:                              ;   in Loop: Header=BB134_3 Depth=1
	ds_load_b64 v[48:49], v7 offset:25472
	ds_load_b64 v[50:51], v52
	s_wait_dscnt 0x0
	v_fma_f64 v[2:3], -v[48:49], v[50:51], v[2:3]
.LBB134_207:                            ;   in Loop: Header=BB134_3 Depth=1
	s_or_b32 exec_lo, exec_lo, s41
	s_barrier_signal -1
	s_barrier_wait -1
	s_and_saveexec_b32 s41, s89
; %bb.208:                              ;   in Loop: Header=BB134_3 Depth=1
	s_delay_alu instid0(VALU_DEP_1) | instskip(NEXT) | instid1(VALU_DEP_2)
	v_xor_b32_e32 v49, 0x80000000, v3
	v_mov_b32_e32 v48, v2
	ds_store_b64 v52, v[48:49]
; %bb.209:                              ;   in Loop: Header=BB134_3 Depth=1
	s_or_b32 exec_lo, exec_lo, s41
	s_wait_dscnt 0x0
	s_barrier_signal -1
	s_barrier_wait -1
	s_barrier_signal -1
	s_barrier_wait -1
	s_and_saveexec_b32 s41, s1
; %bb.210:                              ;   in Loop: Header=BB134_3 Depth=1
	ds_store_b64 v56, v[2:3] offset:26496
; %bb.211:                              ;   in Loop: Header=BB134_3 Depth=1
	s_or_b32 exec_lo, exec_lo, s41
	s_wait_dscnt 0x0
	s_barrier_signal -1
	s_barrier_wait -1
	s_barrier_signal -1
	s_barrier_wait -1
	s_and_saveexec_b32 s41, s90
	s_cbranch_execz .LBB134_213
; %bb.212:                              ;   in Loop: Header=BB134_3 Depth=1
	ds_load_b64 v[2:3], v88 offset:25984
	s_wait_dscnt 0x0
	ds_store_b64 v84, v[2:3] offset:24976
	ds_load_b64 v[2:3], v88 offset:25992
	s_wait_dscnt 0x0
	ds_store_b64 v84, v[2:3] offset:25488
.LBB134_213:                            ;   in Loop: Header=BB134_3 Depth=1
	s_or_b32 exec_lo, exec_lo, s41
	s_wait_dscnt 0x0
	s_barrier_signal -1
	s_barrier_wait -1
	s_and_saveexec_b32 s41, s10
	s_cbranch_execz .LBB134_215
; %bb.214:                              ;   in Loop: Header=BB134_3 Depth=1
	ds_load_b64 v[2:3], v7 offset:25472
	v_mov_b32_e32 v0, v7
	ds_store_b64 v7, v[34:35] offset:25480
	s_wait_dscnt 0x1
	ds_store_b128 v7, v[0:3] offset:24960
.LBB134_215:                            ;   in Loop: Header=BB134_3 Depth=1
	s_or_b32 exec_lo, exec_lo, s41
	v_mov_b64_e32 v[2:3], 0
	s_wait_dscnt 0x0
	s_barrier_signal -1
	s_barrier_wait -1
	global_wb scope:SCOPE_DEV
	s_wait_storecnt 0x0
	global_inv scope:SCOPE_DEV
	s_and_saveexec_b32 s61, s5
	s_cbranch_execz .LBB134_243
; %bb.216:                              ;   in Loop: Header=BB134_3 Depth=1
	ds_load_b64 v[2:3], v76 offset:24832
	ds_load_b64 v[48:49], v75 offset:32640
	s_wait_dscnt 0x0
	v_fma_f64 v[2:3], v[2:3], v[48:49], 0
	s_mov_b32 s41, exec_lo
	v_readlane_b32 s42, v104, 17
	s_and_b32 s42, s41, s42
	s_delay_alu instid0(SALU_CYCLE_1)
	s_mov_b32 exec_lo, s42
	s_cbranch_execz .LBB134_218
; %bb.217:                              ;   in Loop: Header=BB134_3 Depth=1
	ds_load_b64 v[48:49], v76 offset:25344
	ds_load_b64 v[50:51], v75 offset:32648
	s_wait_dscnt 0x0
	v_fmac_f64_e32 v[2:3], v[48:49], v[50:51]
.LBB134_218:                            ;   in Loop: Header=BB134_3 Depth=1
	s_or_b32 exec_lo, exec_lo, s41
	s_delay_alu instid0(SALU_CYCLE_1) | instskip(SKIP_2) | instid1(SALU_CYCLE_1)
	s_mov_b32 s41, exec_lo
	v_readlane_b32 s42, v104, 18
	s_and_b32 s42, s41, s42
	s_mov_b32 exec_lo, s42
	s_cbranch_execz .LBB134_220
; %bb.219:                              ;   in Loop: Header=BB134_3 Depth=1
	ds_load_b64 v[48:49], v76 offset:25856
	ds_load_b64 v[50:51], v75 offset:32656
	s_wait_dscnt 0x0
	v_fmac_f64_e32 v[2:3], v[48:49], v[50:51]
.LBB134_220:                            ;   in Loop: Header=BB134_3 Depth=1
	s_or_b32 exec_lo, exec_lo, s41
	s_delay_alu instid0(SALU_CYCLE_1) | instskip(SKIP_2) | instid1(SALU_CYCLE_1)
	s_mov_b32 s41, exec_lo
	v_readlane_b32 s42, v104, 19
	s_and_b32 s42, s41, s42
	;; [unrolled: 13-line block ×10, first 2 shown]
	s_mov_b32 exec_lo, s42
	s_cbranch_execnz .LBB134_1077
; %bb.237:                              ;   in Loop: Header=BB134_3 Depth=1
	s_or_b32 exec_lo, exec_lo, s41
	s_and_saveexec_b32 s41, s4
	s_cbranch_execnz .LBB134_1078
.LBB134_238:                            ;   in Loop: Header=BB134_3 Depth=1
	s_or_b32 exec_lo, exec_lo, s41
	s_and_saveexec_b32 s41, s15
	s_cbranch_execnz .LBB134_1079
.LBB134_239:                            ;   in Loop: Header=BB134_3 Depth=1
	s_or_b32 exec_lo, exec_lo, s41
	s_and_saveexec_b32 s41, s17
	s_cbranch_execnz .LBB134_1080
.LBB134_240:                            ;   in Loop: Header=BB134_3 Depth=1
	s_or_b32 exec_lo, exec_lo, s41
	s_and_saveexec_b32 s41, s3
	s_cbranch_execz .LBB134_242
.LBB134_241:                            ;   in Loop: Header=BB134_3 Depth=1
	ds_load_b64 v[48:49], v55 offset:32512
	ds_load_b64 v[50:51], v7 offset:32760
	s_wait_dscnt 0x0
	v_fmac_f64_e32 v[2:3], v[48:49], v[50:51]
.LBB134_242:                            ;   in Loop: Header=BB134_3 Depth=1
	s_or_b32 exec_lo, exec_lo, s41
.LBB134_243:                            ;   in Loop: Header=BB134_3 Depth=1
	s_delay_alu instid0(SALU_CYCLE_1) | instskip(NEXT) | instid1(SALU_CYCLE_1)
	s_or_b32 exec_lo, exec_lo, s61
	s_mov_b32 s41, exec_lo
	v_readlane_b32 s42, v104, 2
	s_and_b32 s42, s41, s42
	s_delay_alu instid0(SALU_CYCLE_1)
	s_mov_b32 exec_lo, s42
; %bb.244:                              ;   in Loop: Header=BB134_3 Depth=1
	v_xor_b32_e32 v49, 0x80000000, v3
	v_mov_b32_e32 v48, v2
	ds_store_b64 v74, v[48:49]
; %bb.245:                              ;   in Loop: Header=BB134_3 Depth=1
	s_or_b32 exec_lo, exec_lo, s41
	s_wait_loadcnt_dscnt 0x0
	s_barrier_signal -1
	s_barrier_wait -1
	s_mov_b32 s41, exec_lo
	v_readlane_b32 s42, v104, 3
	s_and_b32 s42, s41, s42
	s_delay_alu instid0(SALU_CYCLE_1)
	s_mov_b32 exec_lo, s42
	s_cbranch_execz .LBB134_247
; %bb.246:                              ;   in Loop: Header=BB134_3 Depth=1
	ds_load_b64 v[48:49], v76 offset:24320
	ds_load_b64 v[50:51], v74
	s_wait_dscnt 0x0
	v_fma_f64 v[2:3], -v[48:49], v[50:51], v[2:3]
.LBB134_247:                            ;   in Loop: Header=BB134_3 Depth=1
	s_or_b32 exec_lo, exec_lo, s41
	s_barrier_signal -1
	s_barrier_wait -1
	s_mov_b32 s41, exec_lo
	v_readlane_b32 s42, v104, 4
	s_and_b32 s42, s41, s42
	s_delay_alu instid0(SALU_CYCLE_1)
	s_mov_b32 exec_lo, s42
; %bb.248:                              ;   in Loop: Header=BB134_3 Depth=1
	v_xor_b32_e32 v49, 0x80000000, v3
	v_mov_b32_e32 v48, v2
	ds_store_b64 v74, v[48:49]
; %bb.249:                              ;   in Loop: Header=BB134_3 Depth=1
	s_or_b32 exec_lo, exec_lo, s41
	s_wait_dscnt 0x0
	s_barrier_signal -1
	s_barrier_wait -1
	s_mov_b32 s41, exec_lo
	v_readlane_b32 s42, v104, 5
	s_and_b32 s42, s41, s42
	s_delay_alu instid0(SALU_CYCLE_1)
	s_mov_b32 exec_lo, s42
	s_cbranch_execz .LBB134_251
; %bb.250:                              ;   in Loop: Header=BB134_3 Depth=1
	ds_load_b64 v[48:49], v76 offset:23808
	ds_load_b64 v[50:51], v74
	s_wait_dscnt 0x0
	v_fma_f64 v[2:3], -v[48:49], v[50:51], v[2:3]
.LBB134_251:                            ;   in Loop: Header=BB134_3 Depth=1
	s_or_b32 exec_lo, exec_lo, s41
	s_barrier_signal -1
	s_barrier_wait -1
	s_mov_b32 s41, exec_lo
	v_readlane_b32 s42, v104, 6
	s_and_b32 s42, s41, s42
	s_delay_alu instid0(SALU_CYCLE_1)
	s_mov_b32 exec_lo, s42
; %bb.252:                              ;   in Loop: Header=BB134_3 Depth=1
	v_xor_b32_e32 v49, 0x80000000, v3
	v_mov_b32_e32 v48, v2
	ds_store_b64 v74, v[48:49]
; %bb.253:                              ;   in Loop: Header=BB134_3 Depth=1
	s_or_b32 exec_lo, exec_lo, s41
	s_wait_dscnt 0x0
	s_barrier_signal -1
	s_barrier_wait -1
	s_and_saveexec_b32 s41, s44
	s_cbranch_execz .LBB134_255
; %bb.254:                              ;   in Loop: Header=BB134_3 Depth=1
	ds_load_b64 v[48:49], v76 offset:23296
	ds_load_b64 v[50:51], v74
	s_wait_dscnt 0x0
	v_fma_f64 v[2:3], -v[48:49], v[50:51], v[2:3]
.LBB134_255:                            ;   in Loop: Header=BB134_3 Depth=1
	s_or_b32 exec_lo, exec_lo, s41
	s_barrier_signal -1
	s_barrier_wait -1
	s_and_saveexec_b32 s41, s45
; %bb.256:                              ;   in Loop: Header=BB134_3 Depth=1
	s_delay_alu instid0(VALU_DEP_1) | instskip(NEXT) | instid1(VALU_DEP_2)
	v_xor_b32_e32 v49, 0x80000000, v3
	v_mov_b32_e32 v48, v2
	ds_store_b64 v74, v[48:49]
; %bb.257:                              ;   in Loop: Header=BB134_3 Depth=1
	s_or_b32 exec_lo, exec_lo, s41
	s_wait_dscnt 0x0
	s_barrier_signal -1
	s_barrier_wait -1
	s_and_saveexec_b32 s41, s46
	s_cbranch_execz .LBB134_259
; %bb.258:                              ;   in Loop: Header=BB134_3 Depth=1
	ds_load_b64 v[48:49], v76 offset:22784
	ds_load_b64 v[50:51], v74
	s_wait_dscnt 0x0
	v_fma_f64 v[2:3], -v[48:49], v[50:51], v[2:3]
.LBB134_259:                            ;   in Loop: Header=BB134_3 Depth=1
	s_or_b32 exec_lo, exec_lo, s41
	s_barrier_signal -1
	s_barrier_wait -1
	s_and_saveexec_b32 s41, s47
; %bb.260:                              ;   in Loop: Header=BB134_3 Depth=1
	s_delay_alu instid0(VALU_DEP_1) | instskip(NEXT) | instid1(VALU_DEP_2)
	;; [unrolled: 22-line block ×13, first 2 shown]
	v_xor_b32_e32 v49, 0x80000000, v3
	v_mov_b32_e32 v48, v2
	ds_store_b64 v74, v[48:49]
; %bb.305:                              ;   in Loop: Header=BB134_3 Depth=1
	s_or_b32 exec_lo, exec_lo, s41
	s_wait_dscnt 0x0
	s_barrier_signal -1
	s_barrier_wait -1
	s_barrier_signal -1
	s_barrier_wait -1
	s_and_saveexec_b32 s41, s5
; %bb.306:                              ;   in Loop: Header=BB134_3 Depth=1
	ds_store_b64 v78, v[2:3] offset:32512
; %bb.307:                              ;   in Loop: Header=BB134_3 Depth=1
	s_or_b32 exec_lo, exec_lo, s41
	s_wait_dscnt 0x0
	s_barrier_signal -1
	s_barrier_wait -1
	s_barrier_signal -1
	s_barrier_wait -1
	s_and_saveexec_b32 s41, s28
	s_cbranch_execz .LBB134_309
; %bb.308:                              ;   in Loop: Header=BB134_3 Depth=1
	ds_load_b64 v[2:3], v57 offset:24832
	s_wait_dscnt 0x0
	ds_store_b64 v61, v[2:3] offset:16768
	ds_load_b64 v[2:3], v57 offset:24840
	s_wait_dscnt 0x0
	ds_store_b64 v61, v[2:3] offset:17280
	;; [unrolled: 3-line block ×16, first 2 shown]
.LBB134_309:                            ;   in Loop: Header=BB134_3 Depth=1
	s_or_b32 exec_lo, exec_lo, s41
	s_wait_dscnt 0x0
	s_barrier_signal -1
	s_barrier_wait -1
	s_and_saveexec_b32 s41, s10
	s_cbranch_execz .LBB134_311
; %bb.310:                              ;   in Loop: Header=BB134_3 Depth=1
	ds_load_b64 v[2:3], v7 offset:24432
	v_mov_b32_e32 v0, v7
	ds_store_b64 v7, v[34:35] offset:24440
	s_wait_dscnt 0x1
	ds_store_b128 v7, v[0:3] offset:23920
.LBB134_311:                            ;   in Loop: Header=BB134_3 Depth=1
	s_or_b32 exec_lo, exec_lo, s41
	v_mov_b64_e32 v[2:3], 0
	s_wait_dscnt 0x0
	s_barrier_signal -1
	s_barrier_wait -1
	global_wb scope:SCOPE_DEV
	s_wait_storecnt 0x0
	global_inv scope:SCOPE_DEV
	s_and_saveexec_b32 s41, s1
	s_cbranch_execz .LBB134_315
; %bb.312:                              ;   in Loop: Header=BB134_3 Depth=1
	ds_load_b64 v[2:3], v54 offset:23904
	ds_load_b64 v[48:49], v53 offset:24432
	s_wait_dscnt 0x0
	v_fma_f64 v[2:3], v[2:3], v[48:49], 0
	s_and_saveexec_b32 s42, s11
	s_cbranch_execz .LBB134_314
; %bb.313:                              ;   in Loop: Header=BB134_3 Depth=1
	ds_load_b64 v[48:49], v55 offset:24416
	ds_load_b64 v[50:51], v7 offset:24440
	s_wait_dscnt 0x0
	v_fmac_f64_e32 v[2:3], v[48:49], v[50:51]
.LBB134_314:                            ;   in Loop: Header=BB134_3 Depth=1
	s_or_b32 exec_lo, exec_lo, s42
.LBB134_315:                            ;   in Loop: Header=BB134_3 Depth=1
	s_delay_alu instid0(SALU_CYCLE_1)
	s_or_b32 exec_lo, exec_lo, s41
	s_and_saveexec_b32 s41, s88
; %bb.316:                              ;   in Loop: Header=BB134_3 Depth=1
	s_delay_alu instid0(VALU_DEP_1) | instskip(NEXT) | instid1(VALU_DEP_2)
	v_xor_b32_e32 v49, 0x80000000, v3
	v_mov_b32_e32 v48, v2
	ds_store_b64 v52, v[48:49]
; %bb.317:                              ;   in Loop: Header=BB134_3 Depth=1
	s_or_b32 exec_lo, exec_lo, s41
	s_wait_loadcnt_dscnt 0x0
	s_barrier_signal -1
	s_barrier_wait -1
	s_and_saveexec_b32 s41, s89
	s_cbranch_execz .LBB134_319
; %bb.318:                              ;   in Loop: Header=BB134_3 Depth=1
	ds_load_b64 v[48:49], v7 offset:23392
	ds_load_b64 v[50:51], v52
	s_wait_dscnt 0x0
	v_fma_f64 v[2:3], -v[48:49], v[50:51], v[2:3]
.LBB134_319:                            ;   in Loop: Header=BB134_3 Depth=1
	s_or_b32 exec_lo, exec_lo, s41
	s_barrier_signal -1
	s_barrier_wait -1
	s_and_saveexec_b32 s41, s89
; %bb.320:                              ;   in Loop: Header=BB134_3 Depth=1
	s_delay_alu instid0(VALU_DEP_1) | instskip(NEXT) | instid1(VALU_DEP_2)
	v_xor_b32_e32 v49, 0x80000000, v3
	v_mov_b32_e32 v48, v2
	ds_store_b64 v52, v[48:49]
; %bb.321:                              ;   in Loop: Header=BB134_3 Depth=1
	s_or_b32 exec_lo, exec_lo, s41
	s_wait_dscnt 0x0
	s_barrier_signal -1
	s_barrier_wait -1
	s_barrier_signal -1
	s_barrier_wait -1
	s_and_saveexec_b32 s41, s1
; %bb.322:                              ;   in Loop: Header=BB134_3 Depth=1
	ds_store_b64 v56, v[2:3] offset:24416
; %bb.323:                              ;   in Loop: Header=BB134_3 Depth=1
	s_or_b32 exec_lo, exec_lo, s41
	s_wait_dscnt 0x0
	s_barrier_signal -1
	s_barrier_wait -1
	s_barrier_signal -1
	s_barrier_wait -1
	s_and_saveexec_b32 s41, s90
	s_cbranch_execz .LBB134_325
; %bb.324:                              ;   in Loop: Header=BB134_3 Depth=1
	ds_load_b64 v[2:3], v57 offset:23904
	s_wait_dscnt 0x0
	ds_store_b64 v55, v[2:3] offset:22896
	ds_load_b64 v[2:3], v57 offset:23912
	s_wait_dscnt 0x0
	ds_store_b64 v55, v[2:3] offset:23408
.LBB134_325:                            ;   in Loop: Header=BB134_3 Depth=1
	s_or_b32 exec_lo, exec_lo, s41
	s_wait_dscnt 0x0
	s_barrier_signal -1
	s_barrier_wait -1
	s_and_saveexec_b32 s41, s10
	s_cbranch_execz .LBB134_327
; %bb.326:                              ;   in Loop: Header=BB134_3 Depth=1
	ds_load_b64 v[2:3], v7 offset:23392
	v_mov_b32_e32 v0, v7
	ds_store_b64 v7, v[34:35] offset:23400
	s_wait_dscnt 0x1
	ds_store_b128 v7, v[0:3] offset:22880
.LBB134_327:                            ;   in Loop: Header=BB134_3 Depth=1
	s_or_b32 exec_lo, exec_lo, s41
	v_mov_b64_e32 v[2:3], 0
	s_wait_dscnt 0x0
	s_barrier_signal -1
	s_barrier_wait -1
	global_wb scope:SCOPE_DEV
	s_wait_storecnt 0x0
	global_inv scope:SCOPE_DEV
	s_and_saveexec_b32 s41, s3
	s_cbranch_execz .LBB134_333
; %bb.328:                              ;   in Loop: Header=BB134_3 Depth=1
	ds_load_b64 v[2:3], v60 offset:22848
	ds_load_b64 v[48:49], v59 offset:24416
	s_wait_dscnt 0x0
	v_fma_f64 v[2:3], v[2:3], v[48:49], 0
	s_and_saveexec_b32 s42, s12
	s_cbranch_execnz .LBB134_1081
; %bb.329:                              ;   in Loop: Header=BB134_3 Depth=1
	s_or_b32 exec_lo, exec_lo, s42
	s_and_saveexec_b32 s42, s13
	s_cbranch_execnz .LBB134_1082
.LBB134_330:                            ;   in Loop: Header=BB134_3 Depth=1
	s_or_b32 exec_lo, exec_lo, s42
	s_and_saveexec_b32 s42, s1
	s_cbranch_execz .LBB134_332
.LBB134_331:                            ;   in Loop: Header=BB134_3 Depth=1
	ds_load_b64 v[48:49], v61 offset:24384
	ds_load_b64 v[50:51], v7 offset:24440
	s_wait_dscnt 0x0
	v_fmac_f64_e32 v[2:3], v[48:49], v[50:51]
.LBB134_332:                            ;   in Loop: Header=BB134_3 Depth=1
	s_or_b32 exec_lo, exec_lo, s42
.LBB134_333:                            ;   in Loop: Header=BB134_3 Depth=1
	s_delay_alu instid0(SALU_CYCLE_1)
	s_or_b32 exec_lo, exec_lo, s41
	s_and_saveexec_b32 s41, s91
; %bb.334:                              ;   in Loop: Header=BB134_3 Depth=1
	s_delay_alu instid0(VALU_DEP_1) | instskip(NEXT) | instid1(VALU_DEP_2)
	v_xor_b32_e32 v49, 0x80000000, v3
	v_mov_b32_e32 v48, v2
	ds_store_b64 v58, v[48:49]
; %bb.335:                              ;   in Loop: Header=BB134_3 Depth=1
	s_or_b32 exec_lo, exec_lo, s41
	s_wait_loadcnt_dscnt 0x0
	s_barrier_signal -1
	s_barrier_wait -1
	s_and_saveexec_b32 s41, s92
	s_cbranch_execz .LBB134_337
; %bb.336:                              ;   in Loop: Header=BB134_3 Depth=1
	ds_load_b64 v[48:49], v60 offset:22336
	ds_load_b64 v[50:51], v58
	s_wait_dscnt 0x0
	v_fma_f64 v[2:3], -v[48:49], v[50:51], v[2:3]
.LBB134_337:                            ;   in Loop: Header=BB134_3 Depth=1
	s_or_b32 exec_lo, exec_lo, s41
	s_barrier_signal -1
	s_barrier_wait -1
	s_and_saveexec_b32 s41, s93
; %bb.338:                              ;   in Loop: Header=BB134_3 Depth=1
	s_delay_alu instid0(VALU_DEP_1) | instskip(NEXT) | instid1(VALU_DEP_2)
	v_xor_b32_e32 v49, 0x80000000, v3
	v_mov_b32_e32 v48, v2
	ds_store_b64 v58, v[48:49]
; %bb.339:                              ;   in Loop: Header=BB134_3 Depth=1
	s_or_b32 exec_lo, exec_lo, s41
	s_wait_dscnt 0x0
	s_barrier_signal -1
	s_barrier_wait -1
	s_and_saveexec_b32 s41, s94
	s_cbranch_execz .LBB134_341
; %bb.340:                              ;   in Loop: Header=BB134_3 Depth=1
	ds_load_b64 v[48:49], v60 offset:21824
	ds_load_b64 v[50:51], v58
	s_wait_dscnt 0x0
	v_fma_f64 v[2:3], -v[48:49], v[50:51], v[2:3]
.LBB134_341:                            ;   in Loop: Header=BB134_3 Depth=1
	s_or_b32 exec_lo, exec_lo, s41
	s_barrier_signal -1
	s_barrier_wait -1
	s_and_saveexec_b32 s41, s95
; %bb.342:                              ;   in Loop: Header=BB134_3 Depth=1
	s_delay_alu instid0(VALU_DEP_1) | instskip(NEXT) | instid1(VALU_DEP_2)
	v_xor_b32_e32 v49, 0x80000000, v3
	v_mov_b32_e32 v48, v2
	ds_store_b64 v58, v[48:49]
; %bb.343:                              ;   in Loop: Header=BB134_3 Depth=1
	s_or_b32 exec_lo, exec_lo, s41
	s_wait_dscnt 0x0
	;; [unrolled: 22-line block ×3, first 2 shown]
	s_barrier_signal -1
	s_barrier_wait -1
	s_barrier_signal -1
	s_barrier_wait -1
	s_and_saveexec_b32 s41, s3
; %bb.348:                              ;   in Loop: Header=BB134_3 Depth=1
	ds_store_b64 v63, v[2:3] offset:24384
; %bb.349:                              ;   in Loop: Header=BB134_3 Depth=1
	s_or_b32 exec_lo, exec_lo, s41
	s_wait_dscnt 0x0
	s_barrier_signal -1
	s_barrier_wait -1
	s_barrier_signal -1
	s_barrier_wait -1
	s_and_saveexec_b32 s41, s97
	s_cbranch_execz .LBB134_351
; %bb.350:                              ;   in Loop: Header=BB134_3 Depth=1
	ds_load_b64 v[2:3], v62 offset:22848
	s_wait_dscnt 0x0
	ds_store_b64 v64, v[2:3] offset:20832
	ds_load_b64 v[2:3], v62 offset:22856
	s_wait_dscnt 0x0
	ds_store_b64 v64, v[2:3] offset:21344
	;; [unrolled: 3-line block ×4, first 2 shown]
.LBB134_351:                            ;   in Loop: Header=BB134_3 Depth=1
	s_or_b32 exec_lo, exec_lo, s41
	s_wait_dscnt 0x0
	s_barrier_signal -1
	s_barrier_wait -1
	s_and_saveexec_b32 s41, s10
	s_cbranch_execz .LBB134_353
; %bb.352:                              ;   in Loop: Header=BB134_3 Depth=1
	ds_load_b64 v[2:3], v7 offset:22352
	v_mov_b32_e32 v0, v7
	ds_store_b64 v7, v[34:35] offset:22360
	s_wait_dscnt 0x1
	ds_store_b128 v7, v[0:3] offset:21840
.LBB134_353:                            ;   in Loop: Header=BB134_3 Depth=1
	s_or_b32 exec_lo, exec_lo, s41
	v_mov_b64_e32 v[2:3], 0
	s_wait_dscnt 0x0
	s_barrier_signal -1
	s_barrier_wait -1
	global_wb scope:SCOPE_DEV
	s_wait_storecnt 0x0
	global_inv scope:SCOPE_DEV
	s_and_saveexec_b32 s41, s1
	s_cbranch_execz .LBB134_357
; %bb.354:                              ;   in Loop: Header=BB134_3 Depth=1
	ds_load_b64 v[2:3], v54 offset:21824
	ds_load_b64 v[48:49], v53 offset:22352
	s_wait_dscnt 0x0
	v_fma_f64 v[2:3], v[2:3], v[48:49], 0
	s_and_saveexec_b32 s42, s11
	s_cbranch_execz .LBB134_356
; %bb.355:                              ;   in Loop: Header=BB134_3 Depth=1
	ds_load_b64 v[48:49], v64 offset:22336
	ds_load_b64 v[50:51], v7 offset:22360
	s_wait_dscnt 0x0
	v_fmac_f64_e32 v[2:3], v[48:49], v[50:51]
.LBB134_356:                            ;   in Loop: Header=BB134_3 Depth=1
	s_or_b32 exec_lo, exec_lo, s42
.LBB134_357:                            ;   in Loop: Header=BB134_3 Depth=1
	s_delay_alu instid0(SALU_CYCLE_1)
	s_or_b32 exec_lo, exec_lo, s41
	s_and_saveexec_b32 s41, s88
; %bb.358:                              ;   in Loop: Header=BB134_3 Depth=1
	s_delay_alu instid0(VALU_DEP_1) | instskip(NEXT) | instid1(VALU_DEP_2)
	v_xor_b32_e32 v49, 0x80000000, v3
	v_mov_b32_e32 v48, v2
	ds_store_b64 v52, v[48:49]
; %bb.359:                              ;   in Loop: Header=BB134_3 Depth=1
	s_or_b32 exec_lo, exec_lo, s41
	s_wait_loadcnt_dscnt 0x0
	s_barrier_signal -1
	s_barrier_wait -1
	s_and_saveexec_b32 s41, s89
	s_cbranch_execz .LBB134_361
; %bb.360:                              ;   in Loop: Header=BB134_3 Depth=1
	ds_load_b64 v[48:49], v7 offset:21312
	ds_load_b64 v[50:51], v52
	s_wait_dscnt 0x0
	v_fma_f64 v[2:3], -v[48:49], v[50:51], v[2:3]
.LBB134_361:                            ;   in Loop: Header=BB134_3 Depth=1
	s_or_b32 exec_lo, exec_lo, s41
	s_barrier_signal -1
	s_barrier_wait -1
	s_and_saveexec_b32 s41, s89
; %bb.362:                              ;   in Loop: Header=BB134_3 Depth=1
	s_delay_alu instid0(VALU_DEP_1) | instskip(NEXT) | instid1(VALU_DEP_2)
	v_xor_b32_e32 v49, 0x80000000, v3
	v_mov_b32_e32 v48, v2
	ds_store_b64 v52, v[48:49]
; %bb.363:                              ;   in Loop: Header=BB134_3 Depth=1
	s_or_b32 exec_lo, exec_lo, s41
	s_wait_dscnt 0x0
	s_barrier_signal -1
	s_barrier_wait -1
	s_barrier_signal -1
	s_barrier_wait -1
	s_and_saveexec_b32 s41, s1
; %bb.364:                              ;   in Loop: Header=BB134_3 Depth=1
	ds_store_b64 v56, v[2:3] offset:22336
; %bb.365:                              ;   in Loop: Header=BB134_3 Depth=1
	s_or_b32 exec_lo, exec_lo, s41
	s_wait_dscnt 0x0
	s_barrier_signal -1
	s_barrier_wait -1
	s_barrier_signal -1
	s_barrier_wait -1
	s_and_saveexec_b32 s41, s90
	s_cbranch_execz .LBB134_367
; %bb.366:                              ;   in Loop: Header=BB134_3 Depth=1
	ds_load_b64 v[2:3], v65 offset:21824
	s_wait_dscnt 0x0
	ds_store_b64 v64, v[2:3] offset:20816
	ds_load_b64 v[2:3], v65 offset:21832
	s_wait_dscnt 0x0
	ds_store_b64 v64, v[2:3] offset:21328
.LBB134_367:                            ;   in Loop: Header=BB134_3 Depth=1
	s_or_b32 exec_lo, exec_lo, s41
	s_wait_dscnt 0x0
	s_barrier_signal -1
	s_barrier_wait -1
	s_and_saveexec_b32 s41, s10
	s_cbranch_execz .LBB134_369
; %bb.368:                              ;   in Loop: Header=BB134_3 Depth=1
	ds_load_b64 v[2:3], v7 offset:21312
	v_mov_b32_e32 v0, v7
	ds_store_b64 v7, v[34:35] offset:21320
	s_wait_dscnt 0x1
	ds_store_b128 v7, v[0:3] offset:20800
.LBB134_369:                            ;   in Loop: Header=BB134_3 Depth=1
	s_or_b32 exec_lo, exec_lo, s41
	v_mov_b64_e32 v[2:3], 0
	s_wait_dscnt 0x0
	s_barrier_signal -1
	s_barrier_wait -1
	global_wb scope:SCOPE_DEV
	s_wait_storecnt 0x0
	global_inv scope:SCOPE_DEV
	s_and_saveexec_b32 s41, s4
	s_cbranch_execz .LBB134_379
; %bb.370:                              ;   in Loop: Header=BB134_3 Depth=1
	ds_load_b64 v[2:3], v68 offset:20736
	ds_load_b64 v[48:49], v67 offset:24384
	s_wait_dscnt 0x0
	v_fma_f64 v[2:3], v[2:3], v[48:49], 0
	s_and_saveexec_b32 s42, s14
	s_cbranch_execnz .LBB134_1083
; %bb.371:                              ;   in Loop: Header=BB134_3 Depth=1
	s_or_b32 exec_lo, exec_lo, s42
	s_and_saveexec_b32 s42, s15
	s_cbranch_execnz .LBB134_1084
.LBB134_372:                            ;   in Loop: Header=BB134_3 Depth=1
	s_or_b32 exec_lo, exec_lo, s42
	s_and_saveexec_b32 s42, s16
	s_cbranch_execnz .LBB134_1085
.LBB134_373:                            ;   in Loop: Header=BB134_3 Depth=1
	s_or_b32 exec_lo, exec_lo, s42
	s_and_saveexec_b32 s42, s17
	s_cbranch_execnz .LBB134_1086
.LBB134_374:                            ;   in Loop: Header=BB134_3 Depth=1
	s_or_b32 exec_lo, exec_lo, s42
	s_and_saveexec_b32 s42, s18
	s_cbranch_execnz .LBB134_1087
.LBB134_375:                            ;   in Loop: Header=BB134_3 Depth=1
	s_or_b32 exec_lo, exec_lo, s42
	s_and_saveexec_b32 s42, s3
	s_cbranch_execnz .LBB134_1088
.LBB134_376:                            ;   in Loop: Header=BB134_3 Depth=1
	s_or_b32 exec_lo, exec_lo, s42
	s_and_saveexec_b32 s42, s13
	s_cbranch_execz .LBB134_378
.LBB134_377:                            ;   in Loop: Header=BB134_3 Depth=1
	ds_load_b64 v[48:49], v69 offset:24320
	ds_load_b64 v[50:51], v7 offset:24440
	s_wait_dscnt 0x0
	v_fmac_f64_e32 v[2:3], v[48:49], v[50:51]
.LBB134_378:                            ;   in Loop: Header=BB134_3 Depth=1
	s_or_b32 exec_lo, exec_lo, s42
.LBB134_379:                            ;   in Loop: Header=BB134_3 Depth=1
	s_delay_alu instid0(SALU_CYCLE_1)
	s_or_b32 exec_lo, exec_lo, s41
	s_and_saveexec_b32 s41, s98
; %bb.380:                              ;   in Loop: Header=BB134_3 Depth=1
	s_delay_alu instid0(VALU_DEP_1) | instskip(NEXT) | instid1(VALU_DEP_2)
	v_xor_b32_e32 v49, 0x80000000, v3
	v_mov_b32_e32 v48, v2
	ds_store_b64 v66, v[48:49]
; %bb.381:                              ;   in Loop: Header=BB134_3 Depth=1
	s_or_b32 exec_lo, exec_lo, s41
	s_wait_loadcnt_dscnt 0x0
	s_barrier_signal -1
	s_barrier_wait -1
	s_and_saveexec_b32 s41, s99
	s_cbranch_execz .LBB134_383
; %bb.382:                              ;   in Loop: Header=BB134_3 Depth=1
	ds_load_b64 v[48:49], v68 offset:20224
	ds_load_b64 v[50:51], v66
	s_wait_dscnt 0x0
	v_fma_f64 v[2:3], -v[48:49], v[50:51], v[2:3]
.LBB134_383:                            ;   in Loop: Header=BB134_3 Depth=1
	s_or_b32 exec_lo, exec_lo, s41
	s_barrier_signal -1
	s_barrier_wait -1
	s_and_saveexec_b32 s41, s100
; %bb.384:                              ;   in Loop: Header=BB134_3 Depth=1
	s_delay_alu instid0(VALU_DEP_1) | instskip(NEXT) | instid1(VALU_DEP_2)
	v_xor_b32_e32 v49, 0x80000000, v3
	v_mov_b32_e32 v48, v2
	ds_store_b64 v66, v[48:49]
; %bb.385:                              ;   in Loop: Header=BB134_3 Depth=1
	s_or_b32 exec_lo, exec_lo, s41
	s_wait_dscnt 0x0
	s_barrier_signal -1
	s_barrier_wait -1
	s_and_saveexec_b32 s41, s101
	s_cbranch_execz .LBB134_387
; %bb.386:                              ;   in Loop: Header=BB134_3 Depth=1
	ds_load_b64 v[48:49], v68 offset:19712
	ds_load_b64 v[50:51], v66
	s_wait_dscnt 0x0
	v_fma_f64 v[2:3], -v[48:49], v[50:51], v[2:3]
.LBB134_387:                            ;   in Loop: Header=BB134_3 Depth=1
	s_or_b32 exec_lo, exec_lo, s41
	s_barrier_signal -1
	s_barrier_wait -1
	s_and_saveexec_b32 s41, s102
; %bb.388:                              ;   in Loop: Header=BB134_3 Depth=1
	s_delay_alu instid0(VALU_DEP_1) | instskip(NEXT) | instid1(VALU_DEP_2)
	v_xor_b32_e32 v49, 0x80000000, v3
	v_mov_b32_e32 v48, v2
	ds_store_b64 v66, v[48:49]
; %bb.389:                              ;   in Loop: Header=BB134_3 Depth=1
	s_or_b32 exec_lo, exec_lo, s41
	s_wait_dscnt 0x0
	;; [unrolled: 22-line block ×3, first 2 shown]
	s_barrier_signal -1
	s_barrier_wait -1
	s_and_saveexec_b32 s41, vcc_hi
	s_cbranch_execz .LBB134_395
; %bb.394:                              ;   in Loop: Header=BB134_3 Depth=1
	ds_load_b64 v[48:49], v68 offset:18688
	ds_load_b64 v[50:51], v66
	s_wait_dscnt 0x0
	v_fma_f64 v[2:3], -v[48:49], v[50:51], v[2:3]
.LBB134_395:                            ;   in Loop: Header=BB134_3 Depth=1
	s_or_b32 exec_lo, exec_lo, s41
	s_barrier_signal -1
	s_barrier_wait -1
	s_and_saveexec_b32 s41, s31
; %bb.396:                              ;   in Loop: Header=BB134_3 Depth=1
	s_delay_alu instid0(VALU_DEP_1) | instskip(NEXT) | instid1(VALU_DEP_2)
	v_xor_b32_e32 v49, 0x80000000, v3
	v_mov_b32_e32 v48, v2
	ds_store_b64 v66, v[48:49]
; %bb.397:                              ;   in Loop: Header=BB134_3 Depth=1
	s_or_b32 exec_lo, exec_lo, s41
	s_wait_dscnt 0x0
	s_barrier_signal -1
	s_barrier_wait -1
	s_and_saveexec_b32 s41, s33
	s_cbranch_execz .LBB134_399
; %bb.398:                              ;   in Loop: Header=BB134_3 Depth=1
	ds_load_b64 v[48:49], v68 offset:18176
	ds_load_b64 v[50:51], v66
	s_wait_dscnt 0x0
	v_fma_f64 v[2:3], -v[48:49], v[50:51], v[2:3]
.LBB134_399:                            ;   in Loop: Header=BB134_3 Depth=1
	s_or_b32 exec_lo, exec_lo, s41
	s_barrier_signal -1
	s_barrier_wait -1
	s_and_saveexec_b32 s41, s34
; %bb.400:                              ;   in Loop: Header=BB134_3 Depth=1
	s_delay_alu instid0(VALU_DEP_1) | instskip(NEXT) | instid1(VALU_DEP_2)
	v_xor_b32_e32 v49, 0x80000000, v3
	v_mov_b32_e32 v48, v2
	ds_store_b64 v66, v[48:49]
; %bb.401:                              ;   in Loop: Header=BB134_3 Depth=1
	s_or_b32 exec_lo, exec_lo, s41
	s_wait_dscnt 0x0
	s_barrier_signal -1
	s_barrier_wait -1
	s_and_saveexec_b32 s41, s35
	;; [unrolled: 22-line block ×3, first 2 shown]
	s_cbranch_execz .LBB134_407
; %bb.406:                              ;   in Loop: Header=BB134_3 Depth=1
	ds_load_b64 v[48:49], v7 offset:17152
	ds_load_b64 v[50:51], v66
	s_wait_dscnt 0x0
	v_fma_f64 v[2:3], -v[48:49], v[50:51], v[2:3]
.LBB134_407:                            ;   in Loop: Header=BB134_3 Depth=1
	s_or_b32 exec_lo, exec_lo, s41
	s_barrier_signal -1
	s_barrier_wait -1
	s_and_saveexec_b32 s41, s37
; %bb.408:                              ;   in Loop: Header=BB134_3 Depth=1
	s_delay_alu instid0(VALU_DEP_1) | instskip(NEXT) | instid1(VALU_DEP_2)
	v_xor_b32_e32 v49, 0x80000000, v3
	v_mov_b32_e32 v48, v2
	ds_store_b64 v66, v[48:49]
; %bb.409:                              ;   in Loop: Header=BB134_3 Depth=1
	s_or_b32 exec_lo, exec_lo, s41
	s_wait_dscnt 0x0
	s_barrier_signal -1
	s_barrier_wait -1
	s_barrier_signal -1
	s_barrier_wait -1
	s_and_saveexec_b32 s41, s4
; %bb.410:                              ;   in Loop: Header=BB134_3 Depth=1
	ds_store_b64 v72, v[2:3] offset:24320
; %bb.411:                              ;   in Loop: Header=BB134_3 Depth=1
	s_or_b32 exec_lo, exec_lo, s41
	s_wait_dscnt 0x0
	s_barrier_signal -1
	s_barrier_wait -1
	s_barrier_signal -1
	s_barrier_wait -1
	s_and_saveexec_b32 s41, s38
	s_cbranch_execz .LBB134_413
; %bb.412:                              ;   in Loop: Header=BB134_3 Depth=1
	ds_load_b64 v[2:3], v70 offset:20736
	s_wait_dscnt 0x0
	ds_store_b64 v71, v[2:3] offset:16704
	ds_load_b64 v[2:3], v70 offset:20744
	s_wait_dscnt 0x0
	ds_store_b64 v71, v[2:3] offset:17216
	;; [unrolled: 3-line block ×8, first 2 shown]
.LBB134_413:                            ;   in Loop: Header=BB134_3 Depth=1
	s_or_b32 exec_lo, exec_lo, s41
	s_wait_dscnt 0x0
	s_barrier_signal -1
	s_barrier_wait -1
	s_and_saveexec_b32 s41, s10
	s_cbranch_execz .LBB134_415
; %bb.414:                              ;   in Loop: Header=BB134_3 Depth=1
	ds_load_b64 v[2:3], v7 offset:20272
	v_mov_b32_e32 v0, v7
	ds_store_b64 v7, v[34:35] offset:20280
	s_wait_dscnt 0x1
	ds_store_b128 v7, v[0:3] offset:19760
.LBB134_415:                            ;   in Loop: Header=BB134_3 Depth=1
	s_or_b32 exec_lo, exec_lo, s41
	v_mov_b64_e32 v[2:3], 0
	s_wait_dscnt 0x0
	s_barrier_signal -1
	s_barrier_wait -1
	global_wb scope:SCOPE_DEV
	s_wait_storecnt 0x0
	global_inv scope:SCOPE_DEV
	s_and_saveexec_b32 s41, s1
	s_cbranch_execz .LBB134_419
; %bb.416:                              ;   in Loop: Header=BB134_3 Depth=1
	ds_load_b64 v[2:3], v54 offset:19744
	ds_load_b64 v[48:49], v53 offset:20272
	s_wait_dscnt 0x0
	v_fma_f64 v[2:3], v[2:3], v[48:49], 0
	s_and_saveexec_b32 s42, s11
	s_cbranch_execz .LBB134_418
; %bb.417:                              ;   in Loop: Header=BB134_3 Depth=1
	ds_load_b64 v[48:49], v71 offset:20256
	ds_load_b64 v[50:51], v7 offset:20280
	s_wait_dscnt 0x0
	v_fmac_f64_e32 v[2:3], v[48:49], v[50:51]
.LBB134_418:                            ;   in Loop: Header=BB134_3 Depth=1
	s_or_b32 exec_lo, exec_lo, s42
.LBB134_419:                            ;   in Loop: Header=BB134_3 Depth=1
	s_delay_alu instid0(SALU_CYCLE_1)
	s_or_b32 exec_lo, exec_lo, s41
	s_and_saveexec_b32 s41, s88
; %bb.420:                              ;   in Loop: Header=BB134_3 Depth=1
	s_delay_alu instid0(VALU_DEP_1) | instskip(NEXT) | instid1(VALU_DEP_2)
	v_xor_b32_e32 v49, 0x80000000, v3
	v_mov_b32_e32 v48, v2
	ds_store_b64 v52, v[48:49]
; %bb.421:                              ;   in Loop: Header=BB134_3 Depth=1
	s_or_b32 exec_lo, exec_lo, s41
	s_wait_loadcnt_dscnt 0x0
	s_barrier_signal -1
	s_barrier_wait -1
	s_and_saveexec_b32 s41, s89
	s_cbranch_execz .LBB134_423
; %bb.422:                              ;   in Loop: Header=BB134_3 Depth=1
	ds_load_b64 v[48:49], v7 offset:19232
	ds_load_b64 v[50:51], v52
	s_wait_dscnt 0x0
	v_fma_f64 v[2:3], -v[48:49], v[50:51], v[2:3]
.LBB134_423:                            ;   in Loop: Header=BB134_3 Depth=1
	s_or_b32 exec_lo, exec_lo, s41
	s_barrier_signal -1
	s_barrier_wait -1
	s_and_saveexec_b32 s41, s89
; %bb.424:                              ;   in Loop: Header=BB134_3 Depth=1
	s_delay_alu instid0(VALU_DEP_1) | instskip(NEXT) | instid1(VALU_DEP_2)
	v_xor_b32_e32 v49, 0x80000000, v3
	v_mov_b32_e32 v48, v2
	ds_store_b64 v52, v[48:49]
; %bb.425:                              ;   in Loop: Header=BB134_3 Depth=1
	s_or_b32 exec_lo, exec_lo, s41
	s_wait_dscnt 0x0
	s_barrier_signal -1
	s_barrier_wait -1
	s_barrier_signal -1
	s_barrier_wait -1
	s_and_saveexec_b32 s41, s1
; %bb.426:                              ;   in Loop: Header=BB134_3 Depth=1
	ds_store_b64 v56, v[2:3] offset:20256
; %bb.427:                              ;   in Loop: Header=BB134_3 Depth=1
	s_or_b32 exec_lo, exec_lo, s41
	s_wait_dscnt 0x0
	s_barrier_signal -1
	s_barrier_wait -1
	s_barrier_signal -1
	s_barrier_wait -1
	s_and_saveexec_b32 s41, s90
	s_cbranch_execz .LBB134_429
; %bb.428:                              ;   in Loop: Header=BB134_3 Depth=1
	ds_load_b64 v[2:3], v73 offset:19744
	s_wait_dscnt 0x0
	ds_store_b64 v71, v[2:3] offset:18736
	ds_load_b64 v[2:3], v73 offset:19752
	s_wait_dscnt 0x0
	ds_store_b64 v71, v[2:3] offset:19248
.LBB134_429:                            ;   in Loop: Header=BB134_3 Depth=1
	s_or_b32 exec_lo, exec_lo, s41
	s_wait_dscnt 0x0
	s_barrier_signal -1
	s_barrier_wait -1
	s_and_saveexec_b32 s41, s10
	s_cbranch_execz .LBB134_431
; %bb.430:                              ;   in Loop: Header=BB134_3 Depth=1
	ds_load_b64 v[2:3], v7 offset:19232
	v_mov_b32_e32 v0, v7
	ds_store_b64 v7, v[34:35] offset:19240
	s_wait_dscnt 0x1
	ds_store_b128 v7, v[0:3] offset:18720
.LBB134_431:                            ;   in Loop: Header=BB134_3 Depth=1
	s_or_b32 exec_lo, exec_lo, s41
	v_mov_b64_e32 v[2:3], 0
	s_wait_dscnt 0x0
	s_barrier_signal -1
	s_barrier_wait -1
	global_wb scope:SCOPE_DEV
	s_wait_storecnt 0x0
	global_inv scope:SCOPE_DEV
	s_and_saveexec_b32 s41, s3
	s_cbranch_execz .LBB134_437
; %bb.432:                              ;   in Loop: Header=BB134_3 Depth=1
	ds_load_b64 v[2:3], v60 offset:18688
	ds_load_b64 v[48:49], v59 offset:20256
	s_wait_dscnt 0x0
	v_fma_f64 v[2:3], v[2:3], v[48:49], 0
	s_and_saveexec_b32 s42, s12
	s_cbranch_execnz .LBB134_1089
; %bb.433:                              ;   in Loop: Header=BB134_3 Depth=1
	s_or_b32 exec_lo, exec_lo, s42
	s_and_saveexec_b32 s42, s13
	s_cbranch_execnz .LBB134_1090
.LBB134_434:                            ;   in Loop: Header=BB134_3 Depth=1
	s_or_b32 exec_lo, exec_lo, s42
	s_and_saveexec_b32 s42, s1
	s_cbranch_execz .LBB134_436
.LBB134_435:                            ;   in Loop: Header=BB134_3 Depth=1
	ds_load_b64 v[48:49], v5 offset:20224
	ds_load_b64 v[50:51], v7 offset:20280
	s_wait_dscnt 0x0
	v_fmac_f64_e32 v[2:3], v[48:49], v[50:51]
.LBB134_436:                            ;   in Loop: Header=BB134_3 Depth=1
	s_or_b32 exec_lo, exec_lo, s42
.LBB134_437:                            ;   in Loop: Header=BB134_3 Depth=1
	s_delay_alu instid0(SALU_CYCLE_1)
	s_or_b32 exec_lo, exec_lo, s41
	s_and_saveexec_b32 s41, s91
; %bb.438:                              ;   in Loop: Header=BB134_3 Depth=1
	s_delay_alu instid0(VALU_DEP_1) | instskip(NEXT) | instid1(VALU_DEP_2)
	v_xor_b32_e32 v49, 0x80000000, v3
	v_mov_b32_e32 v48, v2
	ds_store_b64 v58, v[48:49]
; %bb.439:                              ;   in Loop: Header=BB134_3 Depth=1
	s_or_b32 exec_lo, exec_lo, s41
	s_wait_loadcnt_dscnt 0x0
	s_barrier_signal -1
	s_barrier_wait -1
	s_and_saveexec_b32 s41, s92
	s_cbranch_execz .LBB134_441
; %bb.440:                              ;   in Loop: Header=BB134_3 Depth=1
	ds_load_b64 v[48:49], v60 offset:18176
	ds_load_b64 v[50:51], v58
	s_wait_dscnt 0x0
	v_fma_f64 v[2:3], -v[48:49], v[50:51], v[2:3]
.LBB134_441:                            ;   in Loop: Header=BB134_3 Depth=1
	s_or_b32 exec_lo, exec_lo, s41
	s_barrier_signal -1
	s_barrier_wait -1
	s_and_saveexec_b32 s41, s93
; %bb.442:                              ;   in Loop: Header=BB134_3 Depth=1
	s_delay_alu instid0(VALU_DEP_1) | instskip(NEXT) | instid1(VALU_DEP_2)
	v_xor_b32_e32 v49, 0x80000000, v3
	v_mov_b32_e32 v48, v2
	ds_store_b64 v58, v[48:49]
; %bb.443:                              ;   in Loop: Header=BB134_3 Depth=1
	s_or_b32 exec_lo, exec_lo, s41
	s_wait_dscnt 0x0
	s_barrier_signal -1
	s_barrier_wait -1
	s_and_saveexec_b32 s41, s94
	s_cbranch_execz .LBB134_445
; %bb.444:                              ;   in Loop: Header=BB134_3 Depth=1
	ds_load_b64 v[48:49], v60 offset:17664
	ds_load_b64 v[50:51], v58
	s_wait_dscnt 0x0
	v_fma_f64 v[2:3], -v[48:49], v[50:51], v[2:3]
.LBB134_445:                            ;   in Loop: Header=BB134_3 Depth=1
	s_or_b32 exec_lo, exec_lo, s41
	s_barrier_signal -1
	s_barrier_wait -1
	s_and_saveexec_b32 s41, s95
; %bb.446:                              ;   in Loop: Header=BB134_3 Depth=1
	s_delay_alu instid0(VALU_DEP_1) | instskip(NEXT) | instid1(VALU_DEP_2)
	v_xor_b32_e32 v49, 0x80000000, v3
	v_mov_b32_e32 v48, v2
	ds_store_b64 v58, v[48:49]
; %bb.447:                              ;   in Loop: Header=BB134_3 Depth=1
	s_or_b32 exec_lo, exec_lo, s41
	s_wait_dscnt 0x0
	;; [unrolled: 22-line block ×3, first 2 shown]
	s_barrier_signal -1
	s_barrier_wait -1
	s_barrier_signal -1
	s_barrier_wait -1
	s_and_saveexec_b32 s41, s3
; %bb.452:                              ;   in Loop: Header=BB134_3 Depth=1
	ds_store_b64 v63, v[2:3] offset:20224
; %bb.453:                              ;   in Loop: Header=BB134_3 Depth=1
	s_or_b32 exec_lo, exec_lo, s41
	s_wait_dscnt 0x0
	s_barrier_signal -1
	s_barrier_wait -1
	s_barrier_signal -1
	s_barrier_wait -1
	s_and_saveexec_b32 s41, s97
	s_cbranch_execz .LBB134_455
; %bb.454:                              ;   in Loop: Header=BB134_3 Depth=1
	ds_load_b64 v[2:3], v11 offset:18688
	s_wait_dscnt 0x0
	ds_store_b64 v84, v[2:3] offset:16672
	ds_load_b64 v[2:3], v11 offset:18696
	s_wait_dscnt 0x0
	ds_store_b64 v84, v[2:3] offset:17184
	;; [unrolled: 3-line block ×4, first 2 shown]
.LBB134_455:                            ;   in Loop: Header=BB134_3 Depth=1
	s_or_b32 exec_lo, exec_lo, s41
	s_wait_dscnt 0x0
	s_barrier_signal -1
	s_barrier_wait -1
	s_and_saveexec_b32 s41, s10
	s_cbranch_execz .LBB134_457
; %bb.456:                              ;   in Loop: Header=BB134_3 Depth=1
	ds_load_b64 v[2:3], v7 offset:18192
	v_mov_b32_e32 v0, v7
	ds_store_b64 v7, v[34:35] offset:18200
	s_wait_dscnt 0x1
	ds_store_b128 v7, v[0:3] offset:17680
.LBB134_457:                            ;   in Loop: Header=BB134_3 Depth=1
	s_or_b32 exec_lo, exec_lo, s41
	v_mov_b64_e32 v[2:3], 0
	s_wait_dscnt 0x0
	s_barrier_signal -1
	s_barrier_wait -1
	global_wb scope:SCOPE_DEV
	s_wait_storecnt 0x0
	global_inv scope:SCOPE_DEV
	s_and_saveexec_b32 s41, s1
	s_cbranch_execz .LBB134_461
; %bb.458:                              ;   in Loop: Header=BB134_3 Depth=1
	ds_load_b64 v[2:3], v54 offset:17664
	ds_load_b64 v[48:49], v53 offset:18192
	s_wait_dscnt 0x0
	v_fma_f64 v[2:3], v[2:3], v[48:49], 0
	s_and_saveexec_b32 s42, s11
	s_cbranch_execz .LBB134_460
; %bb.459:                              ;   in Loop: Header=BB134_3 Depth=1
	ds_load_b64 v[48:49], v84 offset:18176
	ds_load_b64 v[50:51], v7 offset:18200
	s_wait_dscnt 0x0
	v_fmac_f64_e32 v[2:3], v[48:49], v[50:51]
.LBB134_460:                            ;   in Loop: Header=BB134_3 Depth=1
	s_or_b32 exec_lo, exec_lo, s42
.LBB134_461:                            ;   in Loop: Header=BB134_3 Depth=1
	s_delay_alu instid0(SALU_CYCLE_1)
	s_or_b32 exec_lo, exec_lo, s41
	s_and_saveexec_b32 s41, s88
; %bb.462:                              ;   in Loop: Header=BB134_3 Depth=1
	s_delay_alu instid0(VALU_DEP_1) | instskip(NEXT) | instid1(VALU_DEP_2)
	v_xor_b32_e32 v49, 0x80000000, v3
	v_mov_b32_e32 v48, v2
	ds_store_b64 v52, v[48:49]
; %bb.463:                              ;   in Loop: Header=BB134_3 Depth=1
	s_or_b32 exec_lo, exec_lo, s41
	s_wait_loadcnt_dscnt 0x0
	s_barrier_signal -1
	s_barrier_wait -1
	s_and_saveexec_b32 s41, s89
	s_cbranch_execz .LBB134_465
; %bb.464:                              ;   in Loop: Header=BB134_3 Depth=1
	ds_load_b64 v[48:49], v7 offset:17152
	ds_load_b64 v[50:51], v52
	s_wait_dscnt 0x0
	v_fma_f64 v[2:3], -v[48:49], v[50:51], v[2:3]
.LBB134_465:                            ;   in Loop: Header=BB134_3 Depth=1
	s_or_b32 exec_lo, exec_lo, s41
	s_barrier_signal -1
	s_barrier_wait -1
	s_and_saveexec_b32 s41, s89
; %bb.466:                              ;   in Loop: Header=BB134_3 Depth=1
	s_delay_alu instid0(VALU_DEP_1) | instskip(NEXT) | instid1(VALU_DEP_2)
	v_xor_b32_e32 v49, 0x80000000, v3
	v_mov_b32_e32 v48, v2
	ds_store_b64 v52, v[48:49]
; %bb.467:                              ;   in Loop: Header=BB134_3 Depth=1
	s_or_b32 exec_lo, exec_lo, s41
	s_wait_dscnt 0x0
	s_barrier_signal -1
	s_barrier_wait -1
	s_barrier_signal -1
	s_barrier_wait -1
	s_and_saveexec_b32 s41, s1
; %bb.468:                              ;   in Loop: Header=BB134_3 Depth=1
	ds_store_b64 v56, v[2:3] offset:18176
; %bb.469:                              ;   in Loop: Header=BB134_3 Depth=1
	s_or_b32 exec_lo, exec_lo, s41
	s_wait_dscnt 0x0
	s_barrier_signal -1
	s_barrier_wait -1
	s_barrier_signal -1
	s_barrier_wait -1
	s_and_saveexec_b32 s41, s90
	s_cbranch_execz .LBB134_471
; %bb.470:                              ;   in Loop: Header=BB134_3 Depth=1
	ds_load_b64 v[2:3], v88 offset:17664
	s_wait_dscnt 0x0
	ds_store_b64 v84, v[2:3] offset:16656
	ds_load_b64 v[2:3], v88 offset:17672
	s_wait_dscnt 0x0
	ds_store_b64 v84, v[2:3] offset:17168
.LBB134_471:                            ;   in Loop: Header=BB134_3 Depth=1
	s_or_b32 exec_lo, exec_lo, s41
	s_wait_dscnt 0x0
	s_barrier_signal -1
	s_barrier_wait -1
	s_and_saveexec_b32 s41, s10
	s_cbranch_execz .LBB134_473
; %bb.472:                              ;   in Loop: Header=BB134_3 Depth=1
	ds_load_b64 v[2:3], v7 offset:17152
	v_mov_b32_e32 v0, v7
	ds_store_b64 v7, v[34:35] offset:17160
	s_wait_dscnt 0x1
	ds_store_b128 v7, v[0:3] offset:16640
.LBB134_473:                            ;   in Loop: Header=BB134_3 Depth=1
	s_or_b32 exec_lo, exec_lo, s41
	v_mov_b64_e32 v[2:3], 0
	s_wait_dscnt 0x0
	s_barrier_signal -1
	s_barrier_wait -1
	global_wb scope:SCOPE_DEV
	s_wait_storecnt 0x0
	global_inv scope:SCOPE_DEV
	s_and_saveexec_b32 s61, s30
	s_cbranch_execz .LBB134_535
; %bb.474:                              ;   in Loop: Header=BB134_3 Depth=1
	ds_load_b64 v[2:3], v79 offset:16384
	ds_load_b64 v[48:49], v81 offset:32512
	s_wait_dscnt 0x0
	v_fma_f64 v[2:3], v[2:3], v[48:49], 0
	s_mov_b32 s41, exec_lo
	v_readlane_b32 s42, v104, 28
	s_and_b32 s42, s41, s42
	s_delay_alu instid0(SALU_CYCLE_1)
	s_mov_b32 exec_lo, s42
	s_cbranch_execz .LBB134_476
; %bb.475:                              ;   in Loop: Header=BB134_3 Depth=1
	ds_load_b64 v[48:49], v79 offset:16896
	ds_load_b64 v[50:51], v81 offset:32520
	s_wait_dscnt 0x0
	v_fmac_f64_e32 v[2:3], v[48:49], v[50:51]
.LBB134_476:                            ;   in Loop: Header=BB134_3 Depth=1
	s_or_b32 exec_lo, exec_lo, s41
	s_delay_alu instid0(SALU_CYCLE_1) | instskip(SKIP_2) | instid1(SALU_CYCLE_1)
	s_mov_b32 s41, exec_lo
	v_readlane_b32 s42, v104, 29
	s_and_b32 s42, s41, s42
	s_mov_b32 exec_lo, s42
	s_cbranch_execz .LBB134_478
; %bb.477:                              ;   in Loop: Header=BB134_3 Depth=1
	ds_load_b64 v[48:49], v79 offset:17408
	ds_load_b64 v[50:51], v81 offset:32528
	s_wait_dscnt 0x0
	v_fmac_f64_e32 v[2:3], v[48:49], v[50:51]
.LBB134_478:                            ;   in Loop: Header=BB134_3 Depth=1
	s_or_b32 exec_lo, exec_lo, s41
	s_delay_alu instid0(SALU_CYCLE_1) | instskip(SKIP_2) | instid1(SALU_CYCLE_1)
	s_mov_b32 s41, exec_lo
	v_readlane_b32 s42, v104, 30
	s_and_b32 s42, s41, s42
	;; [unrolled: 13-line block ×22, first 2 shown]
	s_mov_b32 exec_lo, s42
	s_cbranch_execz .LBB134_520
; %bb.519:                              ;   in Loop: Header=BB134_3 Depth=1
	ds_load_b64 v[48:49], v79 offset:28160
	ds_load_b64 v[50:51], v81 offset:32696
	s_wait_dscnt 0x0
	v_fmac_f64_e32 v[2:3], v[48:49], v[50:51]
.LBB134_520:                            ;   in Loop: Header=BB134_3 Depth=1
	s_or_b32 exec_lo, exec_lo, s41
	s_and_saveexec_b32 s41, s5
	s_cbranch_execz .LBB134_522
; %bb.521:                              ;   in Loop: Header=BB134_3 Depth=1
	ds_load_b64 v[48:49], v79 offset:28672
	ds_load_b64 v[50:51], v81 offset:32704
	s_wait_dscnt 0x0
	v_fmac_f64_e32 v[2:3], v[48:49], v[50:51]
.LBB134_522:                            ;   in Loop: Header=BB134_3 Depth=1
	s_or_b32 exec_lo, exec_lo, s41
	s_delay_alu instid0(SALU_CYCLE_1) | instskip(SKIP_2) | instid1(SALU_CYCLE_1)
	s_mov_b32 s41, exec_lo
	v_readlane_b32 s42, v104, 18
	s_and_b32 s42, s41, s42
	s_mov_b32 exec_lo, s42
	s_cbranch_execz .LBB134_524
; %bb.523:                              ;   in Loop: Header=BB134_3 Depth=1
	ds_load_b64 v[48:49], v79 offset:29184
	ds_load_b64 v[50:51], v81 offset:32712
	s_wait_dscnt 0x0
	v_fmac_f64_e32 v[2:3], v[48:49], v[50:51]
.LBB134_524:                            ;   in Loop: Header=BB134_3 Depth=1
	s_or_b32 exec_lo, exec_lo, s41
	s_delay_alu instid0(SALU_CYCLE_1) | instskip(SKIP_2) | instid1(SALU_CYCLE_1)
	s_mov_b32 s41, exec_lo
	v_readlane_b32 s42, v104, 20
	s_and_b32 s42, s41, s42
	s_mov_b32 exec_lo, s42
	;; [unrolled: 13-line block ×5, first 2 shown]
	s_cbranch_execnz .LBB134_1091
; %bb.531:                              ;   in Loop: Header=BB134_3 Depth=1
	s_or_b32 exec_lo, exec_lo, s41
	s_and_saveexec_b32 s41, s4
	s_cbranch_execnz .LBB134_1092
.LBB134_532:                            ;   in Loop: Header=BB134_3 Depth=1
	s_or_b32 exec_lo, exec_lo, s41
	s_and_saveexec_b32 s41, s17
	s_delay_alu instid0(SALU_CYCLE_1)
	s_xor_b32 s41, exec_lo, s41
	s_cbranch_execz .LBB134_534
.LBB134_533:                            ;   in Loop: Header=BB134_3 Depth=1
	ds_load_b64 v[48:49], v55 offset:32256
	ds_load_b64 v[50:51], v7 offset:32760
	s_wait_dscnt 0x0
	v_fmac_f64_e32 v[2:3], v[48:49], v[50:51]
.LBB134_534:                            ;   in Loop: Header=BB134_3 Depth=1
	s_or_b32 exec_lo, exec_lo, s41
.LBB134_535:                            ;   in Loop: Header=BB134_3 Depth=1
	s_delay_alu instid0(SALU_CYCLE_1)
	s_or_b32 exec_lo, exec_lo, s61
	v_dual_mov_b32 v0, v98 :: v_dual_mov_b32 v6, v96
	s_mov_b32 s41, 31
	s_branch .LBB134_537
.LBB134_536:                            ;   in Loop: Header=BB134_537 Depth=2
	s_or_b32 exec_lo, exec_lo, s42
	v_add_nc_u32_e32 v6, 0xfffff800, v6
	v_add_nc_u32_e32 v0, 4, v0
	s_add_co_i32 s41, s41, -4
	s_cmp_eq_u32 s61, 0
	s_barrier_signal -1
	s_barrier_wait -1
	s_cbranch_scc1 .LBB134_553
.LBB134_537:                            ;   Parent Loop BB134_3 Depth=1
                                        ; =>  This Inner Loop Header: Depth=2
	s_delay_alu instid0(VALU_DEP_1) | instskip(SKIP_1) | instid1(SALU_CYCLE_1)
	v_cmp_eq_u32_e32 vcc_lo, 0, v0
	s_and_b32 s43, s40, vcc_lo
	s_and_saveexec_b32 s42, s43
; %bb.538:                              ;   in Loop: Header=BB134_537 Depth=2
	s_delay_alu instid0(VALU_DEP_3) | instskip(NEXT) | instid1(VALU_DEP_4)
	v_xor_b32_e32 v49, 0x80000000, v3
	v_mov_b32_e32 v48, v2
	ds_store_b64 v80, v[48:49]
; %bb.539:                              ;   in Loop: Header=BB134_537 Depth=2
	s_or_b32 exec_lo, exec_lo, s42
	v_cmp_gt_u32_e32 vcc_lo, s41, v77
	s_wait_loadcnt_dscnt 0x0
	s_barrier_signal -1
	s_barrier_wait -1
	s_and_b32 s43, s40, vcc_lo
	s_delay_alu instid0(SALU_CYCLE_1)
	s_and_saveexec_b32 s42, s43
	s_cbranch_execz .LBB134_541
; %bb.540:                              ;   in Loop: Header=BB134_537 Depth=2
	ds_load_b64 v[48:49], v6 offset:1536
	ds_load_b64 v[50:51], v80
	s_wait_dscnt 0x0
	v_fma_f64 v[2:3], -v[48:49], v[50:51], v[2:3]
.LBB134_541:                            ;   in Loop: Header=BB134_537 Depth=2
	s_or_b32 exec_lo, exec_lo, s42
	s_add_co_i32 s42, s41, -1
	s_delay_alu instid0(SALU_CYCLE_1) | instskip(SKIP_3) | instid1(SALU_CYCLE_1)
	v_cmp_eq_u32_e32 vcc_lo, s42, v77
	s_barrier_signal -1
	s_barrier_wait -1
	s_and_b32 s61, s40, vcc_lo
	s_and_saveexec_b32 s43, s61
; %bb.542:                              ;   in Loop: Header=BB134_537 Depth=2
	s_delay_alu instid0(VALU_DEP_2) | instskip(NEXT) | instid1(VALU_DEP_3)
	v_xor_b32_e32 v49, 0x80000000, v3
	v_mov_b32_e32 v48, v2
	ds_store_b64 v80, v[48:49]
; %bb.543:                              ;   in Loop: Header=BB134_537 Depth=2
	s_or_b32 exec_lo, exec_lo, s43
	v_cmp_gt_u32_e32 vcc_lo, s42, v77
	s_wait_dscnt 0x0
	s_barrier_signal -1
	s_barrier_wait -1
	s_and_b32 s43, s40, vcc_lo
	s_delay_alu instid0(SALU_CYCLE_1)
	s_and_saveexec_b32 s42, s43
	s_cbranch_execz .LBB134_545
; %bb.544:                              ;   in Loop: Header=BB134_537 Depth=2
	ds_load_b64 v[48:49], v6 offset:1024
	ds_load_b64 v[50:51], v80
	s_wait_dscnt 0x0
	v_fma_f64 v[2:3], -v[48:49], v[50:51], v[2:3]
.LBB134_545:                            ;   in Loop: Header=BB134_537 Depth=2
	s_or_b32 exec_lo, exec_lo, s42
	s_add_co_i32 s42, s41, -2
	s_delay_alu instid0(SALU_CYCLE_1) | instskip(SKIP_3) | instid1(SALU_CYCLE_1)
	v_cmp_eq_u32_e32 vcc_lo, s42, v77
	s_barrier_signal -1
	s_barrier_wait -1
	s_and_b32 s61, s40, vcc_lo
	s_and_saveexec_b32 s43, s61
; %bb.546:                              ;   in Loop: Header=BB134_537 Depth=2
	s_delay_alu instid0(VALU_DEP_2) | instskip(NEXT) | instid1(VALU_DEP_3)
	v_xor_b32_e32 v49, 0x80000000, v3
	v_mov_b32_e32 v48, v2
	ds_store_b64 v80, v[48:49]
; %bb.547:                              ;   in Loop: Header=BB134_537 Depth=2
	s_or_b32 exec_lo, exec_lo, s43
	v_cmp_gt_u32_e32 vcc_lo, s42, v77
	s_wait_dscnt 0x0
	;; [unrolled: 29-line block ×3, first 2 shown]
	s_barrier_signal -1
	s_barrier_wait -1
	s_and_b32 s43, s40, vcc_lo
	s_delay_alu instid0(SALU_CYCLE_1)
	s_and_saveexec_b32 s42, s43
	s_cbranch_execz .LBB134_536
; %bb.552:                              ;   in Loop: Header=BB134_537 Depth=2
	ds_load_b64 v[48:49], v6
	ds_load_b64 v[50:51], v80
	s_wait_dscnt 0x0
	v_fma_f64 v[2:3], -v[48:49], v[50:51], v[2:3]
	s_branch .LBB134_536
.LBB134_553:                            ;   in Loop: Header=BB134_3 Depth=1
	s_and_saveexec_b32 s41, s30
; %bb.554:                              ;   in Loop: Header=BB134_3 Depth=1
	ds_store_b64 v82, v[2:3] offset:32256
; %bb.555:                              ;   in Loop: Header=BB134_3 Depth=1
	s_or_b32 exec_lo, exec_lo, s41
	s_wait_dscnt 0x0
	s_barrier_signal -1
	s_barrier_wait -1
	s_barrier_signal -1
	s_barrier_wait -1
	s_mov_b32 s41, exec_lo
	v_readlane_b32 s42, v104, 7
	s_and_b32 s42, s41, s42
	s_delay_alu instid0(SALU_CYCLE_1)
	s_mov_b32 exec_lo, s42
	s_cbranch_execz .LBB134_557
; %bb.556:                              ;   in Loop: Header=BB134_3 Depth=1
	ds_load_b64 v[2:3], v57 offset:16384
	s_wait_dscnt 0x0
	ds_store_b64 v61, v[2:3] offset:256
	ds_load_b64 v[2:3], v57 offset:16392
	s_wait_dscnt 0x0
	ds_store_b64 v61, v[2:3] offset:768
	;; [unrolled: 3-line block ×32, first 2 shown]
.LBB134_557:                            ;   in Loop: Header=BB134_3 Depth=1
	s_or_b32 exec_lo, exec_lo, s41
	s_wait_dscnt 0x0
	s_barrier_signal -1
	s_barrier_wait -1
	s_and_saveexec_b32 s41, s10
	s_cbranch_execz .LBB134_559
; %bb.558:                              ;   in Loop: Header=BB134_3 Depth=1
	ds_load_b64 v[2:3], v7 offset:16112
	v_mov_b32_e32 v0, v7
	ds_store_b64 v7, v[34:35] offset:16120
	s_wait_dscnt 0x1
	ds_store_b128 v7, v[0:3] offset:15600
.LBB134_559:                            ;   in Loop: Header=BB134_3 Depth=1
	s_or_b32 exec_lo, exec_lo, s41
	v_mov_b64_e32 v[2:3], 0
	s_wait_dscnt 0x0
	s_barrier_signal -1
	s_barrier_wait -1
	global_wb scope:SCOPE_DEV
	s_wait_storecnt 0x0
	global_inv scope:SCOPE_DEV
	s_and_saveexec_b32 s41, s1
	s_cbranch_execz .LBB134_563
; %bb.560:                              ;   in Loop: Header=BB134_3 Depth=1
	ds_load_b64 v[2:3], v54 offset:15584
	ds_load_b64 v[48:49], v53 offset:16112
	s_wait_dscnt 0x0
	v_fma_f64 v[2:3], v[2:3], v[48:49], 0
	s_and_saveexec_b32 s42, s11
	s_cbranch_execz .LBB134_562
; %bb.561:                              ;   in Loop: Header=BB134_3 Depth=1
	ds_load_b64 v[48:49], v55 offset:16096
	ds_load_b64 v[50:51], v7 offset:16120
	s_wait_dscnt 0x0
	v_fmac_f64_e32 v[2:3], v[48:49], v[50:51]
.LBB134_562:                            ;   in Loop: Header=BB134_3 Depth=1
	s_or_b32 exec_lo, exec_lo, s42
.LBB134_563:                            ;   in Loop: Header=BB134_3 Depth=1
	s_delay_alu instid0(SALU_CYCLE_1)
	s_or_b32 exec_lo, exec_lo, s41
	s_and_saveexec_b32 s41, s88
; %bb.564:                              ;   in Loop: Header=BB134_3 Depth=1
	s_delay_alu instid0(VALU_DEP_1) | instskip(NEXT) | instid1(VALU_DEP_2)
	v_xor_b32_e32 v49, 0x80000000, v3
	v_mov_b32_e32 v48, v2
	ds_store_b64 v52, v[48:49]
; %bb.565:                              ;   in Loop: Header=BB134_3 Depth=1
	s_or_b32 exec_lo, exec_lo, s41
	s_wait_loadcnt_dscnt 0x0
	s_barrier_signal -1
	s_barrier_wait -1
	s_and_saveexec_b32 s41, s89
	s_cbranch_execz .LBB134_567
; %bb.566:                              ;   in Loop: Header=BB134_3 Depth=1
	ds_load_b64 v[48:49], v7 offset:15072
	ds_load_b64 v[50:51], v52
	s_wait_dscnt 0x0
	v_fma_f64 v[2:3], -v[48:49], v[50:51], v[2:3]
.LBB134_567:                            ;   in Loop: Header=BB134_3 Depth=1
	s_or_b32 exec_lo, exec_lo, s41
	s_barrier_signal -1
	s_barrier_wait -1
	s_and_saveexec_b32 s41, s89
; %bb.568:                              ;   in Loop: Header=BB134_3 Depth=1
	s_delay_alu instid0(VALU_DEP_1) | instskip(NEXT) | instid1(VALU_DEP_2)
	v_xor_b32_e32 v49, 0x80000000, v3
	v_mov_b32_e32 v48, v2
	ds_store_b64 v52, v[48:49]
; %bb.569:                              ;   in Loop: Header=BB134_3 Depth=1
	s_or_b32 exec_lo, exec_lo, s41
	s_wait_dscnt 0x0
	s_barrier_signal -1
	s_barrier_wait -1
	s_barrier_signal -1
	s_barrier_wait -1
	s_and_saveexec_b32 s41, s1
; %bb.570:                              ;   in Loop: Header=BB134_3 Depth=1
	ds_store_b64 v56, v[2:3] offset:16096
; %bb.571:                              ;   in Loop: Header=BB134_3 Depth=1
	s_or_b32 exec_lo, exec_lo, s41
	s_wait_dscnt 0x0
	s_barrier_signal -1
	s_barrier_wait -1
	s_barrier_signal -1
	s_barrier_wait -1
	s_and_saveexec_b32 s41, s90
	s_cbranch_execz .LBB134_573
; %bb.572:                              ;   in Loop: Header=BB134_3 Depth=1
	ds_load_b64 v[2:3], v57 offset:15584
	s_wait_dscnt 0x0
	ds_store_b64 v55, v[2:3] offset:14576
	ds_load_b64 v[2:3], v57 offset:15592
	s_wait_dscnt 0x0
	ds_store_b64 v55, v[2:3] offset:15088
.LBB134_573:                            ;   in Loop: Header=BB134_3 Depth=1
	s_or_b32 exec_lo, exec_lo, s41
	s_wait_dscnt 0x0
	s_barrier_signal -1
	s_barrier_wait -1
	s_and_saveexec_b32 s41, s10
	s_cbranch_execz .LBB134_575
; %bb.574:                              ;   in Loop: Header=BB134_3 Depth=1
	ds_load_b64 v[2:3], v7 offset:15072
	v_mov_b32_e32 v0, v7
	ds_store_b64 v7, v[34:35] offset:15080
	s_wait_dscnt 0x1
	ds_store_b128 v7, v[0:3] offset:14560
.LBB134_575:                            ;   in Loop: Header=BB134_3 Depth=1
	s_or_b32 exec_lo, exec_lo, s41
	v_mov_b64_e32 v[2:3], 0
	s_wait_dscnt 0x0
	s_barrier_signal -1
	s_barrier_wait -1
	global_wb scope:SCOPE_DEV
	s_wait_storecnt 0x0
	global_inv scope:SCOPE_DEV
	s_and_saveexec_b32 s41, s3
	s_cbranch_execz .LBB134_581
; %bb.576:                              ;   in Loop: Header=BB134_3 Depth=1
	ds_load_b64 v[2:3], v60 offset:14528
	ds_load_b64 v[48:49], v59 offset:16096
	s_wait_dscnt 0x0
	v_fma_f64 v[2:3], v[2:3], v[48:49], 0
	s_and_saveexec_b32 s42, s12
	s_cbranch_execnz .LBB134_1093
; %bb.577:                              ;   in Loop: Header=BB134_3 Depth=1
	s_or_b32 exec_lo, exec_lo, s42
	s_and_saveexec_b32 s42, s13
	s_cbranch_execnz .LBB134_1094
.LBB134_578:                            ;   in Loop: Header=BB134_3 Depth=1
	s_or_b32 exec_lo, exec_lo, s42
	s_and_saveexec_b32 s42, s1
	s_cbranch_execz .LBB134_580
.LBB134_579:                            ;   in Loop: Header=BB134_3 Depth=1
	ds_load_b64 v[48:49], v61 offset:16064
	ds_load_b64 v[50:51], v7 offset:16120
	s_wait_dscnt 0x0
	v_fmac_f64_e32 v[2:3], v[48:49], v[50:51]
.LBB134_580:                            ;   in Loop: Header=BB134_3 Depth=1
	s_or_b32 exec_lo, exec_lo, s42
.LBB134_581:                            ;   in Loop: Header=BB134_3 Depth=1
	s_delay_alu instid0(SALU_CYCLE_1)
	s_or_b32 exec_lo, exec_lo, s41
	s_and_saveexec_b32 s41, s91
; %bb.582:                              ;   in Loop: Header=BB134_3 Depth=1
	s_delay_alu instid0(VALU_DEP_1) | instskip(NEXT) | instid1(VALU_DEP_2)
	v_xor_b32_e32 v49, 0x80000000, v3
	v_mov_b32_e32 v48, v2
	ds_store_b64 v58, v[48:49]
; %bb.583:                              ;   in Loop: Header=BB134_3 Depth=1
	s_or_b32 exec_lo, exec_lo, s41
	s_wait_loadcnt_dscnt 0x0
	s_barrier_signal -1
	s_barrier_wait -1
	s_and_saveexec_b32 s41, s92
	s_cbranch_execz .LBB134_585
; %bb.584:                              ;   in Loop: Header=BB134_3 Depth=1
	ds_load_b64 v[48:49], v60 offset:14016
	ds_load_b64 v[50:51], v58
	s_wait_dscnt 0x0
	v_fma_f64 v[2:3], -v[48:49], v[50:51], v[2:3]
.LBB134_585:                            ;   in Loop: Header=BB134_3 Depth=1
	s_or_b32 exec_lo, exec_lo, s41
	s_barrier_signal -1
	s_barrier_wait -1
	s_and_saveexec_b32 s41, s93
; %bb.586:                              ;   in Loop: Header=BB134_3 Depth=1
	s_delay_alu instid0(VALU_DEP_1) | instskip(NEXT) | instid1(VALU_DEP_2)
	v_xor_b32_e32 v49, 0x80000000, v3
	v_mov_b32_e32 v48, v2
	ds_store_b64 v58, v[48:49]
; %bb.587:                              ;   in Loop: Header=BB134_3 Depth=1
	s_or_b32 exec_lo, exec_lo, s41
	s_wait_dscnt 0x0
	s_barrier_signal -1
	s_barrier_wait -1
	s_and_saveexec_b32 s41, s94
	s_cbranch_execz .LBB134_589
; %bb.588:                              ;   in Loop: Header=BB134_3 Depth=1
	ds_load_b64 v[48:49], v60 offset:13504
	ds_load_b64 v[50:51], v58
	s_wait_dscnt 0x0
	v_fma_f64 v[2:3], -v[48:49], v[50:51], v[2:3]
.LBB134_589:                            ;   in Loop: Header=BB134_3 Depth=1
	s_or_b32 exec_lo, exec_lo, s41
	s_barrier_signal -1
	s_barrier_wait -1
	s_and_saveexec_b32 s41, s95
; %bb.590:                              ;   in Loop: Header=BB134_3 Depth=1
	s_delay_alu instid0(VALU_DEP_1) | instskip(NEXT) | instid1(VALU_DEP_2)
	v_xor_b32_e32 v49, 0x80000000, v3
	v_mov_b32_e32 v48, v2
	ds_store_b64 v58, v[48:49]
; %bb.591:                              ;   in Loop: Header=BB134_3 Depth=1
	s_or_b32 exec_lo, exec_lo, s41
	s_wait_dscnt 0x0
	;; [unrolled: 22-line block ×3, first 2 shown]
	s_barrier_signal -1
	s_barrier_wait -1
	s_barrier_signal -1
	s_barrier_wait -1
	s_and_saveexec_b32 s41, s3
; %bb.596:                              ;   in Loop: Header=BB134_3 Depth=1
	ds_store_b64 v63, v[2:3] offset:16064
; %bb.597:                              ;   in Loop: Header=BB134_3 Depth=1
	s_or_b32 exec_lo, exec_lo, s41
	s_wait_dscnt 0x0
	s_barrier_signal -1
	s_barrier_wait -1
	s_barrier_signal -1
	s_barrier_wait -1
	s_and_saveexec_b32 s41, s97
	s_cbranch_execz .LBB134_599
; %bb.598:                              ;   in Loop: Header=BB134_3 Depth=1
	ds_load_b64 v[2:3], v62 offset:14528
	s_wait_dscnt 0x0
	ds_store_b64 v64, v[2:3] offset:12512
	ds_load_b64 v[2:3], v62 offset:14536
	s_wait_dscnt 0x0
	ds_store_b64 v64, v[2:3] offset:13024
	;; [unrolled: 3-line block ×4, first 2 shown]
.LBB134_599:                            ;   in Loop: Header=BB134_3 Depth=1
	s_or_b32 exec_lo, exec_lo, s41
	s_wait_dscnt 0x0
	s_barrier_signal -1
	s_barrier_wait -1
	s_and_saveexec_b32 s41, s10
	s_cbranch_execz .LBB134_601
; %bb.600:                              ;   in Loop: Header=BB134_3 Depth=1
	ds_load_b64 v[2:3], v7 offset:14032
	v_mov_b32_e32 v0, v7
	ds_store_b64 v7, v[34:35] offset:14040
	s_wait_dscnt 0x1
	ds_store_b128 v7, v[0:3] offset:13520
.LBB134_601:                            ;   in Loop: Header=BB134_3 Depth=1
	s_or_b32 exec_lo, exec_lo, s41
	v_mov_b64_e32 v[2:3], 0
	s_wait_dscnt 0x0
	s_barrier_signal -1
	s_barrier_wait -1
	global_wb scope:SCOPE_DEV
	s_wait_storecnt 0x0
	global_inv scope:SCOPE_DEV
	s_and_saveexec_b32 s41, s1
	s_cbranch_execz .LBB134_605
; %bb.602:                              ;   in Loop: Header=BB134_3 Depth=1
	ds_load_b64 v[2:3], v54 offset:13504
	ds_load_b64 v[48:49], v53 offset:14032
	s_wait_dscnt 0x0
	v_fma_f64 v[2:3], v[2:3], v[48:49], 0
	s_and_saveexec_b32 s42, s11
	s_cbranch_execz .LBB134_604
; %bb.603:                              ;   in Loop: Header=BB134_3 Depth=1
	ds_load_b64 v[48:49], v64 offset:14016
	ds_load_b64 v[50:51], v7 offset:14040
	s_wait_dscnt 0x0
	v_fmac_f64_e32 v[2:3], v[48:49], v[50:51]
.LBB134_604:                            ;   in Loop: Header=BB134_3 Depth=1
	s_or_b32 exec_lo, exec_lo, s42
.LBB134_605:                            ;   in Loop: Header=BB134_3 Depth=1
	s_delay_alu instid0(SALU_CYCLE_1)
	s_or_b32 exec_lo, exec_lo, s41
	s_and_saveexec_b32 s41, s88
; %bb.606:                              ;   in Loop: Header=BB134_3 Depth=1
	s_delay_alu instid0(VALU_DEP_1) | instskip(NEXT) | instid1(VALU_DEP_2)
	v_xor_b32_e32 v49, 0x80000000, v3
	v_mov_b32_e32 v48, v2
	ds_store_b64 v52, v[48:49]
; %bb.607:                              ;   in Loop: Header=BB134_3 Depth=1
	s_or_b32 exec_lo, exec_lo, s41
	s_wait_loadcnt_dscnt 0x0
	s_barrier_signal -1
	s_barrier_wait -1
	s_and_saveexec_b32 s41, s89
	s_cbranch_execz .LBB134_609
; %bb.608:                              ;   in Loop: Header=BB134_3 Depth=1
	ds_load_b64 v[48:49], v7 offset:12992
	ds_load_b64 v[50:51], v52
	s_wait_dscnt 0x0
	v_fma_f64 v[2:3], -v[48:49], v[50:51], v[2:3]
.LBB134_609:                            ;   in Loop: Header=BB134_3 Depth=1
	s_or_b32 exec_lo, exec_lo, s41
	s_barrier_signal -1
	s_barrier_wait -1
	s_and_saveexec_b32 s41, s89
; %bb.610:                              ;   in Loop: Header=BB134_3 Depth=1
	s_delay_alu instid0(VALU_DEP_1) | instskip(NEXT) | instid1(VALU_DEP_2)
	v_xor_b32_e32 v49, 0x80000000, v3
	v_mov_b32_e32 v48, v2
	ds_store_b64 v52, v[48:49]
; %bb.611:                              ;   in Loop: Header=BB134_3 Depth=1
	s_or_b32 exec_lo, exec_lo, s41
	s_wait_dscnt 0x0
	s_barrier_signal -1
	s_barrier_wait -1
	s_barrier_signal -1
	s_barrier_wait -1
	s_and_saveexec_b32 s41, s1
; %bb.612:                              ;   in Loop: Header=BB134_3 Depth=1
	ds_store_b64 v56, v[2:3] offset:14016
; %bb.613:                              ;   in Loop: Header=BB134_3 Depth=1
	s_or_b32 exec_lo, exec_lo, s41
	s_wait_dscnt 0x0
	s_barrier_signal -1
	s_barrier_wait -1
	s_barrier_signal -1
	s_barrier_wait -1
	s_and_saveexec_b32 s41, s90
	s_cbranch_execz .LBB134_615
; %bb.614:                              ;   in Loop: Header=BB134_3 Depth=1
	ds_load_b64 v[2:3], v65 offset:13504
	s_wait_dscnt 0x0
	ds_store_b64 v64, v[2:3] offset:12496
	ds_load_b64 v[2:3], v65 offset:13512
	s_wait_dscnt 0x0
	ds_store_b64 v64, v[2:3] offset:13008
.LBB134_615:                            ;   in Loop: Header=BB134_3 Depth=1
	s_or_b32 exec_lo, exec_lo, s41
	s_wait_dscnt 0x0
	s_barrier_signal -1
	s_barrier_wait -1
	s_and_saveexec_b32 s41, s10
	s_cbranch_execz .LBB134_617
; %bb.616:                              ;   in Loop: Header=BB134_3 Depth=1
	ds_load_b64 v[2:3], v7 offset:12992
	v_mov_b32_e32 v0, v7
	ds_store_b64 v7, v[34:35] offset:13000
	s_wait_dscnt 0x1
	ds_store_b128 v7, v[0:3] offset:12480
.LBB134_617:                            ;   in Loop: Header=BB134_3 Depth=1
	s_or_b32 exec_lo, exec_lo, s41
	v_mov_b64_e32 v[2:3], 0
	s_wait_dscnt 0x0
	s_barrier_signal -1
	s_barrier_wait -1
	global_wb scope:SCOPE_DEV
	s_wait_storecnt 0x0
	global_inv scope:SCOPE_DEV
	s_and_saveexec_b32 s41, s4
	s_cbranch_execz .LBB134_627
; %bb.618:                              ;   in Loop: Header=BB134_3 Depth=1
	ds_load_b64 v[2:3], v68 offset:12416
	ds_load_b64 v[48:49], v67 offset:16064
	s_wait_dscnt 0x0
	v_fma_f64 v[2:3], v[2:3], v[48:49], 0
	s_and_saveexec_b32 s42, s14
	s_cbranch_execnz .LBB134_1095
; %bb.619:                              ;   in Loop: Header=BB134_3 Depth=1
	s_or_b32 exec_lo, exec_lo, s42
	s_and_saveexec_b32 s42, s15
	s_cbranch_execnz .LBB134_1096
.LBB134_620:                            ;   in Loop: Header=BB134_3 Depth=1
	s_or_b32 exec_lo, exec_lo, s42
	s_and_saveexec_b32 s42, s16
	s_cbranch_execnz .LBB134_1097
.LBB134_621:                            ;   in Loop: Header=BB134_3 Depth=1
	s_or_b32 exec_lo, exec_lo, s42
	s_and_saveexec_b32 s42, s17
	s_cbranch_execnz .LBB134_1098
.LBB134_622:                            ;   in Loop: Header=BB134_3 Depth=1
	s_or_b32 exec_lo, exec_lo, s42
	s_and_saveexec_b32 s42, s18
	s_cbranch_execnz .LBB134_1099
.LBB134_623:                            ;   in Loop: Header=BB134_3 Depth=1
	s_or_b32 exec_lo, exec_lo, s42
	s_and_saveexec_b32 s42, s3
	s_cbranch_execnz .LBB134_1100
.LBB134_624:                            ;   in Loop: Header=BB134_3 Depth=1
	s_or_b32 exec_lo, exec_lo, s42
	s_and_saveexec_b32 s42, s13
	s_cbranch_execz .LBB134_626
.LBB134_625:                            ;   in Loop: Header=BB134_3 Depth=1
	ds_load_b64 v[48:49], v69 offset:16000
	ds_load_b64 v[50:51], v7 offset:16120
	s_wait_dscnt 0x0
	v_fmac_f64_e32 v[2:3], v[48:49], v[50:51]
.LBB134_626:                            ;   in Loop: Header=BB134_3 Depth=1
	s_or_b32 exec_lo, exec_lo, s42
.LBB134_627:                            ;   in Loop: Header=BB134_3 Depth=1
	s_delay_alu instid0(SALU_CYCLE_1)
	s_or_b32 exec_lo, exec_lo, s41
	s_and_saveexec_b32 s41, s98
; %bb.628:                              ;   in Loop: Header=BB134_3 Depth=1
	s_delay_alu instid0(VALU_DEP_1) | instskip(NEXT) | instid1(VALU_DEP_2)
	v_xor_b32_e32 v49, 0x80000000, v3
	v_mov_b32_e32 v48, v2
	ds_store_b64 v66, v[48:49]
; %bb.629:                              ;   in Loop: Header=BB134_3 Depth=1
	s_or_b32 exec_lo, exec_lo, s41
	s_wait_loadcnt_dscnt 0x0
	s_barrier_signal -1
	s_barrier_wait -1
	s_and_saveexec_b32 s41, s99
	s_cbranch_execz .LBB134_631
; %bb.630:                              ;   in Loop: Header=BB134_3 Depth=1
	ds_load_b64 v[48:49], v68 offset:11904
	ds_load_b64 v[50:51], v66
	s_wait_dscnt 0x0
	v_fma_f64 v[2:3], -v[48:49], v[50:51], v[2:3]
.LBB134_631:                            ;   in Loop: Header=BB134_3 Depth=1
	s_or_b32 exec_lo, exec_lo, s41
	s_barrier_signal -1
	s_barrier_wait -1
	s_and_saveexec_b32 s41, s100
; %bb.632:                              ;   in Loop: Header=BB134_3 Depth=1
	s_delay_alu instid0(VALU_DEP_1) | instskip(NEXT) | instid1(VALU_DEP_2)
	v_xor_b32_e32 v49, 0x80000000, v3
	v_mov_b32_e32 v48, v2
	ds_store_b64 v66, v[48:49]
; %bb.633:                              ;   in Loop: Header=BB134_3 Depth=1
	s_or_b32 exec_lo, exec_lo, s41
	s_wait_dscnt 0x0
	s_barrier_signal -1
	s_barrier_wait -1
	s_and_saveexec_b32 s41, s101
	s_cbranch_execz .LBB134_635
; %bb.634:                              ;   in Loop: Header=BB134_3 Depth=1
	ds_load_b64 v[48:49], v68 offset:11392
	ds_load_b64 v[50:51], v66
	s_wait_dscnt 0x0
	v_fma_f64 v[2:3], -v[48:49], v[50:51], v[2:3]
.LBB134_635:                            ;   in Loop: Header=BB134_3 Depth=1
	s_or_b32 exec_lo, exec_lo, s41
	s_barrier_signal -1
	s_barrier_wait -1
	s_and_saveexec_b32 s41, s102
; %bb.636:                              ;   in Loop: Header=BB134_3 Depth=1
	s_delay_alu instid0(VALU_DEP_1) | instskip(NEXT) | instid1(VALU_DEP_2)
	v_xor_b32_e32 v49, 0x80000000, v3
	v_mov_b32_e32 v48, v2
	ds_store_b64 v66, v[48:49]
; %bb.637:                              ;   in Loop: Header=BB134_3 Depth=1
	s_or_b32 exec_lo, exec_lo, s41
	s_wait_dscnt 0x0
	;; [unrolled: 22-line block ×3, first 2 shown]
	s_barrier_signal -1
	s_barrier_wait -1
	s_and_saveexec_b32 s41, vcc_hi
	s_cbranch_execz .LBB134_643
; %bb.642:                              ;   in Loop: Header=BB134_3 Depth=1
	ds_load_b64 v[48:49], v68 offset:10368
	ds_load_b64 v[50:51], v66
	s_wait_dscnt 0x0
	v_fma_f64 v[2:3], -v[48:49], v[50:51], v[2:3]
.LBB134_643:                            ;   in Loop: Header=BB134_3 Depth=1
	s_or_b32 exec_lo, exec_lo, s41
	s_barrier_signal -1
	s_barrier_wait -1
	s_and_saveexec_b32 s41, s31
; %bb.644:                              ;   in Loop: Header=BB134_3 Depth=1
	s_delay_alu instid0(VALU_DEP_1) | instskip(NEXT) | instid1(VALU_DEP_2)
	v_xor_b32_e32 v49, 0x80000000, v3
	v_mov_b32_e32 v48, v2
	ds_store_b64 v66, v[48:49]
; %bb.645:                              ;   in Loop: Header=BB134_3 Depth=1
	s_or_b32 exec_lo, exec_lo, s41
	s_wait_dscnt 0x0
	s_barrier_signal -1
	s_barrier_wait -1
	s_and_saveexec_b32 s41, s33
	s_cbranch_execz .LBB134_647
; %bb.646:                              ;   in Loop: Header=BB134_3 Depth=1
	ds_load_b64 v[48:49], v68 offset:9856
	ds_load_b64 v[50:51], v66
	s_wait_dscnt 0x0
	v_fma_f64 v[2:3], -v[48:49], v[50:51], v[2:3]
.LBB134_647:                            ;   in Loop: Header=BB134_3 Depth=1
	s_or_b32 exec_lo, exec_lo, s41
	s_barrier_signal -1
	s_barrier_wait -1
	s_and_saveexec_b32 s41, s34
; %bb.648:                              ;   in Loop: Header=BB134_3 Depth=1
	s_delay_alu instid0(VALU_DEP_1) | instskip(NEXT) | instid1(VALU_DEP_2)
	v_xor_b32_e32 v49, 0x80000000, v3
	v_mov_b32_e32 v48, v2
	ds_store_b64 v66, v[48:49]
; %bb.649:                              ;   in Loop: Header=BB134_3 Depth=1
	s_or_b32 exec_lo, exec_lo, s41
	s_wait_dscnt 0x0
	s_barrier_signal -1
	s_barrier_wait -1
	s_and_saveexec_b32 s41, s35
	;; [unrolled: 22-line block ×3, first 2 shown]
	s_cbranch_execz .LBB134_655
; %bb.654:                              ;   in Loop: Header=BB134_3 Depth=1
	ds_load_b64 v[48:49], v7 offset:8832
	ds_load_b64 v[50:51], v66
	s_wait_dscnt 0x0
	v_fma_f64 v[2:3], -v[48:49], v[50:51], v[2:3]
.LBB134_655:                            ;   in Loop: Header=BB134_3 Depth=1
	s_or_b32 exec_lo, exec_lo, s41
	s_barrier_signal -1
	s_barrier_wait -1
	s_and_saveexec_b32 s41, s37
; %bb.656:                              ;   in Loop: Header=BB134_3 Depth=1
	s_delay_alu instid0(VALU_DEP_1) | instskip(NEXT) | instid1(VALU_DEP_2)
	v_xor_b32_e32 v49, 0x80000000, v3
	v_mov_b32_e32 v48, v2
	ds_store_b64 v66, v[48:49]
; %bb.657:                              ;   in Loop: Header=BB134_3 Depth=1
	s_or_b32 exec_lo, exec_lo, s41
	s_wait_dscnt 0x0
	s_barrier_signal -1
	s_barrier_wait -1
	s_barrier_signal -1
	s_barrier_wait -1
	s_and_saveexec_b32 s41, s4
; %bb.658:                              ;   in Loop: Header=BB134_3 Depth=1
	ds_store_b64 v72, v[2:3] offset:16000
; %bb.659:                              ;   in Loop: Header=BB134_3 Depth=1
	s_or_b32 exec_lo, exec_lo, s41
	s_wait_dscnt 0x0
	s_barrier_signal -1
	s_barrier_wait -1
	s_barrier_signal -1
	s_barrier_wait -1
	s_and_saveexec_b32 s41, s38
	s_cbranch_execz .LBB134_661
; %bb.660:                              ;   in Loop: Header=BB134_3 Depth=1
	ds_load_b64 v[2:3], v70 offset:12416
	s_wait_dscnt 0x0
	ds_store_b64 v71, v[2:3] offset:8384
	ds_load_b64 v[2:3], v70 offset:12424
	s_wait_dscnt 0x0
	ds_store_b64 v71, v[2:3] offset:8896
	;; [unrolled: 3-line block ×8, first 2 shown]
.LBB134_661:                            ;   in Loop: Header=BB134_3 Depth=1
	s_or_b32 exec_lo, exec_lo, s41
	s_wait_dscnt 0x0
	s_barrier_signal -1
	s_barrier_wait -1
	s_and_saveexec_b32 s41, s10
	s_cbranch_execz .LBB134_663
; %bb.662:                              ;   in Loop: Header=BB134_3 Depth=1
	ds_load_b64 v[2:3], v7 offset:11952
	v_mov_b32_e32 v0, v7
	ds_store_b64 v7, v[34:35] offset:11960
	s_wait_dscnt 0x1
	ds_store_b128 v7, v[0:3] offset:11440
.LBB134_663:                            ;   in Loop: Header=BB134_3 Depth=1
	s_or_b32 exec_lo, exec_lo, s41
	v_mov_b64_e32 v[2:3], 0
	s_wait_dscnt 0x0
	s_barrier_signal -1
	s_barrier_wait -1
	global_wb scope:SCOPE_DEV
	s_wait_storecnt 0x0
	global_inv scope:SCOPE_DEV
	s_and_saveexec_b32 s41, s1
	s_cbranch_execz .LBB134_667
; %bb.664:                              ;   in Loop: Header=BB134_3 Depth=1
	ds_load_b64 v[2:3], v54 offset:11424
	ds_load_b64 v[48:49], v53 offset:11952
	s_wait_dscnt 0x0
	v_fma_f64 v[2:3], v[2:3], v[48:49], 0
	s_and_saveexec_b32 s42, s11
	s_cbranch_execz .LBB134_666
; %bb.665:                              ;   in Loop: Header=BB134_3 Depth=1
	ds_load_b64 v[48:49], v71 offset:11936
	ds_load_b64 v[50:51], v7 offset:11960
	s_wait_dscnt 0x0
	v_fmac_f64_e32 v[2:3], v[48:49], v[50:51]
.LBB134_666:                            ;   in Loop: Header=BB134_3 Depth=1
	s_or_b32 exec_lo, exec_lo, s42
.LBB134_667:                            ;   in Loop: Header=BB134_3 Depth=1
	s_delay_alu instid0(SALU_CYCLE_1)
	s_or_b32 exec_lo, exec_lo, s41
	s_and_saveexec_b32 s41, s88
; %bb.668:                              ;   in Loop: Header=BB134_3 Depth=1
	s_delay_alu instid0(VALU_DEP_1) | instskip(NEXT) | instid1(VALU_DEP_2)
	v_xor_b32_e32 v49, 0x80000000, v3
	v_mov_b32_e32 v48, v2
	ds_store_b64 v52, v[48:49]
; %bb.669:                              ;   in Loop: Header=BB134_3 Depth=1
	s_or_b32 exec_lo, exec_lo, s41
	s_wait_loadcnt_dscnt 0x0
	s_barrier_signal -1
	s_barrier_wait -1
	s_and_saveexec_b32 s41, s89
	s_cbranch_execz .LBB134_671
; %bb.670:                              ;   in Loop: Header=BB134_3 Depth=1
	ds_load_b64 v[48:49], v7 offset:10912
	ds_load_b64 v[50:51], v52
	s_wait_dscnt 0x0
	v_fma_f64 v[2:3], -v[48:49], v[50:51], v[2:3]
.LBB134_671:                            ;   in Loop: Header=BB134_3 Depth=1
	s_or_b32 exec_lo, exec_lo, s41
	s_barrier_signal -1
	s_barrier_wait -1
	s_and_saveexec_b32 s41, s89
; %bb.672:                              ;   in Loop: Header=BB134_3 Depth=1
	s_delay_alu instid0(VALU_DEP_1) | instskip(NEXT) | instid1(VALU_DEP_2)
	v_xor_b32_e32 v49, 0x80000000, v3
	v_mov_b32_e32 v48, v2
	ds_store_b64 v52, v[48:49]
; %bb.673:                              ;   in Loop: Header=BB134_3 Depth=1
	s_or_b32 exec_lo, exec_lo, s41
	s_wait_dscnt 0x0
	s_barrier_signal -1
	s_barrier_wait -1
	s_barrier_signal -1
	s_barrier_wait -1
	s_and_saveexec_b32 s41, s1
; %bb.674:                              ;   in Loop: Header=BB134_3 Depth=1
	ds_store_b64 v56, v[2:3] offset:11936
; %bb.675:                              ;   in Loop: Header=BB134_3 Depth=1
	s_or_b32 exec_lo, exec_lo, s41
	s_wait_dscnt 0x0
	s_barrier_signal -1
	s_barrier_wait -1
	s_barrier_signal -1
	s_barrier_wait -1
	s_and_saveexec_b32 s41, s90
	s_cbranch_execz .LBB134_677
; %bb.676:                              ;   in Loop: Header=BB134_3 Depth=1
	ds_load_b64 v[2:3], v73 offset:11424
	s_wait_dscnt 0x0
	ds_store_b64 v71, v[2:3] offset:10416
	ds_load_b64 v[2:3], v73 offset:11432
	s_wait_dscnt 0x0
	ds_store_b64 v71, v[2:3] offset:10928
.LBB134_677:                            ;   in Loop: Header=BB134_3 Depth=1
	s_or_b32 exec_lo, exec_lo, s41
	s_wait_dscnt 0x0
	s_barrier_signal -1
	s_barrier_wait -1
	s_and_saveexec_b32 s41, s10
	s_cbranch_execz .LBB134_679
; %bb.678:                              ;   in Loop: Header=BB134_3 Depth=1
	ds_load_b64 v[2:3], v7 offset:10912
	v_mov_b32_e32 v0, v7
	ds_store_b64 v7, v[34:35] offset:10920
	s_wait_dscnt 0x1
	ds_store_b128 v7, v[0:3] offset:10400
.LBB134_679:                            ;   in Loop: Header=BB134_3 Depth=1
	s_or_b32 exec_lo, exec_lo, s41
	v_mov_b64_e32 v[2:3], 0
	s_wait_dscnt 0x0
	s_barrier_signal -1
	s_barrier_wait -1
	global_wb scope:SCOPE_DEV
	s_wait_storecnt 0x0
	global_inv scope:SCOPE_DEV
	s_and_saveexec_b32 s41, s3
	s_cbranch_execz .LBB134_685
; %bb.680:                              ;   in Loop: Header=BB134_3 Depth=1
	ds_load_b64 v[2:3], v60 offset:10368
	ds_load_b64 v[48:49], v59 offset:11936
	s_wait_dscnt 0x0
	v_fma_f64 v[2:3], v[2:3], v[48:49], 0
	s_and_saveexec_b32 s42, s12
	s_cbranch_execnz .LBB134_1101
; %bb.681:                              ;   in Loop: Header=BB134_3 Depth=1
	s_or_b32 exec_lo, exec_lo, s42
	s_and_saveexec_b32 s42, s13
	s_cbranch_execnz .LBB134_1102
.LBB134_682:                            ;   in Loop: Header=BB134_3 Depth=1
	s_or_b32 exec_lo, exec_lo, s42
	s_and_saveexec_b32 s42, s1
	s_cbranch_execz .LBB134_684
.LBB134_683:                            ;   in Loop: Header=BB134_3 Depth=1
	ds_load_b64 v[48:49], v5 offset:11904
	ds_load_b64 v[50:51], v7 offset:11960
	s_wait_dscnt 0x0
	v_fmac_f64_e32 v[2:3], v[48:49], v[50:51]
.LBB134_684:                            ;   in Loop: Header=BB134_3 Depth=1
	s_or_b32 exec_lo, exec_lo, s42
.LBB134_685:                            ;   in Loop: Header=BB134_3 Depth=1
	s_delay_alu instid0(SALU_CYCLE_1)
	s_or_b32 exec_lo, exec_lo, s41
	s_and_saveexec_b32 s41, s91
; %bb.686:                              ;   in Loop: Header=BB134_3 Depth=1
	s_delay_alu instid0(VALU_DEP_1) | instskip(NEXT) | instid1(VALU_DEP_2)
	v_xor_b32_e32 v49, 0x80000000, v3
	v_mov_b32_e32 v48, v2
	ds_store_b64 v58, v[48:49]
; %bb.687:                              ;   in Loop: Header=BB134_3 Depth=1
	s_or_b32 exec_lo, exec_lo, s41
	s_wait_loadcnt_dscnt 0x0
	s_barrier_signal -1
	s_barrier_wait -1
	s_and_saveexec_b32 s41, s92
	s_cbranch_execz .LBB134_689
; %bb.688:                              ;   in Loop: Header=BB134_3 Depth=1
	ds_load_b64 v[48:49], v60 offset:9856
	ds_load_b64 v[50:51], v58
	s_wait_dscnt 0x0
	v_fma_f64 v[2:3], -v[48:49], v[50:51], v[2:3]
.LBB134_689:                            ;   in Loop: Header=BB134_3 Depth=1
	s_or_b32 exec_lo, exec_lo, s41
	s_barrier_signal -1
	s_barrier_wait -1
	s_and_saveexec_b32 s41, s93
; %bb.690:                              ;   in Loop: Header=BB134_3 Depth=1
	s_delay_alu instid0(VALU_DEP_1) | instskip(NEXT) | instid1(VALU_DEP_2)
	v_xor_b32_e32 v49, 0x80000000, v3
	v_mov_b32_e32 v48, v2
	ds_store_b64 v58, v[48:49]
; %bb.691:                              ;   in Loop: Header=BB134_3 Depth=1
	s_or_b32 exec_lo, exec_lo, s41
	s_wait_dscnt 0x0
	s_barrier_signal -1
	s_barrier_wait -1
	s_and_saveexec_b32 s41, s94
	s_cbranch_execz .LBB134_693
; %bb.692:                              ;   in Loop: Header=BB134_3 Depth=1
	ds_load_b64 v[48:49], v60 offset:9344
	ds_load_b64 v[50:51], v58
	s_wait_dscnt 0x0
	v_fma_f64 v[2:3], -v[48:49], v[50:51], v[2:3]
.LBB134_693:                            ;   in Loop: Header=BB134_3 Depth=1
	s_or_b32 exec_lo, exec_lo, s41
	s_barrier_signal -1
	s_barrier_wait -1
	s_and_saveexec_b32 s41, s95
; %bb.694:                              ;   in Loop: Header=BB134_3 Depth=1
	s_delay_alu instid0(VALU_DEP_1) | instskip(NEXT) | instid1(VALU_DEP_2)
	v_xor_b32_e32 v49, 0x80000000, v3
	v_mov_b32_e32 v48, v2
	ds_store_b64 v58, v[48:49]
; %bb.695:                              ;   in Loop: Header=BB134_3 Depth=1
	s_or_b32 exec_lo, exec_lo, s41
	s_wait_dscnt 0x0
	s_barrier_signal -1
	s_barrier_wait -1
	s_and_saveexec_b32 s41, s96
	s_cbranch_execz .LBB134_697
; %bb.696:                              ;   in Loop: Header=BB134_3 Depth=1
	ds_load_b64 v[48:49], v7 offset:8832
	ds_load_b64 v[50:51], v58
	s_wait_dscnt 0x0
	v_fma_f64 v[2:3], -v[48:49], v[50:51], v[2:3]
.LBB134_697:                            ;   in Loop: Header=BB134_3 Depth=1
	s_or_b32 exec_lo, exec_lo, s41
	s_barrier_signal -1
	s_barrier_wait -1
	s_and_saveexec_b32 s41, s96
; %bb.698:                              ;   in Loop: Header=BB134_3 Depth=1
	s_delay_alu instid0(VALU_DEP_1) | instskip(NEXT) | instid1(VALU_DEP_2)
	v_xor_b32_e32 v49, 0x80000000, v3
	v_mov_b32_e32 v48, v2
	ds_store_b64 v58, v[48:49]
; %bb.699:                              ;   in Loop: Header=BB134_3 Depth=1
	s_or_b32 exec_lo, exec_lo, s41
	s_wait_dscnt 0x0
	s_barrier_signal -1
	s_barrier_wait -1
	s_barrier_signal -1
	s_barrier_wait -1
	s_and_saveexec_b32 s41, s3
; %bb.700:                              ;   in Loop: Header=BB134_3 Depth=1
	ds_store_b64 v63, v[2:3] offset:11904
; %bb.701:                              ;   in Loop: Header=BB134_3 Depth=1
	s_or_b32 exec_lo, exec_lo, s41
	s_wait_dscnt 0x0
	s_barrier_signal -1
	s_barrier_wait -1
	s_barrier_signal -1
	s_barrier_wait -1
	s_and_saveexec_b32 s41, s97
	s_cbranch_execz .LBB134_703
; %bb.702:                              ;   in Loop: Header=BB134_3 Depth=1
	ds_load_b64 v[2:3], v11 offset:10368
	s_wait_dscnt 0x0
	ds_store_b64 v84, v[2:3] offset:8352
	ds_load_b64 v[2:3], v11 offset:10376
	s_wait_dscnt 0x0
	ds_store_b64 v84, v[2:3] offset:8864
	;; [unrolled: 3-line block ×4, first 2 shown]
.LBB134_703:                            ;   in Loop: Header=BB134_3 Depth=1
	s_or_b32 exec_lo, exec_lo, s41
	s_wait_dscnt 0x0
	s_barrier_signal -1
	s_barrier_wait -1
	s_and_saveexec_b32 s41, s10
	s_cbranch_execz .LBB134_705
; %bb.704:                              ;   in Loop: Header=BB134_3 Depth=1
	ds_load_b64 v[2:3], v7 offset:9872
	v_mov_b32_e32 v0, v7
	ds_store_b64 v7, v[34:35] offset:9880
	s_wait_dscnt 0x1
	ds_store_b128 v7, v[0:3] offset:9360
.LBB134_705:                            ;   in Loop: Header=BB134_3 Depth=1
	s_or_b32 exec_lo, exec_lo, s41
	v_mov_b64_e32 v[2:3], 0
	s_wait_dscnt 0x0
	s_barrier_signal -1
	s_barrier_wait -1
	global_wb scope:SCOPE_DEV
	s_wait_storecnt 0x0
	global_inv scope:SCOPE_DEV
	s_and_saveexec_b32 s41, s1
	s_cbranch_execz .LBB134_709
; %bb.706:                              ;   in Loop: Header=BB134_3 Depth=1
	ds_load_b64 v[2:3], v54 offset:9344
	ds_load_b64 v[48:49], v53 offset:9872
	s_wait_dscnt 0x0
	v_fma_f64 v[2:3], v[2:3], v[48:49], 0
	s_and_saveexec_b32 s42, s11
	s_cbranch_execz .LBB134_708
; %bb.707:                              ;   in Loop: Header=BB134_3 Depth=1
	ds_load_b64 v[48:49], v84 offset:9856
	ds_load_b64 v[50:51], v7 offset:9880
	s_wait_dscnt 0x0
	v_fmac_f64_e32 v[2:3], v[48:49], v[50:51]
.LBB134_708:                            ;   in Loop: Header=BB134_3 Depth=1
	s_or_b32 exec_lo, exec_lo, s42
.LBB134_709:                            ;   in Loop: Header=BB134_3 Depth=1
	s_delay_alu instid0(SALU_CYCLE_1)
	s_or_b32 exec_lo, exec_lo, s41
	s_and_saveexec_b32 s41, s88
; %bb.710:                              ;   in Loop: Header=BB134_3 Depth=1
	s_delay_alu instid0(VALU_DEP_1) | instskip(NEXT) | instid1(VALU_DEP_2)
	v_xor_b32_e32 v49, 0x80000000, v3
	v_mov_b32_e32 v48, v2
	ds_store_b64 v52, v[48:49]
; %bb.711:                              ;   in Loop: Header=BB134_3 Depth=1
	s_or_b32 exec_lo, exec_lo, s41
	s_wait_loadcnt_dscnt 0x0
	s_barrier_signal -1
	s_barrier_wait -1
	s_and_saveexec_b32 s41, s89
	s_cbranch_execz .LBB134_713
; %bb.712:                              ;   in Loop: Header=BB134_3 Depth=1
	ds_load_b64 v[48:49], v7 offset:8832
	ds_load_b64 v[50:51], v52
	s_wait_dscnt 0x0
	v_fma_f64 v[2:3], -v[48:49], v[50:51], v[2:3]
.LBB134_713:                            ;   in Loop: Header=BB134_3 Depth=1
	s_or_b32 exec_lo, exec_lo, s41
	s_barrier_signal -1
	s_barrier_wait -1
	s_and_saveexec_b32 s41, s89
; %bb.714:                              ;   in Loop: Header=BB134_3 Depth=1
	s_delay_alu instid0(VALU_DEP_1) | instskip(NEXT) | instid1(VALU_DEP_2)
	v_xor_b32_e32 v49, 0x80000000, v3
	v_mov_b32_e32 v48, v2
	ds_store_b64 v52, v[48:49]
; %bb.715:                              ;   in Loop: Header=BB134_3 Depth=1
	s_or_b32 exec_lo, exec_lo, s41
	s_wait_dscnt 0x0
	s_barrier_signal -1
	s_barrier_wait -1
	s_barrier_signal -1
	s_barrier_wait -1
	s_and_saveexec_b32 s41, s1
; %bb.716:                              ;   in Loop: Header=BB134_3 Depth=1
	ds_store_b64 v56, v[2:3] offset:9856
; %bb.717:                              ;   in Loop: Header=BB134_3 Depth=1
	s_or_b32 exec_lo, exec_lo, s41
	s_wait_dscnt 0x0
	s_barrier_signal -1
	s_barrier_wait -1
	s_barrier_signal -1
	s_barrier_wait -1
	s_and_saveexec_b32 s41, s90
	s_cbranch_execz .LBB134_719
; %bb.718:                              ;   in Loop: Header=BB134_3 Depth=1
	ds_load_b64 v[2:3], v88 offset:9344
	s_wait_dscnt 0x0
	ds_store_b64 v84, v[2:3] offset:8336
	ds_load_b64 v[2:3], v88 offset:9352
	s_wait_dscnt 0x0
	ds_store_b64 v84, v[2:3] offset:8848
.LBB134_719:                            ;   in Loop: Header=BB134_3 Depth=1
	s_or_b32 exec_lo, exec_lo, s41
	s_wait_dscnt 0x0
	s_barrier_signal -1
	s_barrier_wait -1
	s_and_saveexec_b32 s41, s10
	s_cbranch_execz .LBB134_721
; %bb.720:                              ;   in Loop: Header=BB134_3 Depth=1
	ds_load_b64 v[2:3], v7 offset:8832
	v_mov_b32_e32 v0, v7
	ds_store_b64 v7, v[34:35] offset:8840
	s_wait_dscnt 0x1
	ds_store_b128 v7, v[0:3] offset:8320
.LBB134_721:                            ;   in Loop: Header=BB134_3 Depth=1
	s_or_b32 exec_lo, exec_lo, s41
	v_mov_b64_e32 v[2:3], 0
	s_wait_dscnt 0x0
	s_barrier_signal -1
	s_barrier_wait -1
	global_wb scope:SCOPE_DEV
	s_wait_storecnt 0x0
	global_inv scope:SCOPE_DEV
	s_and_saveexec_b32 s61, s5
	s_cbranch_execz .LBB134_749
; %bb.722:                              ;   in Loop: Header=BB134_3 Depth=1
	ds_load_b64 v[2:3], v76 offset:8192
	ds_load_b64 v[48:49], v75 offset:16000
	s_wait_dscnt 0x0
	v_fma_f64 v[2:3], v[2:3], v[48:49], 0
	s_mov_b32 s41, exec_lo
	v_readlane_b32 s42, v104, 17
	s_and_b32 s42, s41, s42
	s_delay_alu instid0(SALU_CYCLE_1)
	s_mov_b32 exec_lo, s42
	s_cbranch_execz .LBB134_724
; %bb.723:                              ;   in Loop: Header=BB134_3 Depth=1
	ds_load_b64 v[48:49], v76 offset:8704
	ds_load_b64 v[50:51], v75 offset:16008
	s_wait_dscnt 0x0
	v_fmac_f64_e32 v[2:3], v[48:49], v[50:51]
.LBB134_724:                            ;   in Loop: Header=BB134_3 Depth=1
	s_or_b32 exec_lo, exec_lo, s41
	s_delay_alu instid0(SALU_CYCLE_1) | instskip(SKIP_2) | instid1(SALU_CYCLE_1)
	s_mov_b32 s41, exec_lo
	v_readlane_b32 s42, v104, 18
	s_and_b32 s42, s41, s42
	s_mov_b32 exec_lo, s42
	s_cbranch_execz .LBB134_726
; %bb.725:                              ;   in Loop: Header=BB134_3 Depth=1
	ds_load_b64 v[48:49], v76 offset:9216
	ds_load_b64 v[50:51], v75 offset:16016
	s_wait_dscnt 0x0
	v_fmac_f64_e32 v[2:3], v[48:49], v[50:51]
.LBB134_726:                            ;   in Loop: Header=BB134_3 Depth=1
	s_or_b32 exec_lo, exec_lo, s41
	s_delay_alu instid0(SALU_CYCLE_1) | instskip(SKIP_2) | instid1(SALU_CYCLE_1)
	s_mov_b32 s41, exec_lo
	v_readlane_b32 s42, v104, 19
	s_and_b32 s42, s41, s42
	;; [unrolled: 13-line block ×10, first 2 shown]
	s_mov_b32 exec_lo, s42
	s_cbranch_execnz .LBB134_1103
; %bb.743:                              ;   in Loop: Header=BB134_3 Depth=1
	s_or_b32 exec_lo, exec_lo, s41
	s_and_saveexec_b32 s41, s4
	s_cbranch_execnz .LBB134_1104
.LBB134_744:                            ;   in Loop: Header=BB134_3 Depth=1
	s_or_b32 exec_lo, exec_lo, s41
	s_and_saveexec_b32 s41, s15
	s_cbranch_execnz .LBB134_1105
.LBB134_745:                            ;   in Loop: Header=BB134_3 Depth=1
	s_or_b32 exec_lo, exec_lo, s41
	s_and_saveexec_b32 s41, s17
	s_cbranch_execnz .LBB134_1106
.LBB134_746:                            ;   in Loop: Header=BB134_3 Depth=1
	s_or_b32 exec_lo, exec_lo, s41
	s_and_saveexec_b32 s41, s3
	s_cbranch_execz .LBB134_748
.LBB134_747:                            ;   in Loop: Header=BB134_3 Depth=1
	ds_load_b64 v[48:49], v55 offset:15872
	ds_load_b64 v[50:51], v7 offset:16120
	s_wait_dscnt 0x0
	v_fmac_f64_e32 v[2:3], v[48:49], v[50:51]
.LBB134_748:                            ;   in Loop: Header=BB134_3 Depth=1
	s_or_b32 exec_lo, exec_lo, s41
.LBB134_749:                            ;   in Loop: Header=BB134_3 Depth=1
	s_delay_alu instid0(SALU_CYCLE_1) | instskip(NEXT) | instid1(SALU_CYCLE_1)
	s_or_b32 exec_lo, exec_lo, s61
	s_mov_b32 s41, exec_lo
	v_readlane_b32 s42, v104, 2
	s_and_b32 s42, s41, s42
	s_delay_alu instid0(SALU_CYCLE_1)
	s_mov_b32 exec_lo, s42
; %bb.750:                              ;   in Loop: Header=BB134_3 Depth=1
	v_xor_b32_e32 v49, 0x80000000, v3
	v_mov_b32_e32 v48, v2
	ds_store_b64 v74, v[48:49]
; %bb.751:                              ;   in Loop: Header=BB134_3 Depth=1
	s_or_b32 exec_lo, exec_lo, s41
	s_wait_loadcnt_dscnt 0x0
	s_barrier_signal -1
	s_barrier_wait -1
	s_mov_b32 s41, exec_lo
	v_readlane_b32 s42, v104, 3
	s_and_b32 s42, s41, s42
	s_delay_alu instid0(SALU_CYCLE_1)
	s_mov_b32 exec_lo, s42
	s_cbranch_execz .LBB134_753
; %bb.752:                              ;   in Loop: Header=BB134_3 Depth=1
	ds_load_b64 v[48:49], v76 offset:7680
	ds_load_b64 v[50:51], v74
	s_wait_dscnt 0x0
	v_fma_f64 v[2:3], -v[48:49], v[50:51], v[2:3]
.LBB134_753:                            ;   in Loop: Header=BB134_3 Depth=1
	s_or_b32 exec_lo, exec_lo, s41
	s_barrier_signal -1
	s_barrier_wait -1
	s_mov_b32 s41, exec_lo
	v_readlane_b32 s42, v104, 4
	s_and_b32 s42, s41, s42
	s_delay_alu instid0(SALU_CYCLE_1)
	s_mov_b32 exec_lo, s42
; %bb.754:                              ;   in Loop: Header=BB134_3 Depth=1
	v_xor_b32_e32 v49, 0x80000000, v3
	v_mov_b32_e32 v48, v2
	ds_store_b64 v74, v[48:49]
; %bb.755:                              ;   in Loop: Header=BB134_3 Depth=1
	s_or_b32 exec_lo, exec_lo, s41
	s_wait_dscnt 0x0
	s_barrier_signal -1
	s_barrier_wait -1
	s_mov_b32 s41, exec_lo
	v_readlane_b32 s42, v104, 5
	s_and_b32 s42, s41, s42
	s_delay_alu instid0(SALU_CYCLE_1)
	s_mov_b32 exec_lo, s42
	s_cbranch_execz .LBB134_757
; %bb.756:                              ;   in Loop: Header=BB134_3 Depth=1
	ds_load_b64 v[48:49], v76 offset:7168
	ds_load_b64 v[50:51], v74
	s_wait_dscnt 0x0
	v_fma_f64 v[2:3], -v[48:49], v[50:51], v[2:3]
.LBB134_757:                            ;   in Loop: Header=BB134_3 Depth=1
	s_or_b32 exec_lo, exec_lo, s41
	s_barrier_signal -1
	s_barrier_wait -1
	s_mov_b32 s41, exec_lo
	v_readlane_b32 s42, v104, 6
	s_and_b32 s42, s41, s42
	s_delay_alu instid0(SALU_CYCLE_1)
	s_mov_b32 exec_lo, s42
; %bb.758:                              ;   in Loop: Header=BB134_3 Depth=1
	v_xor_b32_e32 v49, 0x80000000, v3
	v_mov_b32_e32 v48, v2
	ds_store_b64 v74, v[48:49]
; %bb.759:                              ;   in Loop: Header=BB134_3 Depth=1
	s_or_b32 exec_lo, exec_lo, s41
	s_wait_dscnt 0x0
	s_barrier_signal -1
	s_barrier_wait -1
	s_and_saveexec_b32 s41, s44
	s_cbranch_execz .LBB134_761
; %bb.760:                              ;   in Loop: Header=BB134_3 Depth=1
	ds_load_b64 v[48:49], v76 offset:6656
	ds_load_b64 v[50:51], v74
	s_wait_dscnt 0x0
	v_fma_f64 v[2:3], -v[48:49], v[50:51], v[2:3]
.LBB134_761:                            ;   in Loop: Header=BB134_3 Depth=1
	s_or_b32 exec_lo, exec_lo, s41
	s_barrier_signal -1
	s_barrier_wait -1
	s_and_saveexec_b32 s41, s45
; %bb.762:                              ;   in Loop: Header=BB134_3 Depth=1
	s_delay_alu instid0(VALU_DEP_1) | instskip(NEXT) | instid1(VALU_DEP_2)
	v_xor_b32_e32 v49, 0x80000000, v3
	v_mov_b32_e32 v48, v2
	ds_store_b64 v74, v[48:49]
; %bb.763:                              ;   in Loop: Header=BB134_3 Depth=1
	s_or_b32 exec_lo, exec_lo, s41
	s_wait_dscnt 0x0
	s_barrier_signal -1
	s_barrier_wait -1
	s_and_saveexec_b32 s41, s46
	s_cbranch_execz .LBB134_765
; %bb.764:                              ;   in Loop: Header=BB134_3 Depth=1
	ds_load_b64 v[48:49], v76 offset:6144
	ds_load_b64 v[50:51], v74
	s_wait_dscnt 0x0
	v_fma_f64 v[2:3], -v[48:49], v[50:51], v[2:3]
.LBB134_765:                            ;   in Loop: Header=BB134_3 Depth=1
	s_or_b32 exec_lo, exec_lo, s41
	s_barrier_signal -1
	s_barrier_wait -1
	s_and_saveexec_b32 s41, s47
; %bb.766:                              ;   in Loop: Header=BB134_3 Depth=1
	s_delay_alu instid0(VALU_DEP_1) | instskip(NEXT) | instid1(VALU_DEP_2)
	;; [unrolled: 22-line block ×13, first 2 shown]
	v_xor_b32_e32 v49, 0x80000000, v3
	v_mov_b32_e32 v48, v2
	ds_store_b64 v74, v[48:49]
; %bb.811:                              ;   in Loop: Header=BB134_3 Depth=1
	s_or_b32 exec_lo, exec_lo, s41
	s_wait_dscnt 0x0
	s_barrier_signal -1
	s_barrier_wait -1
	s_barrier_signal -1
	s_barrier_wait -1
	s_and_saveexec_b32 s41, s5
; %bb.812:                              ;   in Loop: Header=BB134_3 Depth=1
	ds_store_b64 v78, v[2:3] offset:15872
; %bb.813:                              ;   in Loop: Header=BB134_3 Depth=1
	s_or_b32 exec_lo, exec_lo, s41
	s_wait_dscnt 0x0
	s_barrier_signal -1
	s_barrier_wait -1
	s_barrier_signal -1
	s_barrier_wait -1
	s_and_saveexec_b32 s41, s28
	s_cbranch_execz .LBB134_815
; %bb.814:                              ;   in Loop: Header=BB134_3 Depth=1
	ds_load_b64 v[2:3], v57 offset:8192
	s_wait_dscnt 0x0
	ds_store_b64 v61, v[2:3] offset:128
	ds_load_b64 v[2:3], v57 offset:8200
	s_wait_dscnt 0x0
	ds_store_b64 v61, v[2:3] offset:640
	;; [unrolled: 3-line block ×16, first 2 shown]
.LBB134_815:                            ;   in Loop: Header=BB134_3 Depth=1
	s_or_b32 exec_lo, exec_lo, s41
	s_wait_dscnt 0x0
	s_barrier_signal -1
	s_barrier_wait -1
	s_and_saveexec_b32 s41, s10
	s_cbranch_execz .LBB134_817
; %bb.816:                              ;   in Loop: Header=BB134_3 Depth=1
	ds_load_b64 v[2:3], v7 offset:7792
	v_mov_b32_e32 v0, v7
	ds_store_b64 v7, v[34:35] offset:7800
	s_wait_dscnt 0x1
	ds_store_b128 v7, v[0:3] offset:7280
.LBB134_817:                            ;   in Loop: Header=BB134_3 Depth=1
	s_or_b32 exec_lo, exec_lo, s41
	v_mov_b64_e32 v[2:3], 0
	s_wait_dscnt 0x0
	s_barrier_signal -1
	s_barrier_wait -1
	global_wb scope:SCOPE_DEV
	s_wait_storecnt 0x0
	global_inv scope:SCOPE_DEV
	s_and_saveexec_b32 s41, s1
	s_cbranch_execz .LBB134_821
; %bb.818:                              ;   in Loop: Header=BB134_3 Depth=1
	ds_load_b64 v[2:3], v54 offset:7264
	ds_load_b64 v[48:49], v53 offset:7792
	s_wait_dscnt 0x0
	v_fma_f64 v[2:3], v[2:3], v[48:49], 0
	s_and_saveexec_b32 s42, s11
	s_cbranch_execz .LBB134_820
; %bb.819:                              ;   in Loop: Header=BB134_3 Depth=1
	ds_load_b64 v[48:49], v55 offset:7776
	ds_load_b64 v[50:51], v7 offset:7800
	s_wait_dscnt 0x0
	v_fmac_f64_e32 v[2:3], v[48:49], v[50:51]
.LBB134_820:                            ;   in Loop: Header=BB134_3 Depth=1
	s_or_b32 exec_lo, exec_lo, s42
.LBB134_821:                            ;   in Loop: Header=BB134_3 Depth=1
	s_delay_alu instid0(SALU_CYCLE_1)
	s_or_b32 exec_lo, exec_lo, s41
	s_and_saveexec_b32 s41, s88
; %bb.822:                              ;   in Loop: Header=BB134_3 Depth=1
	s_delay_alu instid0(VALU_DEP_1) | instskip(NEXT) | instid1(VALU_DEP_2)
	v_xor_b32_e32 v49, 0x80000000, v3
	v_mov_b32_e32 v48, v2
	ds_store_b64 v52, v[48:49]
; %bb.823:                              ;   in Loop: Header=BB134_3 Depth=1
	s_or_b32 exec_lo, exec_lo, s41
	s_wait_loadcnt_dscnt 0x0
	s_barrier_signal -1
	s_barrier_wait -1
	s_and_saveexec_b32 s41, s89
	s_cbranch_execz .LBB134_825
; %bb.824:                              ;   in Loop: Header=BB134_3 Depth=1
	ds_load_b64 v[48:49], v7 offset:6752
	ds_load_b64 v[50:51], v52
	s_wait_dscnt 0x0
	v_fma_f64 v[2:3], -v[48:49], v[50:51], v[2:3]
.LBB134_825:                            ;   in Loop: Header=BB134_3 Depth=1
	s_or_b32 exec_lo, exec_lo, s41
	s_barrier_signal -1
	s_barrier_wait -1
	s_and_saveexec_b32 s41, s89
; %bb.826:                              ;   in Loop: Header=BB134_3 Depth=1
	s_delay_alu instid0(VALU_DEP_1) | instskip(NEXT) | instid1(VALU_DEP_2)
	v_xor_b32_e32 v49, 0x80000000, v3
	v_mov_b32_e32 v48, v2
	ds_store_b64 v52, v[48:49]
; %bb.827:                              ;   in Loop: Header=BB134_3 Depth=1
	s_or_b32 exec_lo, exec_lo, s41
	s_wait_dscnt 0x0
	s_barrier_signal -1
	s_barrier_wait -1
	s_barrier_signal -1
	s_barrier_wait -1
	s_and_saveexec_b32 s41, s1
; %bb.828:                              ;   in Loop: Header=BB134_3 Depth=1
	ds_store_b64 v56, v[2:3] offset:7776
; %bb.829:                              ;   in Loop: Header=BB134_3 Depth=1
	s_or_b32 exec_lo, exec_lo, s41
	s_wait_dscnt 0x0
	s_barrier_signal -1
	s_barrier_wait -1
	s_barrier_signal -1
	s_barrier_wait -1
	s_and_saveexec_b32 s41, s90
	s_cbranch_execz .LBB134_831
; %bb.830:                              ;   in Loop: Header=BB134_3 Depth=1
	ds_load_b64 v[2:3], v57 offset:7264
	s_wait_dscnt 0x0
	ds_store_b64 v55, v[2:3] offset:6256
	ds_load_b64 v[2:3], v57 offset:7272
	s_wait_dscnt 0x0
	ds_store_b64 v55, v[2:3] offset:6768
.LBB134_831:                            ;   in Loop: Header=BB134_3 Depth=1
	s_or_b32 exec_lo, exec_lo, s41
	s_wait_dscnt 0x0
	s_barrier_signal -1
	s_barrier_wait -1
	s_and_saveexec_b32 s41, s10
	s_cbranch_execz .LBB134_833
; %bb.832:                              ;   in Loop: Header=BB134_3 Depth=1
	ds_load_b64 v[2:3], v7 offset:6752
	v_mov_b32_e32 v0, v7
	ds_store_b64 v7, v[34:35] offset:6760
	s_wait_dscnt 0x1
	ds_store_b128 v7, v[0:3] offset:6240
.LBB134_833:                            ;   in Loop: Header=BB134_3 Depth=1
	s_or_b32 exec_lo, exec_lo, s41
	v_mov_b64_e32 v[2:3], 0
	s_wait_dscnt 0x0
	s_barrier_signal -1
	s_barrier_wait -1
	global_wb scope:SCOPE_DEV
	s_wait_storecnt 0x0
	global_inv scope:SCOPE_DEV
	s_and_saveexec_b32 s41, s3
	s_cbranch_execz .LBB134_839
; %bb.834:                              ;   in Loop: Header=BB134_3 Depth=1
	ds_load_b64 v[2:3], v60 offset:6208
	ds_load_b64 v[48:49], v59 offset:7776
	s_wait_dscnt 0x0
	v_fma_f64 v[2:3], v[2:3], v[48:49], 0
	s_and_saveexec_b32 s42, s12
	s_cbranch_execnz .LBB134_1107
; %bb.835:                              ;   in Loop: Header=BB134_3 Depth=1
	s_or_b32 exec_lo, exec_lo, s42
	s_and_saveexec_b32 s42, s13
	s_cbranch_execnz .LBB134_1108
.LBB134_836:                            ;   in Loop: Header=BB134_3 Depth=1
	s_or_b32 exec_lo, exec_lo, s42
	s_and_saveexec_b32 s42, s1
	s_cbranch_execz .LBB134_838
.LBB134_837:                            ;   in Loop: Header=BB134_3 Depth=1
	ds_load_b64 v[48:49], v61 offset:7744
	ds_load_b64 v[50:51], v7 offset:7800
	s_wait_dscnt 0x0
	v_fmac_f64_e32 v[2:3], v[48:49], v[50:51]
.LBB134_838:                            ;   in Loop: Header=BB134_3 Depth=1
	s_or_b32 exec_lo, exec_lo, s42
.LBB134_839:                            ;   in Loop: Header=BB134_3 Depth=1
	s_delay_alu instid0(SALU_CYCLE_1)
	s_or_b32 exec_lo, exec_lo, s41
	s_and_saveexec_b32 s41, s91
; %bb.840:                              ;   in Loop: Header=BB134_3 Depth=1
	s_delay_alu instid0(VALU_DEP_1) | instskip(NEXT) | instid1(VALU_DEP_2)
	v_xor_b32_e32 v49, 0x80000000, v3
	v_mov_b32_e32 v48, v2
	ds_store_b64 v58, v[48:49]
; %bb.841:                              ;   in Loop: Header=BB134_3 Depth=1
	s_or_b32 exec_lo, exec_lo, s41
	s_wait_loadcnt_dscnt 0x0
	s_barrier_signal -1
	s_barrier_wait -1
	s_and_saveexec_b32 s41, s92
	s_cbranch_execz .LBB134_843
; %bb.842:                              ;   in Loop: Header=BB134_3 Depth=1
	ds_load_b64 v[48:49], v60 offset:5696
	ds_load_b64 v[50:51], v58
	s_wait_dscnt 0x0
	v_fma_f64 v[2:3], -v[48:49], v[50:51], v[2:3]
.LBB134_843:                            ;   in Loop: Header=BB134_3 Depth=1
	s_or_b32 exec_lo, exec_lo, s41
	s_barrier_signal -1
	s_barrier_wait -1
	s_and_saveexec_b32 s41, s93
; %bb.844:                              ;   in Loop: Header=BB134_3 Depth=1
	s_delay_alu instid0(VALU_DEP_1) | instskip(NEXT) | instid1(VALU_DEP_2)
	v_xor_b32_e32 v49, 0x80000000, v3
	v_mov_b32_e32 v48, v2
	ds_store_b64 v58, v[48:49]
; %bb.845:                              ;   in Loop: Header=BB134_3 Depth=1
	s_or_b32 exec_lo, exec_lo, s41
	s_wait_dscnt 0x0
	s_barrier_signal -1
	s_barrier_wait -1
	s_and_saveexec_b32 s41, s94
	s_cbranch_execz .LBB134_847
; %bb.846:                              ;   in Loop: Header=BB134_3 Depth=1
	ds_load_b64 v[48:49], v60 offset:5184
	ds_load_b64 v[50:51], v58
	s_wait_dscnt 0x0
	v_fma_f64 v[2:3], -v[48:49], v[50:51], v[2:3]
.LBB134_847:                            ;   in Loop: Header=BB134_3 Depth=1
	s_or_b32 exec_lo, exec_lo, s41
	s_barrier_signal -1
	s_barrier_wait -1
	s_and_saveexec_b32 s41, s95
; %bb.848:                              ;   in Loop: Header=BB134_3 Depth=1
	s_delay_alu instid0(VALU_DEP_1) | instskip(NEXT) | instid1(VALU_DEP_2)
	v_xor_b32_e32 v49, 0x80000000, v3
	v_mov_b32_e32 v48, v2
	ds_store_b64 v58, v[48:49]
; %bb.849:                              ;   in Loop: Header=BB134_3 Depth=1
	s_or_b32 exec_lo, exec_lo, s41
	s_wait_dscnt 0x0
	;; [unrolled: 22-line block ×3, first 2 shown]
	s_barrier_signal -1
	s_barrier_wait -1
	s_barrier_signal -1
	s_barrier_wait -1
	s_and_saveexec_b32 s41, s3
; %bb.854:                              ;   in Loop: Header=BB134_3 Depth=1
	ds_store_b64 v63, v[2:3] offset:7744
; %bb.855:                              ;   in Loop: Header=BB134_3 Depth=1
	s_or_b32 exec_lo, exec_lo, s41
	s_wait_dscnt 0x0
	s_barrier_signal -1
	s_barrier_wait -1
	s_barrier_signal -1
	s_barrier_wait -1
	s_and_saveexec_b32 s41, s97
	s_cbranch_execz .LBB134_857
; %bb.856:                              ;   in Loop: Header=BB134_3 Depth=1
	ds_load_b64 v[2:3], v62 offset:6208
	s_wait_dscnt 0x0
	ds_store_b64 v64, v[2:3] offset:4192
	ds_load_b64 v[2:3], v62 offset:6216
	s_wait_dscnt 0x0
	ds_store_b64 v64, v[2:3] offset:4704
	;; [unrolled: 3-line block ×4, first 2 shown]
.LBB134_857:                            ;   in Loop: Header=BB134_3 Depth=1
	s_or_b32 exec_lo, exec_lo, s41
	s_wait_dscnt 0x0
	s_barrier_signal -1
	s_barrier_wait -1
	s_and_saveexec_b32 s41, s10
	s_cbranch_execz .LBB134_859
; %bb.858:                              ;   in Loop: Header=BB134_3 Depth=1
	ds_load_b64 v[2:3], v7 offset:5712
	v_mov_b32_e32 v0, v7
	ds_store_b64 v7, v[34:35] offset:5720
	s_wait_dscnt 0x1
	ds_store_b128 v7, v[0:3] offset:5200
.LBB134_859:                            ;   in Loop: Header=BB134_3 Depth=1
	s_or_b32 exec_lo, exec_lo, s41
	v_mov_b64_e32 v[2:3], 0
	s_wait_dscnt 0x0
	s_barrier_signal -1
	s_barrier_wait -1
	global_wb scope:SCOPE_DEV
	s_wait_storecnt 0x0
	global_inv scope:SCOPE_DEV
	s_and_saveexec_b32 s41, s1
	s_cbranch_execz .LBB134_863
; %bb.860:                              ;   in Loop: Header=BB134_3 Depth=1
	ds_load_b64 v[2:3], v54 offset:5184
	ds_load_b64 v[48:49], v53 offset:5712
	s_wait_dscnt 0x0
	v_fma_f64 v[2:3], v[2:3], v[48:49], 0
	s_and_saveexec_b32 s42, s11
	s_cbranch_execz .LBB134_862
; %bb.861:                              ;   in Loop: Header=BB134_3 Depth=1
	ds_load_b64 v[48:49], v64 offset:5696
	ds_load_b64 v[50:51], v7 offset:5720
	s_wait_dscnt 0x0
	v_fmac_f64_e32 v[2:3], v[48:49], v[50:51]
.LBB134_862:                            ;   in Loop: Header=BB134_3 Depth=1
	s_or_b32 exec_lo, exec_lo, s42
.LBB134_863:                            ;   in Loop: Header=BB134_3 Depth=1
	s_delay_alu instid0(SALU_CYCLE_1)
	s_or_b32 exec_lo, exec_lo, s41
	s_and_saveexec_b32 s41, s88
; %bb.864:                              ;   in Loop: Header=BB134_3 Depth=1
	s_delay_alu instid0(VALU_DEP_1) | instskip(NEXT) | instid1(VALU_DEP_2)
	v_xor_b32_e32 v49, 0x80000000, v3
	v_mov_b32_e32 v48, v2
	ds_store_b64 v52, v[48:49]
; %bb.865:                              ;   in Loop: Header=BB134_3 Depth=1
	s_or_b32 exec_lo, exec_lo, s41
	s_wait_loadcnt_dscnt 0x0
	s_barrier_signal -1
	s_barrier_wait -1
	s_and_saveexec_b32 s41, s89
	s_cbranch_execz .LBB134_867
; %bb.866:                              ;   in Loop: Header=BB134_3 Depth=1
	ds_load_b64 v[48:49], v7 offset:4672
	ds_load_b64 v[50:51], v52
	s_wait_dscnt 0x0
	v_fma_f64 v[2:3], -v[48:49], v[50:51], v[2:3]
.LBB134_867:                            ;   in Loop: Header=BB134_3 Depth=1
	s_or_b32 exec_lo, exec_lo, s41
	s_barrier_signal -1
	s_barrier_wait -1
	s_and_saveexec_b32 s41, s89
; %bb.868:                              ;   in Loop: Header=BB134_3 Depth=1
	s_delay_alu instid0(VALU_DEP_1) | instskip(NEXT) | instid1(VALU_DEP_2)
	v_xor_b32_e32 v49, 0x80000000, v3
	v_mov_b32_e32 v48, v2
	ds_store_b64 v52, v[48:49]
; %bb.869:                              ;   in Loop: Header=BB134_3 Depth=1
	s_or_b32 exec_lo, exec_lo, s41
	s_wait_dscnt 0x0
	s_barrier_signal -1
	s_barrier_wait -1
	s_barrier_signal -1
	s_barrier_wait -1
	s_and_saveexec_b32 s41, s1
; %bb.870:                              ;   in Loop: Header=BB134_3 Depth=1
	ds_store_b64 v56, v[2:3] offset:5696
; %bb.871:                              ;   in Loop: Header=BB134_3 Depth=1
	s_or_b32 exec_lo, exec_lo, s41
	s_wait_dscnt 0x0
	s_barrier_signal -1
	s_barrier_wait -1
	s_barrier_signal -1
	s_barrier_wait -1
	s_and_saveexec_b32 s41, s90
	s_cbranch_execz .LBB134_873
; %bb.872:                              ;   in Loop: Header=BB134_3 Depth=1
	ds_load_b64 v[2:3], v65 offset:5184
	s_wait_dscnt 0x0
	ds_store_b64 v64, v[2:3] offset:4176
	ds_load_b64 v[2:3], v65 offset:5192
	s_wait_dscnt 0x0
	ds_store_b64 v64, v[2:3] offset:4688
.LBB134_873:                            ;   in Loop: Header=BB134_3 Depth=1
	s_or_b32 exec_lo, exec_lo, s41
	s_wait_dscnt 0x0
	s_barrier_signal -1
	s_barrier_wait -1
	s_and_saveexec_b32 s41, s10
	s_cbranch_execz .LBB134_875
; %bb.874:                              ;   in Loop: Header=BB134_3 Depth=1
	ds_load_b64 v[2:3], v7 offset:4672
	v_mov_b32_e32 v0, v7
	ds_store_b64 v7, v[34:35] offset:4680
	s_wait_dscnt 0x1
	ds_store_b128 v7, v[0:3] offset:4160
.LBB134_875:                            ;   in Loop: Header=BB134_3 Depth=1
	s_or_b32 exec_lo, exec_lo, s41
	v_mov_b64_e32 v[2:3], 0
	s_wait_dscnt 0x0
	s_barrier_signal -1
	s_barrier_wait -1
	global_wb scope:SCOPE_DEV
	s_wait_storecnt 0x0
	global_inv scope:SCOPE_DEV
	s_and_saveexec_b32 s41, s4
	s_cbranch_execz .LBB134_885
; %bb.876:                              ;   in Loop: Header=BB134_3 Depth=1
	ds_load_b64 v[2:3], v68 offset:4096
	ds_load_b64 v[48:49], v67 offset:7744
	s_wait_dscnt 0x0
	v_fma_f64 v[2:3], v[2:3], v[48:49], 0
	s_and_saveexec_b32 s42, s14
	s_cbranch_execnz .LBB134_1109
; %bb.877:                              ;   in Loop: Header=BB134_3 Depth=1
	s_or_b32 exec_lo, exec_lo, s42
	s_and_saveexec_b32 s42, s15
	s_cbranch_execnz .LBB134_1110
.LBB134_878:                            ;   in Loop: Header=BB134_3 Depth=1
	s_or_b32 exec_lo, exec_lo, s42
	s_and_saveexec_b32 s42, s16
	s_cbranch_execnz .LBB134_1111
.LBB134_879:                            ;   in Loop: Header=BB134_3 Depth=1
	s_or_b32 exec_lo, exec_lo, s42
	s_and_saveexec_b32 s42, s17
	s_cbranch_execnz .LBB134_1112
.LBB134_880:                            ;   in Loop: Header=BB134_3 Depth=1
	s_or_b32 exec_lo, exec_lo, s42
	s_and_saveexec_b32 s42, s18
	s_cbranch_execnz .LBB134_1113
.LBB134_881:                            ;   in Loop: Header=BB134_3 Depth=1
	s_or_b32 exec_lo, exec_lo, s42
	s_and_saveexec_b32 s42, s3
	s_cbranch_execnz .LBB134_1114
.LBB134_882:                            ;   in Loop: Header=BB134_3 Depth=1
	s_or_b32 exec_lo, exec_lo, s42
	s_and_saveexec_b32 s42, s13
	s_cbranch_execz .LBB134_884
.LBB134_883:                            ;   in Loop: Header=BB134_3 Depth=1
	ds_load_b64 v[48:49], v69 offset:7680
	ds_load_b64 v[50:51], v7 offset:7800
	s_wait_dscnt 0x0
	v_fmac_f64_e32 v[2:3], v[48:49], v[50:51]
.LBB134_884:                            ;   in Loop: Header=BB134_3 Depth=1
	s_or_b32 exec_lo, exec_lo, s42
.LBB134_885:                            ;   in Loop: Header=BB134_3 Depth=1
	s_delay_alu instid0(SALU_CYCLE_1)
	s_or_b32 exec_lo, exec_lo, s41
	s_and_saveexec_b32 s41, s98
; %bb.886:                              ;   in Loop: Header=BB134_3 Depth=1
	s_delay_alu instid0(VALU_DEP_1) | instskip(NEXT) | instid1(VALU_DEP_2)
	v_xor_b32_e32 v49, 0x80000000, v3
	v_mov_b32_e32 v48, v2
	ds_store_b64 v66, v[48:49]
; %bb.887:                              ;   in Loop: Header=BB134_3 Depth=1
	s_or_b32 exec_lo, exec_lo, s41
	s_wait_loadcnt_dscnt 0x0
	s_barrier_signal -1
	s_barrier_wait -1
	s_and_saveexec_b32 s41, s99
	s_cbranch_execz .LBB134_889
; %bb.888:                              ;   in Loop: Header=BB134_3 Depth=1
	ds_load_b64 v[48:49], v68 offset:3584
	ds_load_b64 v[50:51], v66
	s_wait_dscnt 0x0
	v_fma_f64 v[2:3], -v[48:49], v[50:51], v[2:3]
.LBB134_889:                            ;   in Loop: Header=BB134_3 Depth=1
	s_or_b32 exec_lo, exec_lo, s41
	s_barrier_signal -1
	s_barrier_wait -1
	s_and_saveexec_b32 s41, s100
; %bb.890:                              ;   in Loop: Header=BB134_3 Depth=1
	s_delay_alu instid0(VALU_DEP_1) | instskip(NEXT) | instid1(VALU_DEP_2)
	v_xor_b32_e32 v49, 0x80000000, v3
	v_mov_b32_e32 v48, v2
	ds_store_b64 v66, v[48:49]
; %bb.891:                              ;   in Loop: Header=BB134_3 Depth=1
	s_or_b32 exec_lo, exec_lo, s41
	s_wait_dscnt 0x0
	s_barrier_signal -1
	s_barrier_wait -1
	s_and_saveexec_b32 s41, s101
	s_cbranch_execz .LBB134_893
; %bb.892:                              ;   in Loop: Header=BB134_3 Depth=1
	ds_load_b64 v[48:49], v68 offset:3072
	ds_load_b64 v[50:51], v66
	s_wait_dscnt 0x0
	v_fma_f64 v[2:3], -v[48:49], v[50:51], v[2:3]
.LBB134_893:                            ;   in Loop: Header=BB134_3 Depth=1
	s_or_b32 exec_lo, exec_lo, s41
	s_barrier_signal -1
	s_barrier_wait -1
	s_and_saveexec_b32 s41, s102
; %bb.894:                              ;   in Loop: Header=BB134_3 Depth=1
	s_delay_alu instid0(VALU_DEP_1) | instskip(NEXT) | instid1(VALU_DEP_2)
	v_xor_b32_e32 v49, 0x80000000, v3
	v_mov_b32_e32 v48, v2
	ds_store_b64 v66, v[48:49]
; %bb.895:                              ;   in Loop: Header=BB134_3 Depth=1
	s_or_b32 exec_lo, exec_lo, s41
	s_wait_dscnt 0x0
	;; [unrolled: 22-line block ×3, first 2 shown]
	s_barrier_signal -1
	s_barrier_wait -1
	s_and_saveexec_b32 s41, vcc_hi
	s_cbranch_execz .LBB134_901
; %bb.900:                              ;   in Loop: Header=BB134_3 Depth=1
	ds_load_b64 v[48:49], v68 offset:2048
	ds_load_b64 v[50:51], v66
	s_wait_dscnt 0x0
	v_fma_f64 v[2:3], -v[48:49], v[50:51], v[2:3]
.LBB134_901:                            ;   in Loop: Header=BB134_3 Depth=1
	s_or_b32 exec_lo, exec_lo, s41
	s_barrier_signal -1
	s_barrier_wait -1
	s_and_saveexec_b32 s41, s31
; %bb.902:                              ;   in Loop: Header=BB134_3 Depth=1
	s_delay_alu instid0(VALU_DEP_1) | instskip(NEXT) | instid1(VALU_DEP_2)
	v_xor_b32_e32 v49, 0x80000000, v3
	v_mov_b32_e32 v48, v2
	ds_store_b64 v66, v[48:49]
; %bb.903:                              ;   in Loop: Header=BB134_3 Depth=1
	s_or_b32 exec_lo, exec_lo, s41
	s_wait_dscnt 0x0
	s_barrier_signal -1
	s_barrier_wait -1
	s_and_saveexec_b32 s41, s33
	s_cbranch_execz .LBB134_905
; %bb.904:                              ;   in Loop: Header=BB134_3 Depth=1
	ds_load_b64 v[48:49], v68 offset:1536
	ds_load_b64 v[50:51], v66
	s_wait_dscnt 0x0
	v_fma_f64 v[2:3], -v[48:49], v[50:51], v[2:3]
.LBB134_905:                            ;   in Loop: Header=BB134_3 Depth=1
	s_or_b32 exec_lo, exec_lo, s41
	s_barrier_signal -1
	s_barrier_wait -1
	s_and_saveexec_b32 s41, s34
; %bb.906:                              ;   in Loop: Header=BB134_3 Depth=1
	s_delay_alu instid0(VALU_DEP_1) | instskip(NEXT) | instid1(VALU_DEP_2)
	v_xor_b32_e32 v49, 0x80000000, v3
	v_mov_b32_e32 v48, v2
	ds_store_b64 v66, v[48:49]
; %bb.907:                              ;   in Loop: Header=BB134_3 Depth=1
	s_or_b32 exec_lo, exec_lo, s41
	s_wait_dscnt 0x0
	s_barrier_signal -1
	s_barrier_wait -1
	s_and_saveexec_b32 s41, s35
	s_cbranch_execz .LBB134_909
; %bb.908:                              ;   in Loop: Header=BB134_3 Depth=1
	ds_load_b64 v[48:49], v68 offset:1024
	ds_load_b64 v[50:51], v66
	s_wait_dscnt 0x0
	v_fma_f64 v[2:3], -v[48:49], v[50:51], v[2:3]
.LBB134_909:                            ;   in Loop: Header=BB134_3 Depth=1
	s_or_b32 exec_lo, exec_lo, s41
	s_barrier_signal -1
	s_barrier_wait -1
	s_and_saveexec_b32 s41, s36
; %bb.910:                              ;   in Loop: Header=BB134_3 Depth=1
	s_delay_alu instid0(VALU_DEP_1) | instskip(NEXT) | instid1(VALU_DEP_2)
	v_xor_b32_e32 v49, 0x80000000, v3
	v_mov_b32_e32 v48, v2
	ds_store_b64 v66, v[48:49]
; %bb.911:                              ;   in Loop: Header=BB134_3 Depth=1
	s_or_b32 exec_lo, exec_lo, s41
	s_wait_dscnt 0x0
	s_barrier_signal -1
	s_barrier_wait -1
	s_and_saveexec_b32 s41, s37
	s_cbranch_execz .LBB134_913
; %bb.912:                              ;   in Loop: Header=BB134_3 Depth=1
	ds_load_b64 v[48:49], v7 offset:512
	ds_load_b64 v[50:51], v66
	s_wait_dscnt 0x0
	v_fma_f64 v[2:3], -v[48:49], v[50:51], v[2:3]
.LBB134_913:                            ;   in Loop: Header=BB134_3 Depth=1
	s_or_b32 exec_lo, exec_lo, s41
	s_barrier_signal -1
	s_barrier_wait -1
	s_and_saveexec_b32 s41, s37
; %bb.914:                              ;   in Loop: Header=BB134_3 Depth=1
	s_delay_alu instid0(VALU_DEP_1) | instskip(NEXT) | instid1(VALU_DEP_2)
	v_xor_b32_e32 v49, 0x80000000, v3
	v_mov_b32_e32 v48, v2
	ds_store_b64 v66, v[48:49]
; %bb.915:                              ;   in Loop: Header=BB134_3 Depth=1
	s_or_b32 exec_lo, exec_lo, s41
	s_wait_dscnt 0x0
	s_barrier_signal -1
	s_barrier_wait -1
	s_barrier_signal -1
	s_barrier_wait -1
	s_and_saveexec_b32 s41, s4
; %bb.916:                              ;   in Loop: Header=BB134_3 Depth=1
	ds_store_b64 v72, v[2:3] offset:7680
; %bb.917:                              ;   in Loop: Header=BB134_3 Depth=1
	s_or_b32 exec_lo, exec_lo, s41
	s_wait_dscnt 0x0
	s_barrier_signal -1
	s_barrier_wait -1
	s_barrier_signal -1
	s_barrier_wait -1
	s_and_saveexec_b32 s41, s38
	s_cbranch_execz .LBB134_919
; %bb.918:                              ;   in Loop: Header=BB134_3 Depth=1
	ds_load_b64 v[2:3], v70 offset:4096
	s_wait_dscnt 0x0
	ds_store_b64 v71, v[2:3] offset:64
	ds_load_b64 v[2:3], v70 offset:4104
	s_wait_dscnt 0x0
	ds_store_b64 v71, v[2:3] offset:576
	;; [unrolled: 3-line block ×8, first 2 shown]
.LBB134_919:                            ;   in Loop: Header=BB134_3 Depth=1
	s_or_b32 exec_lo, exec_lo, s41
	s_wait_dscnt 0x0
	s_barrier_signal -1
	s_barrier_wait -1
	s_and_saveexec_b32 s41, s10
	s_cbranch_execz .LBB134_921
; %bb.920:                              ;   in Loop: Header=BB134_3 Depth=1
	ds_load_b64 v[2:3], v7 offset:3632
	v_mov_b32_e32 v0, v7
	ds_store_b64 v7, v[34:35] offset:3640
	s_wait_dscnt 0x1
	ds_store_b128 v7, v[0:3] offset:3120
.LBB134_921:                            ;   in Loop: Header=BB134_3 Depth=1
	s_or_b32 exec_lo, exec_lo, s41
	v_mov_b64_e32 v[2:3], 0
	s_wait_dscnt 0x0
	s_barrier_signal -1
	s_barrier_wait -1
	global_wb scope:SCOPE_DEV
	s_wait_storecnt 0x0
	global_inv scope:SCOPE_DEV
	s_and_saveexec_b32 s41, s1
	s_cbranch_execz .LBB134_925
; %bb.922:                              ;   in Loop: Header=BB134_3 Depth=1
	ds_load_b64 v[2:3], v54 offset:3104
	ds_load_b64 v[48:49], v53 offset:3632
	s_wait_dscnt 0x0
	v_fma_f64 v[2:3], v[2:3], v[48:49], 0
	s_and_saveexec_b32 s42, s11
	s_cbranch_execz .LBB134_924
; %bb.923:                              ;   in Loop: Header=BB134_3 Depth=1
	ds_load_b64 v[48:49], v71 offset:3616
	ds_load_b64 v[50:51], v7 offset:3640
	s_wait_dscnt 0x0
	v_fmac_f64_e32 v[2:3], v[48:49], v[50:51]
.LBB134_924:                            ;   in Loop: Header=BB134_3 Depth=1
	s_or_b32 exec_lo, exec_lo, s42
.LBB134_925:                            ;   in Loop: Header=BB134_3 Depth=1
	s_delay_alu instid0(SALU_CYCLE_1)
	s_or_b32 exec_lo, exec_lo, s41
	s_and_saveexec_b32 s41, s88
; %bb.926:                              ;   in Loop: Header=BB134_3 Depth=1
	s_delay_alu instid0(VALU_DEP_1) | instskip(NEXT) | instid1(VALU_DEP_2)
	v_xor_b32_e32 v49, 0x80000000, v3
	v_mov_b32_e32 v48, v2
	ds_store_b64 v52, v[48:49]
; %bb.927:                              ;   in Loop: Header=BB134_3 Depth=1
	s_or_b32 exec_lo, exec_lo, s41
	s_wait_loadcnt_dscnt 0x0
	s_barrier_signal -1
	s_barrier_wait -1
	s_and_saveexec_b32 s41, s89
	s_cbranch_execz .LBB134_929
; %bb.928:                              ;   in Loop: Header=BB134_3 Depth=1
	ds_load_b64 v[48:49], v7 offset:2592
	ds_load_b64 v[50:51], v52
	s_wait_dscnt 0x0
	v_fma_f64 v[2:3], -v[48:49], v[50:51], v[2:3]
.LBB134_929:                            ;   in Loop: Header=BB134_3 Depth=1
	s_or_b32 exec_lo, exec_lo, s41
	s_barrier_signal -1
	s_barrier_wait -1
	s_and_saveexec_b32 s41, s89
; %bb.930:                              ;   in Loop: Header=BB134_3 Depth=1
	s_delay_alu instid0(VALU_DEP_1) | instskip(NEXT) | instid1(VALU_DEP_2)
	v_xor_b32_e32 v49, 0x80000000, v3
	v_mov_b32_e32 v48, v2
	ds_store_b64 v52, v[48:49]
; %bb.931:                              ;   in Loop: Header=BB134_3 Depth=1
	s_or_b32 exec_lo, exec_lo, s41
	s_wait_dscnt 0x0
	s_barrier_signal -1
	s_barrier_wait -1
	s_barrier_signal -1
	s_barrier_wait -1
	s_and_saveexec_b32 s41, s1
; %bb.932:                              ;   in Loop: Header=BB134_3 Depth=1
	ds_store_b64 v56, v[2:3] offset:3616
; %bb.933:                              ;   in Loop: Header=BB134_3 Depth=1
	s_or_b32 exec_lo, exec_lo, s41
	s_wait_dscnt 0x0
	s_barrier_signal -1
	s_barrier_wait -1
	s_barrier_signal -1
	s_barrier_wait -1
	s_and_saveexec_b32 s41, s90
	s_cbranch_execz .LBB134_935
; %bb.934:                              ;   in Loop: Header=BB134_3 Depth=1
	ds_load_b64 v[2:3], v73 offset:3104
	s_wait_dscnt 0x0
	ds_store_b64 v71, v[2:3] offset:2096
	ds_load_b64 v[2:3], v73 offset:3112
	s_wait_dscnt 0x0
	ds_store_b64 v71, v[2:3] offset:2608
.LBB134_935:                            ;   in Loop: Header=BB134_3 Depth=1
	s_or_b32 exec_lo, exec_lo, s41
	s_wait_dscnt 0x0
	s_barrier_signal -1
	s_barrier_wait -1
	s_and_saveexec_b32 s41, s10
	s_cbranch_execz .LBB134_937
; %bb.936:                              ;   in Loop: Header=BB134_3 Depth=1
	ds_load_b64 v[2:3], v7 offset:2592
	v_mov_b32_e32 v0, v7
	ds_store_b64 v7, v[34:35] offset:2600
	s_wait_dscnt 0x1
	ds_store_b128 v7, v[0:3] offset:2080
.LBB134_937:                            ;   in Loop: Header=BB134_3 Depth=1
	s_or_b32 exec_lo, exec_lo, s41
	v_mov_b64_e32 v[2:3], 0
	s_wait_dscnt 0x0
	s_barrier_signal -1
	s_barrier_wait -1
	global_wb scope:SCOPE_DEV
	s_wait_storecnt 0x0
	global_inv scope:SCOPE_DEV
	s_and_saveexec_b32 s41, s3
	s_cbranch_execz .LBB134_943
; %bb.938:                              ;   in Loop: Header=BB134_3 Depth=1
	ds_load_b64 v[2:3], v60 offset:2048
	ds_load_b64 v[48:49], v59 offset:3616
	s_wait_dscnt 0x0
	v_fma_f64 v[2:3], v[2:3], v[48:49], 0
	s_and_saveexec_b32 s42, s12
	s_cbranch_execnz .LBB134_1115
; %bb.939:                              ;   in Loop: Header=BB134_3 Depth=1
	s_or_b32 exec_lo, exec_lo, s42
	s_and_saveexec_b32 s42, s13
	s_cbranch_execnz .LBB134_1116
.LBB134_940:                            ;   in Loop: Header=BB134_3 Depth=1
	s_or_b32 exec_lo, exec_lo, s42
	s_and_saveexec_b32 s42, s1
	s_cbranch_execz .LBB134_942
.LBB134_941:                            ;   in Loop: Header=BB134_3 Depth=1
	ds_load_b64 v[48:49], v5 offset:3584
	ds_load_b64 v[50:51], v7 offset:3640
	s_wait_dscnt 0x0
	v_fmac_f64_e32 v[2:3], v[48:49], v[50:51]
.LBB134_942:                            ;   in Loop: Header=BB134_3 Depth=1
	s_or_b32 exec_lo, exec_lo, s42
.LBB134_943:                            ;   in Loop: Header=BB134_3 Depth=1
	s_delay_alu instid0(SALU_CYCLE_1)
	s_or_b32 exec_lo, exec_lo, s41
	s_and_saveexec_b32 s41, s91
; %bb.944:                              ;   in Loop: Header=BB134_3 Depth=1
	s_delay_alu instid0(VALU_DEP_1) | instskip(NEXT) | instid1(VALU_DEP_2)
	v_xor_b32_e32 v49, 0x80000000, v3
	v_mov_b32_e32 v48, v2
	ds_store_b64 v58, v[48:49]
; %bb.945:                              ;   in Loop: Header=BB134_3 Depth=1
	s_or_b32 exec_lo, exec_lo, s41
	s_wait_loadcnt_dscnt 0x0
	s_barrier_signal -1
	s_barrier_wait -1
	s_and_saveexec_b32 s41, s92
	s_cbranch_execz .LBB134_947
; %bb.946:                              ;   in Loop: Header=BB134_3 Depth=1
	ds_load_b64 v[48:49], v60 offset:1536
	ds_load_b64 v[50:51], v58
	s_wait_dscnt 0x0
	v_fma_f64 v[2:3], -v[48:49], v[50:51], v[2:3]
.LBB134_947:                            ;   in Loop: Header=BB134_3 Depth=1
	s_or_b32 exec_lo, exec_lo, s41
	s_barrier_signal -1
	s_barrier_wait -1
	s_and_saveexec_b32 s41, s93
; %bb.948:                              ;   in Loop: Header=BB134_3 Depth=1
	s_delay_alu instid0(VALU_DEP_1) | instskip(NEXT) | instid1(VALU_DEP_2)
	v_xor_b32_e32 v49, 0x80000000, v3
	v_mov_b32_e32 v48, v2
	ds_store_b64 v58, v[48:49]
; %bb.949:                              ;   in Loop: Header=BB134_3 Depth=1
	s_or_b32 exec_lo, exec_lo, s41
	s_wait_dscnt 0x0
	s_barrier_signal -1
	s_barrier_wait -1
	s_and_saveexec_b32 s41, s94
	s_cbranch_execz .LBB134_951
; %bb.950:                              ;   in Loop: Header=BB134_3 Depth=1
	ds_load_b64 v[48:49], v60 offset:1024
	ds_load_b64 v[50:51], v58
	s_wait_dscnt 0x0
	v_fma_f64 v[2:3], -v[48:49], v[50:51], v[2:3]
.LBB134_951:                            ;   in Loop: Header=BB134_3 Depth=1
	s_or_b32 exec_lo, exec_lo, s41
	s_barrier_signal -1
	s_barrier_wait -1
	s_and_saveexec_b32 s41, s95
; %bb.952:                              ;   in Loop: Header=BB134_3 Depth=1
	s_delay_alu instid0(VALU_DEP_1) | instskip(NEXT) | instid1(VALU_DEP_2)
	v_xor_b32_e32 v49, 0x80000000, v3
	v_mov_b32_e32 v48, v2
	ds_store_b64 v58, v[48:49]
; %bb.953:                              ;   in Loop: Header=BB134_3 Depth=1
	s_or_b32 exec_lo, exec_lo, s41
	s_wait_dscnt 0x0
	;; [unrolled: 22-line block ×3, first 2 shown]
	s_barrier_signal -1
	s_barrier_wait -1
	s_barrier_signal -1
	s_barrier_wait -1
	s_and_saveexec_b32 s41, s3
; %bb.958:                              ;   in Loop: Header=BB134_3 Depth=1
	ds_store_b64 v63, v[2:3] offset:3584
; %bb.959:                              ;   in Loop: Header=BB134_3 Depth=1
	s_or_b32 exec_lo, exec_lo, s41
	s_wait_dscnt 0x0
	s_barrier_signal -1
	s_barrier_wait -1
	s_barrier_signal -1
	s_barrier_wait -1
	s_and_saveexec_b32 s41, s97
	s_cbranch_execz .LBB134_961
; %bb.960:                              ;   in Loop: Header=BB134_3 Depth=1
	ds_load_b64 v[2:3], v11 offset:2048
	s_wait_dscnt 0x0
	ds_store_b64 v84, v[2:3] offset:32
	ds_load_b64 v[2:3], v11 offset:2056
	s_wait_dscnt 0x0
	ds_store_b64 v84, v[2:3] offset:544
	;; [unrolled: 3-line block ×4, first 2 shown]
.LBB134_961:                            ;   in Loop: Header=BB134_3 Depth=1
	s_or_b32 exec_lo, exec_lo, s41
	s_wait_dscnt 0x0
	s_barrier_signal -1
	s_barrier_wait -1
	s_and_saveexec_b32 s41, s10
	s_cbranch_execz .LBB134_963
; %bb.962:                              ;   in Loop: Header=BB134_3 Depth=1
	ds_load_b64 v[2:3], v7 offset:1552
	v_mov_b32_e32 v0, v7
	ds_store_b64 v7, v[34:35] offset:1560
	s_wait_dscnt 0x1
	ds_store_b128 v7, v[0:3] offset:1040
.LBB134_963:                            ;   in Loop: Header=BB134_3 Depth=1
	s_or_b32 exec_lo, exec_lo, s41
	v_mov_b64_e32 v[2:3], 0
	s_wait_dscnt 0x0
	s_barrier_signal -1
	s_barrier_wait -1
	global_wb scope:SCOPE_DEV
	s_wait_storecnt 0x0
	global_inv scope:SCOPE_DEV
	s_and_saveexec_b32 s41, s1
	s_cbranch_execz .LBB134_967
; %bb.964:                              ;   in Loop: Header=BB134_3 Depth=1
	ds_load_b64 v[2:3], v54 offset:1024
	ds_load_b64 v[48:49], v53 offset:1552
	s_wait_dscnt 0x0
	v_fma_f64 v[2:3], v[2:3], v[48:49], 0
	s_and_saveexec_b32 s42, s11
	s_cbranch_execz .LBB134_966
; %bb.965:                              ;   in Loop: Header=BB134_3 Depth=1
	ds_load_b64 v[48:49], v84 offset:1536
	ds_load_b64 v[50:51], v7 offset:1560
	s_wait_dscnt 0x0
	v_fmac_f64_e32 v[2:3], v[48:49], v[50:51]
.LBB134_966:                            ;   in Loop: Header=BB134_3 Depth=1
	s_or_b32 exec_lo, exec_lo, s42
.LBB134_967:                            ;   in Loop: Header=BB134_3 Depth=1
	s_delay_alu instid0(SALU_CYCLE_1)
	s_or_b32 exec_lo, exec_lo, s41
	s_and_saveexec_b32 s41, s88
; %bb.968:                              ;   in Loop: Header=BB134_3 Depth=1
	s_delay_alu instid0(VALU_DEP_1) | instskip(NEXT) | instid1(VALU_DEP_2)
	v_xor_b32_e32 v49, 0x80000000, v3
	v_mov_b32_e32 v48, v2
	ds_store_b64 v52, v[48:49]
; %bb.969:                              ;   in Loop: Header=BB134_3 Depth=1
	s_or_b32 exec_lo, exec_lo, s41
	s_wait_loadcnt_dscnt 0x0
	s_barrier_signal -1
	s_barrier_wait -1
	s_and_saveexec_b32 s41, s89
	s_cbranch_execz .LBB134_971
; %bb.970:                              ;   in Loop: Header=BB134_3 Depth=1
	ds_load_b64 v[48:49], v7 offset:512
	ds_load_b64 v[50:51], v52
	s_wait_dscnt 0x0
	v_fma_f64 v[2:3], -v[48:49], v[50:51], v[2:3]
.LBB134_971:                            ;   in Loop: Header=BB134_3 Depth=1
	s_or_b32 exec_lo, exec_lo, s41
	s_barrier_signal -1
	s_barrier_wait -1
	s_and_saveexec_b32 s41, s89
; %bb.972:                              ;   in Loop: Header=BB134_3 Depth=1
	s_delay_alu instid0(VALU_DEP_1) | instskip(NEXT) | instid1(VALU_DEP_2)
	v_xor_b32_e32 v49, 0x80000000, v3
	v_mov_b32_e32 v48, v2
	ds_store_b64 v52, v[48:49]
; %bb.973:                              ;   in Loop: Header=BB134_3 Depth=1
	s_or_b32 exec_lo, exec_lo, s41
	s_wait_dscnt 0x0
	s_barrier_signal -1
	s_barrier_wait -1
	s_barrier_signal -1
	s_barrier_wait -1
	s_and_saveexec_b32 s41, s1
; %bb.974:                              ;   in Loop: Header=BB134_3 Depth=1
	ds_store_b64 v56, v[2:3] offset:1536
; %bb.975:                              ;   in Loop: Header=BB134_3 Depth=1
	s_or_b32 exec_lo, exec_lo, s41
	s_wait_dscnt 0x0
	s_barrier_signal -1
	s_barrier_wait -1
	s_barrier_signal -1
	s_barrier_wait -1
	s_and_saveexec_b32 s41, s90
	s_cbranch_execz .LBB134_977
; %bb.976:                              ;   in Loop: Header=BB134_3 Depth=1
	ds_load_b64 v[2:3], v88 offset:1024
	s_wait_dscnt 0x0
	ds_store_b64 v84, v[2:3] offset:16
	ds_load_b64 v[2:3], v88 offset:1032
	s_wait_dscnt 0x0
	ds_store_b64 v84, v[2:3] offset:528
.LBB134_977:                            ;   in Loop: Header=BB134_3 Depth=1
	s_or_b32 exec_lo, exec_lo, s41
	s_wait_dscnt 0x0
	s_barrier_signal -1
	s_barrier_wait -1
	s_and_saveexec_b32 s41, s10
	s_cbranch_execz .LBB134_979
; %bb.978:                              ;   in Loop: Header=BB134_3 Depth=1
	ds_load_b64 v[2:3], v7 offset:512
	v_mov_b32_e32 v0, v7
	ds_store_b64 v7, v[34:35] offset:520
	s_wait_dscnt 0x1
	ds_store_b128 v7, v[0:3]
.LBB134_979:                            ;   in Loop: Header=BB134_3 Depth=1
	s_or_b32 exec_lo, exec_lo, s41
.LBB134_980:                            ;   in Loop: Header=BB134_3 Depth=1
	v_add_nc_u64_e32 v[2:3], s[68:69], v[46:47]
	v_mov_b64_e32 v[46:47], 0
	s_wait_dscnt 0x0
	s_barrier_signal -1
	s_barrier_wait -1
	s_wait_xcnt 0x0
	s_and_saveexec_b32 s41, s82
	s_cbranch_execz .LBB134_982
; %bb.981:                              ;   in Loop: Header=BB134_3 Depth=1
	v_lshl_add_u64 v[46:47], v[16:17], 3, v[2:3]
	flat_load_b64 v[46:47], v[46:47]
	s_wait_loadcnt_dscnt 0x0
	v_mul_f64_e64 v[46:47], v[46:47], -s[64:65]
.LBB134_982:                            ;   in Loop: Header=BB134_3 Depth=1
	s_or_b32 exec_lo, exec_lo, s41
	s_delay_alu instid0(SALU_CYCLE_1)
	s_and_not1_b32 vcc_lo, exec_lo, s39
	s_cbranch_vccnz .LBB134_1008
; %bb.983:                              ;   in Loop: Header=BB134_3 Depth=1
	v_mov_b32_e32 v0, -1
	s_lshl_b64 s[42:43], s[62:63], 2
	s_mov_b32 s41, 0
	s_add_nc_u64 s[80:81], s[76:77], s[42:43]
	s_branch .LBB134_986
.LBB134_984:                            ;   in Loop: Header=BB134_986 Depth=2
	s_wait_xcnt 0x0
	ds_load_b64 v[48:49], v89 offset:384
	s_wait_loadcnt_dscnt 0x0
	v_fmac_f64_e32 v[46:47], v[50:51], v[48:49]
.LBB134_985:                            ;   in Loop: Header=BB134_986 Depth=2
	s_or_b32 exec_lo, exec_lo, s42
	s_add_co_i32 s41, s41, 1
	s_delay_alu instid0(SALU_CYCLE_1)
	s_cmp_eq_u32 s41, s84
	s_cbranch_scc1 .LBB134_1008
.LBB134_986:                            ;   Parent Loop BB134_3 Depth=1
                                        ; =>  This Loop Header: Depth=2
                                        ;       Child Loop BB134_988 Depth 3
	v_cmp_gt_i32_e32 vcc_lo, s41, v0
	s_and_b32 s43, s55, vcc_lo
	s_delay_alu instid0(SALU_CYCLE_1)
	s_and_saveexec_b32 s42, s43
	s_cbranch_execz .LBB134_989
; %bb.987:                              ;   in Loop: Header=BB134_986 Depth=2
	global_load_b32 v0, v7, s[80:81]
	s_wait_loadcnt 0x0
	v_cmp_le_i32_e32 vcc_lo, s41, v0
	s_cbranch_vccnz .LBB134_989
.LBB134_988:                            ;   Parent Loop BB134_3 Depth=1
                                        ;     Parent Loop BB134_986 Depth=2
                                        ; =>    This Inner Loop Header: Depth=3
	global_wb scope:SCOPE_DEV
	s_wait_storecnt 0x0
	global_inv scope:SCOPE_DEV
	global_load_b32 v0, v7, s[80:81]
	s_wait_loadcnt 0x0
	v_cmp_gt_i32_e32 vcc_lo, s41, v0
	s_cbranch_vccnz .LBB134_988
.LBB134_989:                            ;   in Loop: Header=BB134_986 Depth=2
	s_or_b32 exec_lo, exec_lo, s42
	s_lshl_b32 s61, s41, 6
	global_wb scope:SCOPE_DEV
	s_wait_storecnt 0x0
	global_inv scope:SCOPE_DEV
	s_wait_loadcnt 0x0
	s_barrier_signal -1
	s_barrier_wait -1
	s_and_saveexec_b32 s42, s56
	s_cbranch_execz .LBB134_993
; %bb.990:                              ;   in Loop: Header=BB134_986 Depth=2
	v_mov_b64_e32 v[48:49], 0
	v_or_b32_e32 v6, s61, v10
	s_mov_b32 s43, exec_lo
	s_delay_alu instid0(VALU_DEP_1)
	v_cmpx_gt_i32_e64 s83, v6
	s_cbranch_execz .LBB134_992
; %bb.991:                              ;   in Loop: Header=BB134_986 Depth=2
	v_mul_u64_e32 v[48:49], s[70:71], v[6:7]
	s_delay_alu instid0(VALU_DEP_1)
	v_lshl_add_u64 v[48:49], v[48:49], 3, v[2:3]
	flat_load_b64 v[48:49], v[48:49]
.LBB134_992:                            ;   in Loop: Header=BB134_986 Depth=2
	s_wait_xcnt 0x0
	s_or_b32 exec_lo, exec_lo, s43
	s_wait_loadcnt_dscnt 0x0
	ds_store_b64 v91, v[48:49]
.LBB134_993:                            ;   in Loop: Header=BB134_986 Depth=2
	s_or_b32 exec_lo, exec_lo, s42
	v_add_nc_u32_e32 v6, s61, v4
	v_cmp_ne_u32_e32 vcc_lo, s41, v9
	s_wait_dscnt 0x0
	s_barrier_signal -1
	s_barrier_wait -1
	v_cmp_gt_i32_e64 s61, s83, v6
	v_lshl_add_u64 v[48:49], v[6:7], 3, v[44:45]
	v_cndmask_b32_e64 v31, 0, 1, vcc_lo
	s_and_b32 s43, s61, s0
	s_delay_alu instid0(SALU_CYCLE_1)
	s_and_saveexec_b32 s42, s43
	s_cbranch_execz .LBB134_997
; %bb.994:                              ;   in Loop: Header=BB134_986 Depth=2
	v_mov_b64_e32 v[50:51], v[36:37]
	s_and_not1_b32 vcc_lo, exec_lo, vcc_lo
	s_cbranch_vccnz .LBB134_996
; %bb.995:                              ;   in Loop: Header=BB134_986 Depth=2
	flat_load_b64 v[50:51], v[48:49]
.LBB134_996:                            ;   in Loop: Header=BB134_986 Depth=2
	ds_load_b64 v[100:101], v89
	s_wait_loadcnt_dscnt 0x0
	v_fmac_f64_e32 v[46:47], v[50:51], v[100:101]
.LBB134_997:                            ;   in Loop: Header=BB134_986 Depth=2
	s_or_b32 exec_lo, exec_lo, s42
	v_add_nc_u32_e32 v50, 16, v6
	s_delay_alu instid0(VALU_DEP_1) | instskip(SKIP_1) | instid1(SALU_CYCLE_1)
	v_cmp_gt_i32_e32 vcc_lo, s83, v50
	s_and_b32 s43, vcc_lo, s0
	s_and_saveexec_b32 s42, s43
	s_cbranch_execz .LBB134_1001
; %bb.998:                              ;   in Loop: Header=BB134_986 Depth=2
	v_cmp_ne_u32_e32 vcc_lo, 1, v31
	v_mov_b64_e32 v[50:51], v[38:39]
	s_cbranch_vccnz .LBB134_1000
; %bb.999:                              ;   in Loop: Header=BB134_986 Depth=2
	flat_load_b64 v[50:51], v[48:49] offset:128
.LBB134_1000:                           ;   in Loop: Header=BB134_986 Depth=2
	ds_load_b64 v[100:101], v89 offset:128
	s_wait_loadcnt_dscnt 0x0
	v_fmac_f64_e32 v[46:47], v[50:51], v[100:101]
.LBB134_1001:                           ;   in Loop: Header=BB134_986 Depth=2
	s_or_b32 exec_lo, exec_lo, s42
	v_add_nc_u32_e32 v50, 32, v6
	s_delay_alu instid0(VALU_DEP_1) | instskip(SKIP_1) | instid1(SALU_CYCLE_1)
	v_cmp_gt_i32_e32 vcc_lo, s83, v50
	s_and_b32 s43, vcc_lo, s0
	s_and_saveexec_b32 s42, s43
	s_cbranch_execz .LBB134_1005
; %bb.1002:                             ;   in Loop: Header=BB134_986 Depth=2
	v_cmp_ne_u32_e32 vcc_lo, 1, v31
	v_mov_b64_e32 v[50:51], v[40:41]
	s_cbranch_vccnz .LBB134_1004
; %bb.1003:                             ;   in Loop: Header=BB134_986 Depth=2
	flat_load_b64 v[50:51], v[48:49] offset:256
.LBB134_1004:                           ;   in Loop: Header=BB134_986 Depth=2
	ds_load_b64 v[100:101], v89 offset:256
	s_wait_loadcnt_dscnt 0x0
	v_fmac_f64_e32 v[46:47], v[50:51], v[100:101]
.LBB134_1005:                           ;   in Loop: Header=BB134_986 Depth=2
	s_or_b32 exec_lo, exec_lo, s42
	v_add_nc_u32_e32 v6, 48, v6
	s_delay_alu instid0(VALU_DEP_1) | instskip(SKIP_1) | instid1(SALU_CYCLE_1)
	v_cmp_gt_i32_e32 vcc_lo, s83, v6
	s_and_b32 s43, vcc_lo, s0
	s_and_saveexec_b32 s42, s43
	s_cbranch_execz .LBB134_985
; %bb.1006:                             ;   in Loop: Header=BB134_986 Depth=2
	v_cmp_ne_u32_e32 vcc_lo, 1, v31
	v_mov_b64_e32 v[50:51], v[42:43]
	s_cbranch_vccnz .LBB134_984
; %bb.1007:                             ;   in Loop: Header=BB134_986 Depth=2
	flat_load_b64 v[50:51], v[48:49] offset:384
	s_branch .LBB134_984
.LBB134_1008:                           ;   in Loop: Header=BB134_3 Depth=1
	ds_store_b64 v92, v[46:47]
	s_wait_dscnt 0x0
	s_barrier_signal -1
	s_barrier_wait -1
	s_and_saveexec_b32 s41, s2
	s_cbranch_execz .LBB134_1010
; %bb.1009:                             ;   in Loop: Header=BB134_3 Depth=1
	ds_load_2addr_stride64_b64 v[48:51], v93 offset0:1 offset1:2
	ds_load_2addr_stride64_b64 v[100:103], v93 offset0:3 offset1:4
	s_wait_dscnt 0x1
	v_add_f64_e32 v[44:45], v[46:47], v[48:49]
	s_delay_alu instid0(VALU_DEP_1) | instskip(SKIP_1) | instid1(VALU_DEP_1)
	v_add_f64_e32 v[44:45], v[44:45], v[50:51]
	s_wait_dscnt 0x0
	v_add_f64_e32 v[44:45], v[44:45], v[100:101]
	s_delay_alu instid0(VALU_DEP_1) | instskip(SKIP_4) | instid1(VALU_DEP_1)
	v_add_f64_e32 v[100:101], v[44:45], v[102:103]
	ds_load_2addr_stride64_b64 v[44:47], v93 offset0:5 offset1:6
	ds_load_2addr_stride64_b64 v[48:51], v93 offset0:7 offset1:8
	s_wait_dscnt 0x1
	v_add_f64_e32 v[44:45], v[100:101], v[44:45]
	v_add_f64_e32 v[44:45], v[44:45], v[46:47]
	s_wait_dscnt 0x0
	s_delay_alu instid0(VALU_DEP_1) | instskip(NEXT) | instid1(VALU_DEP_1)
	v_add_f64_e32 v[44:45], v[44:45], v[48:49]
	v_add_f64_e32 v[100:101], v[44:45], v[50:51]
	ds_load_2addr_stride64_b64 v[44:47], v93 offset0:9 offset1:10
	ds_load_2addr_stride64_b64 v[48:51], v93 offset0:11 offset1:12
	s_wait_dscnt 0x1
	v_add_f64_e32 v[44:45], v[100:101], v[44:45]
	s_delay_alu instid0(VALU_DEP_1) | instskip(SKIP_1) | instid1(VALU_DEP_1)
	v_add_f64_e32 v[44:45], v[44:45], v[46:47]
	s_wait_dscnt 0x0
	v_add_f64_e32 v[44:45], v[44:45], v[48:49]
	s_delay_alu instid0(VALU_DEP_1) | instskip(SKIP_4) | instid1(VALU_DEP_1)
	v_add_f64_e32 v[48:49], v[44:45], v[50:51]
	ds_load_2addr_stride64_b64 v[44:47], v93 offset0:13 offset1:14
	ds_load_b64 v[50:51], v93 offset:7680
	s_wait_dscnt 0x1
	v_add_f64_e32 v[44:45], v[48:49], v[44:45]
	v_add_f64_e32 v[44:45], v[44:45], v[46:47]
	s_wait_dscnt 0x0
	s_delay_alu instid0(VALU_DEP_1) | instskip(NEXT) | instid1(VALU_DEP_1)
	v_add_f64_e32 v[44:45], v[44:45], v[50:51]
	v_xor_b32_e32 v0, 0x80000000, v45
	s_delay_alu instid0(VALU_DEP_2) | instskip(NEXT) | instid1(VALU_DEP_2)
	v_cndmask_b32_e64 v46, v44, 0, s85
	v_cndmask_b32_e64 v47, v0, 0, s85
.LBB134_1010:                           ;   in Loop: Header=BB134_3 Depth=1
	s_or_b32 exec_lo, exec_lo, s41
	s_delay_alu instid0(SALU_CYCLE_1)
	s_and_not1_b32 vcc_lo, exec_lo, s87
	s_cbranch_vccnz .LBB134_1020
; %bb.1011:                             ;   in Loop: Header=BB134_3 Depth=1
	s_and_saveexec_b32 s41, s2
; %bb.1012:                             ;   in Loop: Header=BB134_3 Depth=1
	ds_store_b64 v95, v[46:47]
; %bb.1013:                             ;   in Loop: Header=BB134_3 Depth=1
	s_or_b32 exec_lo, exec_lo, s41
	v_mov_b64_e32 v[44:45], 0
	s_wait_dscnt 0x0
	s_barrier_signal -1
	s_barrier_wait -1
	s_and_saveexec_b32 s41, s6
	s_cbranch_execnz .LBB134_1059
; %bb.1014:                             ;   in Loop: Header=BB134_3 Depth=1
	s_or_b32 exec_lo, exec_lo, s41
	s_and_saveexec_b32 s41, s7
	s_cbranch_execnz .LBB134_1060
.LBB134_1015:                           ;   in Loop: Header=BB134_3 Depth=1
	s_or_b32 exec_lo, exec_lo, s41
	s_and_saveexec_b32 s41, s8
	s_cbranch_execnz .LBB134_1061
.LBB134_1016:                           ;   in Loop: Header=BB134_3 Depth=1
	s_or_b32 exec_lo, exec_lo, s41
	s_and_saveexec_b32 s41, s9
	s_cbranch_execz .LBB134_1018
.LBB134_1017:                           ;   in Loop: Header=BB134_3 Depth=1
	ds_load_b64 v[48:49], v94 offset:24576
	ds_load_b64 v[50:51], v89 offset:384
	s_wait_dscnt 0x0
	v_fmac_f64_e32 v[44:45], v[48:49], v[50:51]
.LBB134_1018:                           ;   in Loop: Header=BB134_3 Depth=1
	s_or_b32 exec_lo, exec_lo, s41
	s_mov_b32 s41, 0
	s_mov_b32 s61, 0
	ds_store_b64 v92, v[44:45]
	s_wait_dscnt 0x0
	s_barrier_signal -1
	s_barrier_wait -1
                                        ; implicit-def: $vgpr48_vgpr49
	s_and_saveexec_b32 s80, s2
	s_cbranch_execz .LBB134_1062
; %bb.1019:                             ;   in Loop: Header=BB134_3 Depth=1
	ds_load_2addr_stride64_b64 v[48:51], v93 offset0:1 offset1:2
	ds_load_2addr_stride64_b64 v[100:103], v93 offset0:3 offset1:4
	s_mov_b32 s61, exec_lo
	s_wait_dscnt 0x1
	v_add_f64_e32 v[44:45], v[44:45], v[48:49]
	s_delay_alu instid0(VALU_DEP_1) | instskip(SKIP_1) | instid1(VALU_DEP_1)
	v_add_f64_e32 v[44:45], v[50:51], v[44:45]
	s_wait_dscnt 0x0
	v_add_f64_e32 v[44:45], v[100:101], v[44:45]
	s_delay_alu instid0(VALU_DEP_1) | instskip(SKIP_4) | instid1(VALU_DEP_1)
	v_add_f64_e32 v[44:45], v[102:103], v[44:45]
	ds_load_2addr_stride64_b64 v[48:51], v93 offset0:5 offset1:6
	ds_load_2addr_stride64_b64 v[100:103], v93 offset0:7 offset1:8
	s_wait_dscnt 0x1
	v_add_f64_e32 v[44:45], v[48:49], v[44:45]
	v_add_f64_e32 v[44:45], v[50:51], v[44:45]
	s_wait_dscnt 0x0
	s_delay_alu instid0(VALU_DEP_1) | instskip(NEXT) | instid1(VALU_DEP_1)
	v_add_f64_e32 v[44:45], v[100:101], v[44:45]
	v_add_f64_e32 v[44:45], v[102:103], v[44:45]
	ds_load_2addr_stride64_b64 v[48:51], v93 offset0:9 offset1:10
	ds_load_2addr_stride64_b64 v[100:103], v93 offset0:11 offset1:12
	s_wait_dscnt 0x1
	v_add_f64_e32 v[44:45], v[48:49], v[44:45]
	s_delay_alu instid0(VALU_DEP_1) | instskip(SKIP_1) | instid1(VALU_DEP_1)
	v_add_f64_e32 v[44:45], v[50:51], v[44:45]
	s_wait_dscnt 0x0
	v_add_f64_e32 v[44:45], v[100:101], v[44:45]
	ds_load_2addr_stride64_b64 v[48:51], v93 offset0:13 offset1:14
	ds_load_b64 v[100:101], v93 offset:7680
	v_add_f64_e32 v[44:45], v[102:103], v[44:45]
	s_wait_dscnt 0x1
	s_delay_alu instid0(VALU_DEP_1) | instskip(NEXT) | instid1(VALU_DEP_1)
	v_add_f64_e32 v[44:45], v[48:49], v[44:45]
	v_add_f64_e32 v[44:45], v[50:51], v[44:45]
	s_wait_dscnt 0x0
	s_delay_alu instid0(VALU_DEP_1) | instskip(SKIP_1) | instid1(SALU_CYCLE_1)
	v_add_f64_e32 v[48:49], v[100:101], v[44:45]
	s_or_b32 exec_lo, exec_lo, s80
	s_and_b32 vcc_lo, exec_lo, s41
	s_cbranch_vccnz .LBB134_1021
	s_branch .LBB134_1063
.LBB134_1020:                           ;   in Loop: Header=BB134_3 Depth=1
	s_mov_b32 s61, 0
                                        ; implicit-def: $vgpr48_vgpr49
	s_cbranch_execz .LBB134_1063
.LBB134_1021:                           ;   in Loop: Header=BB134_3 Depth=1
	v_dual_mov_b32 v0, v8 :: v_dual_mov_b32 v6, v97
	s_mov_b32 s41, 0
	s_branch .LBB134_1023
.LBB134_1022:                           ;   in Loop: Header=BB134_1023 Depth=2
	s_or_b32 exec_lo, exec_lo, s42
	v_add_nc_u32_e32 v6, 0x800, v6
	v_add_nc_u32_e32 v0, -4, v0
	s_add_co_i32 s41, s41, 4
	s_delay_alu instid0(SALU_CYCLE_1)
	s_cmp_lg_u32 s41, 64
	s_barrier_signal -1
	s_barrier_wait -1
	s_cbranch_scc0 .LBB134_1039
.LBB134_1023:                           ;   Parent Loop BB134_3 Depth=1
                                        ; =>  This Inner Loop Header: Depth=2
	s_delay_alu instid0(VALU_DEP_1) | instskip(SKIP_1) | instid1(SALU_CYCLE_1)
	v_cmp_eq_u32_e32 vcc_lo, 0, v0
	s_and_b32 s43, s2, vcc_lo
	s_and_saveexec_b32 s42, s43
; %bb.1024:                             ;   in Loop: Header=BB134_1023 Depth=2
	ds_store_b64 v7, v[46:47] offset:41472
; %bb.1025:                             ;   in Loop: Header=BB134_1023 Depth=2
	s_or_b32 exec_lo, exec_lo, s42
	v_cmp_lt_u32_e32 vcc_lo, s41, v8
	s_wait_dscnt 0x0
	s_barrier_signal -1
	s_barrier_wait -1
	s_and_b32 s43, s2, vcc_lo
	s_delay_alu instid0(SALU_CYCLE_1)
	s_and_saveexec_b32 s42, s43
	s_cbranch_execz .LBB134_1027
; %bb.1026:                             ;   in Loop: Header=BB134_1023 Depth=2
	ds_load_b64 v[44:45], v6
	ds_load_b64 v[48:49], v7 offset:41472
	s_wait_dscnt 0x0
	v_fmac_f64_e32 v[46:47], v[44:45], v[48:49]
.LBB134_1027:                           ;   in Loop: Header=BB134_1023 Depth=2
	s_or_b32 exec_lo, exec_lo, s42
	s_or_b32 s42, s41, 1
	s_delay_alu instid0(SALU_CYCLE_1) | instskip(SKIP_3) | instid1(SALU_CYCLE_1)
	v_cmp_eq_u32_e32 vcc_lo, s42, v8
	s_barrier_signal -1
	s_barrier_wait -1
	s_and_b32 s80, s2, vcc_lo
	s_and_saveexec_b32 s43, s80
; %bb.1028:                             ;   in Loop: Header=BB134_1023 Depth=2
	ds_store_b64 v7, v[46:47] offset:41472
; %bb.1029:                             ;   in Loop: Header=BB134_1023 Depth=2
	s_or_b32 exec_lo, exec_lo, s43
	v_cmp_lt_u32_e32 vcc_lo, s42, v8
	s_wait_dscnt 0x0
	s_barrier_signal -1
	s_barrier_wait -1
	s_and_b32 s43, s2, vcc_lo
	s_delay_alu instid0(SALU_CYCLE_1)
	s_and_saveexec_b32 s42, s43
	s_cbranch_execz .LBB134_1031
; %bb.1030:                             ;   in Loop: Header=BB134_1023 Depth=2
	ds_load_b64 v[44:45], v6 offset:512
	ds_load_b64 v[48:49], v7 offset:41472
	s_wait_dscnt 0x0
	v_fmac_f64_e32 v[46:47], v[44:45], v[48:49]
.LBB134_1031:                           ;   in Loop: Header=BB134_1023 Depth=2
	s_or_b32 exec_lo, exec_lo, s42
	s_or_b32 s42, s41, 2
	s_delay_alu instid0(SALU_CYCLE_1) | instskip(SKIP_3) | instid1(SALU_CYCLE_1)
	v_cmp_eq_u32_e32 vcc_lo, s42, v8
	s_barrier_signal -1
	s_barrier_wait -1
	s_and_b32 s80, s2, vcc_lo
	s_and_saveexec_b32 s43, s80
; %bb.1032:                             ;   in Loop: Header=BB134_1023 Depth=2
	ds_store_b64 v7, v[46:47] offset:41472
; %bb.1033:                             ;   in Loop: Header=BB134_1023 Depth=2
	s_or_b32 exec_lo, exec_lo, s43
	v_cmp_lt_u32_e32 vcc_lo, s42, v8
	s_wait_dscnt 0x0
	s_barrier_signal -1
	s_barrier_wait -1
	s_and_b32 s43, s2, vcc_lo
	s_delay_alu instid0(SALU_CYCLE_1)
	s_and_saveexec_b32 s42, s43
	s_cbranch_execz .LBB134_1035
; %bb.1034:                             ;   in Loop: Header=BB134_1023 Depth=2
	ds_load_b64 v[44:45], v6 offset:1024
	ds_load_b64 v[48:49], v7 offset:41472
	s_wait_dscnt 0x0
	v_fmac_f64_e32 v[46:47], v[44:45], v[48:49]
.LBB134_1035:                           ;   in Loop: Header=BB134_1023 Depth=2
	s_or_b32 exec_lo, exec_lo, s42
	s_or_b32 s42, s41, 3
	s_delay_alu instid0(SALU_CYCLE_1) | instskip(SKIP_3) | instid1(SALU_CYCLE_1)
	v_cmp_eq_u32_e32 vcc_lo, s42, v8
	s_barrier_signal -1
	s_barrier_wait -1
	s_and_b32 s80, s2, vcc_lo
	s_and_saveexec_b32 s43, s80
; %bb.1036:                             ;   in Loop: Header=BB134_1023 Depth=2
	ds_store_b64 v7, v[46:47] offset:41472
; %bb.1037:                             ;   in Loop: Header=BB134_1023 Depth=2
	s_or_b32 exec_lo, exec_lo, s43
	v_cmp_lt_u32_e32 vcc_lo, s42, v8
	s_wait_dscnt 0x0
	s_barrier_signal -1
	s_barrier_wait -1
	s_and_b32 s43, s2, vcc_lo
	s_delay_alu instid0(SALU_CYCLE_1)
	s_and_saveexec_b32 s42, s43
	s_cbranch_execz .LBB134_1022
; %bb.1038:                             ;   in Loop: Header=BB134_1023 Depth=2
	ds_load_b64 v[44:45], v6 offset:1536
	ds_load_b64 v[48:49], v7 offset:41472
	s_wait_dscnt 0x0
	v_fmac_f64_e32 v[46:47], v[44:45], v[48:49]
	s_branch .LBB134_1022
.LBB134_1039:                           ;   in Loop: Header=BB134_3 Depth=1
	s_and_b32 vcc_lo, exec_lo, s86
	s_mov_b32 s41, -1
	s_cbranch_vccz .LBB134_1041
; %bb.1040:                             ;   in Loop: Header=BB134_3 Depth=1
	s_and_not1_b32 s42, s61, exec_lo
	s_and_b32 s43, s2, exec_lo
	s_mov_b32 s41, 0
	s_or_b32 s61, s42, s43
.LBB134_1041:                           ;   in Loop: Header=BB134_3 Depth=1
	s_and_not1_b32 vcc_lo, exec_lo, s41
	s_cbranch_vccnz .LBB134_1043
; %bb.1042:                             ;   in Loop: Header=BB134_3 Depth=1
	v_readlane_b32 s42, v104, 8
	s_and_not1_b32 s41, s61, exec_lo
	s_and_b32 s42, s42, exec_lo
	s_delay_alu instid0(SALU_CYCLE_1)
	s_or_b32 s61, s41, s42
.LBB134_1043:                           ;   in Loop: Header=BB134_3 Depth=1
	v_mov_b64_e32 v[44:45], v[26:27]
	s_and_saveexec_b32 s41, s61
	s_cbranch_execnz .LBB134_1064
	s_branch .LBB134_1065
.LBB134_1044:                           ;   in Loop: Header=BB134_3 Depth=1
	s_mov_b32 s42, exec_lo
	v_readlane_b32 s43, v99, 19
	s_and_b32 s43, s42, s43
	s_delay_alu instid0(SALU_CYCLE_1)
	s_mov_b32 exec_lo, s43
; %bb.1045:                             ;   in Loop: Header=BB134_3 Depth=1
	ds_store_b64 v83, v[32:33]
; %bb.1046:                             ;   in Loop: Header=BB134_3 Depth=1
	s_or_b32 exec_lo, exec_lo, s42
	s_and_not1_saveexec_b32 s41, s41
	s_cbranch_execz .LBB134_16
.LBB134_1047:                           ;   in Loop: Header=BB134_3 Depth=1
	v_lshl_add_u64 v[48:49], v[24:25], 3, v[2:3]
	flat_load_b64 v[48:49], v[48:49]
	s_wait_loadcnt_dscnt 0x0
	v_xor_b32_e32 v49, 0x80000000, v49
	ds_store_b64 v83, v[48:49]
	s_or_b32 exec_lo, exec_lo, s41
	s_and_saveexec_b32 s41, s7
	s_delay_alu instid0(SALU_CYCLE_1)
	s_xor_b32 s41, exec_lo, s41
	s_cbranch_execz .LBB134_17
.LBB134_1048:                           ;   in Loop: Header=BB134_3 Depth=1
	s_mov_b32 s42, exec_lo
	v_readlane_b32 s43, v99, 20
	s_and_b32 s43, s42, s43
	s_delay_alu instid0(SALU_CYCLE_1)
	s_mov_b32 exec_lo, s43
; %bb.1049:                             ;   in Loop: Header=BB134_3 Depth=1
	ds_store_b64 v85, v[32:33]
; %bb.1050:                             ;   in Loop: Header=BB134_3 Depth=1
	s_or_b32 exec_lo, exec_lo, s42
	s_and_not1_saveexec_b32 s41, s41
	s_cbranch_execz .LBB134_18
.LBB134_1051:                           ;   in Loop: Header=BB134_3 Depth=1
	v_lshl_add_u64 v[48:49], v[18:19], 3, v[2:3]
	flat_load_b64 v[48:49], v[48:49]
	s_wait_loadcnt_dscnt 0x0
	v_xor_b32_e32 v49, 0x80000000, v49
	ds_store_b64 v85, v[48:49]
	s_or_b32 exec_lo, exec_lo, s41
	s_and_saveexec_b32 s41, s8
	s_delay_alu instid0(SALU_CYCLE_1)
	s_xor_b32 s41, exec_lo, s41
	s_cbranch_execz .LBB134_19
.LBB134_1052:                           ;   in Loop: Header=BB134_3 Depth=1
	s_mov_b32 s42, exec_lo
	v_readlane_b32 s43, v99, 21
	s_and_b32 s43, s42, s43
	s_delay_alu instid0(SALU_CYCLE_1)
	s_mov_b32 exec_lo, s43
; %bb.1053:                             ;   in Loop: Header=BB134_3 Depth=1
	ds_store_b64 v86, v[32:33]
; %bb.1054:                             ;   in Loop: Header=BB134_3 Depth=1
	s_or_b32 exec_lo, exec_lo, s42
	s_and_not1_saveexec_b32 s41, s41
	s_cbranch_execz .LBB134_20
.LBB134_1055:                           ;   in Loop: Header=BB134_3 Depth=1
	v_lshl_add_u64 v[48:49], v[20:21], 3, v[2:3]
	flat_load_b64 v[48:49], v[48:49]
	s_wait_loadcnt_dscnt 0x0
	v_xor_b32_e32 v49, 0x80000000, v49
	ds_store_b64 v86, v[48:49]
	s_or_b32 exec_lo, exec_lo, s41
	s_and_saveexec_b32 s41, s9
	s_delay_alu instid0(SALU_CYCLE_1)
	s_xor_b32 s41, exec_lo, s41
	s_cbranch_execz .LBB134_21
.LBB134_1056:                           ;   in Loop: Header=BB134_3 Depth=1
	s_mov_b32 s42, exec_lo
	v_readlane_b32 s43, v99, 22
	s_and_b32 s43, s42, s43
	s_delay_alu instid0(SALU_CYCLE_1)
	s_mov_b32 exec_lo, s43
; %bb.1057:                             ;   in Loop: Header=BB134_3 Depth=1
	ds_store_b64 v87, v[32:33]
; %bb.1058:                             ;   in Loop: Header=BB134_3 Depth=1
	s_or_b32 exec_lo, exec_lo, s42
	s_and_not1_saveexec_b32 s41, s41
	s_cbranch_execnz .LBB134_22
	s_branch .LBB134_23
.LBB134_1059:                           ;   in Loop: Header=BB134_3 Depth=1
	ds_load_b64 v[44:45], v94
	ds_load_b64 v[48:49], v89
	s_wait_dscnt 0x0
	v_fma_f64 v[44:45], v[44:45], v[48:49], 0
	s_or_b32 exec_lo, exec_lo, s41
	s_and_saveexec_b32 s41, s7
	s_cbranch_execz .LBB134_1015
.LBB134_1060:                           ;   in Loop: Header=BB134_3 Depth=1
	ds_load_b64 v[48:49], v94 offset:8192
	ds_load_b64 v[50:51], v89 offset:128
	s_wait_dscnt 0x0
	v_fmac_f64_e32 v[44:45], v[48:49], v[50:51]
	s_or_b32 exec_lo, exec_lo, s41
	s_and_saveexec_b32 s41, s8
	s_cbranch_execz .LBB134_1016
.LBB134_1061:                           ;   in Loop: Header=BB134_3 Depth=1
	ds_load_b64 v[48:49], v94 offset:16384
	ds_load_b64 v[50:51], v89 offset:256
	s_wait_dscnt 0x0
	v_fmac_f64_e32 v[44:45], v[48:49], v[50:51]
	s_or_b32 exec_lo, exec_lo, s41
	s_and_saveexec_b32 s41, s9
	s_cbranch_execnz .LBB134_1017
	s_branch .LBB134_1018
.LBB134_1062:                           ;   in Loop: Header=BB134_3 Depth=1
	s_or_b32 exec_lo, exec_lo, s80
	s_delay_alu instid0(SALU_CYCLE_1)
	s_and_b32 vcc_lo, exec_lo, s41
	s_cbranch_vccnz .LBB134_1021
.LBB134_1063:                           ;   in Loop: Header=BB134_3 Depth=1
	s_delay_alu instid0(VALU_DEP_1)
	v_mov_b64_e32 v[46:47], v[48:49]
	v_mov_b64_e32 v[44:45], v[28:29]
	s_and_saveexec_b32 s41, s61
	s_cbranch_execz .LBB134_1065
.LBB134_1064:                           ;   in Loop: Header=BB134_3 Depth=1
	s_delay_alu instid0(VALU_DEP_1)
	v_lshl_add_u64 v[2:3], v[44:45], 3, v[2:3]
	flat_store_b64 v[2:3], v[46:47]
.LBB134_1065:                           ;   in Loop: Header=BB134_3 Depth=1
	s_wait_xcnt 0x0
	s_or_b32 exec_lo, exec_lo, s41
	global_wb scope:SCOPE_DEV
	s_wait_storecnt_dscnt 0x0
	global_inv scope:SCOPE_DEV
	s_wait_loadcnt 0x0
	s_barrier_signal -1
	s_barrier_wait -1
	s_and_saveexec_b32 s41, s55
	s_cbranch_execz .LBB134_2
; %bb.1066:                             ;   in Loop: Header=BB134_3 Depth=1
	s_lshl_b64 s[42:43], s[62:63], 2
	s_delay_alu instid0(SALU_CYCLE_1)
	s_add_nc_u64 s[42:43], s[76:77], s[42:43]
	global_load_b32 v0, v7, s[42:43]
	s_wait_loadcnt 0x0
	v_add_nc_u32_e32 v0, 1, v0
	global_store_b32 v7, v0, s[42:43]
	s_branch .LBB134_2
.LBB134_1067:                           ;   in Loop: Header=BB134_3 Depth=1
	ds_load_b64 v[48:49], v60 offset:31680
	ds_load_b64 v[50:51], v59 offset:32744
	s_wait_dscnt 0x0
	v_fmac_f64_e32 v[2:3], v[48:49], v[50:51]
	s_or_b32 exec_lo, exec_lo, s42
	s_and_saveexec_b32 s42, s13
	s_cbranch_execz .LBB134_72
.LBB134_1068:                           ;   in Loop: Header=BB134_3 Depth=1
	ds_load_b64 v[48:49], v60 offset:32192
	ds_load_b64 v[50:51], v59 offset:32752
	s_wait_dscnt 0x0
	v_fmac_f64_e32 v[2:3], v[48:49], v[50:51]
	s_or_b32 exec_lo, exec_lo, s42
	s_and_saveexec_b32 s42, s1
	s_cbranch_execnz .LBB134_73
	s_branch .LBB134_74
.LBB134_1069:                           ;   in Loop: Header=BB134_3 Depth=1
	ds_load_b64 v[48:49], v68 offset:29568
	ds_load_b64 v[50:51], v67 offset:32712
	s_wait_dscnt 0x0
	v_fmac_f64_e32 v[2:3], v[48:49], v[50:51]
	s_or_b32 exec_lo, exec_lo, s42
	s_and_saveexec_b32 s42, s15
	s_cbranch_execz .LBB134_114
.LBB134_1070:                           ;   in Loop: Header=BB134_3 Depth=1
	ds_load_b64 v[48:49], v68 offset:30080
	ds_load_b64 v[50:51], v67 offset:32720
	s_wait_dscnt 0x0
	v_fmac_f64_e32 v[2:3], v[48:49], v[50:51]
	s_or_b32 exec_lo, exec_lo, s42
	s_and_saveexec_b32 s42, s16
	s_cbranch_execz .LBB134_115
.LBB134_1071:                           ;   in Loop: Header=BB134_3 Depth=1
	ds_load_b64 v[48:49], v68 offset:30592
	ds_load_b64 v[50:51], v67 offset:32728
	s_wait_dscnt 0x0
	v_fmac_f64_e32 v[2:3], v[48:49], v[50:51]
	s_or_b32 exec_lo, exec_lo, s42
	s_and_saveexec_b32 s42, s17
	s_cbranch_execz .LBB134_116
.LBB134_1072:                           ;   in Loop: Header=BB134_3 Depth=1
	ds_load_b64 v[48:49], v68 offset:31104
	ds_load_b64 v[50:51], v67 offset:32736
	s_wait_dscnt 0x0
	v_fmac_f64_e32 v[2:3], v[48:49], v[50:51]
	s_or_b32 exec_lo, exec_lo, s42
	s_and_saveexec_b32 s42, s18
	s_cbranch_execz .LBB134_117
.LBB134_1073:                           ;   in Loop: Header=BB134_3 Depth=1
	ds_load_b64 v[48:49], v68 offset:31616
	ds_load_b64 v[50:51], v67 offset:32744
	s_wait_dscnt 0x0
	v_fmac_f64_e32 v[2:3], v[48:49], v[50:51]
	s_or_b32 exec_lo, exec_lo, s42
	s_and_saveexec_b32 s42, s3
	s_cbranch_execz .LBB134_118
.LBB134_1074:                           ;   in Loop: Header=BB134_3 Depth=1
	ds_load_b64 v[48:49], v68 offset:32128
	ds_load_b64 v[50:51], v67 offset:32752
	s_wait_dscnt 0x0
	v_fmac_f64_e32 v[2:3], v[48:49], v[50:51]
	s_or_b32 exec_lo, exec_lo, s42
	s_and_saveexec_b32 s42, s13
	s_cbranch_execnz .LBB134_119
	s_branch .LBB134_120
.LBB134_1075:                           ;   in Loop: Header=BB134_3 Depth=1
	ds_load_b64 v[48:49], v60 offset:27520
	ds_load_b64 v[50:51], v59 offset:28584
	s_wait_dscnt 0x0
	v_fmac_f64_e32 v[2:3], v[48:49], v[50:51]
	s_or_b32 exec_lo, exec_lo, s42
	s_and_saveexec_b32 s42, s13
	s_cbranch_execz .LBB134_176
.LBB134_1076:                           ;   in Loop: Header=BB134_3 Depth=1
	ds_load_b64 v[48:49], v60 offset:28032
	ds_load_b64 v[50:51], v59 offset:28592
	s_wait_dscnt 0x0
	v_fmac_f64_e32 v[2:3], v[48:49], v[50:51]
	s_or_b32 exec_lo, exec_lo, s42
	s_and_saveexec_b32 s42, s1
	s_cbranch_execnz .LBB134_177
	s_branch .LBB134_178
.LBB134_1077:                           ;   in Loop: Header=BB134_3 Depth=1
	ds_load_b64 v[48:49], v76 offset:30464
	ds_load_b64 v[50:51], v75 offset:32728
	s_wait_dscnt 0x0
	v_fmac_f64_e32 v[2:3], v[48:49], v[50:51]
	s_or_b32 exec_lo, exec_lo, s41
	s_and_saveexec_b32 s41, s4
	s_cbranch_execz .LBB134_238
.LBB134_1078:                           ;   in Loop: Header=BB134_3 Depth=1
	ds_load_b64 v[48:49], v76 offset:30976
	ds_load_b64 v[50:51], v75 offset:32736
	s_wait_dscnt 0x0
	v_fmac_f64_e32 v[2:3], v[48:49], v[50:51]
	s_or_b32 exec_lo, exec_lo, s41
	s_and_saveexec_b32 s41, s15
	s_cbranch_execz .LBB134_239
.LBB134_1079:                           ;   in Loop: Header=BB134_3 Depth=1
	ds_load_b64 v[48:49], v76 offset:31488
	ds_load_b64 v[50:51], v75 offset:32744
	s_wait_dscnt 0x0
	v_fmac_f64_e32 v[2:3], v[48:49], v[50:51]
	s_or_b32 exec_lo, exec_lo, s41
	s_and_saveexec_b32 s41, s17
	s_cbranch_execz .LBB134_240
.LBB134_1080:                           ;   in Loop: Header=BB134_3 Depth=1
	ds_load_b64 v[48:49], v76 offset:32000
	ds_load_b64 v[50:51], v75 offset:32752
	s_wait_dscnt 0x0
	v_fmac_f64_e32 v[2:3], v[48:49], v[50:51]
	s_or_b32 exec_lo, exec_lo, s41
	s_and_saveexec_b32 s41, s3
	s_cbranch_execnz .LBB134_241
	s_branch .LBB134_242
.LBB134_1081:                           ;   in Loop: Header=BB134_3 Depth=1
	ds_load_b64 v[48:49], v60 offset:23360
	ds_load_b64 v[50:51], v59 offset:24424
	s_wait_dscnt 0x0
	v_fmac_f64_e32 v[2:3], v[48:49], v[50:51]
	s_or_b32 exec_lo, exec_lo, s42
	s_and_saveexec_b32 s42, s13
	s_cbranch_execz .LBB134_330
.LBB134_1082:                           ;   in Loop: Header=BB134_3 Depth=1
	ds_load_b64 v[48:49], v60 offset:23872
	ds_load_b64 v[50:51], v59 offset:24432
	s_wait_dscnt 0x0
	v_fmac_f64_e32 v[2:3], v[48:49], v[50:51]
	s_or_b32 exec_lo, exec_lo, s42
	s_and_saveexec_b32 s42, s1
	s_cbranch_execnz .LBB134_331
	s_branch .LBB134_332
.LBB134_1083:                           ;   in Loop: Header=BB134_3 Depth=1
	ds_load_b64 v[48:49], v68 offset:21248
	ds_load_b64 v[50:51], v67 offset:24392
	s_wait_dscnt 0x0
	v_fmac_f64_e32 v[2:3], v[48:49], v[50:51]
	s_or_b32 exec_lo, exec_lo, s42
	s_and_saveexec_b32 s42, s15
	s_cbranch_execz .LBB134_372
.LBB134_1084:                           ;   in Loop: Header=BB134_3 Depth=1
	ds_load_b64 v[48:49], v68 offset:21760
	ds_load_b64 v[50:51], v67 offset:24400
	s_wait_dscnt 0x0
	v_fmac_f64_e32 v[2:3], v[48:49], v[50:51]
	s_or_b32 exec_lo, exec_lo, s42
	s_and_saveexec_b32 s42, s16
	s_cbranch_execz .LBB134_373
.LBB134_1085:                           ;   in Loop: Header=BB134_3 Depth=1
	ds_load_b64 v[48:49], v68 offset:22272
	ds_load_b64 v[50:51], v67 offset:24408
	s_wait_dscnt 0x0
	v_fmac_f64_e32 v[2:3], v[48:49], v[50:51]
	s_or_b32 exec_lo, exec_lo, s42
	s_and_saveexec_b32 s42, s17
	s_cbranch_execz .LBB134_374
.LBB134_1086:                           ;   in Loop: Header=BB134_3 Depth=1
	ds_load_b64 v[48:49], v68 offset:22784
	ds_load_b64 v[50:51], v67 offset:24416
	s_wait_dscnt 0x0
	v_fmac_f64_e32 v[2:3], v[48:49], v[50:51]
	s_or_b32 exec_lo, exec_lo, s42
	s_and_saveexec_b32 s42, s18
	s_cbranch_execz .LBB134_375
.LBB134_1087:                           ;   in Loop: Header=BB134_3 Depth=1
	ds_load_b64 v[48:49], v68 offset:23296
	ds_load_b64 v[50:51], v67 offset:24424
	s_wait_dscnt 0x0
	v_fmac_f64_e32 v[2:3], v[48:49], v[50:51]
	s_or_b32 exec_lo, exec_lo, s42
	s_and_saveexec_b32 s42, s3
	s_cbranch_execz .LBB134_376
.LBB134_1088:                           ;   in Loop: Header=BB134_3 Depth=1
	ds_load_b64 v[48:49], v68 offset:23808
	ds_load_b64 v[50:51], v67 offset:24432
	s_wait_dscnt 0x0
	v_fmac_f64_e32 v[2:3], v[48:49], v[50:51]
	s_or_b32 exec_lo, exec_lo, s42
	s_and_saveexec_b32 s42, s13
	s_cbranch_execnz .LBB134_377
	s_branch .LBB134_378
.LBB134_1089:                           ;   in Loop: Header=BB134_3 Depth=1
	ds_load_b64 v[48:49], v60 offset:19200
	ds_load_b64 v[50:51], v59 offset:20264
	s_wait_dscnt 0x0
	v_fmac_f64_e32 v[2:3], v[48:49], v[50:51]
	s_or_b32 exec_lo, exec_lo, s42
	s_and_saveexec_b32 s42, s13
	s_cbranch_execz .LBB134_434
.LBB134_1090:                           ;   in Loop: Header=BB134_3 Depth=1
	ds_load_b64 v[48:49], v60 offset:19712
	ds_load_b64 v[50:51], v59 offset:20272
	s_wait_dscnt 0x0
	v_fmac_f64_e32 v[2:3], v[48:49], v[50:51]
	s_or_b32 exec_lo, exec_lo, s42
	s_and_saveexec_b32 s42, s1
	s_cbranch_execnz .LBB134_435
	s_branch .LBB134_436
.LBB134_1091:                           ;   in Loop: Header=BB134_3 Depth=1
	ds_load_b64 v[48:49], v79 offset:31232
	ds_load_b64 v[50:51], v81 offset:32744
	s_wait_dscnt 0x0
	v_fmac_f64_e32 v[2:3], v[48:49], v[50:51]
	s_or_b32 exec_lo, exec_lo, s41
	s_and_saveexec_b32 s41, s4
	s_cbranch_execz .LBB134_532
.LBB134_1092:                           ;   in Loop: Header=BB134_3 Depth=1
	ds_load_b64 v[48:49], v79 offset:31744
	ds_load_b64 v[50:51], v81 offset:32752
	s_wait_dscnt 0x0
	v_fmac_f64_e32 v[2:3], v[48:49], v[50:51]
	s_or_b32 exec_lo, exec_lo, s41
	s_and_saveexec_b32 s41, s17
	s_delay_alu instid0(SALU_CYCLE_1)
	s_xor_b32 s41, exec_lo, s41
	s_cbranch_execnz .LBB134_533
	s_branch .LBB134_534
.LBB134_1093:                           ;   in Loop: Header=BB134_3 Depth=1
	ds_load_b64 v[48:49], v60 offset:15040
	ds_load_b64 v[50:51], v59 offset:16104
	s_wait_dscnt 0x0
	v_fmac_f64_e32 v[2:3], v[48:49], v[50:51]
	s_or_b32 exec_lo, exec_lo, s42
	s_and_saveexec_b32 s42, s13
	s_cbranch_execz .LBB134_578
.LBB134_1094:                           ;   in Loop: Header=BB134_3 Depth=1
	ds_load_b64 v[48:49], v60 offset:15552
	ds_load_b64 v[50:51], v59 offset:16112
	s_wait_dscnt 0x0
	v_fmac_f64_e32 v[2:3], v[48:49], v[50:51]
	s_or_b32 exec_lo, exec_lo, s42
	s_and_saveexec_b32 s42, s1
	s_cbranch_execnz .LBB134_579
	s_branch .LBB134_580
.LBB134_1095:                           ;   in Loop: Header=BB134_3 Depth=1
	ds_load_b64 v[48:49], v68 offset:12928
	ds_load_b64 v[50:51], v67 offset:16072
	s_wait_dscnt 0x0
	v_fmac_f64_e32 v[2:3], v[48:49], v[50:51]
	s_or_b32 exec_lo, exec_lo, s42
	s_and_saveexec_b32 s42, s15
	s_cbranch_execz .LBB134_620
.LBB134_1096:                           ;   in Loop: Header=BB134_3 Depth=1
	ds_load_b64 v[48:49], v68 offset:13440
	ds_load_b64 v[50:51], v67 offset:16080
	s_wait_dscnt 0x0
	v_fmac_f64_e32 v[2:3], v[48:49], v[50:51]
	s_or_b32 exec_lo, exec_lo, s42
	s_and_saveexec_b32 s42, s16
	s_cbranch_execz .LBB134_621
.LBB134_1097:                           ;   in Loop: Header=BB134_3 Depth=1
	ds_load_b64 v[48:49], v68 offset:13952
	ds_load_b64 v[50:51], v67 offset:16088
	s_wait_dscnt 0x0
	v_fmac_f64_e32 v[2:3], v[48:49], v[50:51]
	s_or_b32 exec_lo, exec_lo, s42
	s_and_saveexec_b32 s42, s17
	s_cbranch_execz .LBB134_622
.LBB134_1098:                           ;   in Loop: Header=BB134_3 Depth=1
	ds_load_b64 v[48:49], v68 offset:14464
	ds_load_b64 v[50:51], v67 offset:16096
	s_wait_dscnt 0x0
	v_fmac_f64_e32 v[2:3], v[48:49], v[50:51]
	s_or_b32 exec_lo, exec_lo, s42
	s_and_saveexec_b32 s42, s18
	s_cbranch_execz .LBB134_623
.LBB134_1099:                           ;   in Loop: Header=BB134_3 Depth=1
	ds_load_b64 v[48:49], v68 offset:14976
	ds_load_b64 v[50:51], v67 offset:16104
	s_wait_dscnt 0x0
	v_fmac_f64_e32 v[2:3], v[48:49], v[50:51]
	s_or_b32 exec_lo, exec_lo, s42
	s_and_saveexec_b32 s42, s3
	s_cbranch_execz .LBB134_624
.LBB134_1100:                           ;   in Loop: Header=BB134_3 Depth=1
	ds_load_b64 v[48:49], v68 offset:15488
	ds_load_b64 v[50:51], v67 offset:16112
	s_wait_dscnt 0x0
	v_fmac_f64_e32 v[2:3], v[48:49], v[50:51]
	s_or_b32 exec_lo, exec_lo, s42
	s_and_saveexec_b32 s42, s13
	s_cbranch_execnz .LBB134_625
	s_branch .LBB134_626
.LBB134_1101:                           ;   in Loop: Header=BB134_3 Depth=1
	ds_load_b64 v[48:49], v60 offset:10880
	ds_load_b64 v[50:51], v59 offset:11944
	s_wait_dscnt 0x0
	v_fmac_f64_e32 v[2:3], v[48:49], v[50:51]
	s_or_b32 exec_lo, exec_lo, s42
	s_and_saveexec_b32 s42, s13
	s_cbranch_execz .LBB134_682
.LBB134_1102:                           ;   in Loop: Header=BB134_3 Depth=1
	ds_load_b64 v[48:49], v60 offset:11392
	ds_load_b64 v[50:51], v59 offset:11952
	s_wait_dscnt 0x0
	v_fmac_f64_e32 v[2:3], v[48:49], v[50:51]
	s_or_b32 exec_lo, exec_lo, s42
	s_and_saveexec_b32 s42, s1
	s_cbranch_execnz .LBB134_683
	s_branch .LBB134_684
.LBB134_1103:                           ;   in Loop: Header=BB134_3 Depth=1
	ds_load_b64 v[48:49], v76 offset:13824
	ds_load_b64 v[50:51], v75 offset:16088
	s_wait_dscnt 0x0
	v_fmac_f64_e32 v[2:3], v[48:49], v[50:51]
	s_or_b32 exec_lo, exec_lo, s41
	s_and_saveexec_b32 s41, s4
	s_cbranch_execz .LBB134_744
.LBB134_1104:                           ;   in Loop: Header=BB134_3 Depth=1
	ds_load_b64 v[48:49], v76 offset:14336
	ds_load_b64 v[50:51], v75 offset:16096
	s_wait_dscnt 0x0
	v_fmac_f64_e32 v[2:3], v[48:49], v[50:51]
	s_or_b32 exec_lo, exec_lo, s41
	s_and_saveexec_b32 s41, s15
	s_cbranch_execz .LBB134_745
.LBB134_1105:                           ;   in Loop: Header=BB134_3 Depth=1
	ds_load_b64 v[48:49], v76 offset:14848
	ds_load_b64 v[50:51], v75 offset:16104
	s_wait_dscnt 0x0
	v_fmac_f64_e32 v[2:3], v[48:49], v[50:51]
	s_or_b32 exec_lo, exec_lo, s41
	s_and_saveexec_b32 s41, s17
	s_cbranch_execz .LBB134_746
.LBB134_1106:                           ;   in Loop: Header=BB134_3 Depth=1
	ds_load_b64 v[48:49], v76 offset:15360
	ds_load_b64 v[50:51], v75 offset:16112
	s_wait_dscnt 0x0
	v_fmac_f64_e32 v[2:3], v[48:49], v[50:51]
	s_or_b32 exec_lo, exec_lo, s41
	s_and_saveexec_b32 s41, s3
	s_cbranch_execnz .LBB134_747
	s_branch .LBB134_748
.LBB134_1107:                           ;   in Loop: Header=BB134_3 Depth=1
	ds_load_b64 v[48:49], v60 offset:6720
	ds_load_b64 v[50:51], v59 offset:7784
	s_wait_dscnt 0x0
	v_fmac_f64_e32 v[2:3], v[48:49], v[50:51]
	s_or_b32 exec_lo, exec_lo, s42
	s_and_saveexec_b32 s42, s13
	s_cbranch_execz .LBB134_836
.LBB134_1108:                           ;   in Loop: Header=BB134_3 Depth=1
	ds_load_b64 v[48:49], v60 offset:7232
	ds_load_b64 v[50:51], v59 offset:7792
	s_wait_dscnt 0x0
	v_fmac_f64_e32 v[2:3], v[48:49], v[50:51]
	s_or_b32 exec_lo, exec_lo, s42
	s_and_saveexec_b32 s42, s1
	s_cbranch_execnz .LBB134_837
	s_branch .LBB134_838
.LBB134_1109:                           ;   in Loop: Header=BB134_3 Depth=1
	ds_load_b64 v[48:49], v68 offset:4608
	ds_load_b64 v[50:51], v67 offset:7752
	s_wait_dscnt 0x0
	v_fmac_f64_e32 v[2:3], v[48:49], v[50:51]
	s_or_b32 exec_lo, exec_lo, s42
	s_and_saveexec_b32 s42, s15
	s_cbranch_execz .LBB134_878
.LBB134_1110:                           ;   in Loop: Header=BB134_3 Depth=1
	ds_load_b64 v[48:49], v68 offset:5120
	ds_load_b64 v[50:51], v67 offset:7760
	s_wait_dscnt 0x0
	v_fmac_f64_e32 v[2:3], v[48:49], v[50:51]
	s_or_b32 exec_lo, exec_lo, s42
	s_and_saveexec_b32 s42, s16
	s_cbranch_execz .LBB134_879
.LBB134_1111:                           ;   in Loop: Header=BB134_3 Depth=1
	ds_load_b64 v[48:49], v68 offset:5632
	ds_load_b64 v[50:51], v67 offset:7768
	s_wait_dscnt 0x0
	v_fmac_f64_e32 v[2:3], v[48:49], v[50:51]
	s_or_b32 exec_lo, exec_lo, s42
	s_and_saveexec_b32 s42, s17
	s_cbranch_execz .LBB134_880
.LBB134_1112:                           ;   in Loop: Header=BB134_3 Depth=1
	ds_load_b64 v[48:49], v68 offset:6144
	ds_load_b64 v[50:51], v67 offset:7776
	s_wait_dscnt 0x0
	v_fmac_f64_e32 v[2:3], v[48:49], v[50:51]
	s_or_b32 exec_lo, exec_lo, s42
	s_and_saveexec_b32 s42, s18
	s_cbranch_execz .LBB134_881
.LBB134_1113:                           ;   in Loop: Header=BB134_3 Depth=1
	ds_load_b64 v[48:49], v68 offset:6656
	ds_load_b64 v[50:51], v67 offset:7784
	s_wait_dscnt 0x0
	v_fmac_f64_e32 v[2:3], v[48:49], v[50:51]
	s_or_b32 exec_lo, exec_lo, s42
	s_and_saveexec_b32 s42, s3
	s_cbranch_execz .LBB134_882
.LBB134_1114:                           ;   in Loop: Header=BB134_3 Depth=1
	ds_load_b64 v[48:49], v68 offset:7168
	ds_load_b64 v[50:51], v67 offset:7792
	s_wait_dscnt 0x0
	v_fmac_f64_e32 v[2:3], v[48:49], v[50:51]
	s_or_b32 exec_lo, exec_lo, s42
	s_and_saveexec_b32 s42, s13
	s_cbranch_execnz .LBB134_883
	s_branch .LBB134_884
.LBB134_1115:                           ;   in Loop: Header=BB134_3 Depth=1
	ds_load_b64 v[48:49], v60 offset:2560
	ds_load_b64 v[50:51], v59 offset:3624
	s_wait_dscnt 0x0
	v_fmac_f64_e32 v[2:3], v[48:49], v[50:51]
	s_or_b32 exec_lo, exec_lo, s42
	s_and_saveexec_b32 s42, s13
	s_cbranch_execz .LBB134_940
.LBB134_1116:                           ;   in Loop: Header=BB134_3 Depth=1
	ds_load_b64 v[48:49], v60 offset:3072
	ds_load_b64 v[50:51], v59 offset:3632
	s_wait_dscnt 0x0
	v_fmac_f64_e32 v[2:3], v[48:49], v[50:51]
	s_or_b32 exec_lo, exec_lo, s42
	s_and_saveexec_b32 s42, s1
	s_cbranch_execnz .LBB134_941
	s_branch .LBB134_942
.LBB134_1117:
	s_endpgm
	.section	.rodata,"a",@progbits
	.p2align	6, 0x0
	.amdhsa_kernel _ZL19rocblas_trsv_deviceILi64ELi16ELb0ELb1ELb0ELb1EddPKPKdPKPdEviT7_lllT6_T8_lllPii
		.amdhsa_group_segment_fixed_size 41480
		.amdhsa_private_segment_fixed_size 0
		.amdhsa_kernarg_size 352
		.amdhsa_user_sgpr_count 2
		.amdhsa_user_sgpr_dispatch_ptr 0
		.amdhsa_user_sgpr_queue_ptr 0
		.amdhsa_user_sgpr_kernarg_segment_ptr 1
		.amdhsa_user_sgpr_dispatch_id 0
		.amdhsa_user_sgpr_kernarg_preload_length 0
		.amdhsa_user_sgpr_kernarg_preload_offset 0
		.amdhsa_user_sgpr_private_segment_size 0
		.amdhsa_wavefront_size32 1
		.amdhsa_uses_dynamic_stack 0
		.amdhsa_enable_private_segment 0
		.amdhsa_system_sgpr_workgroup_id_x 1
		.amdhsa_system_sgpr_workgroup_id_y 0
		.amdhsa_system_sgpr_workgroup_id_z 1
		.amdhsa_system_sgpr_workgroup_info 0
		.amdhsa_system_vgpr_workitem_id 1
		.amdhsa_next_free_vgpr 105
		.amdhsa_next_free_sgpr 105
		.amdhsa_named_barrier_count 0
		.amdhsa_reserve_vcc 1
		.amdhsa_float_round_mode_32 0
		.amdhsa_float_round_mode_16_64 0
		.amdhsa_float_denorm_mode_32 3
		.amdhsa_float_denorm_mode_16_64 3
		.amdhsa_fp16_overflow 0
		.amdhsa_memory_ordered 1
		.amdhsa_forward_progress 1
		.amdhsa_inst_pref_size 255
		.amdhsa_round_robin_scheduling 0
		.amdhsa_exception_fp_ieee_invalid_op 0
		.amdhsa_exception_fp_denorm_src 0
		.amdhsa_exception_fp_ieee_div_zero 0
		.amdhsa_exception_fp_ieee_overflow 0
		.amdhsa_exception_fp_ieee_underflow 0
		.amdhsa_exception_fp_ieee_inexact 0
		.amdhsa_exception_int_div_zero 0
	.end_amdhsa_kernel
	.section	.text._ZL19rocblas_trsv_deviceILi64ELi16ELb0ELb1ELb0ELb1EddPKPKdPKPdEviT7_lllT6_T8_lllPii,"axG",@progbits,_ZL19rocblas_trsv_deviceILi64ELi16ELb0ELb1ELb0ELb1EddPKPKdPKPdEviT7_lllT6_T8_lllPii,comdat
.Lfunc_end134:
	.size	_ZL19rocblas_trsv_deviceILi64ELi16ELb0ELb1ELb0ELb1EddPKPKdPKPdEviT7_lllT6_T8_lllPii, .Lfunc_end134-_ZL19rocblas_trsv_deviceILi64ELi16ELb0ELb1ELb0ELb1EddPKPKdPKPdEviT7_lllT6_T8_lllPii
                                        ; -- End function
	.set _ZL19rocblas_trsv_deviceILi64ELi16ELb0ELb1ELb0ELb1EddPKPKdPKPdEviT7_lllT6_T8_lllPii.num_vgpr, 105
	.set _ZL19rocblas_trsv_deviceILi64ELi16ELb0ELb1ELb0ELb1EddPKPKdPKPdEviT7_lllT6_T8_lllPii.num_agpr, 0
	.set _ZL19rocblas_trsv_deviceILi64ELi16ELb0ELb1ELb0ELb1EddPKPKdPKPdEviT7_lllT6_T8_lllPii.numbered_sgpr, 105
	.set _ZL19rocblas_trsv_deviceILi64ELi16ELb0ELb1ELb0ELb1EddPKPKdPKPdEviT7_lllT6_T8_lllPii.num_named_barrier, 0
	.set _ZL19rocblas_trsv_deviceILi64ELi16ELb0ELb1ELb0ELb1EddPKPKdPKPdEviT7_lllT6_T8_lllPii.private_seg_size, 0
	.set _ZL19rocblas_trsv_deviceILi64ELi16ELb0ELb1ELb0ELb1EddPKPKdPKPdEviT7_lllT6_T8_lllPii.uses_vcc, 1
	.set _ZL19rocblas_trsv_deviceILi64ELi16ELb0ELb1ELb0ELb1EddPKPKdPKPdEviT7_lllT6_T8_lllPii.uses_flat_scratch, 0
	.set _ZL19rocblas_trsv_deviceILi64ELi16ELb0ELb1ELb0ELb1EddPKPKdPKPdEviT7_lllT6_T8_lllPii.has_dyn_sized_stack, 0
	.set _ZL19rocblas_trsv_deviceILi64ELi16ELb0ELb1ELb0ELb1EddPKPKdPKPdEviT7_lllT6_T8_lllPii.has_recursion, 0
	.set _ZL19rocblas_trsv_deviceILi64ELi16ELb0ELb1ELb0ELb1EddPKPKdPKPdEviT7_lllT6_T8_lllPii.has_indirect_call, 0
	.section	.AMDGPU.csdata,"",@progbits
; Kernel info:
; codeLenInByte = 33420
; TotalNumSgprs: 107
; NumVgprs: 105
; ScratchSize: 0
; MemoryBound: 0
; FloatMode: 240
; IeeeMode: 1
; LDSByteSize: 41480 bytes/workgroup (compile time only)
; SGPRBlocks: 0
; VGPRBlocks: 6
; NumSGPRsForWavesPerEU: 107
; NumVGPRsForWavesPerEU: 105
; NamedBarCnt: 0
; Occupancy: 9
; WaveLimiterHint : 1
; COMPUTE_PGM_RSRC2:SCRATCH_EN: 0
; COMPUTE_PGM_RSRC2:USER_SGPR: 2
; COMPUTE_PGM_RSRC2:TRAP_HANDLER: 0
; COMPUTE_PGM_RSRC2:TGID_X_EN: 1
; COMPUTE_PGM_RSRC2:TGID_Y_EN: 0
; COMPUTE_PGM_RSRC2:TGID_Z_EN: 1
; COMPUTE_PGM_RSRC2:TIDIG_COMP_CNT: 1
	.section	.text._ZL19rocblas_trsv_deviceILi64ELi16ELb0ELb1ELb1ELb1EddPKPKdPKPdEviT7_lllT6_T8_lllPii,"axG",@progbits,_ZL19rocblas_trsv_deviceILi64ELi16ELb0ELb1ELb1ELb1EddPKPKdPKPdEviT7_lllT6_T8_lllPii,comdat
	.globl	_ZL19rocblas_trsv_deviceILi64ELi16ELb0ELb1ELb1ELb1EddPKPKdPKPdEviT7_lllT6_T8_lllPii ; -- Begin function _ZL19rocblas_trsv_deviceILi64ELi16ELb0ELb1ELb1ELb1EddPKPKdPKPdEviT7_lllT6_T8_lllPii
	.p2align	8
	.type	_ZL19rocblas_trsv_deviceILi64ELi16ELb0ELb1ELb1ELb1EddPKPKdPKPdEviT7_lllT6_T8_lllPii,@function
_ZL19rocblas_trsv_deviceILi64ELi16ELb0ELb1ELb1ELb1EddPKPKdPKPdEviT7_lllT6_T8_lllPii: ; @_ZL19rocblas_trsv_deviceILi64ELi16ELb0ELb1ELb1ELb1EddPKPKdPKPdEviT7_lllT6_T8_lllPii
; %bb.0:
	s_load_b32 s6, s[0:1], 0x58
	s_bfe_u32 s2, ttmp6, 0x40014
	s_lshr_b32 s3, ttmp7, 16
	s_add_co_i32 s2, s2, 1
	s_bfe_u32 s5, ttmp6, 0x40008
	s_mul_i32 s4, s3, s2
	s_getreg_b32 s2, hwreg(HW_REG_IB_STS2, 6, 4)
	s_add_co_i32 s5, s5, s4
	s_cmp_eq_u32 s2, 0
	s_mov_b32 s63, 0
	s_cselect_b32 s62, s3, s5
                                        ; implicit-def: $vgpr104 : SGPR spill to VGPR lane
	s_wait_kmcnt 0x0
	s_cmp_ge_u32 s62, s6
	v_writelane_b32 v104, s6, 0
	s_cbranch_scc1 .LBB135_1117
; %bb.1:
	s_clause 0x3
	s_load_b32 s3, s[0:1], 0x6c
	s_load_b32 s83, s[0:1], 0x0
	s_load_b64 s[12:13], s[0:1], 0x18
	s_load_b256 s[64:71], s[0:1], 0x28
	s_bfe_u32 s5, ttmp6, 0x4000c
	s_and_b32 s4, ttmp6, 15
	s_add_co_i32 s5, s5, 1
	s_clause 0x1
	s_load_b64 s[76:77], s[0:1], 0x50
	s_load_b128 s[72:75], s[0:1], 0x8
	s_mul_i32 s5, ttmp9, s5
	v_and_b32_e32 v8, 0x3ff, v0
	s_add_co_i32 s4, s4, s5
	s_cmp_eq_u32 s2, 0
	v_bfe_u32 v4, v0, 10, 10
	s_cselect_b32 s84, ttmp9, s4
	v_dual_mov_b32 v7, 0 :: v_dual_lshlrev_b32 v1, 6, v8
	v_cmp_gt_u32_e64 s5, 2, v8
	s_delay_alu instid0(VALU_DEP_3)
	v_add_nc_u32_e32 v2, 16, v4
	v_lshl_add_u32 v31, v4, 6, v8
	s_wait_kmcnt 0x0
	s_and_b32 s0, s3, 0xffff
	s_add_co_i32 s1, s83, -1
	s_ashr_i32 s2, s83, 31
	s_ashr_i32 s3, s1, 31
	s_lshr_b32 s2, s2, 26
	s_lshr_b32 s3, s3, 26
	s_add_co_i32 s2, s83, s2
	s_add_co_i32 s1, s1, s3
	s_and_not1_b32 s2, s2, 63
	s_ashr_i32 s1, s1, 6
	s_sub_co_i32 s18, s83, s2
	s_cmp_eq_u32 s1, s84
	v_sub_co_u32 v9, s3, s84, 1
	s_cselect_b32 s1, -1, 0
	s_cmp_lg_u32 s18, 0
	v_mov_b32_e32 v11, v7
	s_cselect_b32 s2, -1, 0
	s_lshl_b32 s14, s84, 6
	s_and_b32 s11, s2, s1
	v_dual_add_nc_u32 v3, s14, v4 :: v_dual_add_nc_u32 v5, v4, v1
	v_dual_add_nc_u32 v16, s14, v8 :: v_dual_add_nc_u32 v6, v2, v1
	v_mad_u32_u24 v10, v4, s0, v8
	s_xor_b32 s0, s3, -1
	s_xor_b32 s86, s11, -1
	s_cmp_lt_i32 s84, 5
	v_subrev_nc_u32_e32 v12, 64, v3
	s_cselect_b32 vcc_lo, -1, 0
	v_dual_cndmask_b32 v28, v31, v5 :: v_dual_ashrrev_i32 v17, 31, v16
	v_lshl_add_u32 v18, v2, 6, v8
	v_lshrrev_b32_e32 v5, 1, v31
	s_or_b32 vcc_lo, vcc_lo, s11
	v_ashrrev_i32_e32 v13, 31, v12
	s_delay_alu instid0(VALU_DEP_3) | instskip(NEXT) | instid1(VALU_DEP_3)
	v_dual_cndmask_b32 v29, v18, v6, vcc_lo :: v_dual_bitop2_b32 v19, 1, v0 bitop3:0x40
	v_dual_lshrrev_b32 v6, 10, v0 :: v_dual_lshlrev_b32 v18, 9, v5
	s_add_nc_u64 s[2:3], s[12:13], 1
	s_delay_alu instid0(VALU_DEP_2) | instskip(SKIP_1) | instid1(VALU_DEP_2)
	v_lshlrev_b32_e32 v54, 3, v19
	s_ashr_i32 s15, s14, 31
	v_bitop3_b32 v44, v0, v6, 0x3ff bitop3:0xa8
	v_sub_nc_u32_e32 v53, 0, v18
	s_mul_u64 s[16:17], s[2:3], s[14:15]
	v_lshl_add_u32 v52, v5, 3, 0x8000
	v_cmp_gt_u32_e64 s1, 4, v31
	v_cmp_eq_u32_e64 s3, 1, v19
	v_dual_lshlrev_b32 v55, 3, v8 :: v_dual_lshrrev_b32 v5, 2, v31
	v_cmp_eq_u32_e64 s4, 0, v19
	v_dual_sub_nc_u32 v56, v54, v18 :: v_dual_bitop2_b32 v6, 3, v0 bitop3:0x40
	v_cmp_eq_u32_e64 s2, 0, v4
	s_and_b32 s88, s3, s1
	s_and_b32 s89, s4, s1
	v_dual_lshlrev_b32 v18, 9, v5 :: v_dual_lshlrev_b32 v60, 3, v6
	v_cmp_gt_u32_e64 s3, 16, v31
	v_cmp_eq_u32_e64 s4, 3, v6
	s_and_b32 s90, s2, s5
	v_lshl_add_u32 v58, v5, 3, 0x8000
	v_dual_sub_nc_u32 v59, 0, v18 :: v_dual_lshlrev_b32 v5, 6, v31
	v_cmp_ne_u32_e64 s5, 3, v6
	s_and_b32 s91, s4, s3
	v_cmp_eq_u32_e64 s4, 2, v6
	v_cmp_gt_u32_e64 s6, 2, v6
	v_sub_nc_u32_e32 v63, v60, v18
	s_and_b32 s92, s5, s3
	v_cmp_eq_u32_e64 s5, 0, v6
	s_and_b32 s93, s4, s3
	v_cmp_gt_u32_e64 s4, 4, v8
	v_and_b32_e32 v5, 0xfffffe00, v5
	v_and_b32_e32 v18, 7, v0
	s_and_b32 s94, s6, s3
	s_and_b32 s96, s5, s3
	s_and_b32 s97, s2, s4
	v_cmp_gt_u32_e64 s4, 64, v31
	v_sub_nc_u32_e32 v67, 0, v5
	v_cmp_eq_u32_e64 s5, 7, v18
	v_cmp_ne_u32_e64 s6, 7, v18
	v_cmp_eq_u32_e64 s8, 1, v6
	v_dual_lshlrev_b32 v68, 3, v18 :: v_dual_bitop2_b32 v6, -8, v31 bitop3:0x40
	s_and_b32 s98, s5, s4
	s_and_b32 s99, s6, s4
	v_cmp_gt_u32_e64 s5, 6, v18
	v_cmp_eq_u32_e64 s6, 5, v18
	s_and_b32 s95, s8, s3
	v_cmp_eq_u32_e64 s8, 6, v18
	v_add_nc_u32_e32 v66, 0x8000, v6
	s_and_b32 s101, s5, s4
	s_and_b32 s102, s6, s4
	v_cmp_gt_u32_e64 s5, 4, v18
	v_cmp_eq_u32_e64 s6, 3, v18
	s_and_b32 s100, s8, s4
	v_cmp_gt_u32_e64 s8, 5, v18
	v_cmp_eq_u32_e64 s9, 4, v18
	s_and_b32 vcc_hi, s5, s4
	v_cmp_eq_u32_e64 s5, 2, v18
	s_and_b32 s31, s6, s4
	v_cmp_eq_u32_e64 s6, 1, v18
	v_lshrrev_b32_e32 v6, 4, v31
	s_and_b32 s103, s8, s4
	s_and_b32 s104, s9, s4
	v_cmp_gt_u32_e64 s8, 3, v18
	v_cmp_gt_u32_e64 s9, 2, v18
	s_and_b32 s34, s5, s4
	v_cmp_eq_u32_e64 s5, 0, v18
	s_and_b32 s36, s6, s4
	v_cmp_gt_u32_e64 s6, 8, v8
	v_dual_sub_nc_u32 v72, v68, v5 :: v_dual_lshlrev_b32 v5, 9, v6
	v_and_b32_e32 v18, 15, v0
	s_and_b32 s37, s5, s4
	s_and_b32 s38, s2, s6
	v_cmp_gt_u32_e64 s5, 0x100, v31
	v_sub_nc_u32_e32 v75, 0, v5
	v_cmp_eq_u32_e64 s6, 15, v18
	v_writelane_b32 v104, s0, 1
	s_and_b32 s33, s8, s4
	v_cmp_ne_u32_e64 s8, 15, v18
	s_and_b32 s35, s9, s4
	s_and_b32 s6, s6, s5
	v_cmp_eq_u32_e64 s9, 14, v18
	v_writelane_b32 v104, s6, 2
	s_and_b32 s6, s8, s5
	v_cmp_gt_u32_e64 s10, 14, v18
	v_lshl_add_u32 v74, v6, 3, 0x8000
	s_and_b32 s8, s9, s5
	v_writelane_b32 v104, s6, 3
	v_cmp_eq_u32_e64 s6, 13, v18
	v_cmp_eq_u32_e64 s9, 12, v18
	v_dual_lshlrev_b32 v76, 3, v18 :: v_dual_lshrrev_b32 v6, 5, v31
	v_writelane_b32 v104, s8, 4
	s_and_b32 s8, s10, s5
	s_and_b32 s6, s6, s5
	v_cmp_eq_u32_e64 s10, 11, v18
	s_and_b32 s45, s9, s5
	v_writelane_b32 v104, s8, 5
	v_cmp_gt_u32_e64 s8, 13, v18
	v_cmp_gt_u32_e64 s9, 10, v18
	s_and_b32 s47, s10, s5
	v_cmp_gt_u32_e64 s10, 9, v18
	v_writelane_b32 v104, s6, 6
	v_cmp_gt_u32_e64 s6, 12, v18
	s_and_b32 s44, s8, s5
	v_cmp_gt_u32_e64 s8, 11, v18
	s_and_b32 s50, s9, s5
	s_and_b32 s52, s10, s5
	;; [unrolled: 1-line block ×3, first 2 shown]
	v_cmp_eq_u32_e64 s6, 10, v18
	s_and_b32 s48, s8, s5
	v_cmp_eq_u32_e64 s8, 9, v18
	v_cmp_eq_u32_e64 s9, 7, v18
	v_cmp_eq_u32_e64 s10, 6, v18
	s_and_b32 s49, s6, s5
	v_cmp_eq_u32_e64 s6, 8, v18
	s_and_b32 s51, s8, s5
	v_cmp_gt_u32_e64 s8, 8, v18
	v_dual_sub_nc_u32 v78, v76, v5 :: v_dual_bitop2_b32 v77, 31, v0 bitop3:0x40
	s_and_b32 s53, s6, s5
	v_cmp_gt_u32_e64 s6, 7, v18
	s_and_b32 s54, s8, s5
	v_cmp_gt_u32_e64 s8, 6, v18
	s_and_b32 s19, s9, s5
	s_and_b32 s23, s10, s5
	;; [unrolled: 1-line block ×3, first 2 shown]
	v_cmp_eq_u32_e64 s6, 5, v18
	s_and_b32 s25, s8, s5
	v_cmp_eq_u32_e64 s8, 4, v18
	v_cmp_gt_u32_e64 s9, 5, v18
	v_cmp_gt_u32_e64 s10, 4, v18
	s_and_b32 s27, s6, s5
	v_cmp_eq_u32_e64 s6, 3, v18
	s_and_b32 s57, s8, s5
	v_cmp_gt_u32_e64 s8, 3, v18
	v_dual_lshlrev_b32 v0, 9, v6 :: v_dual_lshlrev_b32 v79, 3, v77
	s_and_b32 s59, s6, s5
	v_cmp_gt_u32_e64 s6, 2, v18
	s_and_b32 s60, s8, s5
	v_cmp_eq_u32_e64 s8, 0, v18
	s_and_b32 s29, s9, s5
	s_and_b32 s58, s10, s5
	s_and_b32 s22, s6, s5
	v_cmp_gt_u32_e64 s6, 16, v8
	s_and_b32 s26, s8, s5
	v_cmp_le_i32_e64 s8, s18, v8
	v_cmp_eq_u32_e64 s9, 2, v18
	v_cmp_eq_u32_e64 s10, 1, v18
	s_and_b32 s28, s2, s6
	v_lshl_add_u32 v80, v6, 3, 0x8000
	v_dual_sub_nc_u32 v81, 0, v0 :: v_dual_sub_nc_u32 v82, v79, v0
	v_cmp_gt_u32_e64 s6, 32, v8
	v_subrev_nc_u32_e32 v5, 48, v3
	v_subrev_nc_u32_e32 v6, 32, v3
	v_dual_add_nc_u32 v3, -16, v3 :: v_dual_add_nc_u32 v0, 32, v4
	v_add_nc_u32_e32 v34, 48, v4
	s_and_b32 s85, s8, s11
	v_cmp_gt_i32_e64 s7, s18, v8
	s_and_b32 s20, s9, s5
	s_and_b32 s24, s10, s5
	s_xor_b32 s30, s85, -1
	v_cmp_gt_i32_e64 s9, s83, v5
	v_cmp_gt_i32_e64 s10, s83, v6
	;; [unrolled: 1-line block ×3, first 2 shown]
	v_add_nc_u32_e32 v3, v0, v1
	v_lshl_add_u32 v5, v0, 6, v8
	v_add_nc_u32_e32 v1, v34, v1
	v_lshl_add_u32 v6, v34, 6, v8
	s_and_b32 s6, s2, s6
	s_xor_b32 s87, vcc_lo, -1
	v_writelane_b32 v104, s6, 7
	s_and_b32 s82, s2, s30
	s_cmp_gt_i32 s84, 0
	v_cmp_gt_i32_e64 s0, s83, v16
	v_dual_cndmask_b32 v30, v5, v3, vcc_lo :: v_dual_cndmask_b32 v32, v6, v1, vcc_lo
	v_add_nc_u32_e32 v6, s14, v10
	s_cselect_b32 s39, -1, 0
	v_cmp_gt_i32_e32 vcc_lo, s83, v12
	s_and_b32 s7, s2, s7
	v_mov_b32_e32 v3, v7
	v_writelane_b32 v104, s7, 8
	v_dual_mov_b32 v1, v7 :: v_dual_mov_b32 v35, v7
	s_and_b32 s7, vcc_lo, s0
	v_dual_mov_b32 v5, v7 :: v_dual_lshlrev_b32 v83, 3, v28
	v_writelane_b32 v104, s7, 9
	s_and_b32 s7, s9, s0
	v_cmp_le_i32_e64 s6, s18, v4
	v_mul_u64_e32 v[14:15], s[12:13], v[16:17]
	v_add_nc_u64_e32 v[26:27], s[14:15], v[10:11]
	v_writelane_b32 v104, s7, 10
	s_and_b32 s7, s10, s0
	v_mul_u64_e32 v[18:19], s[12:13], v[2:3]
	v_mul_u64_e32 v[20:21], s[12:13], v[0:1]
	;; [unrolled: 1-line block ×3, first 2 shown]
	v_writelane_b32 v104, s7, 11
	v_mul_u64_e32 v[24:25], s[12:13], v[4:5]
	v_cmp_le_i32_e64 s12, s18, v2
	v_cmp_le_i32_e64 s13, s18, v0
	;; [unrolled: 1-line block ×3, first 2 shown]
	s_or_b32 s15, s6, s8
	v_cmp_ge_u32_e64 s6, v8, v4
	s_and_b32 s7, s11, s0
	s_or_b32 s12, s12, s8
	v_writelane_b32 v104, s7, 12
	s_or_b32 s13, s13, s8
	s_or_b32 s14, s14, s8
	v_cmp_ge_u32_e64 s7, v8, v2
	s_or_b32 s8, s15, s6
	v_cmp_gt_u32_e64 s30, 0xf0, v31
	v_writelane_b32 v104, s8, 13
	v_cmp_gt_u32_e64 s41, 0x3e0, v31
	s_or_b32 s8, s12, s7
                                        ; implicit-def: $vgpr99 : SGPR spill to VGPR lane
	v_mad_u32_u24 v57, 0x1f8, v8, v55
	v_mul_u64_e32 v[16:17], s[70:71], v[16:17]
	v_writelane_b32 v104, s8, 14
	v_cmp_ge_u32_e64 s8, v8, v0
	v_mul_u64_e32 v[26:27], s[70:71], v[26:27]
	v_mad_i32_i24 v61, 0xfffffe08, v8, v57
	v_dual_lshlrev_b32 v85, 3, v29 :: v_dual_lshlrev_b32 v86, 3, v30
	s_or_b32 s9, s13, s8
	v_mul_u64_e32 v[28:29], s[70:71], v[6:7]
	v_writelane_b32 v104, s9, 15
	v_cmp_ge_u32_e64 s9, v8, v34
	v_mad_u32_u24 v62, 0x1f8, v8, v61
	v_lshlrev_b32_e32 v1, 3, v4
	v_dual_lshlrev_b32 v30, 3, v8 :: v_dual_bitop2_b32 v2, v2, v8 bitop3:0x54
	s_or_b32 s10, s14, s9
	s_delay_alu instid0(VALU_DEP_3)
	v_mad_i32_i24 v64, 0xfffffe08, v8, v62
	v_writelane_b32 v104, s10, 16
	v_or_b32_e32 v89, 0xa000, v1
	v_or_b32_e32 v3, v0, v8
	;; [unrolled: 1-line block ×3, first 2 shown]
	v_mad_u32_u24 v65, 0x1f8, v8, v64
	v_writelane_b32 v104, s30, 17
	v_cmp_gt_u32_e64 s30, 0xe0, v31
	v_add_nc_u32_e32 v95, v89, v55
	v_mov_b64_e32 v[34:35], 1.0
	v_mad_i32_i24 v69, 0xfffffe08, v8, v65
	v_cmp_lt_u32_e32 vcc_lo, 0x3ff, v31
	v_writelane_b32 v104, s30, 18
	v_cmp_gt_u32_e64 s30, 0xd0, v31
	v_lshl_add_u32 v91, v10, 3, 0xa000
	v_mad_u32_u24 v70, 0x1f8, v8, v69
	v_lshl_add_u32 v92, v31, 3, 0x8000
	v_add_nc_u32_e32 v93, 0x8000, v55
	v_writelane_b32 v104, s30, 19
	v_cmp_gt_u32_e64 s30, 0xc0, v31
	v_mad_i32_i24 v71, 0xfffffe08, v8, v70
	v_or_b32_e32 v96, 0x3800, v79
	s_lshl_b64 s[78:79], s[16:17], 3
	v_subrev_nc_u32_e32 v98, 31, v77
	v_writelane_b32 v104, s30, 20
	v_cmp_gt_u32_e64 s30, 0xb0, v31
	v_mad_u32_u24 v73, 0x1f8, v8, v71
	v_cmp_eq_u32_e64 s10, 0, v44
	v_cmp_gt_u32_e64 s11, 2, v31
	v_cmp_gt_u32_e64 s12, 12, v31
	v_writelane_b32 v104, s30, 21
	v_cmp_gt_u32_e64 s30, 0xa0, v31
	v_mad_i32_i24 v5, 0xfffffe08, v8, v73
	v_cmp_gt_u32_e64 s13, 8, v31
	v_cmp_gt_u32_e64 s14, 56, v31
	;; [unrolled: 1-line block ×3, first 2 shown]
	v_writelane_b32 v104, s30, 22
	v_cmp_gt_u32_e64 s30, 0x90, v31
	v_mad_u32_u24 v11, 0x1f8, v8, v5
	v_lshl_add_u32 v94, v4, 9, v5
	v_cmp_gt_u32_e64 s16, 40, v31
	v_cmp_gt_u32_e64 s17, 32, v31
	v_writelane_b32 v104, s30, 23
	v_cmp_gt_u32_e64 s30, 0x80, v31
	v_mad_i32_i24 v84, 0xfffffe08, v8, v11
	v_cmp_gt_u32_e64 s18, 24, v31
	v_cmp_eq_u32_e64 s55, 0, v10
	v_cmp_gt_u32_e64 s56, 64, v10
	v_writelane_b32 v104, s30, 24
	v_cmp_gt_u32_e64 s30, 0x70, v31
	v_mad_u32_u24 v88, 0x1f8, v8, v84
	v_lshlrev_b32_e32 v87, 3, v32
	v_mov_b64_e32 v[32:33], 0
	s_xor_b32 s40, vcc_lo, -1
	v_writelane_b32 v104, s30, 25
	v_cmp_gt_u32_e64 s30, 0x60, v31
	v_add_nc_u32_e32 v90, v88, v1
	v_mul_i32_i24_e32 v1, 0xfffffe08, v8
	s_lshl_b64 s[74:75], s[74:75], 3
	s_lshl_b64 s[68:69], s[68:69], 3
	v_writelane_b32 v104, s30, 26
	v_cmp_gt_u32_e64 s30, 0x50, v31
	v_mad_u32_u24 v0, 0x1f8, v8, v1
	v_mov_b32_e32 v1, 0x3ff00000
                                        ; implicit-def: $vgpr36_vgpr37
                                        ; implicit-def: $vgpr38_vgpr39
                                        ; implicit-def: $vgpr40_vgpr41
                                        ; implicit-def: $vgpr42_vgpr43
	s_delay_alu instid0(VALU_DEP_3) | instskip(NEXT) | instid1(VALU_DEP_3)
	v_writelane_b32 v104, s30, 27
	v_mad_u32 v97, v0, 7, v55
	v_cmp_gt_u32_e64 s30, 0x400, v31
	v_writelane_b32 v104, s41, 28
	v_cmp_gt_u32_e64 s41, 0x3c0, v31
	s_delay_alu instid0(VALU_DEP_1) | instskip(SKIP_1) | instid1(VALU_DEP_1)
	v_writelane_b32 v104, s41, 29
	v_cmp_gt_u32_e64 s41, 0x3a0, v31
	v_writelane_b32 v104, s41, 30
	v_cmp_gt_u32_e64 s41, 0x380, v31
	s_delay_alu instid0(VALU_DEP_1) | instskip(SKIP_1) | instid1(VALU_DEP_1)
	v_writelane_b32 v104, s41, 31
	;; [unrolled: 5-line block ×13, first 2 shown]
	v_cmp_gt_u32_e64 s41, 64, v45
	v_writelane_b32 v99, s41, 22
	s_branch .LBB135_3
.LBB135_2:                              ;   in Loop: Header=BB135_3 Depth=1
	s_wait_xcnt 0x0
	s_or_b32 exec_lo, exec_lo, s41
	v_readlane_b32 s41, v104, 0
	s_add_co_i32 s62, s62, 0x10000
	global_wb scope:SCOPE_DEV
	s_wait_storecnt 0x0
	global_inv scope:SCOPE_DEV
	s_cmp_lt_u32 s62, s41
	s_cbranch_scc0 .LBB135_1117
.LBB135_3:                              ; =>This Loop Header: Depth=1
                                        ;     Child Loop BB135_537 Depth 2
                                        ;     Child Loop BB135_986 Depth 2
                                        ;       Child Loop BB135_988 Depth 3
                                        ;     Child Loop BB135_1023 Depth 2
	v_mov_b32_e32 v0, s62
	v_readlane_b32 s41, v104, 1
	s_clause 0x1
	global_load_b64 v[2:3], v0, s[72:73] scale_offset
	global_load_b64 v[46:47], v0, s[66:67] scale_offset
	s_and_not1_b32 vcc_lo, exec_lo, s41
	s_wait_loadcnt 0x1
	v_add_nc_u64_e32 v[2:3], s[74:75], v[2:3]
	s_delay_alu instid0(VALU_DEP_1)
	v_lshl_add_u64 v[44:45], v[14:15], 3, v[2:3]
	s_cbranch_vccnz .LBB135_13
; %bb.4:                                ;   in Loop: Header=BB135_3 Depth=1
	v_mov_b64_e32 v[38:39], 0
	v_mov_b64_e32 v[36:37], 0
	s_delay_alu instid0(VALU_DEP_3)
	v_lshl_add_u64 v[48:49], v[12:13], 3, v[44:45]
	s_wait_loadcnt 0x0
	s_barrier_signal -1
	s_barrier_wait -1
	s_wait_xcnt 0x0
	s_mov_b32 s41, exec_lo
	v_readlane_b32 s42, v104, 9
	s_and_b32 s42, s41, s42
	s_delay_alu instid0(SALU_CYCLE_1)
	s_mov_b32 exec_lo, s42
	s_cbranch_execz .LBB135_6
; %bb.5:                                ;   in Loop: Header=BB135_3 Depth=1
	flat_load_b64 v[36:37], v[48:49]
.LBB135_6:                              ;   in Loop: Header=BB135_3 Depth=1
	s_wait_xcnt 0x0
	s_or_b32 exec_lo, exec_lo, s41
	s_wait_loadcnt_dscnt 0x0
	s_barrier_signal -1
	s_barrier_wait -1
	s_mov_b32 s41, exec_lo
	v_readlane_b32 s42, v104, 10
	s_and_b32 s42, s41, s42
	s_delay_alu instid0(SALU_CYCLE_1)
	s_mov_b32 exec_lo, s42
	s_cbranch_execz .LBB135_8
; %bb.7:                                ;   in Loop: Header=BB135_3 Depth=1
	flat_load_b64 v[38:39], v[48:49] offset:128
.LBB135_8:                              ;   in Loop: Header=BB135_3 Depth=1
	s_wait_xcnt 0x0
	s_or_b32 exec_lo, exec_lo, s41
	v_mov_b64_e32 v[42:43], 0
	v_mov_b64_e32 v[40:41], 0
	s_wait_loadcnt_dscnt 0x0
	s_barrier_signal -1
	s_barrier_wait -1
	s_mov_b32 s41, exec_lo
	v_readlane_b32 s42, v104, 11
	s_and_b32 s42, s41, s42
	s_delay_alu instid0(SALU_CYCLE_1)
	s_mov_b32 exec_lo, s42
	s_cbranch_execz .LBB135_10
; %bb.9:                                ;   in Loop: Header=BB135_3 Depth=1
	flat_load_b64 v[40:41], v[48:49] offset:256
.LBB135_10:                             ;   in Loop: Header=BB135_3 Depth=1
	s_wait_xcnt 0x0
	s_or_b32 exec_lo, exec_lo, s41
	s_wait_loadcnt_dscnt 0x0
	s_barrier_signal -1
	s_barrier_wait -1
	s_mov_b32 s41, exec_lo
	v_readlane_b32 s42, v104, 12
	s_and_b32 s42, s41, s42
	s_delay_alu instid0(SALU_CYCLE_1)
	s_mov_b32 exec_lo, s42
	s_cbranch_execz .LBB135_12
; %bb.11:                               ;   in Loop: Header=BB135_3 Depth=1
	flat_load_b64 v[42:43], v[48:49] offset:384
.LBB135_12:                             ;   in Loop: Header=BB135_3 Depth=1
	s_wait_xcnt 0x0
	s_or_b32 exec_lo, exec_lo, s41
.LBB135_13:                             ;   in Loop: Header=BB135_3 Depth=1
	v_add_nc_u64_e32 v[2:3], s[78:79], v[2:3]
	v_mov_b32_e32 v31, v7
	s_and_not1_b32 vcc_lo, exec_lo, s86
	s_mov_b32 s41, -1
	s_delay_alu instid0(VALU_DEP_1)
	v_add_nc_u64_e32 v[2:3], v[2:3], v[30:31]
	s_cbranch_vccnz .LBB135_24
; %bb.14:                               ;   in Loop: Header=BB135_3 Depth=1
	s_wait_xcnt 0x0
	s_and_saveexec_b32 s41, s6
	s_delay_alu instid0(SALU_CYCLE_1)
	s_xor_b32 s41, exec_lo, s41
	s_cbranch_execnz .LBB135_1044
; %bb.15:                               ;   in Loop: Header=BB135_3 Depth=1
	s_and_not1_saveexec_b32 s41, s41
	s_cbranch_execnz .LBB135_1047
.LBB135_16:                             ;   in Loop: Header=BB135_3 Depth=1
	s_or_b32 exec_lo, exec_lo, s41
	s_and_saveexec_b32 s41, s7
	s_delay_alu instid0(SALU_CYCLE_1)
	s_xor_b32 s41, exec_lo, s41
	s_cbranch_execnz .LBB135_1048
.LBB135_17:                             ;   in Loop: Header=BB135_3 Depth=1
	s_and_not1_saveexec_b32 s41, s41
	s_cbranch_execnz .LBB135_1051
.LBB135_18:                             ;   in Loop: Header=BB135_3 Depth=1
	s_or_b32 exec_lo, exec_lo, s41
	s_and_saveexec_b32 s41, s8
	s_delay_alu instid0(SALU_CYCLE_1)
	s_xor_b32 s41, exec_lo, s41
	s_cbranch_execnz .LBB135_1052
.LBB135_19:                             ;   in Loop: Header=BB135_3 Depth=1
	s_and_not1_saveexec_b32 s41, s41
	s_cbranch_execnz .LBB135_1055
.LBB135_20:                             ;   in Loop: Header=BB135_3 Depth=1
	s_or_b32 exec_lo, exec_lo, s41
	s_and_saveexec_b32 s41, s9
	s_delay_alu instid0(SALU_CYCLE_1)
	s_xor_b32 s41, exec_lo, s41
	s_cbranch_execnz .LBB135_1056
.LBB135_21:                             ;   in Loop: Header=BB135_3 Depth=1
	s_and_not1_saveexec_b32 s41, s41
	s_cbranch_execz .LBB135_23
.LBB135_22:                             ;   in Loop: Header=BB135_3 Depth=1
	v_lshl_add_u64 v[48:49], v[22:23], 3, v[2:3]
	flat_load_b64 v[48:49], v[48:49]
	s_wait_loadcnt_dscnt 0x0
	v_xor_b32_e32 v49, 0x80000000, v49
	ds_store_b64 v87, v[48:49]
.LBB135_23:                             ;   in Loop: Header=BB135_3 Depth=1
	s_or_b32 exec_lo, exec_lo, s41
	s_mov_b32 s41, 0
.LBB135_24:                             ;   in Loop: Header=BB135_3 Depth=1
	s_delay_alu instid0(SALU_CYCLE_1)
	s_and_b32 vcc_lo, exec_lo, s41
	s_cbranch_vccz .LBB135_50
; %bb.25:                               ;   in Loop: Header=BB135_3 Depth=1
	s_wait_xcnt 0x0
	s_mov_b32 s41, exec_lo
	v_readlane_b32 s42, v104, 13
	s_and_b32 s42, s41, s42
	s_delay_alu instid0(SALU_CYCLE_1)
	s_xor_b32 s41, s42, s41
	s_mov_b32 exec_lo, s42
	s_cbranch_execz .LBB135_29
; %bb.26:                               ;   in Loop: Header=BB135_3 Depth=1
	s_mov_b32 s42, exec_lo
	v_readlane_b32 s43, v99, 19
	s_and_b32 s43, s42, s43
	s_delay_alu instid0(SALU_CYCLE_1)
	s_mov_b32 exec_lo, s43
; %bb.27:                               ;   in Loop: Header=BB135_3 Depth=1
	ds_store_b64 v90, v[32:33]
; %bb.28:                               ;   in Loop: Header=BB135_3 Depth=1
	s_or_b32 exec_lo, exec_lo, s42
.LBB135_29:                             ;   in Loop: Header=BB135_3 Depth=1
	s_and_not1_saveexec_b32 s41, s41
	s_cbranch_execz .LBB135_31
; %bb.30:                               ;   in Loop: Header=BB135_3 Depth=1
	v_lshl_add_u64 v[48:49], v[24:25], 3, v[2:3]
	flat_load_b64 v[48:49], v[48:49]
	s_wait_loadcnt_dscnt 0x0
	v_xor_b32_e32 v49, 0x80000000, v49
	ds_store_b64 v90, v[48:49]
.LBB135_31:                             ;   in Loop: Header=BB135_3 Depth=1
	s_or_b32 exec_lo, exec_lo, s41
	s_delay_alu instid0(SALU_CYCLE_1) | instskip(SKIP_2) | instid1(SALU_CYCLE_1)
	s_mov_b32 s41, exec_lo
	v_readlane_b32 s42, v104, 14
	s_and_b32 s42, s41, s42
	s_xor_b32 s41, s42, s41
	s_mov_b32 exec_lo, s42
	s_cbranch_execz .LBB135_35
; %bb.32:                               ;   in Loop: Header=BB135_3 Depth=1
	s_mov_b32 s42, exec_lo
	v_readlane_b32 s43, v99, 20
	s_and_b32 s43, s42, s43
	s_delay_alu instid0(SALU_CYCLE_1)
	s_mov_b32 exec_lo, s43
; %bb.33:                               ;   in Loop: Header=BB135_3 Depth=1
	ds_store_b64 v85, v[32:33]
; %bb.34:                               ;   in Loop: Header=BB135_3 Depth=1
	s_or_b32 exec_lo, exec_lo, s42
.LBB135_35:                             ;   in Loop: Header=BB135_3 Depth=1
	s_and_not1_saveexec_b32 s41, s41
	s_cbranch_execz .LBB135_37
; %bb.36:                               ;   in Loop: Header=BB135_3 Depth=1
	v_lshl_add_u64 v[48:49], v[18:19], 3, v[2:3]
	flat_load_b64 v[48:49], v[48:49]
	s_wait_loadcnt_dscnt 0x0
	v_xor_b32_e32 v49, 0x80000000, v49
	ds_store_b64 v85, v[48:49]
.LBB135_37:                             ;   in Loop: Header=BB135_3 Depth=1
	s_or_b32 exec_lo, exec_lo, s41
	s_delay_alu instid0(SALU_CYCLE_1) | instskip(SKIP_2) | instid1(SALU_CYCLE_1)
	s_mov_b32 s41, exec_lo
	v_readlane_b32 s42, v104, 15
	s_and_b32 s42, s41, s42
	;; [unrolled: 28-line block ×3, first 2 shown]
	s_xor_b32 s41, s42, s41
	s_mov_b32 exec_lo, s42
	s_cbranch_execz .LBB135_47
; %bb.44:                               ;   in Loop: Header=BB135_3 Depth=1
	s_mov_b32 s42, exec_lo
	v_readlane_b32 s43, v99, 22
	s_and_b32 s43, s42, s43
	s_delay_alu instid0(SALU_CYCLE_1)
	s_mov_b32 exec_lo, s43
; %bb.45:                               ;   in Loop: Header=BB135_3 Depth=1
	ds_store_b64 v87, v[32:33]
; %bb.46:                               ;   in Loop: Header=BB135_3 Depth=1
	s_or_b32 exec_lo, exec_lo, s42
                                        ; implicit-def: $vgpr2_vgpr3
.LBB135_47:                             ;   in Loop: Header=BB135_3 Depth=1
	s_and_not1_saveexec_b32 s41, s41
	s_cbranch_execz .LBB135_49
; %bb.48:                               ;   in Loop: Header=BB135_3 Depth=1
	v_lshl_add_u64 v[2:3], v[22:23], 3, v[2:3]
	flat_load_b64 v[2:3], v[2:3]
	s_wait_loadcnt_dscnt 0x0
	v_xor_b32_e32 v3, 0x80000000, v3
	ds_store_b64 v87, v[2:3]
.LBB135_49:                             ;   in Loop: Header=BB135_3 Depth=1
	s_or_b32 exec_lo, exec_lo, s41
.LBB135_50:                             ;   in Loop: Header=BB135_3 Depth=1
	s_delay_alu instid0(SALU_CYCLE_1)
	s_and_not1_b32 vcc_lo, exec_lo, s87
	s_wait_loadcnt_dscnt 0x0
	s_barrier_signal -1
	s_barrier_wait -1
	s_cbranch_vccnz .LBB135_980
; %bb.51:                               ;   in Loop: Header=BB135_3 Depth=1
	s_wait_xcnt 0x0
	s_and_saveexec_b32 s41, s10
	s_cbranch_execz .LBB135_53
; %bb.52:                               ;   in Loop: Header=BB135_3 Depth=1
	ds_load_b64 v[2:3], v7 offset:32752
	v_mov_b32_e32 v0, v7
	ds_store_b64 v7, v[34:35] offset:32760
	s_wait_dscnt 0x1
	ds_store_b128 v7, v[0:3] offset:32240
.LBB135_53:                             ;   in Loop: Header=BB135_3 Depth=1
	s_or_b32 exec_lo, exec_lo, s41
	v_mov_b64_e32 v[2:3], 0
	s_wait_dscnt 0x0
	s_barrier_signal -1
	s_barrier_wait -1
	global_wb scope:SCOPE_DEV
	s_wait_storecnt 0x0
	global_inv scope:SCOPE_DEV
	s_and_saveexec_b32 s41, s1
	s_cbranch_execz .LBB135_57
; %bb.54:                               ;   in Loop: Header=BB135_3 Depth=1
	ds_load_b64 v[2:3], v54 offset:32224
	ds_load_b64 v[48:49], v53 offset:32752
	s_wait_dscnt 0x0
	v_fma_f64 v[2:3], v[2:3], v[48:49], 0
	s_and_saveexec_b32 s42, s11
	s_cbranch_execz .LBB135_56
; %bb.55:                               ;   in Loop: Header=BB135_3 Depth=1
	ds_load_b64 v[48:49], v55 offset:32736
	ds_load_b64 v[50:51], v7 offset:32760
	s_wait_dscnt 0x0
	v_fmac_f64_e32 v[2:3], v[48:49], v[50:51]
.LBB135_56:                             ;   in Loop: Header=BB135_3 Depth=1
	s_or_b32 exec_lo, exec_lo, s42
.LBB135_57:                             ;   in Loop: Header=BB135_3 Depth=1
	s_delay_alu instid0(SALU_CYCLE_1)
	s_or_b32 exec_lo, exec_lo, s41
	s_and_saveexec_b32 s41, s88
; %bb.58:                               ;   in Loop: Header=BB135_3 Depth=1
	s_delay_alu instid0(VALU_DEP_1) | instskip(NEXT) | instid1(VALU_DEP_2)
	v_xor_b32_e32 v49, 0x80000000, v3
	v_mov_b32_e32 v48, v2
	ds_store_b64 v52, v[48:49]
; %bb.59:                               ;   in Loop: Header=BB135_3 Depth=1
	s_or_b32 exec_lo, exec_lo, s41
	s_wait_loadcnt_dscnt 0x0
	s_barrier_signal -1
	s_barrier_wait -1
	s_and_saveexec_b32 s41, s89
	s_cbranch_execz .LBB135_61
; %bb.60:                               ;   in Loop: Header=BB135_3 Depth=1
	ds_load_b64 v[48:49], v7 offset:31712
	ds_load_b64 v[50:51], v52
	s_wait_dscnt 0x0
	v_fma_f64 v[2:3], -v[48:49], v[50:51], v[2:3]
.LBB135_61:                             ;   in Loop: Header=BB135_3 Depth=1
	s_or_b32 exec_lo, exec_lo, s41
	s_barrier_signal -1
	s_barrier_wait -1
	s_and_saveexec_b32 s41, s89
; %bb.62:                               ;   in Loop: Header=BB135_3 Depth=1
	s_delay_alu instid0(VALU_DEP_1) | instskip(NEXT) | instid1(VALU_DEP_2)
	v_xor_b32_e32 v49, 0x80000000, v3
	v_mov_b32_e32 v48, v2
	ds_store_b64 v52, v[48:49]
; %bb.63:                               ;   in Loop: Header=BB135_3 Depth=1
	s_or_b32 exec_lo, exec_lo, s41
	s_wait_dscnt 0x0
	s_barrier_signal -1
	s_barrier_wait -1
	s_barrier_signal -1
	s_barrier_wait -1
	s_and_saveexec_b32 s41, s1
; %bb.64:                               ;   in Loop: Header=BB135_3 Depth=1
	ds_store_b64 v56, v[2:3] offset:32736
; %bb.65:                               ;   in Loop: Header=BB135_3 Depth=1
	s_or_b32 exec_lo, exec_lo, s41
	s_wait_dscnt 0x0
	s_barrier_signal -1
	s_barrier_wait -1
	s_barrier_signal -1
	s_barrier_wait -1
	s_and_saveexec_b32 s41, s90
	s_cbranch_execz .LBB135_67
; %bb.66:                               ;   in Loop: Header=BB135_3 Depth=1
	ds_load_b64 v[2:3], v57 offset:32224
	s_wait_dscnt 0x0
	ds_store_b64 v55, v[2:3] offset:31216
	ds_load_b64 v[2:3], v57 offset:32232
	s_wait_dscnt 0x0
	ds_store_b64 v55, v[2:3] offset:31728
.LBB135_67:                             ;   in Loop: Header=BB135_3 Depth=1
	s_or_b32 exec_lo, exec_lo, s41
	s_wait_dscnt 0x0
	s_barrier_signal -1
	s_barrier_wait -1
	s_and_saveexec_b32 s41, s10
	s_cbranch_execz .LBB135_69
; %bb.68:                               ;   in Loop: Header=BB135_3 Depth=1
	ds_load_b64 v[2:3], v7 offset:31712
	v_mov_b32_e32 v0, v7
	ds_store_b64 v7, v[34:35] offset:31720
	s_wait_dscnt 0x1
	ds_store_b128 v7, v[0:3] offset:31200
.LBB135_69:                             ;   in Loop: Header=BB135_3 Depth=1
	s_or_b32 exec_lo, exec_lo, s41
	v_mov_b64_e32 v[2:3], 0
	s_wait_dscnt 0x0
	s_barrier_signal -1
	s_barrier_wait -1
	global_wb scope:SCOPE_DEV
	s_wait_storecnt 0x0
	global_inv scope:SCOPE_DEV
	s_and_saveexec_b32 s41, s3
	s_cbranch_execz .LBB135_75
; %bb.70:                               ;   in Loop: Header=BB135_3 Depth=1
	ds_load_b64 v[2:3], v60 offset:31168
	ds_load_b64 v[48:49], v59 offset:32736
	s_wait_dscnt 0x0
	v_fma_f64 v[2:3], v[2:3], v[48:49], 0
	s_and_saveexec_b32 s42, s12
	s_cbranch_execnz .LBB135_1067
; %bb.71:                               ;   in Loop: Header=BB135_3 Depth=1
	s_or_b32 exec_lo, exec_lo, s42
	s_and_saveexec_b32 s42, s13
	s_cbranch_execnz .LBB135_1068
.LBB135_72:                             ;   in Loop: Header=BB135_3 Depth=1
	s_or_b32 exec_lo, exec_lo, s42
	s_and_saveexec_b32 s42, s1
	s_cbranch_execz .LBB135_74
.LBB135_73:                             ;   in Loop: Header=BB135_3 Depth=1
	ds_load_b64 v[48:49], v61 offset:32704
	ds_load_b64 v[50:51], v7 offset:32760
	s_wait_dscnt 0x0
	v_fmac_f64_e32 v[2:3], v[48:49], v[50:51]
.LBB135_74:                             ;   in Loop: Header=BB135_3 Depth=1
	s_or_b32 exec_lo, exec_lo, s42
.LBB135_75:                             ;   in Loop: Header=BB135_3 Depth=1
	s_delay_alu instid0(SALU_CYCLE_1)
	s_or_b32 exec_lo, exec_lo, s41
	s_and_saveexec_b32 s41, s91
; %bb.76:                               ;   in Loop: Header=BB135_3 Depth=1
	s_delay_alu instid0(VALU_DEP_1) | instskip(NEXT) | instid1(VALU_DEP_2)
	v_xor_b32_e32 v49, 0x80000000, v3
	v_mov_b32_e32 v48, v2
	ds_store_b64 v58, v[48:49]
; %bb.77:                               ;   in Loop: Header=BB135_3 Depth=1
	s_or_b32 exec_lo, exec_lo, s41
	s_wait_loadcnt_dscnt 0x0
	s_barrier_signal -1
	s_barrier_wait -1
	s_and_saveexec_b32 s41, s92
	s_cbranch_execz .LBB135_79
; %bb.78:                               ;   in Loop: Header=BB135_3 Depth=1
	ds_load_b64 v[48:49], v60 offset:30656
	ds_load_b64 v[50:51], v58
	s_wait_dscnt 0x0
	v_fma_f64 v[2:3], -v[48:49], v[50:51], v[2:3]
.LBB135_79:                             ;   in Loop: Header=BB135_3 Depth=1
	s_or_b32 exec_lo, exec_lo, s41
	s_barrier_signal -1
	s_barrier_wait -1
	s_and_saveexec_b32 s41, s93
; %bb.80:                               ;   in Loop: Header=BB135_3 Depth=1
	s_delay_alu instid0(VALU_DEP_1) | instskip(NEXT) | instid1(VALU_DEP_2)
	v_xor_b32_e32 v49, 0x80000000, v3
	v_mov_b32_e32 v48, v2
	ds_store_b64 v58, v[48:49]
; %bb.81:                               ;   in Loop: Header=BB135_3 Depth=1
	s_or_b32 exec_lo, exec_lo, s41
	s_wait_dscnt 0x0
	s_barrier_signal -1
	s_barrier_wait -1
	s_and_saveexec_b32 s41, s94
	s_cbranch_execz .LBB135_83
; %bb.82:                               ;   in Loop: Header=BB135_3 Depth=1
	ds_load_b64 v[48:49], v60 offset:30144
	ds_load_b64 v[50:51], v58
	s_wait_dscnt 0x0
	v_fma_f64 v[2:3], -v[48:49], v[50:51], v[2:3]
.LBB135_83:                             ;   in Loop: Header=BB135_3 Depth=1
	s_or_b32 exec_lo, exec_lo, s41
	s_barrier_signal -1
	s_barrier_wait -1
	s_and_saveexec_b32 s41, s95
; %bb.84:                               ;   in Loop: Header=BB135_3 Depth=1
	s_delay_alu instid0(VALU_DEP_1) | instskip(NEXT) | instid1(VALU_DEP_2)
	v_xor_b32_e32 v49, 0x80000000, v3
	v_mov_b32_e32 v48, v2
	ds_store_b64 v58, v[48:49]
; %bb.85:                               ;   in Loop: Header=BB135_3 Depth=1
	s_or_b32 exec_lo, exec_lo, s41
	s_wait_dscnt 0x0
	;; [unrolled: 22-line block ×3, first 2 shown]
	s_barrier_signal -1
	s_barrier_wait -1
	s_barrier_signal -1
	s_barrier_wait -1
	s_and_saveexec_b32 s41, s3
; %bb.90:                               ;   in Loop: Header=BB135_3 Depth=1
	ds_store_b64 v63, v[2:3] offset:32704
; %bb.91:                               ;   in Loop: Header=BB135_3 Depth=1
	s_or_b32 exec_lo, exec_lo, s41
	s_wait_dscnt 0x0
	s_barrier_signal -1
	s_barrier_wait -1
	s_barrier_signal -1
	s_barrier_wait -1
	s_and_saveexec_b32 s41, s97
	s_cbranch_execz .LBB135_93
; %bb.92:                               ;   in Loop: Header=BB135_3 Depth=1
	ds_load_b64 v[2:3], v62 offset:31168
	s_wait_dscnt 0x0
	ds_store_b64 v64, v[2:3] offset:29152
	ds_load_b64 v[2:3], v62 offset:31176
	s_wait_dscnt 0x0
	ds_store_b64 v64, v[2:3] offset:29664
	;; [unrolled: 3-line block ×4, first 2 shown]
.LBB135_93:                             ;   in Loop: Header=BB135_3 Depth=1
	s_or_b32 exec_lo, exec_lo, s41
	s_wait_dscnt 0x0
	s_barrier_signal -1
	s_barrier_wait -1
	s_and_saveexec_b32 s41, s10
	s_cbranch_execz .LBB135_95
; %bb.94:                               ;   in Loop: Header=BB135_3 Depth=1
	ds_load_b64 v[2:3], v7 offset:30672
	v_mov_b32_e32 v0, v7
	ds_store_b64 v7, v[34:35] offset:30680
	s_wait_dscnt 0x1
	ds_store_b128 v7, v[0:3] offset:30160
.LBB135_95:                             ;   in Loop: Header=BB135_3 Depth=1
	s_or_b32 exec_lo, exec_lo, s41
	v_mov_b64_e32 v[2:3], 0
	s_wait_dscnt 0x0
	s_barrier_signal -1
	s_barrier_wait -1
	global_wb scope:SCOPE_DEV
	s_wait_storecnt 0x0
	global_inv scope:SCOPE_DEV
	s_and_saveexec_b32 s41, s1
	s_cbranch_execz .LBB135_99
; %bb.96:                               ;   in Loop: Header=BB135_3 Depth=1
	ds_load_b64 v[2:3], v54 offset:30144
	ds_load_b64 v[48:49], v53 offset:30672
	s_wait_dscnt 0x0
	v_fma_f64 v[2:3], v[2:3], v[48:49], 0
	s_and_saveexec_b32 s42, s11
	s_cbranch_execz .LBB135_98
; %bb.97:                               ;   in Loop: Header=BB135_3 Depth=1
	ds_load_b64 v[48:49], v64 offset:30656
	ds_load_b64 v[50:51], v7 offset:30680
	s_wait_dscnt 0x0
	v_fmac_f64_e32 v[2:3], v[48:49], v[50:51]
.LBB135_98:                             ;   in Loop: Header=BB135_3 Depth=1
	s_or_b32 exec_lo, exec_lo, s42
.LBB135_99:                             ;   in Loop: Header=BB135_3 Depth=1
	s_delay_alu instid0(SALU_CYCLE_1)
	s_or_b32 exec_lo, exec_lo, s41
	s_and_saveexec_b32 s41, s88
; %bb.100:                              ;   in Loop: Header=BB135_3 Depth=1
	s_delay_alu instid0(VALU_DEP_1) | instskip(NEXT) | instid1(VALU_DEP_2)
	v_xor_b32_e32 v49, 0x80000000, v3
	v_mov_b32_e32 v48, v2
	ds_store_b64 v52, v[48:49]
; %bb.101:                              ;   in Loop: Header=BB135_3 Depth=1
	s_or_b32 exec_lo, exec_lo, s41
	s_wait_loadcnt_dscnt 0x0
	s_barrier_signal -1
	s_barrier_wait -1
	s_and_saveexec_b32 s41, s89
	s_cbranch_execz .LBB135_103
; %bb.102:                              ;   in Loop: Header=BB135_3 Depth=1
	ds_load_b64 v[48:49], v7 offset:29632
	ds_load_b64 v[50:51], v52
	s_wait_dscnt 0x0
	v_fma_f64 v[2:3], -v[48:49], v[50:51], v[2:3]
.LBB135_103:                            ;   in Loop: Header=BB135_3 Depth=1
	s_or_b32 exec_lo, exec_lo, s41
	s_barrier_signal -1
	s_barrier_wait -1
	s_and_saveexec_b32 s41, s89
; %bb.104:                              ;   in Loop: Header=BB135_3 Depth=1
	s_delay_alu instid0(VALU_DEP_1) | instskip(NEXT) | instid1(VALU_DEP_2)
	v_xor_b32_e32 v49, 0x80000000, v3
	v_mov_b32_e32 v48, v2
	ds_store_b64 v52, v[48:49]
; %bb.105:                              ;   in Loop: Header=BB135_3 Depth=1
	s_or_b32 exec_lo, exec_lo, s41
	s_wait_dscnt 0x0
	s_barrier_signal -1
	s_barrier_wait -1
	s_barrier_signal -1
	s_barrier_wait -1
	s_and_saveexec_b32 s41, s1
; %bb.106:                              ;   in Loop: Header=BB135_3 Depth=1
	ds_store_b64 v56, v[2:3] offset:30656
; %bb.107:                              ;   in Loop: Header=BB135_3 Depth=1
	s_or_b32 exec_lo, exec_lo, s41
	s_wait_dscnt 0x0
	s_barrier_signal -1
	s_barrier_wait -1
	s_barrier_signal -1
	s_barrier_wait -1
	s_and_saveexec_b32 s41, s90
	s_cbranch_execz .LBB135_109
; %bb.108:                              ;   in Loop: Header=BB135_3 Depth=1
	ds_load_b64 v[2:3], v65 offset:30144
	s_wait_dscnt 0x0
	ds_store_b64 v64, v[2:3] offset:29136
	ds_load_b64 v[2:3], v65 offset:30152
	s_wait_dscnt 0x0
	ds_store_b64 v64, v[2:3] offset:29648
.LBB135_109:                            ;   in Loop: Header=BB135_3 Depth=1
	s_or_b32 exec_lo, exec_lo, s41
	s_wait_dscnt 0x0
	s_barrier_signal -1
	s_barrier_wait -1
	s_and_saveexec_b32 s41, s10
	s_cbranch_execz .LBB135_111
; %bb.110:                              ;   in Loop: Header=BB135_3 Depth=1
	ds_load_b64 v[2:3], v7 offset:29632
	v_mov_b32_e32 v0, v7
	ds_store_b64 v7, v[34:35] offset:29640
	s_wait_dscnt 0x1
	ds_store_b128 v7, v[0:3] offset:29120
.LBB135_111:                            ;   in Loop: Header=BB135_3 Depth=1
	s_or_b32 exec_lo, exec_lo, s41
	v_mov_b64_e32 v[2:3], 0
	s_wait_dscnt 0x0
	s_barrier_signal -1
	s_barrier_wait -1
	global_wb scope:SCOPE_DEV
	s_wait_storecnt 0x0
	global_inv scope:SCOPE_DEV
	s_and_saveexec_b32 s41, s4
	s_cbranch_execz .LBB135_121
; %bb.112:                              ;   in Loop: Header=BB135_3 Depth=1
	ds_load_b64 v[2:3], v68 offset:29056
	ds_load_b64 v[48:49], v67 offset:32704
	s_wait_dscnt 0x0
	v_fma_f64 v[2:3], v[2:3], v[48:49], 0
	s_and_saveexec_b32 s42, s14
	s_cbranch_execnz .LBB135_1069
; %bb.113:                              ;   in Loop: Header=BB135_3 Depth=1
	s_or_b32 exec_lo, exec_lo, s42
	s_and_saveexec_b32 s42, s15
	s_cbranch_execnz .LBB135_1070
.LBB135_114:                            ;   in Loop: Header=BB135_3 Depth=1
	s_or_b32 exec_lo, exec_lo, s42
	s_and_saveexec_b32 s42, s16
	s_cbranch_execnz .LBB135_1071
.LBB135_115:                            ;   in Loop: Header=BB135_3 Depth=1
	s_or_b32 exec_lo, exec_lo, s42
	s_and_saveexec_b32 s42, s17
	s_cbranch_execnz .LBB135_1072
.LBB135_116:                            ;   in Loop: Header=BB135_3 Depth=1
	s_or_b32 exec_lo, exec_lo, s42
	s_and_saveexec_b32 s42, s18
	s_cbranch_execnz .LBB135_1073
.LBB135_117:                            ;   in Loop: Header=BB135_3 Depth=1
	s_or_b32 exec_lo, exec_lo, s42
	s_and_saveexec_b32 s42, s3
	s_cbranch_execnz .LBB135_1074
.LBB135_118:                            ;   in Loop: Header=BB135_3 Depth=1
	s_or_b32 exec_lo, exec_lo, s42
	s_and_saveexec_b32 s42, s13
	s_cbranch_execz .LBB135_120
.LBB135_119:                            ;   in Loop: Header=BB135_3 Depth=1
	ds_load_b64 v[48:49], v69 offset:32640
	ds_load_b64 v[50:51], v7 offset:32760
	s_wait_dscnt 0x0
	v_fmac_f64_e32 v[2:3], v[48:49], v[50:51]
.LBB135_120:                            ;   in Loop: Header=BB135_3 Depth=1
	s_or_b32 exec_lo, exec_lo, s42
.LBB135_121:                            ;   in Loop: Header=BB135_3 Depth=1
	s_delay_alu instid0(SALU_CYCLE_1)
	s_or_b32 exec_lo, exec_lo, s41
	s_and_saveexec_b32 s41, s98
; %bb.122:                              ;   in Loop: Header=BB135_3 Depth=1
	s_delay_alu instid0(VALU_DEP_1) | instskip(NEXT) | instid1(VALU_DEP_2)
	v_xor_b32_e32 v49, 0x80000000, v3
	v_mov_b32_e32 v48, v2
	ds_store_b64 v66, v[48:49]
; %bb.123:                              ;   in Loop: Header=BB135_3 Depth=1
	s_or_b32 exec_lo, exec_lo, s41
	s_wait_loadcnt_dscnt 0x0
	s_barrier_signal -1
	s_barrier_wait -1
	s_and_saveexec_b32 s41, s99
	s_cbranch_execz .LBB135_125
; %bb.124:                              ;   in Loop: Header=BB135_3 Depth=1
	ds_load_b64 v[48:49], v68 offset:28544
	ds_load_b64 v[50:51], v66
	s_wait_dscnt 0x0
	v_fma_f64 v[2:3], -v[48:49], v[50:51], v[2:3]
.LBB135_125:                            ;   in Loop: Header=BB135_3 Depth=1
	s_or_b32 exec_lo, exec_lo, s41
	s_barrier_signal -1
	s_barrier_wait -1
	s_and_saveexec_b32 s41, s100
; %bb.126:                              ;   in Loop: Header=BB135_3 Depth=1
	s_delay_alu instid0(VALU_DEP_1) | instskip(NEXT) | instid1(VALU_DEP_2)
	v_xor_b32_e32 v49, 0x80000000, v3
	v_mov_b32_e32 v48, v2
	ds_store_b64 v66, v[48:49]
; %bb.127:                              ;   in Loop: Header=BB135_3 Depth=1
	s_or_b32 exec_lo, exec_lo, s41
	s_wait_dscnt 0x0
	s_barrier_signal -1
	s_barrier_wait -1
	s_and_saveexec_b32 s41, s101
	s_cbranch_execz .LBB135_129
; %bb.128:                              ;   in Loop: Header=BB135_3 Depth=1
	ds_load_b64 v[48:49], v68 offset:28032
	ds_load_b64 v[50:51], v66
	s_wait_dscnt 0x0
	v_fma_f64 v[2:3], -v[48:49], v[50:51], v[2:3]
.LBB135_129:                            ;   in Loop: Header=BB135_3 Depth=1
	s_or_b32 exec_lo, exec_lo, s41
	s_barrier_signal -1
	s_barrier_wait -1
	s_and_saveexec_b32 s41, s102
; %bb.130:                              ;   in Loop: Header=BB135_3 Depth=1
	s_delay_alu instid0(VALU_DEP_1) | instskip(NEXT) | instid1(VALU_DEP_2)
	v_xor_b32_e32 v49, 0x80000000, v3
	v_mov_b32_e32 v48, v2
	ds_store_b64 v66, v[48:49]
; %bb.131:                              ;   in Loop: Header=BB135_3 Depth=1
	s_or_b32 exec_lo, exec_lo, s41
	s_wait_dscnt 0x0
	;; [unrolled: 22-line block ×3, first 2 shown]
	s_barrier_signal -1
	s_barrier_wait -1
	s_and_saveexec_b32 s41, vcc_hi
	s_cbranch_execz .LBB135_137
; %bb.136:                              ;   in Loop: Header=BB135_3 Depth=1
	ds_load_b64 v[48:49], v68 offset:27008
	ds_load_b64 v[50:51], v66
	s_wait_dscnt 0x0
	v_fma_f64 v[2:3], -v[48:49], v[50:51], v[2:3]
.LBB135_137:                            ;   in Loop: Header=BB135_3 Depth=1
	s_or_b32 exec_lo, exec_lo, s41
	s_barrier_signal -1
	s_barrier_wait -1
	s_and_saveexec_b32 s41, s31
; %bb.138:                              ;   in Loop: Header=BB135_3 Depth=1
	s_delay_alu instid0(VALU_DEP_1) | instskip(NEXT) | instid1(VALU_DEP_2)
	v_xor_b32_e32 v49, 0x80000000, v3
	v_mov_b32_e32 v48, v2
	ds_store_b64 v66, v[48:49]
; %bb.139:                              ;   in Loop: Header=BB135_3 Depth=1
	s_or_b32 exec_lo, exec_lo, s41
	s_wait_dscnt 0x0
	s_barrier_signal -1
	s_barrier_wait -1
	s_and_saveexec_b32 s41, s33
	s_cbranch_execz .LBB135_141
; %bb.140:                              ;   in Loop: Header=BB135_3 Depth=1
	ds_load_b64 v[48:49], v68 offset:26496
	ds_load_b64 v[50:51], v66
	s_wait_dscnt 0x0
	v_fma_f64 v[2:3], -v[48:49], v[50:51], v[2:3]
.LBB135_141:                            ;   in Loop: Header=BB135_3 Depth=1
	s_or_b32 exec_lo, exec_lo, s41
	s_barrier_signal -1
	s_barrier_wait -1
	s_and_saveexec_b32 s41, s34
; %bb.142:                              ;   in Loop: Header=BB135_3 Depth=1
	s_delay_alu instid0(VALU_DEP_1) | instskip(NEXT) | instid1(VALU_DEP_2)
	v_xor_b32_e32 v49, 0x80000000, v3
	v_mov_b32_e32 v48, v2
	ds_store_b64 v66, v[48:49]
; %bb.143:                              ;   in Loop: Header=BB135_3 Depth=1
	s_or_b32 exec_lo, exec_lo, s41
	s_wait_dscnt 0x0
	s_barrier_signal -1
	s_barrier_wait -1
	s_and_saveexec_b32 s41, s35
	;; [unrolled: 22-line block ×3, first 2 shown]
	s_cbranch_execz .LBB135_149
; %bb.148:                              ;   in Loop: Header=BB135_3 Depth=1
	ds_load_b64 v[48:49], v7 offset:25472
	ds_load_b64 v[50:51], v66
	s_wait_dscnt 0x0
	v_fma_f64 v[2:3], -v[48:49], v[50:51], v[2:3]
.LBB135_149:                            ;   in Loop: Header=BB135_3 Depth=1
	s_or_b32 exec_lo, exec_lo, s41
	s_barrier_signal -1
	s_barrier_wait -1
	s_and_saveexec_b32 s41, s37
; %bb.150:                              ;   in Loop: Header=BB135_3 Depth=1
	s_delay_alu instid0(VALU_DEP_1) | instskip(NEXT) | instid1(VALU_DEP_2)
	v_xor_b32_e32 v49, 0x80000000, v3
	v_mov_b32_e32 v48, v2
	ds_store_b64 v66, v[48:49]
; %bb.151:                              ;   in Loop: Header=BB135_3 Depth=1
	s_or_b32 exec_lo, exec_lo, s41
	s_wait_dscnt 0x0
	s_barrier_signal -1
	s_barrier_wait -1
	s_barrier_signal -1
	s_barrier_wait -1
	s_and_saveexec_b32 s41, s4
; %bb.152:                              ;   in Loop: Header=BB135_3 Depth=1
	ds_store_b64 v72, v[2:3] offset:32640
; %bb.153:                              ;   in Loop: Header=BB135_3 Depth=1
	s_or_b32 exec_lo, exec_lo, s41
	s_wait_dscnt 0x0
	s_barrier_signal -1
	s_barrier_wait -1
	s_barrier_signal -1
	s_barrier_wait -1
	s_and_saveexec_b32 s41, s38
	s_cbranch_execz .LBB135_155
; %bb.154:                              ;   in Loop: Header=BB135_3 Depth=1
	ds_load_b64 v[2:3], v70 offset:29056
	s_wait_dscnt 0x0
	ds_store_b64 v71, v[2:3] offset:25024
	ds_load_b64 v[2:3], v70 offset:29064
	s_wait_dscnt 0x0
	ds_store_b64 v71, v[2:3] offset:25536
	;; [unrolled: 3-line block ×8, first 2 shown]
.LBB135_155:                            ;   in Loop: Header=BB135_3 Depth=1
	s_or_b32 exec_lo, exec_lo, s41
	s_wait_dscnt 0x0
	s_barrier_signal -1
	s_barrier_wait -1
	s_and_saveexec_b32 s41, s10
	s_cbranch_execz .LBB135_157
; %bb.156:                              ;   in Loop: Header=BB135_3 Depth=1
	ds_load_b64 v[2:3], v7 offset:28592
	v_mov_b32_e32 v0, v7
	ds_store_b64 v7, v[34:35] offset:28600
	s_wait_dscnt 0x1
	ds_store_b128 v7, v[0:3] offset:28080
.LBB135_157:                            ;   in Loop: Header=BB135_3 Depth=1
	s_or_b32 exec_lo, exec_lo, s41
	v_mov_b64_e32 v[2:3], 0
	s_wait_dscnt 0x0
	s_barrier_signal -1
	s_barrier_wait -1
	global_wb scope:SCOPE_DEV
	s_wait_storecnt 0x0
	global_inv scope:SCOPE_DEV
	s_and_saveexec_b32 s41, s1
	s_cbranch_execz .LBB135_161
; %bb.158:                              ;   in Loop: Header=BB135_3 Depth=1
	ds_load_b64 v[2:3], v54 offset:28064
	ds_load_b64 v[48:49], v53 offset:28592
	s_wait_dscnt 0x0
	v_fma_f64 v[2:3], v[2:3], v[48:49], 0
	s_and_saveexec_b32 s42, s11
	s_cbranch_execz .LBB135_160
; %bb.159:                              ;   in Loop: Header=BB135_3 Depth=1
	ds_load_b64 v[48:49], v71 offset:28576
	ds_load_b64 v[50:51], v7 offset:28600
	s_wait_dscnt 0x0
	v_fmac_f64_e32 v[2:3], v[48:49], v[50:51]
.LBB135_160:                            ;   in Loop: Header=BB135_3 Depth=1
	s_or_b32 exec_lo, exec_lo, s42
.LBB135_161:                            ;   in Loop: Header=BB135_3 Depth=1
	s_delay_alu instid0(SALU_CYCLE_1)
	s_or_b32 exec_lo, exec_lo, s41
	s_and_saveexec_b32 s41, s88
; %bb.162:                              ;   in Loop: Header=BB135_3 Depth=1
	s_delay_alu instid0(VALU_DEP_1) | instskip(NEXT) | instid1(VALU_DEP_2)
	v_xor_b32_e32 v49, 0x80000000, v3
	v_mov_b32_e32 v48, v2
	ds_store_b64 v52, v[48:49]
; %bb.163:                              ;   in Loop: Header=BB135_3 Depth=1
	s_or_b32 exec_lo, exec_lo, s41
	s_wait_loadcnt_dscnt 0x0
	s_barrier_signal -1
	s_barrier_wait -1
	s_and_saveexec_b32 s41, s89
	s_cbranch_execz .LBB135_165
; %bb.164:                              ;   in Loop: Header=BB135_3 Depth=1
	ds_load_b64 v[48:49], v7 offset:27552
	ds_load_b64 v[50:51], v52
	s_wait_dscnt 0x0
	v_fma_f64 v[2:3], -v[48:49], v[50:51], v[2:3]
.LBB135_165:                            ;   in Loop: Header=BB135_3 Depth=1
	s_or_b32 exec_lo, exec_lo, s41
	s_barrier_signal -1
	s_barrier_wait -1
	s_and_saveexec_b32 s41, s89
; %bb.166:                              ;   in Loop: Header=BB135_3 Depth=1
	s_delay_alu instid0(VALU_DEP_1) | instskip(NEXT) | instid1(VALU_DEP_2)
	v_xor_b32_e32 v49, 0x80000000, v3
	v_mov_b32_e32 v48, v2
	ds_store_b64 v52, v[48:49]
; %bb.167:                              ;   in Loop: Header=BB135_3 Depth=1
	s_or_b32 exec_lo, exec_lo, s41
	s_wait_dscnt 0x0
	s_barrier_signal -1
	s_barrier_wait -1
	s_barrier_signal -1
	s_barrier_wait -1
	s_and_saveexec_b32 s41, s1
; %bb.168:                              ;   in Loop: Header=BB135_3 Depth=1
	ds_store_b64 v56, v[2:3] offset:28576
; %bb.169:                              ;   in Loop: Header=BB135_3 Depth=1
	s_or_b32 exec_lo, exec_lo, s41
	s_wait_dscnt 0x0
	s_barrier_signal -1
	s_barrier_wait -1
	s_barrier_signal -1
	s_barrier_wait -1
	s_and_saveexec_b32 s41, s90
	s_cbranch_execz .LBB135_171
; %bb.170:                              ;   in Loop: Header=BB135_3 Depth=1
	ds_load_b64 v[2:3], v73 offset:28064
	s_wait_dscnt 0x0
	ds_store_b64 v71, v[2:3] offset:27056
	ds_load_b64 v[2:3], v73 offset:28072
	s_wait_dscnt 0x0
	ds_store_b64 v71, v[2:3] offset:27568
.LBB135_171:                            ;   in Loop: Header=BB135_3 Depth=1
	s_or_b32 exec_lo, exec_lo, s41
	s_wait_dscnt 0x0
	s_barrier_signal -1
	s_barrier_wait -1
	s_and_saveexec_b32 s41, s10
	s_cbranch_execz .LBB135_173
; %bb.172:                              ;   in Loop: Header=BB135_3 Depth=1
	ds_load_b64 v[2:3], v7 offset:27552
	v_mov_b32_e32 v0, v7
	ds_store_b64 v7, v[34:35] offset:27560
	s_wait_dscnt 0x1
	ds_store_b128 v7, v[0:3] offset:27040
.LBB135_173:                            ;   in Loop: Header=BB135_3 Depth=1
	s_or_b32 exec_lo, exec_lo, s41
	v_mov_b64_e32 v[2:3], 0
	s_wait_dscnt 0x0
	s_barrier_signal -1
	s_barrier_wait -1
	global_wb scope:SCOPE_DEV
	s_wait_storecnt 0x0
	global_inv scope:SCOPE_DEV
	s_and_saveexec_b32 s41, s3
	s_cbranch_execz .LBB135_179
; %bb.174:                              ;   in Loop: Header=BB135_3 Depth=1
	ds_load_b64 v[2:3], v60 offset:27008
	ds_load_b64 v[48:49], v59 offset:28576
	s_wait_dscnt 0x0
	v_fma_f64 v[2:3], v[2:3], v[48:49], 0
	s_and_saveexec_b32 s42, s12
	s_cbranch_execnz .LBB135_1075
; %bb.175:                              ;   in Loop: Header=BB135_3 Depth=1
	s_or_b32 exec_lo, exec_lo, s42
	s_and_saveexec_b32 s42, s13
	s_cbranch_execnz .LBB135_1076
.LBB135_176:                            ;   in Loop: Header=BB135_3 Depth=1
	s_or_b32 exec_lo, exec_lo, s42
	s_and_saveexec_b32 s42, s1
	s_cbranch_execz .LBB135_178
.LBB135_177:                            ;   in Loop: Header=BB135_3 Depth=1
	ds_load_b64 v[48:49], v5 offset:28544
	ds_load_b64 v[50:51], v7 offset:28600
	s_wait_dscnt 0x0
	v_fmac_f64_e32 v[2:3], v[48:49], v[50:51]
.LBB135_178:                            ;   in Loop: Header=BB135_3 Depth=1
	s_or_b32 exec_lo, exec_lo, s42
.LBB135_179:                            ;   in Loop: Header=BB135_3 Depth=1
	s_delay_alu instid0(SALU_CYCLE_1)
	s_or_b32 exec_lo, exec_lo, s41
	s_and_saveexec_b32 s41, s91
; %bb.180:                              ;   in Loop: Header=BB135_3 Depth=1
	s_delay_alu instid0(VALU_DEP_1) | instskip(NEXT) | instid1(VALU_DEP_2)
	v_xor_b32_e32 v49, 0x80000000, v3
	v_mov_b32_e32 v48, v2
	ds_store_b64 v58, v[48:49]
; %bb.181:                              ;   in Loop: Header=BB135_3 Depth=1
	s_or_b32 exec_lo, exec_lo, s41
	s_wait_loadcnt_dscnt 0x0
	s_barrier_signal -1
	s_barrier_wait -1
	s_and_saveexec_b32 s41, s92
	s_cbranch_execz .LBB135_183
; %bb.182:                              ;   in Loop: Header=BB135_3 Depth=1
	ds_load_b64 v[48:49], v60 offset:26496
	ds_load_b64 v[50:51], v58
	s_wait_dscnt 0x0
	v_fma_f64 v[2:3], -v[48:49], v[50:51], v[2:3]
.LBB135_183:                            ;   in Loop: Header=BB135_3 Depth=1
	s_or_b32 exec_lo, exec_lo, s41
	s_barrier_signal -1
	s_barrier_wait -1
	s_and_saveexec_b32 s41, s93
; %bb.184:                              ;   in Loop: Header=BB135_3 Depth=1
	s_delay_alu instid0(VALU_DEP_1) | instskip(NEXT) | instid1(VALU_DEP_2)
	v_xor_b32_e32 v49, 0x80000000, v3
	v_mov_b32_e32 v48, v2
	ds_store_b64 v58, v[48:49]
; %bb.185:                              ;   in Loop: Header=BB135_3 Depth=1
	s_or_b32 exec_lo, exec_lo, s41
	s_wait_dscnt 0x0
	s_barrier_signal -1
	s_barrier_wait -1
	s_and_saveexec_b32 s41, s94
	s_cbranch_execz .LBB135_187
; %bb.186:                              ;   in Loop: Header=BB135_3 Depth=1
	ds_load_b64 v[48:49], v60 offset:25984
	ds_load_b64 v[50:51], v58
	s_wait_dscnt 0x0
	v_fma_f64 v[2:3], -v[48:49], v[50:51], v[2:3]
.LBB135_187:                            ;   in Loop: Header=BB135_3 Depth=1
	s_or_b32 exec_lo, exec_lo, s41
	s_barrier_signal -1
	s_barrier_wait -1
	s_and_saveexec_b32 s41, s95
; %bb.188:                              ;   in Loop: Header=BB135_3 Depth=1
	s_delay_alu instid0(VALU_DEP_1) | instskip(NEXT) | instid1(VALU_DEP_2)
	v_xor_b32_e32 v49, 0x80000000, v3
	v_mov_b32_e32 v48, v2
	ds_store_b64 v58, v[48:49]
; %bb.189:                              ;   in Loop: Header=BB135_3 Depth=1
	s_or_b32 exec_lo, exec_lo, s41
	s_wait_dscnt 0x0
	s_barrier_signal -1
	s_barrier_wait -1
	s_and_saveexec_b32 s41, s96
	s_cbranch_execz .LBB135_191
; %bb.190:                              ;   in Loop: Header=BB135_3 Depth=1
	ds_load_b64 v[48:49], v7 offset:25472
	ds_load_b64 v[50:51], v58
	s_wait_dscnt 0x0
	v_fma_f64 v[2:3], -v[48:49], v[50:51], v[2:3]
.LBB135_191:                            ;   in Loop: Header=BB135_3 Depth=1
	s_or_b32 exec_lo, exec_lo, s41
	s_barrier_signal -1
	s_barrier_wait -1
	s_and_saveexec_b32 s41, s96
; %bb.192:                              ;   in Loop: Header=BB135_3 Depth=1
	s_delay_alu instid0(VALU_DEP_1) | instskip(NEXT) | instid1(VALU_DEP_2)
	v_xor_b32_e32 v49, 0x80000000, v3
	v_mov_b32_e32 v48, v2
	ds_store_b64 v58, v[48:49]
; %bb.193:                              ;   in Loop: Header=BB135_3 Depth=1
	s_or_b32 exec_lo, exec_lo, s41
	s_wait_dscnt 0x0
	s_barrier_signal -1
	s_barrier_wait -1
	s_barrier_signal -1
	s_barrier_wait -1
	s_and_saveexec_b32 s41, s3
; %bb.194:                              ;   in Loop: Header=BB135_3 Depth=1
	ds_store_b64 v63, v[2:3] offset:28544
; %bb.195:                              ;   in Loop: Header=BB135_3 Depth=1
	s_or_b32 exec_lo, exec_lo, s41
	s_wait_dscnt 0x0
	s_barrier_signal -1
	s_barrier_wait -1
	s_barrier_signal -1
	s_barrier_wait -1
	s_and_saveexec_b32 s41, s97
	s_cbranch_execz .LBB135_197
; %bb.196:                              ;   in Loop: Header=BB135_3 Depth=1
	ds_load_b64 v[2:3], v11 offset:27008
	s_wait_dscnt 0x0
	ds_store_b64 v84, v[2:3] offset:24992
	ds_load_b64 v[2:3], v11 offset:27016
	s_wait_dscnt 0x0
	ds_store_b64 v84, v[2:3] offset:25504
	;; [unrolled: 3-line block ×4, first 2 shown]
.LBB135_197:                            ;   in Loop: Header=BB135_3 Depth=1
	s_or_b32 exec_lo, exec_lo, s41
	s_wait_dscnt 0x0
	s_barrier_signal -1
	s_barrier_wait -1
	s_and_saveexec_b32 s41, s10
	s_cbranch_execz .LBB135_199
; %bb.198:                              ;   in Loop: Header=BB135_3 Depth=1
	ds_load_b64 v[2:3], v7 offset:26512
	v_mov_b32_e32 v0, v7
	ds_store_b64 v7, v[34:35] offset:26520
	s_wait_dscnt 0x1
	ds_store_b128 v7, v[0:3] offset:26000
.LBB135_199:                            ;   in Loop: Header=BB135_3 Depth=1
	s_or_b32 exec_lo, exec_lo, s41
	v_mov_b64_e32 v[2:3], 0
	s_wait_dscnt 0x0
	s_barrier_signal -1
	s_barrier_wait -1
	global_wb scope:SCOPE_DEV
	s_wait_storecnt 0x0
	global_inv scope:SCOPE_DEV
	s_and_saveexec_b32 s41, s1
	s_cbranch_execz .LBB135_203
; %bb.200:                              ;   in Loop: Header=BB135_3 Depth=1
	ds_load_b64 v[2:3], v54 offset:25984
	ds_load_b64 v[48:49], v53 offset:26512
	s_wait_dscnt 0x0
	v_fma_f64 v[2:3], v[2:3], v[48:49], 0
	s_and_saveexec_b32 s42, s11
	s_cbranch_execz .LBB135_202
; %bb.201:                              ;   in Loop: Header=BB135_3 Depth=1
	ds_load_b64 v[48:49], v84 offset:26496
	ds_load_b64 v[50:51], v7 offset:26520
	s_wait_dscnt 0x0
	v_fmac_f64_e32 v[2:3], v[48:49], v[50:51]
.LBB135_202:                            ;   in Loop: Header=BB135_3 Depth=1
	s_or_b32 exec_lo, exec_lo, s42
.LBB135_203:                            ;   in Loop: Header=BB135_3 Depth=1
	s_delay_alu instid0(SALU_CYCLE_1)
	s_or_b32 exec_lo, exec_lo, s41
	s_and_saveexec_b32 s41, s88
; %bb.204:                              ;   in Loop: Header=BB135_3 Depth=1
	s_delay_alu instid0(VALU_DEP_1) | instskip(NEXT) | instid1(VALU_DEP_2)
	v_xor_b32_e32 v49, 0x80000000, v3
	v_mov_b32_e32 v48, v2
	ds_store_b64 v52, v[48:49]
; %bb.205:                              ;   in Loop: Header=BB135_3 Depth=1
	s_or_b32 exec_lo, exec_lo, s41
	s_wait_loadcnt_dscnt 0x0
	s_barrier_signal -1
	s_barrier_wait -1
	s_and_saveexec_b32 s41, s89
	s_cbranch_execz .LBB135_207
; %bb.206:                              ;   in Loop: Header=BB135_3 Depth=1
	ds_load_b64 v[48:49], v7 offset:25472
	ds_load_b64 v[50:51], v52
	s_wait_dscnt 0x0
	v_fma_f64 v[2:3], -v[48:49], v[50:51], v[2:3]
.LBB135_207:                            ;   in Loop: Header=BB135_3 Depth=1
	s_or_b32 exec_lo, exec_lo, s41
	s_barrier_signal -1
	s_barrier_wait -1
	s_and_saveexec_b32 s41, s89
; %bb.208:                              ;   in Loop: Header=BB135_3 Depth=1
	s_delay_alu instid0(VALU_DEP_1) | instskip(NEXT) | instid1(VALU_DEP_2)
	v_xor_b32_e32 v49, 0x80000000, v3
	v_mov_b32_e32 v48, v2
	ds_store_b64 v52, v[48:49]
; %bb.209:                              ;   in Loop: Header=BB135_3 Depth=1
	s_or_b32 exec_lo, exec_lo, s41
	s_wait_dscnt 0x0
	s_barrier_signal -1
	s_barrier_wait -1
	s_barrier_signal -1
	s_barrier_wait -1
	s_and_saveexec_b32 s41, s1
; %bb.210:                              ;   in Loop: Header=BB135_3 Depth=1
	ds_store_b64 v56, v[2:3] offset:26496
; %bb.211:                              ;   in Loop: Header=BB135_3 Depth=1
	s_or_b32 exec_lo, exec_lo, s41
	s_wait_dscnt 0x0
	s_barrier_signal -1
	s_barrier_wait -1
	s_barrier_signal -1
	s_barrier_wait -1
	s_and_saveexec_b32 s41, s90
	s_cbranch_execz .LBB135_213
; %bb.212:                              ;   in Loop: Header=BB135_3 Depth=1
	ds_load_b64 v[2:3], v88 offset:25984
	s_wait_dscnt 0x0
	ds_store_b64 v84, v[2:3] offset:24976
	ds_load_b64 v[2:3], v88 offset:25992
	s_wait_dscnt 0x0
	ds_store_b64 v84, v[2:3] offset:25488
.LBB135_213:                            ;   in Loop: Header=BB135_3 Depth=1
	s_or_b32 exec_lo, exec_lo, s41
	s_wait_dscnt 0x0
	s_barrier_signal -1
	s_barrier_wait -1
	s_and_saveexec_b32 s41, s10
	s_cbranch_execz .LBB135_215
; %bb.214:                              ;   in Loop: Header=BB135_3 Depth=1
	ds_load_b64 v[2:3], v7 offset:25472
	v_mov_b32_e32 v0, v7
	ds_store_b64 v7, v[34:35] offset:25480
	s_wait_dscnt 0x1
	ds_store_b128 v7, v[0:3] offset:24960
.LBB135_215:                            ;   in Loop: Header=BB135_3 Depth=1
	s_or_b32 exec_lo, exec_lo, s41
	v_mov_b64_e32 v[2:3], 0
	s_wait_dscnt 0x0
	s_barrier_signal -1
	s_barrier_wait -1
	global_wb scope:SCOPE_DEV
	s_wait_storecnt 0x0
	global_inv scope:SCOPE_DEV
	s_and_saveexec_b32 s61, s5
	s_cbranch_execz .LBB135_243
; %bb.216:                              ;   in Loop: Header=BB135_3 Depth=1
	ds_load_b64 v[2:3], v76 offset:24832
	ds_load_b64 v[48:49], v75 offset:32640
	s_wait_dscnt 0x0
	v_fma_f64 v[2:3], v[2:3], v[48:49], 0
	s_mov_b32 s41, exec_lo
	v_readlane_b32 s42, v104, 17
	s_and_b32 s42, s41, s42
	s_delay_alu instid0(SALU_CYCLE_1)
	s_mov_b32 exec_lo, s42
	s_cbranch_execz .LBB135_218
; %bb.217:                              ;   in Loop: Header=BB135_3 Depth=1
	ds_load_b64 v[48:49], v76 offset:25344
	ds_load_b64 v[50:51], v75 offset:32648
	s_wait_dscnt 0x0
	v_fmac_f64_e32 v[2:3], v[48:49], v[50:51]
.LBB135_218:                            ;   in Loop: Header=BB135_3 Depth=1
	s_or_b32 exec_lo, exec_lo, s41
	s_delay_alu instid0(SALU_CYCLE_1) | instskip(SKIP_2) | instid1(SALU_CYCLE_1)
	s_mov_b32 s41, exec_lo
	v_readlane_b32 s42, v104, 18
	s_and_b32 s42, s41, s42
	s_mov_b32 exec_lo, s42
	s_cbranch_execz .LBB135_220
; %bb.219:                              ;   in Loop: Header=BB135_3 Depth=1
	ds_load_b64 v[48:49], v76 offset:25856
	ds_load_b64 v[50:51], v75 offset:32656
	s_wait_dscnt 0x0
	v_fmac_f64_e32 v[2:3], v[48:49], v[50:51]
.LBB135_220:                            ;   in Loop: Header=BB135_3 Depth=1
	s_or_b32 exec_lo, exec_lo, s41
	s_delay_alu instid0(SALU_CYCLE_1) | instskip(SKIP_2) | instid1(SALU_CYCLE_1)
	s_mov_b32 s41, exec_lo
	v_readlane_b32 s42, v104, 19
	s_and_b32 s42, s41, s42
	;; [unrolled: 13-line block ×10, first 2 shown]
	s_mov_b32 exec_lo, s42
	s_cbranch_execnz .LBB135_1077
; %bb.237:                              ;   in Loop: Header=BB135_3 Depth=1
	s_or_b32 exec_lo, exec_lo, s41
	s_and_saveexec_b32 s41, s4
	s_cbranch_execnz .LBB135_1078
.LBB135_238:                            ;   in Loop: Header=BB135_3 Depth=1
	s_or_b32 exec_lo, exec_lo, s41
	s_and_saveexec_b32 s41, s15
	s_cbranch_execnz .LBB135_1079
.LBB135_239:                            ;   in Loop: Header=BB135_3 Depth=1
	s_or_b32 exec_lo, exec_lo, s41
	s_and_saveexec_b32 s41, s17
	s_cbranch_execnz .LBB135_1080
.LBB135_240:                            ;   in Loop: Header=BB135_3 Depth=1
	s_or_b32 exec_lo, exec_lo, s41
	s_and_saveexec_b32 s41, s3
	s_cbranch_execz .LBB135_242
.LBB135_241:                            ;   in Loop: Header=BB135_3 Depth=1
	ds_load_b64 v[48:49], v55 offset:32512
	ds_load_b64 v[50:51], v7 offset:32760
	s_wait_dscnt 0x0
	v_fmac_f64_e32 v[2:3], v[48:49], v[50:51]
.LBB135_242:                            ;   in Loop: Header=BB135_3 Depth=1
	s_or_b32 exec_lo, exec_lo, s41
.LBB135_243:                            ;   in Loop: Header=BB135_3 Depth=1
	s_delay_alu instid0(SALU_CYCLE_1) | instskip(NEXT) | instid1(SALU_CYCLE_1)
	s_or_b32 exec_lo, exec_lo, s61
	s_mov_b32 s41, exec_lo
	v_readlane_b32 s42, v104, 2
	s_and_b32 s42, s41, s42
	s_delay_alu instid0(SALU_CYCLE_1)
	s_mov_b32 exec_lo, s42
; %bb.244:                              ;   in Loop: Header=BB135_3 Depth=1
	v_xor_b32_e32 v49, 0x80000000, v3
	v_mov_b32_e32 v48, v2
	ds_store_b64 v74, v[48:49]
; %bb.245:                              ;   in Loop: Header=BB135_3 Depth=1
	s_or_b32 exec_lo, exec_lo, s41
	s_wait_loadcnt_dscnt 0x0
	s_barrier_signal -1
	s_barrier_wait -1
	s_mov_b32 s41, exec_lo
	v_readlane_b32 s42, v104, 3
	s_and_b32 s42, s41, s42
	s_delay_alu instid0(SALU_CYCLE_1)
	s_mov_b32 exec_lo, s42
	s_cbranch_execz .LBB135_247
; %bb.246:                              ;   in Loop: Header=BB135_3 Depth=1
	ds_load_b64 v[48:49], v76 offset:24320
	ds_load_b64 v[50:51], v74
	s_wait_dscnt 0x0
	v_fma_f64 v[2:3], -v[48:49], v[50:51], v[2:3]
.LBB135_247:                            ;   in Loop: Header=BB135_3 Depth=1
	s_or_b32 exec_lo, exec_lo, s41
	s_barrier_signal -1
	s_barrier_wait -1
	s_mov_b32 s41, exec_lo
	v_readlane_b32 s42, v104, 4
	s_and_b32 s42, s41, s42
	s_delay_alu instid0(SALU_CYCLE_1)
	s_mov_b32 exec_lo, s42
; %bb.248:                              ;   in Loop: Header=BB135_3 Depth=1
	v_xor_b32_e32 v49, 0x80000000, v3
	v_mov_b32_e32 v48, v2
	ds_store_b64 v74, v[48:49]
; %bb.249:                              ;   in Loop: Header=BB135_3 Depth=1
	s_or_b32 exec_lo, exec_lo, s41
	s_wait_dscnt 0x0
	s_barrier_signal -1
	s_barrier_wait -1
	s_mov_b32 s41, exec_lo
	v_readlane_b32 s42, v104, 5
	s_and_b32 s42, s41, s42
	s_delay_alu instid0(SALU_CYCLE_1)
	s_mov_b32 exec_lo, s42
	s_cbranch_execz .LBB135_251
; %bb.250:                              ;   in Loop: Header=BB135_3 Depth=1
	ds_load_b64 v[48:49], v76 offset:23808
	ds_load_b64 v[50:51], v74
	s_wait_dscnt 0x0
	v_fma_f64 v[2:3], -v[48:49], v[50:51], v[2:3]
.LBB135_251:                            ;   in Loop: Header=BB135_3 Depth=1
	s_or_b32 exec_lo, exec_lo, s41
	s_barrier_signal -1
	s_barrier_wait -1
	s_mov_b32 s41, exec_lo
	v_readlane_b32 s42, v104, 6
	s_and_b32 s42, s41, s42
	s_delay_alu instid0(SALU_CYCLE_1)
	s_mov_b32 exec_lo, s42
; %bb.252:                              ;   in Loop: Header=BB135_3 Depth=1
	v_xor_b32_e32 v49, 0x80000000, v3
	v_mov_b32_e32 v48, v2
	ds_store_b64 v74, v[48:49]
; %bb.253:                              ;   in Loop: Header=BB135_3 Depth=1
	s_or_b32 exec_lo, exec_lo, s41
	s_wait_dscnt 0x0
	s_barrier_signal -1
	s_barrier_wait -1
	s_and_saveexec_b32 s41, s44
	s_cbranch_execz .LBB135_255
; %bb.254:                              ;   in Loop: Header=BB135_3 Depth=1
	ds_load_b64 v[48:49], v76 offset:23296
	ds_load_b64 v[50:51], v74
	s_wait_dscnt 0x0
	v_fma_f64 v[2:3], -v[48:49], v[50:51], v[2:3]
.LBB135_255:                            ;   in Loop: Header=BB135_3 Depth=1
	s_or_b32 exec_lo, exec_lo, s41
	s_barrier_signal -1
	s_barrier_wait -1
	s_and_saveexec_b32 s41, s45
; %bb.256:                              ;   in Loop: Header=BB135_3 Depth=1
	s_delay_alu instid0(VALU_DEP_1) | instskip(NEXT) | instid1(VALU_DEP_2)
	v_xor_b32_e32 v49, 0x80000000, v3
	v_mov_b32_e32 v48, v2
	ds_store_b64 v74, v[48:49]
; %bb.257:                              ;   in Loop: Header=BB135_3 Depth=1
	s_or_b32 exec_lo, exec_lo, s41
	s_wait_dscnt 0x0
	s_barrier_signal -1
	s_barrier_wait -1
	s_and_saveexec_b32 s41, s46
	s_cbranch_execz .LBB135_259
; %bb.258:                              ;   in Loop: Header=BB135_3 Depth=1
	ds_load_b64 v[48:49], v76 offset:22784
	ds_load_b64 v[50:51], v74
	s_wait_dscnt 0x0
	v_fma_f64 v[2:3], -v[48:49], v[50:51], v[2:3]
.LBB135_259:                            ;   in Loop: Header=BB135_3 Depth=1
	s_or_b32 exec_lo, exec_lo, s41
	s_barrier_signal -1
	s_barrier_wait -1
	s_and_saveexec_b32 s41, s47
; %bb.260:                              ;   in Loop: Header=BB135_3 Depth=1
	s_delay_alu instid0(VALU_DEP_1) | instskip(NEXT) | instid1(VALU_DEP_2)
	;; [unrolled: 22-line block ×13, first 2 shown]
	v_xor_b32_e32 v49, 0x80000000, v3
	v_mov_b32_e32 v48, v2
	ds_store_b64 v74, v[48:49]
; %bb.305:                              ;   in Loop: Header=BB135_3 Depth=1
	s_or_b32 exec_lo, exec_lo, s41
	s_wait_dscnt 0x0
	s_barrier_signal -1
	s_barrier_wait -1
	s_barrier_signal -1
	s_barrier_wait -1
	s_and_saveexec_b32 s41, s5
; %bb.306:                              ;   in Loop: Header=BB135_3 Depth=1
	ds_store_b64 v78, v[2:3] offset:32512
; %bb.307:                              ;   in Loop: Header=BB135_3 Depth=1
	s_or_b32 exec_lo, exec_lo, s41
	s_wait_dscnt 0x0
	s_barrier_signal -1
	s_barrier_wait -1
	s_barrier_signal -1
	s_barrier_wait -1
	s_and_saveexec_b32 s41, s28
	s_cbranch_execz .LBB135_309
; %bb.308:                              ;   in Loop: Header=BB135_3 Depth=1
	ds_load_b64 v[2:3], v57 offset:24832
	s_wait_dscnt 0x0
	ds_store_b64 v61, v[2:3] offset:16768
	ds_load_b64 v[2:3], v57 offset:24840
	s_wait_dscnt 0x0
	ds_store_b64 v61, v[2:3] offset:17280
	;; [unrolled: 3-line block ×16, first 2 shown]
.LBB135_309:                            ;   in Loop: Header=BB135_3 Depth=1
	s_or_b32 exec_lo, exec_lo, s41
	s_wait_dscnt 0x0
	s_barrier_signal -1
	s_barrier_wait -1
	s_and_saveexec_b32 s41, s10
	s_cbranch_execz .LBB135_311
; %bb.310:                              ;   in Loop: Header=BB135_3 Depth=1
	ds_load_b64 v[2:3], v7 offset:24432
	v_mov_b32_e32 v0, v7
	ds_store_b64 v7, v[34:35] offset:24440
	s_wait_dscnt 0x1
	ds_store_b128 v7, v[0:3] offset:23920
.LBB135_311:                            ;   in Loop: Header=BB135_3 Depth=1
	s_or_b32 exec_lo, exec_lo, s41
	v_mov_b64_e32 v[2:3], 0
	s_wait_dscnt 0x0
	s_barrier_signal -1
	s_barrier_wait -1
	global_wb scope:SCOPE_DEV
	s_wait_storecnt 0x0
	global_inv scope:SCOPE_DEV
	s_and_saveexec_b32 s41, s1
	s_cbranch_execz .LBB135_315
; %bb.312:                              ;   in Loop: Header=BB135_3 Depth=1
	ds_load_b64 v[2:3], v54 offset:23904
	ds_load_b64 v[48:49], v53 offset:24432
	s_wait_dscnt 0x0
	v_fma_f64 v[2:3], v[2:3], v[48:49], 0
	s_and_saveexec_b32 s42, s11
	s_cbranch_execz .LBB135_314
; %bb.313:                              ;   in Loop: Header=BB135_3 Depth=1
	ds_load_b64 v[48:49], v55 offset:24416
	ds_load_b64 v[50:51], v7 offset:24440
	s_wait_dscnt 0x0
	v_fmac_f64_e32 v[2:3], v[48:49], v[50:51]
.LBB135_314:                            ;   in Loop: Header=BB135_3 Depth=1
	s_or_b32 exec_lo, exec_lo, s42
.LBB135_315:                            ;   in Loop: Header=BB135_3 Depth=1
	s_delay_alu instid0(SALU_CYCLE_1)
	s_or_b32 exec_lo, exec_lo, s41
	s_and_saveexec_b32 s41, s88
; %bb.316:                              ;   in Loop: Header=BB135_3 Depth=1
	s_delay_alu instid0(VALU_DEP_1) | instskip(NEXT) | instid1(VALU_DEP_2)
	v_xor_b32_e32 v49, 0x80000000, v3
	v_mov_b32_e32 v48, v2
	ds_store_b64 v52, v[48:49]
; %bb.317:                              ;   in Loop: Header=BB135_3 Depth=1
	s_or_b32 exec_lo, exec_lo, s41
	s_wait_loadcnt_dscnt 0x0
	s_barrier_signal -1
	s_barrier_wait -1
	s_and_saveexec_b32 s41, s89
	s_cbranch_execz .LBB135_319
; %bb.318:                              ;   in Loop: Header=BB135_3 Depth=1
	ds_load_b64 v[48:49], v7 offset:23392
	ds_load_b64 v[50:51], v52
	s_wait_dscnt 0x0
	v_fma_f64 v[2:3], -v[48:49], v[50:51], v[2:3]
.LBB135_319:                            ;   in Loop: Header=BB135_3 Depth=1
	s_or_b32 exec_lo, exec_lo, s41
	s_barrier_signal -1
	s_barrier_wait -1
	s_and_saveexec_b32 s41, s89
; %bb.320:                              ;   in Loop: Header=BB135_3 Depth=1
	s_delay_alu instid0(VALU_DEP_1) | instskip(NEXT) | instid1(VALU_DEP_2)
	v_xor_b32_e32 v49, 0x80000000, v3
	v_mov_b32_e32 v48, v2
	ds_store_b64 v52, v[48:49]
; %bb.321:                              ;   in Loop: Header=BB135_3 Depth=1
	s_or_b32 exec_lo, exec_lo, s41
	s_wait_dscnt 0x0
	s_barrier_signal -1
	s_barrier_wait -1
	s_barrier_signal -1
	s_barrier_wait -1
	s_and_saveexec_b32 s41, s1
; %bb.322:                              ;   in Loop: Header=BB135_3 Depth=1
	ds_store_b64 v56, v[2:3] offset:24416
; %bb.323:                              ;   in Loop: Header=BB135_3 Depth=1
	s_or_b32 exec_lo, exec_lo, s41
	s_wait_dscnt 0x0
	s_barrier_signal -1
	s_barrier_wait -1
	s_barrier_signal -1
	s_barrier_wait -1
	s_and_saveexec_b32 s41, s90
	s_cbranch_execz .LBB135_325
; %bb.324:                              ;   in Loop: Header=BB135_3 Depth=1
	ds_load_b64 v[2:3], v57 offset:23904
	s_wait_dscnt 0x0
	ds_store_b64 v55, v[2:3] offset:22896
	ds_load_b64 v[2:3], v57 offset:23912
	s_wait_dscnt 0x0
	ds_store_b64 v55, v[2:3] offset:23408
.LBB135_325:                            ;   in Loop: Header=BB135_3 Depth=1
	s_or_b32 exec_lo, exec_lo, s41
	s_wait_dscnt 0x0
	s_barrier_signal -1
	s_barrier_wait -1
	s_and_saveexec_b32 s41, s10
	s_cbranch_execz .LBB135_327
; %bb.326:                              ;   in Loop: Header=BB135_3 Depth=1
	ds_load_b64 v[2:3], v7 offset:23392
	v_mov_b32_e32 v0, v7
	ds_store_b64 v7, v[34:35] offset:23400
	s_wait_dscnt 0x1
	ds_store_b128 v7, v[0:3] offset:22880
.LBB135_327:                            ;   in Loop: Header=BB135_3 Depth=1
	s_or_b32 exec_lo, exec_lo, s41
	v_mov_b64_e32 v[2:3], 0
	s_wait_dscnt 0x0
	s_barrier_signal -1
	s_barrier_wait -1
	global_wb scope:SCOPE_DEV
	s_wait_storecnt 0x0
	global_inv scope:SCOPE_DEV
	s_and_saveexec_b32 s41, s3
	s_cbranch_execz .LBB135_333
; %bb.328:                              ;   in Loop: Header=BB135_3 Depth=1
	ds_load_b64 v[2:3], v60 offset:22848
	ds_load_b64 v[48:49], v59 offset:24416
	s_wait_dscnt 0x0
	v_fma_f64 v[2:3], v[2:3], v[48:49], 0
	s_and_saveexec_b32 s42, s12
	s_cbranch_execnz .LBB135_1081
; %bb.329:                              ;   in Loop: Header=BB135_3 Depth=1
	s_or_b32 exec_lo, exec_lo, s42
	s_and_saveexec_b32 s42, s13
	s_cbranch_execnz .LBB135_1082
.LBB135_330:                            ;   in Loop: Header=BB135_3 Depth=1
	s_or_b32 exec_lo, exec_lo, s42
	s_and_saveexec_b32 s42, s1
	s_cbranch_execz .LBB135_332
.LBB135_331:                            ;   in Loop: Header=BB135_3 Depth=1
	ds_load_b64 v[48:49], v61 offset:24384
	ds_load_b64 v[50:51], v7 offset:24440
	s_wait_dscnt 0x0
	v_fmac_f64_e32 v[2:3], v[48:49], v[50:51]
.LBB135_332:                            ;   in Loop: Header=BB135_3 Depth=1
	s_or_b32 exec_lo, exec_lo, s42
.LBB135_333:                            ;   in Loop: Header=BB135_3 Depth=1
	s_delay_alu instid0(SALU_CYCLE_1)
	s_or_b32 exec_lo, exec_lo, s41
	s_and_saveexec_b32 s41, s91
; %bb.334:                              ;   in Loop: Header=BB135_3 Depth=1
	s_delay_alu instid0(VALU_DEP_1) | instskip(NEXT) | instid1(VALU_DEP_2)
	v_xor_b32_e32 v49, 0x80000000, v3
	v_mov_b32_e32 v48, v2
	ds_store_b64 v58, v[48:49]
; %bb.335:                              ;   in Loop: Header=BB135_3 Depth=1
	s_or_b32 exec_lo, exec_lo, s41
	s_wait_loadcnt_dscnt 0x0
	s_barrier_signal -1
	s_barrier_wait -1
	s_and_saveexec_b32 s41, s92
	s_cbranch_execz .LBB135_337
; %bb.336:                              ;   in Loop: Header=BB135_3 Depth=1
	ds_load_b64 v[48:49], v60 offset:22336
	ds_load_b64 v[50:51], v58
	s_wait_dscnt 0x0
	v_fma_f64 v[2:3], -v[48:49], v[50:51], v[2:3]
.LBB135_337:                            ;   in Loop: Header=BB135_3 Depth=1
	s_or_b32 exec_lo, exec_lo, s41
	s_barrier_signal -1
	s_barrier_wait -1
	s_and_saveexec_b32 s41, s93
; %bb.338:                              ;   in Loop: Header=BB135_3 Depth=1
	s_delay_alu instid0(VALU_DEP_1) | instskip(NEXT) | instid1(VALU_DEP_2)
	v_xor_b32_e32 v49, 0x80000000, v3
	v_mov_b32_e32 v48, v2
	ds_store_b64 v58, v[48:49]
; %bb.339:                              ;   in Loop: Header=BB135_3 Depth=1
	s_or_b32 exec_lo, exec_lo, s41
	s_wait_dscnt 0x0
	s_barrier_signal -1
	s_barrier_wait -1
	s_and_saveexec_b32 s41, s94
	s_cbranch_execz .LBB135_341
; %bb.340:                              ;   in Loop: Header=BB135_3 Depth=1
	ds_load_b64 v[48:49], v60 offset:21824
	ds_load_b64 v[50:51], v58
	s_wait_dscnt 0x0
	v_fma_f64 v[2:3], -v[48:49], v[50:51], v[2:3]
.LBB135_341:                            ;   in Loop: Header=BB135_3 Depth=1
	s_or_b32 exec_lo, exec_lo, s41
	s_barrier_signal -1
	s_barrier_wait -1
	s_and_saveexec_b32 s41, s95
; %bb.342:                              ;   in Loop: Header=BB135_3 Depth=1
	s_delay_alu instid0(VALU_DEP_1) | instskip(NEXT) | instid1(VALU_DEP_2)
	v_xor_b32_e32 v49, 0x80000000, v3
	v_mov_b32_e32 v48, v2
	ds_store_b64 v58, v[48:49]
; %bb.343:                              ;   in Loop: Header=BB135_3 Depth=1
	s_or_b32 exec_lo, exec_lo, s41
	s_wait_dscnt 0x0
	;; [unrolled: 22-line block ×3, first 2 shown]
	s_barrier_signal -1
	s_barrier_wait -1
	s_barrier_signal -1
	s_barrier_wait -1
	s_and_saveexec_b32 s41, s3
; %bb.348:                              ;   in Loop: Header=BB135_3 Depth=1
	ds_store_b64 v63, v[2:3] offset:24384
; %bb.349:                              ;   in Loop: Header=BB135_3 Depth=1
	s_or_b32 exec_lo, exec_lo, s41
	s_wait_dscnt 0x0
	s_barrier_signal -1
	s_barrier_wait -1
	s_barrier_signal -1
	s_barrier_wait -1
	s_and_saveexec_b32 s41, s97
	s_cbranch_execz .LBB135_351
; %bb.350:                              ;   in Loop: Header=BB135_3 Depth=1
	ds_load_b64 v[2:3], v62 offset:22848
	s_wait_dscnt 0x0
	ds_store_b64 v64, v[2:3] offset:20832
	ds_load_b64 v[2:3], v62 offset:22856
	s_wait_dscnt 0x0
	ds_store_b64 v64, v[2:3] offset:21344
	;; [unrolled: 3-line block ×4, first 2 shown]
.LBB135_351:                            ;   in Loop: Header=BB135_3 Depth=1
	s_or_b32 exec_lo, exec_lo, s41
	s_wait_dscnt 0x0
	s_barrier_signal -1
	s_barrier_wait -1
	s_and_saveexec_b32 s41, s10
	s_cbranch_execz .LBB135_353
; %bb.352:                              ;   in Loop: Header=BB135_3 Depth=1
	ds_load_b64 v[2:3], v7 offset:22352
	v_mov_b32_e32 v0, v7
	ds_store_b64 v7, v[34:35] offset:22360
	s_wait_dscnt 0x1
	ds_store_b128 v7, v[0:3] offset:21840
.LBB135_353:                            ;   in Loop: Header=BB135_3 Depth=1
	s_or_b32 exec_lo, exec_lo, s41
	v_mov_b64_e32 v[2:3], 0
	s_wait_dscnt 0x0
	s_barrier_signal -1
	s_barrier_wait -1
	global_wb scope:SCOPE_DEV
	s_wait_storecnt 0x0
	global_inv scope:SCOPE_DEV
	s_and_saveexec_b32 s41, s1
	s_cbranch_execz .LBB135_357
; %bb.354:                              ;   in Loop: Header=BB135_3 Depth=1
	ds_load_b64 v[2:3], v54 offset:21824
	ds_load_b64 v[48:49], v53 offset:22352
	s_wait_dscnt 0x0
	v_fma_f64 v[2:3], v[2:3], v[48:49], 0
	s_and_saveexec_b32 s42, s11
	s_cbranch_execz .LBB135_356
; %bb.355:                              ;   in Loop: Header=BB135_3 Depth=1
	ds_load_b64 v[48:49], v64 offset:22336
	ds_load_b64 v[50:51], v7 offset:22360
	s_wait_dscnt 0x0
	v_fmac_f64_e32 v[2:3], v[48:49], v[50:51]
.LBB135_356:                            ;   in Loop: Header=BB135_3 Depth=1
	s_or_b32 exec_lo, exec_lo, s42
.LBB135_357:                            ;   in Loop: Header=BB135_3 Depth=1
	s_delay_alu instid0(SALU_CYCLE_1)
	s_or_b32 exec_lo, exec_lo, s41
	s_and_saveexec_b32 s41, s88
; %bb.358:                              ;   in Loop: Header=BB135_3 Depth=1
	s_delay_alu instid0(VALU_DEP_1) | instskip(NEXT) | instid1(VALU_DEP_2)
	v_xor_b32_e32 v49, 0x80000000, v3
	v_mov_b32_e32 v48, v2
	ds_store_b64 v52, v[48:49]
; %bb.359:                              ;   in Loop: Header=BB135_3 Depth=1
	s_or_b32 exec_lo, exec_lo, s41
	s_wait_loadcnt_dscnt 0x0
	s_barrier_signal -1
	s_barrier_wait -1
	s_and_saveexec_b32 s41, s89
	s_cbranch_execz .LBB135_361
; %bb.360:                              ;   in Loop: Header=BB135_3 Depth=1
	ds_load_b64 v[48:49], v7 offset:21312
	ds_load_b64 v[50:51], v52
	s_wait_dscnt 0x0
	v_fma_f64 v[2:3], -v[48:49], v[50:51], v[2:3]
.LBB135_361:                            ;   in Loop: Header=BB135_3 Depth=1
	s_or_b32 exec_lo, exec_lo, s41
	s_barrier_signal -1
	s_barrier_wait -1
	s_and_saveexec_b32 s41, s89
; %bb.362:                              ;   in Loop: Header=BB135_3 Depth=1
	s_delay_alu instid0(VALU_DEP_1) | instskip(NEXT) | instid1(VALU_DEP_2)
	v_xor_b32_e32 v49, 0x80000000, v3
	v_mov_b32_e32 v48, v2
	ds_store_b64 v52, v[48:49]
; %bb.363:                              ;   in Loop: Header=BB135_3 Depth=1
	s_or_b32 exec_lo, exec_lo, s41
	s_wait_dscnt 0x0
	s_barrier_signal -1
	s_barrier_wait -1
	s_barrier_signal -1
	s_barrier_wait -1
	s_and_saveexec_b32 s41, s1
; %bb.364:                              ;   in Loop: Header=BB135_3 Depth=1
	ds_store_b64 v56, v[2:3] offset:22336
; %bb.365:                              ;   in Loop: Header=BB135_3 Depth=1
	s_or_b32 exec_lo, exec_lo, s41
	s_wait_dscnt 0x0
	s_barrier_signal -1
	s_barrier_wait -1
	s_barrier_signal -1
	s_barrier_wait -1
	s_and_saveexec_b32 s41, s90
	s_cbranch_execz .LBB135_367
; %bb.366:                              ;   in Loop: Header=BB135_3 Depth=1
	ds_load_b64 v[2:3], v65 offset:21824
	s_wait_dscnt 0x0
	ds_store_b64 v64, v[2:3] offset:20816
	ds_load_b64 v[2:3], v65 offset:21832
	s_wait_dscnt 0x0
	ds_store_b64 v64, v[2:3] offset:21328
.LBB135_367:                            ;   in Loop: Header=BB135_3 Depth=1
	s_or_b32 exec_lo, exec_lo, s41
	s_wait_dscnt 0x0
	s_barrier_signal -1
	s_barrier_wait -1
	s_and_saveexec_b32 s41, s10
	s_cbranch_execz .LBB135_369
; %bb.368:                              ;   in Loop: Header=BB135_3 Depth=1
	ds_load_b64 v[2:3], v7 offset:21312
	v_mov_b32_e32 v0, v7
	ds_store_b64 v7, v[34:35] offset:21320
	s_wait_dscnt 0x1
	ds_store_b128 v7, v[0:3] offset:20800
.LBB135_369:                            ;   in Loop: Header=BB135_3 Depth=1
	s_or_b32 exec_lo, exec_lo, s41
	v_mov_b64_e32 v[2:3], 0
	s_wait_dscnt 0x0
	s_barrier_signal -1
	s_barrier_wait -1
	global_wb scope:SCOPE_DEV
	s_wait_storecnt 0x0
	global_inv scope:SCOPE_DEV
	s_and_saveexec_b32 s41, s4
	s_cbranch_execz .LBB135_379
; %bb.370:                              ;   in Loop: Header=BB135_3 Depth=1
	ds_load_b64 v[2:3], v68 offset:20736
	ds_load_b64 v[48:49], v67 offset:24384
	s_wait_dscnt 0x0
	v_fma_f64 v[2:3], v[2:3], v[48:49], 0
	s_and_saveexec_b32 s42, s14
	s_cbranch_execnz .LBB135_1083
; %bb.371:                              ;   in Loop: Header=BB135_3 Depth=1
	s_or_b32 exec_lo, exec_lo, s42
	s_and_saveexec_b32 s42, s15
	s_cbranch_execnz .LBB135_1084
.LBB135_372:                            ;   in Loop: Header=BB135_3 Depth=1
	s_or_b32 exec_lo, exec_lo, s42
	s_and_saveexec_b32 s42, s16
	s_cbranch_execnz .LBB135_1085
.LBB135_373:                            ;   in Loop: Header=BB135_3 Depth=1
	s_or_b32 exec_lo, exec_lo, s42
	s_and_saveexec_b32 s42, s17
	s_cbranch_execnz .LBB135_1086
.LBB135_374:                            ;   in Loop: Header=BB135_3 Depth=1
	s_or_b32 exec_lo, exec_lo, s42
	s_and_saveexec_b32 s42, s18
	s_cbranch_execnz .LBB135_1087
.LBB135_375:                            ;   in Loop: Header=BB135_3 Depth=1
	s_or_b32 exec_lo, exec_lo, s42
	s_and_saveexec_b32 s42, s3
	s_cbranch_execnz .LBB135_1088
.LBB135_376:                            ;   in Loop: Header=BB135_3 Depth=1
	s_or_b32 exec_lo, exec_lo, s42
	s_and_saveexec_b32 s42, s13
	s_cbranch_execz .LBB135_378
.LBB135_377:                            ;   in Loop: Header=BB135_3 Depth=1
	ds_load_b64 v[48:49], v69 offset:24320
	ds_load_b64 v[50:51], v7 offset:24440
	s_wait_dscnt 0x0
	v_fmac_f64_e32 v[2:3], v[48:49], v[50:51]
.LBB135_378:                            ;   in Loop: Header=BB135_3 Depth=1
	s_or_b32 exec_lo, exec_lo, s42
.LBB135_379:                            ;   in Loop: Header=BB135_3 Depth=1
	s_delay_alu instid0(SALU_CYCLE_1)
	s_or_b32 exec_lo, exec_lo, s41
	s_and_saveexec_b32 s41, s98
; %bb.380:                              ;   in Loop: Header=BB135_3 Depth=1
	s_delay_alu instid0(VALU_DEP_1) | instskip(NEXT) | instid1(VALU_DEP_2)
	v_xor_b32_e32 v49, 0x80000000, v3
	v_mov_b32_e32 v48, v2
	ds_store_b64 v66, v[48:49]
; %bb.381:                              ;   in Loop: Header=BB135_3 Depth=1
	s_or_b32 exec_lo, exec_lo, s41
	s_wait_loadcnt_dscnt 0x0
	s_barrier_signal -1
	s_barrier_wait -1
	s_and_saveexec_b32 s41, s99
	s_cbranch_execz .LBB135_383
; %bb.382:                              ;   in Loop: Header=BB135_3 Depth=1
	ds_load_b64 v[48:49], v68 offset:20224
	ds_load_b64 v[50:51], v66
	s_wait_dscnt 0x0
	v_fma_f64 v[2:3], -v[48:49], v[50:51], v[2:3]
.LBB135_383:                            ;   in Loop: Header=BB135_3 Depth=1
	s_or_b32 exec_lo, exec_lo, s41
	s_barrier_signal -1
	s_barrier_wait -1
	s_and_saveexec_b32 s41, s100
; %bb.384:                              ;   in Loop: Header=BB135_3 Depth=1
	s_delay_alu instid0(VALU_DEP_1) | instskip(NEXT) | instid1(VALU_DEP_2)
	v_xor_b32_e32 v49, 0x80000000, v3
	v_mov_b32_e32 v48, v2
	ds_store_b64 v66, v[48:49]
; %bb.385:                              ;   in Loop: Header=BB135_3 Depth=1
	s_or_b32 exec_lo, exec_lo, s41
	s_wait_dscnt 0x0
	s_barrier_signal -1
	s_barrier_wait -1
	s_and_saveexec_b32 s41, s101
	s_cbranch_execz .LBB135_387
; %bb.386:                              ;   in Loop: Header=BB135_3 Depth=1
	ds_load_b64 v[48:49], v68 offset:19712
	ds_load_b64 v[50:51], v66
	s_wait_dscnt 0x0
	v_fma_f64 v[2:3], -v[48:49], v[50:51], v[2:3]
.LBB135_387:                            ;   in Loop: Header=BB135_3 Depth=1
	s_or_b32 exec_lo, exec_lo, s41
	s_barrier_signal -1
	s_barrier_wait -1
	s_and_saveexec_b32 s41, s102
; %bb.388:                              ;   in Loop: Header=BB135_3 Depth=1
	s_delay_alu instid0(VALU_DEP_1) | instskip(NEXT) | instid1(VALU_DEP_2)
	v_xor_b32_e32 v49, 0x80000000, v3
	v_mov_b32_e32 v48, v2
	ds_store_b64 v66, v[48:49]
; %bb.389:                              ;   in Loop: Header=BB135_3 Depth=1
	s_or_b32 exec_lo, exec_lo, s41
	s_wait_dscnt 0x0
	;; [unrolled: 22-line block ×3, first 2 shown]
	s_barrier_signal -1
	s_barrier_wait -1
	s_and_saveexec_b32 s41, vcc_hi
	s_cbranch_execz .LBB135_395
; %bb.394:                              ;   in Loop: Header=BB135_3 Depth=1
	ds_load_b64 v[48:49], v68 offset:18688
	ds_load_b64 v[50:51], v66
	s_wait_dscnt 0x0
	v_fma_f64 v[2:3], -v[48:49], v[50:51], v[2:3]
.LBB135_395:                            ;   in Loop: Header=BB135_3 Depth=1
	s_or_b32 exec_lo, exec_lo, s41
	s_barrier_signal -1
	s_barrier_wait -1
	s_and_saveexec_b32 s41, s31
; %bb.396:                              ;   in Loop: Header=BB135_3 Depth=1
	s_delay_alu instid0(VALU_DEP_1) | instskip(NEXT) | instid1(VALU_DEP_2)
	v_xor_b32_e32 v49, 0x80000000, v3
	v_mov_b32_e32 v48, v2
	ds_store_b64 v66, v[48:49]
; %bb.397:                              ;   in Loop: Header=BB135_3 Depth=1
	s_or_b32 exec_lo, exec_lo, s41
	s_wait_dscnt 0x0
	s_barrier_signal -1
	s_barrier_wait -1
	s_and_saveexec_b32 s41, s33
	s_cbranch_execz .LBB135_399
; %bb.398:                              ;   in Loop: Header=BB135_3 Depth=1
	ds_load_b64 v[48:49], v68 offset:18176
	ds_load_b64 v[50:51], v66
	s_wait_dscnt 0x0
	v_fma_f64 v[2:3], -v[48:49], v[50:51], v[2:3]
.LBB135_399:                            ;   in Loop: Header=BB135_3 Depth=1
	s_or_b32 exec_lo, exec_lo, s41
	s_barrier_signal -1
	s_barrier_wait -1
	s_and_saveexec_b32 s41, s34
; %bb.400:                              ;   in Loop: Header=BB135_3 Depth=1
	s_delay_alu instid0(VALU_DEP_1) | instskip(NEXT) | instid1(VALU_DEP_2)
	v_xor_b32_e32 v49, 0x80000000, v3
	v_mov_b32_e32 v48, v2
	ds_store_b64 v66, v[48:49]
; %bb.401:                              ;   in Loop: Header=BB135_3 Depth=1
	s_or_b32 exec_lo, exec_lo, s41
	s_wait_dscnt 0x0
	s_barrier_signal -1
	s_barrier_wait -1
	s_and_saveexec_b32 s41, s35
	;; [unrolled: 22-line block ×3, first 2 shown]
	s_cbranch_execz .LBB135_407
; %bb.406:                              ;   in Loop: Header=BB135_3 Depth=1
	ds_load_b64 v[48:49], v7 offset:17152
	ds_load_b64 v[50:51], v66
	s_wait_dscnt 0x0
	v_fma_f64 v[2:3], -v[48:49], v[50:51], v[2:3]
.LBB135_407:                            ;   in Loop: Header=BB135_3 Depth=1
	s_or_b32 exec_lo, exec_lo, s41
	s_barrier_signal -1
	s_barrier_wait -1
	s_and_saveexec_b32 s41, s37
; %bb.408:                              ;   in Loop: Header=BB135_3 Depth=1
	s_delay_alu instid0(VALU_DEP_1) | instskip(NEXT) | instid1(VALU_DEP_2)
	v_xor_b32_e32 v49, 0x80000000, v3
	v_mov_b32_e32 v48, v2
	ds_store_b64 v66, v[48:49]
; %bb.409:                              ;   in Loop: Header=BB135_3 Depth=1
	s_or_b32 exec_lo, exec_lo, s41
	s_wait_dscnt 0x0
	s_barrier_signal -1
	s_barrier_wait -1
	s_barrier_signal -1
	s_barrier_wait -1
	s_and_saveexec_b32 s41, s4
; %bb.410:                              ;   in Loop: Header=BB135_3 Depth=1
	ds_store_b64 v72, v[2:3] offset:24320
; %bb.411:                              ;   in Loop: Header=BB135_3 Depth=1
	s_or_b32 exec_lo, exec_lo, s41
	s_wait_dscnt 0x0
	s_barrier_signal -1
	s_barrier_wait -1
	s_barrier_signal -1
	s_barrier_wait -1
	s_and_saveexec_b32 s41, s38
	s_cbranch_execz .LBB135_413
; %bb.412:                              ;   in Loop: Header=BB135_3 Depth=1
	ds_load_b64 v[2:3], v70 offset:20736
	s_wait_dscnt 0x0
	ds_store_b64 v71, v[2:3] offset:16704
	ds_load_b64 v[2:3], v70 offset:20744
	s_wait_dscnt 0x0
	ds_store_b64 v71, v[2:3] offset:17216
	;; [unrolled: 3-line block ×8, first 2 shown]
.LBB135_413:                            ;   in Loop: Header=BB135_3 Depth=1
	s_or_b32 exec_lo, exec_lo, s41
	s_wait_dscnt 0x0
	s_barrier_signal -1
	s_barrier_wait -1
	s_and_saveexec_b32 s41, s10
	s_cbranch_execz .LBB135_415
; %bb.414:                              ;   in Loop: Header=BB135_3 Depth=1
	ds_load_b64 v[2:3], v7 offset:20272
	v_mov_b32_e32 v0, v7
	ds_store_b64 v7, v[34:35] offset:20280
	s_wait_dscnt 0x1
	ds_store_b128 v7, v[0:3] offset:19760
.LBB135_415:                            ;   in Loop: Header=BB135_3 Depth=1
	s_or_b32 exec_lo, exec_lo, s41
	v_mov_b64_e32 v[2:3], 0
	s_wait_dscnt 0x0
	s_barrier_signal -1
	s_barrier_wait -1
	global_wb scope:SCOPE_DEV
	s_wait_storecnt 0x0
	global_inv scope:SCOPE_DEV
	s_and_saveexec_b32 s41, s1
	s_cbranch_execz .LBB135_419
; %bb.416:                              ;   in Loop: Header=BB135_3 Depth=1
	ds_load_b64 v[2:3], v54 offset:19744
	ds_load_b64 v[48:49], v53 offset:20272
	s_wait_dscnt 0x0
	v_fma_f64 v[2:3], v[2:3], v[48:49], 0
	s_and_saveexec_b32 s42, s11
	s_cbranch_execz .LBB135_418
; %bb.417:                              ;   in Loop: Header=BB135_3 Depth=1
	ds_load_b64 v[48:49], v71 offset:20256
	ds_load_b64 v[50:51], v7 offset:20280
	s_wait_dscnt 0x0
	v_fmac_f64_e32 v[2:3], v[48:49], v[50:51]
.LBB135_418:                            ;   in Loop: Header=BB135_3 Depth=1
	s_or_b32 exec_lo, exec_lo, s42
.LBB135_419:                            ;   in Loop: Header=BB135_3 Depth=1
	s_delay_alu instid0(SALU_CYCLE_1)
	s_or_b32 exec_lo, exec_lo, s41
	s_and_saveexec_b32 s41, s88
; %bb.420:                              ;   in Loop: Header=BB135_3 Depth=1
	s_delay_alu instid0(VALU_DEP_1) | instskip(NEXT) | instid1(VALU_DEP_2)
	v_xor_b32_e32 v49, 0x80000000, v3
	v_mov_b32_e32 v48, v2
	ds_store_b64 v52, v[48:49]
; %bb.421:                              ;   in Loop: Header=BB135_3 Depth=1
	s_or_b32 exec_lo, exec_lo, s41
	s_wait_loadcnt_dscnt 0x0
	s_barrier_signal -1
	s_barrier_wait -1
	s_and_saveexec_b32 s41, s89
	s_cbranch_execz .LBB135_423
; %bb.422:                              ;   in Loop: Header=BB135_3 Depth=1
	ds_load_b64 v[48:49], v7 offset:19232
	ds_load_b64 v[50:51], v52
	s_wait_dscnt 0x0
	v_fma_f64 v[2:3], -v[48:49], v[50:51], v[2:3]
.LBB135_423:                            ;   in Loop: Header=BB135_3 Depth=1
	s_or_b32 exec_lo, exec_lo, s41
	s_barrier_signal -1
	s_barrier_wait -1
	s_and_saveexec_b32 s41, s89
; %bb.424:                              ;   in Loop: Header=BB135_3 Depth=1
	s_delay_alu instid0(VALU_DEP_1) | instskip(NEXT) | instid1(VALU_DEP_2)
	v_xor_b32_e32 v49, 0x80000000, v3
	v_mov_b32_e32 v48, v2
	ds_store_b64 v52, v[48:49]
; %bb.425:                              ;   in Loop: Header=BB135_3 Depth=1
	s_or_b32 exec_lo, exec_lo, s41
	s_wait_dscnt 0x0
	s_barrier_signal -1
	s_barrier_wait -1
	s_barrier_signal -1
	s_barrier_wait -1
	s_and_saveexec_b32 s41, s1
; %bb.426:                              ;   in Loop: Header=BB135_3 Depth=1
	ds_store_b64 v56, v[2:3] offset:20256
; %bb.427:                              ;   in Loop: Header=BB135_3 Depth=1
	s_or_b32 exec_lo, exec_lo, s41
	s_wait_dscnt 0x0
	s_barrier_signal -1
	s_barrier_wait -1
	s_barrier_signal -1
	s_barrier_wait -1
	s_and_saveexec_b32 s41, s90
	s_cbranch_execz .LBB135_429
; %bb.428:                              ;   in Loop: Header=BB135_3 Depth=1
	ds_load_b64 v[2:3], v73 offset:19744
	s_wait_dscnt 0x0
	ds_store_b64 v71, v[2:3] offset:18736
	ds_load_b64 v[2:3], v73 offset:19752
	s_wait_dscnt 0x0
	ds_store_b64 v71, v[2:3] offset:19248
.LBB135_429:                            ;   in Loop: Header=BB135_3 Depth=1
	s_or_b32 exec_lo, exec_lo, s41
	s_wait_dscnt 0x0
	s_barrier_signal -1
	s_barrier_wait -1
	s_and_saveexec_b32 s41, s10
	s_cbranch_execz .LBB135_431
; %bb.430:                              ;   in Loop: Header=BB135_3 Depth=1
	ds_load_b64 v[2:3], v7 offset:19232
	v_mov_b32_e32 v0, v7
	ds_store_b64 v7, v[34:35] offset:19240
	s_wait_dscnt 0x1
	ds_store_b128 v7, v[0:3] offset:18720
.LBB135_431:                            ;   in Loop: Header=BB135_3 Depth=1
	s_or_b32 exec_lo, exec_lo, s41
	v_mov_b64_e32 v[2:3], 0
	s_wait_dscnt 0x0
	s_barrier_signal -1
	s_barrier_wait -1
	global_wb scope:SCOPE_DEV
	s_wait_storecnt 0x0
	global_inv scope:SCOPE_DEV
	s_and_saveexec_b32 s41, s3
	s_cbranch_execz .LBB135_437
; %bb.432:                              ;   in Loop: Header=BB135_3 Depth=1
	ds_load_b64 v[2:3], v60 offset:18688
	ds_load_b64 v[48:49], v59 offset:20256
	s_wait_dscnt 0x0
	v_fma_f64 v[2:3], v[2:3], v[48:49], 0
	s_and_saveexec_b32 s42, s12
	s_cbranch_execnz .LBB135_1089
; %bb.433:                              ;   in Loop: Header=BB135_3 Depth=1
	s_or_b32 exec_lo, exec_lo, s42
	s_and_saveexec_b32 s42, s13
	s_cbranch_execnz .LBB135_1090
.LBB135_434:                            ;   in Loop: Header=BB135_3 Depth=1
	s_or_b32 exec_lo, exec_lo, s42
	s_and_saveexec_b32 s42, s1
	s_cbranch_execz .LBB135_436
.LBB135_435:                            ;   in Loop: Header=BB135_3 Depth=1
	ds_load_b64 v[48:49], v5 offset:20224
	ds_load_b64 v[50:51], v7 offset:20280
	s_wait_dscnt 0x0
	v_fmac_f64_e32 v[2:3], v[48:49], v[50:51]
.LBB135_436:                            ;   in Loop: Header=BB135_3 Depth=1
	s_or_b32 exec_lo, exec_lo, s42
.LBB135_437:                            ;   in Loop: Header=BB135_3 Depth=1
	s_delay_alu instid0(SALU_CYCLE_1)
	s_or_b32 exec_lo, exec_lo, s41
	s_and_saveexec_b32 s41, s91
; %bb.438:                              ;   in Loop: Header=BB135_3 Depth=1
	s_delay_alu instid0(VALU_DEP_1) | instskip(NEXT) | instid1(VALU_DEP_2)
	v_xor_b32_e32 v49, 0x80000000, v3
	v_mov_b32_e32 v48, v2
	ds_store_b64 v58, v[48:49]
; %bb.439:                              ;   in Loop: Header=BB135_3 Depth=1
	s_or_b32 exec_lo, exec_lo, s41
	s_wait_loadcnt_dscnt 0x0
	s_barrier_signal -1
	s_barrier_wait -1
	s_and_saveexec_b32 s41, s92
	s_cbranch_execz .LBB135_441
; %bb.440:                              ;   in Loop: Header=BB135_3 Depth=1
	ds_load_b64 v[48:49], v60 offset:18176
	ds_load_b64 v[50:51], v58
	s_wait_dscnt 0x0
	v_fma_f64 v[2:3], -v[48:49], v[50:51], v[2:3]
.LBB135_441:                            ;   in Loop: Header=BB135_3 Depth=1
	s_or_b32 exec_lo, exec_lo, s41
	s_barrier_signal -1
	s_barrier_wait -1
	s_and_saveexec_b32 s41, s93
; %bb.442:                              ;   in Loop: Header=BB135_3 Depth=1
	s_delay_alu instid0(VALU_DEP_1) | instskip(NEXT) | instid1(VALU_DEP_2)
	v_xor_b32_e32 v49, 0x80000000, v3
	v_mov_b32_e32 v48, v2
	ds_store_b64 v58, v[48:49]
; %bb.443:                              ;   in Loop: Header=BB135_3 Depth=1
	s_or_b32 exec_lo, exec_lo, s41
	s_wait_dscnt 0x0
	s_barrier_signal -1
	s_barrier_wait -1
	s_and_saveexec_b32 s41, s94
	s_cbranch_execz .LBB135_445
; %bb.444:                              ;   in Loop: Header=BB135_3 Depth=1
	ds_load_b64 v[48:49], v60 offset:17664
	ds_load_b64 v[50:51], v58
	s_wait_dscnt 0x0
	v_fma_f64 v[2:3], -v[48:49], v[50:51], v[2:3]
.LBB135_445:                            ;   in Loop: Header=BB135_3 Depth=1
	s_or_b32 exec_lo, exec_lo, s41
	s_barrier_signal -1
	s_barrier_wait -1
	s_and_saveexec_b32 s41, s95
; %bb.446:                              ;   in Loop: Header=BB135_3 Depth=1
	s_delay_alu instid0(VALU_DEP_1) | instskip(NEXT) | instid1(VALU_DEP_2)
	v_xor_b32_e32 v49, 0x80000000, v3
	v_mov_b32_e32 v48, v2
	ds_store_b64 v58, v[48:49]
; %bb.447:                              ;   in Loop: Header=BB135_3 Depth=1
	s_or_b32 exec_lo, exec_lo, s41
	s_wait_dscnt 0x0
	;; [unrolled: 22-line block ×3, first 2 shown]
	s_barrier_signal -1
	s_barrier_wait -1
	s_barrier_signal -1
	s_barrier_wait -1
	s_and_saveexec_b32 s41, s3
; %bb.452:                              ;   in Loop: Header=BB135_3 Depth=1
	ds_store_b64 v63, v[2:3] offset:20224
; %bb.453:                              ;   in Loop: Header=BB135_3 Depth=1
	s_or_b32 exec_lo, exec_lo, s41
	s_wait_dscnt 0x0
	s_barrier_signal -1
	s_barrier_wait -1
	s_barrier_signal -1
	s_barrier_wait -1
	s_and_saveexec_b32 s41, s97
	s_cbranch_execz .LBB135_455
; %bb.454:                              ;   in Loop: Header=BB135_3 Depth=1
	ds_load_b64 v[2:3], v11 offset:18688
	s_wait_dscnt 0x0
	ds_store_b64 v84, v[2:3] offset:16672
	ds_load_b64 v[2:3], v11 offset:18696
	s_wait_dscnt 0x0
	ds_store_b64 v84, v[2:3] offset:17184
	;; [unrolled: 3-line block ×4, first 2 shown]
.LBB135_455:                            ;   in Loop: Header=BB135_3 Depth=1
	s_or_b32 exec_lo, exec_lo, s41
	s_wait_dscnt 0x0
	s_barrier_signal -1
	s_barrier_wait -1
	s_and_saveexec_b32 s41, s10
	s_cbranch_execz .LBB135_457
; %bb.456:                              ;   in Loop: Header=BB135_3 Depth=1
	ds_load_b64 v[2:3], v7 offset:18192
	v_mov_b32_e32 v0, v7
	ds_store_b64 v7, v[34:35] offset:18200
	s_wait_dscnt 0x1
	ds_store_b128 v7, v[0:3] offset:17680
.LBB135_457:                            ;   in Loop: Header=BB135_3 Depth=1
	s_or_b32 exec_lo, exec_lo, s41
	v_mov_b64_e32 v[2:3], 0
	s_wait_dscnt 0x0
	s_barrier_signal -1
	s_barrier_wait -1
	global_wb scope:SCOPE_DEV
	s_wait_storecnt 0x0
	global_inv scope:SCOPE_DEV
	s_and_saveexec_b32 s41, s1
	s_cbranch_execz .LBB135_461
; %bb.458:                              ;   in Loop: Header=BB135_3 Depth=1
	ds_load_b64 v[2:3], v54 offset:17664
	ds_load_b64 v[48:49], v53 offset:18192
	s_wait_dscnt 0x0
	v_fma_f64 v[2:3], v[2:3], v[48:49], 0
	s_and_saveexec_b32 s42, s11
	s_cbranch_execz .LBB135_460
; %bb.459:                              ;   in Loop: Header=BB135_3 Depth=1
	ds_load_b64 v[48:49], v84 offset:18176
	ds_load_b64 v[50:51], v7 offset:18200
	s_wait_dscnt 0x0
	v_fmac_f64_e32 v[2:3], v[48:49], v[50:51]
.LBB135_460:                            ;   in Loop: Header=BB135_3 Depth=1
	s_or_b32 exec_lo, exec_lo, s42
.LBB135_461:                            ;   in Loop: Header=BB135_3 Depth=1
	s_delay_alu instid0(SALU_CYCLE_1)
	s_or_b32 exec_lo, exec_lo, s41
	s_and_saveexec_b32 s41, s88
; %bb.462:                              ;   in Loop: Header=BB135_3 Depth=1
	s_delay_alu instid0(VALU_DEP_1) | instskip(NEXT) | instid1(VALU_DEP_2)
	v_xor_b32_e32 v49, 0x80000000, v3
	v_mov_b32_e32 v48, v2
	ds_store_b64 v52, v[48:49]
; %bb.463:                              ;   in Loop: Header=BB135_3 Depth=1
	s_or_b32 exec_lo, exec_lo, s41
	s_wait_loadcnt_dscnt 0x0
	s_barrier_signal -1
	s_barrier_wait -1
	s_and_saveexec_b32 s41, s89
	s_cbranch_execz .LBB135_465
; %bb.464:                              ;   in Loop: Header=BB135_3 Depth=1
	ds_load_b64 v[48:49], v7 offset:17152
	ds_load_b64 v[50:51], v52
	s_wait_dscnt 0x0
	v_fma_f64 v[2:3], -v[48:49], v[50:51], v[2:3]
.LBB135_465:                            ;   in Loop: Header=BB135_3 Depth=1
	s_or_b32 exec_lo, exec_lo, s41
	s_barrier_signal -1
	s_barrier_wait -1
	s_and_saveexec_b32 s41, s89
; %bb.466:                              ;   in Loop: Header=BB135_3 Depth=1
	s_delay_alu instid0(VALU_DEP_1) | instskip(NEXT) | instid1(VALU_DEP_2)
	v_xor_b32_e32 v49, 0x80000000, v3
	v_mov_b32_e32 v48, v2
	ds_store_b64 v52, v[48:49]
; %bb.467:                              ;   in Loop: Header=BB135_3 Depth=1
	s_or_b32 exec_lo, exec_lo, s41
	s_wait_dscnt 0x0
	s_barrier_signal -1
	s_barrier_wait -1
	s_barrier_signal -1
	s_barrier_wait -1
	s_and_saveexec_b32 s41, s1
; %bb.468:                              ;   in Loop: Header=BB135_3 Depth=1
	ds_store_b64 v56, v[2:3] offset:18176
; %bb.469:                              ;   in Loop: Header=BB135_3 Depth=1
	s_or_b32 exec_lo, exec_lo, s41
	s_wait_dscnt 0x0
	s_barrier_signal -1
	s_barrier_wait -1
	s_barrier_signal -1
	s_barrier_wait -1
	s_and_saveexec_b32 s41, s90
	s_cbranch_execz .LBB135_471
; %bb.470:                              ;   in Loop: Header=BB135_3 Depth=1
	ds_load_b64 v[2:3], v88 offset:17664
	s_wait_dscnt 0x0
	ds_store_b64 v84, v[2:3] offset:16656
	ds_load_b64 v[2:3], v88 offset:17672
	s_wait_dscnt 0x0
	ds_store_b64 v84, v[2:3] offset:17168
.LBB135_471:                            ;   in Loop: Header=BB135_3 Depth=1
	s_or_b32 exec_lo, exec_lo, s41
	s_wait_dscnt 0x0
	s_barrier_signal -1
	s_barrier_wait -1
	s_and_saveexec_b32 s41, s10
	s_cbranch_execz .LBB135_473
; %bb.472:                              ;   in Loop: Header=BB135_3 Depth=1
	ds_load_b64 v[2:3], v7 offset:17152
	v_mov_b32_e32 v0, v7
	ds_store_b64 v7, v[34:35] offset:17160
	s_wait_dscnt 0x1
	ds_store_b128 v7, v[0:3] offset:16640
.LBB135_473:                            ;   in Loop: Header=BB135_3 Depth=1
	s_or_b32 exec_lo, exec_lo, s41
	v_mov_b64_e32 v[2:3], 0
	s_wait_dscnt 0x0
	s_barrier_signal -1
	s_barrier_wait -1
	global_wb scope:SCOPE_DEV
	s_wait_storecnt 0x0
	global_inv scope:SCOPE_DEV
	s_and_saveexec_b32 s61, s30
	s_cbranch_execz .LBB135_535
; %bb.474:                              ;   in Loop: Header=BB135_3 Depth=1
	ds_load_b64 v[2:3], v79 offset:16384
	ds_load_b64 v[48:49], v81 offset:32512
	s_wait_dscnt 0x0
	v_fma_f64 v[2:3], v[2:3], v[48:49], 0
	s_mov_b32 s41, exec_lo
	v_readlane_b32 s42, v104, 28
	s_and_b32 s42, s41, s42
	s_delay_alu instid0(SALU_CYCLE_1)
	s_mov_b32 exec_lo, s42
	s_cbranch_execz .LBB135_476
; %bb.475:                              ;   in Loop: Header=BB135_3 Depth=1
	ds_load_b64 v[48:49], v79 offset:16896
	ds_load_b64 v[50:51], v81 offset:32520
	s_wait_dscnt 0x0
	v_fmac_f64_e32 v[2:3], v[48:49], v[50:51]
.LBB135_476:                            ;   in Loop: Header=BB135_3 Depth=1
	s_or_b32 exec_lo, exec_lo, s41
	s_delay_alu instid0(SALU_CYCLE_1) | instskip(SKIP_2) | instid1(SALU_CYCLE_1)
	s_mov_b32 s41, exec_lo
	v_readlane_b32 s42, v104, 29
	s_and_b32 s42, s41, s42
	s_mov_b32 exec_lo, s42
	s_cbranch_execz .LBB135_478
; %bb.477:                              ;   in Loop: Header=BB135_3 Depth=1
	ds_load_b64 v[48:49], v79 offset:17408
	ds_load_b64 v[50:51], v81 offset:32528
	s_wait_dscnt 0x0
	v_fmac_f64_e32 v[2:3], v[48:49], v[50:51]
.LBB135_478:                            ;   in Loop: Header=BB135_3 Depth=1
	s_or_b32 exec_lo, exec_lo, s41
	s_delay_alu instid0(SALU_CYCLE_1) | instskip(SKIP_2) | instid1(SALU_CYCLE_1)
	s_mov_b32 s41, exec_lo
	v_readlane_b32 s42, v104, 30
	s_and_b32 s42, s41, s42
	;; [unrolled: 13-line block ×22, first 2 shown]
	s_mov_b32 exec_lo, s42
	s_cbranch_execz .LBB135_520
; %bb.519:                              ;   in Loop: Header=BB135_3 Depth=1
	ds_load_b64 v[48:49], v79 offset:28160
	ds_load_b64 v[50:51], v81 offset:32696
	s_wait_dscnt 0x0
	v_fmac_f64_e32 v[2:3], v[48:49], v[50:51]
.LBB135_520:                            ;   in Loop: Header=BB135_3 Depth=1
	s_or_b32 exec_lo, exec_lo, s41
	s_and_saveexec_b32 s41, s5
	s_cbranch_execz .LBB135_522
; %bb.521:                              ;   in Loop: Header=BB135_3 Depth=1
	ds_load_b64 v[48:49], v79 offset:28672
	ds_load_b64 v[50:51], v81 offset:32704
	s_wait_dscnt 0x0
	v_fmac_f64_e32 v[2:3], v[48:49], v[50:51]
.LBB135_522:                            ;   in Loop: Header=BB135_3 Depth=1
	s_or_b32 exec_lo, exec_lo, s41
	s_delay_alu instid0(SALU_CYCLE_1) | instskip(SKIP_2) | instid1(SALU_CYCLE_1)
	s_mov_b32 s41, exec_lo
	v_readlane_b32 s42, v104, 18
	s_and_b32 s42, s41, s42
	s_mov_b32 exec_lo, s42
	s_cbranch_execz .LBB135_524
; %bb.523:                              ;   in Loop: Header=BB135_3 Depth=1
	ds_load_b64 v[48:49], v79 offset:29184
	ds_load_b64 v[50:51], v81 offset:32712
	s_wait_dscnt 0x0
	v_fmac_f64_e32 v[2:3], v[48:49], v[50:51]
.LBB135_524:                            ;   in Loop: Header=BB135_3 Depth=1
	s_or_b32 exec_lo, exec_lo, s41
	s_delay_alu instid0(SALU_CYCLE_1) | instskip(SKIP_2) | instid1(SALU_CYCLE_1)
	s_mov_b32 s41, exec_lo
	v_readlane_b32 s42, v104, 20
	s_and_b32 s42, s41, s42
	s_mov_b32 exec_lo, s42
	;; [unrolled: 13-line block ×5, first 2 shown]
	s_cbranch_execnz .LBB135_1091
; %bb.531:                              ;   in Loop: Header=BB135_3 Depth=1
	s_or_b32 exec_lo, exec_lo, s41
	s_and_saveexec_b32 s41, s4
	s_cbranch_execnz .LBB135_1092
.LBB135_532:                            ;   in Loop: Header=BB135_3 Depth=1
	s_or_b32 exec_lo, exec_lo, s41
	s_and_saveexec_b32 s41, s17
	s_delay_alu instid0(SALU_CYCLE_1)
	s_xor_b32 s41, exec_lo, s41
	s_cbranch_execz .LBB135_534
.LBB135_533:                            ;   in Loop: Header=BB135_3 Depth=1
	ds_load_b64 v[48:49], v55 offset:32256
	ds_load_b64 v[50:51], v7 offset:32760
	s_wait_dscnt 0x0
	v_fmac_f64_e32 v[2:3], v[48:49], v[50:51]
.LBB135_534:                            ;   in Loop: Header=BB135_3 Depth=1
	s_or_b32 exec_lo, exec_lo, s41
.LBB135_535:                            ;   in Loop: Header=BB135_3 Depth=1
	s_delay_alu instid0(SALU_CYCLE_1)
	s_or_b32 exec_lo, exec_lo, s61
	v_dual_mov_b32 v0, v98 :: v_dual_mov_b32 v6, v96
	s_mov_b32 s41, 31
	s_branch .LBB135_537
.LBB135_536:                            ;   in Loop: Header=BB135_537 Depth=2
	s_or_b32 exec_lo, exec_lo, s42
	v_add_nc_u32_e32 v6, 0xfffff800, v6
	v_add_nc_u32_e32 v0, 4, v0
	s_add_co_i32 s41, s41, -4
	s_cmp_eq_u32 s61, 0
	s_barrier_signal -1
	s_barrier_wait -1
	s_cbranch_scc1 .LBB135_553
.LBB135_537:                            ;   Parent Loop BB135_3 Depth=1
                                        ; =>  This Inner Loop Header: Depth=2
	s_delay_alu instid0(VALU_DEP_1) | instskip(SKIP_1) | instid1(SALU_CYCLE_1)
	v_cmp_eq_u32_e32 vcc_lo, 0, v0
	s_and_b32 s43, s40, vcc_lo
	s_and_saveexec_b32 s42, s43
; %bb.538:                              ;   in Loop: Header=BB135_537 Depth=2
	s_delay_alu instid0(VALU_DEP_3) | instskip(NEXT) | instid1(VALU_DEP_4)
	v_xor_b32_e32 v49, 0x80000000, v3
	v_mov_b32_e32 v48, v2
	ds_store_b64 v80, v[48:49]
; %bb.539:                              ;   in Loop: Header=BB135_537 Depth=2
	s_or_b32 exec_lo, exec_lo, s42
	v_cmp_gt_u32_e32 vcc_lo, s41, v77
	s_wait_loadcnt_dscnt 0x0
	s_barrier_signal -1
	s_barrier_wait -1
	s_and_b32 s43, s40, vcc_lo
	s_delay_alu instid0(SALU_CYCLE_1)
	s_and_saveexec_b32 s42, s43
	s_cbranch_execz .LBB135_541
; %bb.540:                              ;   in Loop: Header=BB135_537 Depth=2
	ds_load_b64 v[48:49], v6 offset:1536
	ds_load_b64 v[50:51], v80
	s_wait_dscnt 0x0
	v_fma_f64 v[2:3], -v[48:49], v[50:51], v[2:3]
.LBB135_541:                            ;   in Loop: Header=BB135_537 Depth=2
	s_or_b32 exec_lo, exec_lo, s42
	s_add_co_i32 s42, s41, -1
	s_delay_alu instid0(SALU_CYCLE_1) | instskip(SKIP_3) | instid1(SALU_CYCLE_1)
	v_cmp_eq_u32_e32 vcc_lo, s42, v77
	s_barrier_signal -1
	s_barrier_wait -1
	s_and_b32 s61, s40, vcc_lo
	s_and_saveexec_b32 s43, s61
; %bb.542:                              ;   in Loop: Header=BB135_537 Depth=2
	s_delay_alu instid0(VALU_DEP_2) | instskip(NEXT) | instid1(VALU_DEP_3)
	v_xor_b32_e32 v49, 0x80000000, v3
	v_mov_b32_e32 v48, v2
	ds_store_b64 v80, v[48:49]
; %bb.543:                              ;   in Loop: Header=BB135_537 Depth=2
	s_or_b32 exec_lo, exec_lo, s43
	v_cmp_gt_u32_e32 vcc_lo, s42, v77
	s_wait_dscnt 0x0
	s_barrier_signal -1
	s_barrier_wait -1
	s_and_b32 s43, s40, vcc_lo
	s_delay_alu instid0(SALU_CYCLE_1)
	s_and_saveexec_b32 s42, s43
	s_cbranch_execz .LBB135_545
; %bb.544:                              ;   in Loop: Header=BB135_537 Depth=2
	ds_load_b64 v[48:49], v6 offset:1024
	ds_load_b64 v[50:51], v80
	s_wait_dscnt 0x0
	v_fma_f64 v[2:3], -v[48:49], v[50:51], v[2:3]
.LBB135_545:                            ;   in Loop: Header=BB135_537 Depth=2
	s_or_b32 exec_lo, exec_lo, s42
	s_add_co_i32 s42, s41, -2
	s_delay_alu instid0(SALU_CYCLE_1) | instskip(SKIP_3) | instid1(SALU_CYCLE_1)
	v_cmp_eq_u32_e32 vcc_lo, s42, v77
	s_barrier_signal -1
	s_barrier_wait -1
	s_and_b32 s61, s40, vcc_lo
	s_and_saveexec_b32 s43, s61
; %bb.546:                              ;   in Loop: Header=BB135_537 Depth=2
	s_delay_alu instid0(VALU_DEP_2) | instskip(NEXT) | instid1(VALU_DEP_3)
	v_xor_b32_e32 v49, 0x80000000, v3
	v_mov_b32_e32 v48, v2
	ds_store_b64 v80, v[48:49]
; %bb.547:                              ;   in Loop: Header=BB135_537 Depth=2
	s_or_b32 exec_lo, exec_lo, s43
	v_cmp_gt_u32_e32 vcc_lo, s42, v77
	s_wait_dscnt 0x0
	s_barrier_signal -1
	s_barrier_wait -1
	s_and_b32 s43, s40, vcc_lo
	s_delay_alu instid0(SALU_CYCLE_1)
	s_and_saveexec_b32 s42, s43
	s_cbranch_execz .LBB135_549
; %bb.548:                              ;   in Loop: Header=BB135_537 Depth=2
	ds_load_b64 v[48:49], v6 offset:512
	ds_load_b64 v[50:51], v80
	s_wait_dscnt 0x0
	v_fma_f64 v[2:3], -v[48:49], v[50:51], v[2:3]
.LBB135_549:                            ;   in Loop: Header=BB135_537 Depth=2
	s_or_b32 exec_lo, exec_lo, s42
	s_add_co_i32 s61, s41, -3
	s_delay_alu instid0(SALU_CYCLE_1) | instskip(SKIP_3) | instid1(SALU_CYCLE_1)
	v_cmp_eq_u32_e32 vcc_lo, s61, v77
	s_barrier_signal -1
	s_barrier_wait -1
	s_and_b32 s43, s40, vcc_lo
	s_and_saveexec_b32 s42, s43
; %bb.550:                              ;   in Loop: Header=BB135_537 Depth=2
	s_delay_alu instid0(VALU_DEP_2) | instskip(NEXT) | instid1(VALU_DEP_3)
	v_xor_b32_e32 v49, 0x80000000, v3
	v_mov_b32_e32 v48, v2
	ds_store_b64 v80, v[48:49]
; %bb.551:                              ;   in Loop: Header=BB135_537 Depth=2
	s_or_b32 exec_lo, exec_lo, s42
	v_cmp_gt_u32_e32 vcc_lo, s61, v77
	s_wait_dscnt 0x0
	s_barrier_signal -1
	s_barrier_wait -1
	s_and_b32 s43, s40, vcc_lo
	s_delay_alu instid0(SALU_CYCLE_1)
	s_and_saveexec_b32 s42, s43
	s_cbranch_execz .LBB135_536
; %bb.552:                              ;   in Loop: Header=BB135_537 Depth=2
	ds_load_b64 v[48:49], v6
	ds_load_b64 v[50:51], v80
	s_wait_dscnt 0x0
	v_fma_f64 v[2:3], -v[48:49], v[50:51], v[2:3]
	s_branch .LBB135_536
.LBB135_553:                            ;   in Loop: Header=BB135_3 Depth=1
	s_and_saveexec_b32 s41, s30
; %bb.554:                              ;   in Loop: Header=BB135_3 Depth=1
	ds_store_b64 v82, v[2:3] offset:32256
; %bb.555:                              ;   in Loop: Header=BB135_3 Depth=1
	s_or_b32 exec_lo, exec_lo, s41
	s_wait_dscnt 0x0
	s_barrier_signal -1
	s_barrier_wait -1
	s_barrier_signal -1
	s_barrier_wait -1
	s_mov_b32 s41, exec_lo
	v_readlane_b32 s42, v104, 7
	s_and_b32 s42, s41, s42
	s_delay_alu instid0(SALU_CYCLE_1)
	s_mov_b32 exec_lo, s42
	s_cbranch_execz .LBB135_557
; %bb.556:                              ;   in Loop: Header=BB135_3 Depth=1
	ds_load_b64 v[2:3], v57 offset:16384
	s_wait_dscnt 0x0
	ds_store_b64 v61, v[2:3] offset:256
	ds_load_b64 v[2:3], v57 offset:16392
	s_wait_dscnt 0x0
	ds_store_b64 v61, v[2:3] offset:768
	;; [unrolled: 3-line block ×32, first 2 shown]
.LBB135_557:                            ;   in Loop: Header=BB135_3 Depth=1
	s_or_b32 exec_lo, exec_lo, s41
	s_wait_dscnt 0x0
	s_barrier_signal -1
	s_barrier_wait -1
	s_and_saveexec_b32 s41, s10
	s_cbranch_execz .LBB135_559
; %bb.558:                              ;   in Loop: Header=BB135_3 Depth=1
	ds_load_b64 v[2:3], v7 offset:16112
	v_mov_b32_e32 v0, v7
	ds_store_b64 v7, v[34:35] offset:16120
	s_wait_dscnt 0x1
	ds_store_b128 v7, v[0:3] offset:15600
.LBB135_559:                            ;   in Loop: Header=BB135_3 Depth=1
	s_or_b32 exec_lo, exec_lo, s41
	v_mov_b64_e32 v[2:3], 0
	s_wait_dscnt 0x0
	s_barrier_signal -1
	s_barrier_wait -1
	global_wb scope:SCOPE_DEV
	s_wait_storecnt 0x0
	global_inv scope:SCOPE_DEV
	s_and_saveexec_b32 s41, s1
	s_cbranch_execz .LBB135_563
; %bb.560:                              ;   in Loop: Header=BB135_3 Depth=1
	ds_load_b64 v[2:3], v54 offset:15584
	ds_load_b64 v[48:49], v53 offset:16112
	s_wait_dscnt 0x0
	v_fma_f64 v[2:3], v[2:3], v[48:49], 0
	s_and_saveexec_b32 s42, s11
	s_cbranch_execz .LBB135_562
; %bb.561:                              ;   in Loop: Header=BB135_3 Depth=1
	ds_load_b64 v[48:49], v55 offset:16096
	ds_load_b64 v[50:51], v7 offset:16120
	s_wait_dscnt 0x0
	v_fmac_f64_e32 v[2:3], v[48:49], v[50:51]
.LBB135_562:                            ;   in Loop: Header=BB135_3 Depth=1
	s_or_b32 exec_lo, exec_lo, s42
.LBB135_563:                            ;   in Loop: Header=BB135_3 Depth=1
	s_delay_alu instid0(SALU_CYCLE_1)
	s_or_b32 exec_lo, exec_lo, s41
	s_and_saveexec_b32 s41, s88
; %bb.564:                              ;   in Loop: Header=BB135_3 Depth=1
	s_delay_alu instid0(VALU_DEP_1) | instskip(NEXT) | instid1(VALU_DEP_2)
	v_xor_b32_e32 v49, 0x80000000, v3
	v_mov_b32_e32 v48, v2
	ds_store_b64 v52, v[48:49]
; %bb.565:                              ;   in Loop: Header=BB135_3 Depth=1
	s_or_b32 exec_lo, exec_lo, s41
	s_wait_loadcnt_dscnt 0x0
	s_barrier_signal -1
	s_barrier_wait -1
	s_and_saveexec_b32 s41, s89
	s_cbranch_execz .LBB135_567
; %bb.566:                              ;   in Loop: Header=BB135_3 Depth=1
	ds_load_b64 v[48:49], v7 offset:15072
	ds_load_b64 v[50:51], v52
	s_wait_dscnt 0x0
	v_fma_f64 v[2:3], -v[48:49], v[50:51], v[2:3]
.LBB135_567:                            ;   in Loop: Header=BB135_3 Depth=1
	s_or_b32 exec_lo, exec_lo, s41
	s_barrier_signal -1
	s_barrier_wait -1
	s_and_saveexec_b32 s41, s89
; %bb.568:                              ;   in Loop: Header=BB135_3 Depth=1
	s_delay_alu instid0(VALU_DEP_1) | instskip(NEXT) | instid1(VALU_DEP_2)
	v_xor_b32_e32 v49, 0x80000000, v3
	v_mov_b32_e32 v48, v2
	ds_store_b64 v52, v[48:49]
; %bb.569:                              ;   in Loop: Header=BB135_3 Depth=1
	s_or_b32 exec_lo, exec_lo, s41
	s_wait_dscnt 0x0
	s_barrier_signal -1
	s_barrier_wait -1
	s_barrier_signal -1
	s_barrier_wait -1
	s_and_saveexec_b32 s41, s1
; %bb.570:                              ;   in Loop: Header=BB135_3 Depth=1
	ds_store_b64 v56, v[2:3] offset:16096
; %bb.571:                              ;   in Loop: Header=BB135_3 Depth=1
	s_or_b32 exec_lo, exec_lo, s41
	s_wait_dscnt 0x0
	s_barrier_signal -1
	s_barrier_wait -1
	s_barrier_signal -1
	s_barrier_wait -1
	s_and_saveexec_b32 s41, s90
	s_cbranch_execz .LBB135_573
; %bb.572:                              ;   in Loop: Header=BB135_3 Depth=1
	ds_load_b64 v[2:3], v57 offset:15584
	s_wait_dscnt 0x0
	ds_store_b64 v55, v[2:3] offset:14576
	ds_load_b64 v[2:3], v57 offset:15592
	s_wait_dscnt 0x0
	ds_store_b64 v55, v[2:3] offset:15088
.LBB135_573:                            ;   in Loop: Header=BB135_3 Depth=1
	s_or_b32 exec_lo, exec_lo, s41
	s_wait_dscnt 0x0
	s_barrier_signal -1
	s_barrier_wait -1
	s_and_saveexec_b32 s41, s10
	s_cbranch_execz .LBB135_575
; %bb.574:                              ;   in Loop: Header=BB135_3 Depth=1
	ds_load_b64 v[2:3], v7 offset:15072
	v_mov_b32_e32 v0, v7
	ds_store_b64 v7, v[34:35] offset:15080
	s_wait_dscnt 0x1
	ds_store_b128 v7, v[0:3] offset:14560
.LBB135_575:                            ;   in Loop: Header=BB135_3 Depth=1
	s_or_b32 exec_lo, exec_lo, s41
	v_mov_b64_e32 v[2:3], 0
	s_wait_dscnt 0x0
	s_barrier_signal -1
	s_barrier_wait -1
	global_wb scope:SCOPE_DEV
	s_wait_storecnt 0x0
	global_inv scope:SCOPE_DEV
	s_and_saveexec_b32 s41, s3
	s_cbranch_execz .LBB135_581
; %bb.576:                              ;   in Loop: Header=BB135_3 Depth=1
	ds_load_b64 v[2:3], v60 offset:14528
	ds_load_b64 v[48:49], v59 offset:16096
	s_wait_dscnt 0x0
	v_fma_f64 v[2:3], v[2:3], v[48:49], 0
	s_and_saveexec_b32 s42, s12
	s_cbranch_execnz .LBB135_1093
; %bb.577:                              ;   in Loop: Header=BB135_3 Depth=1
	s_or_b32 exec_lo, exec_lo, s42
	s_and_saveexec_b32 s42, s13
	s_cbranch_execnz .LBB135_1094
.LBB135_578:                            ;   in Loop: Header=BB135_3 Depth=1
	s_or_b32 exec_lo, exec_lo, s42
	s_and_saveexec_b32 s42, s1
	s_cbranch_execz .LBB135_580
.LBB135_579:                            ;   in Loop: Header=BB135_3 Depth=1
	ds_load_b64 v[48:49], v61 offset:16064
	ds_load_b64 v[50:51], v7 offset:16120
	s_wait_dscnt 0x0
	v_fmac_f64_e32 v[2:3], v[48:49], v[50:51]
.LBB135_580:                            ;   in Loop: Header=BB135_3 Depth=1
	s_or_b32 exec_lo, exec_lo, s42
.LBB135_581:                            ;   in Loop: Header=BB135_3 Depth=1
	s_delay_alu instid0(SALU_CYCLE_1)
	s_or_b32 exec_lo, exec_lo, s41
	s_and_saveexec_b32 s41, s91
; %bb.582:                              ;   in Loop: Header=BB135_3 Depth=1
	s_delay_alu instid0(VALU_DEP_1) | instskip(NEXT) | instid1(VALU_DEP_2)
	v_xor_b32_e32 v49, 0x80000000, v3
	v_mov_b32_e32 v48, v2
	ds_store_b64 v58, v[48:49]
; %bb.583:                              ;   in Loop: Header=BB135_3 Depth=1
	s_or_b32 exec_lo, exec_lo, s41
	s_wait_loadcnt_dscnt 0x0
	s_barrier_signal -1
	s_barrier_wait -1
	s_and_saveexec_b32 s41, s92
	s_cbranch_execz .LBB135_585
; %bb.584:                              ;   in Loop: Header=BB135_3 Depth=1
	ds_load_b64 v[48:49], v60 offset:14016
	ds_load_b64 v[50:51], v58
	s_wait_dscnt 0x0
	v_fma_f64 v[2:3], -v[48:49], v[50:51], v[2:3]
.LBB135_585:                            ;   in Loop: Header=BB135_3 Depth=1
	s_or_b32 exec_lo, exec_lo, s41
	s_barrier_signal -1
	s_barrier_wait -1
	s_and_saveexec_b32 s41, s93
; %bb.586:                              ;   in Loop: Header=BB135_3 Depth=1
	s_delay_alu instid0(VALU_DEP_1) | instskip(NEXT) | instid1(VALU_DEP_2)
	v_xor_b32_e32 v49, 0x80000000, v3
	v_mov_b32_e32 v48, v2
	ds_store_b64 v58, v[48:49]
; %bb.587:                              ;   in Loop: Header=BB135_3 Depth=1
	s_or_b32 exec_lo, exec_lo, s41
	s_wait_dscnt 0x0
	s_barrier_signal -1
	s_barrier_wait -1
	s_and_saveexec_b32 s41, s94
	s_cbranch_execz .LBB135_589
; %bb.588:                              ;   in Loop: Header=BB135_3 Depth=1
	ds_load_b64 v[48:49], v60 offset:13504
	ds_load_b64 v[50:51], v58
	s_wait_dscnt 0x0
	v_fma_f64 v[2:3], -v[48:49], v[50:51], v[2:3]
.LBB135_589:                            ;   in Loop: Header=BB135_3 Depth=1
	s_or_b32 exec_lo, exec_lo, s41
	s_barrier_signal -1
	s_barrier_wait -1
	s_and_saveexec_b32 s41, s95
; %bb.590:                              ;   in Loop: Header=BB135_3 Depth=1
	s_delay_alu instid0(VALU_DEP_1) | instskip(NEXT) | instid1(VALU_DEP_2)
	v_xor_b32_e32 v49, 0x80000000, v3
	v_mov_b32_e32 v48, v2
	ds_store_b64 v58, v[48:49]
; %bb.591:                              ;   in Loop: Header=BB135_3 Depth=1
	s_or_b32 exec_lo, exec_lo, s41
	s_wait_dscnt 0x0
	;; [unrolled: 22-line block ×3, first 2 shown]
	s_barrier_signal -1
	s_barrier_wait -1
	s_barrier_signal -1
	s_barrier_wait -1
	s_and_saveexec_b32 s41, s3
; %bb.596:                              ;   in Loop: Header=BB135_3 Depth=1
	ds_store_b64 v63, v[2:3] offset:16064
; %bb.597:                              ;   in Loop: Header=BB135_3 Depth=1
	s_or_b32 exec_lo, exec_lo, s41
	s_wait_dscnt 0x0
	s_barrier_signal -1
	s_barrier_wait -1
	s_barrier_signal -1
	s_barrier_wait -1
	s_and_saveexec_b32 s41, s97
	s_cbranch_execz .LBB135_599
; %bb.598:                              ;   in Loop: Header=BB135_3 Depth=1
	ds_load_b64 v[2:3], v62 offset:14528
	s_wait_dscnt 0x0
	ds_store_b64 v64, v[2:3] offset:12512
	ds_load_b64 v[2:3], v62 offset:14536
	s_wait_dscnt 0x0
	ds_store_b64 v64, v[2:3] offset:13024
	;; [unrolled: 3-line block ×4, first 2 shown]
.LBB135_599:                            ;   in Loop: Header=BB135_3 Depth=1
	s_or_b32 exec_lo, exec_lo, s41
	s_wait_dscnt 0x0
	s_barrier_signal -1
	s_barrier_wait -1
	s_and_saveexec_b32 s41, s10
	s_cbranch_execz .LBB135_601
; %bb.600:                              ;   in Loop: Header=BB135_3 Depth=1
	ds_load_b64 v[2:3], v7 offset:14032
	v_mov_b32_e32 v0, v7
	ds_store_b64 v7, v[34:35] offset:14040
	s_wait_dscnt 0x1
	ds_store_b128 v7, v[0:3] offset:13520
.LBB135_601:                            ;   in Loop: Header=BB135_3 Depth=1
	s_or_b32 exec_lo, exec_lo, s41
	v_mov_b64_e32 v[2:3], 0
	s_wait_dscnt 0x0
	s_barrier_signal -1
	s_barrier_wait -1
	global_wb scope:SCOPE_DEV
	s_wait_storecnt 0x0
	global_inv scope:SCOPE_DEV
	s_and_saveexec_b32 s41, s1
	s_cbranch_execz .LBB135_605
; %bb.602:                              ;   in Loop: Header=BB135_3 Depth=1
	ds_load_b64 v[2:3], v54 offset:13504
	ds_load_b64 v[48:49], v53 offset:14032
	s_wait_dscnt 0x0
	v_fma_f64 v[2:3], v[2:3], v[48:49], 0
	s_and_saveexec_b32 s42, s11
	s_cbranch_execz .LBB135_604
; %bb.603:                              ;   in Loop: Header=BB135_3 Depth=1
	ds_load_b64 v[48:49], v64 offset:14016
	ds_load_b64 v[50:51], v7 offset:14040
	s_wait_dscnt 0x0
	v_fmac_f64_e32 v[2:3], v[48:49], v[50:51]
.LBB135_604:                            ;   in Loop: Header=BB135_3 Depth=1
	s_or_b32 exec_lo, exec_lo, s42
.LBB135_605:                            ;   in Loop: Header=BB135_3 Depth=1
	s_delay_alu instid0(SALU_CYCLE_1)
	s_or_b32 exec_lo, exec_lo, s41
	s_and_saveexec_b32 s41, s88
; %bb.606:                              ;   in Loop: Header=BB135_3 Depth=1
	s_delay_alu instid0(VALU_DEP_1) | instskip(NEXT) | instid1(VALU_DEP_2)
	v_xor_b32_e32 v49, 0x80000000, v3
	v_mov_b32_e32 v48, v2
	ds_store_b64 v52, v[48:49]
; %bb.607:                              ;   in Loop: Header=BB135_3 Depth=1
	s_or_b32 exec_lo, exec_lo, s41
	s_wait_loadcnt_dscnt 0x0
	s_barrier_signal -1
	s_barrier_wait -1
	s_and_saveexec_b32 s41, s89
	s_cbranch_execz .LBB135_609
; %bb.608:                              ;   in Loop: Header=BB135_3 Depth=1
	ds_load_b64 v[48:49], v7 offset:12992
	ds_load_b64 v[50:51], v52
	s_wait_dscnt 0x0
	v_fma_f64 v[2:3], -v[48:49], v[50:51], v[2:3]
.LBB135_609:                            ;   in Loop: Header=BB135_3 Depth=1
	s_or_b32 exec_lo, exec_lo, s41
	s_barrier_signal -1
	s_barrier_wait -1
	s_and_saveexec_b32 s41, s89
; %bb.610:                              ;   in Loop: Header=BB135_3 Depth=1
	s_delay_alu instid0(VALU_DEP_1) | instskip(NEXT) | instid1(VALU_DEP_2)
	v_xor_b32_e32 v49, 0x80000000, v3
	v_mov_b32_e32 v48, v2
	ds_store_b64 v52, v[48:49]
; %bb.611:                              ;   in Loop: Header=BB135_3 Depth=1
	s_or_b32 exec_lo, exec_lo, s41
	s_wait_dscnt 0x0
	s_barrier_signal -1
	s_barrier_wait -1
	s_barrier_signal -1
	s_barrier_wait -1
	s_and_saveexec_b32 s41, s1
; %bb.612:                              ;   in Loop: Header=BB135_3 Depth=1
	ds_store_b64 v56, v[2:3] offset:14016
; %bb.613:                              ;   in Loop: Header=BB135_3 Depth=1
	s_or_b32 exec_lo, exec_lo, s41
	s_wait_dscnt 0x0
	s_barrier_signal -1
	s_barrier_wait -1
	s_barrier_signal -1
	s_barrier_wait -1
	s_and_saveexec_b32 s41, s90
	s_cbranch_execz .LBB135_615
; %bb.614:                              ;   in Loop: Header=BB135_3 Depth=1
	ds_load_b64 v[2:3], v65 offset:13504
	s_wait_dscnt 0x0
	ds_store_b64 v64, v[2:3] offset:12496
	ds_load_b64 v[2:3], v65 offset:13512
	s_wait_dscnt 0x0
	ds_store_b64 v64, v[2:3] offset:13008
.LBB135_615:                            ;   in Loop: Header=BB135_3 Depth=1
	s_or_b32 exec_lo, exec_lo, s41
	s_wait_dscnt 0x0
	s_barrier_signal -1
	s_barrier_wait -1
	s_and_saveexec_b32 s41, s10
	s_cbranch_execz .LBB135_617
; %bb.616:                              ;   in Loop: Header=BB135_3 Depth=1
	ds_load_b64 v[2:3], v7 offset:12992
	v_mov_b32_e32 v0, v7
	ds_store_b64 v7, v[34:35] offset:13000
	s_wait_dscnt 0x1
	ds_store_b128 v7, v[0:3] offset:12480
.LBB135_617:                            ;   in Loop: Header=BB135_3 Depth=1
	s_or_b32 exec_lo, exec_lo, s41
	v_mov_b64_e32 v[2:3], 0
	s_wait_dscnt 0x0
	s_barrier_signal -1
	s_barrier_wait -1
	global_wb scope:SCOPE_DEV
	s_wait_storecnt 0x0
	global_inv scope:SCOPE_DEV
	s_and_saveexec_b32 s41, s4
	s_cbranch_execz .LBB135_627
; %bb.618:                              ;   in Loop: Header=BB135_3 Depth=1
	ds_load_b64 v[2:3], v68 offset:12416
	ds_load_b64 v[48:49], v67 offset:16064
	s_wait_dscnt 0x0
	v_fma_f64 v[2:3], v[2:3], v[48:49], 0
	s_and_saveexec_b32 s42, s14
	s_cbranch_execnz .LBB135_1095
; %bb.619:                              ;   in Loop: Header=BB135_3 Depth=1
	s_or_b32 exec_lo, exec_lo, s42
	s_and_saveexec_b32 s42, s15
	s_cbranch_execnz .LBB135_1096
.LBB135_620:                            ;   in Loop: Header=BB135_3 Depth=1
	s_or_b32 exec_lo, exec_lo, s42
	s_and_saveexec_b32 s42, s16
	s_cbranch_execnz .LBB135_1097
.LBB135_621:                            ;   in Loop: Header=BB135_3 Depth=1
	s_or_b32 exec_lo, exec_lo, s42
	s_and_saveexec_b32 s42, s17
	s_cbranch_execnz .LBB135_1098
.LBB135_622:                            ;   in Loop: Header=BB135_3 Depth=1
	s_or_b32 exec_lo, exec_lo, s42
	s_and_saveexec_b32 s42, s18
	s_cbranch_execnz .LBB135_1099
.LBB135_623:                            ;   in Loop: Header=BB135_3 Depth=1
	s_or_b32 exec_lo, exec_lo, s42
	s_and_saveexec_b32 s42, s3
	s_cbranch_execnz .LBB135_1100
.LBB135_624:                            ;   in Loop: Header=BB135_3 Depth=1
	s_or_b32 exec_lo, exec_lo, s42
	s_and_saveexec_b32 s42, s13
	s_cbranch_execz .LBB135_626
.LBB135_625:                            ;   in Loop: Header=BB135_3 Depth=1
	ds_load_b64 v[48:49], v69 offset:16000
	ds_load_b64 v[50:51], v7 offset:16120
	s_wait_dscnt 0x0
	v_fmac_f64_e32 v[2:3], v[48:49], v[50:51]
.LBB135_626:                            ;   in Loop: Header=BB135_3 Depth=1
	s_or_b32 exec_lo, exec_lo, s42
.LBB135_627:                            ;   in Loop: Header=BB135_3 Depth=1
	s_delay_alu instid0(SALU_CYCLE_1)
	s_or_b32 exec_lo, exec_lo, s41
	s_and_saveexec_b32 s41, s98
; %bb.628:                              ;   in Loop: Header=BB135_3 Depth=1
	s_delay_alu instid0(VALU_DEP_1) | instskip(NEXT) | instid1(VALU_DEP_2)
	v_xor_b32_e32 v49, 0x80000000, v3
	v_mov_b32_e32 v48, v2
	ds_store_b64 v66, v[48:49]
; %bb.629:                              ;   in Loop: Header=BB135_3 Depth=1
	s_or_b32 exec_lo, exec_lo, s41
	s_wait_loadcnt_dscnt 0x0
	s_barrier_signal -1
	s_barrier_wait -1
	s_and_saveexec_b32 s41, s99
	s_cbranch_execz .LBB135_631
; %bb.630:                              ;   in Loop: Header=BB135_3 Depth=1
	ds_load_b64 v[48:49], v68 offset:11904
	ds_load_b64 v[50:51], v66
	s_wait_dscnt 0x0
	v_fma_f64 v[2:3], -v[48:49], v[50:51], v[2:3]
.LBB135_631:                            ;   in Loop: Header=BB135_3 Depth=1
	s_or_b32 exec_lo, exec_lo, s41
	s_barrier_signal -1
	s_barrier_wait -1
	s_and_saveexec_b32 s41, s100
; %bb.632:                              ;   in Loop: Header=BB135_3 Depth=1
	s_delay_alu instid0(VALU_DEP_1) | instskip(NEXT) | instid1(VALU_DEP_2)
	v_xor_b32_e32 v49, 0x80000000, v3
	v_mov_b32_e32 v48, v2
	ds_store_b64 v66, v[48:49]
; %bb.633:                              ;   in Loop: Header=BB135_3 Depth=1
	s_or_b32 exec_lo, exec_lo, s41
	s_wait_dscnt 0x0
	s_barrier_signal -1
	s_barrier_wait -1
	s_and_saveexec_b32 s41, s101
	s_cbranch_execz .LBB135_635
; %bb.634:                              ;   in Loop: Header=BB135_3 Depth=1
	ds_load_b64 v[48:49], v68 offset:11392
	ds_load_b64 v[50:51], v66
	s_wait_dscnt 0x0
	v_fma_f64 v[2:3], -v[48:49], v[50:51], v[2:3]
.LBB135_635:                            ;   in Loop: Header=BB135_3 Depth=1
	s_or_b32 exec_lo, exec_lo, s41
	s_barrier_signal -1
	s_barrier_wait -1
	s_and_saveexec_b32 s41, s102
; %bb.636:                              ;   in Loop: Header=BB135_3 Depth=1
	s_delay_alu instid0(VALU_DEP_1) | instskip(NEXT) | instid1(VALU_DEP_2)
	v_xor_b32_e32 v49, 0x80000000, v3
	v_mov_b32_e32 v48, v2
	ds_store_b64 v66, v[48:49]
; %bb.637:                              ;   in Loop: Header=BB135_3 Depth=1
	s_or_b32 exec_lo, exec_lo, s41
	s_wait_dscnt 0x0
	;; [unrolled: 22-line block ×3, first 2 shown]
	s_barrier_signal -1
	s_barrier_wait -1
	s_and_saveexec_b32 s41, vcc_hi
	s_cbranch_execz .LBB135_643
; %bb.642:                              ;   in Loop: Header=BB135_3 Depth=1
	ds_load_b64 v[48:49], v68 offset:10368
	ds_load_b64 v[50:51], v66
	s_wait_dscnt 0x0
	v_fma_f64 v[2:3], -v[48:49], v[50:51], v[2:3]
.LBB135_643:                            ;   in Loop: Header=BB135_3 Depth=1
	s_or_b32 exec_lo, exec_lo, s41
	s_barrier_signal -1
	s_barrier_wait -1
	s_and_saveexec_b32 s41, s31
; %bb.644:                              ;   in Loop: Header=BB135_3 Depth=1
	s_delay_alu instid0(VALU_DEP_1) | instskip(NEXT) | instid1(VALU_DEP_2)
	v_xor_b32_e32 v49, 0x80000000, v3
	v_mov_b32_e32 v48, v2
	ds_store_b64 v66, v[48:49]
; %bb.645:                              ;   in Loop: Header=BB135_3 Depth=1
	s_or_b32 exec_lo, exec_lo, s41
	s_wait_dscnt 0x0
	s_barrier_signal -1
	s_barrier_wait -1
	s_and_saveexec_b32 s41, s33
	s_cbranch_execz .LBB135_647
; %bb.646:                              ;   in Loop: Header=BB135_3 Depth=1
	ds_load_b64 v[48:49], v68 offset:9856
	ds_load_b64 v[50:51], v66
	s_wait_dscnt 0x0
	v_fma_f64 v[2:3], -v[48:49], v[50:51], v[2:3]
.LBB135_647:                            ;   in Loop: Header=BB135_3 Depth=1
	s_or_b32 exec_lo, exec_lo, s41
	s_barrier_signal -1
	s_barrier_wait -1
	s_and_saveexec_b32 s41, s34
; %bb.648:                              ;   in Loop: Header=BB135_3 Depth=1
	s_delay_alu instid0(VALU_DEP_1) | instskip(NEXT) | instid1(VALU_DEP_2)
	v_xor_b32_e32 v49, 0x80000000, v3
	v_mov_b32_e32 v48, v2
	ds_store_b64 v66, v[48:49]
; %bb.649:                              ;   in Loop: Header=BB135_3 Depth=1
	s_or_b32 exec_lo, exec_lo, s41
	s_wait_dscnt 0x0
	s_barrier_signal -1
	s_barrier_wait -1
	s_and_saveexec_b32 s41, s35
	;; [unrolled: 22-line block ×3, first 2 shown]
	s_cbranch_execz .LBB135_655
; %bb.654:                              ;   in Loop: Header=BB135_3 Depth=1
	ds_load_b64 v[48:49], v7 offset:8832
	ds_load_b64 v[50:51], v66
	s_wait_dscnt 0x0
	v_fma_f64 v[2:3], -v[48:49], v[50:51], v[2:3]
.LBB135_655:                            ;   in Loop: Header=BB135_3 Depth=1
	s_or_b32 exec_lo, exec_lo, s41
	s_barrier_signal -1
	s_barrier_wait -1
	s_and_saveexec_b32 s41, s37
; %bb.656:                              ;   in Loop: Header=BB135_3 Depth=1
	s_delay_alu instid0(VALU_DEP_1) | instskip(NEXT) | instid1(VALU_DEP_2)
	v_xor_b32_e32 v49, 0x80000000, v3
	v_mov_b32_e32 v48, v2
	ds_store_b64 v66, v[48:49]
; %bb.657:                              ;   in Loop: Header=BB135_3 Depth=1
	s_or_b32 exec_lo, exec_lo, s41
	s_wait_dscnt 0x0
	s_barrier_signal -1
	s_barrier_wait -1
	s_barrier_signal -1
	s_barrier_wait -1
	s_and_saveexec_b32 s41, s4
; %bb.658:                              ;   in Loop: Header=BB135_3 Depth=1
	ds_store_b64 v72, v[2:3] offset:16000
; %bb.659:                              ;   in Loop: Header=BB135_3 Depth=1
	s_or_b32 exec_lo, exec_lo, s41
	s_wait_dscnt 0x0
	s_barrier_signal -1
	s_barrier_wait -1
	s_barrier_signal -1
	s_barrier_wait -1
	s_and_saveexec_b32 s41, s38
	s_cbranch_execz .LBB135_661
; %bb.660:                              ;   in Loop: Header=BB135_3 Depth=1
	ds_load_b64 v[2:3], v70 offset:12416
	s_wait_dscnt 0x0
	ds_store_b64 v71, v[2:3] offset:8384
	ds_load_b64 v[2:3], v70 offset:12424
	s_wait_dscnt 0x0
	ds_store_b64 v71, v[2:3] offset:8896
	;; [unrolled: 3-line block ×8, first 2 shown]
.LBB135_661:                            ;   in Loop: Header=BB135_3 Depth=1
	s_or_b32 exec_lo, exec_lo, s41
	s_wait_dscnt 0x0
	s_barrier_signal -1
	s_barrier_wait -1
	s_and_saveexec_b32 s41, s10
	s_cbranch_execz .LBB135_663
; %bb.662:                              ;   in Loop: Header=BB135_3 Depth=1
	ds_load_b64 v[2:3], v7 offset:11952
	v_mov_b32_e32 v0, v7
	ds_store_b64 v7, v[34:35] offset:11960
	s_wait_dscnt 0x1
	ds_store_b128 v7, v[0:3] offset:11440
.LBB135_663:                            ;   in Loop: Header=BB135_3 Depth=1
	s_or_b32 exec_lo, exec_lo, s41
	v_mov_b64_e32 v[2:3], 0
	s_wait_dscnt 0x0
	s_barrier_signal -1
	s_barrier_wait -1
	global_wb scope:SCOPE_DEV
	s_wait_storecnt 0x0
	global_inv scope:SCOPE_DEV
	s_and_saveexec_b32 s41, s1
	s_cbranch_execz .LBB135_667
; %bb.664:                              ;   in Loop: Header=BB135_3 Depth=1
	ds_load_b64 v[2:3], v54 offset:11424
	ds_load_b64 v[48:49], v53 offset:11952
	s_wait_dscnt 0x0
	v_fma_f64 v[2:3], v[2:3], v[48:49], 0
	s_and_saveexec_b32 s42, s11
	s_cbranch_execz .LBB135_666
; %bb.665:                              ;   in Loop: Header=BB135_3 Depth=1
	ds_load_b64 v[48:49], v71 offset:11936
	ds_load_b64 v[50:51], v7 offset:11960
	s_wait_dscnt 0x0
	v_fmac_f64_e32 v[2:3], v[48:49], v[50:51]
.LBB135_666:                            ;   in Loop: Header=BB135_3 Depth=1
	s_or_b32 exec_lo, exec_lo, s42
.LBB135_667:                            ;   in Loop: Header=BB135_3 Depth=1
	s_delay_alu instid0(SALU_CYCLE_1)
	s_or_b32 exec_lo, exec_lo, s41
	s_and_saveexec_b32 s41, s88
; %bb.668:                              ;   in Loop: Header=BB135_3 Depth=1
	s_delay_alu instid0(VALU_DEP_1) | instskip(NEXT) | instid1(VALU_DEP_2)
	v_xor_b32_e32 v49, 0x80000000, v3
	v_mov_b32_e32 v48, v2
	ds_store_b64 v52, v[48:49]
; %bb.669:                              ;   in Loop: Header=BB135_3 Depth=1
	s_or_b32 exec_lo, exec_lo, s41
	s_wait_loadcnt_dscnt 0x0
	s_barrier_signal -1
	s_barrier_wait -1
	s_and_saveexec_b32 s41, s89
	s_cbranch_execz .LBB135_671
; %bb.670:                              ;   in Loop: Header=BB135_3 Depth=1
	ds_load_b64 v[48:49], v7 offset:10912
	ds_load_b64 v[50:51], v52
	s_wait_dscnt 0x0
	v_fma_f64 v[2:3], -v[48:49], v[50:51], v[2:3]
.LBB135_671:                            ;   in Loop: Header=BB135_3 Depth=1
	s_or_b32 exec_lo, exec_lo, s41
	s_barrier_signal -1
	s_barrier_wait -1
	s_and_saveexec_b32 s41, s89
; %bb.672:                              ;   in Loop: Header=BB135_3 Depth=1
	s_delay_alu instid0(VALU_DEP_1) | instskip(NEXT) | instid1(VALU_DEP_2)
	v_xor_b32_e32 v49, 0x80000000, v3
	v_mov_b32_e32 v48, v2
	ds_store_b64 v52, v[48:49]
; %bb.673:                              ;   in Loop: Header=BB135_3 Depth=1
	s_or_b32 exec_lo, exec_lo, s41
	s_wait_dscnt 0x0
	s_barrier_signal -1
	s_barrier_wait -1
	s_barrier_signal -1
	s_barrier_wait -1
	s_and_saveexec_b32 s41, s1
; %bb.674:                              ;   in Loop: Header=BB135_3 Depth=1
	ds_store_b64 v56, v[2:3] offset:11936
; %bb.675:                              ;   in Loop: Header=BB135_3 Depth=1
	s_or_b32 exec_lo, exec_lo, s41
	s_wait_dscnt 0x0
	s_barrier_signal -1
	s_barrier_wait -1
	s_barrier_signal -1
	s_barrier_wait -1
	s_and_saveexec_b32 s41, s90
	s_cbranch_execz .LBB135_677
; %bb.676:                              ;   in Loop: Header=BB135_3 Depth=1
	ds_load_b64 v[2:3], v73 offset:11424
	s_wait_dscnt 0x0
	ds_store_b64 v71, v[2:3] offset:10416
	ds_load_b64 v[2:3], v73 offset:11432
	s_wait_dscnt 0x0
	ds_store_b64 v71, v[2:3] offset:10928
.LBB135_677:                            ;   in Loop: Header=BB135_3 Depth=1
	s_or_b32 exec_lo, exec_lo, s41
	s_wait_dscnt 0x0
	s_barrier_signal -1
	s_barrier_wait -1
	s_and_saveexec_b32 s41, s10
	s_cbranch_execz .LBB135_679
; %bb.678:                              ;   in Loop: Header=BB135_3 Depth=1
	ds_load_b64 v[2:3], v7 offset:10912
	v_mov_b32_e32 v0, v7
	ds_store_b64 v7, v[34:35] offset:10920
	s_wait_dscnt 0x1
	ds_store_b128 v7, v[0:3] offset:10400
.LBB135_679:                            ;   in Loop: Header=BB135_3 Depth=1
	s_or_b32 exec_lo, exec_lo, s41
	v_mov_b64_e32 v[2:3], 0
	s_wait_dscnt 0x0
	s_barrier_signal -1
	s_barrier_wait -1
	global_wb scope:SCOPE_DEV
	s_wait_storecnt 0x0
	global_inv scope:SCOPE_DEV
	s_and_saveexec_b32 s41, s3
	s_cbranch_execz .LBB135_685
; %bb.680:                              ;   in Loop: Header=BB135_3 Depth=1
	ds_load_b64 v[2:3], v60 offset:10368
	ds_load_b64 v[48:49], v59 offset:11936
	s_wait_dscnt 0x0
	v_fma_f64 v[2:3], v[2:3], v[48:49], 0
	s_and_saveexec_b32 s42, s12
	s_cbranch_execnz .LBB135_1101
; %bb.681:                              ;   in Loop: Header=BB135_3 Depth=1
	s_or_b32 exec_lo, exec_lo, s42
	s_and_saveexec_b32 s42, s13
	s_cbranch_execnz .LBB135_1102
.LBB135_682:                            ;   in Loop: Header=BB135_3 Depth=1
	s_or_b32 exec_lo, exec_lo, s42
	s_and_saveexec_b32 s42, s1
	s_cbranch_execz .LBB135_684
.LBB135_683:                            ;   in Loop: Header=BB135_3 Depth=1
	ds_load_b64 v[48:49], v5 offset:11904
	ds_load_b64 v[50:51], v7 offset:11960
	s_wait_dscnt 0x0
	v_fmac_f64_e32 v[2:3], v[48:49], v[50:51]
.LBB135_684:                            ;   in Loop: Header=BB135_3 Depth=1
	s_or_b32 exec_lo, exec_lo, s42
.LBB135_685:                            ;   in Loop: Header=BB135_3 Depth=1
	s_delay_alu instid0(SALU_CYCLE_1)
	s_or_b32 exec_lo, exec_lo, s41
	s_and_saveexec_b32 s41, s91
; %bb.686:                              ;   in Loop: Header=BB135_3 Depth=1
	s_delay_alu instid0(VALU_DEP_1) | instskip(NEXT) | instid1(VALU_DEP_2)
	v_xor_b32_e32 v49, 0x80000000, v3
	v_mov_b32_e32 v48, v2
	ds_store_b64 v58, v[48:49]
; %bb.687:                              ;   in Loop: Header=BB135_3 Depth=1
	s_or_b32 exec_lo, exec_lo, s41
	s_wait_loadcnt_dscnt 0x0
	s_barrier_signal -1
	s_barrier_wait -1
	s_and_saveexec_b32 s41, s92
	s_cbranch_execz .LBB135_689
; %bb.688:                              ;   in Loop: Header=BB135_3 Depth=1
	ds_load_b64 v[48:49], v60 offset:9856
	ds_load_b64 v[50:51], v58
	s_wait_dscnt 0x0
	v_fma_f64 v[2:3], -v[48:49], v[50:51], v[2:3]
.LBB135_689:                            ;   in Loop: Header=BB135_3 Depth=1
	s_or_b32 exec_lo, exec_lo, s41
	s_barrier_signal -1
	s_barrier_wait -1
	s_and_saveexec_b32 s41, s93
; %bb.690:                              ;   in Loop: Header=BB135_3 Depth=1
	s_delay_alu instid0(VALU_DEP_1) | instskip(NEXT) | instid1(VALU_DEP_2)
	v_xor_b32_e32 v49, 0x80000000, v3
	v_mov_b32_e32 v48, v2
	ds_store_b64 v58, v[48:49]
; %bb.691:                              ;   in Loop: Header=BB135_3 Depth=1
	s_or_b32 exec_lo, exec_lo, s41
	s_wait_dscnt 0x0
	s_barrier_signal -1
	s_barrier_wait -1
	s_and_saveexec_b32 s41, s94
	s_cbranch_execz .LBB135_693
; %bb.692:                              ;   in Loop: Header=BB135_3 Depth=1
	ds_load_b64 v[48:49], v60 offset:9344
	ds_load_b64 v[50:51], v58
	s_wait_dscnt 0x0
	v_fma_f64 v[2:3], -v[48:49], v[50:51], v[2:3]
.LBB135_693:                            ;   in Loop: Header=BB135_3 Depth=1
	s_or_b32 exec_lo, exec_lo, s41
	s_barrier_signal -1
	s_barrier_wait -1
	s_and_saveexec_b32 s41, s95
; %bb.694:                              ;   in Loop: Header=BB135_3 Depth=1
	s_delay_alu instid0(VALU_DEP_1) | instskip(NEXT) | instid1(VALU_DEP_2)
	v_xor_b32_e32 v49, 0x80000000, v3
	v_mov_b32_e32 v48, v2
	ds_store_b64 v58, v[48:49]
; %bb.695:                              ;   in Loop: Header=BB135_3 Depth=1
	s_or_b32 exec_lo, exec_lo, s41
	s_wait_dscnt 0x0
	;; [unrolled: 22-line block ×3, first 2 shown]
	s_barrier_signal -1
	s_barrier_wait -1
	s_barrier_signal -1
	s_barrier_wait -1
	s_and_saveexec_b32 s41, s3
; %bb.700:                              ;   in Loop: Header=BB135_3 Depth=1
	ds_store_b64 v63, v[2:3] offset:11904
; %bb.701:                              ;   in Loop: Header=BB135_3 Depth=1
	s_or_b32 exec_lo, exec_lo, s41
	s_wait_dscnt 0x0
	s_barrier_signal -1
	s_barrier_wait -1
	s_barrier_signal -1
	s_barrier_wait -1
	s_and_saveexec_b32 s41, s97
	s_cbranch_execz .LBB135_703
; %bb.702:                              ;   in Loop: Header=BB135_3 Depth=1
	ds_load_b64 v[2:3], v11 offset:10368
	s_wait_dscnt 0x0
	ds_store_b64 v84, v[2:3] offset:8352
	ds_load_b64 v[2:3], v11 offset:10376
	s_wait_dscnt 0x0
	ds_store_b64 v84, v[2:3] offset:8864
	;; [unrolled: 3-line block ×4, first 2 shown]
.LBB135_703:                            ;   in Loop: Header=BB135_3 Depth=1
	s_or_b32 exec_lo, exec_lo, s41
	s_wait_dscnt 0x0
	s_barrier_signal -1
	s_barrier_wait -1
	s_and_saveexec_b32 s41, s10
	s_cbranch_execz .LBB135_705
; %bb.704:                              ;   in Loop: Header=BB135_3 Depth=1
	ds_load_b64 v[2:3], v7 offset:9872
	v_mov_b32_e32 v0, v7
	ds_store_b64 v7, v[34:35] offset:9880
	s_wait_dscnt 0x1
	ds_store_b128 v7, v[0:3] offset:9360
.LBB135_705:                            ;   in Loop: Header=BB135_3 Depth=1
	s_or_b32 exec_lo, exec_lo, s41
	v_mov_b64_e32 v[2:3], 0
	s_wait_dscnt 0x0
	s_barrier_signal -1
	s_barrier_wait -1
	global_wb scope:SCOPE_DEV
	s_wait_storecnt 0x0
	global_inv scope:SCOPE_DEV
	s_and_saveexec_b32 s41, s1
	s_cbranch_execz .LBB135_709
; %bb.706:                              ;   in Loop: Header=BB135_3 Depth=1
	ds_load_b64 v[2:3], v54 offset:9344
	ds_load_b64 v[48:49], v53 offset:9872
	s_wait_dscnt 0x0
	v_fma_f64 v[2:3], v[2:3], v[48:49], 0
	s_and_saveexec_b32 s42, s11
	s_cbranch_execz .LBB135_708
; %bb.707:                              ;   in Loop: Header=BB135_3 Depth=1
	ds_load_b64 v[48:49], v84 offset:9856
	ds_load_b64 v[50:51], v7 offset:9880
	s_wait_dscnt 0x0
	v_fmac_f64_e32 v[2:3], v[48:49], v[50:51]
.LBB135_708:                            ;   in Loop: Header=BB135_3 Depth=1
	s_or_b32 exec_lo, exec_lo, s42
.LBB135_709:                            ;   in Loop: Header=BB135_3 Depth=1
	s_delay_alu instid0(SALU_CYCLE_1)
	s_or_b32 exec_lo, exec_lo, s41
	s_and_saveexec_b32 s41, s88
; %bb.710:                              ;   in Loop: Header=BB135_3 Depth=1
	s_delay_alu instid0(VALU_DEP_1) | instskip(NEXT) | instid1(VALU_DEP_2)
	v_xor_b32_e32 v49, 0x80000000, v3
	v_mov_b32_e32 v48, v2
	ds_store_b64 v52, v[48:49]
; %bb.711:                              ;   in Loop: Header=BB135_3 Depth=1
	s_or_b32 exec_lo, exec_lo, s41
	s_wait_loadcnt_dscnt 0x0
	s_barrier_signal -1
	s_barrier_wait -1
	s_and_saveexec_b32 s41, s89
	s_cbranch_execz .LBB135_713
; %bb.712:                              ;   in Loop: Header=BB135_3 Depth=1
	ds_load_b64 v[48:49], v7 offset:8832
	ds_load_b64 v[50:51], v52
	s_wait_dscnt 0x0
	v_fma_f64 v[2:3], -v[48:49], v[50:51], v[2:3]
.LBB135_713:                            ;   in Loop: Header=BB135_3 Depth=1
	s_or_b32 exec_lo, exec_lo, s41
	s_barrier_signal -1
	s_barrier_wait -1
	s_and_saveexec_b32 s41, s89
; %bb.714:                              ;   in Loop: Header=BB135_3 Depth=1
	s_delay_alu instid0(VALU_DEP_1) | instskip(NEXT) | instid1(VALU_DEP_2)
	v_xor_b32_e32 v49, 0x80000000, v3
	v_mov_b32_e32 v48, v2
	ds_store_b64 v52, v[48:49]
; %bb.715:                              ;   in Loop: Header=BB135_3 Depth=1
	s_or_b32 exec_lo, exec_lo, s41
	s_wait_dscnt 0x0
	s_barrier_signal -1
	s_barrier_wait -1
	s_barrier_signal -1
	s_barrier_wait -1
	s_and_saveexec_b32 s41, s1
; %bb.716:                              ;   in Loop: Header=BB135_3 Depth=1
	ds_store_b64 v56, v[2:3] offset:9856
; %bb.717:                              ;   in Loop: Header=BB135_3 Depth=1
	s_or_b32 exec_lo, exec_lo, s41
	s_wait_dscnt 0x0
	s_barrier_signal -1
	s_barrier_wait -1
	s_barrier_signal -1
	s_barrier_wait -1
	s_and_saveexec_b32 s41, s90
	s_cbranch_execz .LBB135_719
; %bb.718:                              ;   in Loop: Header=BB135_3 Depth=1
	ds_load_b64 v[2:3], v88 offset:9344
	s_wait_dscnt 0x0
	ds_store_b64 v84, v[2:3] offset:8336
	ds_load_b64 v[2:3], v88 offset:9352
	s_wait_dscnt 0x0
	ds_store_b64 v84, v[2:3] offset:8848
.LBB135_719:                            ;   in Loop: Header=BB135_3 Depth=1
	s_or_b32 exec_lo, exec_lo, s41
	s_wait_dscnt 0x0
	s_barrier_signal -1
	s_barrier_wait -1
	s_and_saveexec_b32 s41, s10
	s_cbranch_execz .LBB135_721
; %bb.720:                              ;   in Loop: Header=BB135_3 Depth=1
	ds_load_b64 v[2:3], v7 offset:8832
	v_mov_b32_e32 v0, v7
	ds_store_b64 v7, v[34:35] offset:8840
	s_wait_dscnt 0x1
	ds_store_b128 v7, v[0:3] offset:8320
.LBB135_721:                            ;   in Loop: Header=BB135_3 Depth=1
	s_or_b32 exec_lo, exec_lo, s41
	v_mov_b64_e32 v[2:3], 0
	s_wait_dscnt 0x0
	s_barrier_signal -1
	s_barrier_wait -1
	global_wb scope:SCOPE_DEV
	s_wait_storecnt 0x0
	global_inv scope:SCOPE_DEV
	s_and_saveexec_b32 s61, s5
	s_cbranch_execz .LBB135_749
; %bb.722:                              ;   in Loop: Header=BB135_3 Depth=1
	ds_load_b64 v[2:3], v76 offset:8192
	ds_load_b64 v[48:49], v75 offset:16000
	s_wait_dscnt 0x0
	v_fma_f64 v[2:3], v[2:3], v[48:49], 0
	s_mov_b32 s41, exec_lo
	v_readlane_b32 s42, v104, 17
	s_and_b32 s42, s41, s42
	s_delay_alu instid0(SALU_CYCLE_1)
	s_mov_b32 exec_lo, s42
	s_cbranch_execz .LBB135_724
; %bb.723:                              ;   in Loop: Header=BB135_3 Depth=1
	ds_load_b64 v[48:49], v76 offset:8704
	ds_load_b64 v[50:51], v75 offset:16008
	s_wait_dscnt 0x0
	v_fmac_f64_e32 v[2:3], v[48:49], v[50:51]
.LBB135_724:                            ;   in Loop: Header=BB135_3 Depth=1
	s_or_b32 exec_lo, exec_lo, s41
	s_delay_alu instid0(SALU_CYCLE_1) | instskip(SKIP_2) | instid1(SALU_CYCLE_1)
	s_mov_b32 s41, exec_lo
	v_readlane_b32 s42, v104, 18
	s_and_b32 s42, s41, s42
	s_mov_b32 exec_lo, s42
	s_cbranch_execz .LBB135_726
; %bb.725:                              ;   in Loop: Header=BB135_3 Depth=1
	ds_load_b64 v[48:49], v76 offset:9216
	ds_load_b64 v[50:51], v75 offset:16016
	s_wait_dscnt 0x0
	v_fmac_f64_e32 v[2:3], v[48:49], v[50:51]
.LBB135_726:                            ;   in Loop: Header=BB135_3 Depth=1
	s_or_b32 exec_lo, exec_lo, s41
	s_delay_alu instid0(SALU_CYCLE_1) | instskip(SKIP_2) | instid1(SALU_CYCLE_1)
	s_mov_b32 s41, exec_lo
	v_readlane_b32 s42, v104, 19
	s_and_b32 s42, s41, s42
	;; [unrolled: 13-line block ×10, first 2 shown]
	s_mov_b32 exec_lo, s42
	s_cbranch_execnz .LBB135_1103
; %bb.743:                              ;   in Loop: Header=BB135_3 Depth=1
	s_or_b32 exec_lo, exec_lo, s41
	s_and_saveexec_b32 s41, s4
	s_cbranch_execnz .LBB135_1104
.LBB135_744:                            ;   in Loop: Header=BB135_3 Depth=1
	s_or_b32 exec_lo, exec_lo, s41
	s_and_saveexec_b32 s41, s15
	s_cbranch_execnz .LBB135_1105
.LBB135_745:                            ;   in Loop: Header=BB135_3 Depth=1
	s_or_b32 exec_lo, exec_lo, s41
	s_and_saveexec_b32 s41, s17
	s_cbranch_execnz .LBB135_1106
.LBB135_746:                            ;   in Loop: Header=BB135_3 Depth=1
	s_or_b32 exec_lo, exec_lo, s41
	s_and_saveexec_b32 s41, s3
	s_cbranch_execz .LBB135_748
.LBB135_747:                            ;   in Loop: Header=BB135_3 Depth=1
	ds_load_b64 v[48:49], v55 offset:15872
	ds_load_b64 v[50:51], v7 offset:16120
	s_wait_dscnt 0x0
	v_fmac_f64_e32 v[2:3], v[48:49], v[50:51]
.LBB135_748:                            ;   in Loop: Header=BB135_3 Depth=1
	s_or_b32 exec_lo, exec_lo, s41
.LBB135_749:                            ;   in Loop: Header=BB135_3 Depth=1
	s_delay_alu instid0(SALU_CYCLE_1) | instskip(NEXT) | instid1(SALU_CYCLE_1)
	s_or_b32 exec_lo, exec_lo, s61
	s_mov_b32 s41, exec_lo
	v_readlane_b32 s42, v104, 2
	s_and_b32 s42, s41, s42
	s_delay_alu instid0(SALU_CYCLE_1)
	s_mov_b32 exec_lo, s42
; %bb.750:                              ;   in Loop: Header=BB135_3 Depth=1
	v_xor_b32_e32 v49, 0x80000000, v3
	v_mov_b32_e32 v48, v2
	ds_store_b64 v74, v[48:49]
; %bb.751:                              ;   in Loop: Header=BB135_3 Depth=1
	s_or_b32 exec_lo, exec_lo, s41
	s_wait_loadcnt_dscnt 0x0
	s_barrier_signal -1
	s_barrier_wait -1
	s_mov_b32 s41, exec_lo
	v_readlane_b32 s42, v104, 3
	s_and_b32 s42, s41, s42
	s_delay_alu instid0(SALU_CYCLE_1)
	s_mov_b32 exec_lo, s42
	s_cbranch_execz .LBB135_753
; %bb.752:                              ;   in Loop: Header=BB135_3 Depth=1
	ds_load_b64 v[48:49], v76 offset:7680
	ds_load_b64 v[50:51], v74
	s_wait_dscnt 0x0
	v_fma_f64 v[2:3], -v[48:49], v[50:51], v[2:3]
.LBB135_753:                            ;   in Loop: Header=BB135_3 Depth=1
	s_or_b32 exec_lo, exec_lo, s41
	s_barrier_signal -1
	s_barrier_wait -1
	s_mov_b32 s41, exec_lo
	v_readlane_b32 s42, v104, 4
	s_and_b32 s42, s41, s42
	s_delay_alu instid0(SALU_CYCLE_1)
	s_mov_b32 exec_lo, s42
; %bb.754:                              ;   in Loop: Header=BB135_3 Depth=1
	v_xor_b32_e32 v49, 0x80000000, v3
	v_mov_b32_e32 v48, v2
	ds_store_b64 v74, v[48:49]
; %bb.755:                              ;   in Loop: Header=BB135_3 Depth=1
	s_or_b32 exec_lo, exec_lo, s41
	s_wait_dscnt 0x0
	s_barrier_signal -1
	s_barrier_wait -1
	s_mov_b32 s41, exec_lo
	v_readlane_b32 s42, v104, 5
	s_and_b32 s42, s41, s42
	s_delay_alu instid0(SALU_CYCLE_1)
	s_mov_b32 exec_lo, s42
	s_cbranch_execz .LBB135_757
; %bb.756:                              ;   in Loop: Header=BB135_3 Depth=1
	ds_load_b64 v[48:49], v76 offset:7168
	ds_load_b64 v[50:51], v74
	s_wait_dscnt 0x0
	v_fma_f64 v[2:3], -v[48:49], v[50:51], v[2:3]
.LBB135_757:                            ;   in Loop: Header=BB135_3 Depth=1
	s_or_b32 exec_lo, exec_lo, s41
	s_barrier_signal -1
	s_barrier_wait -1
	s_mov_b32 s41, exec_lo
	v_readlane_b32 s42, v104, 6
	s_and_b32 s42, s41, s42
	s_delay_alu instid0(SALU_CYCLE_1)
	s_mov_b32 exec_lo, s42
; %bb.758:                              ;   in Loop: Header=BB135_3 Depth=1
	v_xor_b32_e32 v49, 0x80000000, v3
	v_mov_b32_e32 v48, v2
	ds_store_b64 v74, v[48:49]
; %bb.759:                              ;   in Loop: Header=BB135_3 Depth=1
	s_or_b32 exec_lo, exec_lo, s41
	s_wait_dscnt 0x0
	s_barrier_signal -1
	s_barrier_wait -1
	s_and_saveexec_b32 s41, s44
	s_cbranch_execz .LBB135_761
; %bb.760:                              ;   in Loop: Header=BB135_3 Depth=1
	ds_load_b64 v[48:49], v76 offset:6656
	ds_load_b64 v[50:51], v74
	s_wait_dscnt 0x0
	v_fma_f64 v[2:3], -v[48:49], v[50:51], v[2:3]
.LBB135_761:                            ;   in Loop: Header=BB135_3 Depth=1
	s_or_b32 exec_lo, exec_lo, s41
	s_barrier_signal -1
	s_barrier_wait -1
	s_and_saveexec_b32 s41, s45
; %bb.762:                              ;   in Loop: Header=BB135_3 Depth=1
	s_delay_alu instid0(VALU_DEP_1) | instskip(NEXT) | instid1(VALU_DEP_2)
	v_xor_b32_e32 v49, 0x80000000, v3
	v_mov_b32_e32 v48, v2
	ds_store_b64 v74, v[48:49]
; %bb.763:                              ;   in Loop: Header=BB135_3 Depth=1
	s_or_b32 exec_lo, exec_lo, s41
	s_wait_dscnt 0x0
	s_barrier_signal -1
	s_barrier_wait -1
	s_and_saveexec_b32 s41, s46
	s_cbranch_execz .LBB135_765
; %bb.764:                              ;   in Loop: Header=BB135_3 Depth=1
	ds_load_b64 v[48:49], v76 offset:6144
	ds_load_b64 v[50:51], v74
	s_wait_dscnt 0x0
	v_fma_f64 v[2:3], -v[48:49], v[50:51], v[2:3]
.LBB135_765:                            ;   in Loop: Header=BB135_3 Depth=1
	s_or_b32 exec_lo, exec_lo, s41
	s_barrier_signal -1
	s_barrier_wait -1
	s_and_saveexec_b32 s41, s47
; %bb.766:                              ;   in Loop: Header=BB135_3 Depth=1
	s_delay_alu instid0(VALU_DEP_1) | instskip(NEXT) | instid1(VALU_DEP_2)
	;; [unrolled: 22-line block ×13, first 2 shown]
	v_xor_b32_e32 v49, 0x80000000, v3
	v_mov_b32_e32 v48, v2
	ds_store_b64 v74, v[48:49]
; %bb.811:                              ;   in Loop: Header=BB135_3 Depth=1
	s_or_b32 exec_lo, exec_lo, s41
	s_wait_dscnt 0x0
	s_barrier_signal -1
	s_barrier_wait -1
	s_barrier_signal -1
	s_barrier_wait -1
	s_and_saveexec_b32 s41, s5
; %bb.812:                              ;   in Loop: Header=BB135_3 Depth=1
	ds_store_b64 v78, v[2:3] offset:15872
; %bb.813:                              ;   in Loop: Header=BB135_3 Depth=1
	s_or_b32 exec_lo, exec_lo, s41
	s_wait_dscnt 0x0
	s_barrier_signal -1
	s_barrier_wait -1
	s_barrier_signal -1
	s_barrier_wait -1
	s_and_saveexec_b32 s41, s28
	s_cbranch_execz .LBB135_815
; %bb.814:                              ;   in Loop: Header=BB135_3 Depth=1
	ds_load_b64 v[2:3], v57 offset:8192
	s_wait_dscnt 0x0
	ds_store_b64 v61, v[2:3] offset:128
	ds_load_b64 v[2:3], v57 offset:8200
	s_wait_dscnt 0x0
	ds_store_b64 v61, v[2:3] offset:640
	;; [unrolled: 3-line block ×16, first 2 shown]
.LBB135_815:                            ;   in Loop: Header=BB135_3 Depth=1
	s_or_b32 exec_lo, exec_lo, s41
	s_wait_dscnt 0x0
	s_barrier_signal -1
	s_barrier_wait -1
	s_and_saveexec_b32 s41, s10
	s_cbranch_execz .LBB135_817
; %bb.816:                              ;   in Loop: Header=BB135_3 Depth=1
	ds_load_b64 v[2:3], v7 offset:7792
	v_mov_b32_e32 v0, v7
	ds_store_b64 v7, v[34:35] offset:7800
	s_wait_dscnt 0x1
	ds_store_b128 v7, v[0:3] offset:7280
.LBB135_817:                            ;   in Loop: Header=BB135_3 Depth=1
	s_or_b32 exec_lo, exec_lo, s41
	v_mov_b64_e32 v[2:3], 0
	s_wait_dscnt 0x0
	s_barrier_signal -1
	s_barrier_wait -1
	global_wb scope:SCOPE_DEV
	s_wait_storecnt 0x0
	global_inv scope:SCOPE_DEV
	s_and_saveexec_b32 s41, s1
	s_cbranch_execz .LBB135_821
; %bb.818:                              ;   in Loop: Header=BB135_3 Depth=1
	ds_load_b64 v[2:3], v54 offset:7264
	ds_load_b64 v[48:49], v53 offset:7792
	s_wait_dscnt 0x0
	v_fma_f64 v[2:3], v[2:3], v[48:49], 0
	s_and_saveexec_b32 s42, s11
	s_cbranch_execz .LBB135_820
; %bb.819:                              ;   in Loop: Header=BB135_3 Depth=1
	ds_load_b64 v[48:49], v55 offset:7776
	ds_load_b64 v[50:51], v7 offset:7800
	s_wait_dscnt 0x0
	v_fmac_f64_e32 v[2:3], v[48:49], v[50:51]
.LBB135_820:                            ;   in Loop: Header=BB135_3 Depth=1
	s_or_b32 exec_lo, exec_lo, s42
.LBB135_821:                            ;   in Loop: Header=BB135_3 Depth=1
	s_delay_alu instid0(SALU_CYCLE_1)
	s_or_b32 exec_lo, exec_lo, s41
	s_and_saveexec_b32 s41, s88
; %bb.822:                              ;   in Loop: Header=BB135_3 Depth=1
	s_delay_alu instid0(VALU_DEP_1) | instskip(NEXT) | instid1(VALU_DEP_2)
	v_xor_b32_e32 v49, 0x80000000, v3
	v_mov_b32_e32 v48, v2
	ds_store_b64 v52, v[48:49]
; %bb.823:                              ;   in Loop: Header=BB135_3 Depth=1
	s_or_b32 exec_lo, exec_lo, s41
	s_wait_loadcnt_dscnt 0x0
	s_barrier_signal -1
	s_barrier_wait -1
	s_and_saveexec_b32 s41, s89
	s_cbranch_execz .LBB135_825
; %bb.824:                              ;   in Loop: Header=BB135_3 Depth=1
	ds_load_b64 v[48:49], v7 offset:6752
	ds_load_b64 v[50:51], v52
	s_wait_dscnt 0x0
	v_fma_f64 v[2:3], -v[48:49], v[50:51], v[2:3]
.LBB135_825:                            ;   in Loop: Header=BB135_3 Depth=1
	s_or_b32 exec_lo, exec_lo, s41
	s_barrier_signal -1
	s_barrier_wait -1
	s_and_saveexec_b32 s41, s89
; %bb.826:                              ;   in Loop: Header=BB135_3 Depth=1
	s_delay_alu instid0(VALU_DEP_1) | instskip(NEXT) | instid1(VALU_DEP_2)
	v_xor_b32_e32 v49, 0x80000000, v3
	v_mov_b32_e32 v48, v2
	ds_store_b64 v52, v[48:49]
; %bb.827:                              ;   in Loop: Header=BB135_3 Depth=1
	s_or_b32 exec_lo, exec_lo, s41
	s_wait_dscnt 0x0
	s_barrier_signal -1
	s_barrier_wait -1
	s_barrier_signal -1
	s_barrier_wait -1
	s_and_saveexec_b32 s41, s1
; %bb.828:                              ;   in Loop: Header=BB135_3 Depth=1
	ds_store_b64 v56, v[2:3] offset:7776
; %bb.829:                              ;   in Loop: Header=BB135_3 Depth=1
	s_or_b32 exec_lo, exec_lo, s41
	s_wait_dscnt 0x0
	s_barrier_signal -1
	s_barrier_wait -1
	s_barrier_signal -1
	s_barrier_wait -1
	s_and_saveexec_b32 s41, s90
	s_cbranch_execz .LBB135_831
; %bb.830:                              ;   in Loop: Header=BB135_3 Depth=1
	ds_load_b64 v[2:3], v57 offset:7264
	s_wait_dscnt 0x0
	ds_store_b64 v55, v[2:3] offset:6256
	ds_load_b64 v[2:3], v57 offset:7272
	s_wait_dscnt 0x0
	ds_store_b64 v55, v[2:3] offset:6768
.LBB135_831:                            ;   in Loop: Header=BB135_3 Depth=1
	s_or_b32 exec_lo, exec_lo, s41
	s_wait_dscnt 0x0
	s_barrier_signal -1
	s_barrier_wait -1
	s_and_saveexec_b32 s41, s10
	s_cbranch_execz .LBB135_833
; %bb.832:                              ;   in Loop: Header=BB135_3 Depth=1
	ds_load_b64 v[2:3], v7 offset:6752
	v_mov_b32_e32 v0, v7
	ds_store_b64 v7, v[34:35] offset:6760
	s_wait_dscnt 0x1
	ds_store_b128 v7, v[0:3] offset:6240
.LBB135_833:                            ;   in Loop: Header=BB135_3 Depth=1
	s_or_b32 exec_lo, exec_lo, s41
	v_mov_b64_e32 v[2:3], 0
	s_wait_dscnt 0x0
	s_barrier_signal -1
	s_barrier_wait -1
	global_wb scope:SCOPE_DEV
	s_wait_storecnt 0x0
	global_inv scope:SCOPE_DEV
	s_and_saveexec_b32 s41, s3
	s_cbranch_execz .LBB135_839
; %bb.834:                              ;   in Loop: Header=BB135_3 Depth=1
	ds_load_b64 v[2:3], v60 offset:6208
	ds_load_b64 v[48:49], v59 offset:7776
	s_wait_dscnt 0x0
	v_fma_f64 v[2:3], v[2:3], v[48:49], 0
	s_and_saveexec_b32 s42, s12
	s_cbranch_execnz .LBB135_1107
; %bb.835:                              ;   in Loop: Header=BB135_3 Depth=1
	s_or_b32 exec_lo, exec_lo, s42
	s_and_saveexec_b32 s42, s13
	s_cbranch_execnz .LBB135_1108
.LBB135_836:                            ;   in Loop: Header=BB135_3 Depth=1
	s_or_b32 exec_lo, exec_lo, s42
	s_and_saveexec_b32 s42, s1
	s_cbranch_execz .LBB135_838
.LBB135_837:                            ;   in Loop: Header=BB135_3 Depth=1
	ds_load_b64 v[48:49], v61 offset:7744
	ds_load_b64 v[50:51], v7 offset:7800
	s_wait_dscnt 0x0
	v_fmac_f64_e32 v[2:3], v[48:49], v[50:51]
.LBB135_838:                            ;   in Loop: Header=BB135_3 Depth=1
	s_or_b32 exec_lo, exec_lo, s42
.LBB135_839:                            ;   in Loop: Header=BB135_3 Depth=1
	s_delay_alu instid0(SALU_CYCLE_1)
	s_or_b32 exec_lo, exec_lo, s41
	s_and_saveexec_b32 s41, s91
; %bb.840:                              ;   in Loop: Header=BB135_3 Depth=1
	s_delay_alu instid0(VALU_DEP_1) | instskip(NEXT) | instid1(VALU_DEP_2)
	v_xor_b32_e32 v49, 0x80000000, v3
	v_mov_b32_e32 v48, v2
	ds_store_b64 v58, v[48:49]
; %bb.841:                              ;   in Loop: Header=BB135_3 Depth=1
	s_or_b32 exec_lo, exec_lo, s41
	s_wait_loadcnt_dscnt 0x0
	s_barrier_signal -1
	s_barrier_wait -1
	s_and_saveexec_b32 s41, s92
	s_cbranch_execz .LBB135_843
; %bb.842:                              ;   in Loop: Header=BB135_3 Depth=1
	ds_load_b64 v[48:49], v60 offset:5696
	ds_load_b64 v[50:51], v58
	s_wait_dscnt 0x0
	v_fma_f64 v[2:3], -v[48:49], v[50:51], v[2:3]
.LBB135_843:                            ;   in Loop: Header=BB135_3 Depth=1
	s_or_b32 exec_lo, exec_lo, s41
	s_barrier_signal -1
	s_barrier_wait -1
	s_and_saveexec_b32 s41, s93
; %bb.844:                              ;   in Loop: Header=BB135_3 Depth=1
	s_delay_alu instid0(VALU_DEP_1) | instskip(NEXT) | instid1(VALU_DEP_2)
	v_xor_b32_e32 v49, 0x80000000, v3
	v_mov_b32_e32 v48, v2
	ds_store_b64 v58, v[48:49]
; %bb.845:                              ;   in Loop: Header=BB135_3 Depth=1
	s_or_b32 exec_lo, exec_lo, s41
	s_wait_dscnt 0x0
	s_barrier_signal -1
	s_barrier_wait -1
	s_and_saveexec_b32 s41, s94
	s_cbranch_execz .LBB135_847
; %bb.846:                              ;   in Loop: Header=BB135_3 Depth=1
	ds_load_b64 v[48:49], v60 offset:5184
	ds_load_b64 v[50:51], v58
	s_wait_dscnt 0x0
	v_fma_f64 v[2:3], -v[48:49], v[50:51], v[2:3]
.LBB135_847:                            ;   in Loop: Header=BB135_3 Depth=1
	s_or_b32 exec_lo, exec_lo, s41
	s_barrier_signal -1
	s_barrier_wait -1
	s_and_saveexec_b32 s41, s95
; %bb.848:                              ;   in Loop: Header=BB135_3 Depth=1
	s_delay_alu instid0(VALU_DEP_1) | instskip(NEXT) | instid1(VALU_DEP_2)
	v_xor_b32_e32 v49, 0x80000000, v3
	v_mov_b32_e32 v48, v2
	ds_store_b64 v58, v[48:49]
; %bb.849:                              ;   in Loop: Header=BB135_3 Depth=1
	s_or_b32 exec_lo, exec_lo, s41
	s_wait_dscnt 0x0
	;; [unrolled: 22-line block ×3, first 2 shown]
	s_barrier_signal -1
	s_barrier_wait -1
	s_barrier_signal -1
	s_barrier_wait -1
	s_and_saveexec_b32 s41, s3
; %bb.854:                              ;   in Loop: Header=BB135_3 Depth=1
	ds_store_b64 v63, v[2:3] offset:7744
; %bb.855:                              ;   in Loop: Header=BB135_3 Depth=1
	s_or_b32 exec_lo, exec_lo, s41
	s_wait_dscnt 0x0
	s_barrier_signal -1
	s_barrier_wait -1
	s_barrier_signal -1
	s_barrier_wait -1
	s_and_saveexec_b32 s41, s97
	s_cbranch_execz .LBB135_857
; %bb.856:                              ;   in Loop: Header=BB135_3 Depth=1
	ds_load_b64 v[2:3], v62 offset:6208
	s_wait_dscnt 0x0
	ds_store_b64 v64, v[2:3] offset:4192
	ds_load_b64 v[2:3], v62 offset:6216
	s_wait_dscnt 0x0
	ds_store_b64 v64, v[2:3] offset:4704
	;; [unrolled: 3-line block ×4, first 2 shown]
.LBB135_857:                            ;   in Loop: Header=BB135_3 Depth=1
	s_or_b32 exec_lo, exec_lo, s41
	s_wait_dscnt 0x0
	s_barrier_signal -1
	s_barrier_wait -1
	s_and_saveexec_b32 s41, s10
	s_cbranch_execz .LBB135_859
; %bb.858:                              ;   in Loop: Header=BB135_3 Depth=1
	ds_load_b64 v[2:3], v7 offset:5712
	v_mov_b32_e32 v0, v7
	ds_store_b64 v7, v[34:35] offset:5720
	s_wait_dscnt 0x1
	ds_store_b128 v7, v[0:3] offset:5200
.LBB135_859:                            ;   in Loop: Header=BB135_3 Depth=1
	s_or_b32 exec_lo, exec_lo, s41
	v_mov_b64_e32 v[2:3], 0
	s_wait_dscnt 0x0
	s_barrier_signal -1
	s_barrier_wait -1
	global_wb scope:SCOPE_DEV
	s_wait_storecnt 0x0
	global_inv scope:SCOPE_DEV
	s_and_saveexec_b32 s41, s1
	s_cbranch_execz .LBB135_863
; %bb.860:                              ;   in Loop: Header=BB135_3 Depth=1
	ds_load_b64 v[2:3], v54 offset:5184
	ds_load_b64 v[48:49], v53 offset:5712
	s_wait_dscnt 0x0
	v_fma_f64 v[2:3], v[2:3], v[48:49], 0
	s_and_saveexec_b32 s42, s11
	s_cbranch_execz .LBB135_862
; %bb.861:                              ;   in Loop: Header=BB135_3 Depth=1
	ds_load_b64 v[48:49], v64 offset:5696
	ds_load_b64 v[50:51], v7 offset:5720
	s_wait_dscnt 0x0
	v_fmac_f64_e32 v[2:3], v[48:49], v[50:51]
.LBB135_862:                            ;   in Loop: Header=BB135_3 Depth=1
	s_or_b32 exec_lo, exec_lo, s42
.LBB135_863:                            ;   in Loop: Header=BB135_3 Depth=1
	s_delay_alu instid0(SALU_CYCLE_1)
	s_or_b32 exec_lo, exec_lo, s41
	s_and_saveexec_b32 s41, s88
; %bb.864:                              ;   in Loop: Header=BB135_3 Depth=1
	s_delay_alu instid0(VALU_DEP_1) | instskip(NEXT) | instid1(VALU_DEP_2)
	v_xor_b32_e32 v49, 0x80000000, v3
	v_mov_b32_e32 v48, v2
	ds_store_b64 v52, v[48:49]
; %bb.865:                              ;   in Loop: Header=BB135_3 Depth=1
	s_or_b32 exec_lo, exec_lo, s41
	s_wait_loadcnt_dscnt 0x0
	s_barrier_signal -1
	s_barrier_wait -1
	s_and_saveexec_b32 s41, s89
	s_cbranch_execz .LBB135_867
; %bb.866:                              ;   in Loop: Header=BB135_3 Depth=1
	ds_load_b64 v[48:49], v7 offset:4672
	ds_load_b64 v[50:51], v52
	s_wait_dscnt 0x0
	v_fma_f64 v[2:3], -v[48:49], v[50:51], v[2:3]
.LBB135_867:                            ;   in Loop: Header=BB135_3 Depth=1
	s_or_b32 exec_lo, exec_lo, s41
	s_barrier_signal -1
	s_barrier_wait -1
	s_and_saveexec_b32 s41, s89
; %bb.868:                              ;   in Loop: Header=BB135_3 Depth=1
	s_delay_alu instid0(VALU_DEP_1) | instskip(NEXT) | instid1(VALU_DEP_2)
	v_xor_b32_e32 v49, 0x80000000, v3
	v_mov_b32_e32 v48, v2
	ds_store_b64 v52, v[48:49]
; %bb.869:                              ;   in Loop: Header=BB135_3 Depth=1
	s_or_b32 exec_lo, exec_lo, s41
	s_wait_dscnt 0x0
	s_barrier_signal -1
	s_barrier_wait -1
	s_barrier_signal -1
	s_barrier_wait -1
	s_and_saveexec_b32 s41, s1
; %bb.870:                              ;   in Loop: Header=BB135_3 Depth=1
	ds_store_b64 v56, v[2:3] offset:5696
; %bb.871:                              ;   in Loop: Header=BB135_3 Depth=1
	s_or_b32 exec_lo, exec_lo, s41
	s_wait_dscnt 0x0
	s_barrier_signal -1
	s_barrier_wait -1
	s_barrier_signal -1
	s_barrier_wait -1
	s_and_saveexec_b32 s41, s90
	s_cbranch_execz .LBB135_873
; %bb.872:                              ;   in Loop: Header=BB135_3 Depth=1
	ds_load_b64 v[2:3], v65 offset:5184
	s_wait_dscnt 0x0
	ds_store_b64 v64, v[2:3] offset:4176
	ds_load_b64 v[2:3], v65 offset:5192
	s_wait_dscnt 0x0
	ds_store_b64 v64, v[2:3] offset:4688
.LBB135_873:                            ;   in Loop: Header=BB135_3 Depth=1
	s_or_b32 exec_lo, exec_lo, s41
	s_wait_dscnt 0x0
	s_barrier_signal -1
	s_barrier_wait -1
	s_and_saveexec_b32 s41, s10
	s_cbranch_execz .LBB135_875
; %bb.874:                              ;   in Loop: Header=BB135_3 Depth=1
	ds_load_b64 v[2:3], v7 offset:4672
	v_mov_b32_e32 v0, v7
	ds_store_b64 v7, v[34:35] offset:4680
	s_wait_dscnt 0x1
	ds_store_b128 v7, v[0:3] offset:4160
.LBB135_875:                            ;   in Loop: Header=BB135_3 Depth=1
	s_or_b32 exec_lo, exec_lo, s41
	v_mov_b64_e32 v[2:3], 0
	s_wait_dscnt 0x0
	s_barrier_signal -1
	s_barrier_wait -1
	global_wb scope:SCOPE_DEV
	s_wait_storecnt 0x0
	global_inv scope:SCOPE_DEV
	s_and_saveexec_b32 s41, s4
	s_cbranch_execz .LBB135_885
; %bb.876:                              ;   in Loop: Header=BB135_3 Depth=1
	ds_load_b64 v[2:3], v68 offset:4096
	ds_load_b64 v[48:49], v67 offset:7744
	s_wait_dscnt 0x0
	v_fma_f64 v[2:3], v[2:3], v[48:49], 0
	s_and_saveexec_b32 s42, s14
	s_cbranch_execnz .LBB135_1109
; %bb.877:                              ;   in Loop: Header=BB135_3 Depth=1
	s_or_b32 exec_lo, exec_lo, s42
	s_and_saveexec_b32 s42, s15
	s_cbranch_execnz .LBB135_1110
.LBB135_878:                            ;   in Loop: Header=BB135_3 Depth=1
	s_or_b32 exec_lo, exec_lo, s42
	s_and_saveexec_b32 s42, s16
	s_cbranch_execnz .LBB135_1111
.LBB135_879:                            ;   in Loop: Header=BB135_3 Depth=1
	s_or_b32 exec_lo, exec_lo, s42
	s_and_saveexec_b32 s42, s17
	s_cbranch_execnz .LBB135_1112
.LBB135_880:                            ;   in Loop: Header=BB135_3 Depth=1
	s_or_b32 exec_lo, exec_lo, s42
	s_and_saveexec_b32 s42, s18
	s_cbranch_execnz .LBB135_1113
.LBB135_881:                            ;   in Loop: Header=BB135_3 Depth=1
	s_or_b32 exec_lo, exec_lo, s42
	s_and_saveexec_b32 s42, s3
	s_cbranch_execnz .LBB135_1114
.LBB135_882:                            ;   in Loop: Header=BB135_3 Depth=1
	s_or_b32 exec_lo, exec_lo, s42
	s_and_saveexec_b32 s42, s13
	s_cbranch_execz .LBB135_884
.LBB135_883:                            ;   in Loop: Header=BB135_3 Depth=1
	ds_load_b64 v[48:49], v69 offset:7680
	ds_load_b64 v[50:51], v7 offset:7800
	s_wait_dscnt 0x0
	v_fmac_f64_e32 v[2:3], v[48:49], v[50:51]
.LBB135_884:                            ;   in Loop: Header=BB135_3 Depth=1
	s_or_b32 exec_lo, exec_lo, s42
.LBB135_885:                            ;   in Loop: Header=BB135_3 Depth=1
	s_delay_alu instid0(SALU_CYCLE_1)
	s_or_b32 exec_lo, exec_lo, s41
	s_and_saveexec_b32 s41, s98
; %bb.886:                              ;   in Loop: Header=BB135_3 Depth=1
	s_delay_alu instid0(VALU_DEP_1) | instskip(NEXT) | instid1(VALU_DEP_2)
	v_xor_b32_e32 v49, 0x80000000, v3
	v_mov_b32_e32 v48, v2
	ds_store_b64 v66, v[48:49]
; %bb.887:                              ;   in Loop: Header=BB135_3 Depth=1
	s_or_b32 exec_lo, exec_lo, s41
	s_wait_loadcnt_dscnt 0x0
	s_barrier_signal -1
	s_barrier_wait -1
	s_and_saveexec_b32 s41, s99
	s_cbranch_execz .LBB135_889
; %bb.888:                              ;   in Loop: Header=BB135_3 Depth=1
	ds_load_b64 v[48:49], v68 offset:3584
	ds_load_b64 v[50:51], v66
	s_wait_dscnt 0x0
	v_fma_f64 v[2:3], -v[48:49], v[50:51], v[2:3]
.LBB135_889:                            ;   in Loop: Header=BB135_3 Depth=1
	s_or_b32 exec_lo, exec_lo, s41
	s_barrier_signal -1
	s_barrier_wait -1
	s_and_saveexec_b32 s41, s100
; %bb.890:                              ;   in Loop: Header=BB135_3 Depth=1
	s_delay_alu instid0(VALU_DEP_1) | instskip(NEXT) | instid1(VALU_DEP_2)
	v_xor_b32_e32 v49, 0x80000000, v3
	v_mov_b32_e32 v48, v2
	ds_store_b64 v66, v[48:49]
; %bb.891:                              ;   in Loop: Header=BB135_3 Depth=1
	s_or_b32 exec_lo, exec_lo, s41
	s_wait_dscnt 0x0
	s_barrier_signal -1
	s_barrier_wait -1
	s_and_saveexec_b32 s41, s101
	s_cbranch_execz .LBB135_893
; %bb.892:                              ;   in Loop: Header=BB135_3 Depth=1
	ds_load_b64 v[48:49], v68 offset:3072
	ds_load_b64 v[50:51], v66
	s_wait_dscnt 0x0
	v_fma_f64 v[2:3], -v[48:49], v[50:51], v[2:3]
.LBB135_893:                            ;   in Loop: Header=BB135_3 Depth=1
	s_or_b32 exec_lo, exec_lo, s41
	s_barrier_signal -1
	s_barrier_wait -1
	s_and_saveexec_b32 s41, s102
; %bb.894:                              ;   in Loop: Header=BB135_3 Depth=1
	s_delay_alu instid0(VALU_DEP_1) | instskip(NEXT) | instid1(VALU_DEP_2)
	v_xor_b32_e32 v49, 0x80000000, v3
	v_mov_b32_e32 v48, v2
	ds_store_b64 v66, v[48:49]
; %bb.895:                              ;   in Loop: Header=BB135_3 Depth=1
	s_or_b32 exec_lo, exec_lo, s41
	s_wait_dscnt 0x0
	;; [unrolled: 22-line block ×3, first 2 shown]
	s_barrier_signal -1
	s_barrier_wait -1
	s_and_saveexec_b32 s41, vcc_hi
	s_cbranch_execz .LBB135_901
; %bb.900:                              ;   in Loop: Header=BB135_3 Depth=1
	ds_load_b64 v[48:49], v68 offset:2048
	ds_load_b64 v[50:51], v66
	s_wait_dscnt 0x0
	v_fma_f64 v[2:3], -v[48:49], v[50:51], v[2:3]
.LBB135_901:                            ;   in Loop: Header=BB135_3 Depth=1
	s_or_b32 exec_lo, exec_lo, s41
	s_barrier_signal -1
	s_barrier_wait -1
	s_and_saveexec_b32 s41, s31
; %bb.902:                              ;   in Loop: Header=BB135_3 Depth=1
	s_delay_alu instid0(VALU_DEP_1) | instskip(NEXT) | instid1(VALU_DEP_2)
	v_xor_b32_e32 v49, 0x80000000, v3
	v_mov_b32_e32 v48, v2
	ds_store_b64 v66, v[48:49]
; %bb.903:                              ;   in Loop: Header=BB135_3 Depth=1
	s_or_b32 exec_lo, exec_lo, s41
	s_wait_dscnt 0x0
	s_barrier_signal -1
	s_barrier_wait -1
	s_and_saveexec_b32 s41, s33
	s_cbranch_execz .LBB135_905
; %bb.904:                              ;   in Loop: Header=BB135_3 Depth=1
	ds_load_b64 v[48:49], v68 offset:1536
	ds_load_b64 v[50:51], v66
	s_wait_dscnt 0x0
	v_fma_f64 v[2:3], -v[48:49], v[50:51], v[2:3]
.LBB135_905:                            ;   in Loop: Header=BB135_3 Depth=1
	s_or_b32 exec_lo, exec_lo, s41
	s_barrier_signal -1
	s_barrier_wait -1
	s_and_saveexec_b32 s41, s34
; %bb.906:                              ;   in Loop: Header=BB135_3 Depth=1
	s_delay_alu instid0(VALU_DEP_1) | instskip(NEXT) | instid1(VALU_DEP_2)
	v_xor_b32_e32 v49, 0x80000000, v3
	v_mov_b32_e32 v48, v2
	ds_store_b64 v66, v[48:49]
; %bb.907:                              ;   in Loop: Header=BB135_3 Depth=1
	s_or_b32 exec_lo, exec_lo, s41
	s_wait_dscnt 0x0
	s_barrier_signal -1
	s_barrier_wait -1
	s_and_saveexec_b32 s41, s35
	;; [unrolled: 22-line block ×3, first 2 shown]
	s_cbranch_execz .LBB135_913
; %bb.912:                              ;   in Loop: Header=BB135_3 Depth=1
	ds_load_b64 v[48:49], v7 offset:512
	ds_load_b64 v[50:51], v66
	s_wait_dscnt 0x0
	v_fma_f64 v[2:3], -v[48:49], v[50:51], v[2:3]
.LBB135_913:                            ;   in Loop: Header=BB135_3 Depth=1
	s_or_b32 exec_lo, exec_lo, s41
	s_barrier_signal -1
	s_barrier_wait -1
	s_and_saveexec_b32 s41, s37
; %bb.914:                              ;   in Loop: Header=BB135_3 Depth=1
	s_delay_alu instid0(VALU_DEP_1) | instskip(NEXT) | instid1(VALU_DEP_2)
	v_xor_b32_e32 v49, 0x80000000, v3
	v_mov_b32_e32 v48, v2
	ds_store_b64 v66, v[48:49]
; %bb.915:                              ;   in Loop: Header=BB135_3 Depth=1
	s_or_b32 exec_lo, exec_lo, s41
	s_wait_dscnt 0x0
	s_barrier_signal -1
	s_barrier_wait -1
	s_barrier_signal -1
	s_barrier_wait -1
	s_and_saveexec_b32 s41, s4
; %bb.916:                              ;   in Loop: Header=BB135_3 Depth=1
	ds_store_b64 v72, v[2:3] offset:7680
; %bb.917:                              ;   in Loop: Header=BB135_3 Depth=1
	s_or_b32 exec_lo, exec_lo, s41
	s_wait_dscnt 0x0
	s_barrier_signal -1
	s_barrier_wait -1
	s_barrier_signal -1
	s_barrier_wait -1
	s_and_saveexec_b32 s41, s38
	s_cbranch_execz .LBB135_919
; %bb.918:                              ;   in Loop: Header=BB135_3 Depth=1
	ds_load_b64 v[2:3], v70 offset:4096
	s_wait_dscnt 0x0
	ds_store_b64 v71, v[2:3] offset:64
	ds_load_b64 v[2:3], v70 offset:4104
	s_wait_dscnt 0x0
	ds_store_b64 v71, v[2:3] offset:576
	;; [unrolled: 3-line block ×8, first 2 shown]
.LBB135_919:                            ;   in Loop: Header=BB135_3 Depth=1
	s_or_b32 exec_lo, exec_lo, s41
	s_wait_dscnt 0x0
	s_barrier_signal -1
	s_barrier_wait -1
	s_and_saveexec_b32 s41, s10
	s_cbranch_execz .LBB135_921
; %bb.920:                              ;   in Loop: Header=BB135_3 Depth=1
	ds_load_b64 v[2:3], v7 offset:3632
	v_mov_b32_e32 v0, v7
	ds_store_b64 v7, v[34:35] offset:3640
	s_wait_dscnt 0x1
	ds_store_b128 v7, v[0:3] offset:3120
.LBB135_921:                            ;   in Loop: Header=BB135_3 Depth=1
	s_or_b32 exec_lo, exec_lo, s41
	v_mov_b64_e32 v[2:3], 0
	s_wait_dscnt 0x0
	s_barrier_signal -1
	s_barrier_wait -1
	global_wb scope:SCOPE_DEV
	s_wait_storecnt 0x0
	global_inv scope:SCOPE_DEV
	s_and_saveexec_b32 s41, s1
	s_cbranch_execz .LBB135_925
; %bb.922:                              ;   in Loop: Header=BB135_3 Depth=1
	ds_load_b64 v[2:3], v54 offset:3104
	ds_load_b64 v[48:49], v53 offset:3632
	s_wait_dscnt 0x0
	v_fma_f64 v[2:3], v[2:3], v[48:49], 0
	s_and_saveexec_b32 s42, s11
	s_cbranch_execz .LBB135_924
; %bb.923:                              ;   in Loop: Header=BB135_3 Depth=1
	ds_load_b64 v[48:49], v71 offset:3616
	ds_load_b64 v[50:51], v7 offset:3640
	s_wait_dscnt 0x0
	v_fmac_f64_e32 v[2:3], v[48:49], v[50:51]
.LBB135_924:                            ;   in Loop: Header=BB135_3 Depth=1
	s_or_b32 exec_lo, exec_lo, s42
.LBB135_925:                            ;   in Loop: Header=BB135_3 Depth=1
	s_delay_alu instid0(SALU_CYCLE_1)
	s_or_b32 exec_lo, exec_lo, s41
	s_and_saveexec_b32 s41, s88
; %bb.926:                              ;   in Loop: Header=BB135_3 Depth=1
	s_delay_alu instid0(VALU_DEP_1) | instskip(NEXT) | instid1(VALU_DEP_2)
	v_xor_b32_e32 v49, 0x80000000, v3
	v_mov_b32_e32 v48, v2
	ds_store_b64 v52, v[48:49]
; %bb.927:                              ;   in Loop: Header=BB135_3 Depth=1
	s_or_b32 exec_lo, exec_lo, s41
	s_wait_loadcnt_dscnt 0x0
	s_barrier_signal -1
	s_barrier_wait -1
	s_and_saveexec_b32 s41, s89
	s_cbranch_execz .LBB135_929
; %bb.928:                              ;   in Loop: Header=BB135_3 Depth=1
	ds_load_b64 v[48:49], v7 offset:2592
	ds_load_b64 v[50:51], v52
	s_wait_dscnt 0x0
	v_fma_f64 v[2:3], -v[48:49], v[50:51], v[2:3]
.LBB135_929:                            ;   in Loop: Header=BB135_3 Depth=1
	s_or_b32 exec_lo, exec_lo, s41
	s_barrier_signal -1
	s_barrier_wait -1
	s_and_saveexec_b32 s41, s89
; %bb.930:                              ;   in Loop: Header=BB135_3 Depth=1
	s_delay_alu instid0(VALU_DEP_1) | instskip(NEXT) | instid1(VALU_DEP_2)
	v_xor_b32_e32 v49, 0x80000000, v3
	v_mov_b32_e32 v48, v2
	ds_store_b64 v52, v[48:49]
; %bb.931:                              ;   in Loop: Header=BB135_3 Depth=1
	s_or_b32 exec_lo, exec_lo, s41
	s_wait_dscnt 0x0
	s_barrier_signal -1
	s_barrier_wait -1
	s_barrier_signal -1
	s_barrier_wait -1
	s_and_saveexec_b32 s41, s1
; %bb.932:                              ;   in Loop: Header=BB135_3 Depth=1
	ds_store_b64 v56, v[2:3] offset:3616
; %bb.933:                              ;   in Loop: Header=BB135_3 Depth=1
	s_or_b32 exec_lo, exec_lo, s41
	s_wait_dscnt 0x0
	s_barrier_signal -1
	s_barrier_wait -1
	s_barrier_signal -1
	s_barrier_wait -1
	s_and_saveexec_b32 s41, s90
	s_cbranch_execz .LBB135_935
; %bb.934:                              ;   in Loop: Header=BB135_3 Depth=1
	ds_load_b64 v[2:3], v73 offset:3104
	s_wait_dscnt 0x0
	ds_store_b64 v71, v[2:3] offset:2096
	ds_load_b64 v[2:3], v73 offset:3112
	s_wait_dscnt 0x0
	ds_store_b64 v71, v[2:3] offset:2608
.LBB135_935:                            ;   in Loop: Header=BB135_3 Depth=1
	s_or_b32 exec_lo, exec_lo, s41
	s_wait_dscnt 0x0
	s_barrier_signal -1
	s_barrier_wait -1
	s_and_saveexec_b32 s41, s10
	s_cbranch_execz .LBB135_937
; %bb.936:                              ;   in Loop: Header=BB135_3 Depth=1
	ds_load_b64 v[2:3], v7 offset:2592
	v_mov_b32_e32 v0, v7
	ds_store_b64 v7, v[34:35] offset:2600
	s_wait_dscnt 0x1
	ds_store_b128 v7, v[0:3] offset:2080
.LBB135_937:                            ;   in Loop: Header=BB135_3 Depth=1
	s_or_b32 exec_lo, exec_lo, s41
	v_mov_b64_e32 v[2:3], 0
	s_wait_dscnt 0x0
	s_barrier_signal -1
	s_barrier_wait -1
	global_wb scope:SCOPE_DEV
	s_wait_storecnt 0x0
	global_inv scope:SCOPE_DEV
	s_and_saveexec_b32 s41, s3
	s_cbranch_execz .LBB135_943
; %bb.938:                              ;   in Loop: Header=BB135_3 Depth=1
	ds_load_b64 v[2:3], v60 offset:2048
	ds_load_b64 v[48:49], v59 offset:3616
	s_wait_dscnt 0x0
	v_fma_f64 v[2:3], v[2:3], v[48:49], 0
	s_and_saveexec_b32 s42, s12
	s_cbranch_execnz .LBB135_1115
; %bb.939:                              ;   in Loop: Header=BB135_3 Depth=1
	s_or_b32 exec_lo, exec_lo, s42
	s_and_saveexec_b32 s42, s13
	s_cbranch_execnz .LBB135_1116
.LBB135_940:                            ;   in Loop: Header=BB135_3 Depth=1
	s_or_b32 exec_lo, exec_lo, s42
	s_and_saveexec_b32 s42, s1
	s_cbranch_execz .LBB135_942
.LBB135_941:                            ;   in Loop: Header=BB135_3 Depth=1
	ds_load_b64 v[48:49], v5 offset:3584
	ds_load_b64 v[50:51], v7 offset:3640
	s_wait_dscnt 0x0
	v_fmac_f64_e32 v[2:3], v[48:49], v[50:51]
.LBB135_942:                            ;   in Loop: Header=BB135_3 Depth=1
	s_or_b32 exec_lo, exec_lo, s42
.LBB135_943:                            ;   in Loop: Header=BB135_3 Depth=1
	s_delay_alu instid0(SALU_CYCLE_1)
	s_or_b32 exec_lo, exec_lo, s41
	s_and_saveexec_b32 s41, s91
; %bb.944:                              ;   in Loop: Header=BB135_3 Depth=1
	s_delay_alu instid0(VALU_DEP_1) | instskip(NEXT) | instid1(VALU_DEP_2)
	v_xor_b32_e32 v49, 0x80000000, v3
	v_mov_b32_e32 v48, v2
	ds_store_b64 v58, v[48:49]
; %bb.945:                              ;   in Loop: Header=BB135_3 Depth=1
	s_or_b32 exec_lo, exec_lo, s41
	s_wait_loadcnt_dscnt 0x0
	s_barrier_signal -1
	s_barrier_wait -1
	s_and_saveexec_b32 s41, s92
	s_cbranch_execz .LBB135_947
; %bb.946:                              ;   in Loop: Header=BB135_3 Depth=1
	ds_load_b64 v[48:49], v60 offset:1536
	ds_load_b64 v[50:51], v58
	s_wait_dscnt 0x0
	v_fma_f64 v[2:3], -v[48:49], v[50:51], v[2:3]
.LBB135_947:                            ;   in Loop: Header=BB135_3 Depth=1
	s_or_b32 exec_lo, exec_lo, s41
	s_barrier_signal -1
	s_barrier_wait -1
	s_and_saveexec_b32 s41, s93
; %bb.948:                              ;   in Loop: Header=BB135_3 Depth=1
	s_delay_alu instid0(VALU_DEP_1) | instskip(NEXT) | instid1(VALU_DEP_2)
	v_xor_b32_e32 v49, 0x80000000, v3
	v_mov_b32_e32 v48, v2
	ds_store_b64 v58, v[48:49]
; %bb.949:                              ;   in Loop: Header=BB135_3 Depth=1
	s_or_b32 exec_lo, exec_lo, s41
	s_wait_dscnt 0x0
	s_barrier_signal -1
	s_barrier_wait -1
	s_and_saveexec_b32 s41, s94
	s_cbranch_execz .LBB135_951
; %bb.950:                              ;   in Loop: Header=BB135_3 Depth=1
	ds_load_b64 v[48:49], v60 offset:1024
	ds_load_b64 v[50:51], v58
	s_wait_dscnt 0x0
	v_fma_f64 v[2:3], -v[48:49], v[50:51], v[2:3]
.LBB135_951:                            ;   in Loop: Header=BB135_3 Depth=1
	s_or_b32 exec_lo, exec_lo, s41
	s_barrier_signal -1
	s_barrier_wait -1
	s_and_saveexec_b32 s41, s95
; %bb.952:                              ;   in Loop: Header=BB135_3 Depth=1
	s_delay_alu instid0(VALU_DEP_1) | instskip(NEXT) | instid1(VALU_DEP_2)
	v_xor_b32_e32 v49, 0x80000000, v3
	v_mov_b32_e32 v48, v2
	ds_store_b64 v58, v[48:49]
; %bb.953:                              ;   in Loop: Header=BB135_3 Depth=1
	s_or_b32 exec_lo, exec_lo, s41
	s_wait_dscnt 0x0
	s_barrier_signal -1
	s_barrier_wait -1
	s_and_saveexec_b32 s41, s96
	s_cbranch_execz .LBB135_955
; %bb.954:                              ;   in Loop: Header=BB135_3 Depth=1
	ds_load_b64 v[48:49], v7 offset:512
	ds_load_b64 v[50:51], v58
	s_wait_dscnt 0x0
	v_fma_f64 v[2:3], -v[48:49], v[50:51], v[2:3]
.LBB135_955:                            ;   in Loop: Header=BB135_3 Depth=1
	s_or_b32 exec_lo, exec_lo, s41
	s_barrier_signal -1
	s_barrier_wait -1
	s_and_saveexec_b32 s41, s96
; %bb.956:                              ;   in Loop: Header=BB135_3 Depth=1
	s_delay_alu instid0(VALU_DEP_1) | instskip(NEXT) | instid1(VALU_DEP_2)
	v_xor_b32_e32 v49, 0x80000000, v3
	v_mov_b32_e32 v48, v2
	ds_store_b64 v58, v[48:49]
; %bb.957:                              ;   in Loop: Header=BB135_3 Depth=1
	s_or_b32 exec_lo, exec_lo, s41
	s_wait_dscnt 0x0
	s_barrier_signal -1
	s_barrier_wait -1
	s_barrier_signal -1
	s_barrier_wait -1
	s_and_saveexec_b32 s41, s3
; %bb.958:                              ;   in Loop: Header=BB135_3 Depth=1
	ds_store_b64 v63, v[2:3] offset:3584
; %bb.959:                              ;   in Loop: Header=BB135_3 Depth=1
	s_or_b32 exec_lo, exec_lo, s41
	s_wait_dscnt 0x0
	s_barrier_signal -1
	s_barrier_wait -1
	s_barrier_signal -1
	s_barrier_wait -1
	s_and_saveexec_b32 s41, s97
	s_cbranch_execz .LBB135_961
; %bb.960:                              ;   in Loop: Header=BB135_3 Depth=1
	ds_load_b64 v[2:3], v11 offset:2048
	s_wait_dscnt 0x0
	ds_store_b64 v84, v[2:3] offset:32
	ds_load_b64 v[2:3], v11 offset:2056
	s_wait_dscnt 0x0
	ds_store_b64 v84, v[2:3] offset:544
	;; [unrolled: 3-line block ×4, first 2 shown]
.LBB135_961:                            ;   in Loop: Header=BB135_3 Depth=1
	s_or_b32 exec_lo, exec_lo, s41
	s_wait_dscnt 0x0
	s_barrier_signal -1
	s_barrier_wait -1
	s_and_saveexec_b32 s41, s10
	s_cbranch_execz .LBB135_963
; %bb.962:                              ;   in Loop: Header=BB135_3 Depth=1
	ds_load_b64 v[2:3], v7 offset:1552
	v_mov_b32_e32 v0, v7
	ds_store_b64 v7, v[34:35] offset:1560
	s_wait_dscnt 0x1
	ds_store_b128 v7, v[0:3] offset:1040
.LBB135_963:                            ;   in Loop: Header=BB135_3 Depth=1
	s_or_b32 exec_lo, exec_lo, s41
	v_mov_b64_e32 v[2:3], 0
	s_wait_dscnt 0x0
	s_barrier_signal -1
	s_barrier_wait -1
	global_wb scope:SCOPE_DEV
	s_wait_storecnt 0x0
	global_inv scope:SCOPE_DEV
	s_and_saveexec_b32 s41, s1
	s_cbranch_execz .LBB135_967
; %bb.964:                              ;   in Loop: Header=BB135_3 Depth=1
	ds_load_b64 v[2:3], v54 offset:1024
	ds_load_b64 v[48:49], v53 offset:1552
	s_wait_dscnt 0x0
	v_fma_f64 v[2:3], v[2:3], v[48:49], 0
	s_and_saveexec_b32 s42, s11
	s_cbranch_execz .LBB135_966
; %bb.965:                              ;   in Loop: Header=BB135_3 Depth=1
	ds_load_b64 v[48:49], v84 offset:1536
	ds_load_b64 v[50:51], v7 offset:1560
	s_wait_dscnt 0x0
	v_fmac_f64_e32 v[2:3], v[48:49], v[50:51]
.LBB135_966:                            ;   in Loop: Header=BB135_3 Depth=1
	s_or_b32 exec_lo, exec_lo, s42
.LBB135_967:                            ;   in Loop: Header=BB135_3 Depth=1
	s_delay_alu instid0(SALU_CYCLE_1)
	s_or_b32 exec_lo, exec_lo, s41
	s_and_saveexec_b32 s41, s88
; %bb.968:                              ;   in Loop: Header=BB135_3 Depth=1
	s_delay_alu instid0(VALU_DEP_1) | instskip(NEXT) | instid1(VALU_DEP_2)
	v_xor_b32_e32 v49, 0x80000000, v3
	v_mov_b32_e32 v48, v2
	ds_store_b64 v52, v[48:49]
; %bb.969:                              ;   in Loop: Header=BB135_3 Depth=1
	s_or_b32 exec_lo, exec_lo, s41
	s_wait_loadcnt_dscnt 0x0
	s_barrier_signal -1
	s_barrier_wait -1
	s_and_saveexec_b32 s41, s89
	s_cbranch_execz .LBB135_971
; %bb.970:                              ;   in Loop: Header=BB135_3 Depth=1
	ds_load_b64 v[48:49], v7 offset:512
	ds_load_b64 v[50:51], v52
	s_wait_dscnt 0x0
	v_fma_f64 v[2:3], -v[48:49], v[50:51], v[2:3]
.LBB135_971:                            ;   in Loop: Header=BB135_3 Depth=1
	s_or_b32 exec_lo, exec_lo, s41
	s_barrier_signal -1
	s_barrier_wait -1
	s_and_saveexec_b32 s41, s89
; %bb.972:                              ;   in Loop: Header=BB135_3 Depth=1
	s_delay_alu instid0(VALU_DEP_1) | instskip(NEXT) | instid1(VALU_DEP_2)
	v_xor_b32_e32 v49, 0x80000000, v3
	v_mov_b32_e32 v48, v2
	ds_store_b64 v52, v[48:49]
; %bb.973:                              ;   in Loop: Header=BB135_3 Depth=1
	s_or_b32 exec_lo, exec_lo, s41
	s_wait_dscnt 0x0
	s_barrier_signal -1
	s_barrier_wait -1
	s_barrier_signal -1
	s_barrier_wait -1
	s_and_saveexec_b32 s41, s1
; %bb.974:                              ;   in Loop: Header=BB135_3 Depth=1
	ds_store_b64 v56, v[2:3] offset:1536
; %bb.975:                              ;   in Loop: Header=BB135_3 Depth=1
	s_or_b32 exec_lo, exec_lo, s41
	s_wait_dscnt 0x0
	s_barrier_signal -1
	s_barrier_wait -1
	s_barrier_signal -1
	s_barrier_wait -1
	s_and_saveexec_b32 s41, s90
	s_cbranch_execz .LBB135_977
; %bb.976:                              ;   in Loop: Header=BB135_3 Depth=1
	ds_load_b64 v[2:3], v88 offset:1024
	s_wait_dscnt 0x0
	ds_store_b64 v84, v[2:3] offset:16
	ds_load_b64 v[2:3], v88 offset:1032
	s_wait_dscnt 0x0
	ds_store_b64 v84, v[2:3] offset:528
.LBB135_977:                            ;   in Loop: Header=BB135_3 Depth=1
	s_or_b32 exec_lo, exec_lo, s41
	s_wait_dscnt 0x0
	s_barrier_signal -1
	s_barrier_wait -1
	s_and_saveexec_b32 s41, s10
	s_cbranch_execz .LBB135_979
; %bb.978:                              ;   in Loop: Header=BB135_3 Depth=1
	ds_load_b64 v[2:3], v7 offset:512
	v_mov_b32_e32 v0, v7
	ds_store_b64 v7, v[34:35] offset:520
	s_wait_dscnt 0x1
	ds_store_b128 v7, v[0:3]
.LBB135_979:                            ;   in Loop: Header=BB135_3 Depth=1
	s_or_b32 exec_lo, exec_lo, s41
.LBB135_980:                            ;   in Loop: Header=BB135_3 Depth=1
	v_add_nc_u64_e32 v[2:3], s[68:69], v[46:47]
	v_mov_b64_e32 v[46:47], 0
	s_wait_dscnt 0x0
	s_barrier_signal -1
	s_barrier_wait -1
	s_wait_xcnt 0x0
	s_and_saveexec_b32 s41, s82
	s_cbranch_execz .LBB135_982
; %bb.981:                              ;   in Loop: Header=BB135_3 Depth=1
	v_lshl_add_u64 v[46:47], v[16:17], 3, v[2:3]
	flat_load_b64 v[46:47], v[46:47]
	s_wait_loadcnt_dscnt 0x0
	v_mul_f64_e64 v[46:47], v[46:47], -s[64:65]
.LBB135_982:                            ;   in Loop: Header=BB135_3 Depth=1
	s_or_b32 exec_lo, exec_lo, s41
	s_delay_alu instid0(SALU_CYCLE_1)
	s_and_not1_b32 vcc_lo, exec_lo, s39
	s_cbranch_vccnz .LBB135_1008
; %bb.983:                              ;   in Loop: Header=BB135_3 Depth=1
	v_mov_b32_e32 v0, -1
	s_lshl_b64 s[42:43], s[62:63], 2
	s_mov_b32 s41, 0
	s_add_nc_u64 s[80:81], s[76:77], s[42:43]
	s_branch .LBB135_986
.LBB135_984:                            ;   in Loop: Header=BB135_986 Depth=2
	s_wait_xcnt 0x0
	ds_load_b64 v[48:49], v89 offset:384
	s_wait_loadcnt_dscnt 0x0
	v_fmac_f64_e32 v[46:47], v[50:51], v[48:49]
.LBB135_985:                            ;   in Loop: Header=BB135_986 Depth=2
	s_or_b32 exec_lo, exec_lo, s42
	s_add_co_i32 s41, s41, 1
	s_delay_alu instid0(SALU_CYCLE_1)
	s_cmp_eq_u32 s41, s84
	s_cbranch_scc1 .LBB135_1008
.LBB135_986:                            ;   Parent Loop BB135_3 Depth=1
                                        ; =>  This Loop Header: Depth=2
                                        ;       Child Loop BB135_988 Depth 3
	v_cmp_gt_i32_e32 vcc_lo, s41, v0
	s_and_b32 s43, s55, vcc_lo
	s_delay_alu instid0(SALU_CYCLE_1)
	s_and_saveexec_b32 s42, s43
	s_cbranch_execz .LBB135_989
; %bb.987:                              ;   in Loop: Header=BB135_986 Depth=2
	global_load_b32 v0, v7, s[80:81]
	s_wait_loadcnt 0x0
	v_cmp_le_i32_e32 vcc_lo, s41, v0
	s_cbranch_vccnz .LBB135_989
.LBB135_988:                            ;   Parent Loop BB135_3 Depth=1
                                        ;     Parent Loop BB135_986 Depth=2
                                        ; =>    This Inner Loop Header: Depth=3
	global_wb scope:SCOPE_DEV
	s_wait_storecnt 0x0
	global_inv scope:SCOPE_DEV
	global_load_b32 v0, v7, s[80:81]
	s_wait_loadcnt 0x0
	v_cmp_gt_i32_e32 vcc_lo, s41, v0
	s_cbranch_vccnz .LBB135_988
.LBB135_989:                            ;   in Loop: Header=BB135_986 Depth=2
	s_or_b32 exec_lo, exec_lo, s42
	s_lshl_b32 s61, s41, 6
	global_wb scope:SCOPE_DEV
	s_wait_storecnt 0x0
	global_inv scope:SCOPE_DEV
	s_wait_loadcnt 0x0
	s_barrier_signal -1
	s_barrier_wait -1
	s_and_saveexec_b32 s42, s56
	s_cbranch_execz .LBB135_993
; %bb.990:                              ;   in Loop: Header=BB135_986 Depth=2
	v_mov_b64_e32 v[48:49], 0
	v_or_b32_e32 v6, s61, v10
	s_mov_b32 s43, exec_lo
	s_delay_alu instid0(VALU_DEP_1)
	v_cmpx_gt_i32_e64 s83, v6
	s_cbranch_execz .LBB135_992
; %bb.991:                              ;   in Loop: Header=BB135_986 Depth=2
	v_mul_u64_e32 v[48:49], s[70:71], v[6:7]
	s_delay_alu instid0(VALU_DEP_1)
	v_lshl_add_u64 v[48:49], v[48:49], 3, v[2:3]
	flat_load_b64 v[48:49], v[48:49]
.LBB135_992:                            ;   in Loop: Header=BB135_986 Depth=2
	s_wait_xcnt 0x0
	s_or_b32 exec_lo, exec_lo, s43
	s_wait_loadcnt_dscnt 0x0
	ds_store_b64 v91, v[48:49]
.LBB135_993:                            ;   in Loop: Header=BB135_986 Depth=2
	s_or_b32 exec_lo, exec_lo, s42
	v_add_nc_u32_e32 v6, s61, v4
	v_cmp_ne_u32_e32 vcc_lo, s41, v9
	s_wait_dscnt 0x0
	s_barrier_signal -1
	s_barrier_wait -1
	v_cmp_gt_i32_e64 s61, s83, v6
	v_lshl_add_u64 v[48:49], v[6:7], 3, v[44:45]
	v_cndmask_b32_e64 v31, 0, 1, vcc_lo
	s_and_b32 s43, s61, s0
	s_delay_alu instid0(SALU_CYCLE_1)
	s_and_saveexec_b32 s42, s43
	s_cbranch_execz .LBB135_997
; %bb.994:                              ;   in Loop: Header=BB135_986 Depth=2
	v_mov_b64_e32 v[50:51], v[36:37]
	s_and_not1_b32 vcc_lo, exec_lo, vcc_lo
	s_cbranch_vccnz .LBB135_996
; %bb.995:                              ;   in Loop: Header=BB135_986 Depth=2
	flat_load_b64 v[50:51], v[48:49]
.LBB135_996:                            ;   in Loop: Header=BB135_986 Depth=2
	ds_load_b64 v[100:101], v89
	s_wait_loadcnt_dscnt 0x0
	v_fmac_f64_e32 v[46:47], v[50:51], v[100:101]
.LBB135_997:                            ;   in Loop: Header=BB135_986 Depth=2
	s_or_b32 exec_lo, exec_lo, s42
	v_add_nc_u32_e32 v50, 16, v6
	s_delay_alu instid0(VALU_DEP_1) | instskip(SKIP_1) | instid1(SALU_CYCLE_1)
	v_cmp_gt_i32_e32 vcc_lo, s83, v50
	s_and_b32 s43, vcc_lo, s0
	s_and_saveexec_b32 s42, s43
	s_cbranch_execz .LBB135_1001
; %bb.998:                              ;   in Loop: Header=BB135_986 Depth=2
	v_cmp_ne_u32_e32 vcc_lo, 1, v31
	v_mov_b64_e32 v[50:51], v[38:39]
	s_cbranch_vccnz .LBB135_1000
; %bb.999:                              ;   in Loop: Header=BB135_986 Depth=2
	flat_load_b64 v[50:51], v[48:49] offset:128
.LBB135_1000:                           ;   in Loop: Header=BB135_986 Depth=2
	ds_load_b64 v[100:101], v89 offset:128
	s_wait_loadcnt_dscnt 0x0
	v_fmac_f64_e32 v[46:47], v[50:51], v[100:101]
.LBB135_1001:                           ;   in Loop: Header=BB135_986 Depth=2
	s_or_b32 exec_lo, exec_lo, s42
	v_add_nc_u32_e32 v50, 32, v6
	s_delay_alu instid0(VALU_DEP_1) | instskip(SKIP_1) | instid1(SALU_CYCLE_1)
	v_cmp_gt_i32_e32 vcc_lo, s83, v50
	s_and_b32 s43, vcc_lo, s0
	s_and_saveexec_b32 s42, s43
	s_cbranch_execz .LBB135_1005
; %bb.1002:                             ;   in Loop: Header=BB135_986 Depth=2
	v_cmp_ne_u32_e32 vcc_lo, 1, v31
	v_mov_b64_e32 v[50:51], v[40:41]
	s_cbranch_vccnz .LBB135_1004
; %bb.1003:                             ;   in Loop: Header=BB135_986 Depth=2
	flat_load_b64 v[50:51], v[48:49] offset:256
.LBB135_1004:                           ;   in Loop: Header=BB135_986 Depth=2
	ds_load_b64 v[100:101], v89 offset:256
	s_wait_loadcnt_dscnt 0x0
	v_fmac_f64_e32 v[46:47], v[50:51], v[100:101]
.LBB135_1005:                           ;   in Loop: Header=BB135_986 Depth=2
	s_or_b32 exec_lo, exec_lo, s42
	v_add_nc_u32_e32 v6, 48, v6
	s_delay_alu instid0(VALU_DEP_1) | instskip(SKIP_1) | instid1(SALU_CYCLE_1)
	v_cmp_gt_i32_e32 vcc_lo, s83, v6
	s_and_b32 s43, vcc_lo, s0
	s_and_saveexec_b32 s42, s43
	s_cbranch_execz .LBB135_985
; %bb.1006:                             ;   in Loop: Header=BB135_986 Depth=2
	v_cmp_ne_u32_e32 vcc_lo, 1, v31
	v_mov_b64_e32 v[50:51], v[42:43]
	s_cbranch_vccnz .LBB135_984
; %bb.1007:                             ;   in Loop: Header=BB135_986 Depth=2
	flat_load_b64 v[50:51], v[48:49] offset:384
	s_branch .LBB135_984
.LBB135_1008:                           ;   in Loop: Header=BB135_3 Depth=1
	ds_store_b64 v92, v[46:47]
	s_wait_dscnt 0x0
	s_barrier_signal -1
	s_barrier_wait -1
	s_and_saveexec_b32 s41, s2
	s_cbranch_execz .LBB135_1010
; %bb.1009:                             ;   in Loop: Header=BB135_3 Depth=1
	ds_load_2addr_stride64_b64 v[48:51], v93 offset0:1 offset1:2
	ds_load_2addr_stride64_b64 v[100:103], v93 offset0:3 offset1:4
	s_wait_dscnt 0x1
	v_add_f64_e32 v[44:45], v[46:47], v[48:49]
	s_delay_alu instid0(VALU_DEP_1) | instskip(SKIP_1) | instid1(VALU_DEP_1)
	v_add_f64_e32 v[44:45], v[44:45], v[50:51]
	s_wait_dscnt 0x0
	v_add_f64_e32 v[44:45], v[44:45], v[100:101]
	s_delay_alu instid0(VALU_DEP_1) | instskip(SKIP_4) | instid1(VALU_DEP_1)
	v_add_f64_e32 v[100:101], v[44:45], v[102:103]
	ds_load_2addr_stride64_b64 v[44:47], v93 offset0:5 offset1:6
	ds_load_2addr_stride64_b64 v[48:51], v93 offset0:7 offset1:8
	s_wait_dscnt 0x1
	v_add_f64_e32 v[44:45], v[100:101], v[44:45]
	v_add_f64_e32 v[44:45], v[44:45], v[46:47]
	s_wait_dscnt 0x0
	s_delay_alu instid0(VALU_DEP_1) | instskip(NEXT) | instid1(VALU_DEP_1)
	v_add_f64_e32 v[44:45], v[44:45], v[48:49]
	v_add_f64_e32 v[100:101], v[44:45], v[50:51]
	ds_load_2addr_stride64_b64 v[44:47], v93 offset0:9 offset1:10
	ds_load_2addr_stride64_b64 v[48:51], v93 offset0:11 offset1:12
	s_wait_dscnt 0x1
	v_add_f64_e32 v[44:45], v[100:101], v[44:45]
	s_delay_alu instid0(VALU_DEP_1) | instskip(SKIP_1) | instid1(VALU_DEP_1)
	v_add_f64_e32 v[44:45], v[44:45], v[46:47]
	s_wait_dscnt 0x0
	v_add_f64_e32 v[44:45], v[44:45], v[48:49]
	s_delay_alu instid0(VALU_DEP_1) | instskip(SKIP_4) | instid1(VALU_DEP_1)
	v_add_f64_e32 v[48:49], v[44:45], v[50:51]
	ds_load_2addr_stride64_b64 v[44:47], v93 offset0:13 offset1:14
	ds_load_b64 v[50:51], v93 offset:7680
	s_wait_dscnt 0x1
	v_add_f64_e32 v[44:45], v[48:49], v[44:45]
	v_add_f64_e32 v[44:45], v[44:45], v[46:47]
	s_wait_dscnt 0x0
	s_delay_alu instid0(VALU_DEP_1) | instskip(NEXT) | instid1(VALU_DEP_1)
	v_add_f64_e32 v[44:45], v[44:45], v[50:51]
	v_xor_b32_e32 v0, 0x80000000, v45
	s_delay_alu instid0(VALU_DEP_2) | instskip(NEXT) | instid1(VALU_DEP_2)
	v_cndmask_b32_e64 v46, v44, 0, s85
	v_cndmask_b32_e64 v47, v0, 0, s85
.LBB135_1010:                           ;   in Loop: Header=BB135_3 Depth=1
	s_or_b32 exec_lo, exec_lo, s41
	s_delay_alu instid0(SALU_CYCLE_1)
	s_and_not1_b32 vcc_lo, exec_lo, s87
	s_cbranch_vccnz .LBB135_1020
; %bb.1011:                             ;   in Loop: Header=BB135_3 Depth=1
	s_and_saveexec_b32 s41, s2
; %bb.1012:                             ;   in Loop: Header=BB135_3 Depth=1
	ds_store_b64 v95, v[46:47]
; %bb.1013:                             ;   in Loop: Header=BB135_3 Depth=1
	s_or_b32 exec_lo, exec_lo, s41
	v_mov_b64_e32 v[44:45], 0
	s_wait_dscnt 0x0
	s_barrier_signal -1
	s_barrier_wait -1
	s_and_saveexec_b32 s41, s6
	s_cbranch_execnz .LBB135_1059
; %bb.1014:                             ;   in Loop: Header=BB135_3 Depth=1
	s_or_b32 exec_lo, exec_lo, s41
	s_and_saveexec_b32 s41, s7
	s_cbranch_execnz .LBB135_1060
.LBB135_1015:                           ;   in Loop: Header=BB135_3 Depth=1
	s_or_b32 exec_lo, exec_lo, s41
	s_and_saveexec_b32 s41, s8
	s_cbranch_execnz .LBB135_1061
.LBB135_1016:                           ;   in Loop: Header=BB135_3 Depth=1
	s_or_b32 exec_lo, exec_lo, s41
	s_and_saveexec_b32 s41, s9
	s_cbranch_execz .LBB135_1018
.LBB135_1017:                           ;   in Loop: Header=BB135_3 Depth=1
	ds_load_b64 v[48:49], v94 offset:24576
	ds_load_b64 v[50:51], v89 offset:384
	s_wait_dscnt 0x0
	v_fmac_f64_e32 v[44:45], v[48:49], v[50:51]
.LBB135_1018:                           ;   in Loop: Header=BB135_3 Depth=1
	s_or_b32 exec_lo, exec_lo, s41
	s_mov_b32 s41, 0
	s_mov_b32 s61, 0
	ds_store_b64 v92, v[44:45]
	s_wait_dscnt 0x0
	s_barrier_signal -1
	s_barrier_wait -1
                                        ; implicit-def: $vgpr48_vgpr49
	s_and_saveexec_b32 s80, s2
	s_cbranch_execz .LBB135_1062
; %bb.1019:                             ;   in Loop: Header=BB135_3 Depth=1
	ds_load_2addr_stride64_b64 v[48:51], v93 offset0:1 offset1:2
	ds_load_2addr_stride64_b64 v[100:103], v93 offset0:3 offset1:4
	s_mov_b32 s61, exec_lo
	s_wait_dscnt 0x1
	v_add_f64_e32 v[44:45], v[44:45], v[48:49]
	s_delay_alu instid0(VALU_DEP_1) | instskip(SKIP_1) | instid1(VALU_DEP_1)
	v_add_f64_e32 v[44:45], v[50:51], v[44:45]
	s_wait_dscnt 0x0
	v_add_f64_e32 v[44:45], v[100:101], v[44:45]
	s_delay_alu instid0(VALU_DEP_1) | instskip(SKIP_4) | instid1(VALU_DEP_1)
	v_add_f64_e32 v[44:45], v[102:103], v[44:45]
	ds_load_2addr_stride64_b64 v[48:51], v93 offset0:5 offset1:6
	ds_load_2addr_stride64_b64 v[100:103], v93 offset0:7 offset1:8
	s_wait_dscnt 0x1
	v_add_f64_e32 v[44:45], v[48:49], v[44:45]
	v_add_f64_e32 v[44:45], v[50:51], v[44:45]
	s_wait_dscnt 0x0
	s_delay_alu instid0(VALU_DEP_1) | instskip(NEXT) | instid1(VALU_DEP_1)
	v_add_f64_e32 v[44:45], v[100:101], v[44:45]
	v_add_f64_e32 v[44:45], v[102:103], v[44:45]
	ds_load_2addr_stride64_b64 v[48:51], v93 offset0:9 offset1:10
	ds_load_2addr_stride64_b64 v[100:103], v93 offset0:11 offset1:12
	s_wait_dscnt 0x1
	v_add_f64_e32 v[44:45], v[48:49], v[44:45]
	s_delay_alu instid0(VALU_DEP_1) | instskip(SKIP_1) | instid1(VALU_DEP_1)
	v_add_f64_e32 v[44:45], v[50:51], v[44:45]
	s_wait_dscnt 0x0
	v_add_f64_e32 v[44:45], v[100:101], v[44:45]
	ds_load_2addr_stride64_b64 v[48:51], v93 offset0:13 offset1:14
	ds_load_b64 v[100:101], v93 offset:7680
	v_add_f64_e32 v[44:45], v[102:103], v[44:45]
	s_wait_dscnt 0x1
	s_delay_alu instid0(VALU_DEP_1) | instskip(NEXT) | instid1(VALU_DEP_1)
	v_add_f64_e32 v[44:45], v[48:49], v[44:45]
	v_add_f64_e32 v[44:45], v[50:51], v[44:45]
	s_wait_dscnt 0x0
	s_delay_alu instid0(VALU_DEP_1) | instskip(SKIP_1) | instid1(SALU_CYCLE_1)
	v_add_f64_e32 v[48:49], v[100:101], v[44:45]
	s_or_b32 exec_lo, exec_lo, s80
	s_and_b32 vcc_lo, exec_lo, s41
	s_cbranch_vccnz .LBB135_1021
	s_branch .LBB135_1063
.LBB135_1020:                           ;   in Loop: Header=BB135_3 Depth=1
	s_mov_b32 s61, 0
                                        ; implicit-def: $vgpr48_vgpr49
	s_cbranch_execz .LBB135_1063
.LBB135_1021:                           ;   in Loop: Header=BB135_3 Depth=1
	v_dual_mov_b32 v0, v8 :: v_dual_mov_b32 v6, v97
	s_mov_b32 s41, 0
	s_branch .LBB135_1023
.LBB135_1022:                           ;   in Loop: Header=BB135_1023 Depth=2
	s_or_b32 exec_lo, exec_lo, s42
	v_add_nc_u32_e32 v6, 0x800, v6
	v_add_nc_u32_e32 v0, -4, v0
	s_add_co_i32 s41, s41, 4
	s_delay_alu instid0(SALU_CYCLE_1)
	s_cmp_lg_u32 s41, 64
	s_barrier_signal -1
	s_barrier_wait -1
	s_cbranch_scc0 .LBB135_1039
.LBB135_1023:                           ;   Parent Loop BB135_3 Depth=1
                                        ; =>  This Inner Loop Header: Depth=2
	s_delay_alu instid0(VALU_DEP_1) | instskip(SKIP_1) | instid1(SALU_CYCLE_1)
	v_cmp_eq_u32_e32 vcc_lo, 0, v0
	s_and_b32 s43, s2, vcc_lo
	s_and_saveexec_b32 s42, s43
; %bb.1024:                             ;   in Loop: Header=BB135_1023 Depth=2
	ds_store_b64 v7, v[46:47] offset:41472
; %bb.1025:                             ;   in Loop: Header=BB135_1023 Depth=2
	s_or_b32 exec_lo, exec_lo, s42
	v_cmp_lt_u32_e32 vcc_lo, s41, v8
	s_wait_dscnt 0x0
	s_barrier_signal -1
	s_barrier_wait -1
	s_and_b32 s43, s2, vcc_lo
	s_delay_alu instid0(SALU_CYCLE_1)
	s_and_saveexec_b32 s42, s43
	s_cbranch_execz .LBB135_1027
; %bb.1026:                             ;   in Loop: Header=BB135_1023 Depth=2
	ds_load_b64 v[44:45], v6
	ds_load_b64 v[48:49], v7 offset:41472
	s_wait_dscnt 0x0
	v_fmac_f64_e32 v[46:47], v[44:45], v[48:49]
.LBB135_1027:                           ;   in Loop: Header=BB135_1023 Depth=2
	s_or_b32 exec_lo, exec_lo, s42
	s_or_b32 s42, s41, 1
	s_delay_alu instid0(SALU_CYCLE_1) | instskip(SKIP_3) | instid1(SALU_CYCLE_1)
	v_cmp_eq_u32_e32 vcc_lo, s42, v8
	s_barrier_signal -1
	s_barrier_wait -1
	s_and_b32 s80, s2, vcc_lo
	s_and_saveexec_b32 s43, s80
; %bb.1028:                             ;   in Loop: Header=BB135_1023 Depth=2
	ds_store_b64 v7, v[46:47] offset:41472
; %bb.1029:                             ;   in Loop: Header=BB135_1023 Depth=2
	s_or_b32 exec_lo, exec_lo, s43
	v_cmp_lt_u32_e32 vcc_lo, s42, v8
	s_wait_dscnt 0x0
	s_barrier_signal -1
	s_barrier_wait -1
	s_and_b32 s43, s2, vcc_lo
	s_delay_alu instid0(SALU_CYCLE_1)
	s_and_saveexec_b32 s42, s43
	s_cbranch_execz .LBB135_1031
; %bb.1030:                             ;   in Loop: Header=BB135_1023 Depth=2
	ds_load_b64 v[44:45], v6 offset:512
	ds_load_b64 v[48:49], v7 offset:41472
	s_wait_dscnt 0x0
	v_fmac_f64_e32 v[46:47], v[44:45], v[48:49]
.LBB135_1031:                           ;   in Loop: Header=BB135_1023 Depth=2
	s_or_b32 exec_lo, exec_lo, s42
	s_or_b32 s42, s41, 2
	s_delay_alu instid0(SALU_CYCLE_1) | instskip(SKIP_3) | instid1(SALU_CYCLE_1)
	v_cmp_eq_u32_e32 vcc_lo, s42, v8
	s_barrier_signal -1
	s_barrier_wait -1
	s_and_b32 s80, s2, vcc_lo
	s_and_saveexec_b32 s43, s80
; %bb.1032:                             ;   in Loop: Header=BB135_1023 Depth=2
	ds_store_b64 v7, v[46:47] offset:41472
; %bb.1033:                             ;   in Loop: Header=BB135_1023 Depth=2
	s_or_b32 exec_lo, exec_lo, s43
	v_cmp_lt_u32_e32 vcc_lo, s42, v8
	s_wait_dscnt 0x0
	s_barrier_signal -1
	s_barrier_wait -1
	s_and_b32 s43, s2, vcc_lo
	s_delay_alu instid0(SALU_CYCLE_1)
	s_and_saveexec_b32 s42, s43
	s_cbranch_execz .LBB135_1035
; %bb.1034:                             ;   in Loop: Header=BB135_1023 Depth=2
	ds_load_b64 v[44:45], v6 offset:1024
	ds_load_b64 v[48:49], v7 offset:41472
	s_wait_dscnt 0x0
	v_fmac_f64_e32 v[46:47], v[44:45], v[48:49]
.LBB135_1035:                           ;   in Loop: Header=BB135_1023 Depth=2
	s_or_b32 exec_lo, exec_lo, s42
	s_or_b32 s42, s41, 3
	s_delay_alu instid0(SALU_CYCLE_1) | instskip(SKIP_3) | instid1(SALU_CYCLE_1)
	v_cmp_eq_u32_e32 vcc_lo, s42, v8
	s_barrier_signal -1
	s_barrier_wait -1
	s_and_b32 s80, s2, vcc_lo
	s_and_saveexec_b32 s43, s80
; %bb.1036:                             ;   in Loop: Header=BB135_1023 Depth=2
	ds_store_b64 v7, v[46:47] offset:41472
; %bb.1037:                             ;   in Loop: Header=BB135_1023 Depth=2
	s_or_b32 exec_lo, exec_lo, s43
	v_cmp_lt_u32_e32 vcc_lo, s42, v8
	s_wait_dscnt 0x0
	s_barrier_signal -1
	s_barrier_wait -1
	s_and_b32 s43, s2, vcc_lo
	s_delay_alu instid0(SALU_CYCLE_1)
	s_and_saveexec_b32 s42, s43
	s_cbranch_execz .LBB135_1022
; %bb.1038:                             ;   in Loop: Header=BB135_1023 Depth=2
	ds_load_b64 v[44:45], v6 offset:1536
	ds_load_b64 v[48:49], v7 offset:41472
	s_wait_dscnt 0x0
	v_fmac_f64_e32 v[46:47], v[44:45], v[48:49]
	s_branch .LBB135_1022
.LBB135_1039:                           ;   in Loop: Header=BB135_3 Depth=1
	s_and_b32 vcc_lo, exec_lo, s86
	s_mov_b32 s41, -1
	s_cbranch_vccz .LBB135_1041
; %bb.1040:                             ;   in Loop: Header=BB135_3 Depth=1
	s_and_not1_b32 s42, s61, exec_lo
	s_and_b32 s43, s2, exec_lo
	s_mov_b32 s41, 0
	s_or_b32 s61, s42, s43
.LBB135_1041:                           ;   in Loop: Header=BB135_3 Depth=1
	s_and_not1_b32 vcc_lo, exec_lo, s41
	s_cbranch_vccnz .LBB135_1043
; %bb.1042:                             ;   in Loop: Header=BB135_3 Depth=1
	v_readlane_b32 s42, v104, 8
	s_and_not1_b32 s41, s61, exec_lo
	s_and_b32 s42, s42, exec_lo
	s_delay_alu instid0(SALU_CYCLE_1)
	s_or_b32 s61, s41, s42
.LBB135_1043:                           ;   in Loop: Header=BB135_3 Depth=1
	v_mov_b64_e32 v[44:45], v[26:27]
	s_and_saveexec_b32 s41, s61
	s_cbranch_execnz .LBB135_1064
	s_branch .LBB135_1065
.LBB135_1044:                           ;   in Loop: Header=BB135_3 Depth=1
	s_mov_b32 s42, exec_lo
	v_readlane_b32 s43, v99, 19
	s_and_b32 s43, s42, s43
	s_delay_alu instid0(SALU_CYCLE_1)
	s_mov_b32 exec_lo, s43
; %bb.1045:                             ;   in Loop: Header=BB135_3 Depth=1
	ds_store_b64 v83, v[32:33]
; %bb.1046:                             ;   in Loop: Header=BB135_3 Depth=1
	s_or_b32 exec_lo, exec_lo, s42
	s_and_not1_saveexec_b32 s41, s41
	s_cbranch_execz .LBB135_16
.LBB135_1047:                           ;   in Loop: Header=BB135_3 Depth=1
	v_lshl_add_u64 v[48:49], v[24:25], 3, v[2:3]
	flat_load_b64 v[48:49], v[48:49]
	s_wait_loadcnt_dscnt 0x0
	v_xor_b32_e32 v49, 0x80000000, v49
	ds_store_b64 v83, v[48:49]
	s_or_b32 exec_lo, exec_lo, s41
	s_and_saveexec_b32 s41, s7
	s_delay_alu instid0(SALU_CYCLE_1)
	s_xor_b32 s41, exec_lo, s41
	s_cbranch_execz .LBB135_17
.LBB135_1048:                           ;   in Loop: Header=BB135_3 Depth=1
	s_mov_b32 s42, exec_lo
	v_readlane_b32 s43, v99, 20
	s_and_b32 s43, s42, s43
	s_delay_alu instid0(SALU_CYCLE_1)
	s_mov_b32 exec_lo, s43
; %bb.1049:                             ;   in Loop: Header=BB135_3 Depth=1
	ds_store_b64 v85, v[32:33]
; %bb.1050:                             ;   in Loop: Header=BB135_3 Depth=1
	s_or_b32 exec_lo, exec_lo, s42
	s_and_not1_saveexec_b32 s41, s41
	s_cbranch_execz .LBB135_18
.LBB135_1051:                           ;   in Loop: Header=BB135_3 Depth=1
	v_lshl_add_u64 v[48:49], v[18:19], 3, v[2:3]
	flat_load_b64 v[48:49], v[48:49]
	s_wait_loadcnt_dscnt 0x0
	v_xor_b32_e32 v49, 0x80000000, v49
	ds_store_b64 v85, v[48:49]
	s_or_b32 exec_lo, exec_lo, s41
	s_and_saveexec_b32 s41, s8
	s_delay_alu instid0(SALU_CYCLE_1)
	s_xor_b32 s41, exec_lo, s41
	s_cbranch_execz .LBB135_19
.LBB135_1052:                           ;   in Loop: Header=BB135_3 Depth=1
	s_mov_b32 s42, exec_lo
	v_readlane_b32 s43, v99, 21
	s_and_b32 s43, s42, s43
	s_delay_alu instid0(SALU_CYCLE_1)
	s_mov_b32 exec_lo, s43
; %bb.1053:                             ;   in Loop: Header=BB135_3 Depth=1
	ds_store_b64 v86, v[32:33]
; %bb.1054:                             ;   in Loop: Header=BB135_3 Depth=1
	s_or_b32 exec_lo, exec_lo, s42
	s_and_not1_saveexec_b32 s41, s41
	s_cbranch_execz .LBB135_20
.LBB135_1055:                           ;   in Loop: Header=BB135_3 Depth=1
	v_lshl_add_u64 v[48:49], v[20:21], 3, v[2:3]
	flat_load_b64 v[48:49], v[48:49]
	s_wait_loadcnt_dscnt 0x0
	v_xor_b32_e32 v49, 0x80000000, v49
	ds_store_b64 v86, v[48:49]
	s_or_b32 exec_lo, exec_lo, s41
	s_and_saveexec_b32 s41, s9
	s_delay_alu instid0(SALU_CYCLE_1)
	s_xor_b32 s41, exec_lo, s41
	s_cbranch_execz .LBB135_21
.LBB135_1056:                           ;   in Loop: Header=BB135_3 Depth=1
	s_mov_b32 s42, exec_lo
	v_readlane_b32 s43, v99, 22
	s_and_b32 s43, s42, s43
	s_delay_alu instid0(SALU_CYCLE_1)
	s_mov_b32 exec_lo, s43
; %bb.1057:                             ;   in Loop: Header=BB135_3 Depth=1
	ds_store_b64 v87, v[32:33]
; %bb.1058:                             ;   in Loop: Header=BB135_3 Depth=1
	s_or_b32 exec_lo, exec_lo, s42
	s_and_not1_saveexec_b32 s41, s41
	s_cbranch_execnz .LBB135_22
	s_branch .LBB135_23
.LBB135_1059:                           ;   in Loop: Header=BB135_3 Depth=1
	ds_load_b64 v[44:45], v94
	ds_load_b64 v[48:49], v89
	s_wait_dscnt 0x0
	v_fma_f64 v[44:45], v[44:45], v[48:49], 0
	s_or_b32 exec_lo, exec_lo, s41
	s_and_saveexec_b32 s41, s7
	s_cbranch_execz .LBB135_1015
.LBB135_1060:                           ;   in Loop: Header=BB135_3 Depth=1
	ds_load_b64 v[48:49], v94 offset:8192
	ds_load_b64 v[50:51], v89 offset:128
	s_wait_dscnt 0x0
	v_fmac_f64_e32 v[44:45], v[48:49], v[50:51]
	s_or_b32 exec_lo, exec_lo, s41
	s_and_saveexec_b32 s41, s8
	s_cbranch_execz .LBB135_1016
.LBB135_1061:                           ;   in Loop: Header=BB135_3 Depth=1
	ds_load_b64 v[48:49], v94 offset:16384
	ds_load_b64 v[50:51], v89 offset:256
	s_wait_dscnt 0x0
	v_fmac_f64_e32 v[44:45], v[48:49], v[50:51]
	s_or_b32 exec_lo, exec_lo, s41
	s_and_saveexec_b32 s41, s9
	s_cbranch_execnz .LBB135_1017
	s_branch .LBB135_1018
.LBB135_1062:                           ;   in Loop: Header=BB135_3 Depth=1
	s_or_b32 exec_lo, exec_lo, s80
	s_delay_alu instid0(SALU_CYCLE_1)
	s_and_b32 vcc_lo, exec_lo, s41
	s_cbranch_vccnz .LBB135_1021
.LBB135_1063:                           ;   in Loop: Header=BB135_3 Depth=1
	s_delay_alu instid0(VALU_DEP_1)
	v_mov_b64_e32 v[46:47], v[48:49]
	v_mov_b64_e32 v[44:45], v[28:29]
	s_and_saveexec_b32 s41, s61
	s_cbranch_execz .LBB135_1065
.LBB135_1064:                           ;   in Loop: Header=BB135_3 Depth=1
	s_delay_alu instid0(VALU_DEP_1)
	v_lshl_add_u64 v[2:3], v[44:45], 3, v[2:3]
	flat_store_b64 v[2:3], v[46:47]
.LBB135_1065:                           ;   in Loop: Header=BB135_3 Depth=1
	s_wait_xcnt 0x0
	s_or_b32 exec_lo, exec_lo, s41
	global_wb scope:SCOPE_DEV
	s_wait_storecnt_dscnt 0x0
	global_inv scope:SCOPE_DEV
	s_wait_loadcnt 0x0
	s_barrier_signal -1
	s_barrier_wait -1
	s_and_saveexec_b32 s41, s55
	s_cbranch_execz .LBB135_2
; %bb.1066:                             ;   in Loop: Header=BB135_3 Depth=1
	s_lshl_b64 s[42:43], s[62:63], 2
	s_delay_alu instid0(SALU_CYCLE_1)
	s_add_nc_u64 s[42:43], s[76:77], s[42:43]
	global_load_b32 v0, v7, s[42:43]
	s_wait_loadcnt 0x0
	v_add_nc_u32_e32 v0, 1, v0
	global_store_b32 v7, v0, s[42:43]
	s_branch .LBB135_2
.LBB135_1067:                           ;   in Loop: Header=BB135_3 Depth=1
	ds_load_b64 v[48:49], v60 offset:31680
	ds_load_b64 v[50:51], v59 offset:32744
	s_wait_dscnt 0x0
	v_fmac_f64_e32 v[2:3], v[48:49], v[50:51]
	s_or_b32 exec_lo, exec_lo, s42
	s_and_saveexec_b32 s42, s13
	s_cbranch_execz .LBB135_72
.LBB135_1068:                           ;   in Loop: Header=BB135_3 Depth=1
	ds_load_b64 v[48:49], v60 offset:32192
	ds_load_b64 v[50:51], v59 offset:32752
	s_wait_dscnt 0x0
	v_fmac_f64_e32 v[2:3], v[48:49], v[50:51]
	s_or_b32 exec_lo, exec_lo, s42
	s_and_saveexec_b32 s42, s1
	s_cbranch_execnz .LBB135_73
	s_branch .LBB135_74
.LBB135_1069:                           ;   in Loop: Header=BB135_3 Depth=1
	ds_load_b64 v[48:49], v68 offset:29568
	ds_load_b64 v[50:51], v67 offset:32712
	s_wait_dscnt 0x0
	v_fmac_f64_e32 v[2:3], v[48:49], v[50:51]
	s_or_b32 exec_lo, exec_lo, s42
	s_and_saveexec_b32 s42, s15
	s_cbranch_execz .LBB135_114
.LBB135_1070:                           ;   in Loop: Header=BB135_3 Depth=1
	ds_load_b64 v[48:49], v68 offset:30080
	ds_load_b64 v[50:51], v67 offset:32720
	s_wait_dscnt 0x0
	v_fmac_f64_e32 v[2:3], v[48:49], v[50:51]
	s_or_b32 exec_lo, exec_lo, s42
	s_and_saveexec_b32 s42, s16
	s_cbranch_execz .LBB135_115
.LBB135_1071:                           ;   in Loop: Header=BB135_3 Depth=1
	ds_load_b64 v[48:49], v68 offset:30592
	ds_load_b64 v[50:51], v67 offset:32728
	s_wait_dscnt 0x0
	v_fmac_f64_e32 v[2:3], v[48:49], v[50:51]
	s_or_b32 exec_lo, exec_lo, s42
	s_and_saveexec_b32 s42, s17
	s_cbranch_execz .LBB135_116
.LBB135_1072:                           ;   in Loop: Header=BB135_3 Depth=1
	ds_load_b64 v[48:49], v68 offset:31104
	ds_load_b64 v[50:51], v67 offset:32736
	s_wait_dscnt 0x0
	v_fmac_f64_e32 v[2:3], v[48:49], v[50:51]
	s_or_b32 exec_lo, exec_lo, s42
	s_and_saveexec_b32 s42, s18
	s_cbranch_execz .LBB135_117
.LBB135_1073:                           ;   in Loop: Header=BB135_3 Depth=1
	ds_load_b64 v[48:49], v68 offset:31616
	ds_load_b64 v[50:51], v67 offset:32744
	s_wait_dscnt 0x0
	v_fmac_f64_e32 v[2:3], v[48:49], v[50:51]
	s_or_b32 exec_lo, exec_lo, s42
	s_and_saveexec_b32 s42, s3
	s_cbranch_execz .LBB135_118
.LBB135_1074:                           ;   in Loop: Header=BB135_3 Depth=1
	ds_load_b64 v[48:49], v68 offset:32128
	ds_load_b64 v[50:51], v67 offset:32752
	s_wait_dscnt 0x0
	v_fmac_f64_e32 v[2:3], v[48:49], v[50:51]
	s_or_b32 exec_lo, exec_lo, s42
	s_and_saveexec_b32 s42, s13
	s_cbranch_execnz .LBB135_119
	s_branch .LBB135_120
.LBB135_1075:                           ;   in Loop: Header=BB135_3 Depth=1
	ds_load_b64 v[48:49], v60 offset:27520
	ds_load_b64 v[50:51], v59 offset:28584
	s_wait_dscnt 0x0
	v_fmac_f64_e32 v[2:3], v[48:49], v[50:51]
	s_or_b32 exec_lo, exec_lo, s42
	s_and_saveexec_b32 s42, s13
	s_cbranch_execz .LBB135_176
.LBB135_1076:                           ;   in Loop: Header=BB135_3 Depth=1
	ds_load_b64 v[48:49], v60 offset:28032
	ds_load_b64 v[50:51], v59 offset:28592
	s_wait_dscnt 0x0
	v_fmac_f64_e32 v[2:3], v[48:49], v[50:51]
	s_or_b32 exec_lo, exec_lo, s42
	s_and_saveexec_b32 s42, s1
	s_cbranch_execnz .LBB135_177
	s_branch .LBB135_178
.LBB135_1077:                           ;   in Loop: Header=BB135_3 Depth=1
	ds_load_b64 v[48:49], v76 offset:30464
	ds_load_b64 v[50:51], v75 offset:32728
	s_wait_dscnt 0x0
	v_fmac_f64_e32 v[2:3], v[48:49], v[50:51]
	s_or_b32 exec_lo, exec_lo, s41
	s_and_saveexec_b32 s41, s4
	s_cbranch_execz .LBB135_238
.LBB135_1078:                           ;   in Loop: Header=BB135_3 Depth=1
	ds_load_b64 v[48:49], v76 offset:30976
	ds_load_b64 v[50:51], v75 offset:32736
	s_wait_dscnt 0x0
	v_fmac_f64_e32 v[2:3], v[48:49], v[50:51]
	s_or_b32 exec_lo, exec_lo, s41
	s_and_saveexec_b32 s41, s15
	s_cbranch_execz .LBB135_239
.LBB135_1079:                           ;   in Loop: Header=BB135_3 Depth=1
	ds_load_b64 v[48:49], v76 offset:31488
	ds_load_b64 v[50:51], v75 offset:32744
	s_wait_dscnt 0x0
	v_fmac_f64_e32 v[2:3], v[48:49], v[50:51]
	s_or_b32 exec_lo, exec_lo, s41
	s_and_saveexec_b32 s41, s17
	s_cbranch_execz .LBB135_240
.LBB135_1080:                           ;   in Loop: Header=BB135_3 Depth=1
	ds_load_b64 v[48:49], v76 offset:32000
	ds_load_b64 v[50:51], v75 offset:32752
	s_wait_dscnt 0x0
	v_fmac_f64_e32 v[2:3], v[48:49], v[50:51]
	s_or_b32 exec_lo, exec_lo, s41
	s_and_saveexec_b32 s41, s3
	s_cbranch_execnz .LBB135_241
	s_branch .LBB135_242
.LBB135_1081:                           ;   in Loop: Header=BB135_3 Depth=1
	ds_load_b64 v[48:49], v60 offset:23360
	ds_load_b64 v[50:51], v59 offset:24424
	s_wait_dscnt 0x0
	v_fmac_f64_e32 v[2:3], v[48:49], v[50:51]
	s_or_b32 exec_lo, exec_lo, s42
	s_and_saveexec_b32 s42, s13
	s_cbranch_execz .LBB135_330
.LBB135_1082:                           ;   in Loop: Header=BB135_3 Depth=1
	ds_load_b64 v[48:49], v60 offset:23872
	ds_load_b64 v[50:51], v59 offset:24432
	s_wait_dscnt 0x0
	v_fmac_f64_e32 v[2:3], v[48:49], v[50:51]
	s_or_b32 exec_lo, exec_lo, s42
	s_and_saveexec_b32 s42, s1
	s_cbranch_execnz .LBB135_331
	s_branch .LBB135_332
.LBB135_1083:                           ;   in Loop: Header=BB135_3 Depth=1
	ds_load_b64 v[48:49], v68 offset:21248
	ds_load_b64 v[50:51], v67 offset:24392
	s_wait_dscnt 0x0
	v_fmac_f64_e32 v[2:3], v[48:49], v[50:51]
	s_or_b32 exec_lo, exec_lo, s42
	s_and_saveexec_b32 s42, s15
	s_cbranch_execz .LBB135_372
.LBB135_1084:                           ;   in Loop: Header=BB135_3 Depth=1
	ds_load_b64 v[48:49], v68 offset:21760
	ds_load_b64 v[50:51], v67 offset:24400
	s_wait_dscnt 0x0
	v_fmac_f64_e32 v[2:3], v[48:49], v[50:51]
	s_or_b32 exec_lo, exec_lo, s42
	s_and_saveexec_b32 s42, s16
	s_cbranch_execz .LBB135_373
.LBB135_1085:                           ;   in Loop: Header=BB135_3 Depth=1
	ds_load_b64 v[48:49], v68 offset:22272
	ds_load_b64 v[50:51], v67 offset:24408
	s_wait_dscnt 0x0
	v_fmac_f64_e32 v[2:3], v[48:49], v[50:51]
	s_or_b32 exec_lo, exec_lo, s42
	s_and_saveexec_b32 s42, s17
	s_cbranch_execz .LBB135_374
.LBB135_1086:                           ;   in Loop: Header=BB135_3 Depth=1
	ds_load_b64 v[48:49], v68 offset:22784
	ds_load_b64 v[50:51], v67 offset:24416
	s_wait_dscnt 0x0
	v_fmac_f64_e32 v[2:3], v[48:49], v[50:51]
	s_or_b32 exec_lo, exec_lo, s42
	s_and_saveexec_b32 s42, s18
	s_cbranch_execz .LBB135_375
.LBB135_1087:                           ;   in Loop: Header=BB135_3 Depth=1
	ds_load_b64 v[48:49], v68 offset:23296
	ds_load_b64 v[50:51], v67 offset:24424
	s_wait_dscnt 0x0
	v_fmac_f64_e32 v[2:3], v[48:49], v[50:51]
	s_or_b32 exec_lo, exec_lo, s42
	s_and_saveexec_b32 s42, s3
	s_cbranch_execz .LBB135_376
.LBB135_1088:                           ;   in Loop: Header=BB135_3 Depth=1
	ds_load_b64 v[48:49], v68 offset:23808
	ds_load_b64 v[50:51], v67 offset:24432
	s_wait_dscnt 0x0
	v_fmac_f64_e32 v[2:3], v[48:49], v[50:51]
	s_or_b32 exec_lo, exec_lo, s42
	s_and_saveexec_b32 s42, s13
	s_cbranch_execnz .LBB135_377
	s_branch .LBB135_378
.LBB135_1089:                           ;   in Loop: Header=BB135_3 Depth=1
	ds_load_b64 v[48:49], v60 offset:19200
	ds_load_b64 v[50:51], v59 offset:20264
	s_wait_dscnt 0x0
	v_fmac_f64_e32 v[2:3], v[48:49], v[50:51]
	s_or_b32 exec_lo, exec_lo, s42
	s_and_saveexec_b32 s42, s13
	s_cbranch_execz .LBB135_434
.LBB135_1090:                           ;   in Loop: Header=BB135_3 Depth=1
	ds_load_b64 v[48:49], v60 offset:19712
	ds_load_b64 v[50:51], v59 offset:20272
	s_wait_dscnt 0x0
	v_fmac_f64_e32 v[2:3], v[48:49], v[50:51]
	s_or_b32 exec_lo, exec_lo, s42
	s_and_saveexec_b32 s42, s1
	s_cbranch_execnz .LBB135_435
	s_branch .LBB135_436
.LBB135_1091:                           ;   in Loop: Header=BB135_3 Depth=1
	ds_load_b64 v[48:49], v79 offset:31232
	ds_load_b64 v[50:51], v81 offset:32744
	s_wait_dscnt 0x0
	v_fmac_f64_e32 v[2:3], v[48:49], v[50:51]
	s_or_b32 exec_lo, exec_lo, s41
	s_and_saveexec_b32 s41, s4
	s_cbranch_execz .LBB135_532
.LBB135_1092:                           ;   in Loop: Header=BB135_3 Depth=1
	ds_load_b64 v[48:49], v79 offset:31744
	ds_load_b64 v[50:51], v81 offset:32752
	s_wait_dscnt 0x0
	v_fmac_f64_e32 v[2:3], v[48:49], v[50:51]
	s_or_b32 exec_lo, exec_lo, s41
	s_and_saveexec_b32 s41, s17
	s_delay_alu instid0(SALU_CYCLE_1)
	s_xor_b32 s41, exec_lo, s41
	s_cbranch_execnz .LBB135_533
	s_branch .LBB135_534
.LBB135_1093:                           ;   in Loop: Header=BB135_3 Depth=1
	ds_load_b64 v[48:49], v60 offset:15040
	ds_load_b64 v[50:51], v59 offset:16104
	s_wait_dscnt 0x0
	v_fmac_f64_e32 v[2:3], v[48:49], v[50:51]
	s_or_b32 exec_lo, exec_lo, s42
	s_and_saveexec_b32 s42, s13
	s_cbranch_execz .LBB135_578
.LBB135_1094:                           ;   in Loop: Header=BB135_3 Depth=1
	ds_load_b64 v[48:49], v60 offset:15552
	ds_load_b64 v[50:51], v59 offset:16112
	s_wait_dscnt 0x0
	v_fmac_f64_e32 v[2:3], v[48:49], v[50:51]
	s_or_b32 exec_lo, exec_lo, s42
	s_and_saveexec_b32 s42, s1
	s_cbranch_execnz .LBB135_579
	s_branch .LBB135_580
.LBB135_1095:                           ;   in Loop: Header=BB135_3 Depth=1
	ds_load_b64 v[48:49], v68 offset:12928
	ds_load_b64 v[50:51], v67 offset:16072
	s_wait_dscnt 0x0
	v_fmac_f64_e32 v[2:3], v[48:49], v[50:51]
	s_or_b32 exec_lo, exec_lo, s42
	s_and_saveexec_b32 s42, s15
	s_cbranch_execz .LBB135_620
.LBB135_1096:                           ;   in Loop: Header=BB135_3 Depth=1
	ds_load_b64 v[48:49], v68 offset:13440
	ds_load_b64 v[50:51], v67 offset:16080
	s_wait_dscnt 0x0
	v_fmac_f64_e32 v[2:3], v[48:49], v[50:51]
	s_or_b32 exec_lo, exec_lo, s42
	s_and_saveexec_b32 s42, s16
	s_cbranch_execz .LBB135_621
.LBB135_1097:                           ;   in Loop: Header=BB135_3 Depth=1
	ds_load_b64 v[48:49], v68 offset:13952
	ds_load_b64 v[50:51], v67 offset:16088
	s_wait_dscnt 0x0
	v_fmac_f64_e32 v[2:3], v[48:49], v[50:51]
	s_or_b32 exec_lo, exec_lo, s42
	s_and_saveexec_b32 s42, s17
	s_cbranch_execz .LBB135_622
.LBB135_1098:                           ;   in Loop: Header=BB135_3 Depth=1
	ds_load_b64 v[48:49], v68 offset:14464
	ds_load_b64 v[50:51], v67 offset:16096
	s_wait_dscnt 0x0
	v_fmac_f64_e32 v[2:3], v[48:49], v[50:51]
	s_or_b32 exec_lo, exec_lo, s42
	s_and_saveexec_b32 s42, s18
	s_cbranch_execz .LBB135_623
.LBB135_1099:                           ;   in Loop: Header=BB135_3 Depth=1
	ds_load_b64 v[48:49], v68 offset:14976
	ds_load_b64 v[50:51], v67 offset:16104
	s_wait_dscnt 0x0
	v_fmac_f64_e32 v[2:3], v[48:49], v[50:51]
	s_or_b32 exec_lo, exec_lo, s42
	s_and_saveexec_b32 s42, s3
	s_cbranch_execz .LBB135_624
.LBB135_1100:                           ;   in Loop: Header=BB135_3 Depth=1
	ds_load_b64 v[48:49], v68 offset:15488
	ds_load_b64 v[50:51], v67 offset:16112
	s_wait_dscnt 0x0
	v_fmac_f64_e32 v[2:3], v[48:49], v[50:51]
	s_or_b32 exec_lo, exec_lo, s42
	s_and_saveexec_b32 s42, s13
	s_cbranch_execnz .LBB135_625
	s_branch .LBB135_626
.LBB135_1101:                           ;   in Loop: Header=BB135_3 Depth=1
	ds_load_b64 v[48:49], v60 offset:10880
	ds_load_b64 v[50:51], v59 offset:11944
	s_wait_dscnt 0x0
	v_fmac_f64_e32 v[2:3], v[48:49], v[50:51]
	s_or_b32 exec_lo, exec_lo, s42
	s_and_saveexec_b32 s42, s13
	s_cbranch_execz .LBB135_682
.LBB135_1102:                           ;   in Loop: Header=BB135_3 Depth=1
	ds_load_b64 v[48:49], v60 offset:11392
	ds_load_b64 v[50:51], v59 offset:11952
	s_wait_dscnt 0x0
	v_fmac_f64_e32 v[2:3], v[48:49], v[50:51]
	s_or_b32 exec_lo, exec_lo, s42
	s_and_saveexec_b32 s42, s1
	s_cbranch_execnz .LBB135_683
	s_branch .LBB135_684
.LBB135_1103:                           ;   in Loop: Header=BB135_3 Depth=1
	ds_load_b64 v[48:49], v76 offset:13824
	ds_load_b64 v[50:51], v75 offset:16088
	s_wait_dscnt 0x0
	v_fmac_f64_e32 v[2:3], v[48:49], v[50:51]
	s_or_b32 exec_lo, exec_lo, s41
	s_and_saveexec_b32 s41, s4
	s_cbranch_execz .LBB135_744
.LBB135_1104:                           ;   in Loop: Header=BB135_3 Depth=1
	ds_load_b64 v[48:49], v76 offset:14336
	ds_load_b64 v[50:51], v75 offset:16096
	s_wait_dscnt 0x0
	v_fmac_f64_e32 v[2:3], v[48:49], v[50:51]
	s_or_b32 exec_lo, exec_lo, s41
	s_and_saveexec_b32 s41, s15
	s_cbranch_execz .LBB135_745
.LBB135_1105:                           ;   in Loop: Header=BB135_3 Depth=1
	ds_load_b64 v[48:49], v76 offset:14848
	ds_load_b64 v[50:51], v75 offset:16104
	s_wait_dscnt 0x0
	v_fmac_f64_e32 v[2:3], v[48:49], v[50:51]
	s_or_b32 exec_lo, exec_lo, s41
	s_and_saveexec_b32 s41, s17
	s_cbranch_execz .LBB135_746
.LBB135_1106:                           ;   in Loop: Header=BB135_3 Depth=1
	ds_load_b64 v[48:49], v76 offset:15360
	ds_load_b64 v[50:51], v75 offset:16112
	s_wait_dscnt 0x0
	v_fmac_f64_e32 v[2:3], v[48:49], v[50:51]
	s_or_b32 exec_lo, exec_lo, s41
	s_and_saveexec_b32 s41, s3
	s_cbranch_execnz .LBB135_747
	s_branch .LBB135_748
.LBB135_1107:                           ;   in Loop: Header=BB135_3 Depth=1
	ds_load_b64 v[48:49], v60 offset:6720
	ds_load_b64 v[50:51], v59 offset:7784
	s_wait_dscnt 0x0
	v_fmac_f64_e32 v[2:3], v[48:49], v[50:51]
	s_or_b32 exec_lo, exec_lo, s42
	s_and_saveexec_b32 s42, s13
	s_cbranch_execz .LBB135_836
.LBB135_1108:                           ;   in Loop: Header=BB135_3 Depth=1
	ds_load_b64 v[48:49], v60 offset:7232
	ds_load_b64 v[50:51], v59 offset:7792
	s_wait_dscnt 0x0
	v_fmac_f64_e32 v[2:3], v[48:49], v[50:51]
	s_or_b32 exec_lo, exec_lo, s42
	s_and_saveexec_b32 s42, s1
	s_cbranch_execnz .LBB135_837
	s_branch .LBB135_838
.LBB135_1109:                           ;   in Loop: Header=BB135_3 Depth=1
	ds_load_b64 v[48:49], v68 offset:4608
	ds_load_b64 v[50:51], v67 offset:7752
	s_wait_dscnt 0x0
	v_fmac_f64_e32 v[2:3], v[48:49], v[50:51]
	s_or_b32 exec_lo, exec_lo, s42
	s_and_saveexec_b32 s42, s15
	s_cbranch_execz .LBB135_878
.LBB135_1110:                           ;   in Loop: Header=BB135_3 Depth=1
	ds_load_b64 v[48:49], v68 offset:5120
	ds_load_b64 v[50:51], v67 offset:7760
	s_wait_dscnt 0x0
	v_fmac_f64_e32 v[2:3], v[48:49], v[50:51]
	s_or_b32 exec_lo, exec_lo, s42
	s_and_saveexec_b32 s42, s16
	s_cbranch_execz .LBB135_879
.LBB135_1111:                           ;   in Loop: Header=BB135_3 Depth=1
	ds_load_b64 v[48:49], v68 offset:5632
	ds_load_b64 v[50:51], v67 offset:7768
	s_wait_dscnt 0x0
	v_fmac_f64_e32 v[2:3], v[48:49], v[50:51]
	s_or_b32 exec_lo, exec_lo, s42
	s_and_saveexec_b32 s42, s17
	s_cbranch_execz .LBB135_880
.LBB135_1112:                           ;   in Loop: Header=BB135_3 Depth=1
	ds_load_b64 v[48:49], v68 offset:6144
	ds_load_b64 v[50:51], v67 offset:7776
	s_wait_dscnt 0x0
	v_fmac_f64_e32 v[2:3], v[48:49], v[50:51]
	s_or_b32 exec_lo, exec_lo, s42
	s_and_saveexec_b32 s42, s18
	s_cbranch_execz .LBB135_881
.LBB135_1113:                           ;   in Loop: Header=BB135_3 Depth=1
	ds_load_b64 v[48:49], v68 offset:6656
	ds_load_b64 v[50:51], v67 offset:7784
	s_wait_dscnt 0x0
	v_fmac_f64_e32 v[2:3], v[48:49], v[50:51]
	s_or_b32 exec_lo, exec_lo, s42
	s_and_saveexec_b32 s42, s3
	s_cbranch_execz .LBB135_882
.LBB135_1114:                           ;   in Loop: Header=BB135_3 Depth=1
	ds_load_b64 v[48:49], v68 offset:7168
	ds_load_b64 v[50:51], v67 offset:7792
	s_wait_dscnt 0x0
	v_fmac_f64_e32 v[2:3], v[48:49], v[50:51]
	s_or_b32 exec_lo, exec_lo, s42
	s_and_saveexec_b32 s42, s13
	s_cbranch_execnz .LBB135_883
	s_branch .LBB135_884
.LBB135_1115:                           ;   in Loop: Header=BB135_3 Depth=1
	ds_load_b64 v[48:49], v60 offset:2560
	ds_load_b64 v[50:51], v59 offset:3624
	s_wait_dscnt 0x0
	v_fmac_f64_e32 v[2:3], v[48:49], v[50:51]
	s_or_b32 exec_lo, exec_lo, s42
	s_and_saveexec_b32 s42, s13
	s_cbranch_execz .LBB135_940
.LBB135_1116:                           ;   in Loop: Header=BB135_3 Depth=1
	ds_load_b64 v[48:49], v60 offset:3072
	ds_load_b64 v[50:51], v59 offset:3632
	s_wait_dscnt 0x0
	v_fmac_f64_e32 v[2:3], v[48:49], v[50:51]
	s_or_b32 exec_lo, exec_lo, s42
	s_and_saveexec_b32 s42, s1
	s_cbranch_execnz .LBB135_941
	s_branch .LBB135_942
.LBB135_1117:
	s_endpgm
	.section	.rodata,"a",@progbits
	.p2align	6, 0x0
	.amdhsa_kernel _ZL19rocblas_trsv_deviceILi64ELi16ELb0ELb1ELb1ELb1EddPKPKdPKPdEviT7_lllT6_T8_lllPii
		.amdhsa_group_segment_fixed_size 41480
		.amdhsa_private_segment_fixed_size 0
		.amdhsa_kernarg_size 352
		.amdhsa_user_sgpr_count 2
		.amdhsa_user_sgpr_dispatch_ptr 0
		.amdhsa_user_sgpr_queue_ptr 0
		.amdhsa_user_sgpr_kernarg_segment_ptr 1
		.amdhsa_user_sgpr_dispatch_id 0
		.amdhsa_user_sgpr_kernarg_preload_length 0
		.amdhsa_user_sgpr_kernarg_preload_offset 0
		.amdhsa_user_sgpr_private_segment_size 0
		.amdhsa_wavefront_size32 1
		.amdhsa_uses_dynamic_stack 0
		.amdhsa_enable_private_segment 0
		.amdhsa_system_sgpr_workgroup_id_x 1
		.amdhsa_system_sgpr_workgroup_id_y 0
		.amdhsa_system_sgpr_workgroup_id_z 1
		.amdhsa_system_sgpr_workgroup_info 0
		.amdhsa_system_vgpr_workitem_id 1
		.amdhsa_next_free_vgpr 105
		.amdhsa_next_free_sgpr 105
		.amdhsa_named_barrier_count 0
		.amdhsa_reserve_vcc 1
		.amdhsa_float_round_mode_32 0
		.amdhsa_float_round_mode_16_64 0
		.amdhsa_float_denorm_mode_32 3
		.amdhsa_float_denorm_mode_16_64 3
		.amdhsa_fp16_overflow 0
		.amdhsa_memory_ordered 1
		.amdhsa_forward_progress 1
		.amdhsa_inst_pref_size 255
		.amdhsa_round_robin_scheduling 0
		.amdhsa_exception_fp_ieee_invalid_op 0
		.amdhsa_exception_fp_denorm_src 0
		.amdhsa_exception_fp_ieee_div_zero 0
		.amdhsa_exception_fp_ieee_overflow 0
		.amdhsa_exception_fp_ieee_underflow 0
		.amdhsa_exception_fp_ieee_inexact 0
		.amdhsa_exception_int_div_zero 0
	.end_amdhsa_kernel
	.section	.text._ZL19rocblas_trsv_deviceILi64ELi16ELb0ELb1ELb1ELb1EddPKPKdPKPdEviT7_lllT6_T8_lllPii,"axG",@progbits,_ZL19rocblas_trsv_deviceILi64ELi16ELb0ELb1ELb1ELb1EddPKPKdPKPdEviT7_lllT6_T8_lllPii,comdat
.Lfunc_end135:
	.size	_ZL19rocblas_trsv_deviceILi64ELi16ELb0ELb1ELb1ELb1EddPKPKdPKPdEviT7_lllT6_T8_lllPii, .Lfunc_end135-_ZL19rocblas_trsv_deviceILi64ELi16ELb0ELb1ELb1ELb1EddPKPKdPKPdEviT7_lllT6_T8_lllPii
                                        ; -- End function
	.set _ZL19rocblas_trsv_deviceILi64ELi16ELb0ELb1ELb1ELb1EddPKPKdPKPdEviT7_lllT6_T8_lllPii.num_vgpr, 105
	.set _ZL19rocblas_trsv_deviceILi64ELi16ELb0ELb1ELb1ELb1EddPKPKdPKPdEviT7_lllT6_T8_lllPii.num_agpr, 0
	.set _ZL19rocblas_trsv_deviceILi64ELi16ELb0ELb1ELb1ELb1EddPKPKdPKPdEviT7_lllT6_T8_lllPii.numbered_sgpr, 105
	.set _ZL19rocblas_trsv_deviceILi64ELi16ELb0ELb1ELb1ELb1EddPKPKdPKPdEviT7_lllT6_T8_lllPii.num_named_barrier, 0
	.set _ZL19rocblas_trsv_deviceILi64ELi16ELb0ELb1ELb1ELb1EddPKPKdPKPdEviT7_lllT6_T8_lllPii.private_seg_size, 0
	.set _ZL19rocblas_trsv_deviceILi64ELi16ELb0ELb1ELb1ELb1EddPKPKdPKPdEviT7_lllT6_T8_lllPii.uses_vcc, 1
	.set _ZL19rocblas_trsv_deviceILi64ELi16ELb0ELb1ELb1ELb1EddPKPKdPKPdEviT7_lllT6_T8_lllPii.uses_flat_scratch, 0
	.set _ZL19rocblas_trsv_deviceILi64ELi16ELb0ELb1ELb1ELb1EddPKPKdPKPdEviT7_lllT6_T8_lllPii.has_dyn_sized_stack, 0
	.set _ZL19rocblas_trsv_deviceILi64ELi16ELb0ELb1ELb1ELb1EddPKPKdPKPdEviT7_lllT6_T8_lllPii.has_recursion, 0
	.set _ZL19rocblas_trsv_deviceILi64ELi16ELb0ELb1ELb1ELb1EddPKPKdPKPdEviT7_lllT6_T8_lllPii.has_indirect_call, 0
	.section	.AMDGPU.csdata,"",@progbits
; Kernel info:
; codeLenInByte = 33420
; TotalNumSgprs: 107
; NumVgprs: 105
; ScratchSize: 0
; MemoryBound: 0
; FloatMode: 240
; IeeeMode: 1
; LDSByteSize: 41480 bytes/workgroup (compile time only)
; SGPRBlocks: 0
; VGPRBlocks: 6
; NumSGPRsForWavesPerEU: 107
; NumVGPRsForWavesPerEU: 105
; NamedBarCnt: 0
; Occupancy: 9
; WaveLimiterHint : 1
; COMPUTE_PGM_RSRC2:SCRATCH_EN: 0
; COMPUTE_PGM_RSRC2:USER_SGPR: 2
; COMPUTE_PGM_RSRC2:TRAP_HANDLER: 0
; COMPUTE_PGM_RSRC2:TGID_X_EN: 1
; COMPUTE_PGM_RSRC2:TGID_Y_EN: 0
; COMPUTE_PGM_RSRC2:TGID_Z_EN: 1
; COMPUTE_PGM_RSRC2:TIDIG_COMP_CNT: 1
	.section	.text._ZL19rocblas_trsv_deviceILi64ELi16ELb0ELb0ELb0ELb0EddPKPKdPKPdEviT7_lllT6_T8_lllPii,"axG",@progbits,_ZL19rocblas_trsv_deviceILi64ELi16ELb0ELb0ELb0ELb0EddPKPKdPKPdEviT7_lllT6_T8_lllPii,comdat
	.globl	_ZL19rocblas_trsv_deviceILi64ELi16ELb0ELb0ELb0ELb0EddPKPKdPKPdEviT7_lllT6_T8_lllPii ; -- Begin function _ZL19rocblas_trsv_deviceILi64ELi16ELb0ELb0ELb0ELb0EddPKPKdPKPdEviT7_lllT6_T8_lllPii
	.p2align	8
	.type	_ZL19rocblas_trsv_deviceILi64ELi16ELb0ELb0ELb0ELb0EddPKPKdPKPdEviT7_lllT6_T8_lllPii,@function
_ZL19rocblas_trsv_deviceILi64ELi16ELb0ELb0ELb0ELb0EddPKPKdPKPdEviT7_lllT6_T8_lllPii: ; @_ZL19rocblas_trsv_deviceILi64ELi16ELb0ELb0ELb0ELb0EddPKPKdPKPdEviT7_lllT6_T8_lllPii
; %bb.0:
	s_load_b32 s69, s[0:1], 0x58
	s_bfe_u32 s2, ttmp6, 0x40014
	s_lshr_b32 s3, ttmp7, 16
	s_add_co_i32 s2, s2, 1
	s_bfe_u32 s5, ttmp6, 0x40008
	s_mul_i32 s4, s3, s2
	s_getreg_b32 s2, hwreg(HW_REG_IB_STS2, 6, 4)
	s_add_co_i32 s5, s5, s4
	s_cmp_eq_u32 s2, 0
	s_mov_b32 s71, 0
	s_cselect_b32 s70, s3, s5
	s_wait_kmcnt 0x0
	s_cmp_ge_u32 s70, s69
	s_cbranch_scc1 .LBB136_1087
; %bb.1:
	s_clause 0x2
	s_load_b32 s3, s[0:1], 0x6c
	s_load_b32 s99, s[0:1], 0x60
	;; [unrolled: 1-line block ×3, first 2 shown]
	s_bfe_u32 s5, ttmp6, 0x4000c
	s_and_b32 s4, ttmp6, 15
	s_add_co_i32 s5, s5, 1
	s_clause 0x1
	s_load_b64 s[86:87], s[0:1], 0x18
	s_load_b128 s[80:83], s[0:1], 0x8
	s_mul_i32 s5, ttmp9, s5
	s_load_b256 s[72:79], s[0:1], 0x28
	s_add_co_i32 s4, s4, s5
	s_cmp_eq_u32 s2, 0
	s_load_b64 s[88:89], s[0:1], 0x50
	s_cselect_b32 s98, ttmp9, s4
	v_bfe_u32 v42, v0, 10, 10
	v_and_b32_e32 v2, 0x3ff, v0
	v_dual_mov_b32 v5, 0 :: v_dual_lshrrev_b32 v32, 10, v0
                                        ; implicit-def: $vgpr86 : SGPR spill to VGPR lane
                                        ; implicit-def: $vgpr85 : SGPR spill to VGPR lane
                                        ; implicit-def: $vgpr84 : SGPR spill to VGPR lane
	v_mov_b64_e32 v[22:23], 0
	s_delay_alu instid0(VALU_DEP_4)
	v_lshl_add_u32 v67, v42, 3, 0xa000
	s_wait_kmcnt 0x0
	s_and_b32 s2, s3, 0xffff
	s_add_co_i32 s99, s99, -1
	s_add_co_i32 s0, s84, -1
	s_ashr_i32 s85, s84, 31
	s_ashr_i32 s1, s0, 31
	s_lshr_b32 s3, s85, 26
	s_lshr_b32 s1, s1, 26
	s_add_co_i32 s3, s84, s3
	s_add_co_i32 s0, s0, s1
	s_and_not1_b32 s3, s3, 63
	s_sub_co_i32 s68, s99, s98
	s_ashr_i32 s0, s0, 6
	s_sub_co_i32 s15, s84, s3
	s_cmp_eq_u32 s0, s68
	v_lshl_add_u32 v1, v42, 6, v2
	s_cselect_b32 s0, -1, 0
	s_cmp_lg_u32 s15, 0
	v_mov_b32_e32 v3, v5
	s_cselect_b32 s1, -1, 0
	v_lshrrev_b32_e32 v10, 1, v1
	s_and_b32 s16, s1, s0
	v_mad_u32_u24 v4, v42, s2, v2
	s_xor_b32 s100, s16, -1
	s_cmp_lg_u32 s98, 0
	v_lshlrev_b32_e32 v45, 3, v2
	s_cselect_b32 s0, -1, 0
	s_lshl_b32 s10, s68, 6
	v_writelane_b32 v86, s0, 0
	s_add_nc_u64 s[0:1], s[86:87], 1
	v_dual_add_nc_u32 v12, s10, v42 :: v_dual_bitop2_b32 v13, 1, v0 bitop3:0x40
	v_mad_nc_u64_u32 v[18:19], s0, s10, v[2:3]
	v_lshlrev_b32_e32 v11, 9, v10
	s_ashr_i32 s11, s10, 31
	s_delay_alu instid0(VALU_DEP_3)
	v_dual_add_nc_u32 v14, 64, v12 :: v_dual_add_nc_u32 v6, s10, v2
	s_cmp_gt_i32 s98, 4
	s_mul_i32 s1, s1, s10
	s_mul_i32 s2, s0, s11
	s_cselect_b32 s3, -1, 0
	v_dual_ashrrev_i32 v15, 31, v14 :: v_dual_lshlrev_b32 v44, 3, v13
	s_delay_alu instid0(VALU_DEP_4)
	v_add3_u32 v19, s2, s1, v19
	s_and_b32 s102, s3, s100
	v_lshl_add_u32 v3, v10, 3, 0x8000
	v_cmp_gt_u32_e64 s1, 4, v1
	v_dual_sub_nc_u32 v43, 0, v11 :: v_dual_ashrrev_i32 v7, 31, v6
	v_lshrrev_b32_e32 v10, 2, v1
	v_cmp_eq_u32_e64 s2, 1, v13
	v_cmp_eq_u32_e64 s3, 0, v13
	v_and_b32_e32 v13, 3, v0
	v_mul_u64_e32 v[8:9], s[86:87], v[14:15]
	v_dual_lshlrev_b32 v15, 9, v10 :: v_dual_sub_nc_u32 v46, v44, v11
	s_and_b32 s103, s2, s1
	s_and_b32 s104, s3, s1
	v_cmp_gt_u32_e64 s2, 16, v1
	v_cmp_eq_u32_e64 s3, 3, v13
	v_cmp_ne_u32_e64 s4, 3, v13
	v_cmp_eq_u32_e64 s5, 2, v13
	v_lshl_add_u32 v47, v10, 3, 0x8000
	v_dual_sub_nc_u32 v48, 0, v15 :: v_dual_lshlrev_b32 v49, 3, v13
	s_and_b32 vcc_hi, s3, s2
	v_cmp_gt_u32_e64 s3, 2, v13
	s_and_b32 s36, s4, s2
	v_cmp_eq_u32_e64 s4, 1, v13
	s_and_b32 s37, s5, s2
	v_cmp_eq_u32_e64 s5, 0, v13
	v_dual_lshlrev_b32 v10, 6, v1 :: v_dual_bitop2_b32 v13, 7, v0 bitop3:0x40
	s_and_b32 s38, s3, s2
	s_and_b32 s39, s4, s2
	v_cmp_gt_u32_e64 s3, 64, v1
	s_and_b32 s40, s5, s2
	v_cmp_eq_u32_e64 s4, 7, v13
	v_cmp_ne_u32_e64 s5, 7, v13
	v_cmp_eq_u32_e64 s6, 6, v13
	v_cmp_eq_u32_e64 s7, 5, v13
	v_lshlrev_b32_e32 v53, 3, v13
	s_and_b32 s41, s4, s3
	v_cmp_gt_u32_e64 s4, 6, v13
	s_and_b32 s42, s5, s3
	v_cmp_gt_u32_e64 s5, 5, v13
	;; [unrolled: 2-line block ×3, first 2 shown]
	s_and_b32 s44, s4, s3
	v_cmp_eq_u32_e64 s4, 4, v13
	s_and_b32 s46, s5, s3
	v_cmp_eq_u32_e64 s5, 3, v13
	s_and_b32 s45, s7, s3
	v_cmp_gt_u32_e64 s7, 3, v13
	s_and_b32 s47, s4, s3
	v_cmp_eq_u32_e64 s4, 2, v13
	s_and_b32 s48, s6, s3
	s_and_b32 s49, s5, s3
	v_cmp_gt_u32_e64 s5, 2, v13
	v_cmp_eq_u32_e64 s6, 1, v13
	s_and_b32 s51, s4, s3
	v_cmp_eq_u32_e64 s4, 0, v13
	v_and_b32_e32 v13, 15, v0
	s_and_b32 s52, s5, s3
	s_and_b32 s53, s6, s3
	;; [unrolled: 1-line block ×4, first 2 shown]
	v_cmp_gt_u32_e64 s4, 0x100, v1
	v_cmp_eq_u32_e64 s5, 15, v13
	v_cmp_ne_u32_e64 s6, 15, v13
	v_cmp_gt_u32_e64 s7, 14, v13
	v_cmp_eq_u32_e64 s8, 13, v13
	v_cmp_gt_u32_e64 s9, 13, v13
	s_and_b32 s5, s5, s4
	s_and_b32 s6, s6, s4
	v_writelane_b32 v86, s5, 1
	v_cmp_eq_u32_e64 s5, 14, v13
	v_and_b32_e32 v11, 0x1fff8, v1
	v_and_b32_e32 v10, 0xfffffe00, v10
	v_cmp_le_i32_e64 s14, s15, v2
	v_writelane_b32 v86, s6, 2
	s_and_b32 s5, s5, s4
	v_cmp_gt_u32_e64 s6, 12, v13
	v_add_nc_u32_e32 v51, 0x8000, v11
	v_dual_lshrrev_b32 v11, 4, v1 :: v_dual_sub_nc_u32 v54, v53, v10
	v_writelane_b32 v86, s5, 3
	s_and_b32 s5, s7, s4
	v_cmp_eq_u32_e64 s7, 11, v13
	v_dual_sub_nc_u32 v50, v49, v15 :: v_dual_sub_nc_u32 v52, 0, v10
	v_writelane_b32 v86, s5, 4
	s_and_b32 s5, s8, s4
	v_cmp_gt_u32_e64 s8, 11, v13
	s_and_b32 s12, s7, s4
	v_cmp_gt_u32_e64 s7, 9, v13
	v_writelane_b32 v86, s5, 5
	s_and_b32 s5, s9, s4
	v_cmp_eq_u32_e64 s9, 10, v13
	s_and_b32 s13, s8, s4
	v_cmp_eq_u32_e64 s8, 8, v13
	v_writelane_b32 v86, s5, 6
	v_cmp_eq_u32_e64 s5, 12, v13
	s_and_b32 s23, s9, s4
	v_cmp_gt_u32_e64 s9, 8, v13
	s_and_b32 s29, s7, s4
	s_and_b32 s31, s8, s4
	;; [unrolled: 1-line block ×3, first 2 shown]
	v_cmp_eq_u32_e64 s7, 6, v13
	v_writelane_b32 v86, s5, 7
	s_and_b32 s5, s6, s4
	v_cmp_eq_u32_e64 s6, 9, v13
	v_cmp_gt_u32_e64 s8, 6, v13
	s_and_b32 s34, s9, s4
	v_writelane_b32 v86, s5, 8
	v_cmp_gt_u32_e64 s5, 10, v13
	s_and_b32 s27, s6, s4
	v_cmp_gt_u32_e64 s6, 7, v13
	v_cmp_eq_u32_e64 s9, 5, v13
	s_and_b32 s63, s7, s4
	s_and_b32 s25, s5, s4
	v_cmp_eq_u32_e64 s5, 7, v13
	s_and_b32 s62, s6, s4
	v_cmp_eq_u32_e64 s6, 4, v13
	s_and_b32 s64, s8, s4
	v_cmp_gt_u32_e64 s7, 4, v13
	s_and_b32 s61, s5, s4
	v_cmp_gt_u32_e64 s5, 5, v13
	v_cmp_eq_u32_e64 s8, 3, v13
	v_dual_lshlrev_b32 v15, 9, v11 :: v_dual_lshlrev_b32 v57, 3, v13
	s_and_b32 s28, s6, s4
	s_and_b32 s26, s5, s4
	v_cmp_eq_u32_e64 s5, 2, v13
	v_cmp_gt_u32_e64 s6, 2, v13
	s_and_b32 s24, s9, s4
	v_cmp_gt_u32_e64 s9, 3, v13
	s_and_b32 s30, s7, s4
	s_and_b32 s33, s8, s4
	v_cmp_eq_u32_e64 s7, 1, v13
	v_cmp_eq_u32_e64 s8, 0, v13
	s_and_b32 s55, s5, s4
	v_cmp_eq_u32_e64 s5, 0, v42
	s_and_b32 s65, s14, s16
	v_cmp_gt_i32_e32 vcc_lo, s15, v2
	v_dual_sub_nc_u32 v56, 0, v15 :: v_dual_lshrrev_b32 v10, 5, v1
	s_and_b32 s56, s6, s4
	s_xor_b32 s6, s65, -1
	s_and_b32 s101, s9, s4
	s_and_b32 s57, s7, s4
	;; [unrolled: 1-line block ×4, first 2 shown]
	s_cmp_gt_i32 s98, 0
	v_cmp_gt_i32_e64 s0, s84, v6
	v_lshl_add_u32 v55, v11, 3, 0x8000
	v_dual_lshlrev_b32 v11, 9, v10 :: v_dual_bitop2_b32 v58, 31, v0 bitop3:0x40
	v_sub_nc_u32_e32 v59, v57, v15
	s_cselect_b32 s67, -1, 0
	s_and_b32 s6, s5, vcc_lo
	v_add_nc_u32_e32 v15, 0x50, v12
	v_cmp_gt_i32_e32 vcc_lo, s84, v14
	v_writelane_b32 v86, s6, 9
	v_add_nc_u32_e32 v16, 0x60, v12
	v_add_nc_u32_e32 v17, 0x70, v12
	v_cmp_gt_i32_e64 s6, s84, v15
	s_and_b32 s9, s0, vcc_lo
	v_cmp_le_i32_e32 vcc_lo, s15, v42
	v_writelane_b32 v86, s9, 10
	v_cmp_gt_i32_e64 s7, s84, v16
	s_and_b32 s6, s0, s6
	v_cmp_gt_i32_e64 s8, s84, v17
	v_lshl_add_u32 v60, v10, 3, 0x8000
	v_writelane_b32 v86, s6, 11
	s_and_b32 s6, s0, s7
	v_dual_sub_nc_u32 v61, 0, v11 :: v_dual_lshlrev_b32 v10, 9, v58
	v_lshlrev_b32_e32 v62, 3, v58
	v_writelane_b32 v86, s6, 12
	s_and_b32 s6, s0, s8
	v_cmp_le_u32_e64 s8, v42, v2
	v_dual_add_nc_u32 v71, v67, v45 :: v_dual_add_nc_u32 v33, 16, v42
	v_writelane_b32 v86, s6, 13
	s_movk_i32 s6, 0x3800
	v_dual_sub_nc_u32 v64, 0, v10 :: v_dual_sub_nc_u32 v65, v62, v11
	v_mad_u32_u24 v75, 0x208, v58, s6
	v_writelane_b32 v86, s8, 14
	s_or_b32 s6, vcc_lo, s14
	v_add_nc_u64_e32 v[10:11], s[10:11], v[4:5]
	s_or_b32 s6, s6, s8
	v_cmp_le_u32_e64 s11, v33, v2
	v_writelane_b32 v86, s6, 15
	v_cmp_le_i32_e64 s9, s15, v33
	v_dual_add_nc_u32 v34, 32, v42 :: v_dual_add_nc_u32 v35, 48, v42
	v_mul_u64_e32 v[10:11], s[78:79], v[10:11]
	v_writelane_b32 v86, s11, 16
	s_or_b32 s7, s9, s14
	s_delay_alu instid0(VALU_DEP_3)
	v_cmp_le_u32_e64 s16, v34, v2
	s_or_b32 s6, s7, s11
	v_cmp_le_i32_e32 vcc_lo, s15, v34
	v_writelane_b32 v86, s6, 17
	v_cmp_le_u32_e64 s8, v35, v2
	v_cmp_le_i32_e64 s10, s15, v35
	v_cmp_ne_u32_e64 s9, v2, v35
	s_or_b32 s6, vcc_lo, s14
	v_writelane_b32 v86, s16, 18
	s_or_b32 s6, s6, s16
	s_or_b32 s7, s10, s14
	v_mul_u64_e32 v[20:21], s[78:79], v[6:7]
	v_bitop3_b32 v0, v0, v32, 0x3ff bitop3:0xa8
	v_writelane_b32 v86, s6, 19
	s_or_b32 s6, s7, s8
	v_cmp_ne_u32_e64 s7, v2, v33
	v_mad_nc_u64_u32 v[12:13], s86, v42, v[18:19]
	v_mad_nc_u64_u32 v[14:15], s86, v33, v[18:19]
	v_writelane_b32 v86, s8, 20
	v_cmp_ne_u32_e64 s8, v2, v34
	v_mad_nc_u64_u32 v[16:17], s86, v34, v[18:19]
	v_mad_nc_u64_u32 v[18:19], s86, v35, v[18:19]
	v_or_b32_e32 v36, v33, v2
	v_writelane_b32 v86, s6, 21
	v_cmp_ne_u32_e64 s6, v2, v42
	v_or_b32_e32 v37, v34, v2
	v_or_b32_e32 v38, v35, v2
	v_mad_u32 v13, s87, v42, v13
	v_mad_u32 v15, s87, v33, v15
	v_writelane_b32 v86, s6, 22
	s_or_b32 s6, s14, s6
	v_mad_u32 v17, s87, v34, v17
	v_mad_u32 v19, s87, v35, v19
	v_cmp_lt_u32_e32 vcc_lo, 0x3ff, v1
	v_writelane_b32 v86, s6, 23
	s_or_b32 s6, s14, s7
	v_mul_u32_u24_e32 v63, 0x208, v58
	v_lshl_add_u32 v66, v4, 3, 0xa000
	v_lshl_add_u32 v68, v1, 3, 0x8000
	v_writelane_b32 v86, s7, 24
	v_add_nc_u32_e32 v69, 0x8000, v45
	v_lshl_add_u32 v70, v42, 9, v45
	v_lshl_add_u32 v72, v2, 9, v45
	;; [unrolled: 1-line block ×3, first 2 shown]
	v_writelane_b32 v86, s6, 25
	s_or_b32 s6, s14, s8
	v_lshl_add_u32 v74, v34, 9, v45
	v_lshl_add_u32 v76, v35, 9, v45
	v_add_nc_u32_e32 v77, 0x7800, v45
	v_writelane_b32 v86, s8, 26
	v_subrev_nc_u32_e32 v78, 63, v2
	v_cmp_gt_u32_e64 s15, 2, v1
	v_cmp_gt_u32_e64 s16, 12, v1
	;; [unrolled: 1-line block ×3, first 2 shown]
	v_writelane_b32 v86, s6, 27
	s_or_b32 s6, s14, s9
	v_cmp_eq_u32_e64 s14, 0, v0
	v_cmp_gt_u32_e64 s18, 56, v1
	v_cmp_gt_u32_e64 s19, 48, v1
	v_writelane_b32 v86, s9, 28
	v_cmp_gt_u32_e64 s20, 40, v1
	v_cmp_gt_u32_e64 s21, 32, v1
	;; [unrolled: 1-line block ×4, first 2 shown]
	v_writelane_b32 v86, s6, 29
	v_cmp_gt_u32_e64 s6, 0xf0, v1
	v_cmp_eq_u32_e64 s59, 0, v4
	v_cmp_gt_u32_e64 s60, 64, v4
	s_add_co_i32 s68, s68, 1
	s_xor_b32 s9, vcc_lo, -1
	v_writelane_b32 v86, s6, 30
	v_cmp_gt_u32_e64 s6, 0xe0, v1
	s_lshl_b64 s[90:91], s[86:87], 7
	s_lshl_b64 s[92:93], s[86:87], 8
	s_mul_u64 s[94:95], s[86:87], 0x180
	s_lshl_b64 s[82:83], s[82:83], 3
	v_writelane_b32 v86, s6, 31
	v_cmp_gt_u32_e64 s6, 0xd0, v1
	s_lshl_b64 s[76:77], s[76:77], 3
                                        ; implicit-def: $vgpr24_vgpr25
                                        ; implicit-def: $vgpr26_vgpr27
                                        ; implicit-def: $vgpr28_vgpr29
                                        ; implicit-def: $vgpr30_vgpr31
	v_writelane_b32 v85, s6, 0
	v_cmp_gt_u32_e64 s6, 0xc0, v1
	s_delay_alu instid0(VALU_DEP_1) | instskip(SKIP_1) | instid1(VALU_DEP_1)
	v_writelane_b32 v85, s6, 1
	v_cmp_gt_u32_e64 s6, 0xb0, v1
	v_writelane_b32 v85, s6, 2
	v_cmp_gt_u32_e64 s6, 0xa0, v1
	s_delay_alu instid0(VALU_DEP_1) | instskip(SKIP_1) | instid1(VALU_DEP_1)
	v_writelane_b32 v85, s6, 3
	v_cmp_gt_u32_e64 s6, 0x90, v1
	;; [unrolled: 5-line block ×15, first 2 shown]
	v_writelane_b32 v85, s6, 30
	v_cmp_gt_u32_e64 s6, 0x120, v1
	s_delay_alu instid0(VALU_DEP_1) | instskip(SKIP_1) | instid1(VALU_DEP_1)
	v_writelane_b32 v85, s6, 31
	v_cmp_le_u32_e64 s6, v2, v42
	v_writelane_b32 v84, s6, 0
	v_cmp_le_u32_e64 s6, v2, v33
	s_delay_alu instid0(VALU_DEP_1) | instskip(SKIP_1) | instid1(VALU_DEP_1)
	v_writelane_b32 v84, s6, 1
	v_cmp_le_u32_e64 s6, v2, v34
	v_writelane_b32 v84, s6, 2
	v_cmp_le_u32_e64 s6, v2, v35
	s_delay_alu instid0(VALU_DEP_1) | instskip(SKIP_1) | instid1(VALU_DEP_1)
	v_writelane_b32 v84, s6, 3
	v_cmp_gt_u32_e64 s6, 64, v0
	v_writelane_b32 v84, s6, 4
	v_cmp_gt_u32_e64 s6, 64, v36
	s_delay_alu instid0(VALU_DEP_1) | instskip(SKIP_1) | instid1(VALU_DEP_1)
	v_writelane_b32 v84, s6, 5
	v_cmp_gt_u32_e64 s6, 64, v37
	v_writelane_b32 v84, s6, 6
	v_cmp_gt_u32_e64 s6, 64, v38
	s_delay_alu instid0(VALU_DEP_1)
	v_writelane_b32 v84, s6, 7
	s_branch .LBB136_3
.LBB136_2:                              ;   in Loop: Header=BB136_3 Depth=1
	s_wait_xcnt 0x0
	s_or_b32 exec_lo, exec_lo, s6
	s_add_co_i32 s70, s70, 0x10000
	global_wb scope:SCOPE_DEV
	s_wait_storecnt 0x0
	global_inv scope:SCOPE_DEV
	s_cmp_lt_u32 s70, s69
	s_cbranch_scc0 .LBB136_1087
.LBB136_3:                              ; =>This Loop Header: Depth=1
                                        ;     Child Loop BB136_542 Depth 2
                                        ;     Child Loop BB136_959 Depth 2
                                        ;       Child Loop BB136_961 Depth 3
                                        ;     Child Loop BB136_999 Depth 2
	v_mov_b32_e32 v32, s70
	v_readlane_b32 s6, v86, 0
	s_clause 0x1
	global_load_b64 v[0:1], v32, s[80:81] scale_offset
	global_load_b64 v[32:33], v32, s[74:75] scale_offset
	s_and_not1_b32 vcc_lo, exec_lo, s6
	s_wait_loadcnt 0x1
	v_add_nc_u64_e32 v[0:1], s[82:83], v[0:1]
	s_cbranch_vccnz .LBB136_13
; %bb.4:                                ;   in Loop: Header=BB136_3 Depth=1
	s_delay_alu instid0(VALU_DEP_1)
	v_lshl_add_u64 v[28:29], v[8:9], 3, v[0:1]
	v_mov_b64_e32 v[26:27], 0
	v_mov_b64_e32 v[24:25], 0
	s_wait_loadcnt 0x0
	s_barrier_signal -1
	v_lshl_add_u64 v[34:35], v[6:7], 3, v[28:29]
	s_barrier_wait -1
	s_wait_xcnt 0x0
	s_mov_b32 s6, exec_lo
	v_readlane_b32 s7, v86, 10
	s_and_b32 s7, s6, s7
	s_delay_alu instid0(SALU_CYCLE_1)
	s_mov_b32 exec_lo, s7
	s_cbranch_execz .LBB136_6
; %bb.5:                                ;   in Loop: Header=BB136_3 Depth=1
	flat_load_b64 v[24:25], v[34:35]
.LBB136_6:                              ;   in Loop: Header=BB136_3 Depth=1
	s_wait_xcnt 0x0
	s_or_b32 exec_lo, exec_lo, s6
	s_wait_loadcnt_dscnt 0x0
	s_barrier_signal -1
	s_barrier_wait -1
	s_mov_b32 s6, exec_lo
	v_readlane_b32 s7, v86, 11
	s_and_b32 s7, s6, s7
	s_delay_alu instid0(SALU_CYCLE_1)
	s_mov_b32 exec_lo, s7
	s_cbranch_execz .LBB136_8
; %bb.7:                                ;   in Loop: Header=BB136_3 Depth=1
	v_add_nc_u64_e32 v[26:27], s[90:91], v[34:35]
	flat_load_b64 v[26:27], v[26:27]
.LBB136_8:                              ;   in Loop: Header=BB136_3 Depth=1
	s_wait_xcnt 0x0
	s_or_b32 exec_lo, exec_lo, s6
	v_mov_b64_e32 v[30:31], 0
	v_mov_b64_e32 v[28:29], 0
	s_wait_loadcnt_dscnt 0x0
	s_barrier_signal -1
	s_barrier_wait -1
	s_mov_b32 s6, exec_lo
	v_readlane_b32 s7, v86, 12
	s_and_b32 s7, s6, s7
	s_delay_alu instid0(SALU_CYCLE_1)
	s_mov_b32 exec_lo, s7
	s_cbranch_execz .LBB136_10
; %bb.9:                                ;   in Loop: Header=BB136_3 Depth=1
	v_add_nc_u64_e32 v[28:29], s[92:93], v[34:35]
	flat_load_b64 v[28:29], v[28:29]
.LBB136_10:                             ;   in Loop: Header=BB136_3 Depth=1
	s_wait_xcnt 0x0
	s_or_b32 exec_lo, exec_lo, s6
	s_wait_loadcnt_dscnt 0x0
	s_barrier_signal -1
	s_barrier_wait -1
	s_mov_b32 s6, exec_lo
	v_readlane_b32 s7, v86, 13
	s_and_b32 s7, s6, s7
	s_delay_alu instid0(SALU_CYCLE_1)
	s_mov_b32 exec_lo, s7
	s_cbranch_execz .LBB136_12
; %bb.11:                               ;   in Loop: Header=BB136_3 Depth=1
	v_add_nc_u64_e32 v[30:31], s[94:95], v[34:35]
	flat_load_b64 v[30:31], v[30:31]
.LBB136_12:                             ;   in Loop: Header=BB136_3 Depth=1
	s_wait_xcnt 0x0
	s_or_b32 exec_lo, exec_lo, s6
.LBB136_13:                             ;   in Loop: Header=BB136_3 Depth=1
	s_delay_alu instid0(SALU_CYCLE_1)
	s_and_not1_b32 vcc_lo, exec_lo, s100
	s_mov_b32 s6, -1
	s_cbranch_vccnz .LBB136_49
; %bb.14:                               ;   in Loop: Header=BB136_3 Depth=1
	s_mov_b32 s6, 0
                                        ; implicit-def: $vgpr34_vgpr35
	s_wait_xcnt 0x0
	s_mov_b32 s7, exec_lo
	v_readlane_b32 s8, v86, 14
	s_and_b32 s8, s7, s8
	s_delay_alu instid0(SALU_CYCLE_1)
	s_xor_b32 s10, s8, s7
	s_mov_b32 exec_lo, s8
	s_cbranch_execnz .LBB136_1021
; %bb.15:                               ;   in Loop: Header=BB136_3 Depth=1
	s_and_not1_saveexec_b32 s7, s10
	s_cbranch_execnz .LBB136_1026
.LBB136_16:                             ;   in Loop: Header=BB136_3 Depth=1
	s_or_b32 exec_lo, exec_lo, s7
	s_and_saveexec_b32 s7, s6
.LBB136_17:                             ;   in Loop: Header=BB136_3 Depth=1
	ds_store_b64 v70, v[34:35]
.LBB136_18:                             ;   in Loop: Header=BB136_3 Depth=1
	s_or_b32 exec_lo, exec_lo, s7
	s_delay_alu instid0(SALU_CYCLE_1) | instskip(SKIP_2) | instid1(SALU_CYCLE_1)
	s_mov_b32 s6, exec_lo
	v_readlane_b32 s7, v86, 16
	s_and_b32 s7, s6, s7
	s_xor_b32 s10, s7, s6
	s_mov_b32 exec_lo, s7
	s_cbranch_execz .LBB136_26
; %bb.19:                               ;   in Loop: Header=BB136_3 Depth=1
	s_mov_b32 s6, exec_lo
	v_readlane_b32 s7, v86, 24
	s_and_b32 s7, s6, s7
	s_delay_alu instid0(SALU_CYCLE_1)
	s_xor_b32 s6, s7, s6
	s_mov_b32 exec_lo, s7
	s_cbranch_execz .LBB136_23
; %bb.20:                               ;   in Loop: Header=BB136_3 Depth=1
	s_mov_b32 s7, exec_lo
	v_readlane_b32 s8, v84, 5
	s_and_b32 s8, s7, s8
	s_delay_alu instid0(SALU_CYCLE_1)
	s_mov_b32 exec_lo, s8
; %bb.21:                               ;   in Loop: Header=BB136_3 Depth=1
	ds_store_b64 v73, v[22:23]
; %bb.22:                               ;   in Loop: Header=BB136_3 Depth=1
	s_or_b32 exec_lo, exec_lo, s7
.LBB136_23:                             ;   in Loop: Header=BB136_3 Depth=1
	s_and_not1_saveexec_b32 s6, s6
	s_cbranch_execz .LBB136_25
; %bb.24:                               ;   in Loop: Header=BB136_3 Depth=1
	v_lshl_add_u64 v[34:35], v[14:15], 3, v[0:1]
	flat_load_b64 v[34:35], v[34:35]
	s_wait_loadcnt_dscnt 0x0
	v_div_scale_f64 v[36:37], null, v[34:35], v[34:35], 1.0
	s_delay_alu instid0(VALU_DEP_1) | instskip(SKIP_1) | instid1(TRANS32_DEP_1)
	v_rcp_f64_e32 v[38:39], v[36:37]
	v_nop
	v_fma_f64 v[40:41], -v[36:37], v[38:39], 1.0
	s_delay_alu instid0(VALU_DEP_1) | instskip(NEXT) | instid1(VALU_DEP_1)
	v_fmac_f64_e32 v[38:39], v[38:39], v[40:41]
	v_fma_f64 v[40:41], -v[36:37], v[38:39], 1.0
	s_delay_alu instid0(VALU_DEP_1) | instskip(SKIP_1) | instid1(VALU_DEP_1)
	v_fmac_f64_e32 v[38:39], v[38:39], v[40:41]
	v_div_scale_f64 v[40:41], vcc_lo, 1.0, v[34:35], 1.0
	v_mul_f64_e32 v[80:81], v[40:41], v[38:39]
	s_delay_alu instid0(VALU_DEP_1) | instskip(NEXT) | instid1(VALU_DEP_1)
	v_fma_f64 v[36:37], -v[36:37], v[80:81], v[40:41]
	v_div_fmas_f64 v[36:37], v[36:37], v[38:39], v[80:81]
	s_delay_alu instid0(VALU_DEP_1)
	v_div_fixup_f64 v[34:35], v[36:37], v[34:35], 1.0
	ds_store_b64 v73, v[34:35]
.LBB136_25:                             ;   in Loop: Header=BB136_3 Depth=1
	s_or_b32 exec_lo, exec_lo, s6
.LBB136_26:                             ;   in Loop: Header=BB136_3 Depth=1
	s_and_not1_saveexec_b32 s6, s10
	s_cbranch_execz .LBB136_28
; %bb.27:                               ;   in Loop: Header=BB136_3 Depth=1
	v_lshl_add_u64 v[34:35], v[14:15], 3, v[0:1]
	flat_load_b64 v[34:35], v[34:35]
	s_wait_loadcnt_dscnt 0x0
	v_xor_b32_e32 v35, 0x80000000, v35
	ds_store_b64 v73, v[34:35]
.LBB136_28:                             ;   in Loop: Header=BB136_3 Depth=1
	s_or_b32 exec_lo, exec_lo, s6
	s_delay_alu instid0(SALU_CYCLE_1) | instskip(SKIP_2) | instid1(SALU_CYCLE_1)
	s_mov_b32 s6, exec_lo
	v_readlane_b32 s7, v86, 18
	s_and_b32 s7, s6, s7
	s_xor_b32 s10, s7, s6
	s_mov_b32 exec_lo, s7
	s_cbranch_execz .LBB136_36
; %bb.29:                               ;   in Loop: Header=BB136_3 Depth=1
	s_mov_b32 s6, exec_lo
	v_readlane_b32 s7, v86, 26
	s_and_b32 s7, s6, s7
	s_delay_alu instid0(SALU_CYCLE_1)
	s_xor_b32 s6, s7, s6
	s_mov_b32 exec_lo, s7
	s_cbranch_execz .LBB136_33
; %bb.30:                               ;   in Loop: Header=BB136_3 Depth=1
	s_mov_b32 s7, exec_lo
	v_readlane_b32 s8, v84, 6
	s_and_b32 s8, s7, s8
	s_delay_alu instid0(SALU_CYCLE_1)
	s_mov_b32 exec_lo, s8
; %bb.31:                               ;   in Loop: Header=BB136_3 Depth=1
	ds_store_b64 v74, v[22:23]
; %bb.32:                               ;   in Loop: Header=BB136_3 Depth=1
	s_or_b32 exec_lo, exec_lo, s7
.LBB136_33:                             ;   in Loop: Header=BB136_3 Depth=1
	s_and_not1_saveexec_b32 s6, s6
	s_cbranch_execz .LBB136_35
; %bb.34:                               ;   in Loop: Header=BB136_3 Depth=1
	v_lshl_add_u64 v[34:35], v[16:17], 3, v[0:1]
	flat_load_b64 v[34:35], v[34:35]
	s_wait_loadcnt_dscnt 0x0
	v_div_scale_f64 v[36:37], null, v[34:35], v[34:35], 1.0
	s_delay_alu instid0(VALU_DEP_1) | instskip(SKIP_1) | instid1(TRANS32_DEP_1)
	v_rcp_f64_e32 v[38:39], v[36:37]
	v_nop
	v_fma_f64 v[40:41], -v[36:37], v[38:39], 1.0
	s_delay_alu instid0(VALU_DEP_1) | instskip(NEXT) | instid1(VALU_DEP_1)
	v_fmac_f64_e32 v[38:39], v[38:39], v[40:41]
	v_fma_f64 v[40:41], -v[36:37], v[38:39], 1.0
	s_delay_alu instid0(VALU_DEP_1) | instskip(SKIP_1) | instid1(VALU_DEP_1)
	v_fmac_f64_e32 v[38:39], v[38:39], v[40:41]
	v_div_scale_f64 v[40:41], vcc_lo, 1.0, v[34:35], 1.0
	v_mul_f64_e32 v[80:81], v[40:41], v[38:39]
	s_delay_alu instid0(VALU_DEP_1) | instskip(NEXT) | instid1(VALU_DEP_1)
	v_fma_f64 v[36:37], -v[36:37], v[80:81], v[40:41]
	v_div_fmas_f64 v[36:37], v[36:37], v[38:39], v[80:81]
	s_delay_alu instid0(VALU_DEP_1)
	v_div_fixup_f64 v[34:35], v[36:37], v[34:35], 1.0
	ds_store_b64 v74, v[34:35]
.LBB136_35:                             ;   in Loop: Header=BB136_3 Depth=1
	s_or_b32 exec_lo, exec_lo, s6
.LBB136_36:                             ;   in Loop: Header=BB136_3 Depth=1
	s_and_not1_saveexec_b32 s6, s10
	s_cbranch_execz .LBB136_38
; %bb.37:                               ;   in Loop: Header=BB136_3 Depth=1
	v_lshl_add_u64 v[34:35], v[16:17], 3, v[0:1]
	flat_load_b64 v[34:35], v[34:35]
	s_wait_loadcnt_dscnt 0x0
	v_xor_b32_e32 v35, 0x80000000, v35
	ds_store_b64 v74, v[34:35]
.LBB136_38:                             ;   in Loop: Header=BB136_3 Depth=1
	;; [unrolled: 63-line block ×3, first 2 shown]
	s_or_b32 exec_lo, exec_lo, s6
	s_mov_b32 s6, 0
.LBB136_49:                             ;   in Loop: Header=BB136_3 Depth=1
	s_delay_alu instid0(SALU_CYCLE_1)
	s_and_b32 vcc_lo, exec_lo, s6
	s_cbranch_vccz .LBB136_85
; %bb.50:                               ;   in Loop: Header=BB136_3 Depth=1
	s_mov_b32 s6, 0
                                        ; implicit-def: $vgpr34_vgpr35
	s_wait_xcnt 0x0
	s_mov_b32 s7, exec_lo
	v_readlane_b32 s8, v86, 15
	s_and_b32 s8, s7, s8
	s_delay_alu instid0(SALU_CYCLE_1)
	s_xor_b32 s10, s8, s7
	s_mov_b32 exec_lo, s8
	s_cbranch_execnz .LBB136_1027
; %bb.51:                               ;   in Loop: Header=BB136_3 Depth=1
	s_and_not1_saveexec_b32 s7, s10
	s_cbranch_execnz .LBB136_1032
.LBB136_52:                             ;   in Loop: Header=BB136_3 Depth=1
	s_or_b32 exec_lo, exec_lo, s7
	s_and_saveexec_b32 s7, s6
.LBB136_53:                             ;   in Loop: Header=BB136_3 Depth=1
	ds_store_b64 v70, v[34:35]
.LBB136_54:                             ;   in Loop: Header=BB136_3 Depth=1
	s_or_b32 exec_lo, exec_lo, s7
	s_delay_alu instid0(SALU_CYCLE_1) | instskip(SKIP_2) | instid1(SALU_CYCLE_1)
	s_mov_b32 s6, exec_lo
	v_readlane_b32 s7, v86, 17
	s_and_b32 s7, s6, s7
	s_xor_b32 s10, s7, s6
	s_mov_b32 exec_lo, s7
	s_cbranch_execz .LBB136_62
; %bb.55:                               ;   in Loop: Header=BB136_3 Depth=1
	s_mov_b32 s6, exec_lo
	v_readlane_b32 s7, v86, 25
	s_and_b32 s7, s6, s7
	s_delay_alu instid0(SALU_CYCLE_1)
	s_xor_b32 s6, s7, s6
	s_mov_b32 exec_lo, s7
	s_cbranch_execz .LBB136_59
; %bb.56:                               ;   in Loop: Header=BB136_3 Depth=1
	s_mov_b32 s7, exec_lo
	v_readlane_b32 s8, v84, 5
	s_and_b32 s8, s7, s8
	s_delay_alu instid0(SALU_CYCLE_1)
	s_mov_b32 exec_lo, s8
; %bb.57:                               ;   in Loop: Header=BB136_3 Depth=1
	ds_store_b64 v73, v[22:23]
; %bb.58:                               ;   in Loop: Header=BB136_3 Depth=1
	s_or_b32 exec_lo, exec_lo, s7
.LBB136_59:                             ;   in Loop: Header=BB136_3 Depth=1
	s_and_not1_saveexec_b32 s6, s6
	s_cbranch_execz .LBB136_61
; %bb.60:                               ;   in Loop: Header=BB136_3 Depth=1
	v_lshl_add_u64 v[34:35], v[14:15], 3, v[0:1]
	flat_load_b64 v[34:35], v[34:35]
	s_wait_loadcnt_dscnt 0x0
	v_div_scale_f64 v[36:37], null, v[34:35], v[34:35], 1.0
	s_delay_alu instid0(VALU_DEP_1) | instskip(SKIP_1) | instid1(TRANS32_DEP_1)
	v_rcp_f64_e32 v[38:39], v[36:37]
	v_nop
	v_fma_f64 v[40:41], -v[36:37], v[38:39], 1.0
	s_delay_alu instid0(VALU_DEP_1) | instskip(NEXT) | instid1(VALU_DEP_1)
	v_fmac_f64_e32 v[38:39], v[38:39], v[40:41]
	v_fma_f64 v[40:41], -v[36:37], v[38:39], 1.0
	s_delay_alu instid0(VALU_DEP_1) | instskip(SKIP_1) | instid1(VALU_DEP_1)
	v_fmac_f64_e32 v[38:39], v[38:39], v[40:41]
	v_div_scale_f64 v[40:41], vcc_lo, 1.0, v[34:35], 1.0
	v_mul_f64_e32 v[80:81], v[40:41], v[38:39]
	s_delay_alu instid0(VALU_DEP_1) | instskip(NEXT) | instid1(VALU_DEP_1)
	v_fma_f64 v[36:37], -v[36:37], v[80:81], v[40:41]
	v_div_fmas_f64 v[36:37], v[36:37], v[38:39], v[80:81]
	s_delay_alu instid0(VALU_DEP_1)
	v_div_fixup_f64 v[34:35], v[36:37], v[34:35], 1.0
	ds_store_b64 v73, v[34:35]
.LBB136_61:                             ;   in Loop: Header=BB136_3 Depth=1
	s_or_b32 exec_lo, exec_lo, s6
.LBB136_62:                             ;   in Loop: Header=BB136_3 Depth=1
	s_and_not1_saveexec_b32 s6, s10
	s_cbranch_execz .LBB136_64
; %bb.63:                               ;   in Loop: Header=BB136_3 Depth=1
	v_lshl_add_u64 v[34:35], v[14:15], 3, v[0:1]
	flat_load_b64 v[34:35], v[34:35]
	s_wait_loadcnt_dscnt 0x0
	v_xor_b32_e32 v35, 0x80000000, v35
	ds_store_b64 v73, v[34:35]
.LBB136_64:                             ;   in Loop: Header=BB136_3 Depth=1
	s_or_b32 exec_lo, exec_lo, s6
	s_delay_alu instid0(SALU_CYCLE_1) | instskip(SKIP_2) | instid1(SALU_CYCLE_1)
	s_mov_b32 s6, exec_lo
	v_readlane_b32 s7, v86, 19
	s_and_b32 s7, s6, s7
	s_xor_b32 s10, s7, s6
	s_mov_b32 exec_lo, s7
	s_cbranch_execz .LBB136_72
; %bb.65:                               ;   in Loop: Header=BB136_3 Depth=1
	s_mov_b32 s6, exec_lo
	v_readlane_b32 s7, v86, 27
	s_and_b32 s7, s6, s7
	s_delay_alu instid0(SALU_CYCLE_1)
	s_xor_b32 s6, s7, s6
	s_mov_b32 exec_lo, s7
	s_cbranch_execz .LBB136_69
; %bb.66:                               ;   in Loop: Header=BB136_3 Depth=1
	s_mov_b32 s7, exec_lo
	v_readlane_b32 s8, v84, 6
	s_and_b32 s8, s7, s8
	s_delay_alu instid0(SALU_CYCLE_1)
	s_mov_b32 exec_lo, s8
; %bb.67:                               ;   in Loop: Header=BB136_3 Depth=1
	ds_store_b64 v74, v[22:23]
; %bb.68:                               ;   in Loop: Header=BB136_3 Depth=1
	s_or_b32 exec_lo, exec_lo, s7
.LBB136_69:                             ;   in Loop: Header=BB136_3 Depth=1
	s_and_not1_saveexec_b32 s6, s6
	s_cbranch_execz .LBB136_71
; %bb.70:                               ;   in Loop: Header=BB136_3 Depth=1
	v_lshl_add_u64 v[34:35], v[16:17], 3, v[0:1]
	flat_load_b64 v[34:35], v[34:35]
	s_wait_loadcnt_dscnt 0x0
	v_div_scale_f64 v[36:37], null, v[34:35], v[34:35], 1.0
	s_delay_alu instid0(VALU_DEP_1) | instskip(SKIP_1) | instid1(TRANS32_DEP_1)
	v_rcp_f64_e32 v[38:39], v[36:37]
	v_nop
	v_fma_f64 v[40:41], -v[36:37], v[38:39], 1.0
	s_delay_alu instid0(VALU_DEP_1) | instskip(NEXT) | instid1(VALU_DEP_1)
	v_fmac_f64_e32 v[38:39], v[38:39], v[40:41]
	v_fma_f64 v[40:41], -v[36:37], v[38:39], 1.0
	s_delay_alu instid0(VALU_DEP_1) | instskip(SKIP_1) | instid1(VALU_DEP_1)
	v_fmac_f64_e32 v[38:39], v[38:39], v[40:41]
	v_div_scale_f64 v[40:41], vcc_lo, 1.0, v[34:35], 1.0
	v_mul_f64_e32 v[80:81], v[40:41], v[38:39]
	s_delay_alu instid0(VALU_DEP_1) | instskip(NEXT) | instid1(VALU_DEP_1)
	v_fma_f64 v[36:37], -v[36:37], v[80:81], v[40:41]
	v_div_fmas_f64 v[36:37], v[36:37], v[38:39], v[80:81]
	s_delay_alu instid0(VALU_DEP_1)
	v_div_fixup_f64 v[34:35], v[36:37], v[34:35], 1.0
	ds_store_b64 v74, v[34:35]
.LBB136_71:                             ;   in Loop: Header=BB136_3 Depth=1
	s_or_b32 exec_lo, exec_lo, s6
.LBB136_72:                             ;   in Loop: Header=BB136_3 Depth=1
	s_and_not1_saveexec_b32 s6, s10
	s_cbranch_execz .LBB136_74
; %bb.73:                               ;   in Loop: Header=BB136_3 Depth=1
	v_lshl_add_u64 v[34:35], v[16:17], 3, v[0:1]
	flat_load_b64 v[34:35], v[34:35]
	s_wait_loadcnt_dscnt 0x0
	v_xor_b32_e32 v35, 0x80000000, v35
	ds_store_b64 v74, v[34:35]
.LBB136_74:                             ;   in Loop: Header=BB136_3 Depth=1
	;; [unrolled: 63-line block ×3, first 2 shown]
	s_or_b32 exec_lo, exec_lo, s6
.LBB136_85:                             ;   in Loop: Header=BB136_3 Depth=1
	s_delay_alu instid0(SALU_CYCLE_1)
	s_and_not1_b32 vcc_lo, exec_lo, s102
	s_wait_loadcnt_dscnt 0x0
	s_barrier_signal -1
	s_barrier_wait -1
	s_cbranch_vccnz .LBB136_953
; %bb.86:                               ;   in Loop: Header=BB136_3 Depth=1
	s_and_saveexec_b32 s6, s14
	s_cbranch_execz .LBB136_88
; %bb.87:                               ;   in Loop: Header=BB136_3 Depth=1
	ds_load_b128 v[34:37], v5 offset:32752
	ds_load_b64 v[38:39], v5 offset:32240
	s_wait_dscnt 0x0
	v_mul_f64_e32 v[36:37], v[38:39], v[36:37]
	s_delay_alu instid0(VALU_DEP_1)
	v_mul_f64_e32 v[34:35], v[34:35], v[36:37]
	ds_store_b64 v5, v[34:35] offset:32752
.LBB136_88:                             ;   in Loop: Header=BB136_3 Depth=1
	s_or_b32 exec_lo, exec_lo, s6
	v_mov_b64_e32 v[34:35], 0
	s_wait_dscnt 0x0
	s_barrier_signal -1
	s_barrier_wait -1
	global_wb scope:SCOPE_DEV
	s_wait_storecnt 0x0
	global_inv scope:SCOPE_DEV
	s_and_saveexec_b32 s6, s1
	s_cbranch_execz .LBB136_92
; %bb.89:                               ;   in Loop: Header=BB136_3 Depth=1
	ds_load_b64 v[34:35], v44 offset:32224
	ds_load_b64 v[36:37], v43 offset:32752
	s_wait_dscnt 0x0
	v_fma_f64 v[34:35], v[34:35], v[36:37], 0
	s_and_saveexec_b32 s7, s15
	s_cbranch_execz .LBB136_91
; %bb.90:                               ;   in Loop: Header=BB136_3 Depth=1
	ds_load_b64 v[36:37], v45 offset:32736
	ds_load_b64 v[38:39], v5 offset:32760
	s_wait_dscnt 0x0
	v_fmac_f64_e32 v[34:35], v[36:37], v[38:39]
.LBB136_91:                             ;   in Loop: Header=BB136_3 Depth=1
	s_or_b32 exec_lo, exec_lo, s7
.LBB136_92:                             ;   in Loop: Header=BB136_3 Depth=1
	s_delay_alu instid0(SALU_CYCLE_1)
	s_or_b32 exec_lo, exec_lo, s6
	s_and_saveexec_b32 s6, s103
	s_cbranch_execz .LBB136_94
; %bb.93:                               ;   in Loop: Header=BB136_3 Depth=1
	ds_load_b64 v[36:37], v5 offset:31720
	s_wait_dscnt 0x0
	v_mul_f64_e32 v[34:35], v[34:35], v[36:37]
	s_delay_alu instid0(VALU_DEP_1) | instskip(NEXT) | instid1(VALU_DEP_2)
	v_xor_b32_e32 v37, 0x80000000, v35
	v_mov_b32_e32 v36, v34
	ds_store_b64 v3, v[36:37]
.LBB136_94:                             ;   in Loop: Header=BB136_3 Depth=1
	s_or_b32 exec_lo, exec_lo, s6
	s_wait_loadcnt_dscnt 0x0
	s_barrier_signal -1
	s_barrier_wait -1
	s_and_saveexec_b32 s6, s104
	s_cbranch_execz .LBB136_96
; %bb.95:                               ;   in Loop: Header=BB136_3 Depth=1
	ds_load_b64 v[36:37], v5 offset:31712
	ds_load_b64 v[38:39], v3
	s_wait_dscnt 0x0
	v_fma_f64 v[34:35], -v[36:37], v[38:39], v[34:35]
.LBB136_96:                             ;   in Loop: Header=BB136_3 Depth=1
	s_or_b32 exec_lo, exec_lo, s6
	s_barrier_signal -1
	s_barrier_wait -1
	s_and_saveexec_b32 s6, s104
	s_cbranch_execz .LBB136_98
; %bb.97:                               ;   in Loop: Header=BB136_3 Depth=1
	ds_load_b64 v[36:37], v5 offset:31200
	s_wait_dscnt 0x0
	v_mul_f64_e32 v[34:35], v[34:35], v[36:37]
	s_delay_alu instid0(VALU_DEP_1) | instskip(NEXT) | instid1(VALU_DEP_2)
	v_xor_b32_e32 v37, 0x80000000, v35
	v_mov_b32_e32 v36, v34
	ds_store_b64 v3, v[36:37]
.LBB136_98:                             ;   in Loop: Header=BB136_3 Depth=1
	s_or_b32 exec_lo, exec_lo, s6
	s_wait_dscnt 0x0
	s_barrier_signal -1
	s_barrier_wait -1
	s_barrier_signal -1
	s_barrier_wait -1
	s_and_saveexec_b32 s6, s1
; %bb.99:                               ;   in Loop: Header=BB136_3 Depth=1
	ds_store_b64 v46, v[34:35] offset:32736
; %bb.100:                              ;   in Loop: Header=BB136_3 Depth=1
	s_or_b32 exec_lo, exec_lo, s6
	s_wait_dscnt 0x0
	s_barrier_signal -1
	s_barrier_wait -1
	s_barrier_signal -1
	s_barrier_wait -1
	s_and_saveexec_b32 s6, s14
	s_cbranch_execz .LBB136_102
; %bb.101:                              ;   in Loop: Header=BB136_3 Depth=1
	ds_load_b128 v[34:37], v5 offset:31712
	ds_load_b64 v[38:39], v5 offset:31200
	s_wait_dscnt 0x0
	v_mul_f64_e32 v[36:37], v[38:39], v[36:37]
	s_delay_alu instid0(VALU_DEP_1)
	v_mul_f64_e32 v[34:35], v[34:35], v[36:37]
	ds_store_b64 v5, v[34:35] offset:31712
.LBB136_102:                            ;   in Loop: Header=BB136_3 Depth=1
	s_or_b32 exec_lo, exec_lo, s6
	v_mov_b64_e32 v[34:35], 0
	s_wait_dscnt 0x0
	s_barrier_signal -1
	s_barrier_wait -1
	global_wb scope:SCOPE_DEV
	s_wait_storecnt 0x0
	global_inv scope:SCOPE_DEV
	s_and_saveexec_b32 s10, s2
	s_cbranch_execz .LBB136_108
; %bb.103:                              ;   in Loop: Header=BB136_3 Depth=1
	ds_load_b64 v[34:35], v49 offset:31168
	ds_load_b64 v[36:37], v48 offset:32736
	s_wait_dscnt 0x0
	v_fma_f64 v[34:35], v[34:35], v[36:37], 0
	s_and_saveexec_b32 s6, s16
	s_cbranch_execnz .LBB136_1037
; %bb.104:                              ;   in Loop: Header=BB136_3 Depth=1
	s_or_b32 exec_lo, exec_lo, s6
	s_and_saveexec_b32 s6, s17
	s_cbranch_execnz .LBB136_1038
.LBB136_105:                            ;   in Loop: Header=BB136_3 Depth=1
	s_or_b32 exec_lo, exec_lo, s6
	s_and_saveexec_b32 s6, s1
	s_cbranch_execz .LBB136_107
.LBB136_106:                            ;   in Loop: Header=BB136_3 Depth=1
	ds_load_b64 v[36:37], v45 offset:32704
	ds_load_b64 v[38:39], v5 offset:32760
	s_wait_dscnt 0x0
	v_fmac_f64_e32 v[34:35], v[36:37], v[38:39]
.LBB136_107:                            ;   in Loop: Header=BB136_3 Depth=1
	s_or_b32 exec_lo, exec_lo, s6
.LBB136_108:                            ;   in Loop: Header=BB136_3 Depth=1
	s_delay_alu instid0(SALU_CYCLE_1)
	s_or_b32 exec_lo, exec_lo, s10
	s_and_saveexec_b32 s6, vcc_hi
	s_cbranch_execz .LBB136_110
; %bb.109:                              ;   in Loop: Header=BB136_3 Depth=1
	ds_load_b64 v[36:37], v5 offset:30680
	s_wait_dscnt 0x0
	v_mul_f64_e32 v[34:35], v[34:35], v[36:37]
	s_delay_alu instid0(VALU_DEP_1) | instskip(NEXT) | instid1(VALU_DEP_2)
	v_xor_b32_e32 v37, 0x80000000, v35
	v_mov_b32_e32 v36, v34
	ds_store_b64 v47, v[36:37]
.LBB136_110:                            ;   in Loop: Header=BB136_3 Depth=1
	s_or_b32 exec_lo, exec_lo, s6
	s_wait_loadcnt_dscnt 0x0
	s_barrier_signal -1
	s_barrier_wait -1
	s_and_saveexec_b32 s6, s36
	s_cbranch_execz .LBB136_112
; %bb.111:                              ;   in Loop: Header=BB136_3 Depth=1
	ds_load_b64 v[36:37], v49 offset:30656
	ds_load_b64 v[38:39], v47
	s_wait_dscnt 0x0
	v_fma_f64 v[34:35], -v[36:37], v[38:39], v[34:35]
.LBB136_112:                            ;   in Loop: Header=BB136_3 Depth=1
	s_or_b32 exec_lo, exec_lo, s6
	s_barrier_signal -1
	s_barrier_wait -1
	s_and_saveexec_b32 s6, s37
	s_cbranch_execz .LBB136_114
; %bb.113:                              ;   in Loop: Header=BB136_3 Depth=1
	ds_load_b64 v[36:37], v5 offset:30160
	s_wait_dscnt 0x0
	v_mul_f64_e32 v[34:35], v[34:35], v[36:37]
	s_delay_alu instid0(VALU_DEP_1) | instskip(NEXT) | instid1(VALU_DEP_2)
	v_xor_b32_e32 v37, 0x80000000, v35
	v_mov_b32_e32 v36, v34
	ds_store_b64 v47, v[36:37]
.LBB136_114:                            ;   in Loop: Header=BB136_3 Depth=1
	s_or_b32 exec_lo, exec_lo, s6
	s_wait_dscnt 0x0
	s_barrier_signal -1
	s_barrier_wait -1
	s_and_saveexec_b32 s6, s38
	s_cbranch_execz .LBB136_116
; %bb.115:                              ;   in Loop: Header=BB136_3 Depth=1
	ds_load_b64 v[36:37], v49 offset:30144
	ds_load_b64 v[38:39], v47
	s_wait_dscnt 0x0
	v_fma_f64 v[34:35], -v[36:37], v[38:39], v[34:35]
.LBB136_116:                            ;   in Loop: Header=BB136_3 Depth=1
	s_or_b32 exec_lo, exec_lo, s6
	s_barrier_signal -1
	s_barrier_wait -1
	s_and_saveexec_b32 s6, s39
	s_cbranch_execz .LBB136_118
; %bb.117:                              ;   in Loop: Header=BB136_3 Depth=1
	ds_load_b64 v[36:37], v5 offset:29640
	s_wait_dscnt 0x0
	v_mul_f64_e32 v[34:35], v[34:35], v[36:37]
	s_delay_alu instid0(VALU_DEP_1) | instskip(NEXT) | instid1(VALU_DEP_2)
	v_xor_b32_e32 v37, 0x80000000, v35
	v_mov_b32_e32 v36, v34
	ds_store_b64 v47, v[36:37]
.LBB136_118:                            ;   in Loop: Header=BB136_3 Depth=1
	s_or_b32 exec_lo, exec_lo, s6
	s_wait_dscnt 0x0
	s_barrier_signal -1
	s_barrier_wait -1
	s_and_saveexec_b32 s6, s40
	s_cbranch_execz .LBB136_120
; %bb.119:                              ;   in Loop: Header=BB136_3 Depth=1
	ds_load_b64 v[36:37], v5 offset:29632
	ds_load_b64 v[38:39], v47
	s_wait_dscnt 0x0
	v_fma_f64 v[34:35], -v[36:37], v[38:39], v[34:35]
.LBB136_120:                            ;   in Loop: Header=BB136_3 Depth=1
	s_or_b32 exec_lo, exec_lo, s6
	s_barrier_signal -1
	s_barrier_wait -1
	s_and_saveexec_b32 s6, s40
	s_cbranch_execz .LBB136_122
; %bb.121:                              ;   in Loop: Header=BB136_3 Depth=1
	ds_load_b64 v[36:37], v5 offset:29120
	s_wait_dscnt 0x0
	v_mul_f64_e32 v[34:35], v[34:35], v[36:37]
	s_delay_alu instid0(VALU_DEP_1) | instskip(NEXT) | instid1(VALU_DEP_2)
	v_xor_b32_e32 v37, 0x80000000, v35
	v_mov_b32_e32 v36, v34
	ds_store_b64 v47, v[36:37]
.LBB136_122:                            ;   in Loop: Header=BB136_3 Depth=1
	s_or_b32 exec_lo, exec_lo, s6
	s_wait_dscnt 0x0
	s_barrier_signal -1
	s_barrier_wait -1
	s_barrier_signal -1
	s_barrier_wait -1
	s_and_saveexec_b32 s6, s2
; %bb.123:                              ;   in Loop: Header=BB136_3 Depth=1
	ds_store_b64 v50, v[34:35] offset:32704
; %bb.124:                              ;   in Loop: Header=BB136_3 Depth=1
	s_or_b32 exec_lo, exec_lo, s6
	s_wait_dscnt 0x0
	s_barrier_signal -1
	s_barrier_wait -1
	s_barrier_signal -1
	s_barrier_wait -1
	s_and_saveexec_b32 s6, s14
	s_cbranch_execz .LBB136_126
; %bb.125:                              ;   in Loop: Header=BB136_3 Depth=1
	ds_load_b128 v[34:37], v5 offset:30672
	ds_load_b64 v[38:39], v5 offset:30160
	s_wait_dscnt 0x0
	v_mul_f64_e32 v[36:37], v[38:39], v[36:37]
	s_delay_alu instid0(VALU_DEP_1)
	v_mul_f64_e32 v[34:35], v[34:35], v[36:37]
	ds_store_b64 v5, v[34:35] offset:30672
.LBB136_126:                            ;   in Loop: Header=BB136_3 Depth=1
	s_or_b32 exec_lo, exec_lo, s6
	v_mov_b64_e32 v[34:35], 0
	s_wait_dscnt 0x0
	s_barrier_signal -1
	s_barrier_wait -1
	global_wb scope:SCOPE_DEV
	s_wait_storecnt 0x0
	global_inv scope:SCOPE_DEV
	s_and_saveexec_b32 s6, s1
	s_cbranch_execz .LBB136_130
; %bb.127:                              ;   in Loop: Header=BB136_3 Depth=1
	ds_load_b64 v[34:35], v44 offset:30144
	ds_load_b64 v[36:37], v43 offset:30672
	s_wait_dscnt 0x0
	v_fma_f64 v[34:35], v[34:35], v[36:37], 0
	s_and_saveexec_b32 s7, s15
	s_cbranch_execz .LBB136_129
; %bb.128:                              ;   in Loop: Header=BB136_3 Depth=1
	ds_load_b64 v[36:37], v45 offset:30656
	ds_load_b64 v[38:39], v5 offset:30680
	s_wait_dscnt 0x0
	v_fmac_f64_e32 v[34:35], v[36:37], v[38:39]
.LBB136_129:                            ;   in Loop: Header=BB136_3 Depth=1
	s_or_b32 exec_lo, exec_lo, s7
.LBB136_130:                            ;   in Loop: Header=BB136_3 Depth=1
	s_delay_alu instid0(SALU_CYCLE_1)
	s_or_b32 exec_lo, exec_lo, s6
	s_and_saveexec_b32 s6, s103
	s_cbranch_execz .LBB136_132
; %bb.131:                              ;   in Loop: Header=BB136_3 Depth=1
	ds_load_b64 v[36:37], v5 offset:29640
	s_wait_dscnt 0x0
	v_mul_f64_e32 v[34:35], v[34:35], v[36:37]
	s_delay_alu instid0(VALU_DEP_1) | instskip(NEXT) | instid1(VALU_DEP_2)
	v_xor_b32_e32 v37, 0x80000000, v35
	v_mov_b32_e32 v36, v34
	ds_store_b64 v3, v[36:37]
.LBB136_132:                            ;   in Loop: Header=BB136_3 Depth=1
	s_or_b32 exec_lo, exec_lo, s6
	s_wait_loadcnt_dscnt 0x0
	s_barrier_signal -1
	s_barrier_wait -1
	s_and_saveexec_b32 s6, s104
	s_cbranch_execz .LBB136_134
; %bb.133:                              ;   in Loop: Header=BB136_3 Depth=1
	ds_load_b64 v[36:37], v5 offset:29632
	ds_load_b64 v[38:39], v3
	s_wait_dscnt 0x0
	v_fma_f64 v[34:35], -v[36:37], v[38:39], v[34:35]
.LBB136_134:                            ;   in Loop: Header=BB136_3 Depth=1
	s_or_b32 exec_lo, exec_lo, s6
	s_barrier_signal -1
	s_barrier_wait -1
	s_and_saveexec_b32 s6, s104
	s_cbranch_execz .LBB136_136
; %bb.135:                              ;   in Loop: Header=BB136_3 Depth=1
	ds_load_b64 v[36:37], v5 offset:29120
	s_wait_dscnt 0x0
	v_mul_f64_e32 v[34:35], v[34:35], v[36:37]
	s_delay_alu instid0(VALU_DEP_1) | instskip(NEXT) | instid1(VALU_DEP_2)
	v_xor_b32_e32 v37, 0x80000000, v35
	v_mov_b32_e32 v36, v34
	ds_store_b64 v3, v[36:37]
.LBB136_136:                            ;   in Loop: Header=BB136_3 Depth=1
	s_or_b32 exec_lo, exec_lo, s6
	s_wait_dscnt 0x0
	s_barrier_signal -1
	s_barrier_wait -1
	s_barrier_signal -1
	s_barrier_wait -1
	s_and_saveexec_b32 s6, s1
; %bb.137:                              ;   in Loop: Header=BB136_3 Depth=1
	ds_store_b64 v46, v[34:35] offset:30656
; %bb.138:                              ;   in Loop: Header=BB136_3 Depth=1
	s_or_b32 exec_lo, exec_lo, s6
	s_wait_dscnt 0x0
	s_barrier_signal -1
	s_barrier_wait -1
	s_barrier_signal -1
	s_barrier_wait -1
	s_and_saveexec_b32 s6, s14
	s_cbranch_execz .LBB136_140
; %bb.139:                              ;   in Loop: Header=BB136_3 Depth=1
	ds_load_b128 v[34:37], v5 offset:29632
	ds_load_b64 v[38:39], v5 offset:29120
	s_wait_dscnt 0x0
	v_mul_f64_e32 v[36:37], v[38:39], v[36:37]
	s_delay_alu instid0(VALU_DEP_1)
	v_mul_f64_e32 v[34:35], v[34:35], v[36:37]
	ds_store_b64 v5, v[34:35] offset:29632
.LBB136_140:                            ;   in Loop: Header=BB136_3 Depth=1
	s_or_b32 exec_lo, exec_lo, s6
	v_mov_b64_e32 v[34:35], 0
	s_wait_dscnt 0x0
	s_barrier_signal -1
	s_barrier_wait -1
	global_wb scope:SCOPE_DEV
	s_wait_storecnt 0x0
	global_inv scope:SCOPE_DEV
	s_and_saveexec_b32 s10, s3
	s_cbranch_execz .LBB136_150
; %bb.141:                              ;   in Loop: Header=BB136_3 Depth=1
	ds_load_b64 v[34:35], v53 offset:29056
	ds_load_b64 v[36:37], v52 offset:32704
	s_wait_dscnt 0x0
	v_fma_f64 v[34:35], v[34:35], v[36:37], 0
	s_and_saveexec_b32 s6, s18
	s_cbranch_execnz .LBB136_1039
; %bb.142:                              ;   in Loop: Header=BB136_3 Depth=1
	s_or_b32 exec_lo, exec_lo, s6
	s_and_saveexec_b32 s6, s19
	s_cbranch_execnz .LBB136_1040
.LBB136_143:                            ;   in Loop: Header=BB136_3 Depth=1
	s_or_b32 exec_lo, exec_lo, s6
	s_and_saveexec_b32 s6, s20
	s_cbranch_execnz .LBB136_1041
.LBB136_144:                            ;   in Loop: Header=BB136_3 Depth=1
	s_or_b32 exec_lo, exec_lo, s6
	s_and_saveexec_b32 s6, s21
	s_cbranch_execnz .LBB136_1042
.LBB136_145:                            ;   in Loop: Header=BB136_3 Depth=1
	s_or_b32 exec_lo, exec_lo, s6
	s_and_saveexec_b32 s6, s22
	s_cbranch_execnz .LBB136_1043
.LBB136_146:                            ;   in Loop: Header=BB136_3 Depth=1
	s_or_b32 exec_lo, exec_lo, s6
	s_and_saveexec_b32 s6, s2
	s_cbranch_execnz .LBB136_1044
.LBB136_147:                            ;   in Loop: Header=BB136_3 Depth=1
	s_or_b32 exec_lo, exec_lo, s6
	s_and_saveexec_b32 s6, s17
	s_cbranch_execz .LBB136_149
.LBB136_148:                            ;   in Loop: Header=BB136_3 Depth=1
	ds_load_b64 v[36:37], v45 offset:32640
	ds_load_b64 v[38:39], v5 offset:32760
	s_wait_dscnt 0x0
	v_fmac_f64_e32 v[34:35], v[36:37], v[38:39]
.LBB136_149:                            ;   in Loop: Header=BB136_3 Depth=1
	s_or_b32 exec_lo, exec_lo, s6
.LBB136_150:                            ;   in Loop: Header=BB136_3 Depth=1
	s_delay_alu instid0(SALU_CYCLE_1)
	s_or_b32 exec_lo, exec_lo, s10
	s_and_saveexec_b32 s6, s41
	s_cbranch_execz .LBB136_152
; %bb.151:                              ;   in Loop: Header=BB136_3 Depth=1
	ds_load_b64 v[36:37], v5 offset:28600
	s_wait_dscnt 0x0
	v_mul_f64_e32 v[34:35], v[34:35], v[36:37]
	s_delay_alu instid0(VALU_DEP_1) | instskip(NEXT) | instid1(VALU_DEP_2)
	v_xor_b32_e32 v37, 0x80000000, v35
	v_mov_b32_e32 v36, v34
	ds_store_b64 v51, v[36:37]
.LBB136_152:                            ;   in Loop: Header=BB136_3 Depth=1
	s_or_b32 exec_lo, exec_lo, s6
	s_wait_loadcnt_dscnt 0x0
	s_barrier_signal -1
	s_barrier_wait -1
	s_and_saveexec_b32 s6, s42
	s_cbranch_execz .LBB136_154
; %bb.153:                              ;   in Loop: Header=BB136_3 Depth=1
	ds_load_b64 v[36:37], v53 offset:28544
	ds_load_b64 v[38:39], v51
	s_wait_dscnt 0x0
	v_fma_f64 v[34:35], -v[36:37], v[38:39], v[34:35]
.LBB136_154:                            ;   in Loop: Header=BB136_3 Depth=1
	s_or_b32 exec_lo, exec_lo, s6
	s_barrier_signal -1
	s_barrier_wait -1
	s_and_saveexec_b32 s6, s43
	s_cbranch_execz .LBB136_156
; %bb.155:                              ;   in Loop: Header=BB136_3 Depth=1
	ds_load_b64 v[36:37], v5 offset:28080
	s_wait_dscnt 0x0
	v_mul_f64_e32 v[34:35], v[34:35], v[36:37]
	s_delay_alu instid0(VALU_DEP_1) | instskip(NEXT) | instid1(VALU_DEP_2)
	v_xor_b32_e32 v37, 0x80000000, v35
	v_mov_b32_e32 v36, v34
	ds_store_b64 v51, v[36:37]
.LBB136_156:                            ;   in Loop: Header=BB136_3 Depth=1
	s_or_b32 exec_lo, exec_lo, s6
	s_wait_dscnt 0x0
	s_barrier_signal -1
	s_barrier_wait -1
	s_and_saveexec_b32 s6, s44
	s_cbranch_execz .LBB136_158
; %bb.157:                              ;   in Loop: Header=BB136_3 Depth=1
	ds_load_b64 v[36:37], v53 offset:28032
	ds_load_b64 v[38:39], v51
	s_wait_dscnt 0x0
	v_fma_f64 v[34:35], -v[36:37], v[38:39], v[34:35]
.LBB136_158:                            ;   in Loop: Header=BB136_3 Depth=1
	s_or_b32 exec_lo, exec_lo, s6
	s_barrier_signal -1
	s_barrier_wait -1
	s_and_saveexec_b32 s6, s45
	s_cbranch_execz .LBB136_160
; %bb.159:                              ;   in Loop: Header=BB136_3 Depth=1
	ds_load_b64 v[36:37], v5 offset:27560
	s_wait_dscnt 0x0
	v_mul_f64_e32 v[34:35], v[34:35], v[36:37]
	s_delay_alu instid0(VALU_DEP_1) | instskip(NEXT) | instid1(VALU_DEP_2)
	v_xor_b32_e32 v37, 0x80000000, v35
	v_mov_b32_e32 v36, v34
	ds_store_b64 v51, v[36:37]
.LBB136_160:                            ;   in Loop: Header=BB136_3 Depth=1
	s_or_b32 exec_lo, exec_lo, s6
	s_wait_dscnt 0x0
	;; [unrolled: 26-line block ×7, first 2 shown]
	s_barrier_signal -1
	s_barrier_wait -1
	s_barrier_signal -1
	s_barrier_wait -1
	s_and_saveexec_b32 s6, s3
; %bb.181:                              ;   in Loop: Header=BB136_3 Depth=1
	ds_store_b64 v54, v[34:35] offset:32640
; %bb.182:                              ;   in Loop: Header=BB136_3 Depth=1
	s_or_b32 exec_lo, exec_lo, s6
	s_wait_dscnt 0x0
	s_barrier_signal -1
	s_barrier_wait -1
	s_barrier_signal -1
	s_barrier_wait -1
	s_and_saveexec_b32 s6, s14
	s_cbranch_execz .LBB136_184
; %bb.183:                              ;   in Loop: Header=BB136_3 Depth=1
	ds_load_b128 v[34:37], v5 offset:28592
	ds_load_b64 v[38:39], v5 offset:28080
	s_wait_dscnt 0x0
	v_mul_f64_e32 v[36:37], v[38:39], v[36:37]
	s_delay_alu instid0(VALU_DEP_1)
	v_mul_f64_e32 v[34:35], v[34:35], v[36:37]
	ds_store_b64 v5, v[34:35] offset:28592
.LBB136_184:                            ;   in Loop: Header=BB136_3 Depth=1
	s_or_b32 exec_lo, exec_lo, s6
	v_mov_b64_e32 v[34:35], 0
	s_wait_dscnt 0x0
	s_barrier_signal -1
	s_barrier_wait -1
	global_wb scope:SCOPE_DEV
	s_wait_storecnt 0x0
	global_inv scope:SCOPE_DEV
	s_and_saveexec_b32 s6, s1
	s_cbranch_execz .LBB136_188
; %bb.185:                              ;   in Loop: Header=BB136_3 Depth=1
	ds_load_b64 v[34:35], v44 offset:28064
	ds_load_b64 v[36:37], v43 offset:28592
	s_wait_dscnt 0x0
	v_fma_f64 v[34:35], v[34:35], v[36:37], 0
	s_and_saveexec_b32 s7, s15
	s_cbranch_execz .LBB136_187
; %bb.186:                              ;   in Loop: Header=BB136_3 Depth=1
	ds_load_b64 v[36:37], v45 offset:28576
	ds_load_b64 v[38:39], v5 offset:28600
	s_wait_dscnt 0x0
	v_fmac_f64_e32 v[34:35], v[36:37], v[38:39]
.LBB136_187:                            ;   in Loop: Header=BB136_3 Depth=1
	s_or_b32 exec_lo, exec_lo, s7
.LBB136_188:                            ;   in Loop: Header=BB136_3 Depth=1
	s_delay_alu instid0(SALU_CYCLE_1)
	s_or_b32 exec_lo, exec_lo, s6
	s_and_saveexec_b32 s6, s103
	s_cbranch_execz .LBB136_190
; %bb.189:                              ;   in Loop: Header=BB136_3 Depth=1
	ds_load_b64 v[36:37], v5 offset:27560
	s_wait_dscnt 0x0
	v_mul_f64_e32 v[34:35], v[34:35], v[36:37]
	s_delay_alu instid0(VALU_DEP_1) | instskip(NEXT) | instid1(VALU_DEP_2)
	v_xor_b32_e32 v37, 0x80000000, v35
	v_mov_b32_e32 v36, v34
	ds_store_b64 v3, v[36:37]
.LBB136_190:                            ;   in Loop: Header=BB136_3 Depth=1
	s_or_b32 exec_lo, exec_lo, s6
	s_wait_loadcnt_dscnt 0x0
	s_barrier_signal -1
	s_barrier_wait -1
	s_and_saveexec_b32 s6, s104
	s_cbranch_execz .LBB136_192
; %bb.191:                              ;   in Loop: Header=BB136_3 Depth=1
	ds_load_b64 v[36:37], v5 offset:27552
	ds_load_b64 v[38:39], v3
	s_wait_dscnt 0x0
	v_fma_f64 v[34:35], -v[36:37], v[38:39], v[34:35]
.LBB136_192:                            ;   in Loop: Header=BB136_3 Depth=1
	s_or_b32 exec_lo, exec_lo, s6
	s_barrier_signal -1
	s_barrier_wait -1
	s_and_saveexec_b32 s6, s104
	s_cbranch_execz .LBB136_194
; %bb.193:                              ;   in Loop: Header=BB136_3 Depth=1
	ds_load_b64 v[36:37], v5 offset:27040
	s_wait_dscnt 0x0
	v_mul_f64_e32 v[34:35], v[34:35], v[36:37]
	s_delay_alu instid0(VALU_DEP_1) | instskip(NEXT) | instid1(VALU_DEP_2)
	v_xor_b32_e32 v37, 0x80000000, v35
	v_mov_b32_e32 v36, v34
	ds_store_b64 v3, v[36:37]
.LBB136_194:                            ;   in Loop: Header=BB136_3 Depth=1
	s_or_b32 exec_lo, exec_lo, s6
	s_wait_dscnt 0x0
	s_barrier_signal -1
	s_barrier_wait -1
	s_barrier_signal -1
	s_barrier_wait -1
	s_and_saveexec_b32 s6, s1
; %bb.195:                              ;   in Loop: Header=BB136_3 Depth=1
	ds_store_b64 v46, v[34:35] offset:28576
; %bb.196:                              ;   in Loop: Header=BB136_3 Depth=1
	s_or_b32 exec_lo, exec_lo, s6
	s_wait_dscnt 0x0
	s_barrier_signal -1
	s_barrier_wait -1
	s_barrier_signal -1
	s_barrier_wait -1
	s_and_saveexec_b32 s6, s14
	s_cbranch_execz .LBB136_198
; %bb.197:                              ;   in Loop: Header=BB136_3 Depth=1
	ds_load_b128 v[34:37], v5 offset:27552
	ds_load_b64 v[38:39], v5 offset:27040
	s_wait_dscnt 0x0
	v_mul_f64_e32 v[36:37], v[38:39], v[36:37]
	s_delay_alu instid0(VALU_DEP_1)
	v_mul_f64_e32 v[34:35], v[34:35], v[36:37]
	ds_store_b64 v5, v[34:35] offset:27552
.LBB136_198:                            ;   in Loop: Header=BB136_3 Depth=1
	s_or_b32 exec_lo, exec_lo, s6
	v_mov_b64_e32 v[34:35], 0
	s_wait_dscnt 0x0
	s_barrier_signal -1
	s_barrier_wait -1
	global_wb scope:SCOPE_DEV
	s_wait_storecnt 0x0
	global_inv scope:SCOPE_DEV
	s_and_saveexec_b32 s10, s2
	s_cbranch_execz .LBB136_204
; %bb.199:                              ;   in Loop: Header=BB136_3 Depth=1
	ds_load_b64 v[34:35], v49 offset:27008
	ds_load_b64 v[36:37], v48 offset:28576
	s_wait_dscnt 0x0
	v_fma_f64 v[34:35], v[34:35], v[36:37], 0
	s_and_saveexec_b32 s6, s16
	s_cbranch_execnz .LBB136_1045
; %bb.200:                              ;   in Loop: Header=BB136_3 Depth=1
	s_or_b32 exec_lo, exec_lo, s6
	s_and_saveexec_b32 s6, s17
	s_cbranch_execnz .LBB136_1046
.LBB136_201:                            ;   in Loop: Header=BB136_3 Depth=1
	s_or_b32 exec_lo, exec_lo, s6
	s_and_saveexec_b32 s6, s1
	s_cbranch_execz .LBB136_203
.LBB136_202:                            ;   in Loop: Header=BB136_3 Depth=1
	ds_load_b64 v[36:37], v45 offset:28544
	ds_load_b64 v[38:39], v5 offset:28600
	s_wait_dscnt 0x0
	v_fmac_f64_e32 v[34:35], v[36:37], v[38:39]
.LBB136_203:                            ;   in Loop: Header=BB136_3 Depth=1
	s_or_b32 exec_lo, exec_lo, s6
.LBB136_204:                            ;   in Loop: Header=BB136_3 Depth=1
	s_delay_alu instid0(SALU_CYCLE_1)
	s_or_b32 exec_lo, exec_lo, s10
	s_and_saveexec_b32 s6, vcc_hi
	s_cbranch_execz .LBB136_206
; %bb.205:                              ;   in Loop: Header=BB136_3 Depth=1
	ds_load_b64 v[36:37], v5 offset:26520
	s_wait_dscnt 0x0
	v_mul_f64_e32 v[34:35], v[34:35], v[36:37]
	s_delay_alu instid0(VALU_DEP_1) | instskip(NEXT) | instid1(VALU_DEP_2)
	v_xor_b32_e32 v37, 0x80000000, v35
	v_mov_b32_e32 v36, v34
	ds_store_b64 v47, v[36:37]
.LBB136_206:                            ;   in Loop: Header=BB136_3 Depth=1
	s_or_b32 exec_lo, exec_lo, s6
	s_wait_loadcnt_dscnt 0x0
	s_barrier_signal -1
	s_barrier_wait -1
	s_and_saveexec_b32 s6, s36
	s_cbranch_execz .LBB136_208
; %bb.207:                              ;   in Loop: Header=BB136_3 Depth=1
	ds_load_b64 v[36:37], v49 offset:26496
	ds_load_b64 v[38:39], v47
	s_wait_dscnt 0x0
	v_fma_f64 v[34:35], -v[36:37], v[38:39], v[34:35]
.LBB136_208:                            ;   in Loop: Header=BB136_3 Depth=1
	s_or_b32 exec_lo, exec_lo, s6
	s_barrier_signal -1
	s_barrier_wait -1
	s_and_saveexec_b32 s6, s37
	s_cbranch_execz .LBB136_210
; %bb.209:                              ;   in Loop: Header=BB136_3 Depth=1
	ds_load_b64 v[36:37], v5 offset:26000
	s_wait_dscnt 0x0
	v_mul_f64_e32 v[34:35], v[34:35], v[36:37]
	s_delay_alu instid0(VALU_DEP_1) | instskip(NEXT) | instid1(VALU_DEP_2)
	v_xor_b32_e32 v37, 0x80000000, v35
	v_mov_b32_e32 v36, v34
	ds_store_b64 v47, v[36:37]
.LBB136_210:                            ;   in Loop: Header=BB136_3 Depth=1
	s_or_b32 exec_lo, exec_lo, s6
	s_wait_dscnt 0x0
	s_barrier_signal -1
	s_barrier_wait -1
	s_and_saveexec_b32 s6, s38
	s_cbranch_execz .LBB136_212
; %bb.211:                              ;   in Loop: Header=BB136_3 Depth=1
	ds_load_b64 v[36:37], v49 offset:25984
	ds_load_b64 v[38:39], v47
	s_wait_dscnt 0x0
	v_fma_f64 v[34:35], -v[36:37], v[38:39], v[34:35]
.LBB136_212:                            ;   in Loop: Header=BB136_3 Depth=1
	s_or_b32 exec_lo, exec_lo, s6
	s_barrier_signal -1
	s_barrier_wait -1
	s_and_saveexec_b32 s6, s39
	s_cbranch_execz .LBB136_214
; %bb.213:                              ;   in Loop: Header=BB136_3 Depth=1
	ds_load_b64 v[36:37], v5 offset:25480
	s_wait_dscnt 0x0
	v_mul_f64_e32 v[34:35], v[34:35], v[36:37]
	s_delay_alu instid0(VALU_DEP_1) | instskip(NEXT) | instid1(VALU_DEP_2)
	v_xor_b32_e32 v37, 0x80000000, v35
	v_mov_b32_e32 v36, v34
	ds_store_b64 v47, v[36:37]
.LBB136_214:                            ;   in Loop: Header=BB136_3 Depth=1
	s_or_b32 exec_lo, exec_lo, s6
	s_wait_dscnt 0x0
	s_barrier_signal -1
	s_barrier_wait -1
	s_and_saveexec_b32 s6, s40
	s_cbranch_execz .LBB136_216
; %bb.215:                              ;   in Loop: Header=BB136_3 Depth=1
	ds_load_b64 v[36:37], v5 offset:25472
	ds_load_b64 v[38:39], v47
	s_wait_dscnt 0x0
	v_fma_f64 v[34:35], -v[36:37], v[38:39], v[34:35]
.LBB136_216:                            ;   in Loop: Header=BB136_3 Depth=1
	s_or_b32 exec_lo, exec_lo, s6
	s_barrier_signal -1
	s_barrier_wait -1
	s_and_saveexec_b32 s6, s40
	s_cbranch_execz .LBB136_218
; %bb.217:                              ;   in Loop: Header=BB136_3 Depth=1
	ds_load_b64 v[36:37], v5 offset:24960
	s_wait_dscnt 0x0
	v_mul_f64_e32 v[34:35], v[34:35], v[36:37]
	s_delay_alu instid0(VALU_DEP_1) | instskip(NEXT) | instid1(VALU_DEP_2)
	v_xor_b32_e32 v37, 0x80000000, v35
	v_mov_b32_e32 v36, v34
	ds_store_b64 v47, v[36:37]
.LBB136_218:                            ;   in Loop: Header=BB136_3 Depth=1
	s_or_b32 exec_lo, exec_lo, s6
	s_wait_dscnt 0x0
	s_barrier_signal -1
	s_barrier_wait -1
	s_barrier_signal -1
	s_barrier_wait -1
	s_and_saveexec_b32 s6, s2
; %bb.219:                              ;   in Loop: Header=BB136_3 Depth=1
	ds_store_b64 v50, v[34:35] offset:28544
; %bb.220:                              ;   in Loop: Header=BB136_3 Depth=1
	s_or_b32 exec_lo, exec_lo, s6
	s_wait_dscnt 0x0
	s_barrier_signal -1
	s_barrier_wait -1
	s_barrier_signal -1
	s_barrier_wait -1
	s_and_saveexec_b32 s6, s14
	s_cbranch_execz .LBB136_222
; %bb.221:                              ;   in Loop: Header=BB136_3 Depth=1
	ds_load_b128 v[34:37], v5 offset:26512
	ds_load_b64 v[38:39], v5 offset:26000
	s_wait_dscnt 0x0
	v_mul_f64_e32 v[36:37], v[38:39], v[36:37]
	s_delay_alu instid0(VALU_DEP_1)
	v_mul_f64_e32 v[34:35], v[34:35], v[36:37]
	ds_store_b64 v5, v[34:35] offset:26512
.LBB136_222:                            ;   in Loop: Header=BB136_3 Depth=1
	s_or_b32 exec_lo, exec_lo, s6
	v_mov_b64_e32 v[34:35], 0
	s_wait_dscnt 0x0
	s_barrier_signal -1
	s_barrier_wait -1
	global_wb scope:SCOPE_DEV
	s_wait_storecnt 0x0
	global_inv scope:SCOPE_DEV
	s_and_saveexec_b32 s6, s1
	s_cbranch_execz .LBB136_226
; %bb.223:                              ;   in Loop: Header=BB136_3 Depth=1
	ds_load_b64 v[34:35], v44 offset:25984
	ds_load_b64 v[36:37], v43 offset:26512
	s_wait_dscnt 0x0
	v_fma_f64 v[34:35], v[34:35], v[36:37], 0
	s_and_saveexec_b32 s7, s15
	s_cbranch_execz .LBB136_225
; %bb.224:                              ;   in Loop: Header=BB136_3 Depth=1
	ds_load_b64 v[36:37], v45 offset:26496
	ds_load_b64 v[38:39], v5 offset:26520
	s_wait_dscnt 0x0
	v_fmac_f64_e32 v[34:35], v[36:37], v[38:39]
.LBB136_225:                            ;   in Loop: Header=BB136_3 Depth=1
	s_or_b32 exec_lo, exec_lo, s7
.LBB136_226:                            ;   in Loop: Header=BB136_3 Depth=1
	s_delay_alu instid0(SALU_CYCLE_1)
	s_or_b32 exec_lo, exec_lo, s6
	s_and_saveexec_b32 s6, s103
	s_cbranch_execz .LBB136_228
; %bb.227:                              ;   in Loop: Header=BB136_3 Depth=1
	ds_load_b64 v[36:37], v5 offset:25480
	s_wait_dscnt 0x0
	v_mul_f64_e32 v[34:35], v[34:35], v[36:37]
	s_delay_alu instid0(VALU_DEP_1) | instskip(NEXT) | instid1(VALU_DEP_2)
	v_xor_b32_e32 v37, 0x80000000, v35
	v_mov_b32_e32 v36, v34
	ds_store_b64 v3, v[36:37]
.LBB136_228:                            ;   in Loop: Header=BB136_3 Depth=1
	s_or_b32 exec_lo, exec_lo, s6
	s_wait_loadcnt_dscnt 0x0
	s_barrier_signal -1
	s_barrier_wait -1
	s_and_saveexec_b32 s6, s104
	s_cbranch_execz .LBB136_230
; %bb.229:                              ;   in Loop: Header=BB136_3 Depth=1
	ds_load_b64 v[36:37], v5 offset:25472
	ds_load_b64 v[38:39], v3
	s_wait_dscnt 0x0
	v_fma_f64 v[34:35], -v[36:37], v[38:39], v[34:35]
.LBB136_230:                            ;   in Loop: Header=BB136_3 Depth=1
	s_or_b32 exec_lo, exec_lo, s6
	s_barrier_signal -1
	s_barrier_wait -1
	s_and_saveexec_b32 s6, s104
	s_cbranch_execz .LBB136_232
; %bb.231:                              ;   in Loop: Header=BB136_3 Depth=1
	ds_load_b64 v[36:37], v5 offset:24960
	s_wait_dscnt 0x0
	v_mul_f64_e32 v[34:35], v[34:35], v[36:37]
	s_delay_alu instid0(VALU_DEP_1) | instskip(NEXT) | instid1(VALU_DEP_2)
	v_xor_b32_e32 v37, 0x80000000, v35
	v_mov_b32_e32 v36, v34
	ds_store_b64 v3, v[36:37]
.LBB136_232:                            ;   in Loop: Header=BB136_3 Depth=1
	s_or_b32 exec_lo, exec_lo, s6
	s_wait_dscnt 0x0
	s_barrier_signal -1
	s_barrier_wait -1
	s_barrier_signal -1
	s_barrier_wait -1
	s_and_saveexec_b32 s6, s1
; %bb.233:                              ;   in Loop: Header=BB136_3 Depth=1
	ds_store_b64 v46, v[34:35] offset:26496
; %bb.234:                              ;   in Loop: Header=BB136_3 Depth=1
	s_or_b32 exec_lo, exec_lo, s6
	s_wait_dscnt 0x0
	s_barrier_signal -1
	s_barrier_wait -1
	s_barrier_signal -1
	s_barrier_wait -1
	s_and_saveexec_b32 s6, s14
	s_cbranch_execz .LBB136_236
; %bb.235:                              ;   in Loop: Header=BB136_3 Depth=1
	ds_load_b128 v[34:37], v5 offset:25472
	ds_load_b64 v[38:39], v5 offset:24960
	s_wait_dscnt 0x0
	v_mul_f64_e32 v[36:37], v[38:39], v[36:37]
	s_delay_alu instid0(VALU_DEP_1)
	v_mul_f64_e32 v[34:35], v[34:35], v[36:37]
	ds_store_b64 v5, v[34:35] offset:25472
.LBB136_236:                            ;   in Loop: Header=BB136_3 Depth=1
	s_or_b32 exec_lo, exec_lo, s6
	v_mov_b64_e32 v[34:35], 0
	s_wait_dscnt 0x0
	s_barrier_signal -1
	s_barrier_wait -1
	global_wb scope:SCOPE_DEV
	s_wait_storecnt 0x0
	global_inv scope:SCOPE_DEV
	s_and_saveexec_b32 s10, s4
	s_cbranch_execz .LBB136_264
; %bb.237:                              ;   in Loop: Header=BB136_3 Depth=1
	ds_load_b64 v[34:35], v57 offset:24832
	ds_load_b64 v[36:37], v56 offset:32640
	s_wait_dscnt 0x0
	v_fma_f64 v[34:35], v[34:35], v[36:37], 0
	s_mov_b32 s6, exec_lo
	v_readlane_b32 s7, v86, 30
	s_and_b32 s7, s6, s7
	s_delay_alu instid0(SALU_CYCLE_1)
	s_mov_b32 exec_lo, s7
	s_cbranch_execz .LBB136_239
; %bb.238:                              ;   in Loop: Header=BB136_3 Depth=1
	ds_load_b64 v[36:37], v57 offset:25344
	ds_load_b64 v[38:39], v56 offset:32648
	s_wait_dscnt 0x0
	v_fmac_f64_e32 v[34:35], v[36:37], v[38:39]
.LBB136_239:                            ;   in Loop: Header=BB136_3 Depth=1
	s_or_b32 exec_lo, exec_lo, s6
	s_delay_alu instid0(SALU_CYCLE_1) | instskip(SKIP_2) | instid1(SALU_CYCLE_1)
	s_mov_b32 s6, exec_lo
	v_readlane_b32 s7, v86, 31
	s_and_b32 s7, s6, s7
	s_mov_b32 exec_lo, s7
	s_cbranch_execz .LBB136_241
; %bb.240:                              ;   in Loop: Header=BB136_3 Depth=1
	ds_load_b64 v[36:37], v57 offset:25856
	ds_load_b64 v[38:39], v56 offset:32656
	s_wait_dscnt 0x0
	v_fmac_f64_e32 v[34:35], v[36:37], v[38:39]
.LBB136_241:                            ;   in Loop: Header=BB136_3 Depth=1
	s_or_b32 exec_lo, exec_lo, s6
	s_delay_alu instid0(SALU_CYCLE_1) | instskip(SKIP_2) | instid1(SALU_CYCLE_1)
	s_mov_b32 s6, exec_lo
	v_readlane_b32 s7, v85, 0
	s_and_b32 s7, s6, s7
	;; [unrolled: 13-line block ×10, first 2 shown]
	s_mov_b32 exec_lo, s7
	s_cbranch_execnz .LBB136_1047
; %bb.258:                              ;   in Loop: Header=BB136_3 Depth=1
	s_or_b32 exec_lo, exec_lo, s6
	s_and_saveexec_b32 s6, s3
	s_cbranch_execnz .LBB136_1048
.LBB136_259:                            ;   in Loop: Header=BB136_3 Depth=1
	s_or_b32 exec_lo, exec_lo, s6
	s_and_saveexec_b32 s6, s19
	s_cbranch_execnz .LBB136_1049
.LBB136_260:                            ;   in Loop: Header=BB136_3 Depth=1
	s_or_b32 exec_lo, exec_lo, s6
	s_and_saveexec_b32 s6, s21
	s_cbranch_execnz .LBB136_1050
.LBB136_261:                            ;   in Loop: Header=BB136_3 Depth=1
	s_or_b32 exec_lo, exec_lo, s6
	s_and_saveexec_b32 s6, s2
	s_cbranch_execz .LBB136_263
.LBB136_262:                            ;   in Loop: Header=BB136_3 Depth=1
	ds_load_b64 v[36:37], v45 offset:32512
	ds_load_b64 v[38:39], v5 offset:32760
	s_wait_dscnt 0x0
	v_fmac_f64_e32 v[34:35], v[36:37], v[38:39]
.LBB136_263:                            ;   in Loop: Header=BB136_3 Depth=1
	s_or_b32 exec_lo, exec_lo, s6
.LBB136_264:                            ;   in Loop: Header=BB136_3 Depth=1
	s_delay_alu instid0(SALU_CYCLE_1) | instskip(NEXT) | instid1(SALU_CYCLE_1)
	s_or_b32 exec_lo, exec_lo, s10
	s_mov_b32 s6, exec_lo
	v_readlane_b32 s7, v86, 1
	s_and_b32 s7, s6, s7
	s_delay_alu instid0(SALU_CYCLE_1)
	s_mov_b32 exec_lo, s7
	s_cbranch_execz .LBB136_266
; %bb.265:                              ;   in Loop: Header=BB136_3 Depth=1
	ds_load_b64 v[36:37], v5 offset:24440
	s_wait_dscnt 0x0
	v_mul_f64_e32 v[34:35], v[34:35], v[36:37]
	s_delay_alu instid0(VALU_DEP_1) | instskip(NEXT) | instid1(VALU_DEP_2)
	v_xor_b32_e32 v37, 0x80000000, v35
	v_mov_b32_e32 v36, v34
	ds_store_b64 v55, v[36:37]
.LBB136_266:                            ;   in Loop: Header=BB136_3 Depth=1
	s_or_b32 exec_lo, exec_lo, s6
	s_wait_loadcnt_dscnt 0x0
	s_barrier_signal -1
	s_barrier_wait -1
	s_mov_b32 s6, exec_lo
	v_readlane_b32 s7, v86, 2
	s_and_b32 s7, s6, s7
	s_delay_alu instid0(SALU_CYCLE_1)
	s_mov_b32 exec_lo, s7
	s_cbranch_execz .LBB136_268
; %bb.267:                              ;   in Loop: Header=BB136_3 Depth=1
	ds_load_b64 v[36:37], v57 offset:24320
	ds_load_b64 v[38:39], v55
	s_wait_dscnt 0x0
	v_fma_f64 v[34:35], -v[36:37], v[38:39], v[34:35]
.LBB136_268:                            ;   in Loop: Header=BB136_3 Depth=1
	s_or_b32 exec_lo, exec_lo, s6
	s_barrier_signal -1
	s_barrier_wait -1
	s_mov_b32 s6, exec_lo
	v_readlane_b32 s7, v86, 3
	s_and_b32 s7, s6, s7
	s_delay_alu instid0(SALU_CYCLE_1)
	s_mov_b32 exec_lo, s7
	s_cbranch_execz .LBB136_270
; %bb.269:                              ;   in Loop: Header=BB136_3 Depth=1
	ds_load_b64 v[36:37], v5 offset:23920
	s_wait_dscnt 0x0
	v_mul_f64_e32 v[34:35], v[34:35], v[36:37]
	s_delay_alu instid0(VALU_DEP_1) | instskip(NEXT) | instid1(VALU_DEP_2)
	v_xor_b32_e32 v37, 0x80000000, v35
	v_mov_b32_e32 v36, v34
	ds_store_b64 v55, v[36:37]
.LBB136_270:                            ;   in Loop: Header=BB136_3 Depth=1
	s_or_b32 exec_lo, exec_lo, s6
	s_wait_dscnt 0x0
	s_barrier_signal -1
	s_barrier_wait -1
	s_mov_b32 s6, exec_lo
	v_readlane_b32 s7, v86, 4
	s_and_b32 s7, s6, s7
	s_delay_alu instid0(SALU_CYCLE_1)
	s_mov_b32 exec_lo, s7
	s_cbranch_execz .LBB136_272
; %bb.271:                              ;   in Loop: Header=BB136_3 Depth=1
	ds_load_b64 v[36:37], v57 offset:23808
	ds_load_b64 v[38:39], v55
	s_wait_dscnt 0x0
	v_fma_f64 v[34:35], -v[36:37], v[38:39], v[34:35]
.LBB136_272:                            ;   in Loop: Header=BB136_3 Depth=1
	s_or_b32 exec_lo, exec_lo, s6
	s_barrier_signal -1
	s_barrier_wait -1
	s_mov_b32 s6, exec_lo
	v_readlane_b32 s7, v86, 5
	s_and_b32 s7, s6, s7
	s_delay_alu instid0(SALU_CYCLE_1)
	s_mov_b32 exec_lo, s7
	s_cbranch_execz .LBB136_274
; %bb.273:                              ;   in Loop: Header=BB136_3 Depth=1
	ds_load_b64 v[36:37], v5 offset:23400
	s_wait_dscnt 0x0
	v_mul_f64_e32 v[34:35], v[34:35], v[36:37]
	s_delay_alu instid0(VALU_DEP_1) | instskip(NEXT) | instid1(VALU_DEP_2)
	v_xor_b32_e32 v37, 0x80000000, v35
	v_mov_b32_e32 v36, v34
	ds_store_b64 v55, v[36:37]
.LBB136_274:                            ;   in Loop: Header=BB136_3 Depth=1
	s_or_b32 exec_lo, exec_lo, s6
	s_wait_dscnt 0x0
	s_barrier_signal -1
	s_barrier_wait -1
	s_mov_b32 s6, exec_lo
	v_readlane_b32 s7, v86, 6
	s_and_b32 s7, s6, s7
	s_delay_alu instid0(SALU_CYCLE_1)
	s_mov_b32 exec_lo, s7
	s_cbranch_execz .LBB136_276
; %bb.275:                              ;   in Loop: Header=BB136_3 Depth=1
	ds_load_b64 v[36:37], v57 offset:23296
	ds_load_b64 v[38:39], v55
	s_wait_dscnt 0x0
	v_fma_f64 v[34:35], -v[36:37], v[38:39], v[34:35]
.LBB136_276:                            ;   in Loop: Header=BB136_3 Depth=1
	s_or_b32 exec_lo, exec_lo, s6
	s_barrier_signal -1
	s_barrier_wait -1
	s_mov_b32 s6, exec_lo
	v_readlane_b32 s7, v86, 7
	s_and_b32 s7, s6, s7
	s_delay_alu instid0(SALU_CYCLE_1)
	s_mov_b32 exec_lo, s7
	s_cbranch_execz .LBB136_278
; %bb.277:                              ;   in Loop: Header=BB136_3 Depth=1
	ds_load_b64 v[36:37], v5 offset:22880
	s_wait_dscnt 0x0
	v_mul_f64_e32 v[34:35], v[34:35], v[36:37]
	s_delay_alu instid0(VALU_DEP_1) | instskip(NEXT) | instid1(VALU_DEP_2)
	v_xor_b32_e32 v37, 0x80000000, v35
	v_mov_b32_e32 v36, v34
	ds_store_b64 v55, v[36:37]
.LBB136_278:                            ;   in Loop: Header=BB136_3 Depth=1
	s_or_b32 exec_lo, exec_lo, s6
	s_wait_dscnt 0x0
	s_barrier_signal -1
	s_barrier_wait -1
	s_mov_b32 s6, exec_lo
	v_readlane_b32 s7, v86, 8
	s_and_b32 s7, s6, s7
	s_delay_alu instid0(SALU_CYCLE_1)
	s_mov_b32 exec_lo, s7
	s_cbranch_execz .LBB136_280
; %bb.279:                              ;   in Loop: Header=BB136_3 Depth=1
	ds_load_b64 v[36:37], v57 offset:22784
	ds_load_b64 v[38:39], v55
	s_wait_dscnt 0x0
	v_fma_f64 v[34:35], -v[36:37], v[38:39], v[34:35]
.LBB136_280:                            ;   in Loop: Header=BB136_3 Depth=1
	s_or_b32 exec_lo, exec_lo, s6
	s_barrier_signal -1
	s_barrier_wait -1
	s_and_saveexec_b32 s6, s12
	s_cbranch_execz .LBB136_282
; %bb.281:                              ;   in Loop: Header=BB136_3 Depth=1
	ds_load_b64 v[36:37], v5 offset:22360
	s_wait_dscnt 0x0
	v_mul_f64_e32 v[34:35], v[34:35], v[36:37]
	s_delay_alu instid0(VALU_DEP_1) | instskip(NEXT) | instid1(VALU_DEP_2)
	v_xor_b32_e32 v37, 0x80000000, v35
	v_mov_b32_e32 v36, v34
	ds_store_b64 v55, v[36:37]
.LBB136_282:                            ;   in Loop: Header=BB136_3 Depth=1
	s_or_b32 exec_lo, exec_lo, s6
	s_wait_dscnt 0x0
	s_barrier_signal -1
	s_barrier_wait -1
	s_and_saveexec_b32 s6, s13
	s_cbranch_execz .LBB136_284
; %bb.283:                              ;   in Loop: Header=BB136_3 Depth=1
	ds_load_b64 v[36:37], v57 offset:22272
	ds_load_b64 v[38:39], v55
	s_wait_dscnt 0x0
	v_fma_f64 v[34:35], -v[36:37], v[38:39], v[34:35]
.LBB136_284:                            ;   in Loop: Header=BB136_3 Depth=1
	s_or_b32 exec_lo, exec_lo, s6
	s_barrier_signal -1
	s_barrier_wait -1
	s_and_saveexec_b32 s6, s23
	s_cbranch_execz .LBB136_286
; %bb.285:                              ;   in Loop: Header=BB136_3 Depth=1
	ds_load_b64 v[36:37], v5 offset:21840
	s_wait_dscnt 0x0
	v_mul_f64_e32 v[34:35], v[34:35], v[36:37]
	s_delay_alu instid0(VALU_DEP_1) | instskip(NEXT) | instid1(VALU_DEP_2)
	v_xor_b32_e32 v37, 0x80000000, v35
	v_mov_b32_e32 v36, v34
	ds_store_b64 v55, v[36:37]
.LBB136_286:                            ;   in Loop: Header=BB136_3 Depth=1
	s_or_b32 exec_lo, exec_lo, s6
	s_wait_dscnt 0x0
	s_barrier_signal -1
	s_barrier_wait -1
	s_and_saveexec_b32 s6, s25
	s_cbranch_execz .LBB136_288
; %bb.287:                              ;   in Loop: Header=BB136_3 Depth=1
	ds_load_b64 v[36:37], v57 offset:21760
	ds_load_b64 v[38:39], v55
	s_wait_dscnt 0x0
	v_fma_f64 v[34:35], -v[36:37], v[38:39], v[34:35]
.LBB136_288:                            ;   in Loop: Header=BB136_3 Depth=1
	s_or_b32 exec_lo, exec_lo, s6
	s_barrier_signal -1
	s_barrier_wait -1
	s_and_saveexec_b32 s6, s27
	s_cbranch_execz .LBB136_290
; %bb.289:                              ;   in Loop: Header=BB136_3 Depth=1
	ds_load_b64 v[36:37], v5 offset:21320
	s_wait_dscnt 0x0
	v_mul_f64_e32 v[34:35], v[34:35], v[36:37]
	s_delay_alu instid0(VALU_DEP_1) | instskip(NEXT) | instid1(VALU_DEP_2)
	v_xor_b32_e32 v37, 0x80000000, v35
	v_mov_b32_e32 v36, v34
	ds_store_b64 v55, v[36:37]
.LBB136_290:                            ;   in Loop: Header=BB136_3 Depth=1
	s_or_b32 exec_lo, exec_lo, s6
	s_wait_dscnt 0x0
	s_barrier_signal -1
	s_barrier_wait -1
	s_and_saveexec_b32 s6, s29
	s_cbranch_execz .LBB136_292
; %bb.291:                              ;   in Loop: Header=BB136_3 Depth=1
	ds_load_b64 v[36:37], v57 offset:21248
	ds_load_b64 v[38:39], v55
	s_wait_dscnt 0x0
	v_fma_f64 v[34:35], -v[36:37], v[38:39], v[34:35]
.LBB136_292:                            ;   in Loop: Header=BB136_3 Depth=1
	s_or_b32 exec_lo, exec_lo, s6
	s_barrier_signal -1
	s_barrier_wait -1
	s_and_saveexec_b32 s6, s31
	s_cbranch_execz .LBB136_294
; %bb.293:                              ;   in Loop: Header=BB136_3 Depth=1
	ds_load_b64 v[36:37], v5 offset:20800
	s_wait_dscnt 0x0
	v_mul_f64_e32 v[34:35], v[34:35], v[36:37]
	s_delay_alu instid0(VALU_DEP_1) | instskip(NEXT) | instid1(VALU_DEP_2)
	v_xor_b32_e32 v37, 0x80000000, v35
	v_mov_b32_e32 v36, v34
	ds_store_b64 v55, v[36:37]
.LBB136_294:                            ;   in Loop: Header=BB136_3 Depth=1
	s_or_b32 exec_lo, exec_lo, s6
	s_wait_dscnt 0x0
	s_barrier_signal -1
	s_barrier_wait -1
	s_and_saveexec_b32 s6, s34
	s_cbranch_execz .LBB136_296
; %bb.295:                              ;   in Loop: Header=BB136_3 Depth=1
	ds_load_b64 v[36:37], v57 offset:20736
	ds_load_b64 v[38:39], v55
	s_wait_dscnt 0x0
	v_fma_f64 v[34:35], -v[36:37], v[38:39], v[34:35]
.LBB136_296:                            ;   in Loop: Header=BB136_3 Depth=1
	s_or_b32 exec_lo, exec_lo, s6
	s_barrier_signal -1
	s_barrier_wait -1
	s_and_saveexec_b32 s6, s61
	s_cbranch_execz .LBB136_298
; %bb.297:                              ;   in Loop: Header=BB136_3 Depth=1
	ds_load_b64 v[36:37], v5 offset:20280
	s_wait_dscnt 0x0
	v_mul_f64_e32 v[34:35], v[34:35], v[36:37]
	s_delay_alu instid0(VALU_DEP_1) | instskip(NEXT) | instid1(VALU_DEP_2)
	v_xor_b32_e32 v37, 0x80000000, v35
	v_mov_b32_e32 v36, v34
	ds_store_b64 v55, v[36:37]
.LBB136_298:                            ;   in Loop: Header=BB136_3 Depth=1
	s_or_b32 exec_lo, exec_lo, s6
	s_wait_dscnt 0x0
	s_barrier_signal -1
	s_barrier_wait -1
	s_and_saveexec_b32 s6, s62
	s_cbranch_execz .LBB136_300
; %bb.299:                              ;   in Loop: Header=BB136_3 Depth=1
	ds_load_b64 v[36:37], v57 offset:20224
	ds_load_b64 v[38:39], v55
	s_wait_dscnt 0x0
	v_fma_f64 v[34:35], -v[36:37], v[38:39], v[34:35]
.LBB136_300:                            ;   in Loop: Header=BB136_3 Depth=1
	s_or_b32 exec_lo, exec_lo, s6
	s_barrier_signal -1
	s_barrier_wait -1
	s_and_saveexec_b32 s6, s63
	s_cbranch_execz .LBB136_302
; %bb.301:                              ;   in Loop: Header=BB136_3 Depth=1
	ds_load_b64 v[36:37], v5 offset:19760
	s_wait_dscnt 0x0
	v_mul_f64_e32 v[34:35], v[34:35], v[36:37]
	s_delay_alu instid0(VALU_DEP_1) | instskip(NEXT) | instid1(VALU_DEP_2)
	v_xor_b32_e32 v37, 0x80000000, v35
	v_mov_b32_e32 v36, v34
	ds_store_b64 v55, v[36:37]
.LBB136_302:                            ;   in Loop: Header=BB136_3 Depth=1
	s_or_b32 exec_lo, exec_lo, s6
	s_wait_dscnt 0x0
	s_barrier_signal -1
	s_barrier_wait -1
	s_and_saveexec_b32 s6, s64
	s_cbranch_execz .LBB136_304
; %bb.303:                              ;   in Loop: Header=BB136_3 Depth=1
	ds_load_b64 v[36:37], v57 offset:19712
	ds_load_b64 v[38:39], v55
	s_wait_dscnt 0x0
	v_fma_f64 v[34:35], -v[36:37], v[38:39], v[34:35]
.LBB136_304:                            ;   in Loop: Header=BB136_3 Depth=1
	s_or_b32 exec_lo, exec_lo, s6
	s_barrier_signal -1
	s_barrier_wait -1
	s_and_saveexec_b32 s6, s24
	s_cbranch_execz .LBB136_306
; %bb.305:                              ;   in Loop: Header=BB136_3 Depth=1
	ds_load_b64 v[36:37], v5 offset:19240
	s_wait_dscnt 0x0
	v_mul_f64_e32 v[34:35], v[34:35], v[36:37]
	s_delay_alu instid0(VALU_DEP_1) | instskip(NEXT) | instid1(VALU_DEP_2)
	v_xor_b32_e32 v37, 0x80000000, v35
	v_mov_b32_e32 v36, v34
	ds_store_b64 v55, v[36:37]
.LBB136_306:                            ;   in Loop: Header=BB136_3 Depth=1
	s_or_b32 exec_lo, exec_lo, s6
	s_wait_dscnt 0x0
	s_barrier_signal -1
	s_barrier_wait -1
	s_and_saveexec_b32 s6, s26
	s_cbranch_execz .LBB136_308
; %bb.307:                              ;   in Loop: Header=BB136_3 Depth=1
	ds_load_b64 v[36:37], v57 offset:19200
	ds_load_b64 v[38:39], v55
	s_wait_dscnt 0x0
	v_fma_f64 v[34:35], -v[36:37], v[38:39], v[34:35]
.LBB136_308:                            ;   in Loop: Header=BB136_3 Depth=1
	s_or_b32 exec_lo, exec_lo, s6
	s_barrier_signal -1
	s_barrier_wait -1
	s_and_saveexec_b32 s6, s28
	s_cbranch_execz .LBB136_310
; %bb.309:                              ;   in Loop: Header=BB136_3 Depth=1
	ds_load_b64 v[36:37], v5 offset:18720
	s_wait_dscnt 0x0
	v_mul_f64_e32 v[34:35], v[34:35], v[36:37]
	s_delay_alu instid0(VALU_DEP_1) | instskip(NEXT) | instid1(VALU_DEP_2)
	v_xor_b32_e32 v37, 0x80000000, v35
	v_mov_b32_e32 v36, v34
	ds_store_b64 v55, v[36:37]
.LBB136_310:                            ;   in Loop: Header=BB136_3 Depth=1
	s_or_b32 exec_lo, exec_lo, s6
	s_wait_dscnt 0x0
	s_barrier_signal -1
	s_barrier_wait -1
	s_and_saveexec_b32 s6, s30
	s_cbranch_execz .LBB136_312
; %bb.311:                              ;   in Loop: Header=BB136_3 Depth=1
	ds_load_b64 v[36:37], v57 offset:18688
	ds_load_b64 v[38:39], v55
	s_wait_dscnt 0x0
	v_fma_f64 v[34:35], -v[36:37], v[38:39], v[34:35]
.LBB136_312:                            ;   in Loop: Header=BB136_3 Depth=1
	s_or_b32 exec_lo, exec_lo, s6
	s_barrier_signal -1
	s_barrier_wait -1
	s_and_saveexec_b32 s6, s33
	s_cbranch_execz .LBB136_314
; %bb.313:                              ;   in Loop: Header=BB136_3 Depth=1
	ds_load_b64 v[36:37], v5 offset:18200
	s_wait_dscnt 0x0
	v_mul_f64_e32 v[34:35], v[34:35], v[36:37]
	s_delay_alu instid0(VALU_DEP_1) | instskip(NEXT) | instid1(VALU_DEP_2)
	v_xor_b32_e32 v37, 0x80000000, v35
	v_mov_b32_e32 v36, v34
	ds_store_b64 v55, v[36:37]
.LBB136_314:                            ;   in Loop: Header=BB136_3 Depth=1
	s_or_b32 exec_lo, exec_lo, s6
	s_wait_dscnt 0x0
	s_barrier_signal -1
	s_barrier_wait -1
	s_and_saveexec_b32 s6, s101
	s_cbranch_execz .LBB136_316
; %bb.315:                              ;   in Loop: Header=BB136_3 Depth=1
	ds_load_b64 v[36:37], v57 offset:18176
	ds_load_b64 v[38:39], v55
	s_wait_dscnt 0x0
	v_fma_f64 v[34:35], -v[36:37], v[38:39], v[34:35]
.LBB136_316:                            ;   in Loop: Header=BB136_3 Depth=1
	s_or_b32 exec_lo, exec_lo, s6
	s_barrier_signal -1
	s_barrier_wait -1
	s_and_saveexec_b32 s6, s55
	s_cbranch_execz .LBB136_318
; %bb.317:                              ;   in Loop: Header=BB136_3 Depth=1
	ds_load_b64 v[36:37], v5 offset:17680
	s_wait_dscnt 0x0
	v_mul_f64_e32 v[34:35], v[34:35], v[36:37]
	s_delay_alu instid0(VALU_DEP_1) | instskip(NEXT) | instid1(VALU_DEP_2)
	v_xor_b32_e32 v37, 0x80000000, v35
	v_mov_b32_e32 v36, v34
	ds_store_b64 v55, v[36:37]
.LBB136_318:                            ;   in Loop: Header=BB136_3 Depth=1
	s_or_b32 exec_lo, exec_lo, s6
	s_wait_dscnt 0x0
	s_barrier_signal -1
	s_barrier_wait -1
	s_and_saveexec_b32 s6, s56
	s_cbranch_execz .LBB136_320
; %bb.319:                              ;   in Loop: Header=BB136_3 Depth=1
	ds_load_b64 v[36:37], v57 offset:17664
	ds_load_b64 v[38:39], v55
	s_wait_dscnt 0x0
	v_fma_f64 v[34:35], -v[36:37], v[38:39], v[34:35]
.LBB136_320:                            ;   in Loop: Header=BB136_3 Depth=1
	s_or_b32 exec_lo, exec_lo, s6
	s_barrier_signal -1
	s_barrier_wait -1
	s_and_saveexec_b32 s6, s57
	s_cbranch_execz .LBB136_322
; %bb.321:                              ;   in Loop: Header=BB136_3 Depth=1
	ds_load_b64 v[36:37], v5 offset:17160
	s_wait_dscnt 0x0
	v_mul_f64_e32 v[34:35], v[34:35], v[36:37]
	s_delay_alu instid0(VALU_DEP_1) | instskip(NEXT) | instid1(VALU_DEP_2)
	v_xor_b32_e32 v37, 0x80000000, v35
	v_mov_b32_e32 v36, v34
	ds_store_b64 v55, v[36:37]
.LBB136_322:                            ;   in Loop: Header=BB136_3 Depth=1
	s_or_b32 exec_lo, exec_lo, s6
	s_wait_dscnt 0x0
	s_barrier_signal -1
	s_barrier_wait -1
	s_and_saveexec_b32 s6, s58
	s_cbranch_execz .LBB136_324
; %bb.323:                              ;   in Loop: Header=BB136_3 Depth=1
	ds_load_b64 v[36:37], v5 offset:17152
	ds_load_b64 v[38:39], v55
	s_wait_dscnt 0x0
	v_fma_f64 v[34:35], -v[36:37], v[38:39], v[34:35]
.LBB136_324:                            ;   in Loop: Header=BB136_3 Depth=1
	s_or_b32 exec_lo, exec_lo, s6
	s_barrier_signal -1
	s_barrier_wait -1
	s_and_saveexec_b32 s6, s58
	s_cbranch_execz .LBB136_326
; %bb.325:                              ;   in Loop: Header=BB136_3 Depth=1
	ds_load_b64 v[36:37], v5 offset:16640
	s_wait_dscnt 0x0
	v_mul_f64_e32 v[34:35], v[34:35], v[36:37]
	s_delay_alu instid0(VALU_DEP_1) | instskip(NEXT) | instid1(VALU_DEP_2)
	v_xor_b32_e32 v37, 0x80000000, v35
	v_mov_b32_e32 v36, v34
	ds_store_b64 v55, v[36:37]
.LBB136_326:                            ;   in Loop: Header=BB136_3 Depth=1
	s_or_b32 exec_lo, exec_lo, s6
	s_wait_dscnt 0x0
	s_barrier_signal -1
	s_barrier_wait -1
	s_barrier_signal -1
	s_barrier_wait -1
	s_and_saveexec_b32 s6, s4
; %bb.327:                              ;   in Loop: Header=BB136_3 Depth=1
	ds_store_b64 v59, v[34:35] offset:32512
; %bb.328:                              ;   in Loop: Header=BB136_3 Depth=1
	s_or_b32 exec_lo, exec_lo, s6
	s_wait_dscnt 0x0
	s_barrier_signal -1
	s_barrier_wait -1
	s_barrier_signal -1
	s_barrier_wait -1
	s_and_saveexec_b32 s6, s14
	s_cbranch_execz .LBB136_330
; %bb.329:                              ;   in Loop: Header=BB136_3 Depth=1
	ds_load_b128 v[34:37], v5 offset:24432
	ds_load_b64 v[38:39], v5 offset:23920
	s_wait_dscnt 0x0
	v_mul_f64_e32 v[36:37], v[38:39], v[36:37]
	s_delay_alu instid0(VALU_DEP_1)
	v_mul_f64_e32 v[34:35], v[34:35], v[36:37]
	ds_store_b64 v5, v[34:35] offset:24432
.LBB136_330:                            ;   in Loop: Header=BB136_3 Depth=1
	s_or_b32 exec_lo, exec_lo, s6
	v_mov_b64_e32 v[34:35], 0
	s_wait_dscnt 0x0
	s_barrier_signal -1
	s_barrier_wait -1
	global_wb scope:SCOPE_DEV
	s_wait_storecnt 0x0
	global_inv scope:SCOPE_DEV
	s_and_saveexec_b32 s6, s1
	s_cbranch_execz .LBB136_334
; %bb.331:                              ;   in Loop: Header=BB136_3 Depth=1
	ds_load_b64 v[34:35], v44 offset:23904
	ds_load_b64 v[36:37], v43 offset:24432
	s_wait_dscnt 0x0
	v_fma_f64 v[34:35], v[34:35], v[36:37], 0
	s_and_saveexec_b32 s7, s15
	s_cbranch_execz .LBB136_333
; %bb.332:                              ;   in Loop: Header=BB136_3 Depth=1
	ds_load_b64 v[36:37], v45 offset:24416
	ds_load_b64 v[38:39], v5 offset:24440
	s_wait_dscnt 0x0
	v_fmac_f64_e32 v[34:35], v[36:37], v[38:39]
.LBB136_333:                            ;   in Loop: Header=BB136_3 Depth=1
	s_or_b32 exec_lo, exec_lo, s7
.LBB136_334:                            ;   in Loop: Header=BB136_3 Depth=1
	s_delay_alu instid0(SALU_CYCLE_1)
	s_or_b32 exec_lo, exec_lo, s6
	s_and_saveexec_b32 s6, s103
	s_cbranch_execz .LBB136_336
; %bb.335:                              ;   in Loop: Header=BB136_3 Depth=1
	ds_load_b64 v[36:37], v5 offset:23400
	s_wait_dscnt 0x0
	v_mul_f64_e32 v[34:35], v[34:35], v[36:37]
	s_delay_alu instid0(VALU_DEP_1) | instskip(NEXT) | instid1(VALU_DEP_2)
	v_xor_b32_e32 v37, 0x80000000, v35
	v_mov_b32_e32 v36, v34
	ds_store_b64 v3, v[36:37]
.LBB136_336:                            ;   in Loop: Header=BB136_3 Depth=1
	s_or_b32 exec_lo, exec_lo, s6
	s_wait_loadcnt_dscnt 0x0
	s_barrier_signal -1
	s_barrier_wait -1
	s_and_saveexec_b32 s6, s104
	s_cbranch_execz .LBB136_338
; %bb.337:                              ;   in Loop: Header=BB136_3 Depth=1
	ds_load_b64 v[36:37], v5 offset:23392
	ds_load_b64 v[38:39], v3
	s_wait_dscnt 0x0
	v_fma_f64 v[34:35], -v[36:37], v[38:39], v[34:35]
.LBB136_338:                            ;   in Loop: Header=BB136_3 Depth=1
	s_or_b32 exec_lo, exec_lo, s6
	s_barrier_signal -1
	s_barrier_wait -1
	s_and_saveexec_b32 s6, s104
	s_cbranch_execz .LBB136_340
; %bb.339:                              ;   in Loop: Header=BB136_3 Depth=1
	ds_load_b64 v[36:37], v5 offset:22880
	s_wait_dscnt 0x0
	v_mul_f64_e32 v[34:35], v[34:35], v[36:37]
	s_delay_alu instid0(VALU_DEP_1) | instskip(NEXT) | instid1(VALU_DEP_2)
	v_xor_b32_e32 v37, 0x80000000, v35
	v_mov_b32_e32 v36, v34
	ds_store_b64 v3, v[36:37]
.LBB136_340:                            ;   in Loop: Header=BB136_3 Depth=1
	s_or_b32 exec_lo, exec_lo, s6
	s_wait_dscnt 0x0
	s_barrier_signal -1
	s_barrier_wait -1
	s_barrier_signal -1
	s_barrier_wait -1
	s_and_saveexec_b32 s6, s1
; %bb.341:                              ;   in Loop: Header=BB136_3 Depth=1
	ds_store_b64 v46, v[34:35] offset:24416
; %bb.342:                              ;   in Loop: Header=BB136_3 Depth=1
	s_or_b32 exec_lo, exec_lo, s6
	s_wait_dscnt 0x0
	s_barrier_signal -1
	s_barrier_wait -1
	s_barrier_signal -1
	s_barrier_wait -1
	s_and_saveexec_b32 s6, s14
	s_cbranch_execz .LBB136_344
; %bb.343:                              ;   in Loop: Header=BB136_3 Depth=1
	ds_load_b128 v[34:37], v5 offset:23392
	ds_load_b64 v[38:39], v5 offset:22880
	s_wait_dscnt 0x0
	v_mul_f64_e32 v[36:37], v[38:39], v[36:37]
	s_delay_alu instid0(VALU_DEP_1)
	v_mul_f64_e32 v[34:35], v[34:35], v[36:37]
	ds_store_b64 v5, v[34:35] offset:23392
.LBB136_344:                            ;   in Loop: Header=BB136_3 Depth=1
	s_or_b32 exec_lo, exec_lo, s6
	v_mov_b64_e32 v[34:35], 0
	s_wait_dscnt 0x0
	s_barrier_signal -1
	s_barrier_wait -1
	global_wb scope:SCOPE_DEV
	s_wait_storecnt 0x0
	global_inv scope:SCOPE_DEV
	s_and_saveexec_b32 s10, s2
	s_cbranch_execz .LBB136_350
; %bb.345:                              ;   in Loop: Header=BB136_3 Depth=1
	ds_load_b64 v[34:35], v49 offset:22848
	ds_load_b64 v[36:37], v48 offset:24416
	s_wait_dscnt 0x0
	v_fma_f64 v[34:35], v[34:35], v[36:37], 0
	s_and_saveexec_b32 s6, s16
	s_cbranch_execnz .LBB136_1051
; %bb.346:                              ;   in Loop: Header=BB136_3 Depth=1
	s_or_b32 exec_lo, exec_lo, s6
	s_and_saveexec_b32 s6, s17
	s_cbranch_execnz .LBB136_1052
.LBB136_347:                            ;   in Loop: Header=BB136_3 Depth=1
	s_or_b32 exec_lo, exec_lo, s6
	s_and_saveexec_b32 s6, s1
	s_cbranch_execz .LBB136_349
.LBB136_348:                            ;   in Loop: Header=BB136_3 Depth=1
	ds_load_b64 v[36:37], v45 offset:24384
	ds_load_b64 v[38:39], v5 offset:24440
	s_wait_dscnt 0x0
	v_fmac_f64_e32 v[34:35], v[36:37], v[38:39]
.LBB136_349:                            ;   in Loop: Header=BB136_3 Depth=1
	s_or_b32 exec_lo, exec_lo, s6
.LBB136_350:                            ;   in Loop: Header=BB136_3 Depth=1
	s_delay_alu instid0(SALU_CYCLE_1)
	s_or_b32 exec_lo, exec_lo, s10
	s_and_saveexec_b32 s6, vcc_hi
	s_cbranch_execz .LBB136_352
; %bb.351:                              ;   in Loop: Header=BB136_3 Depth=1
	ds_load_b64 v[36:37], v5 offset:22360
	s_wait_dscnt 0x0
	v_mul_f64_e32 v[34:35], v[34:35], v[36:37]
	s_delay_alu instid0(VALU_DEP_1) | instskip(NEXT) | instid1(VALU_DEP_2)
	v_xor_b32_e32 v37, 0x80000000, v35
	v_mov_b32_e32 v36, v34
	ds_store_b64 v47, v[36:37]
.LBB136_352:                            ;   in Loop: Header=BB136_3 Depth=1
	s_or_b32 exec_lo, exec_lo, s6
	s_wait_loadcnt_dscnt 0x0
	s_barrier_signal -1
	s_barrier_wait -1
	s_and_saveexec_b32 s6, s36
	s_cbranch_execz .LBB136_354
; %bb.353:                              ;   in Loop: Header=BB136_3 Depth=1
	ds_load_b64 v[36:37], v49 offset:22336
	ds_load_b64 v[38:39], v47
	s_wait_dscnt 0x0
	v_fma_f64 v[34:35], -v[36:37], v[38:39], v[34:35]
.LBB136_354:                            ;   in Loop: Header=BB136_3 Depth=1
	s_or_b32 exec_lo, exec_lo, s6
	s_barrier_signal -1
	s_barrier_wait -1
	s_and_saveexec_b32 s6, s37
	s_cbranch_execz .LBB136_356
; %bb.355:                              ;   in Loop: Header=BB136_3 Depth=1
	ds_load_b64 v[36:37], v5 offset:21840
	s_wait_dscnt 0x0
	v_mul_f64_e32 v[34:35], v[34:35], v[36:37]
	s_delay_alu instid0(VALU_DEP_1) | instskip(NEXT) | instid1(VALU_DEP_2)
	v_xor_b32_e32 v37, 0x80000000, v35
	v_mov_b32_e32 v36, v34
	ds_store_b64 v47, v[36:37]
.LBB136_356:                            ;   in Loop: Header=BB136_3 Depth=1
	s_or_b32 exec_lo, exec_lo, s6
	s_wait_dscnt 0x0
	s_barrier_signal -1
	s_barrier_wait -1
	s_and_saveexec_b32 s6, s38
	s_cbranch_execz .LBB136_358
; %bb.357:                              ;   in Loop: Header=BB136_3 Depth=1
	ds_load_b64 v[36:37], v49 offset:21824
	ds_load_b64 v[38:39], v47
	s_wait_dscnt 0x0
	v_fma_f64 v[34:35], -v[36:37], v[38:39], v[34:35]
.LBB136_358:                            ;   in Loop: Header=BB136_3 Depth=1
	s_or_b32 exec_lo, exec_lo, s6
	s_barrier_signal -1
	s_barrier_wait -1
	s_and_saveexec_b32 s6, s39
	s_cbranch_execz .LBB136_360
; %bb.359:                              ;   in Loop: Header=BB136_3 Depth=1
	ds_load_b64 v[36:37], v5 offset:21320
	s_wait_dscnt 0x0
	v_mul_f64_e32 v[34:35], v[34:35], v[36:37]
	s_delay_alu instid0(VALU_DEP_1) | instskip(NEXT) | instid1(VALU_DEP_2)
	v_xor_b32_e32 v37, 0x80000000, v35
	v_mov_b32_e32 v36, v34
	ds_store_b64 v47, v[36:37]
.LBB136_360:                            ;   in Loop: Header=BB136_3 Depth=1
	s_or_b32 exec_lo, exec_lo, s6
	s_wait_dscnt 0x0
	;; [unrolled: 26-line block ×3, first 2 shown]
	s_barrier_signal -1
	s_barrier_wait -1
	s_barrier_signal -1
	s_barrier_wait -1
	s_and_saveexec_b32 s6, s2
; %bb.365:                              ;   in Loop: Header=BB136_3 Depth=1
	ds_store_b64 v50, v[34:35] offset:24384
; %bb.366:                              ;   in Loop: Header=BB136_3 Depth=1
	s_or_b32 exec_lo, exec_lo, s6
	s_wait_dscnt 0x0
	s_barrier_signal -1
	s_barrier_wait -1
	s_barrier_signal -1
	s_barrier_wait -1
	s_and_saveexec_b32 s6, s14
	s_cbranch_execz .LBB136_368
; %bb.367:                              ;   in Loop: Header=BB136_3 Depth=1
	ds_load_b128 v[34:37], v5 offset:22352
	ds_load_b64 v[38:39], v5 offset:21840
	s_wait_dscnt 0x0
	v_mul_f64_e32 v[36:37], v[38:39], v[36:37]
	s_delay_alu instid0(VALU_DEP_1)
	v_mul_f64_e32 v[34:35], v[34:35], v[36:37]
	ds_store_b64 v5, v[34:35] offset:22352
.LBB136_368:                            ;   in Loop: Header=BB136_3 Depth=1
	s_or_b32 exec_lo, exec_lo, s6
	v_mov_b64_e32 v[34:35], 0
	s_wait_dscnt 0x0
	s_barrier_signal -1
	s_barrier_wait -1
	global_wb scope:SCOPE_DEV
	s_wait_storecnt 0x0
	global_inv scope:SCOPE_DEV
	s_and_saveexec_b32 s6, s1
	s_cbranch_execz .LBB136_372
; %bb.369:                              ;   in Loop: Header=BB136_3 Depth=1
	ds_load_b64 v[34:35], v44 offset:21824
	ds_load_b64 v[36:37], v43 offset:22352
	s_wait_dscnt 0x0
	v_fma_f64 v[34:35], v[34:35], v[36:37], 0
	s_and_saveexec_b32 s7, s15
	s_cbranch_execz .LBB136_371
; %bb.370:                              ;   in Loop: Header=BB136_3 Depth=1
	ds_load_b64 v[36:37], v45 offset:22336
	ds_load_b64 v[38:39], v5 offset:22360
	s_wait_dscnt 0x0
	v_fmac_f64_e32 v[34:35], v[36:37], v[38:39]
.LBB136_371:                            ;   in Loop: Header=BB136_3 Depth=1
	s_or_b32 exec_lo, exec_lo, s7
.LBB136_372:                            ;   in Loop: Header=BB136_3 Depth=1
	s_delay_alu instid0(SALU_CYCLE_1)
	s_or_b32 exec_lo, exec_lo, s6
	s_and_saveexec_b32 s6, s103
	s_cbranch_execz .LBB136_374
; %bb.373:                              ;   in Loop: Header=BB136_3 Depth=1
	ds_load_b64 v[36:37], v5 offset:21320
	s_wait_dscnt 0x0
	v_mul_f64_e32 v[34:35], v[34:35], v[36:37]
	s_delay_alu instid0(VALU_DEP_1) | instskip(NEXT) | instid1(VALU_DEP_2)
	v_xor_b32_e32 v37, 0x80000000, v35
	v_mov_b32_e32 v36, v34
	ds_store_b64 v3, v[36:37]
.LBB136_374:                            ;   in Loop: Header=BB136_3 Depth=1
	s_or_b32 exec_lo, exec_lo, s6
	s_wait_loadcnt_dscnt 0x0
	s_barrier_signal -1
	s_barrier_wait -1
	s_and_saveexec_b32 s6, s104
	s_cbranch_execz .LBB136_376
; %bb.375:                              ;   in Loop: Header=BB136_3 Depth=1
	ds_load_b64 v[36:37], v5 offset:21312
	ds_load_b64 v[38:39], v3
	s_wait_dscnt 0x0
	v_fma_f64 v[34:35], -v[36:37], v[38:39], v[34:35]
.LBB136_376:                            ;   in Loop: Header=BB136_3 Depth=1
	s_or_b32 exec_lo, exec_lo, s6
	s_barrier_signal -1
	s_barrier_wait -1
	s_and_saveexec_b32 s6, s104
	s_cbranch_execz .LBB136_378
; %bb.377:                              ;   in Loop: Header=BB136_3 Depth=1
	ds_load_b64 v[36:37], v5 offset:20800
	s_wait_dscnt 0x0
	v_mul_f64_e32 v[34:35], v[34:35], v[36:37]
	s_delay_alu instid0(VALU_DEP_1) | instskip(NEXT) | instid1(VALU_DEP_2)
	v_xor_b32_e32 v37, 0x80000000, v35
	v_mov_b32_e32 v36, v34
	ds_store_b64 v3, v[36:37]
.LBB136_378:                            ;   in Loop: Header=BB136_3 Depth=1
	s_or_b32 exec_lo, exec_lo, s6
	s_wait_dscnt 0x0
	s_barrier_signal -1
	s_barrier_wait -1
	s_barrier_signal -1
	s_barrier_wait -1
	s_and_saveexec_b32 s6, s1
; %bb.379:                              ;   in Loop: Header=BB136_3 Depth=1
	ds_store_b64 v46, v[34:35] offset:22336
; %bb.380:                              ;   in Loop: Header=BB136_3 Depth=1
	s_or_b32 exec_lo, exec_lo, s6
	s_wait_dscnt 0x0
	s_barrier_signal -1
	s_barrier_wait -1
	s_barrier_signal -1
	s_barrier_wait -1
	s_and_saveexec_b32 s6, s14
	s_cbranch_execz .LBB136_382
; %bb.381:                              ;   in Loop: Header=BB136_3 Depth=1
	ds_load_b128 v[34:37], v5 offset:21312
	ds_load_b64 v[38:39], v5 offset:20800
	s_wait_dscnt 0x0
	v_mul_f64_e32 v[36:37], v[38:39], v[36:37]
	s_delay_alu instid0(VALU_DEP_1)
	v_mul_f64_e32 v[34:35], v[34:35], v[36:37]
	ds_store_b64 v5, v[34:35] offset:21312
.LBB136_382:                            ;   in Loop: Header=BB136_3 Depth=1
	s_or_b32 exec_lo, exec_lo, s6
	v_mov_b64_e32 v[34:35], 0
	s_wait_dscnt 0x0
	s_barrier_signal -1
	s_barrier_wait -1
	global_wb scope:SCOPE_DEV
	s_wait_storecnt 0x0
	global_inv scope:SCOPE_DEV
	s_and_saveexec_b32 s10, s3
	s_cbranch_execz .LBB136_392
; %bb.383:                              ;   in Loop: Header=BB136_3 Depth=1
	ds_load_b64 v[34:35], v53 offset:20736
	ds_load_b64 v[36:37], v52 offset:24384
	s_wait_dscnt 0x0
	v_fma_f64 v[34:35], v[34:35], v[36:37], 0
	s_and_saveexec_b32 s6, s18
	s_cbranch_execnz .LBB136_1053
; %bb.384:                              ;   in Loop: Header=BB136_3 Depth=1
	s_or_b32 exec_lo, exec_lo, s6
	s_and_saveexec_b32 s6, s19
	s_cbranch_execnz .LBB136_1054
.LBB136_385:                            ;   in Loop: Header=BB136_3 Depth=1
	s_or_b32 exec_lo, exec_lo, s6
	s_and_saveexec_b32 s6, s20
	s_cbranch_execnz .LBB136_1055
.LBB136_386:                            ;   in Loop: Header=BB136_3 Depth=1
	s_or_b32 exec_lo, exec_lo, s6
	s_and_saveexec_b32 s6, s21
	s_cbranch_execnz .LBB136_1056
.LBB136_387:                            ;   in Loop: Header=BB136_3 Depth=1
	s_or_b32 exec_lo, exec_lo, s6
	s_and_saveexec_b32 s6, s22
	s_cbranch_execnz .LBB136_1057
.LBB136_388:                            ;   in Loop: Header=BB136_3 Depth=1
	s_or_b32 exec_lo, exec_lo, s6
	s_and_saveexec_b32 s6, s2
	s_cbranch_execnz .LBB136_1058
.LBB136_389:                            ;   in Loop: Header=BB136_3 Depth=1
	s_or_b32 exec_lo, exec_lo, s6
	s_and_saveexec_b32 s6, s17
	s_cbranch_execz .LBB136_391
.LBB136_390:                            ;   in Loop: Header=BB136_3 Depth=1
	ds_load_b64 v[36:37], v45 offset:24320
	ds_load_b64 v[38:39], v5 offset:24440
	s_wait_dscnt 0x0
	v_fmac_f64_e32 v[34:35], v[36:37], v[38:39]
.LBB136_391:                            ;   in Loop: Header=BB136_3 Depth=1
	s_or_b32 exec_lo, exec_lo, s6
.LBB136_392:                            ;   in Loop: Header=BB136_3 Depth=1
	s_delay_alu instid0(SALU_CYCLE_1)
	s_or_b32 exec_lo, exec_lo, s10
	s_and_saveexec_b32 s6, s41
	s_cbranch_execz .LBB136_394
; %bb.393:                              ;   in Loop: Header=BB136_3 Depth=1
	ds_load_b64 v[36:37], v5 offset:20280
	s_wait_dscnt 0x0
	v_mul_f64_e32 v[34:35], v[34:35], v[36:37]
	s_delay_alu instid0(VALU_DEP_1) | instskip(NEXT) | instid1(VALU_DEP_2)
	v_xor_b32_e32 v37, 0x80000000, v35
	v_mov_b32_e32 v36, v34
	ds_store_b64 v51, v[36:37]
.LBB136_394:                            ;   in Loop: Header=BB136_3 Depth=1
	s_or_b32 exec_lo, exec_lo, s6
	s_wait_loadcnt_dscnt 0x0
	s_barrier_signal -1
	s_barrier_wait -1
	s_and_saveexec_b32 s6, s42
	s_cbranch_execz .LBB136_396
; %bb.395:                              ;   in Loop: Header=BB136_3 Depth=1
	ds_load_b64 v[36:37], v53 offset:20224
	ds_load_b64 v[38:39], v51
	s_wait_dscnt 0x0
	v_fma_f64 v[34:35], -v[36:37], v[38:39], v[34:35]
.LBB136_396:                            ;   in Loop: Header=BB136_3 Depth=1
	s_or_b32 exec_lo, exec_lo, s6
	s_barrier_signal -1
	s_barrier_wait -1
	s_and_saveexec_b32 s6, s43
	s_cbranch_execz .LBB136_398
; %bb.397:                              ;   in Loop: Header=BB136_3 Depth=1
	ds_load_b64 v[36:37], v5 offset:19760
	s_wait_dscnt 0x0
	v_mul_f64_e32 v[34:35], v[34:35], v[36:37]
	s_delay_alu instid0(VALU_DEP_1) | instskip(NEXT) | instid1(VALU_DEP_2)
	v_xor_b32_e32 v37, 0x80000000, v35
	v_mov_b32_e32 v36, v34
	ds_store_b64 v51, v[36:37]
.LBB136_398:                            ;   in Loop: Header=BB136_3 Depth=1
	s_or_b32 exec_lo, exec_lo, s6
	s_wait_dscnt 0x0
	s_barrier_signal -1
	s_barrier_wait -1
	s_and_saveexec_b32 s6, s44
	s_cbranch_execz .LBB136_400
; %bb.399:                              ;   in Loop: Header=BB136_3 Depth=1
	ds_load_b64 v[36:37], v53 offset:19712
	ds_load_b64 v[38:39], v51
	s_wait_dscnt 0x0
	v_fma_f64 v[34:35], -v[36:37], v[38:39], v[34:35]
.LBB136_400:                            ;   in Loop: Header=BB136_3 Depth=1
	s_or_b32 exec_lo, exec_lo, s6
	s_barrier_signal -1
	s_barrier_wait -1
	s_and_saveexec_b32 s6, s45
	s_cbranch_execz .LBB136_402
; %bb.401:                              ;   in Loop: Header=BB136_3 Depth=1
	ds_load_b64 v[36:37], v5 offset:19240
	s_wait_dscnt 0x0
	v_mul_f64_e32 v[34:35], v[34:35], v[36:37]
	s_delay_alu instid0(VALU_DEP_1) | instskip(NEXT) | instid1(VALU_DEP_2)
	v_xor_b32_e32 v37, 0x80000000, v35
	v_mov_b32_e32 v36, v34
	ds_store_b64 v51, v[36:37]
.LBB136_402:                            ;   in Loop: Header=BB136_3 Depth=1
	s_or_b32 exec_lo, exec_lo, s6
	s_wait_dscnt 0x0
	;; [unrolled: 26-line block ×7, first 2 shown]
	s_barrier_signal -1
	s_barrier_wait -1
	s_barrier_signal -1
	s_barrier_wait -1
	s_and_saveexec_b32 s6, s3
; %bb.423:                              ;   in Loop: Header=BB136_3 Depth=1
	ds_store_b64 v54, v[34:35] offset:24320
; %bb.424:                              ;   in Loop: Header=BB136_3 Depth=1
	s_or_b32 exec_lo, exec_lo, s6
	s_wait_dscnt 0x0
	s_barrier_signal -1
	s_barrier_wait -1
	s_barrier_signal -1
	s_barrier_wait -1
	s_and_saveexec_b32 s6, s14
	s_cbranch_execz .LBB136_426
; %bb.425:                              ;   in Loop: Header=BB136_3 Depth=1
	ds_load_b128 v[34:37], v5 offset:20272
	ds_load_b64 v[38:39], v5 offset:19760
	s_wait_dscnt 0x0
	v_mul_f64_e32 v[36:37], v[38:39], v[36:37]
	s_delay_alu instid0(VALU_DEP_1)
	v_mul_f64_e32 v[34:35], v[34:35], v[36:37]
	ds_store_b64 v5, v[34:35] offset:20272
.LBB136_426:                            ;   in Loop: Header=BB136_3 Depth=1
	s_or_b32 exec_lo, exec_lo, s6
	v_mov_b64_e32 v[34:35], 0
	s_wait_dscnt 0x0
	s_barrier_signal -1
	s_barrier_wait -1
	global_wb scope:SCOPE_DEV
	s_wait_storecnt 0x0
	global_inv scope:SCOPE_DEV
	s_and_saveexec_b32 s6, s1
	s_cbranch_execz .LBB136_430
; %bb.427:                              ;   in Loop: Header=BB136_3 Depth=1
	ds_load_b64 v[34:35], v44 offset:19744
	ds_load_b64 v[36:37], v43 offset:20272
	s_wait_dscnt 0x0
	v_fma_f64 v[34:35], v[34:35], v[36:37], 0
	s_and_saveexec_b32 s7, s15
	s_cbranch_execz .LBB136_429
; %bb.428:                              ;   in Loop: Header=BB136_3 Depth=1
	ds_load_b64 v[36:37], v45 offset:20256
	ds_load_b64 v[38:39], v5 offset:20280
	s_wait_dscnt 0x0
	v_fmac_f64_e32 v[34:35], v[36:37], v[38:39]
.LBB136_429:                            ;   in Loop: Header=BB136_3 Depth=1
	s_or_b32 exec_lo, exec_lo, s7
.LBB136_430:                            ;   in Loop: Header=BB136_3 Depth=1
	s_delay_alu instid0(SALU_CYCLE_1)
	s_or_b32 exec_lo, exec_lo, s6
	s_and_saveexec_b32 s6, s103
	s_cbranch_execz .LBB136_432
; %bb.431:                              ;   in Loop: Header=BB136_3 Depth=1
	ds_load_b64 v[36:37], v5 offset:19240
	s_wait_dscnt 0x0
	v_mul_f64_e32 v[34:35], v[34:35], v[36:37]
	s_delay_alu instid0(VALU_DEP_1) | instskip(NEXT) | instid1(VALU_DEP_2)
	v_xor_b32_e32 v37, 0x80000000, v35
	v_mov_b32_e32 v36, v34
	ds_store_b64 v3, v[36:37]
.LBB136_432:                            ;   in Loop: Header=BB136_3 Depth=1
	s_or_b32 exec_lo, exec_lo, s6
	s_wait_loadcnt_dscnt 0x0
	s_barrier_signal -1
	s_barrier_wait -1
	s_and_saveexec_b32 s6, s104
	s_cbranch_execz .LBB136_434
; %bb.433:                              ;   in Loop: Header=BB136_3 Depth=1
	ds_load_b64 v[36:37], v5 offset:19232
	ds_load_b64 v[38:39], v3
	s_wait_dscnt 0x0
	v_fma_f64 v[34:35], -v[36:37], v[38:39], v[34:35]
.LBB136_434:                            ;   in Loop: Header=BB136_3 Depth=1
	s_or_b32 exec_lo, exec_lo, s6
	s_barrier_signal -1
	s_barrier_wait -1
	s_and_saveexec_b32 s6, s104
	s_cbranch_execz .LBB136_436
; %bb.435:                              ;   in Loop: Header=BB136_3 Depth=1
	ds_load_b64 v[36:37], v5 offset:18720
	s_wait_dscnt 0x0
	v_mul_f64_e32 v[34:35], v[34:35], v[36:37]
	s_delay_alu instid0(VALU_DEP_1) | instskip(NEXT) | instid1(VALU_DEP_2)
	v_xor_b32_e32 v37, 0x80000000, v35
	v_mov_b32_e32 v36, v34
	ds_store_b64 v3, v[36:37]
.LBB136_436:                            ;   in Loop: Header=BB136_3 Depth=1
	s_or_b32 exec_lo, exec_lo, s6
	s_wait_dscnt 0x0
	s_barrier_signal -1
	s_barrier_wait -1
	s_barrier_signal -1
	s_barrier_wait -1
	s_and_saveexec_b32 s6, s1
; %bb.437:                              ;   in Loop: Header=BB136_3 Depth=1
	ds_store_b64 v46, v[34:35] offset:20256
; %bb.438:                              ;   in Loop: Header=BB136_3 Depth=1
	s_or_b32 exec_lo, exec_lo, s6
	s_wait_dscnt 0x0
	s_barrier_signal -1
	s_barrier_wait -1
	s_barrier_signal -1
	s_barrier_wait -1
	s_and_saveexec_b32 s6, s14
	s_cbranch_execz .LBB136_440
; %bb.439:                              ;   in Loop: Header=BB136_3 Depth=1
	ds_load_b128 v[34:37], v5 offset:19232
	ds_load_b64 v[38:39], v5 offset:18720
	s_wait_dscnt 0x0
	v_mul_f64_e32 v[36:37], v[38:39], v[36:37]
	s_delay_alu instid0(VALU_DEP_1)
	v_mul_f64_e32 v[34:35], v[34:35], v[36:37]
	ds_store_b64 v5, v[34:35] offset:19232
.LBB136_440:                            ;   in Loop: Header=BB136_3 Depth=1
	s_or_b32 exec_lo, exec_lo, s6
	v_mov_b64_e32 v[34:35], 0
	s_wait_dscnt 0x0
	s_barrier_signal -1
	s_barrier_wait -1
	global_wb scope:SCOPE_DEV
	s_wait_storecnt 0x0
	global_inv scope:SCOPE_DEV
	s_and_saveexec_b32 s10, s2
	s_cbranch_execz .LBB136_446
; %bb.441:                              ;   in Loop: Header=BB136_3 Depth=1
	ds_load_b64 v[34:35], v49 offset:18688
	ds_load_b64 v[36:37], v48 offset:20256
	s_wait_dscnt 0x0
	v_fma_f64 v[34:35], v[34:35], v[36:37], 0
	s_and_saveexec_b32 s6, s16
	s_cbranch_execnz .LBB136_1059
; %bb.442:                              ;   in Loop: Header=BB136_3 Depth=1
	s_or_b32 exec_lo, exec_lo, s6
	s_and_saveexec_b32 s6, s17
	s_cbranch_execnz .LBB136_1060
.LBB136_443:                            ;   in Loop: Header=BB136_3 Depth=1
	s_or_b32 exec_lo, exec_lo, s6
	s_and_saveexec_b32 s6, s1
	s_cbranch_execz .LBB136_445
.LBB136_444:                            ;   in Loop: Header=BB136_3 Depth=1
	ds_load_b64 v[36:37], v45 offset:20224
	ds_load_b64 v[38:39], v5 offset:20280
	s_wait_dscnt 0x0
	v_fmac_f64_e32 v[34:35], v[36:37], v[38:39]
.LBB136_445:                            ;   in Loop: Header=BB136_3 Depth=1
	s_or_b32 exec_lo, exec_lo, s6
.LBB136_446:                            ;   in Loop: Header=BB136_3 Depth=1
	s_delay_alu instid0(SALU_CYCLE_1)
	s_or_b32 exec_lo, exec_lo, s10
	s_and_saveexec_b32 s6, vcc_hi
	s_cbranch_execz .LBB136_448
; %bb.447:                              ;   in Loop: Header=BB136_3 Depth=1
	ds_load_b64 v[36:37], v5 offset:18200
	s_wait_dscnt 0x0
	v_mul_f64_e32 v[34:35], v[34:35], v[36:37]
	s_delay_alu instid0(VALU_DEP_1) | instskip(NEXT) | instid1(VALU_DEP_2)
	v_xor_b32_e32 v37, 0x80000000, v35
	v_mov_b32_e32 v36, v34
	ds_store_b64 v47, v[36:37]
.LBB136_448:                            ;   in Loop: Header=BB136_3 Depth=1
	s_or_b32 exec_lo, exec_lo, s6
	s_wait_loadcnt_dscnt 0x0
	s_barrier_signal -1
	s_barrier_wait -1
	s_and_saveexec_b32 s6, s36
	s_cbranch_execz .LBB136_450
; %bb.449:                              ;   in Loop: Header=BB136_3 Depth=1
	ds_load_b64 v[36:37], v49 offset:18176
	ds_load_b64 v[38:39], v47
	s_wait_dscnt 0x0
	v_fma_f64 v[34:35], -v[36:37], v[38:39], v[34:35]
.LBB136_450:                            ;   in Loop: Header=BB136_3 Depth=1
	s_or_b32 exec_lo, exec_lo, s6
	s_barrier_signal -1
	s_barrier_wait -1
	s_and_saveexec_b32 s6, s37
	s_cbranch_execz .LBB136_452
; %bb.451:                              ;   in Loop: Header=BB136_3 Depth=1
	ds_load_b64 v[36:37], v5 offset:17680
	s_wait_dscnt 0x0
	v_mul_f64_e32 v[34:35], v[34:35], v[36:37]
	s_delay_alu instid0(VALU_DEP_1) | instskip(NEXT) | instid1(VALU_DEP_2)
	v_xor_b32_e32 v37, 0x80000000, v35
	v_mov_b32_e32 v36, v34
	ds_store_b64 v47, v[36:37]
.LBB136_452:                            ;   in Loop: Header=BB136_3 Depth=1
	s_or_b32 exec_lo, exec_lo, s6
	s_wait_dscnt 0x0
	s_barrier_signal -1
	s_barrier_wait -1
	s_and_saveexec_b32 s6, s38
	s_cbranch_execz .LBB136_454
; %bb.453:                              ;   in Loop: Header=BB136_3 Depth=1
	ds_load_b64 v[36:37], v49 offset:17664
	ds_load_b64 v[38:39], v47
	s_wait_dscnt 0x0
	v_fma_f64 v[34:35], -v[36:37], v[38:39], v[34:35]
.LBB136_454:                            ;   in Loop: Header=BB136_3 Depth=1
	s_or_b32 exec_lo, exec_lo, s6
	s_barrier_signal -1
	s_barrier_wait -1
	s_and_saveexec_b32 s6, s39
	s_cbranch_execz .LBB136_456
; %bb.455:                              ;   in Loop: Header=BB136_3 Depth=1
	ds_load_b64 v[36:37], v5 offset:17160
	s_wait_dscnt 0x0
	v_mul_f64_e32 v[34:35], v[34:35], v[36:37]
	s_delay_alu instid0(VALU_DEP_1) | instskip(NEXT) | instid1(VALU_DEP_2)
	v_xor_b32_e32 v37, 0x80000000, v35
	v_mov_b32_e32 v36, v34
	ds_store_b64 v47, v[36:37]
.LBB136_456:                            ;   in Loop: Header=BB136_3 Depth=1
	s_or_b32 exec_lo, exec_lo, s6
	s_wait_dscnt 0x0
	;; [unrolled: 26-line block ×3, first 2 shown]
	s_barrier_signal -1
	s_barrier_wait -1
	s_barrier_signal -1
	s_barrier_wait -1
	s_and_saveexec_b32 s6, s2
; %bb.461:                              ;   in Loop: Header=BB136_3 Depth=1
	ds_store_b64 v50, v[34:35] offset:20224
; %bb.462:                              ;   in Loop: Header=BB136_3 Depth=1
	s_or_b32 exec_lo, exec_lo, s6
	s_wait_dscnt 0x0
	s_barrier_signal -1
	s_barrier_wait -1
	s_barrier_signal -1
	s_barrier_wait -1
	s_and_saveexec_b32 s6, s14
	s_cbranch_execz .LBB136_464
; %bb.463:                              ;   in Loop: Header=BB136_3 Depth=1
	ds_load_b128 v[34:37], v5 offset:18192
	ds_load_b64 v[38:39], v5 offset:17680
	s_wait_dscnt 0x0
	v_mul_f64_e32 v[36:37], v[38:39], v[36:37]
	s_delay_alu instid0(VALU_DEP_1)
	v_mul_f64_e32 v[34:35], v[34:35], v[36:37]
	ds_store_b64 v5, v[34:35] offset:18192
.LBB136_464:                            ;   in Loop: Header=BB136_3 Depth=1
	s_or_b32 exec_lo, exec_lo, s6
	v_mov_b64_e32 v[34:35], 0
	s_wait_dscnt 0x0
	s_barrier_signal -1
	s_barrier_wait -1
	global_wb scope:SCOPE_DEV
	s_wait_storecnt 0x0
	global_inv scope:SCOPE_DEV
	s_and_saveexec_b32 s6, s1
	s_cbranch_execz .LBB136_468
; %bb.465:                              ;   in Loop: Header=BB136_3 Depth=1
	ds_load_b64 v[34:35], v44 offset:17664
	ds_load_b64 v[36:37], v43 offset:18192
	s_wait_dscnt 0x0
	v_fma_f64 v[34:35], v[34:35], v[36:37], 0
	s_and_saveexec_b32 s7, s15
	s_cbranch_execz .LBB136_467
; %bb.466:                              ;   in Loop: Header=BB136_3 Depth=1
	ds_load_b64 v[36:37], v45 offset:18176
	ds_load_b64 v[38:39], v5 offset:18200
	s_wait_dscnt 0x0
	v_fmac_f64_e32 v[34:35], v[36:37], v[38:39]
.LBB136_467:                            ;   in Loop: Header=BB136_3 Depth=1
	s_or_b32 exec_lo, exec_lo, s7
.LBB136_468:                            ;   in Loop: Header=BB136_3 Depth=1
	s_delay_alu instid0(SALU_CYCLE_1)
	s_or_b32 exec_lo, exec_lo, s6
	s_and_saveexec_b32 s6, s103
	s_cbranch_execz .LBB136_470
; %bb.469:                              ;   in Loop: Header=BB136_3 Depth=1
	ds_load_b64 v[36:37], v5 offset:17160
	s_wait_dscnt 0x0
	v_mul_f64_e32 v[34:35], v[34:35], v[36:37]
	s_delay_alu instid0(VALU_DEP_1) | instskip(NEXT) | instid1(VALU_DEP_2)
	v_xor_b32_e32 v37, 0x80000000, v35
	v_mov_b32_e32 v36, v34
	ds_store_b64 v3, v[36:37]
.LBB136_470:                            ;   in Loop: Header=BB136_3 Depth=1
	s_or_b32 exec_lo, exec_lo, s6
	s_wait_loadcnt_dscnt 0x0
	s_barrier_signal -1
	s_barrier_wait -1
	s_and_saveexec_b32 s6, s104
	s_cbranch_execz .LBB136_472
; %bb.471:                              ;   in Loop: Header=BB136_3 Depth=1
	ds_load_b64 v[36:37], v5 offset:17152
	ds_load_b64 v[38:39], v3
	s_wait_dscnt 0x0
	v_fma_f64 v[34:35], -v[36:37], v[38:39], v[34:35]
.LBB136_472:                            ;   in Loop: Header=BB136_3 Depth=1
	s_or_b32 exec_lo, exec_lo, s6
	s_barrier_signal -1
	s_barrier_wait -1
	s_and_saveexec_b32 s6, s104
	s_cbranch_execz .LBB136_474
; %bb.473:                              ;   in Loop: Header=BB136_3 Depth=1
	ds_load_b64 v[36:37], v5 offset:16640
	s_wait_dscnt 0x0
	v_mul_f64_e32 v[34:35], v[34:35], v[36:37]
	s_delay_alu instid0(VALU_DEP_1) | instskip(NEXT) | instid1(VALU_DEP_2)
	v_xor_b32_e32 v37, 0x80000000, v35
	v_mov_b32_e32 v36, v34
	ds_store_b64 v3, v[36:37]
.LBB136_474:                            ;   in Loop: Header=BB136_3 Depth=1
	s_or_b32 exec_lo, exec_lo, s6
	s_wait_dscnt 0x0
	s_barrier_signal -1
	s_barrier_wait -1
	s_barrier_signal -1
	s_barrier_wait -1
	s_and_saveexec_b32 s6, s1
; %bb.475:                              ;   in Loop: Header=BB136_3 Depth=1
	ds_store_b64 v46, v[34:35] offset:18176
; %bb.476:                              ;   in Loop: Header=BB136_3 Depth=1
	s_or_b32 exec_lo, exec_lo, s6
	s_wait_dscnt 0x0
	s_barrier_signal -1
	s_barrier_wait -1
	s_barrier_signal -1
	s_barrier_wait -1
	s_and_saveexec_b32 s6, s14
	s_cbranch_execz .LBB136_478
; %bb.477:                              ;   in Loop: Header=BB136_3 Depth=1
	ds_load_b128 v[34:37], v5 offset:17152
	ds_load_b64 v[38:39], v5 offset:16640
	s_wait_dscnt 0x0
	v_mul_f64_e32 v[36:37], v[38:39], v[36:37]
	s_delay_alu instid0(VALU_DEP_1)
	v_mul_f64_e32 v[34:35], v[34:35], v[36:37]
	ds_store_b64 v5, v[34:35] offset:17152
.LBB136_478:                            ;   in Loop: Header=BB136_3 Depth=1
	s_or_b32 exec_lo, exec_lo, s6
	v_mov_b64_e32 v[34:35], 0
	s_wait_dscnt 0x0
	s_barrier_signal -1
	s_barrier_wait -1
	global_wb scope:SCOPE_DEV
	s_wait_storecnt 0x0
	global_inv scope:SCOPE_DEV
	s_and_saveexec_b32 s96, s35
	s_cbranch_execz .LBB136_540
; %bb.479:                              ;   in Loop: Header=BB136_3 Depth=1
	ds_load_b64 v[34:35], v62 offset:16384
	ds_load_b64 v[36:37], v61 offset:32512
	s_wait_dscnt 0x0
	v_fma_f64 v[34:35], v[34:35], v[36:37], 0
	s_mov_b32 s6, exec_lo
	v_readlane_b32 s7, v85, 9
	s_and_b32 s7, s6, s7
	s_delay_alu instid0(SALU_CYCLE_1)
	s_mov_b32 exec_lo, s7
	s_cbranch_execz .LBB136_481
; %bb.480:                              ;   in Loop: Header=BB136_3 Depth=1
	ds_load_b64 v[36:37], v62 offset:16896
	ds_load_b64 v[38:39], v61 offset:32520
	s_wait_dscnt 0x0
	v_fmac_f64_e32 v[34:35], v[36:37], v[38:39]
.LBB136_481:                            ;   in Loop: Header=BB136_3 Depth=1
	s_or_b32 exec_lo, exec_lo, s6
	s_delay_alu instid0(SALU_CYCLE_1) | instskip(SKIP_2) | instid1(SALU_CYCLE_1)
	s_mov_b32 s6, exec_lo
	v_readlane_b32 s7, v85, 10
	s_and_b32 s7, s6, s7
	s_mov_b32 exec_lo, s7
	s_cbranch_execz .LBB136_483
; %bb.482:                              ;   in Loop: Header=BB136_3 Depth=1
	ds_load_b64 v[36:37], v62 offset:17408
	ds_load_b64 v[38:39], v61 offset:32528
	s_wait_dscnt 0x0
	v_fmac_f64_e32 v[34:35], v[36:37], v[38:39]
.LBB136_483:                            ;   in Loop: Header=BB136_3 Depth=1
	s_or_b32 exec_lo, exec_lo, s6
	s_delay_alu instid0(SALU_CYCLE_1) | instskip(SKIP_2) | instid1(SALU_CYCLE_1)
	s_mov_b32 s6, exec_lo
	v_readlane_b32 s7, v85, 11
	s_and_b32 s7, s6, s7
	;; [unrolled: 13-line block ×22, first 2 shown]
	s_mov_b32 exec_lo, s7
	s_cbranch_execz .LBB136_525
; %bb.524:                              ;   in Loop: Header=BB136_3 Depth=1
	ds_load_b64 v[36:37], v62 offset:28160
	ds_load_b64 v[38:39], v61 offset:32696
	s_wait_dscnt 0x0
	v_fmac_f64_e32 v[34:35], v[36:37], v[38:39]
.LBB136_525:                            ;   in Loop: Header=BB136_3 Depth=1
	s_or_b32 exec_lo, exec_lo, s6
	s_and_saveexec_b32 s6, s4
	s_cbranch_execz .LBB136_527
; %bb.526:                              ;   in Loop: Header=BB136_3 Depth=1
	ds_load_b64 v[36:37], v62 offset:28672
	ds_load_b64 v[38:39], v61 offset:32704
	s_wait_dscnt 0x0
	v_fmac_f64_e32 v[34:35], v[36:37], v[38:39]
.LBB136_527:                            ;   in Loop: Header=BB136_3 Depth=1
	s_or_b32 exec_lo, exec_lo, s6
	s_delay_alu instid0(SALU_CYCLE_1) | instskip(SKIP_2) | instid1(SALU_CYCLE_1)
	s_mov_b32 s6, exec_lo
	v_readlane_b32 s7, v86, 31
	s_and_b32 s7, s6, s7
	s_mov_b32 exec_lo, s7
	s_cbranch_execz .LBB136_529
; %bb.528:                              ;   in Loop: Header=BB136_3 Depth=1
	ds_load_b64 v[36:37], v62 offset:29184
	ds_load_b64 v[38:39], v61 offset:32712
	s_wait_dscnt 0x0
	v_fmac_f64_e32 v[34:35], v[36:37], v[38:39]
.LBB136_529:                            ;   in Loop: Header=BB136_3 Depth=1
	s_or_b32 exec_lo, exec_lo, s6
	s_delay_alu instid0(SALU_CYCLE_1) | instskip(SKIP_2) | instid1(SALU_CYCLE_1)
	s_mov_b32 s6, exec_lo
	v_readlane_b32 s7, v85, 1
	s_and_b32 s7, s6, s7
	s_mov_b32 exec_lo, s7
	;; [unrolled: 13-line block ×5, first 2 shown]
	s_cbranch_execnz .LBB136_1061
; %bb.536:                              ;   in Loop: Header=BB136_3 Depth=1
	s_or_b32 exec_lo, exec_lo, s6
	s_and_saveexec_b32 s6, s3
	s_cbranch_execnz .LBB136_1062
.LBB136_537:                            ;   in Loop: Header=BB136_3 Depth=1
	s_or_b32 exec_lo, exec_lo, s6
	s_and_saveexec_b32 s6, s21
	s_delay_alu instid0(SALU_CYCLE_1)
	s_xor_b32 s6, exec_lo, s6
	s_cbranch_execz .LBB136_539
.LBB136_538:                            ;   in Loop: Header=BB136_3 Depth=1
	ds_load_b64 v[36:37], v45 offset:32256
	ds_load_b64 v[38:39], v5 offset:32760
	s_wait_dscnt 0x0
	v_fmac_f64_e32 v[34:35], v[36:37], v[38:39]
.LBB136_539:                            ;   in Loop: Header=BB136_3 Depth=1
	s_or_b32 exec_lo, exec_lo, s6
.LBB136_540:                            ;   in Loop: Header=BB136_3 Depth=1
	s_delay_alu instid0(SALU_CYCLE_1)
	s_or_b32 exec_lo, exec_lo, s96
	v_mov_b32_e32 v36, v64
	s_mov_b32 s10, 31
	s_branch .LBB136_542
.LBB136_541:                            ;   in Loop: Header=BB136_542 Depth=2
	s_or_b32 exec_lo, exec_lo, s6
	v_add_nc_u32_e32 v36, 0xfffff800, v36
	s_add_co_i32 s10, s10, -4
	s_cmp_eq_u32 s96, 0
	s_barrier_signal -1
	s_barrier_wait -1
	s_cbranch_scc1 .LBB136_558
.LBB136_542:                            ;   Parent Loop BB136_3 Depth=1
                                        ; =>  This Inner Loop Header: Depth=2
	s_delay_alu instid0(VALU_DEP_1) | instskip(SKIP_1) | instid1(SALU_CYCLE_1)
	v_cmp_eq_u32_e32 vcc_lo, 0xffffc200, v36
	s_and_b32 s7, s9, vcc_lo
	s_and_saveexec_b32 s6, s7
	s_cbranch_execz .LBB136_544
; %bb.543:                              ;   in Loop: Header=BB136_542 Depth=2
	ds_load_b64 v[38:39], v63
	s_wait_dscnt 0x0
	v_mul_f64_e32 v[34:35], v[34:35], v[38:39]
	s_delay_alu instid0(VALU_DEP_1) | instskip(NEXT) | instid1(VALU_DEP_2)
	v_xor_b32_e32 v39, 0x80000000, v35
	v_mov_b32_e32 v38, v34
	ds_store_b64 v60, v[38:39]
.LBB136_544:                            ;   in Loop: Header=BB136_542 Depth=2
	s_or_b32 exec_lo, exec_lo, s6
	v_cmp_gt_u32_e32 vcc_lo, s10, v58
	v_add_nc_u32_e32 v37, v75, v36
	s_wait_loadcnt_dscnt 0x0
	s_barrier_signal -1
	s_barrier_wait -1
	s_and_b32 s7, s9, vcc_lo
	s_delay_alu instid0(SALU_CYCLE_1)
	s_and_saveexec_b32 s6, s7
	s_cbranch_execz .LBB136_546
; %bb.545:                              ;   in Loop: Header=BB136_542 Depth=2
	ds_load_b64 v[38:39], v37 offset:1536
	ds_load_b64 v[40:41], v60
	s_wait_dscnt 0x0
	v_fma_f64 v[34:35], -v[38:39], v[40:41], v[34:35]
.LBB136_546:                            ;   in Loop: Header=BB136_542 Depth=2
	s_or_b32 exec_lo, exec_lo, s6
	s_add_co_i32 s6, s10, -1
	s_delay_alu instid0(SALU_CYCLE_1) | instskip(SKIP_3) | instid1(SALU_CYCLE_1)
	v_cmp_eq_u32_e32 vcc_lo, s6, v58
	s_barrier_signal -1
	s_barrier_wait -1
	s_and_b32 s8, s9, vcc_lo
	s_and_saveexec_b32 s7, s8
	s_cbranch_execz .LBB136_548
; %bb.547:                              ;   in Loop: Header=BB136_542 Depth=2
	ds_load_b64 v[38:39], v63
	s_wait_dscnt 0x0
	v_mul_f64_e32 v[34:35], v[34:35], v[38:39]
	s_delay_alu instid0(VALU_DEP_1) | instskip(NEXT) | instid1(VALU_DEP_2)
	v_xor_b32_e32 v39, 0x80000000, v35
	v_mov_b32_e32 v38, v34
	ds_store_b64 v60, v[38:39]
.LBB136_548:                            ;   in Loop: Header=BB136_542 Depth=2
	s_or_b32 exec_lo, exec_lo, s7
	v_cmp_gt_u32_e32 vcc_lo, s6, v58
	s_wait_dscnt 0x0
	s_barrier_signal -1
	s_barrier_wait -1
	s_and_b32 s7, s9, vcc_lo
	s_delay_alu instid0(SALU_CYCLE_1)
	s_and_saveexec_b32 s6, s7
	s_cbranch_execz .LBB136_550
; %bb.549:                              ;   in Loop: Header=BB136_542 Depth=2
	ds_load_b64 v[38:39], v37 offset:1024
	ds_load_b64 v[40:41], v60
	s_wait_dscnt 0x0
	v_fma_f64 v[34:35], -v[38:39], v[40:41], v[34:35]
.LBB136_550:                            ;   in Loop: Header=BB136_542 Depth=2
	s_or_b32 exec_lo, exec_lo, s6
	s_add_co_i32 s6, s10, -2
	s_delay_alu instid0(SALU_CYCLE_1) | instskip(SKIP_3) | instid1(SALU_CYCLE_1)
	v_cmp_eq_u32_e32 vcc_lo, s6, v58
	s_barrier_signal -1
	s_barrier_wait -1
	s_and_b32 s8, s9, vcc_lo
	s_and_saveexec_b32 s7, s8
	s_cbranch_execz .LBB136_552
; %bb.551:                              ;   in Loop: Header=BB136_542 Depth=2
	ds_load_b64 v[38:39], v63
	s_wait_dscnt 0x0
	v_mul_f64_e32 v[34:35], v[34:35], v[38:39]
	s_delay_alu instid0(VALU_DEP_1) | instskip(NEXT) | instid1(VALU_DEP_2)
	v_xor_b32_e32 v39, 0x80000000, v35
	v_mov_b32_e32 v38, v34
	ds_store_b64 v60, v[38:39]
.LBB136_552:                            ;   in Loop: Header=BB136_542 Depth=2
	s_or_b32 exec_lo, exec_lo, s7
	v_cmp_gt_u32_e32 vcc_lo, s6, v58
	s_wait_dscnt 0x0
	;; [unrolled: 33-line block ×3, first 2 shown]
	s_barrier_signal -1
	s_barrier_wait -1
	s_and_b32 s7, s9, vcc_lo
	s_delay_alu instid0(SALU_CYCLE_1)
	s_and_saveexec_b32 s6, s7
	s_cbranch_execz .LBB136_541
; %bb.557:                              ;   in Loop: Header=BB136_542 Depth=2
	ds_load_b64 v[38:39], v37
	ds_load_b64 v[40:41], v60
	s_wait_dscnt 0x0
	v_fma_f64 v[34:35], -v[38:39], v[40:41], v[34:35]
	s_branch .LBB136_541
.LBB136_558:                            ;   in Loop: Header=BB136_3 Depth=1
	s_and_saveexec_b32 s6, s35
; %bb.559:                              ;   in Loop: Header=BB136_3 Depth=1
	ds_store_b64 v65, v[34:35] offset:32256
; %bb.560:                              ;   in Loop: Header=BB136_3 Depth=1
	s_or_b32 exec_lo, exec_lo, s6
	s_wait_dscnt 0x0
	s_barrier_signal -1
	s_barrier_wait -1
	s_barrier_signal -1
	s_barrier_wait -1
	s_and_saveexec_b32 s6, s14
	s_cbranch_execz .LBB136_562
; %bb.561:                              ;   in Loop: Header=BB136_3 Depth=1
	ds_load_b128 v[34:37], v5 offset:16112
	ds_load_b64 v[38:39], v5 offset:15600
	s_wait_dscnt 0x0
	v_mul_f64_e32 v[36:37], v[38:39], v[36:37]
	s_delay_alu instid0(VALU_DEP_1)
	v_mul_f64_e32 v[34:35], v[34:35], v[36:37]
	ds_store_b64 v5, v[34:35] offset:16112
.LBB136_562:                            ;   in Loop: Header=BB136_3 Depth=1
	s_or_b32 exec_lo, exec_lo, s6
	v_mov_b64_e32 v[34:35], 0
	s_wait_dscnt 0x0
	s_barrier_signal -1
	s_barrier_wait -1
	global_wb scope:SCOPE_DEV
	s_wait_storecnt 0x0
	global_inv scope:SCOPE_DEV
	s_and_saveexec_b32 s6, s1
	s_cbranch_execz .LBB136_566
; %bb.563:                              ;   in Loop: Header=BB136_3 Depth=1
	ds_load_b64 v[34:35], v44 offset:15584
	ds_load_b64 v[36:37], v43 offset:16112
	s_wait_dscnt 0x0
	v_fma_f64 v[34:35], v[34:35], v[36:37], 0
	s_and_saveexec_b32 s7, s15
	s_cbranch_execz .LBB136_565
; %bb.564:                              ;   in Loop: Header=BB136_3 Depth=1
	ds_load_b64 v[36:37], v45 offset:16096
	ds_load_b64 v[38:39], v5 offset:16120
	s_wait_dscnt 0x0
	v_fmac_f64_e32 v[34:35], v[36:37], v[38:39]
.LBB136_565:                            ;   in Loop: Header=BB136_3 Depth=1
	s_or_b32 exec_lo, exec_lo, s7
.LBB136_566:                            ;   in Loop: Header=BB136_3 Depth=1
	s_delay_alu instid0(SALU_CYCLE_1)
	s_or_b32 exec_lo, exec_lo, s6
	s_and_saveexec_b32 s6, s103
	s_cbranch_execz .LBB136_568
; %bb.567:                              ;   in Loop: Header=BB136_3 Depth=1
	ds_load_b64 v[36:37], v5 offset:15080
	s_wait_dscnt 0x0
	v_mul_f64_e32 v[34:35], v[34:35], v[36:37]
	s_delay_alu instid0(VALU_DEP_1) | instskip(NEXT) | instid1(VALU_DEP_2)
	v_xor_b32_e32 v37, 0x80000000, v35
	v_mov_b32_e32 v36, v34
	ds_store_b64 v3, v[36:37]
.LBB136_568:                            ;   in Loop: Header=BB136_3 Depth=1
	s_or_b32 exec_lo, exec_lo, s6
	s_wait_loadcnt_dscnt 0x0
	s_barrier_signal -1
	s_barrier_wait -1
	s_and_saveexec_b32 s6, s104
	s_cbranch_execz .LBB136_570
; %bb.569:                              ;   in Loop: Header=BB136_3 Depth=1
	ds_load_b64 v[36:37], v5 offset:15072
	ds_load_b64 v[38:39], v3
	s_wait_dscnt 0x0
	v_fma_f64 v[34:35], -v[36:37], v[38:39], v[34:35]
.LBB136_570:                            ;   in Loop: Header=BB136_3 Depth=1
	s_or_b32 exec_lo, exec_lo, s6
	s_barrier_signal -1
	s_barrier_wait -1
	s_and_saveexec_b32 s6, s104
	s_cbranch_execz .LBB136_572
; %bb.571:                              ;   in Loop: Header=BB136_3 Depth=1
	ds_load_b64 v[36:37], v5 offset:14560
	s_wait_dscnt 0x0
	v_mul_f64_e32 v[34:35], v[34:35], v[36:37]
	s_delay_alu instid0(VALU_DEP_1) | instskip(NEXT) | instid1(VALU_DEP_2)
	v_xor_b32_e32 v37, 0x80000000, v35
	v_mov_b32_e32 v36, v34
	ds_store_b64 v3, v[36:37]
.LBB136_572:                            ;   in Loop: Header=BB136_3 Depth=1
	s_or_b32 exec_lo, exec_lo, s6
	s_wait_dscnt 0x0
	s_barrier_signal -1
	s_barrier_wait -1
	s_barrier_signal -1
	s_barrier_wait -1
	s_and_saveexec_b32 s6, s1
; %bb.573:                              ;   in Loop: Header=BB136_3 Depth=1
	ds_store_b64 v46, v[34:35] offset:16096
; %bb.574:                              ;   in Loop: Header=BB136_3 Depth=1
	s_or_b32 exec_lo, exec_lo, s6
	s_wait_dscnt 0x0
	s_barrier_signal -1
	s_barrier_wait -1
	s_barrier_signal -1
	s_barrier_wait -1
	s_and_saveexec_b32 s6, s14
	s_cbranch_execz .LBB136_576
; %bb.575:                              ;   in Loop: Header=BB136_3 Depth=1
	ds_load_b128 v[34:37], v5 offset:15072
	ds_load_b64 v[38:39], v5 offset:14560
	s_wait_dscnt 0x0
	v_mul_f64_e32 v[36:37], v[38:39], v[36:37]
	s_delay_alu instid0(VALU_DEP_1)
	v_mul_f64_e32 v[34:35], v[34:35], v[36:37]
	ds_store_b64 v5, v[34:35] offset:15072
.LBB136_576:                            ;   in Loop: Header=BB136_3 Depth=1
	s_or_b32 exec_lo, exec_lo, s6
	v_mov_b64_e32 v[34:35], 0
	s_wait_dscnt 0x0
	s_barrier_signal -1
	s_barrier_wait -1
	global_wb scope:SCOPE_DEV
	s_wait_storecnt 0x0
	global_inv scope:SCOPE_DEV
	s_and_saveexec_b32 s10, s2
	s_cbranch_execz .LBB136_582
; %bb.577:                              ;   in Loop: Header=BB136_3 Depth=1
	ds_load_b64 v[34:35], v49 offset:14528
	ds_load_b64 v[36:37], v48 offset:16096
	s_wait_dscnt 0x0
	v_fma_f64 v[34:35], v[34:35], v[36:37], 0
	s_and_saveexec_b32 s6, s16
	s_cbranch_execnz .LBB136_1063
; %bb.578:                              ;   in Loop: Header=BB136_3 Depth=1
	s_or_b32 exec_lo, exec_lo, s6
	s_and_saveexec_b32 s6, s17
	s_cbranch_execnz .LBB136_1064
.LBB136_579:                            ;   in Loop: Header=BB136_3 Depth=1
	s_or_b32 exec_lo, exec_lo, s6
	s_and_saveexec_b32 s6, s1
	s_cbranch_execz .LBB136_581
.LBB136_580:                            ;   in Loop: Header=BB136_3 Depth=1
	ds_load_b64 v[36:37], v45 offset:16064
	ds_load_b64 v[38:39], v5 offset:16120
	s_wait_dscnt 0x0
	v_fmac_f64_e32 v[34:35], v[36:37], v[38:39]
.LBB136_581:                            ;   in Loop: Header=BB136_3 Depth=1
	s_or_b32 exec_lo, exec_lo, s6
.LBB136_582:                            ;   in Loop: Header=BB136_3 Depth=1
	s_delay_alu instid0(SALU_CYCLE_1)
	s_or_b32 exec_lo, exec_lo, s10
	s_and_saveexec_b32 s6, vcc_hi
	s_cbranch_execz .LBB136_584
; %bb.583:                              ;   in Loop: Header=BB136_3 Depth=1
	ds_load_b64 v[36:37], v5 offset:14040
	s_wait_dscnt 0x0
	v_mul_f64_e32 v[34:35], v[34:35], v[36:37]
	s_delay_alu instid0(VALU_DEP_1) | instskip(NEXT) | instid1(VALU_DEP_2)
	v_xor_b32_e32 v37, 0x80000000, v35
	v_mov_b32_e32 v36, v34
	ds_store_b64 v47, v[36:37]
.LBB136_584:                            ;   in Loop: Header=BB136_3 Depth=1
	s_or_b32 exec_lo, exec_lo, s6
	s_wait_loadcnt_dscnt 0x0
	s_barrier_signal -1
	s_barrier_wait -1
	s_and_saveexec_b32 s6, s36
	s_cbranch_execz .LBB136_586
; %bb.585:                              ;   in Loop: Header=BB136_3 Depth=1
	ds_load_b64 v[36:37], v49 offset:14016
	ds_load_b64 v[38:39], v47
	s_wait_dscnt 0x0
	v_fma_f64 v[34:35], -v[36:37], v[38:39], v[34:35]
.LBB136_586:                            ;   in Loop: Header=BB136_3 Depth=1
	s_or_b32 exec_lo, exec_lo, s6
	s_barrier_signal -1
	s_barrier_wait -1
	s_and_saveexec_b32 s6, s37
	s_cbranch_execz .LBB136_588
; %bb.587:                              ;   in Loop: Header=BB136_3 Depth=1
	ds_load_b64 v[36:37], v5 offset:13520
	s_wait_dscnt 0x0
	v_mul_f64_e32 v[34:35], v[34:35], v[36:37]
	s_delay_alu instid0(VALU_DEP_1) | instskip(NEXT) | instid1(VALU_DEP_2)
	v_xor_b32_e32 v37, 0x80000000, v35
	v_mov_b32_e32 v36, v34
	ds_store_b64 v47, v[36:37]
.LBB136_588:                            ;   in Loop: Header=BB136_3 Depth=1
	s_or_b32 exec_lo, exec_lo, s6
	s_wait_dscnt 0x0
	s_barrier_signal -1
	s_barrier_wait -1
	s_and_saveexec_b32 s6, s38
	s_cbranch_execz .LBB136_590
; %bb.589:                              ;   in Loop: Header=BB136_3 Depth=1
	ds_load_b64 v[36:37], v49 offset:13504
	ds_load_b64 v[38:39], v47
	s_wait_dscnt 0x0
	v_fma_f64 v[34:35], -v[36:37], v[38:39], v[34:35]
.LBB136_590:                            ;   in Loop: Header=BB136_3 Depth=1
	s_or_b32 exec_lo, exec_lo, s6
	s_barrier_signal -1
	s_barrier_wait -1
	s_and_saveexec_b32 s6, s39
	s_cbranch_execz .LBB136_592
; %bb.591:                              ;   in Loop: Header=BB136_3 Depth=1
	ds_load_b64 v[36:37], v5 offset:13000
	s_wait_dscnt 0x0
	v_mul_f64_e32 v[34:35], v[34:35], v[36:37]
	s_delay_alu instid0(VALU_DEP_1) | instskip(NEXT) | instid1(VALU_DEP_2)
	v_xor_b32_e32 v37, 0x80000000, v35
	v_mov_b32_e32 v36, v34
	ds_store_b64 v47, v[36:37]
.LBB136_592:                            ;   in Loop: Header=BB136_3 Depth=1
	s_or_b32 exec_lo, exec_lo, s6
	s_wait_dscnt 0x0
	;; [unrolled: 26-line block ×3, first 2 shown]
	s_barrier_signal -1
	s_barrier_wait -1
	s_barrier_signal -1
	s_barrier_wait -1
	s_and_saveexec_b32 s6, s2
; %bb.597:                              ;   in Loop: Header=BB136_3 Depth=1
	ds_store_b64 v50, v[34:35] offset:16064
; %bb.598:                              ;   in Loop: Header=BB136_3 Depth=1
	s_or_b32 exec_lo, exec_lo, s6
	s_wait_dscnt 0x0
	s_barrier_signal -1
	s_barrier_wait -1
	s_barrier_signal -1
	s_barrier_wait -1
	s_and_saveexec_b32 s6, s14
	s_cbranch_execz .LBB136_600
; %bb.599:                              ;   in Loop: Header=BB136_3 Depth=1
	ds_load_b128 v[34:37], v5 offset:14032
	ds_load_b64 v[38:39], v5 offset:13520
	s_wait_dscnt 0x0
	v_mul_f64_e32 v[36:37], v[38:39], v[36:37]
	s_delay_alu instid0(VALU_DEP_1)
	v_mul_f64_e32 v[34:35], v[34:35], v[36:37]
	ds_store_b64 v5, v[34:35] offset:14032
.LBB136_600:                            ;   in Loop: Header=BB136_3 Depth=1
	s_or_b32 exec_lo, exec_lo, s6
	v_mov_b64_e32 v[34:35], 0
	s_wait_dscnt 0x0
	s_barrier_signal -1
	s_barrier_wait -1
	global_wb scope:SCOPE_DEV
	s_wait_storecnt 0x0
	global_inv scope:SCOPE_DEV
	s_and_saveexec_b32 s6, s1
	s_cbranch_execz .LBB136_604
; %bb.601:                              ;   in Loop: Header=BB136_3 Depth=1
	ds_load_b64 v[34:35], v44 offset:13504
	ds_load_b64 v[36:37], v43 offset:14032
	s_wait_dscnt 0x0
	v_fma_f64 v[34:35], v[34:35], v[36:37], 0
	s_and_saveexec_b32 s7, s15
	s_cbranch_execz .LBB136_603
; %bb.602:                              ;   in Loop: Header=BB136_3 Depth=1
	ds_load_b64 v[36:37], v45 offset:14016
	ds_load_b64 v[38:39], v5 offset:14040
	s_wait_dscnt 0x0
	v_fmac_f64_e32 v[34:35], v[36:37], v[38:39]
.LBB136_603:                            ;   in Loop: Header=BB136_3 Depth=1
	s_or_b32 exec_lo, exec_lo, s7
.LBB136_604:                            ;   in Loop: Header=BB136_3 Depth=1
	s_delay_alu instid0(SALU_CYCLE_1)
	s_or_b32 exec_lo, exec_lo, s6
	s_and_saveexec_b32 s6, s103
	s_cbranch_execz .LBB136_606
; %bb.605:                              ;   in Loop: Header=BB136_3 Depth=1
	ds_load_b64 v[36:37], v5 offset:13000
	s_wait_dscnt 0x0
	v_mul_f64_e32 v[34:35], v[34:35], v[36:37]
	s_delay_alu instid0(VALU_DEP_1) | instskip(NEXT) | instid1(VALU_DEP_2)
	v_xor_b32_e32 v37, 0x80000000, v35
	v_mov_b32_e32 v36, v34
	ds_store_b64 v3, v[36:37]
.LBB136_606:                            ;   in Loop: Header=BB136_3 Depth=1
	s_or_b32 exec_lo, exec_lo, s6
	s_wait_loadcnt_dscnt 0x0
	s_barrier_signal -1
	s_barrier_wait -1
	s_and_saveexec_b32 s6, s104
	s_cbranch_execz .LBB136_608
; %bb.607:                              ;   in Loop: Header=BB136_3 Depth=1
	ds_load_b64 v[36:37], v5 offset:12992
	ds_load_b64 v[38:39], v3
	s_wait_dscnt 0x0
	v_fma_f64 v[34:35], -v[36:37], v[38:39], v[34:35]
.LBB136_608:                            ;   in Loop: Header=BB136_3 Depth=1
	s_or_b32 exec_lo, exec_lo, s6
	s_barrier_signal -1
	s_barrier_wait -1
	s_and_saveexec_b32 s6, s104
	s_cbranch_execz .LBB136_610
; %bb.609:                              ;   in Loop: Header=BB136_3 Depth=1
	ds_load_b64 v[36:37], v5 offset:12480
	s_wait_dscnt 0x0
	v_mul_f64_e32 v[34:35], v[34:35], v[36:37]
	s_delay_alu instid0(VALU_DEP_1) | instskip(NEXT) | instid1(VALU_DEP_2)
	v_xor_b32_e32 v37, 0x80000000, v35
	v_mov_b32_e32 v36, v34
	ds_store_b64 v3, v[36:37]
.LBB136_610:                            ;   in Loop: Header=BB136_3 Depth=1
	s_or_b32 exec_lo, exec_lo, s6
	s_wait_dscnt 0x0
	s_barrier_signal -1
	s_barrier_wait -1
	s_barrier_signal -1
	s_barrier_wait -1
	s_and_saveexec_b32 s6, s1
; %bb.611:                              ;   in Loop: Header=BB136_3 Depth=1
	ds_store_b64 v46, v[34:35] offset:14016
; %bb.612:                              ;   in Loop: Header=BB136_3 Depth=1
	s_or_b32 exec_lo, exec_lo, s6
	s_wait_dscnt 0x0
	s_barrier_signal -1
	s_barrier_wait -1
	s_barrier_signal -1
	s_barrier_wait -1
	s_and_saveexec_b32 s6, s14
	s_cbranch_execz .LBB136_614
; %bb.613:                              ;   in Loop: Header=BB136_3 Depth=1
	ds_load_b128 v[34:37], v5 offset:12992
	ds_load_b64 v[38:39], v5 offset:12480
	s_wait_dscnt 0x0
	v_mul_f64_e32 v[36:37], v[38:39], v[36:37]
	s_delay_alu instid0(VALU_DEP_1)
	v_mul_f64_e32 v[34:35], v[34:35], v[36:37]
	ds_store_b64 v5, v[34:35] offset:12992
.LBB136_614:                            ;   in Loop: Header=BB136_3 Depth=1
	s_or_b32 exec_lo, exec_lo, s6
	v_mov_b64_e32 v[34:35], 0
	s_wait_dscnt 0x0
	s_barrier_signal -1
	s_barrier_wait -1
	global_wb scope:SCOPE_DEV
	s_wait_storecnt 0x0
	global_inv scope:SCOPE_DEV
	s_and_saveexec_b32 s10, s3
	s_cbranch_execz .LBB136_624
; %bb.615:                              ;   in Loop: Header=BB136_3 Depth=1
	ds_load_b64 v[34:35], v53 offset:12416
	ds_load_b64 v[36:37], v52 offset:16064
	s_wait_dscnt 0x0
	v_fma_f64 v[34:35], v[34:35], v[36:37], 0
	s_and_saveexec_b32 s6, s18
	s_cbranch_execnz .LBB136_1065
; %bb.616:                              ;   in Loop: Header=BB136_3 Depth=1
	s_or_b32 exec_lo, exec_lo, s6
	s_and_saveexec_b32 s6, s19
	s_cbranch_execnz .LBB136_1066
.LBB136_617:                            ;   in Loop: Header=BB136_3 Depth=1
	s_or_b32 exec_lo, exec_lo, s6
	s_and_saveexec_b32 s6, s20
	s_cbranch_execnz .LBB136_1067
.LBB136_618:                            ;   in Loop: Header=BB136_3 Depth=1
	s_or_b32 exec_lo, exec_lo, s6
	s_and_saveexec_b32 s6, s21
	s_cbranch_execnz .LBB136_1068
.LBB136_619:                            ;   in Loop: Header=BB136_3 Depth=1
	s_or_b32 exec_lo, exec_lo, s6
	s_and_saveexec_b32 s6, s22
	s_cbranch_execnz .LBB136_1069
.LBB136_620:                            ;   in Loop: Header=BB136_3 Depth=1
	s_or_b32 exec_lo, exec_lo, s6
	s_and_saveexec_b32 s6, s2
	s_cbranch_execnz .LBB136_1070
.LBB136_621:                            ;   in Loop: Header=BB136_3 Depth=1
	s_or_b32 exec_lo, exec_lo, s6
	s_and_saveexec_b32 s6, s17
	s_cbranch_execz .LBB136_623
.LBB136_622:                            ;   in Loop: Header=BB136_3 Depth=1
	ds_load_b64 v[36:37], v45 offset:16000
	ds_load_b64 v[38:39], v5 offset:16120
	s_wait_dscnt 0x0
	v_fmac_f64_e32 v[34:35], v[36:37], v[38:39]
.LBB136_623:                            ;   in Loop: Header=BB136_3 Depth=1
	s_or_b32 exec_lo, exec_lo, s6
.LBB136_624:                            ;   in Loop: Header=BB136_3 Depth=1
	s_delay_alu instid0(SALU_CYCLE_1)
	s_or_b32 exec_lo, exec_lo, s10
	s_and_saveexec_b32 s6, s41
	s_cbranch_execz .LBB136_626
; %bb.625:                              ;   in Loop: Header=BB136_3 Depth=1
	ds_load_b64 v[36:37], v5 offset:11960
	s_wait_dscnt 0x0
	v_mul_f64_e32 v[34:35], v[34:35], v[36:37]
	s_delay_alu instid0(VALU_DEP_1) | instskip(NEXT) | instid1(VALU_DEP_2)
	v_xor_b32_e32 v37, 0x80000000, v35
	v_mov_b32_e32 v36, v34
	ds_store_b64 v51, v[36:37]
.LBB136_626:                            ;   in Loop: Header=BB136_3 Depth=1
	s_or_b32 exec_lo, exec_lo, s6
	s_wait_loadcnt_dscnt 0x0
	s_barrier_signal -1
	s_barrier_wait -1
	s_and_saveexec_b32 s6, s42
	s_cbranch_execz .LBB136_628
; %bb.627:                              ;   in Loop: Header=BB136_3 Depth=1
	ds_load_b64 v[36:37], v53 offset:11904
	ds_load_b64 v[38:39], v51
	s_wait_dscnt 0x0
	v_fma_f64 v[34:35], -v[36:37], v[38:39], v[34:35]
.LBB136_628:                            ;   in Loop: Header=BB136_3 Depth=1
	s_or_b32 exec_lo, exec_lo, s6
	s_barrier_signal -1
	s_barrier_wait -1
	s_and_saveexec_b32 s6, s43
	s_cbranch_execz .LBB136_630
; %bb.629:                              ;   in Loop: Header=BB136_3 Depth=1
	ds_load_b64 v[36:37], v5 offset:11440
	s_wait_dscnt 0x0
	v_mul_f64_e32 v[34:35], v[34:35], v[36:37]
	s_delay_alu instid0(VALU_DEP_1) | instskip(NEXT) | instid1(VALU_DEP_2)
	v_xor_b32_e32 v37, 0x80000000, v35
	v_mov_b32_e32 v36, v34
	ds_store_b64 v51, v[36:37]
.LBB136_630:                            ;   in Loop: Header=BB136_3 Depth=1
	s_or_b32 exec_lo, exec_lo, s6
	s_wait_dscnt 0x0
	s_barrier_signal -1
	s_barrier_wait -1
	s_and_saveexec_b32 s6, s44
	s_cbranch_execz .LBB136_632
; %bb.631:                              ;   in Loop: Header=BB136_3 Depth=1
	ds_load_b64 v[36:37], v53 offset:11392
	ds_load_b64 v[38:39], v51
	s_wait_dscnt 0x0
	v_fma_f64 v[34:35], -v[36:37], v[38:39], v[34:35]
.LBB136_632:                            ;   in Loop: Header=BB136_3 Depth=1
	s_or_b32 exec_lo, exec_lo, s6
	s_barrier_signal -1
	s_barrier_wait -1
	s_and_saveexec_b32 s6, s45
	s_cbranch_execz .LBB136_634
; %bb.633:                              ;   in Loop: Header=BB136_3 Depth=1
	ds_load_b64 v[36:37], v5 offset:10920
	s_wait_dscnt 0x0
	v_mul_f64_e32 v[34:35], v[34:35], v[36:37]
	s_delay_alu instid0(VALU_DEP_1) | instskip(NEXT) | instid1(VALU_DEP_2)
	v_xor_b32_e32 v37, 0x80000000, v35
	v_mov_b32_e32 v36, v34
	ds_store_b64 v51, v[36:37]
.LBB136_634:                            ;   in Loop: Header=BB136_3 Depth=1
	s_or_b32 exec_lo, exec_lo, s6
	s_wait_dscnt 0x0
	s_barrier_signal -1
	s_barrier_wait -1
	s_and_saveexec_b32 s6, s46
	s_cbranch_execz .LBB136_636
; %bb.635:                              ;   in Loop: Header=BB136_3 Depth=1
	ds_load_b64 v[36:37], v53 offset:10880
	ds_load_b64 v[38:39], v51
	s_wait_dscnt 0x0
	v_fma_f64 v[34:35], -v[36:37], v[38:39], v[34:35]
.LBB136_636:                            ;   in Loop: Header=BB136_3 Depth=1
	s_or_b32 exec_lo, exec_lo, s6
	s_barrier_signal -1
	s_barrier_wait -1
	s_and_saveexec_b32 s6, s47
	s_cbranch_execz .LBB136_638
; %bb.637:                              ;   in Loop: Header=BB136_3 Depth=1
	ds_load_b64 v[36:37], v5 offset:10400
	s_wait_dscnt 0x0
	v_mul_f64_e32 v[34:35], v[34:35], v[36:37]
	s_delay_alu instid0(VALU_DEP_1) | instskip(NEXT) | instid1(VALU_DEP_2)
	v_xor_b32_e32 v37, 0x80000000, v35
	v_mov_b32_e32 v36, v34
	ds_store_b64 v51, v[36:37]
.LBB136_638:                            ;   in Loop: Header=BB136_3 Depth=1
	s_or_b32 exec_lo, exec_lo, s6
	s_wait_dscnt 0x0
	s_barrier_signal -1
	s_barrier_wait -1
	s_and_saveexec_b32 s6, s48
	s_cbranch_execz .LBB136_640
; %bb.639:                              ;   in Loop: Header=BB136_3 Depth=1
	ds_load_b64 v[36:37], v53 offset:10368
	ds_load_b64 v[38:39], v51
	s_wait_dscnt 0x0
	v_fma_f64 v[34:35], -v[36:37], v[38:39], v[34:35]
.LBB136_640:                            ;   in Loop: Header=BB136_3 Depth=1
	s_or_b32 exec_lo, exec_lo, s6
	s_barrier_signal -1
	s_barrier_wait -1
	s_and_saveexec_b32 s6, s49
	s_cbranch_execz .LBB136_642
; %bb.641:                              ;   in Loop: Header=BB136_3 Depth=1
	ds_load_b64 v[36:37], v5 offset:9880
	s_wait_dscnt 0x0
	v_mul_f64_e32 v[34:35], v[34:35], v[36:37]
	s_delay_alu instid0(VALU_DEP_1) | instskip(NEXT) | instid1(VALU_DEP_2)
	v_xor_b32_e32 v37, 0x80000000, v35
	v_mov_b32_e32 v36, v34
	ds_store_b64 v51, v[36:37]
.LBB136_642:                            ;   in Loop: Header=BB136_3 Depth=1
	s_or_b32 exec_lo, exec_lo, s6
	s_wait_dscnt 0x0
	s_barrier_signal -1
	s_barrier_wait -1
	s_and_saveexec_b32 s6, s50
	s_cbranch_execz .LBB136_644
; %bb.643:                              ;   in Loop: Header=BB136_3 Depth=1
	ds_load_b64 v[36:37], v53 offset:9856
	ds_load_b64 v[38:39], v51
	s_wait_dscnt 0x0
	v_fma_f64 v[34:35], -v[36:37], v[38:39], v[34:35]
.LBB136_644:                            ;   in Loop: Header=BB136_3 Depth=1
	s_or_b32 exec_lo, exec_lo, s6
	s_barrier_signal -1
	s_barrier_wait -1
	s_and_saveexec_b32 s6, s51
	s_cbranch_execz .LBB136_646
; %bb.645:                              ;   in Loop: Header=BB136_3 Depth=1
	ds_load_b64 v[36:37], v5 offset:9360
	s_wait_dscnt 0x0
	v_mul_f64_e32 v[34:35], v[34:35], v[36:37]
	s_delay_alu instid0(VALU_DEP_1) | instskip(NEXT) | instid1(VALU_DEP_2)
	v_xor_b32_e32 v37, 0x80000000, v35
	v_mov_b32_e32 v36, v34
	ds_store_b64 v51, v[36:37]
.LBB136_646:                            ;   in Loop: Header=BB136_3 Depth=1
	s_or_b32 exec_lo, exec_lo, s6
	s_wait_dscnt 0x0
	s_barrier_signal -1
	s_barrier_wait -1
	s_and_saveexec_b32 s6, s52
	s_cbranch_execz .LBB136_648
; %bb.647:                              ;   in Loop: Header=BB136_3 Depth=1
	ds_load_b64 v[36:37], v53 offset:9344
	ds_load_b64 v[38:39], v51
	s_wait_dscnt 0x0
	v_fma_f64 v[34:35], -v[36:37], v[38:39], v[34:35]
.LBB136_648:                            ;   in Loop: Header=BB136_3 Depth=1
	s_or_b32 exec_lo, exec_lo, s6
	s_barrier_signal -1
	s_barrier_wait -1
	s_and_saveexec_b32 s6, s53
	s_cbranch_execz .LBB136_650
; %bb.649:                              ;   in Loop: Header=BB136_3 Depth=1
	ds_load_b64 v[36:37], v5 offset:8840
	s_wait_dscnt 0x0
	v_mul_f64_e32 v[34:35], v[34:35], v[36:37]
	s_delay_alu instid0(VALU_DEP_1) | instskip(NEXT) | instid1(VALU_DEP_2)
	v_xor_b32_e32 v37, 0x80000000, v35
	v_mov_b32_e32 v36, v34
	ds_store_b64 v51, v[36:37]
.LBB136_650:                            ;   in Loop: Header=BB136_3 Depth=1
	s_or_b32 exec_lo, exec_lo, s6
	s_wait_dscnt 0x0
	s_barrier_signal -1
	s_barrier_wait -1
	s_and_saveexec_b32 s6, s54
	s_cbranch_execz .LBB136_652
; %bb.651:                              ;   in Loop: Header=BB136_3 Depth=1
	ds_load_b64 v[36:37], v5 offset:8832
	ds_load_b64 v[38:39], v51
	s_wait_dscnt 0x0
	v_fma_f64 v[34:35], -v[36:37], v[38:39], v[34:35]
.LBB136_652:                            ;   in Loop: Header=BB136_3 Depth=1
	s_or_b32 exec_lo, exec_lo, s6
	s_barrier_signal -1
	s_barrier_wait -1
	s_and_saveexec_b32 s6, s54
	s_cbranch_execz .LBB136_654
; %bb.653:                              ;   in Loop: Header=BB136_3 Depth=1
	ds_load_b64 v[36:37], v5 offset:8320
	s_wait_dscnt 0x0
	v_mul_f64_e32 v[34:35], v[34:35], v[36:37]
	s_delay_alu instid0(VALU_DEP_1) | instskip(NEXT) | instid1(VALU_DEP_2)
	v_xor_b32_e32 v37, 0x80000000, v35
	v_mov_b32_e32 v36, v34
	ds_store_b64 v51, v[36:37]
.LBB136_654:                            ;   in Loop: Header=BB136_3 Depth=1
	s_or_b32 exec_lo, exec_lo, s6
	s_wait_dscnt 0x0
	s_barrier_signal -1
	s_barrier_wait -1
	s_barrier_signal -1
	s_barrier_wait -1
	s_and_saveexec_b32 s6, s3
; %bb.655:                              ;   in Loop: Header=BB136_3 Depth=1
	ds_store_b64 v54, v[34:35] offset:16000
; %bb.656:                              ;   in Loop: Header=BB136_3 Depth=1
	s_or_b32 exec_lo, exec_lo, s6
	s_wait_dscnt 0x0
	s_barrier_signal -1
	s_barrier_wait -1
	s_barrier_signal -1
	s_barrier_wait -1
	s_and_saveexec_b32 s6, s14
	s_cbranch_execz .LBB136_658
; %bb.657:                              ;   in Loop: Header=BB136_3 Depth=1
	ds_load_b128 v[34:37], v5 offset:11952
	ds_load_b64 v[38:39], v5 offset:11440
	s_wait_dscnt 0x0
	v_mul_f64_e32 v[36:37], v[38:39], v[36:37]
	s_delay_alu instid0(VALU_DEP_1)
	v_mul_f64_e32 v[34:35], v[34:35], v[36:37]
	ds_store_b64 v5, v[34:35] offset:11952
.LBB136_658:                            ;   in Loop: Header=BB136_3 Depth=1
	s_or_b32 exec_lo, exec_lo, s6
	v_mov_b64_e32 v[34:35], 0
	s_wait_dscnt 0x0
	s_barrier_signal -1
	s_barrier_wait -1
	global_wb scope:SCOPE_DEV
	s_wait_storecnt 0x0
	global_inv scope:SCOPE_DEV
	s_and_saveexec_b32 s6, s1
	s_cbranch_execz .LBB136_662
; %bb.659:                              ;   in Loop: Header=BB136_3 Depth=1
	ds_load_b64 v[34:35], v44 offset:11424
	ds_load_b64 v[36:37], v43 offset:11952
	s_wait_dscnt 0x0
	v_fma_f64 v[34:35], v[34:35], v[36:37], 0
	s_and_saveexec_b32 s7, s15
	s_cbranch_execz .LBB136_661
; %bb.660:                              ;   in Loop: Header=BB136_3 Depth=1
	ds_load_b64 v[36:37], v45 offset:11936
	ds_load_b64 v[38:39], v5 offset:11960
	s_wait_dscnt 0x0
	v_fmac_f64_e32 v[34:35], v[36:37], v[38:39]
.LBB136_661:                            ;   in Loop: Header=BB136_3 Depth=1
	s_or_b32 exec_lo, exec_lo, s7
.LBB136_662:                            ;   in Loop: Header=BB136_3 Depth=1
	s_delay_alu instid0(SALU_CYCLE_1)
	s_or_b32 exec_lo, exec_lo, s6
	s_and_saveexec_b32 s6, s103
	s_cbranch_execz .LBB136_664
; %bb.663:                              ;   in Loop: Header=BB136_3 Depth=1
	ds_load_b64 v[36:37], v5 offset:10920
	s_wait_dscnt 0x0
	v_mul_f64_e32 v[34:35], v[34:35], v[36:37]
	s_delay_alu instid0(VALU_DEP_1) | instskip(NEXT) | instid1(VALU_DEP_2)
	v_xor_b32_e32 v37, 0x80000000, v35
	v_mov_b32_e32 v36, v34
	ds_store_b64 v3, v[36:37]
.LBB136_664:                            ;   in Loop: Header=BB136_3 Depth=1
	s_or_b32 exec_lo, exec_lo, s6
	s_wait_loadcnt_dscnt 0x0
	s_barrier_signal -1
	s_barrier_wait -1
	s_and_saveexec_b32 s6, s104
	s_cbranch_execz .LBB136_666
; %bb.665:                              ;   in Loop: Header=BB136_3 Depth=1
	ds_load_b64 v[36:37], v5 offset:10912
	ds_load_b64 v[38:39], v3
	s_wait_dscnt 0x0
	v_fma_f64 v[34:35], -v[36:37], v[38:39], v[34:35]
.LBB136_666:                            ;   in Loop: Header=BB136_3 Depth=1
	s_or_b32 exec_lo, exec_lo, s6
	s_barrier_signal -1
	s_barrier_wait -1
	s_and_saveexec_b32 s6, s104
	s_cbranch_execz .LBB136_668
; %bb.667:                              ;   in Loop: Header=BB136_3 Depth=1
	ds_load_b64 v[36:37], v5 offset:10400
	s_wait_dscnt 0x0
	v_mul_f64_e32 v[34:35], v[34:35], v[36:37]
	s_delay_alu instid0(VALU_DEP_1) | instskip(NEXT) | instid1(VALU_DEP_2)
	v_xor_b32_e32 v37, 0x80000000, v35
	v_mov_b32_e32 v36, v34
	ds_store_b64 v3, v[36:37]
.LBB136_668:                            ;   in Loop: Header=BB136_3 Depth=1
	s_or_b32 exec_lo, exec_lo, s6
	s_wait_dscnt 0x0
	s_barrier_signal -1
	s_barrier_wait -1
	s_barrier_signal -1
	s_barrier_wait -1
	s_and_saveexec_b32 s6, s1
; %bb.669:                              ;   in Loop: Header=BB136_3 Depth=1
	ds_store_b64 v46, v[34:35] offset:11936
; %bb.670:                              ;   in Loop: Header=BB136_3 Depth=1
	s_or_b32 exec_lo, exec_lo, s6
	s_wait_dscnt 0x0
	s_barrier_signal -1
	s_barrier_wait -1
	s_barrier_signal -1
	s_barrier_wait -1
	s_and_saveexec_b32 s6, s14
	s_cbranch_execz .LBB136_672
; %bb.671:                              ;   in Loop: Header=BB136_3 Depth=1
	ds_load_b128 v[34:37], v5 offset:10912
	ds_load_b64 v[38:39], v5 offset:10400
	s_wait_dscnt 0x0
	v_mul_f64_e32 v[36:37], v[38:39], v[36:37]
	s_delay_alu instid0(VALU_DEP_1)
	v_mul_f64_e32 v[34:35], v[34:35], v[36:37]
	ds_store_b64 v5, v[34:35] offset:10912
.LBB136_672:                            ;   in Loop: Header=BB136_3 Depth=1
	s_or_b32 exec_lo, exec_lo, s6
	v_mov_b64_e32 v[34:35], 0
	s_wait_dscnt 0x0
	s_barrier_signal -1
	s_barrier_wait -1
	global_wb scope:SCOPE_DEV
	s_wait_storecnt 0x0
	global_inv scope:SCOPE_DEV
	s_and_saveexec_b32 s10, s2
	s_cbranch_execz .LBB136_678
; %bb.673:                              ;   in Loop: Header=BB136_3 Depth=1
	ds_load_b64 v[34:35], v49 offset:10368
	ds_load_b64 v[36:37], v48 offset:11936
	s_wait_dscnt 0x0
	v_fma_f64 v[34:35], v[34:35], v[36:37], 0
	s_and_saveexec_b32 s6, s16
	s_cbranch_execnz .LBB136_1071
; %bb.674:                              ;   in Loop: Header=BB136_3 Depth=1
	s_or_b32 exec_lo, exec_lo, s6
	s_and_saveexec_b32 s6, s17
	s_cbranch_execnz .LBB136_1072
.LBB136_675:                            ;   in Loop: Header=BB136_3 Depth=1
	s_or_b32 exec_lo, exec_lo, s6
	s_and_saveexec_b32 s6, s1
	s_cbranch_execz .LBB136_677
.LBB136_676:                            ;   in Loop: Header=BB136_3 Depth=1
	ds_load_b64 v[36:37], v45 offset:11904
	ds_load_b64 v[38:39], v5 offset:11960
	s_wait_dscnt 0x0
	v_fmac_f64_e32 v[34:35], v[36:37], v[38:39]
.LBB136_677:                            ;   in Loop: Header=BB136_3 Depth=1
	s_or_b32 exec_lo, exec_lo, s6
.LBB136_678:                            ;   in Loop: Header=BB136_3 Depth=1
	s_delay_alu instid0(SALU_CYCLE_1)
	s_or_b32 exec_lo, exec_lo, s10
	s_and_saveexec_b32 s6, vcc_hi
	s_cbranch_execz .LBB136_680
; %bb.679:                              ;   in Loop: Header=BB136_3 Depth=1
	ds_load_b64 v[36:37], v5 offset:9880
	s_wait_dscnt 0x0
	v_mul_f64_e32 v[34:35], v[34:35], v[36:37]
	s_delay_alu instid0(VALU_DEP_1) | instskip(NEXT) | instid1(VALU_DEP_2)
	v_xor_b32_e32 v37, 0x80000000, v35
	v_mov_b32_e32 v36, v34
	ds_store_b64 v47, v[36:37]
.LBB136_680:                            ;   in Loop: Header=BB136_3 Depth=1
	s_or_b32 exec_lo, exec_lo, s6
	s_wait_loadcnt_dscnt 0x0
	s_barrier_signal -1
	s_barrier_wait -1
	s_and_saveexec_b32 s6, s36
	s_cbranch_execz .LBB136_682
; %bb.681:                              ;   in Loop: Header=BB136_3 Depth=1
	ds_load_b64 v[36:37], v49 offset:9856
	ds_load_b64 v[38:39], v47
	s_wait_dscnt 0x0
	v_fma_f64 v[34:35], -v[36:37], v[38:39], v[34:35]
.LBB136_682:                            ;   in Loop: Header=BB136_3 Depth=1
	s_or_b32 exec_lo, exec_lo, s6
	s_barrier_signal -1
	s_barrier_wait -1
	s_and_saveexec_b32 s6, s37
	s_cbranch_execz .LBB136_684
; %bb.683:                              ;   in Loop: Header=BB136_3 Depth=1
	ds_load_b64 v[36:37], v5 offset:9360
	s_wait_dscnt 0x0
	v_mul_f64_e32 v[34:35], v[34:35], v[36:37]
	s_delay_alu instid0(VALU_DEP_1) | instskip(NEXT) | instid1(VALU_DEP_2)
	v_xor_b32_e32 v37, 0x80000000, v35
	v_mov_b32_e32 v36, v34
	ds_store_b64 v47, v[36:37]
.LBB136_684:                            ;   in Loop: Header=BB136_3 Depth=1
	s_or_b32 exec_lo, exec_lo, s6
	s_wait_dscnt 0x0
	s_barrier_signal -1
	s_barrier_wait -1
	s_and_saveexec_b32 s6, s38
	s_cbranch_execz .LBB136_686
; %bb.685:                              ;   in Loop: Header=BB136_3 Depth=1
	ds_load_b64 v[36:37], v49 offset:9344
	ds_load_b64 v[38:39], v47
	s_wait_dscnt 0x0
	v_fma_f64 v[34:35], -v[36:37], v[38:39], v[34:35]
.LBB136_686:                            ;   in Loop: Header=BB136_3 Depth=1
	s_or_b32 exec_lo, exec_lo, s6
	s_barrier_signal -1
	s_barrier_wait -1
	s_and_saveexec_b32 s6, s39
	s_cbranch_execz .LBB136_688
; %bb.687:                              ;   in Loop: Header=BB136_3 Depth=1
	ds_load_b64 v[36:37], v5 offset:8840
	s_wait_dscnt 0x0
	v_mul_f64_e32 v[34:35], v[34:35], v[36:37]
	s_delay_alu instid0(VALU_DEP_1) | instskip(NEXT) | instid1(VALU_DEP_2)
	v_xor_b32_e32 v37, 0x80000000, v35
	v_mov_b32_e32 v36, v34
	ds_store_b64 v47, v[36:37]
.LBB136_688:                            ;   in Loop: Header=BB136_3 Depth=1
	s_or_b32 exec_lo, exec_lo, s6
	s_wait_dscnt 0x0
	;; [unrolled: 26-line block ×3, first 2 shown]
	s_barrier_signal -1
	s_barrier_wait -1
	s_barrier_signal -1
	s_barrier_wait -1
	s_and_saveexec_b32 s6, s2
; %bb.693:                              ;   in Loop: Header=BB136_3 Depth=1
	ds_store_b64 v50, v[34:35] offset:11904
; %bb.694:                              ;   in Loop: Header=BB136_3 Depth=1
	s_or_b32 exec_lo, exec_lo, s6
	s_wait_dscnt 0x0
	s_barrier_signal -1
	s_barrier_wait -1
	s_barrier_signal -1
	s_barrier_wait -1
	s_and_saveexec_b32 s6, s14
	s_cbranch_execz .LBB136_696
; %bb.695:                              ;   in Loop: Header=BB136_3 Depth=1
	ds_load_b128 v[34:37], v5 offset:9872
	ds_load_b64 v[38:39], v5 offset:9360
	s_wait_dscnt 0x0
	v_mul_f64_e32 v[36:37], v[38:39], v[36:37]
	s_delay_alu instid0(VALU_DEP_1)
	v_mul_f64_e32 v[34:35], v[34:35], v[36:37]
	ds_store_b64 v5, v[34:35] offset:9872
.LBB136_696:                            ;   in Loop: Header=BB136_3 Depth=1
	s_or_b32 exec_lo, exec_lo, s6
	v_mov_b64_e32 v[34:35], 0
	s_wait_dscnt 0x0
	s_barrier_signal -1
	s_barrier_wait -1
	global_wb scope:SCOPE_DEV
	s_wait_storecnt 0x0
	global_inv scope:SCOPE_DEV
	s_and_saveexec_b32 s6, s1
	s_cbranch_execz .LBB136_700
; %bb.697:                              ;   in Loop: Header=BB136_3 Depth=1
	ds_load_b64 v[34:35], v44 offset:9344
	ds_load_b64 v[36:37], v43 offset:9872
	s_wait_dscnt 0x0
	v_fma_f64 v[34:35], v[34:35], v[36:37], 0
	s_and_saveexec_b32 s7, s15
	s_cbranch_execz .LBB136_699
; %bb.698:                              ;   in Loop: Header=BB136_3 Depth=1
	ds_load_b64 v[36:37], v45 offset:9856
	ds_load_b64 v[38:39], v5 offset:9880
	s_wait_dscnt 0x0
	v_fmac_f64_e32 v[34:35], v[36:37], v[38:39]
.LBB136_699:                            ;   in Loop: Header=BB136_3 Depth=1
	s_or_b32 exec_lo, exec_lo, s7
.LBB136_700:                            ;   in Loop: Header=BB136_3 Depth=1
	s_delay_alu instid0(SALU_CYCLE_1)
	s_or_b32 exec_lo, exec_lo, s6
	s_and_saveexec_b32 s6, s103
	s_cbranch_execz .LBB136_702
; %bb.701:                              ;   in Loop: Header=BB136_3 Depth=1
	ds_load_b64 v[36:37], v5 offset:8840
	s_wait_dscnt 0x0
	v_mul_f64_e32 v[34:35], v[34:35], v[36:37]
	s_delay_alu instid0(VALU_DEP_1) | instskip(NEXT) | instid1(VALU_DEP_2)
	v_xor_b32_e32 v37, 0x80000000, v35
	v_mov_b32_e32 v36, v34
	ds_store_b64 v3, v[36:37]
.LBB136_702:                            ;   in Loop: Header=BB136_3 Depth=1
	s_or_b32 exec_lo, exec_lo, s6
	s_wait_loadcnt_dscnt 0x0
	s_barrier_signal -1
	s_barrier_wait -1
	s_and_saveexec_b32 s6, s104
	s_cbranch_execz .LBB136_704
; %bb.703:                              ;   in Loop: Header=BB136_3 Depth=1
	ds_load_b64 v[36:37], v5 offset:8832
	ds_load_b64 v[38:39], v3
	s_wait_dscnt 0x0
	v_fma_f64 v[34:35], -v[36:37], v[38:39], v[34:35]
.LBB136_704:                            ;   in Loop: Header=BB136_3 Depth=1
	s_or_b32 exec_lo, exec_lo, s6
	s_barrier_signal -1
	s_barrier_wait -1
	s_and_saveexec_b32 s6, s104
	s_cbranch_execz .LBB136_706
; %bb.705:                              ;   in Loop: Header=BB136_3 Depth=1
	ds_load_b64 v[36:37], v5 offset:8320
	s_wait_dscnt 0x0
	v_mul_f64_e32 v[34:35], v[34:35], v[36:37]
	s_delay_alu instid0(VALU_DEP_1) | instskip(NEXT) | instid1(VALU_DEP_2)
	v_xor_b32_e32 v37, 0x80000000, v35
	v_mov_b32_e32 v36, v34
	ds_store_b64 v3, v[36:37]
.LBB136_706:                            ;   in Loop: Header=BB136_3 Depth=1
	s_or_b32 exec_lo, exec_lo, s6
	s_wait_dscnt 0x0
	s_barrier_signal -1
	s_barrier_wait -1
	s_barrier_signal -1
	s_barrier_wait -1
	s_and_saveexec_b32 s6, s1
; %bb.707:                              ;   in Loop: Header=BB136_3 Depth=1
	ds_store_b64 v46, v[34:35] offset:9856
; %bb.708:                              ;   in Loop: Header=BB136_3 Depth=1
	s_or_b32 exec_lo, exec_lo, s6
	s_wait_dscnt 0x0
	s_barrier_signal -1
	s_barrier_wait -1
	s_barrier_signal -1
	s_barrier_wait -1
	s_and_saveexec_b32 s6, s14
	s_cbranch_execz .LBB136_710
; %bb.709:                              ;   in Loop: Header=BB136_3 Depth=1
	ds_load_b128 v[34:37], v5 offset:8832
	ds_load_b64 v[38:39], v5 offset:8320
	s_wait_dscnt 0x0
	v_mul_f64_e32 v[36:37], v[38:39], v[36:37]
	s_delay_alu instid0(VALU_DEP_1)
	v_mul_f64_e32 v[34:35], v[34:35], v[36:37]
	ds_store_b64 v5, v[34:35] offset:8832
.LBB136_710:                            ;   in Loop: Header=BB136_3 Depth=1
	s_or_b32 exec_lo, exec_lo, s6
	v_mov_b64_e32 v[34:35], 0
	s_wait_dscnt 0x0
	s_barrier_signal -1
	s_barrier_wait -1
	global_wb scope:SCOPE_DEV
	s_wait_storecnt 0x0
	global_inv scope:SCOPE_DEV
	s_and_saveexec_b32 s10, s4
	s_cbranch_execz .LBB136_738
; %bb.711:                              ;   in Loop: Header=BB136_3 Depth=1
	ds_load_b64 v[34:35], v57 offset:8192
	ds_load_b64 v[36:37], v56 offset:16000
	s_wait_dscnt 0x0
	v_fma_f64 v[34:35], v[34:35], v[36:37], 0
	s_mov_b32 s6, exec_lo
	v_readlane_b32 s7, v86, 30
	s_and_b32 s7, s6, s7
	s_delay_alu instid0(SALU_CYCLE_1)
	s_mov_b32 exec_lo, s7
	s_cbranch_execz .LBB136_713
; %bb.712:                              ;   in Loop: Header=BB136_3 Depth=1
	ds_load_b64 v[36:37], v57 offset:8704
	ds_load_b64 v[38:39], v56 offset:16008
	s_wait_dscnt 0x0
	v_fmac_f64_e32 v[34:35], v[36:37], v[38:39]
.LBB136_713:                            ;   in Loop: Header=BB136_3 Depth=1
	s_or_b32 exec_lo, exec_lo, s6
	s_delay_alu instid0(SALU_CYCLE_1) | instskip(SKIP_2) | instid1(SALU_CYCLE_1)
	s_mov_b32 s6, exec_lo
	v_readlane_b32 s7, v86, 31
	s_and_b32 s7, s6, s7
	s_mov_b32 exec_lo, s7
	s_cbranch_execz .LBB136_715
; %bb.714:                              ;   in Loop: Header=BB136_3 Depth=1
	ds_load_b64 v[36:37], v57 offset:9216
	ds_load_b64 v[38:39], v56 offset:16016
	s_wait_dscnt 0x0
	v_fmac_f64_e32 v[34:35], v[36:37], v[38:39]
.LBB136_715:                            ;   in Loop: Header=BB136_3 Depth=1
	s_or_b32 exec_lo, exec_lo, s6
	s_delay_alu instid0(SALU_CYCLE_1) | instskip(SKIP_2) | instid1(SALU_CYCLE_1)
	s_mov_b32 s6, exec_lo
	v_readlane_b32 s7, v85, 0
	s_and_b32 s7, s6, s7
	;; [unrolled: 13-line block ×10, first 2 shown]
	s_mov_b32 exec_lo, s7
	s_cbranch_execnz .LBB136_1073
; %bb.732:                              ;   in Loop: Header=BB136_3 Depth=1
	s_or_b32 exec_lo, exec_lo, s6
	s_and_saveexec_b32 s6, s3
	s_cbranch_execnz .LBB136_1074
.LBB136_733:                            ;   in Loop: Header=BB136_3 Depth=1
	s_or_b32 exec_lo, exec_lo, s6
	s_and_saveexec_b32 s6, s19
	s_cbranch_execnz .LBB136_1075
.LBB136_734:                            ;   in Loop: Header=BB136_3 Depth=1
	s_or_b32 exec_lo, exec_lo, s6
	s_and_saveexec_b32 s6, s21
	s_cbranch_execnz .LBB136_1076
.LBB136_735:                            ;   in Loop: Header=BB136_3 Depth=1
	s_or_b32 exec_lo, exec_lo, s6
	s_and_saveexec_b32 s6, s2
	s_cbranch_execz .LBB136_737
.LBB136_736:                            ;   in Loop: Header=BB136_3 Depth=1
	ds_load_b64 v[36:37], v45 offset:15872
	ds_load_b64 v[38:39], v5 offset:16120
	s_wait_dscnt 0x0
	v_fmac_f64_e32 v[34:35], v[36:37], v[38:39]
.LBB136_737:                            ;   in Loop: Header=BB136_3 Depth=1
	s_or_b32 exec_lo, exec_lo, s6
.LBB136_738:                            ;   in Loop: Header=BB136_3 Depth=1
	s_delay_alu instid0(SALU_CYCLE_1) | instskip(NEXT) | instid1(SALU_CYCLE_1)
	s_or_b32 exec_lo, exec_lo, s10
	s_mov_b32 s6, exec_lo
	v_readlane_b32 s7, v86, 1
	s_and_b32 s7, s6, s7
	s_delay_alu instid0(SALU_CYCLE_1)
	s_mov_b32 exec_lo, s7
	s_cbranch_execz .LBB136_740
; %bb.739:                              ;   in Loop: Header=BB136_3 Depth=1
	ds_load_b64 v[36:37], v5 offset:7800
	s_wait_dscnt 0x0
	v_mul_f64_e32 v[34:35], v[34:35], v[36:37]
	s_delay_alu instid0(VALU_DEP_1) | instskip(NEXT) | instid1(VALU_DEP_2)
	v_xor_b32_e32 v37, 0x80000000, v35
	v_mov_b32_e32 v36, v34
	ds_store_b64 v55, v[36:37]
.LBB136_740:                            ;   in Loop: Header=BB136_3 Depth=1
	s_or_b32 exec_lo, exec_lo, s6
	s_wait_loadcnt_dscnt 0x0
	s_barrier_signal -1
	s_barrier_wait -1
	s_mov_b32 s6, exec_lo
	v_readlane_b32 s7, v86, 2
	s_and_b32 s7, s6, s7
	s_delay_alu instid0(SALU_CYCLE_1)
	s_mov_b32 exec_lo, s7
	s_cbranch_execz .LBB136_742
; %bb.741:                              ;   in Loop: Header=BB136_3 Depth=1
	ds_load_b64 v[36:37], v57 offset:7680
	ds_load_b64 v[38:39], v55
	s_wait_dscnt 0x0
	v_fma_f64 v[34:35], -v[36:37], v[38:39], v[34:35]
.LBB136_742:                            ;   in Loop: Header=BB136_3 Depth=1
	s_or_b32 exec_lo, exec_lo, s6
	s_barrier_signal -1
	s_barrier_wait -1
	s_mov_b32 s6, exec_lo
	v_readlane_b32 s7, v86, 3
	s_and_b32 s7, s6, s7
	s_delay_alu instid0(SALU_CYCLE_1)
	s_mov_b32 exec_lo, s7
	s_cbranch_execz .LBB136_744
; %bb.743:                              ;   in Loop: Header=BB136_3 Depth=1
	ds_load_b64 v[36:37], v5 offset:7280
	s_wait_dscnt 0x0
	v_mul_f64_e32 v[34:35], v[34:35], v[36:37]
	s_delay_alu instid0(VALU_DEP_1) | instskip(NEXT) | instid1(VALU_DEP_2)
	v_xor_b32_e32 v37, 0x80000000, v35
	v_mov_b32_e32 v36, v34
	ds_store_b64 v55, v[36:37]
.LBB136_744:                            ;   in Loop: Header=BB136_3 Depth=1
	s_or_b32 exec_lo, exec_lo, s6
	s_wait_dscnt 0x0
	s_barrier_signal -1
	s_barrier_wait -1
	s_mov_b32 s6, exec_lo
	v_readlane_b32 s7, v86, 4
	s_and_b32 s7, s6, s7
	s_delay_alu instid0(SALU_CYCLE_1)
	s_mov_b32 exec_lo, s7
	s_cbranch_execz .LBB136_746
; %bb.745:                              ;   in Loop: Header=BB136_3 Depth=1
	ds_load_b64 v[36:37], v57 offset:7168
	ds_load_b64 v[38:39], v55
	s_wait_dscnt 0x0
	v_fma_f64 v[34:35], -v[36:37], v[38:39], v[34:35]
.LBB136_746:                            ;   in Loop: Header=BB136_3 Depth=1
	s_or_b32 exec_lo, exec_lo, s6
	s_barrier_signal -1
	s_barrier_wait -1
	s_mov_b32 s6, exec_lo
	v_readlane_b32 s7, v86, 5
	s_and_b32 s7, s6, s7
	s_delay_alu instid0(SALU_CYCLE_1)
	s_mov_b32 exec_lo, s7
	s_cbranch_execz .LBB136_748
; %bb.747:                              ;   in Loop: Header=BB136_3 Depth=1
	ds_load_b64 v[36:37], v5 offset:6760
	s_wait_dscnt 0x0
	v_mul_f64_e32 v[34:35], v[34:35], v[36:37]
	s_delay_alu instid0(VALU_DEP_1) | instskip(NEXT) | instid1(VALU_DEP_2)
	v_xor_b32_e32 v37, 0x80000000, v35
	v_mov_b32_e32 v36, v34
	ds_store_b64 v55, v[36:37]
.LBB136_748:                            ;   in Loop: Header=BB136_3 Depth=1
	s_or_b32 exec_lo, exec_lo, s6
	s_wait_dscnt 0x0
	;; [unrolled: 34-line block ×3, first 2 shown]
	s_barrier_signal -1
	s_barrier_wait -1
	s_mov_b32 s6, exec_lo
	v_readlane_b32 s7, v86, 8
	s_and_b32 s7, s6, s7
	s_delay_alu instid0(SALU_CYCLE_1)
	s_mov_b32 exec_lo, s7
	s_cbranch_execz .LBB136_754
; %bb.753:                              ;   in Loop: Header=BB136_3 Depth=1
	ds_load_b64 v[36:37], v57 offset:6144
	ds_load_b64 v[38:39], v55
	s_wait_dscnt 0x0
	v_fma_f64 v[34:35], -v[36:37], v[38:39], v[34:35]
.LBB136_754:                            ;   in Loop: Header=BB136_3 Depth=1
	s_or_b32 exec_lo, exec_lo, s6
	s_barrier_signal -1
	s_barrier_wait -1
	s_and_saveexec_b32 s6, s12
	s_cbranch_execz .LBB136_756
; %bb.755:                              ;   in Loop: Header=BB136_3 Depth=1
	ds_load_b64 v[36:37], v5 offset:5720
	s_wait_dscnt 0x0
	v_mul_f64_e32 v[34:35], v[34:35], v[36:37]
	s_delay_alu instid0(VALU_DEP_1) | instskip(NEXT) | instid1(VALU_DEP_2)
	v_xor_b32_e32 v37, 0x80000000, v35
	v_mov_b32_e32 v36, v34
	ds_store_b64 v55, v[36:37]
.LBB136_756:                            ;   in Loop: Header=BB136_3 Depth=1
	s_or_b32 exec_lo, exec_lo, s6
	s_wait_dscnt 0x0
	s_barrier_signal -1
	s_barrier_wait -1
	s_and_saveexec_b32 s6, s13
	s_cbranch_execz .LBB136_758
; %bb.757:                              ;   in Loop: Header=BB136_3 Depth=1
	ds_load_b64 v[36:37], v57 offset:5632
	ds_load_b64 v[38:39], v55
	s_wait_dscnt 0x0
	v_fma_f64 v[34:35], -v[36:37], v[38:39], v[34:35]
.LBB136_758:                            ;   in Loop: Header=BB136_3 Depth=1
	s_or_b32 exec_lo, exec_lo, s6
	s_barrier_signal -1
	s_barrier_wait -1
	s_and_saveexec_b32 s6, s23
	s_cbranch_execz .LBB136_760
; %bb.759:                              ;   in Loop: Header=BB136_3 Depth=1
	ds_load_b64 v[36:37], v5 offset:5200
	s_wait_dscnt 0x0
	v_mul_f64_e32 v[34:35], v[34:35], v[36:37]
	s_delay_alu instid0(VALU_DEP_1) | instskip(NEXT) | instid1(VALU_DEP_2)
	v_xor_b32_e32 v37, 0x80000000, v35
	v_mov_b32_e32 v36, v34
	ds_store_b64 v55, v[36:37]
.LBB136_760:                            ;   in Loop: Header=BB136_3 Depth=1
	s_or_b32 exec_lo, exec_lo, s6
	s_wait_dscnt 0x0
	s_barrier_signal -1
	s_barrier_wait -1
	s_and_saveexec_b32 s6, s25
	;; [unrolled: 26-line block ×11, first 2 shown]
	s_cbranch_execz .LBB136_798
; %bb.797:                              ;   in Loop: Header=BB136_3 Depth=1
	ds_load_b64 v[36:37], v5 offset:512
	ds_load_b64 v[38:39], v55
	s_wait_dscnt 0x0
	v_fma_f64 v[34:35], -v[36:37], v[38:39], v[34:35]
.LBB136_798:                            ;   in Loop: Header=BB136_3 Depth=1
	s_or_b32 exec_lo, exec_lo, s6
	s_barrier_signal -1
	s_barrier_wait -1
	s_and_saveexec_b32 s6, s58
	s_cbranch_execz .LBB136_800
; %bb.799:                              ;   in Loop: Header=BB136_3 Depth=1
	ds_load_b64 v[36:37], v5
	s_wait_dscnt 0x0
	v_mul_f64_e32 v[34:35], v[34:35], v[36:37]
	s_delay_alu instid0(VALU_DEP_1) | instskip(NEXT) | instid1(VALU_DEP_2)
	v_xor_b32_e32 v37, 0x80000000, v35
	v_mov_b32_e32 v36, v34
	ds_store_b64 v55, v[36:37]
.LBB136_800:                            ;   in Loop: Header=BB136_3 Depth=1
	s_or_b32 exec_lo, exec_lo, s6
	s_wait_dscnt 0x0
	s_barrier_signal -1
	s_barrier_wait -1
	s_barrier_signal -1
	s_barrier_wait -1
	s_and_saveexec_b32 s6, s4
; %bb.801:                              ;   in Loop: Header=BB136_3 Depth=1
	ds_store_b64 v59, v[34:35] offset:15872
; %bb.802:                              ;   in Loop: Header=BB136_3 Depth=1
	s_or_b32 exec_lo, exec_lo, s6
	s_wait_dscnt 0x0
	s_barrier_signal -1
	s_barrier_wait -1
	s_barrier_signal -1
	s_barrier_wait -1
	s_and_saveexec_b32 s6, s14
	s_cbranch_execz .LBB136_804
; %bb.803:                              ;   in Loop: Header=BB136_3 Depth=1
	ds_load_b128 v[34:37], v5 offset:7792
	ds_load_b64 v[38:39], v5 offset:7280
	s_wait_dscnt 0x0
	v_mul_f64_e32 v[36:37], v[38:39], v[36:37]
	s_delay_alu instid0(VALU_DEP_1)
	v_mul_f64_e32 v[34:35], v[34:35], v[36:37]
	ds_store_b64 v5, v[34:35] offset:7792
.LBB136_804:                            ;   in Loop: Header=BB136_3 Depth=1
	s_or_b32 exec_lo, exec_lo, s6
	v_mov_b64_e32 v[34:35], 0
	s_wait_dscnt 0x0
	s_barrier_signal -1
	s_barrier_wait -1
	global_wb scope:SCOPE_DEV
	s_wait_storecnt 0x0
	global_inv scope:SCOPE_DEV
	s_and_saveexec_b32 s6, s1
	s_cbranch_execz .LBB136_808
; %bb.805:                              ;   in Loop: Header=BB136_3 Depth=1
	ds_load_b64 v[34:35], v44 offset:7264
	ds_load_b64 v[36:37], v43 offset:7792
	s_wait_dscnt 0x0
	v_fma_f64 v[34:35], v[34:35], v[36:37], 0
	s_and_saveexec_b32 s7, s15
	s_cbranch_execz .LBB136_807
; %bb.806:                              ;   in Loop: Header=BB136_3 Depth=1
	ds_load_b64 v[36:37], v45 offset:7776
	ds_load_b64 v[38:39], v5 offset:7800
	s_wait_dscnt 0x0
	v_fmac_f64_e32 v[34:35], v[36:37], v[38:39]
.LBB136_807:                            ;   in Loop: Header=BB136_3 Depth=1
	s_or_b32 exec_lo, exec_lo, s7
.LBB136_808:                            ;   in Loop: Header=BB136_3 Depth=1
	s_delay_alu instid0(SALU_CYCLE_1)
	s_or_b32 exec_lo, exec_lo, s6
	s_and_saveexec_b32 s6, s103
	s_cbranch_execz .LBB136_810
; %bb.809:                              ;   in Loop: Header=BB136_3 Depth=1
	ds_load_b64 v[36:37], v5 offset:6760
	s_wait_dscnt 0x0
	v_mul_f64_e32 v[34:35], v[34:35], v[36:37]
	s_delay_alu instid0(VALU_DEP_1) | instskip(NEXT) | instid1(VALU_DEP_2)
	v_xor_b32_e32 v37, 0x80000000, v35
	v_mov_b32_e32 v36, v34
	ds_store_b64 v3, v[36:37]
.LBB136_810:                            ;   in Loop: Header=BB136_3 Depth=1
	s_or_b32 exec_lo, exec_lo, s6
	s_wait_loadcnt_dscnt 0x0
	s_barrier_signal -1
	s_barrier_wait -1
	s_and_saveexec_b32 s6, s104
	s_cbranch_execz .LBB136_812
; %bb.811:                              ;   in Loop: Header=BB136_3 Depth=1
	ds_load_b64 v[36:37], v5 offset:6752
	ds_load_b64 v[38:39], v3
	s_wait_dscnt 0x0
	v_fma_f64 v[34:35], -v[36:37], v[38:39], v[34:35]
.LBB136_812:                            ;   in Loop: Header=BB136_3 Depth=1
	s_or_b32 exec_lo, exec_lo, s6
	s_barrier_signal -1
	s_barrier_wait -1
	s_and_saveexec_b32 s6, s104
	s_cbranch_execz .LBB136_814
; %bb.813:                              ;   in Loop: Header=BB136_3 Depth=1
	ds_load_b64 v[36:37], v5 offset:6240
	s_wait_dscnt 0x0
	v_mul_f64_e32 v[34:35], v[34:35], v[36:37]
	s_delay_alu instid0(VALU_DEP_1) | instskip(NEXT) | instid1(VALU_DEP_2)
	v_xor_b32_e32 v37, 0x80000000, v35
	v_mov_b32_e32 v36, v34
	ds_store_b64 v3, v[36:37]
.LBB136_814:                            ;   in Loop: Header=BB136_3 Depth=1
	s_or_b32 exec_lo, exec_lo, s6
	s_wait_dscnt 0x0
	s_barrier_signal -1
	s_barrier_wait -1
	s_barrier_signal -1
	s_barrier_wait -1
	s_and_saveexec_b32 s6, s1
; %bb.815:                              ;   in Loop: Header=BB136_3 Depth=1
	ds_store_b64 v46, v[34:35] offset:7776
; %bb.816:                              ;   in Loop: Header=BB136_3 Depth=1
	s_or_b32 exec_lo, exec_lo, s6
	s_wait_dscnt 0x0
	s_barrier_signal -1
	s_barrier_wait -1
	s_barrier_signal -1
	s_barrier_wait -1
	s_and_saveexec_b32 s6, s14
	s_cbranch_execz .LBB136_818
; %bb.817:                              ;   in Loop: Header=BB136_3 Depth=1
	ds_load_b128 v[34:37], v5 offset:6752
	ds_load_b64 v[38:39], v5 offset:6240
	s_wait_dscnt 0x0
	v_mul_f64_e32 v[36:37], v[38:39], v[36:37]
	s_delay_alu instid0(VALU_DEP_1)
	v_mul_f64_e32 v[34:35], v[34:35], v[36:37]
	ds_store_b64 v5, v[34:35] offset:6752
.LBB136_818:                            ;   in Loop: Header=BB136_3 Depth=1
	s_or_b32 exec_lo, exec_lo, s6
	v_mov_b64_e32 v[34:35], 0
	s_wait_dscnt 0x0
	s_barrier_signal -1
	s_barrier_wait -1
	global_wb scope:SCOPE_DEV
	s_wait_storecnt 0x0
	global_inv scope:SCOPE_DEV
	s_and_saveexec_b32 s10, s2
	s_cbranch_execz .LBB136_824
; %bb.819:                              ;   in Loop: Header=BB136_3 Depth=1
	ds_load_b64 v[34:35], v49 offset:6208
	ds_load_b64 v[36:37], v48 offset:7776
	s_wait_dscnt 0x0
	v_fma_f64 v[34:35], v[34:35], v[36:37], 0
	s_and_saveexec_b32 s6, s16
	s_cbranch_execnz .LBB136_1077
; %bb.820:                              ;   in Loop: Header=BB136_3 Depth=1
	s_or_b32 exec_lo, exec_lo, s6
	s_and_saveexec_b32 s6, s17
	s_cbranch_execnz .LBB136_1078
.LBB136_821:                            ;   in Loop: Header=BB136_3 Depth=1
	s_or_b32 exec_lo, exec_lo, s6
	s_and_saveexec_b32 s6, s1
	s_cbranch_execz .LBB136_823
.LBB136_822:                            ;   in Loop: Header=BB136_3 Depth=1
	ds_load_b64 v[36:37], v45 offset:7744
	ds_load_b64 v[38:39], v5 offset:7800
	s_wait_dscnt 0x0
	v_fmac_f64_e32 v[34:35], v[36:37], v[38:39]
.LBB136_823:                            ;   in Loop: Header=BB136_3 Depth=1
	s_or_b32 exec_lo, exec_lo, s6
.LBB136_824:                            ;   in Loop: Header=BB136_3 Depth=1
	s_delay_alu instid0(SALU_CYCLE_1)
	s_or_b32 exec_lo, exec_lo, s10
	s_and_saveexec_b32 s6, vcc_hi
	s_cbranch_execz .LBB136_826
; %bb.825:                              ;   in Loop: Header=BB136_3 Depth=1
	ds_load_b64 v[36:37], v5 offset:5720
	s_wait_dscnt 0x0
	v_mul_f64_e32 v[34:35], v[34:35], v[36:37]
	s_delay_alu instid0(VALU_DEP_1) | instskip(NEXT) | instid1(VALU_DEP_2)
	v_xor_b32_e32 v37, 0x80000000, v35
	v_mov_b32_e32 v36, v34
	ds_store_b64 v47, v[36:37]
.LBB136_826:                            ;   in Loop: Header=BB136_3 Depth=1
	s_or_b32 exec_lo, exec_lo, s6
	s_wait_loadcnt_dscnt 0x0
	s_barrier_signal -1
	s_barrier_wait -1
	s_and_saveexec_b32 s6, s36
	s_cbranch_execz .LBB136_828
; %bb.827:                              ;   in Loop: Header=BB136_3 Depth=1
	ds_load_b64 v[36:37], v49 offset:5696
	ds_load_b64 v[38:39], v47
	s_wait_dscnt 0x0
	v_fma_f64 v[34:35], -v[36:37], v[38:39], v[34:35]
.LBB136_828:                            ;   in Loop: Header=BB136_3 Depth=1
	s_or_b32 exec_lo, exec_lo, s6
	s_barrier_signal -1
	s_barrier_wait -1
	s_and_saveexec_b32 s6, s37
	s_cbranch_execz .LBB136_830
; %bb.829:                              ;   in Loop: Header=BB136_3 Depth=1
	ds_load_b64 v[36:37], v5 offset:5200
	s_wait_dscnt 0x0
	v_mul_f64_e32 v[34:35], v[34:35], v[36:37]
	s_delay_alu instid0(VALU_DEP_1) | instskip(NEXT) | instid1(VALU_DEP_2)
	v_xor_b32_e32 v37, 0x80000000, v35
	v_mov_b32_e32 v36, v34
	ds_store_b64 v47, v[36:37]
.LBB136_830:                            ;   in Loop: Header=BB136_3 Depth=1
	s_or_b32 exec_lo, exec_lo, s6
	s_wait_dscnt 0x0
	s_barrier_signal -1
	s_barrier_wait -1
	s_and_saveexec_b32 s6, s38
	s_cbranch_execz .LBB136_832
; %bb.831:                              ;   in Loop: Header=BB136_3 Depth=1
	ds_load_b64 v[36:37], v49 offset:5184
	ds_load_b64 v[38:39], v47
	s_wait_dscnt 0x0
	v_fma_f64 v[34:35], -v[36:37], v[38:39], v[34:35]
.LBB136_832:                            ;   in Loop: Header=BB136_3 Depth=1
	s_or_b32 exec_lo, exec_lo, s6
	s_barrier_signal -1
	s_barrier_wait -1
	s_and_saveexec_b32 s6, s39
	s_cbranch_execz .LBB136_834
; %bb.833:                              ;   in Loop: Header=BB136_3 Depth=1
	ds_load_b64 v[36:37], v5 offset:4680
	s_wait_dscnt 0x0
	v_mul_f64_e32 v[34:35], v[34:35], v[36:37]
	s_delay_alu instid0(VALU_DEP_1) | instskip(NEXT) | instid1(VALU_DEP_2)
	v_xor_b32_e32 v37, 0x80000000, v35
	v_mov_b32_e32 v36, v34
	ds_store_b64 v47, v[36:37]
.LBB136_834:                            ;   in Loop: Header=BB136_3 Depth=1
	s_or_b32 exec_lo, exec_lo, s6
	s_wait_dscnt 0x0
	s_barrier_signal -1
	s_barrier_wait -1
	s_and_saveexec_b32 s6, s40
	s_cbranch_execz .LBB136_836
; %bb.835:                              ;   in Loop: Header=BB136_3 Depth=1
	ds_load_b64 v[36:37], v5 offset:4672
	ds_load_b64 v[38:39], v47
	s_wait_dscnt 0x0
	v_fma_f64 v[34:35], -v[36:37], v[38:39], v[34:35]
.LBB136_836:                            ;   in Loop: Header=BB136_3 Depth=1
	s_or_b32 exec_lo, exec_lo, s6
	s_barrier_signal -1
	s_barrier_wait -1
	s_and_saveexec_b32 s6, s40
	s_cbranch_execz .LBB136_838
; %bb.837:                              ;   in Loop: Header=BB136_3 Depth=1
	ds_load_b64 v[36:37], v5 offset:4160
	s_wait_dscnt 0x0
	v_mul_f64_e32 v[34:35], v[34:35], v[36:37]
	s_delay_alu instid0(VALU_DEP_1) | instskip(NEXT) | instid1(VALU_DEP_2)
	v_xor_b32_e32 v37, 0x80000000, v35
	v_mov_b32_e32 v36, v34
	ds_store_b64 v47, v[36:37]
.LBB136_838:                            ;   in Loop: Header=BB136_3 Depth=1
	s_or_b32 exec_lo, exec_lo, s6
	s_wait_dscnt 0x0
	s_barrier_signal -1
	s_barrier_wait -1
	s_barrier_signal -1
	s_barrier_wait -1
	s_and_saveexec_b32 s6, s2
; %bb.839:                              ;   in Loop: Header=BB136_3 Depth=1
	ds_store_b64 v50, v[34:35] offset:7744
; %bb.840:                              ;   in Loop: Header=BB136_3 Depth=1
	s_or_b32 exec_lo, exec_lo, s6
	s_wait_dscnt 0x0
	s_barrier_signal -1
	s_barrier_wait -1
	s_barrier_signal -1
	s_barrier_wait -1
	s_and_saveexec_b32 s6, s14
	s_cbranch_execz .LBB136_842
; %bb.841:                              ;   in Loop: Header=BB136_3 Depth=1
	ds_load_b128 v[34:37], v5 offset:5712
	ds_load_b64 v[38:39], v5 offset:5200
	s_wait_dscnt 0x0
	v_mul_f64_e32 v[36:37], v[38:39], v[36:37]
	s_delay_alu instid0(VALU_DEP_1)
	v_mul_f64_e32 v[34:35], v[34:35], v[36:37]
	ds_store_b64 v5, v[34:35] offset:5712
.LBB136_842:                            ;   in Loop: Header=BB136_3 Depth=1
	s_or_b32 exec_lo, exec_lo, s6
	v_mov_b64_e32 v[34:35], 0
	s_wait_dscnt 0x0
	s_barrier_signal -1
	s_barrier_wait -1
	global_wb scope:SCOPE_DEV
	s_wait_storecnt 0x0
	global_inv scope:SCOPE_DEV
	s_and_saveexec_b32 s6, s1
	s_cbranch_execz .LBB136_846
; %bb.843:                              ;   in Loop: Header=BB136_3 Depth=1
	ds_load_b64 v[34:35], v44 offset:5184
	ds_load_b64 v[36:37], v43 offset:5712
	s_wait_dscnt 0x0
	v_fma_f64 v[34:35], v[34:35], v[36:37], 0
	s_and_saveexec_b32 s7, s15
	s_cbranch_execz .LBB136_845
; %bb.844:                              ;   in Loop: Header=BB136_3 Depth=1
	ds_load_b64 v[36:37], v45 offset:5696
	ds_load_b64 v[38:39], v5 offset:5720
	s_wait_dscnt 0x0
	v_fmac_f64_e32 v[34:35], v[36:37], v[38:39]
.LBB136_845:                            ;   in Loop: Header=BB136_3 Depth=1
	s_or_b32 exec_lo, exec_lo, s7
.LBB136_846:                            ;   in Loop: Header=BB136_3 Depth=1
	s_delay_alu instid0(SALU_CYCLE_1)
	s_or_b32 exec_lo, exec_lo, s6
	s_and_saveexec_b32 s6, s103
	s_cbranch_execz .LBB136_848
; %bb.847:                              ;   in Loop: Header=BB136_3 Depth=1
	ds_load_b64 v[36:37], v5 offset:4680
	s_wait_dscnt 0x0
	v_mul_f64_e32 v[34:35], v[34:35], v[36:37]
	s_delay_alu instid0(VALU_DEP_1) | instskip(NEXT) | instid1(VALU_DEP_2)
	v_xor_b32_e32 v37, 0x80000000, v35
	v_mov_b32_e32 v36, v34
	ds_store_b64 v3, v[36:37]
.LBB136_848:                            ;   in Loop: Header=BB136_3 Depth=1
	s_or_b32 exec_lo, exec_lo, s6
	s_wait_loadcnt_dscnt 0x0
	s_barrier_signal -1
	s_barrier_wait -1
	s_and_saveexec_b32 s6, s104
	s_cbranch_execz .LBB136_850
; %bb.849:                              ;   in Loop: Header=BB136_3 Depth=1
	ds_load_b64 v[36:37], v5 offset:4672
	ds_load_b64 v[38:39], v3
	s_wait_dscnt 0x0
	v_fma_f64 v[34:35], -v[36:37], v[38:39], v[34:35]
.LBB136_850:                            ;   in Loop: Header=BB136_3 Depth=1
	s_or_b32 exec_lo, exec_lo, s6
	s_barrier_signal -1
	s_barrier_wait -1
	s_and_saveexec_b32 s6, s104
	s_cbranch_execz .LBB136_852
; %bb.851:                              ;   in Loop: Header=BB136_3 Depth=1
	ds_load_b64 v[36:37], v5 offset:4160
	s_wait_dscnt 0x0
	v_mul_f64_e32 v[34:35], v[34:35], v[36:37]
	s_delay_alu instid0(VALU_DEP_1) | instskip(NEXT) | instid1(VALU_DEP_2)
	v_xor_b32_e32 v37, 0x80000000, v35
	v_mov_b32_e32 v36, v34
	ds_store_b64 v3, v[36:37]
.LBB136_852:                            ;   in Loop: Header=BB136_3 Depth=1
	s_or_b32 exec_lo, exec_lo, s6
	s_wait_dscnt 0x0
	s_barrier_signal -1
	s_barrier_wait -1
	s_barrier_signal -1
	s_barrier_wait -1
	s_and_saveexec_b32 s6, s1
; %bb.853:                              ;   in Loop: Header=BB136_3 Depth=1
	ds_store_b64 v46, v[34:35] offset:5696
; %bb.854:                              ;   in Loop: Header=BB136_3 Depth=1
	s_or_b32 exec_lo, exec_lo, s6
	s_wait_dscnt 0x0
	s_barrier_signal -1
	s_barrier_wait -1
	s_barrier_signal -1
	s_barrier_wait -1
	s_and_saveexec_b32 s6, s14
	s_cbranch_execz .LBB136_856
; %bb.855:                              ;   in Loop: Header=BB136_3 Depth=1
	ds_load_b128 v[34:37], v5 offset:4672
	ds_load_b64 v[38:39], v5 offset:4160
	s_wait_dscnt 0x0
	v_mul_f64_e32 v[36:37], v[38:39], v[36:37]
	s_delay_alu instid0(VALU_DEP_1)
	v_mul_f64_e32 v[34:35], v[34:35], v[36:37]
	ds_store_b64 v5, v[34:35] offset:4672
.LBB136_856:                            ;   in Loop: Header=BB136_3 Depth=1
	s_or_b32 exec_lo, exec_lo, s6
	v_mov_b64_e32 v[34:35], 0
	s_wait_dscnt 0x0
	s_barrier_signal -1
	s_barrier_wait -1
	global_wb scope:SCOPE_DEV
	s_wait_storecnt 0x0
	global_inv scope:SCOPE_DEV
	s_and_saveexec_b32 s10, s3
	s_cbranch_execz .LBB136_866
; %bb.857:                              ;   in Loop: Header=BB136_3 Depth=1
	ds_load_b64 v[34:35], v53 offset:4096
	ds_load_b64 v[36:37], v52 offset:7744
	s_wait_dscnt 0x0
	v_fma_f64 v[34:35], v[34:35], v[36:37], 0
	s_and_saveexec_b32 s6, s18
	s_cbranch_execnz .LBB136_1079
; %bb.858:                              ;   in Loop: Header=BB136_3 Depth=1
	s_or_b32 exec_lo, exec_lo, s6
	s_and_saveexec_b32 s6, s19
	s_cbranch_execnz .LBB136_1080
.LBB136_859:                            ;   in Loop: Header=BB136_3 Depth=1
	s_or_b32 exec_lo, exec_lo, s6
	s_and_saveexec_b32 s6, s20
	s_cbranch_execnz .LBB136_1081
.LBB136_860:                            ;   in Loop: Header=BB136_3 Depth=1
	s_or_b32 exec_lo, exec_lo, s6
	s_and_saveexec_b32 s6, s21
	s_cbranch_execnz .LBB136_1082
.LBB136_861:                            ;   in Loop: Header=BB136_3 Depth=1
	s_or_b32 exec_lo, exec_lo, s6
	s_and_saveexec_b32 s6, s22
	s_cbranch_execnz .LBB136_1083
.LBB136_862:                            ;   in Loop: Header=BB136_3 Depth=1
	s_or_b32 exec_lo, exec_lo, s6
	s_and_saveexec_b32 s6, s2
	s_cbranch_execnz .LBB136_1084
.LBB136_863:                            ;   in Loop: Header=BB136_3 Depth=1
	s_or_b32 exec_lo, exec_lo, s6
	s_and_saveexec_b32 s6, s17
	s_cbranch_execz .LBB136_865
.LBB136_864:                            ;   in Loop: Header=BB136_3 Depth=1
	ds_load_b64 v[36:37], v45 offset:7680
	ds_load_b64 v[38:39], v5 offset:7800
	s_wait_dscnt 0x0
	v_fmac_f64_e32 v[34:35], v[36:37], v[38:39]
.LBB136_865:                            ;   in Loop: Header=BB136_3 Depth=1
	s_or_b32 exec_lo, exec_lo, s6
.LBB136_866:                            ;   in Loop: Header=BB136_3 Depth=1
	s_delay_alu instid0(SALU_CYCLE_1)
	s_or_b32 exec_lo, exec_lo, s10
	s_and_saveexec_b32 s6, s41
	s_cbranch_execz .LBB136_868
; %bb.867:                              ;   in Loop: Header=BB136_3 Depth=1
	ds_load_b64 v[36:37], v5 offset:3640
	s_wait_dscnt 0x0
	v_mul_f64_e32 v[34:35], v[34:35], v[36:37]
	s_delay_alu instid0(VALU_DEP_1) | instskip(NEXT) | instid1(VALU_DEP_2)
	v_xor_b32_e32 v37, 0x80000000, v35
	v_mov_b32_e32 v36, v34
	ds_store_b64 v51, v[36:37]
.LBB136_868:                            ;   in Loop: Header=BB136_3 Depth=1
	s_or_b32 exec_lo, exec_lo, s6
	s_wait_loadcnt_dscnt 0x0
	s_barrier_signal -1
	s_barrier_wait -1
	s_and_saveexec_b32 s6, s42
	s_cbranch_execz .LBB136_870
; %bb.869:                              ;   in Loop: Header=BB136_3 Depth=1
	ds_load_b64 v[36:37], v53 offset:3584
	ds_load_b64 v[38:39], v51
	s_wait_dscnt 0x0
	v_fma_f64 v[34:35], -v[36:37], v[38:39], v[34:35]
.LBB136_870:                            ;   in Loop: Header=BB136_3 Depth=1
	s_or_b32 exec_lo, exec_lo, s6
	s_barrier_signal -1
	s_barrier_wait -1
	s_and_saveexec_b32 s6, s43
	s_cbranch_execz .LBB136_872
; %bb.871:                              ;   in Loop: Header=BB136_3 Depth=1
	ds_load_b64 v[36:37], v5 offset:3120
	s_wait_dscnt 0x0
	v_mul_f64_e32 v[34:35], v[34:35], v[36:37]
	s_delay_alu instid0(VALU_DEP_1) | instskip(NEXT) | instid1(VALU_DEP_2)
	v_xor_b32_e32 v37, 0x80000000, v35
	v_mov_b32_e32 v36, v34
	ds_store_b64 v51, v[36:37]
.LBB136_872:                            ;   in Loop: Header=BB136_3 Depth=1
	s_or_b32 exec_lo, exec_lo, s6
	s_wait_dscnt 0x0
	s_barrier_signal -1
	s_barrier_wait -1
	s_and_saveexec_b32 s6, s44
	s_cbranch_execz .LBB136_874
; %bb.873:                              ;   in Loop: Header=BB136_3 Depth=1
	ds_load_b64 v[36:37], v53 offset:3072
	ds_load_b64 v[38:39], v51
	s_wait_dscnt 0x0
	v_fma_f64 v[34:35], -v[36:37], v[38:39], v[34:35]
.LBB136_874:                            ;   in Loop: Header=BB136_3 Depth=1
	s_or_b32 exec_lo, exec_lo, s6
	s_barrier_signal -1
	s_barrier_wait -1
	s_and_saveexec_b32 s6, s45
	s_cbranch_execz .LBB136_876
; %bb.875:                              ;   in Loop: Header=BB136_3 Depth=1
	ds_load_b64 v[36:37], v5 offset:2600
	s_wait_dscnt 0x0
	v_mul_f64_e32 v[34:35], v[34:35], v[36:37]
	s_delay_alu instid0(VALU_DEP_1) | instskip(NEXT) | instid1(VALU_DEP_2)
	v_xor_b32_e32 v37, 0x80000000, v35
	v_mov_b32_e32 v36, v34
	ds_store_b64 v51, v[36:37]
.LBB136_876:                            ;   in Loop: Header=BB136_3 Depth=1
	s_or_b32 exec_lo, exec_lo, s6
	s_wait_dscnt 0x0
	;; [unrolled: 26-line block ×6, first 2 shown]
	s_barrier_signal -1
	s_barrier_wait -1
	s_and_saveexec_b32 s6, s54
	s_cbranch_execz .LBB136_894
; %bb.893:                              ;   in Loop: Header=BB136_3 Depth=1
	ds_load_b64 v[36:37], v5 offset:512
	ds_load_b64 v[38:39], v51
	s_wait_dscnt 0x0
	v_fma_f64 v[34:35], -v[36:37], v[38:39], v[34:35]
.LBB136_894:                            ;   in Loop: Header=BB136_3 Depth=1
	s_or_b32 exec_lo, exec_lo, s6
	s_barrier_signal -1
	s_barrier_wait -1
	s_and_saveexec_b32 s6, s54
	s_cbranch_execz .LBB136_896
; %bb.895:                              ;   in Loop: Header=BB136_3 Depth=1
	ds_load_b64 v[36:37], v5
	s_wait_dscnt 0x0
	v_mul_f64_e32 v[34:35], v[34:35], v[36:37]
	s_delay_alu instid0(VALU_DEP_1) | instskip(NEXT) | instid1(VALU_DEP_2)
	v_xor_b32_e32 v37, 0x80000000, v35
	v_mov_b32_e32 v36, v34
	ds_store_b64 v51, v[36:37]
.LBB136_896:                            ;   in Loop: Header=BB136_3 Depth=1
	s_or_b32 exec_lo, exec_lo, s6
	s_wait_dscnt 0x0
	s_barrier_signal -1
	s_barrier_wait -1
	s_barrier_signal -1
	s_barrier_wait -1
	s_and_saveexec_b32 s6, s3
; %bb.897:                              ;   in Loop: Header=BB136_3 Depth=1
	ds_store_b64 v54, v[34:35] offset:7680
; %bb.898:                              ;   in Loop: Header=BB136_3 Depth=1
	s_or_b32 exec_lo, exec_lo, s6
	s_wait_dscnt 0x0
	s_barrier_signal -1
	s_barrier_wait -1
	s_barrier_signal -1
	s_barrier_wait -1
	s_and_saveexec_b32 s6, s14
	s_cbranch_execz .LBB136_900
; %bb.899:                              ;   in Loop: Header=BB136_3 Depth=1
	ds_load_b128 v[34:37], v5 offset:3632
	ds_load_b64 v[38:39], v5 offset:3120
	s_wait_dscnt 0x0
	v_mul_f64_e32 v[36:37], v[38:39], v[36:37]
	s_delay_alu instid0(VALU_DEP_1)
	v_mul_f64_e32 v[34:35], v[34:35], v[36:37]
	ds_store_b64 v5, v[34:35] offset:3632
.LBB136_900:                            ;   in Loop: Header=BB136_3 Depth=1
	s_or_b32 exec_lo, exec_lo, s6
	v_mov_b64_e32 v[34:35], 0
	s_wait_dscnt 0x0
	s_barrier_signal -1
	s_barrier_wait -1
	global_wb scope:SCOPE_DEV
	s_wait_storecnt 0x0
	global_inv scope:SCOPE_DEV
	s_and_saveexec_b32 s6, s1
	s_cbranch_execz .LBB136_904
; %bb.901:                              ;   in Loop: Header=BB136_3 Depth=1
	ds_load_b64 v[34:35], v44 offset:3104
	ds_load_b64 v[36:37], v43 offset:3632
	s_wait_dscnt 0x0
	v_fma_f64 v[34:35], v[34:35], v[36:37], 0
	s_and_saveexec_b32 s7, s15
	s_cbranch_execz .LBB136_903
; %bb.902:                              ;   in Loop: Header=BB136_3 Depth=1
	ds_load_b64 v[36:37], v45 offset:3616
	ds_load_b64 v[38:39], v5 offset:3640
	s_wait_dscnt 0x0
	v_fmac_f64_e32 v[34:35], v[36:37], v[38:39]
.LBB136_903:                            ;   in Loop: Header=BB136_3 Depth=1
	s_or_b32 exec_lo, exec_lo, s7
.LBB136_904:                            ;   in Loop: Header=BB136_3 Depth=1
	s_delay_alu instid0(SALU_CYCLE_1)
	s_or_b32 exec_lo, exec_lo, s6
	s_and_saveexec_b32 s6, s103
	s_cbranch_execz .LBB136_906
; %bb.905:                              ;   in Loop: Header=BB136_3 Depth=1
	ds_load_b64 v[36:37], v5 offset:2600
	s_wait_dscnt 0x0
	v_mul_f64_e32 v[34:35], v[34:35], v[36:37]
	s_delay_alu instid0(VALU_DEP_1) | instskip(NEXT) | instid1(VALU_DEP_2)
	v_xor_b32_e32 v37, 0x80000000, v35
	v_mov_b32_e32 v36, v34
	ds_store_b64 v3, v[36:37]
.LBB136_906:                            ;   in Loop: Header=BB136_3 Depth=1
	s_or_b32 exec_lo, exec_lo, s6
	s_wait_loadcnt_dscnt 0x0
	s_barrier_signal -1
	s_barrier_wait -1
	s_and_saveexec_b32 s6, s104
	s_cbranch_execz .LBB136_908
; %bb.907:                              ;   in Loop: Header=BB136_3 Depth=1
	ds_load_b64 v[36:37], v5 offset:2592
	ds_load_b64 v[38:39], v3
	s_wait_dscnt 0x0
	v_fma_f64 v[34:35], -v[36:37], v[38:39], v[34:35]
.LBB136_908:                            ;   in Loop: Header=BB136_3 Depth=1
	s_or_b32 exec_lo, exec_lo, s6
	s_barrier_signal -1
	s_barrier_wait -1
	s_and_saveexec_b32 s6, s104
	s_cbranch_execz .LBB136_910
; %bb.909:                              ;   in Loop: Header=BB136_3 Depth=1
	ds_load_b64 v[36:37], v5 offset:2080
	s_wait_dscnt 0x0
	v_mul_f64_e32 v[34:35], v[34:35], v[36:37]
	s_delay_alu instid0(VALU_DEP_1) | instskip(NEXT) | instid1(VALU_DEP_2)
	v_xor_b32_e32 v37, 0x80000000, v35
	v_mov_b32_e32 v36, v34
	ds_store_b64 v3, v[36:37]
.LBB136_910:                            ;   in Loop: Header=BB136_3 Depth=1
	s_or_b32 exec_lo, exec_lo, s6
	s_wait_dscnt 0x0
	s_barrier_signal -1
	s_barrier_wait -1
	s_barrier_signal -1
	s_barrier_wait -1
	s_and_saveexec_b32 s6, s1
; %bb.911:                              ;   in Loop: Header=BB136_3 Depth=1
	ds_store_b64 v46, v[34:35] offset:3616
; %bb.912:                              ;   in Loop: Header=BB136_3 Depth=1
	s_or_b32 exec_lo, exec_lo, s6
	s_wait_dscnt 0x0
	s_barrier_signal -1
	s_barrier_wait -1
	s_barrier_signal -1
	s_barrier_wait -1
	s_and_saveexec_b32 s6, s14
	s_cbranch_execz .LBB136_914
; %bb.913:                              ;   in Loop: Header=BB136_3 Depth=1
	ds_load_b128 v[34:37], v5 offset:2592
	ds_load_b64 v[38:39], v5 offset:2080
	s_wait_dscnt 0x0
	v_mul_f64_e32 v[36:37], v[38:39], v[36:37]
	s_delay_alu instid0(VALU_DEP_1)
	v_mul_f64_e32 v[34:35], v[34:35], v[36:37]
	ds_store_b64 v5, v[34:35] offset:2592
.LBB136_914:                            ;   in Loop: Header=BB136_3 Depth=1
	s_or_b32 exec_lo, exec_lo, s6
	v_mov_b64_e32 v[34:35], 0
	s_wait_dscnt 0x0
	s_barrier_signal -1
	s_barrier_wait -1
	global_wb scope:SCOPE_DEV
	s_wait_storecnt 0x0
	global_inv scope:SCOPE_DEV
	s_and_saveexec_b32 s10, s2
	s_cbranch_execz .LBB136_920
; %bb.915:                              ;   in Loop: Header=BB136_3 Depth=1
	ds_load_b64 v[34:35], v49 offset:2048
	ds_load_b64 v[36:37], v48 offset:3616
	s_wait_dscnt 0x0
	v_fma_f64 v[34:35], v[34:35], v[36:37], 0
	s_and_saveexec_b32 s6, s16
	s_cbranch_execnz .LBB136_1085
; %bb.916:                              ;   in Loop: Header=BB136_3 Depth=1
	s_or_b32 exec_lo, exec_lo, s6
	s_and_saveexec_b32 s6, s17
	s_cbranch_execnz .LBB136_1086
.LBB136_917:                            ;   in Loop: Header=BB136_3 Depth=1
	s_or_b32 exec_lo, exec_lo, s6
	s_and_saveexec_b32 s6, s1
	s_cbranch_execz .LBB136_919
.LBB136_918:                            ;   in Loop: Header=BB136_3 Depth=1
	ds_load_b64 v[36:37], v45 offset:3584
	ds_load_b64 v[38:39], v5 offset:3640
	s_wait_dscnt 0x0
	v_fmac_f64_e32 v[34:35], v[36:37], v[38:39]
.LBB136_919:                            ;   in Loop: Header=BB136_3 Depth=1
	s_or_b32 exec_lo, exec_lo, s6
.LBB136_920:                            ;   in Loop: Header=BB136_3 Depth=1
	s_delay_alu instid0(SALU_CYCLE_1)
	s_or_b32 exec_lo, exec_lo, s10
	s_and_saveexec_b32 s6, vcc_hi
	s_cbranch_execz .LBB136_922
; %bb.921:                              ;   in Loop: Header=BB136_3 Depth=1
	ds_load_b64 v[36:37], v5 offset:1560
	s_wait_dscnt 0x0
	v_mul_f64_e32 v[34:35], v[34:35], v[36:37]
	s_delay_alu instid0(VALU_DEP_1) | instskip(NEXT) | instid1(VALU_DEP_2)
	v_xor_b32_e32 v37, 0x80000000, v35
	v_mov_b32_e32 v36, v34
	ds_store_b64 v47, v[36:37]
.LBB136_922:                            ;   in Loop: Header=BB136_3 Depth=1
	s_or_b32 exec_lo, exec_lo, s6
	s_wait_loadcnt_dscnt 0x0
	s_barrier_signal -1
	s_barrier_wait -1
	s_and_saveexec_b32 s6, s36
	s_cbranch_execz .LBB136_924
; %bb.923:                              ;   in Loop: Header=BB136_3 Depth=1
	ds_load_b64 v[36:37], v49 offset:1536
	ds_load_b64 v[38:39], v47
	s_wait_dscnt 0x0
	v_fma_f64 v[34:35], -v[36:37], v[38:39], v[34:35]
.LBB136_924:                            ;   in Loop: Header=BB136_3 Depth=1
	s_or_b32 exec_lo, exec_lo, s6
	s_barrier_signal -1
	s_barrier_wait -1
	s_and_saveexec_b32 s6, s37
	s_cbranch_execz .LBB136_926
; %bb.925:                              ;   in Loop: Header=BB136_3 Depth=1
	ds_load_b64 v[36:37], v5 offset:1040
	s_wait_dscnt 0x0
	v_mul_f64_e32 v[34:35], v[34:35], v[36:37]
	s_delay_alu instid0(VALU_DEP_1) | instskip(NEXT) | instid1(VALU_DEP_2)
	v_xor_b32_e32 v37, 0x80000000, v35
	v_mov_b32_e32 v36, v34
	ds_store_b64 v47, v[36:37]
.LBB136_926:                            ;   in Loop: Header=BB136_3 Depth=1
	s_or_b32 exec_lo, exec_lo, s6
	s_wait_dscnt 0x0
	s_barrier_signal -1
	s_barrier_wait -1
	s_and_saveexec_b32 s6, s38
	s_cbranch_execz .LBB136_928
; %bb.927:                              ;   in Loop: Header=BB136_3 Depth=1
	ds_load_b64 v[36:37], v49 offset:1024
	ds_load_b64 v[38:39], v47
	s_wait_dscnt 0x0
	v_fma_f64 v[34:35], -v[36:37], v[38:39], v[34:35]
.LBB136_928:                            ;   in Loop: Header=BB136_3 Depth=1
	s_or_b32 exec_lo, exec_lo, s6
	s_barrier_signal -1
	s_barrier_wait -1
	s_and_saveexec_b32 s6, s39
	s_cbranch_execz .LBB136_930
; %bb.929:                              ;   in Loop: Header=BB136_3 Depth=1
	ds_load_b64 v[36:37], v5 offset:520
	s_wait_dscnt 0x0
	v_mul_f64_e32 v[34:35], v[34:35], v[36:37]
	s_delay_alu instid0(VALU_DEP_1) | instskip(NEXT) | instid1(VALU_DEP_2)
	v_xor_b32_e32 v37, 0x80000000, v35
	v_mov_b32_e32 v36, v34
	ds_store_b64 v47, v[36:37]
.LBB136_930:                            ;   in Loop: Header=BB136_3 Depth=1
	s_or_b32 exec_lo, exec_lo, s6
	s_wait_dscnt 0x0
	s_barrier_signal -1
	s_barrier_wait -1
	s_and_saveexec_b32 s6, s40
	s_cbranch_execz .LBB136_932
; %bb.931:                              ;   in Loop: Header=BB136_3 Depth=1
	ds_load_b64 v[36:37], v5 offset:512
	ds_load_b64 v[38:39], v47
	s_wait_dscnt 0x0
	v_fma_f64 v[34:35], -v[36:37], v[38:39], v[34:35]
.LBB136_932:                            ;   in Loop: Header=BB136_3 Depth=1
	s_or_b32 exec_lo, exec_lo, s6
	s_barrier_signal -1
	s_barrier_wait -1
	s_and_saveexec_b32 s6, s40
	s_cbranch_execz .LBB136_934
; %bb.933:                              ;   in Loop: Header=BB136_3 Depth=1
	ds_load_b64 v[36:37], v5
	s_wait_dscnt 0x0
	v_mul_f64_e32 v[34:35], v[34:35], v[36:37]
	s_delay_alu instid0(VALU_DEP_1) | instskip(NEXT) | instid1(VALU_DEP_2)
	v_xor_b32_e32 v37, 0x80000000, v35
	v_mov_b32_e32 v36, v34
	ds_store_b64 v47, v[36:37]
.LBB136_934:                            ;   in Loop: Header=BB136_3 Depth=1
	s_or_b32 exec_lo, exec_lo, s6
	s_wait_dscnt 0x0
	s_barrier_signal -1
	s_barrier_wait -1
	s_barrier_signal -1
	s_barrier_wait -1
	s_and_saveexec_b32 s6, s2
; %bb.935:                              ;   in Loop: Header=BB136_3 Depth=1
	ds_store_b64 v50, v[34:35] offset:3584
; %bb.936:                              ;   in Loop: Header=BB136_3 Depth=1
	s_or_b32 exec_lo, exec_lo, s6
	s_wait_dscnt 0x0
	s_barrier_signal -1
	s_barrier_wait -1
	s_barrier_signal -1
	s_barrier_wait -1
	s_and_saveexec_b32 s6, s14
	s_cbranch_execz .LBB136_938
; %bb.937:                              ;   in Loop: Header=BB136_3 Depth=1
	ds_load_b128 v[34:37], v5 offset:1552
	ds_load_b64 v[38:39], v5 offset:1040
	s_wait_dscnt 0x0
	v_mul_f64_e32 v[36:37], v[38:39], v[36:37]
	s_delay_alu instid0(VALU_DEP_1)
	v_mul_f64_e32 v[34:35], v[34:35], v[36:37]
	ds_store_b64 v5, v[34:35] offset:1552
.LBB136_938:                            ;   in Loop: Header=BB136_3 Depth=1
	s_or_b32 exec_lo, exec_lo, s6
	v_mov_b64_e32 v[34:35], 0
	s_wait_dscnt 0x0
	s_barrier_signal -1
	s_barrier_wait -1
	global_wb scope:SCOPE_DEV
	s_wait_storecnt 0x0
	global_inv scope:SCOPE_DEV
	s_and_saveexec_b32 s6, s1
	s_cbranch_execz .LBB136_942
; %bb.939:                              ;   in Loop: Header=BB136_3 Depth=1
	ds_load_b64 v[34:35], v44 offset:1024
	ds_load_b64 v[36:37], v43 offset:1552
	s_wait_dscnt 0x0
	v_fma_f64 v[34:35], v[34:35], v[36:37], 0
	s_and_saveexec_b32 s7, s15
	s_cbranch_execz .LBB136_941
; %bb.940:                              ;   in Loop: Header=BB136_3 Depth=1
	ds_load_b64 v[36:37], v45 offset:1536
	ds_load_b64 v[38:39], v5 offset:1560
	s_wait_dscnt 0x0
	v_fmac_f64_e32 v[34:35], v[36:37], v[38:39]
.LBB136_941:                            ;   in Loop: Header=BB136_3 Depth=1
	s_or_b32 exec_lo, exec_lo, s7
.LBB136_942:                            ;   in Loop: Header=BB136_3 Depth=1
	s_delay_alu instid0(SALU_CYCLE_1)
	s_or_b32 exec_lo, exec_lo, s6
	s_and_saveexec_b32 s6, s103
	s_cbranch_execz .LBB136_944
; %bb.943:                              ;   in Loop: Header=BB136_3 Depth=1
	ds_load_b64 v[36:37], v5 offset:520
	s_wait_dscnt 0x0
	v_mul_f64_e32 v[34:35], v[34:35], v[36:37]
	s_delay_alu instid0(VALU_DEP_1) | instskip(NEXT) | instid1(VALU_DEP_2)
	v_xor_b32_e32 v37, 0x80000000, v35
	v_mov_b32_e32 v36, v34
	ds_store_b64 v3, v[36:37]
.LBB136_944:                            ;   in Loop: Header=BB136_3 Depth=1
	s_or_b32 exec_lo, exec_lo, s6
	s_wait_loadcnt_dscnt 0x0
	s_barrier_signal -1
	s_barrier_wait -1
	s_and_saveexec_b32 s6, s104
	s_cbranch_execz .LBB136_946
; %bb.945:                              ;   in Loop: Header=BB136_3 Depth=1
	ds_load_b64 v[36:37], v5 offset:512
	ds_load_b64 v[38:39], v3
	s_wait_dscnt 0x0
	v_fma_f64 v[34:35], -v[36:37], v[38:39], v[34:35]
.LBB136_946:                            ;   in Loop: Header=BB136_3 Depth=1
	s_or_b32 exec_lo, exec_lo, s6
	s_barrier_signal -1
	s_barrier_wait -1
	s_and_saveexec_b32 s6, s104
	s_cbranch_execz .LBB136_948
; %bb.947:                              ;   in Loop: Header=BB136_3 Depth=1
	ds_load_b64 v[36:37], v5
	s_wait_dscnt 0x0
	v_mul_f64_e32 v[34:35], v[34:35], v[36:37]
	s_delay_alu instid0(VALU_DEP_1) | instskip(NEXT) | instid1(VALU_DEP_2)
	v_xor_b32_e32 v37, 0x80000000, v35
	v_mov_b32_e32 v36, v34
	ds_store_b64 v3, v[36:37]
.LBB136_948:                            ;   in Loop: Header=BB136_3 Depth=1
	s_or_b32 exec_lo, exec_lo, s6
	s_wait_dscnt 0x0
	s_barrier_signal -1
	s_barrier_wait -1
	s_barrier_signal -1
	s_barrier_wait -1
	s_and_saveexec_b32 s6, s1
; %bb.949:                              ;   in Loop: Header=BB136_3 Depth=1
	ds_store_b64 v46, v[34:35] offset:1536
; %bb.950:                              ;   in Loop: Header=BB136_3 Depth=1
	s_or_b32 exec_lo, exec_lo, s6
	s_wait_dscnt 0x0
	s_barrier_signal -1
	s_barrier_wait -1
	s_barrier_signal -1
	s_barrier_wait -1
	s_and_saveexec_b32 s6, s14
	s_cbranch_execz .LBB136_952
; %bb.951:                              ;   in Loop: Header=BB136_3 Depth=1
	ds_load_b128 v[34:37], v5 offset:512
	ds_load_b64 v[38:39], v5
	s_wait_dscnt 0x0
	v_mul_f64_e32 v[36:37], v[38:39], v[36:37]
	s_delay_alu instid0(VALU_DEP_1)
	v_mul_f64_e32 v[34:35], v[34:35], v[36:37]
	ds_store_b64 v5, v[34:35] offset:512
.LBB136_952:                            ;   in Loop: Header=BB136_3 Depth=1
	s_or_b32 exec_lo, exec_lo, s6
.LBB136_953:                            ;   in Loop: Header=BB136_3 Depth=1
	v_add_nc_u64_e32 v[32:33], s[76:77], v[32:33]
	v_mov_b64_e32 v[34:35], 0
	s_wait_dscnt 0x0
	s_barrier_signal -1
	s_barrier_wait -1
	s_and_saveexec_b32 s6, s66
	s_cbranch_execz .LBB136_955
; %bb.954:                              ;   in Loop: Header=BB136_3 Depth=1
	v_lshl_add_u64 v[34:35], v[20:21], 3, v[32:33]
	flat_load_b64 v[34:35], v[34:35]
	s_wait_loadcnt_dscnt 0x0
	v_mul_f64_e64 v[34:35], v[34:35], -s[72:73]
.LBB136_955:                            ;   in Loop: Header=BB136_3 Depth=1
	s_or_b32 exec_lo, exec_lo, s6
	s_delay_alu instid0(SALU_CYCLE_1)
	s_and_not1_b32 vcc_lo, exec_lo, s67
	s_cbranch_vccnz .LBB136_981
; %bb.956:                              ;   in Loop: Header=BB136_3 Depth=1
	v_lshl_add_u64 v[0:1], v[6:7], 3, v[0:1]
	v_mov_b32_e32 v79, -1
	s_lshl_b64 s[6:7], s[70:71], 2
	s_mov_b32 s10, 0
	s_add_nc_u64 s[96:97], s[88:89], s[6:7]
	s_branch .LBB136_959
.LBB136_957:                            ;   in Loop: Header=BB136_959 Depth=2
	s_wait_xcnt 0x0
	ds_load_b64 v[36:37], v67 offset:384
	s_wait_loadcnt_dscnt 0x0
	v_fmac_f64_e32 v[34:35], v[38:39], v[36:37]
.LBB136_958:                            ;   in Loop: Header=BB136_959 Depth=2
	s_or_b32 exec_lo, exec_lo, s6
	s_add_co_i32 s10, s10, 1
	s_delay_alu instid0(SALU_CYCLE_1)
	s_cmp_eq_u32 s10, s98
	s_cbranch_scc1 .LBB136_981
.LBB136_959:                            ;   Parent Loop BB136_3 Depth=1
                                        ; =>  This Loop Header: Depth=2
                                        ;       Child Loop BB136_961 Depth 3
	v_cmp_gt_i32_e32 vcc_lo, s10, v79
	s_and_b32 s7, s59, vcc_lo
	s_delay_alu instid0(SALU_CYCLE_1)
	s_and_saveexec_b32 s6, s7
	s_cbranch_execz .LBB136_962
; %bb.960:                              ;   in Loop: Header=BB136_959 Depth=2
	global_load_b32 v79, v5, s[96:97]
	s_wait_loadcnt 0x0
	v_cmp_le_i32_e32 vcc_lo, s10, v79
	s_cbranch_vccnz .LBB136_962
.LBB136_961:                            ;   Parent Loop BB136_3 Depth=1
                                        ;     Parent Loop BB136_959 Depth=2
                                        ; =>    This Inner Loop Header: Depth=3
	global_wb scope:SCOPE_DEV
	s_wait_storecnt 0x0
	global_inv scope:SCOPE_DEV
	global_load_b32 v79, v5, s[96:97]
	s_wait_loadcnt 0x0
	v_cmp_gt_i32_e32 vcc_lo, s10, v79
	s_cbranch_vccnz .LBB136_961
.LBB136_962:                            ;   in Loop: Header=BB136_959 Depth=2
	s_or_b32 exec_lo, exec_lo, s6
	s_sub_co_i32 s11, s99, s10
	global_wb scope:SCOPE_DEV
	s_wait_storecnt 0x0
	global_inv scope:SCOPE_DEV
	s_lshl_b32 s6, s11, 6
	s_wait_loadcnt 0x0
	s_barrier_signal -1
	s_barrier_wait -1
	s_and_saveexec_b32 s7, s60
	s_cbranch_execz .LBB136_966
; %bb.963:                              ;   in Loop: Header=BB136_959 Depth=2
	s_ashr_i32 s8, s6, 31
	v_mov_b64_e32 v[38:39], 0
	v_dual_mov_b32 v37, s8 :: v_dual_bitop2_b32 v36, s6, v4 bitop3:0x54
	s_mov_b32 s8, exec_lo
	s_delay_alu instid0(VALU_DEP_1)
	v_cmpx_gt_i64_e64 s[84:85], v[36:37]
	s_cbranch_execz .LBB136_965
; %bb.964:                              ;   in Loop: Header=BB136_959 Depth=2
	v_mul_u64_e32 v[36:37], s[78:79], v[36:37]
	s_delay_alu instid0(VALU_DEP_1)
	v_lshl_add_u64 v[36:37], v[36:37], 3, v[32:33]
	flat_load_b64 v[38:39], v[36:37]
.LBB136_965:                            ;   in Loop: Header=BB136_959 Depth=2
	s_wait_xcnt 0x0
	s_or_b32 exec_lo, exec_lo, s8
	s_wait_loadcnt_dscnt 0x0
	ds_store_b64 v66, v[38:39]
.LBB136_966:                            ;   in Loop: Header=BB136_959 Depth=2
	s_or_b32 exec_lo, exec_lo, s7
	v_add_nc_u32_e32 v38, s6, v42
	s_cmp_lg_u32 s11, s68
	s_wait_dscnt 0x0
	s_cselect_b32 s7, -1, 0
	s_barrier_signal -1
	v_ashrrev_i32_e32 v39, 31, v38
	v_cmp_gt_i32_e32 vcc_lo, s84, v38
	s_barrier_wait -1
	s_delay_alu instid0(VALU_DEP_2) | instskip(SKIP_2) | instid1(VALU_DEP_2)
	v_mul_u64_e32 v[36:37], s[86:87], v[38:39]
	v_cndmask_b32_e64 v39, 0, 1, s7
	s_and_b32 s8, s0, vcc_lo
	v_lshl_add_u64 v[36:37], v[36:37], 3, v[0:1]
	s_and_saveexec_b32 s6, s8
	s_cbranch_execz .LBB136_970
; %bb.967:                              ;   in Loop: Header=BB136_959 Depth=2
	v_mov_b64_e32 v[40:41], v[24:25]
	s_and_not1_b32 vcc_lo, exec_lo, s7
	s_cbranch_vccnz .LBB136_969
; %bb.968:                              ;   in Loop: Header=BB136_959 Depth=2
	flat_load_b64 v[40:41], v[36:37]
.LBB136_969:                            ;   in Loop: Header=BB136_959 Depth=2
	ds_load_b64 v[80:81], v67
	s_wait_loadcnt_dscnt 0x0
	v_fmac_f64_e32 v[34:35], v[40:41], v[80:81]
.LBB136_970:                            ;   in Loop: Header=BB136_959 Depth=2
	s_or_b32 exec_lo, exec_lo, s6
	v_add_nc_u32_e32 v40, 16, v38
	s_delay_alu instid0(VALU_DEP_1) | instskip(SKIP_1) | instid1(SALU_CYCLE_1)
	v_cmp_gt_i32_e32 vcc_lo, s84, v40
	s_and_b32 s7, s0, vcc_lo
	s_and_saveexec_b32 s6, s7
	s_cbranch_execz .LBB136_974
; %bb.971:                              ;   in Loop: Header=BB136_959 Depth=2
	v_cmp_ne_u32_e32 vcc_lo, 1, v39
	v_mov_b64_e32 v[40:41], v[26:27]
	s_cbranch_vccnz .LBB136_973
; %bb.972:                              ;   in Loop: Header=BB136_959 Depth=2
	v_add_nc_u64_e32 v[40:41], s[90:91], v[36:37]
	flat_load_b64 v[40:41], v[40:41]
.LBB136_973:                            ;   in Loop: Header=BB136_959 Depth=2
	ds_load_b64 v[80:81], v67 offset:128
	s_wait_loadcnt_dscnt 0x0
	v_fmac_f64_e32 v[34:35], v[40:41], v[80:81]
.LBB136_974:                            ;   in Loop: Header=BB136_959 Depth=2
	s_or_b32 exec_lo, exec_lo, s6
	v_add_nc_u32_e32 v40, 32, v38
	s_delay_alu instid0(VALU_DEP_1) | instskip(SKIP_1) | instid1(SALU_CYCLE_1)
	v_cmp_gt_i32_e32 vcc_lo, s84, v40
	s_and_b32 s7, s0, vcc_lo
	s_and_saveexec_b32 s6, s7
	s_cbranch_execz .LBB136_978
; %bb.975:                              ;   in Loop: Header=BB136_959 Depth=2
	v_cmp_ne_u32_e32 vcc_lo, 1, v39
	v_mov_b64_e32 v[40:41], v[28:29]
	s_cbranch_vccnz .LBB136_977
; %bb.976:                              ;   in Loop: Header=BB136_959 Depth=2
	v_add_nc_u64_e32 v[40:41], s[92:93], v[36:37]
	flat_load_b64 v[40:41], v[40:41]
.LBB136_977:                            ;   in Loop: Header=BB136_959 Depth=2
	ds_load_b64 v[80:81], v67 offset:256
	s_wait_loadcnt_dscnt 0x0
	v_fmac_f64_e32 v[34:35], v[40:41], v[80:81]
.LBB136_978:                            ;   in Loop: Header=BB136_959 Depth=2
	s_or_b32 exec_lo, exec_lo, s6
	v_add_nc_u32_e32 v38, 48, v38
	s_delay_alu instid0(VALU_DEP_1) | instskip(SKIP_1) | instid1(SALU_CYCLE_1)
	v_cmp_gt_i32_e32 vcc_lo, s84, v38
	s_and_b32 s7, s0, vcc_lo
	s_and_saveexec_b32 s6, s7
	s_cbranch_execz .LBB136_958
; %bb.979:                              ;   in Loop: Header=BB136_959 Depth=2
	v_cmp_ne_u32_e32 vcc_lo, 1, v39
	v_mov_b64_e32 v[38:39], v[30:31]
	s_cbranch_vccnz .LBB136_957
; %bb.980:                              ;   in Loop: Header=BB136_959 Depth=2
	v_add_nc_u64_e32 v[36:37], s[94:95], v[36:37]
	flat_load_b64 v[38:39], v[36:37]
	s_branch .LBB136_957
.LBB136_981:                            ;   in Loop: Header=BB136_3 Depth=1
	ds_store_b64 v68, v[34:35]
	s_wait_dscnt 0x0
	s_barrier_signal -1
	s_barrier_wait -1
	s_and_saveexec_b32 s10, s5
	s_cbranch_execz .LBB136_983
; %bb.982:                              ;   in Loop: Header=BB136_3 Depth=1
	ds_load_2addr_stride64_b64 v[36:39], v69 offset0:1 offset1:2
	ds_load_2addr_stride64_b64 v[80:83], v69 offset0:3 offset1:4
	s_wait_dscnt 0x1
	v_add_f64_e32 v[0:1], v[34:35], v[36:37]
	s_delay_alu instid0(VALU_DEP_1) | instskip(SKIP_4) | instid1(VALU_DEP_1)
	v_add_f64_e32 v[0:1], v[0:1], v[38:39]
	ds_load_2addr_stride64_b64 v[34:37], v69 offset0:5 offset1:6
	ds_load_2addr_stride64_b64 v[38:41], v69 offset0:7 offset1:8
	s_wait_dscnt 0x2
	v_add_f64_e32 v[0:1], v[0:1], v[80:81]
	v_add_f64_e32 v[0:1], v[0:1], v[82:83]
	s_wait_dscnt 0x1
	s_delay_alu instid0(VALU_DEP_1) | instskip(NEXT) | instid1(VALU_DEP_1)
	v_add_f64_e32 v[0:1], v[0:1], v[34:35]
	v_add_f64_e32 v[0:1], v[0:1], v[36:37]
	s_wait_dscnt 0x0
	s_delay_alu instid0(VALU_DEP_1) | instskip(NEXT) | instid1(VALU_DEP_1)
	v_add_f64_e32 v[0:1], v[0:1], v[38:39]
	v_add_f64_e32 v[0:1], v[0:1], v[40:41]
	ds_load_2addr_stride64_b64 v[34:37], v69 offset0:9 offset1:10
	ds_load_2addr_stride64_b64 v[38:41], v69 offset0:11 offset1:12
	s_wait_dscnt 0x1
	v_add_f64_e32 v[0:1], v[0:1], v[34:35]
	s_delay_alu instid0(VALU_DEP_1) | instskip(SKIP_1) | instid1(VALU_DEP_1)
	v_add_f64_e32 v[0:1], v[0:1], v[36:37]
	s_wait_dscnt 0x0
	v_add_f64_e32 v[0:1], v[0:1], v[38:39]
	ds_load_2addr_stride64_b64 v[34:37], v69 offset0:13 offset1:14
	ds_load_b64 v[38:39], v69 offset:7680
	v_add_f64_e32 v[0:1], v[0:1], v[40:41]
	s_wait_dscnt 0x1
	s_delay_alu instid0(VALU_DEP_1) | instskip(NEXT) | instid1(VALU_DEP_1)
	v_add_f64_e32 v[0:1], v[0:1], v[34:35]
	v_add_f64_e32 v[0:1], v[0:1], v[36:37]
	s_wait_dscnt 0x0
	s_delay_alu instid0(VALU_DEP_1) | instskip(NEXT) | instid1(VALU_DEP_1)
	v_add_f64_e32 v[0:1], v[0:1], v[38:39]
	v_xor_b32_e32 v1, 0x80000000, v1
	s_delay_alu instid0(VALU_DEP_2) | instskip(NEXT) | instid1(VALU_DEP_2)
	v_cndmask_b32_e64 v34, v0, 0, s65
	v_cndmask_b32_e64 v35, v1, 0, s65
.LBB136_983:                            ;   in Loop: Header=BB136_3 Depth=1
	s_or_b32 exec_lo, exec_lo, s10
	s_delay_alu instid0(SALU_CYCLE_1)
	s_and_not1_b32 vcc_lo, exec_lo, s102
	s_cbranch_vccnz .LBB136_996
; %bb.984:                              ;   in Loop: Header=BB136_3 Depth=1
	s_and_saveexec_b32 s6, s5
; %bb.985:                              ;   in Loop: Header=BB136_3 Depth=1
	ds_store_b64 v71, v[34:35]
; %bb.986:                              ;   in Loop: Header=BB136_3 Depth=1
	s_or_b32 exec_lo, exec_lo, s6
	v_mov_b64_e32 v[0:1], 0
	s_wait_dscnt 0x0
	s_barrier_signal -1
	s_barrier_wait -1
	s_mov_b32 s6, exec_lo
	v_readlane_b32 s7, v84, 0
	s_and_b32 s7, s6, s7
	s_delay_alu instid0(SALU_CYCLE_1)
	s_mov_b32 exec_lo, s7
	s_cbranch_execz .LBB136_988
; %bb.987:                              ;   in Loop: Header=BB136_3 Depth=1
	ds_load_b64 v[0:1], v70
	ds_load_b64 v[36:37], v67
	s_wait_dscnt 0x0
	v_fma_f64 v[0:1], v[0:1], v[36:37], 0
.LBB136_988:                            ;   in Loop: Header=BB136_3 Depth=1
	s_or_b32 exec_lo, exec_lo, s6
	s_delay_alu instid0(SALU_CYCLE_1) | instskip(SKIP_2) | instid1(SALU_CYCLE_1)
	s_mov_b32 s6, exec_lo
	v_readlane_b32 s7, v84, 1
	s_and_b32 s7, s6, s7
	s_mov_b32 exec_lo, s7
	s_cbranch_execz .LBB136_990
; %bb.989:                              ;   in Loop: Header=BB136_3 Depth=1
	ds_load_b64 v[36:37], v70 offset:8192
	ds_load_b64 v[38:39], v67 offset:128
	s_wait_dscnt 0x0
	v_fmac_f64_e32 v[0:1], v[36:37], v[38:39]
.LBB136_990:                            ;   in Loop: Header=BB136_3 Depth=1
	s_or_b32 exec_lo, exec_lo, s6
	s_delay_alu instid0(SALU_CYCLE_1) | instskip(SKIP_2) | instid1(SALU_CYCLE_1)
	s_mov_b32 s6, exec_lo
	v_readlane_b32 s7, v84, 2
	s_and_b32 s7, s6, s7
	s_mov_b32 exec_lo, s7
	s_cbranch_execz .LBB136_992
; %bb.991:                              ;   in Loop: Header=BB136_3 Depth=1
	ds_load_b64 v[36:37], v70 offset:16384
	ds_load_b64 v[38:39], v67 offset:256
	s_wait_dscnt 0x0
	v_fmac_f64_e32 v[0:1], v[36:37], v[38:39]
.LBB136_992:                            ;   in Loop: Header=BB136_3 Depth=1
	;; [unrolled: 13-line block ×3, first 2 shown]
	s_or_b32 exec_lo, exec_lo, s6
	s_mov_b32 s10, 0
	s_mov_b32 s96, 0
	ds_store_b64 v68, v[0:1]
	s_wait_dscnt 0x0
	s_barrier_signal -1
	s_barrier_wait -1
                                        ; implicit-def: $vgpr36_vgpr37
	s_and_saveexec_b32 s97, s5
	s_cbranch_execz .LBB136_1033
; %bb.995:                              ;   in Loop: Header=BB136_3 Depth=1
	ds_load_2addr_stride64_b64 v[36:39], v69 offset0:1 offset1:2
	ds_load_2addr_stride64_b64 v[80:83], v69 offset0:3 offset1:4
	s_mov_b32 s96, exec_lo
	s_wait_dscnt 0x1
	v_add_f64_e32 v[0:1], v[0:1], v[36:37]
	s_delay_alu instid0(VALU_DEP_1) | instskip(SKIP_1) | instid1(VALU_DEP_1)
	v_add_f64_e32 v[0:1], v[38:39], v[0:1]
	s_wait_dscnt 0x0
	v_add_f64_e32 v[0:1], v[80:81], v[0:1]
	s_delay_alu instid0(VALU_DEP_1) | instskip(SKIP_4) | instid1(VALU_DEP_1)
	v_add_f64_e32 v[0:1], v[82:83], v[0:1]
	ds_load_2addr_stride64_b64 v[36:39], v69 offset0:5 offset1:6
	ds_load_2addr_stride64_b64 v[80:83], v69 offset0:7 offset1:8
	s_wait_dscnt 0x1
	v_add_f64_e32 v[0:1], v[36:37], v[0:1]
	v_add_f64_e32 v[0:1], v[38:39], v[0:1]
	s_wait_dscnt 0x0
	s_delay_alu instid0(VALU_DEP_1) | instskip(NEXT) | instid1(VALU_DEP_1)
	v_add_f64_e32 v[0:1], v[80:81], v[0:1]
	v_add_f64_e32 v[0:1], v[82:83], v[0:1]
	ds_load_2addr_stride64_b64 v[36:39], v69 offset0:9 offset1:10
	ds_load_2addr_stride64_b64 v[80:83], v69 offset0:11 offset1:12
	s_wait_dscnt 0x1
	v_add_f64_e32 v[0:1], v[36:37], v[0:1]
	s_delay_alu instid0(VALU_DEP_1) | instskip(SKIP_4) | instid1(VALU_DEP_1)
	v_add_f64_e32 v[0:1], v[38:39], v[0:1]
	ds_load_2addr_stride64_b64 v[36:39], v69 offset0:13 offset1:14
	ds_load_b64 v[40:41], v69 offset:7680
	s_wait_dscnt 0x2
	v_add_f64_e32 v[0:1], v[80:81], v[0:1]
	v_add_f64_e32 v[0:1], v[82:83], v[0:1]
	s_wait_dscnt 0x1
	s_delay_alu instid0(VALU_DEP_1) | instskip(NEXT) | instid1(VALU_DEP_1)
	v_add_f64_e32 v[0:1], v[36:37], v[0:1]
	v_add_f64_e32 v[0:1], v[38:39], v[0:1]
	s_wait_dscnt 0x0
	s_delay_alu instid0(VALU_DEP_1) | instskip(SKIP_1) | instid1(SALU_CYCLE_1)
	v_add_f64_e32 v[36:37], v[40:41], v[0:1]
	s_or_b32 exec_lo, exec_lo, s97
	s_and_b32 vcc_lo, exec_lo, s10
	s_cbranch_vccnz .LBB136_997
	s_branch .LBB136_1034
.LBB136_996:                            ;   in Loop: Header=BB136_3 Depth=1
	s_mov_b32 s96, 0
                                        ; implicit-def: $vgpr36_vgpr37
	s_cbranch_execz .LBB136_1034
.LBB136_997:                            ;   in Loop: Header=BB136_3 Depth=1
	v_dual_mov_b32 v0, v78 :: v_dual_mov_b32 v1, v77
	s_mov_b32 s10, 63
	s_branch .LBB136_999
.LBB136_998:                            ;   in Loop: Header=BB136_999 Depth=2
	s_or_b32 exec_lo, exec_lo, s6
	v_add_nc_u32_e32 v1, 0xfffff800, v1
	v_add_nc_u32_e32 v0, 4, v0
	s_add_co_i32 s10, s10, -4
	s_cmp_lg_u32 s97, 0
	s_barrier_signal -1
	s_barrier_wait -1
	s_cbranch_scc0 .LBB136_1015
.LBB136_999:                            ;   Parent Loop BB136_3 Depth=1
                                        ; =>  This Inner Loop Header: Depth=2
	s_delay_alu instid0(VALU_DEP_1) | instskip(SKIP_1) | instid1(SALU_CYCLE_1)
	v_cmp_eq_u32_e32 vcc_lo, 0, v0
	s_and_b32 s7, s5, vcc_lo
	s_and_saveexec_b32 s6, s7
	s_cbranch_execz .LBB136_1001
; %bb.1000:                             ;   in Loop: Header=BB136_999 Depth=2
	ds_load_b64 v[36:37], v72
	s_wait_dscnt 0x0
	v_mul_f64_e32 v[34:35], v[34:35], v[36:37]
	ds_store_b64 v5, v[34:35] offset:41472
.LBB136_1001:                           ;   in Loop: Header=BB136_999 Depth=2
	s_or_b32 exec_lo, exec_lo, s6
	v_cmp_gt_u32_e32 vcc_lo, s10, v2
	s_wait_dscnt 0x0
	s_barrier_signal -1
	s_barrier_wait -1
	s_and_b32 s7, s5, vcc_lo
	s_delay_alu instid0(SALU_CYCLE_1)
	s_and_saveexec_b32 s6, s7
	s_cbranch_execz .LBB136_1003
; %bb.1002:                             ;   in Loop: Header=BB136_999 Depth=2
	ds_load_b64 v[36:37], v1 offset:1536
	ds_load_b64 v[38:39], v5 offset:41472
	s_wait_dscnt 0x0
	v_fmac_f64_e32 v[34:35], v[36:37], v[38:39]
.LBB136_1003:                           ;   in Loop: Header=BB136_999 Depth=2
	s_or_b32 exec_lo, exec_lo, s6
	s_add_co_i32 s6, s10, -1
	s_delay_alu instid0(SALU_CYCLE_1) | instskip(SKIP_3) | instid1(SALU_CYCLE_1)
	v_cmp_eq_u32_e32 vcc_lo, s6, v2
	s_barrier_signal -1
	s_barrier_wait -1
	s_and_b32 s8, s5, vcc_lo
	s_and_saveexec_b32 s7, s8
	s_cbranch_execz .LBB136_1005
; %bb.1004:                             ;   in Loop: Header=BB136_999 Depth=2
	ds_load_b64 v[36:37], v72
	s_wait_dscnt 0x0
	v_mul_f64_e32 v[34:35], v[34:35], v[36:37]
	ds_store_b64 v5, v[34:35] offset:41472
.LBB136_1005:                           ;   in Loop: Header=BB136_999 Depth=2
	s_or_b32 exec_lo, exec_lo, s7
	v_cmp_gt_u32_e32 vcc_lo, s6, v2
	s_wait_dscnt 0x0
	s_barrier_signal -1
	s_barrier_wait -1
	s_and_b32 s7, s5, vcc_lo
	s_delay_alu instid0(SALU_CYCLE_1)
	s_and_saveexec_b32 s6, s7
	s_cbranch_execz .LBB136_1007
; %bb.1006:                             ;   in Loop: Header=BB136_999 Depth=2
	ds_load_b64 v[36:37], v1 offset:1024
	ds_load_b64 v[38:39], v5 offset:41472
	s_wait_dscnt 0x0
	v_fmac_f64_e32 v[34:35], v[36:37], v[38:39]
.LBB136_1007:                           ;   in Loop: Header=BB136_999 Depth=2
	s_or_b32 exec_lo, exec_lo, s6
	s_add_co_i32 s6, s10, -2
	s_delay_alu instid0(SALU_CYCLE_1) | instskip(SKIP_3) | instid1(SALU_CYCLE_1)
	v_cmp_eq_u32_e32 vcc_lo, s6, v2
	s_barrier_signal -1
	s_barrier_wait -1
	;; [unrolled: 30-line block ×3, first 2 shown]
	s_and_b32 s7, s5, vcc_lo
	s_and_saveexec_b32 s6, s7
	s_cbranch_execz .LBB136_1013
; %bb.1012:                             ;   in Loop: Header=BB136_999 Depth=2
	ds_load_b64 v[36:37], v72
	s_wait_dscnt 0x0
	v_mul_f64_e32 v[34:35], v[34:35], v[36:37]
	ds_store_b64 v5, v[34:35] offset:41472
.LBB136_1013:                           ;   in Loop: Header=BB136_999 Depth=2
	s_or_b32 exec_lo, exec_lo, s6
	v_cmp_gt_u32_e32 vcc_lo, s97, v2
	s_wait_dscnt 0x0
	s_barrier_signal -1
	s_barrier_wait -1
	s_and_b32 s7, s5, vcc_lo
	s_delay_alu instid0(SALU_CYCLE_1)
	s_and_saveexec_b32 s6, s7
	s_cbranch_execz .LBB136_998
; %bb.1014:                             ;   in Loop: Header=BB136_999 Depth=2
	ds_load_b64 v[36:37], v1
	ds_load_b64 v[38:39], v5 offset:41472
	s_wait_dscnt 0x0
	v_fmac_f64_e32 v[34:35], v[36:37], v[38:39]
	s_branch .LBB136_998
.LBB136_1015:                           ;   in Loop: Header=BB136_3 Depth=1
	s_and_b32 vcc_lo, exec_lo, s100
	s_mov_b32 s6, -1
	s_cbranch_vccnz .LBB136_1035
; %bb.1016:                             ;   in Loop: Header=BB136_3 Depth=1
	s_and_not1_b32 vcc_lo, exec_lo, s6
	s_cbranch_vccz .LBB136_1036
.LBB136_1017:                           ;   in Loop: Header=BB136_3 Depth=1
	s_and_saveexec_b32 s6, s96
	s_cbranch_execz .LBB136_1019
.LBB136_1018:                           ;   in Loop: Header=BB136_3 Depth=1
	v_lshl_add_u64 v[0:1], v[10:11], 3, v[32:33]
	flat_store_b64 v[0:1], v[34:35]
.LBB136_1019:                           ;   in Loop: Header=BB136_3 Depth=1
	s_wait_xcnt 0x0
	s_or_b32 exec_lo, exec_lo, s6
	global_wb scope:SCOPE_DEV
	s_wait_storecnt_dscnt 0x0
	global_inv scope:SCOPE_DEV
	s_wait_loadcnt 0x0
	s_barrier_signal -1
	s_barrier_wait -1
	s_and_saveexec_b32 s6, s59
	s_cbranch_execz .LBB136_2
; %bb.1020:                             ;   in Loop: Header=BB136_3 Depth=1
	s_lshl_b64 s[10:11], s[70:71], 2
	s_delay_alu instid0(SALU_CYCLE_1)
	s_add_nc_u64 s[10:11], s[88:89], s[10:11]
	global_load_b32 v0, v5, s[10:11]
	s_wait_loadcnt 0x0
	v_add_nc_u32_e32 v0, 1, v0
	global_store_b32 v5, v0, s[10:11]
	s_branch .LBB136_2
.LBB136_1021:                           ;   in Loop: Header=BB136_3 Depth=1
	s_mov_b32 s11, 0
	s_mov_b32 s6, exec_lo
	v_readlane_b32 s7, v86, 22
	s_and_b32 s7, s6, s7
	s_delay_alu instid0(SALU_CYCLE_1)
	s_xor_b32 s6, s7, s6
	s_mov_b32 exec_lo, s7
	s_cbranch_execz .LBB136_1023
; %bb.1022:                             ;   in Loop: Header=BB136_3 Depth=1
	v_readlane_b32 s7, v84, 4
	s_and_b32 s11, s7, exec_lo
.LBB136_1023:                           ;   in Loop: Header=BB136_3 Depth=1
	s_or_saveexec_b32 s6, s6
	v_mov_b64_e32 v[34:35], 0
	s_xor_b32 exec_lo, exec_lo, s6
	s_cbranch_execz .LBB136_1025
; %bb.1024:                             ;   in Loop: Header=BB136_3 Depth=1
	v_lshl_add_u64 v[34:35], v[12:13], 3, v[0:1]
	s_or_b32 s11, s11, exec_lo
	flat_load_b64 v[34:35], v[34:35]
	s_wait_loadcnt_dscnt 0x0
	v_div_scale_f64 v[36:37], null, v[34:35], v[34:35], 1.0
	s_delay_alu instid0(VALU_DEP_1) | instskip(SKIP_1) | instid1(TRANS32_DEP_1)
	v_rcp_f64_e32 v[38:39], v[36:37]
	v_nop
	v_fma_f64 v[40:41], -v[36:37], v[38:39], 1.0
	s_delay_alu instid0(VALU_DEP_1) | instskip(NEXT) | instid1(VALU_DEP_1)
	v_fmac_f64_e32 v[38:39], v[38:39], v[40:41]
	v_fma_f64 v[40:41], -v[36:37], v[38:39], 1.0
	s_delay_alu instid0(VALU_DEP_1) | instskip(SKIP_1) | instid1(VALU_DEP_1)
	v_fmac_f64_e32 v[38:39], v[38:39], v[40:41]
	v_div_scale_f64 v[40:41], vcc_lo, 1.0, v[34:35], 1.0
	v_mul_f64_e32 v[80:81], v[40:41], v[38:39]
	s_delay_alu instid0(VALU_DEP_1) | instskip(NEXT) | instid1(VALU_DEP_1)
	v_fma_f64 v[36:37], -v[36:37], v[80:81], v[40:41]
	v_div_fmas_f64 v[36:37], v[36:37], v[38:39], v[80:81]
	s_delay_alu instid0(VALU_DEP_1)
	v_div_fixup_f64 v[34:35], v[36:37], v[34:35], 1.0
.LBB136_1025:                           ;   in Loop: Header=BB136_3 Depth=1
	s_or_b32 exec_lo, exec_lo, s6
	s_delay_alu instid0(SALU_CYCLE_1)
	s_and_b32 s6, s11, exec_lo
	s_and_not1_saveexec_b32 s7, s10
	s_cbranch_execz .LBB136_16
.LBB136_1026:                           ;   in Loop: Header=BB136_3 Depth=1
	v_lshl_add_u64 v[34:35], v[12:13], 3, v[0:1]
	s_or_b32 s6, s6, exec_lo
	flat_load_b64 v[34:35], v[34:35]
	s_wait_loadcnt_dscnt 0x0
	v_xor_b32_e32 v35, 0x80000000, v35
	s_or_b32 exec_lo, exec_lo, s7
	s_and_saveexec_b32 s7, s6
	s_cbranch_execnz .LBB136_17
	s_branch .LBB136_18
.LBB136_1027:                           ;   in Loop: Header=BB136_3 Depth=1
	s_mov_b32 s11, 0
	s_mov_b32 s6, exec_lo
	v_readlane_b32 s7, v86, 23
	s_and_b32 s7, s6, s7
	s_delay_alu instid0(SALU_CYCLE_1)
	s_xor_b32 s6, s7, s6
	s_mov_b32 exec_lo, s7
	s_cbranch_execz .LBB136_1029
; %bb.1028:                             ;   in Loop: Header=BB136_3 Depth=1
	v_readlane_b32 s7, v84, 4
	s_and_b32 s11, s7, exec_lo
.LBB136_1029:                           ;   in Loop: Header=BB136_3 Depth=1
	s_or_saveexec_b32 s6, s6
	v_mov_b64_e32 v[34:35], 0
	s_xor_b32 exec_lo, exec_lo, s6
	s_cbranch_execz .LBB136_1031
; %bb.1030:                             ;   in Loop: Header=BB136_3 Depth=1
	v_lshl_add_u64 v[34:35], v[12:13], 3, v[0:1]
	s_or_b32 s11, s11, exec_lo
	flat_load_b64 v[34:35], v[34:35]
	s_wait_loadcnt_dscnt 0x0
	v_div_scale_f64 v[36:37], null, v[34:35], v[34:35], 1.0
	s_delay_alu instid0(VALU_DEP_1) | instskip(SKIP_1) | instid1(TRANS32_DEP_1)
	v_rcp_f64_e32 v[38:39], v[36:37]
	v_nop
	v_fma_f64 v[40:41], -v[36:37], v[38:39], 1.0
	s_delay_alu instid0(VALU_DEP_1) | instskip(NEXT) | instid1(VALU_DEP_1)
	v_fmac_f64_e32 v[38:39], v[38:39], v[40:41]
	v_fma_f64 v[40:41], -v[36:37], v[38:39], 1.0
	s_delay_alu instid0(VALU_DEP_1) | instskip(SKIP_1) | instid1(VALU_DEP_1)
	v_fmac_f64_e32 v[38:39], v[38:39], v[40:41]
	v_div_scale_f64 v[40:41], vcc_lo, 1.0, v[34:35], 1.0
	v_mul_f64_e32 v[80:81], v[40:41], v[38:39]
	s_delay_alu instid0(VALU_DEP_1) | instskip(NEXT) | instid1(VALU_DEP_1)
	v_fma_f64 v[36:37], -v[36:37], v[80:81], v[40:41]
	v_div_fmas_f64 v[36:37], v[36:37], v[38:39], v[80:81]
	s_delay_alu instid0(VALU_DEP_1)
	v_div_fixup_f64 v[34:35], v[36:37], v[34:35], 1.0
.LBB136_1031:                           ;   in Loop: Header=BB136_3 Depth=1
	s_or_b32 exec_lo, exec_lo, s6
	s_delay_alu instid0(SALU_CYCLE_1)
	s_and_b32 s6, s11, exec_lo
	s_and_not1_saveexec_b32 s7, s10
	s_cbranch_execz .LBB136_52
.LBB136_1032:                           ;   in Loop: Header=BB136_3 Depth=1
	v_lshl_add_u64 v[34:35], v[12:13], 3, v[0:1]
	s_or_b32 s6, s6, exec_lo
	flat_load_b64 v[34:35], v[34:35]
	s_wait_loadcnt_dscnt 0x0
	v_xor_b32_e32 v35, 0x80000000, v35
	s_or_b32 exec_lo, exec_lo, s7
	s_and_saveexec_b32 s7, s6
	s_cbranch_execnz .LBB136_53
	s_branch .LBB136_54
.LBB136_1033:                           ;   in Loop: Header=BB136_3 Depth=1
	s_or_b32 exec_lo, exec_lo, s97
	s_delay_alu instid0(SALU_CYCLE_1)
	s_and_b32 vcc_lo, exec_lo, s10
	s_cbranch_vccnz .LBB136_997
.LBB136_1034:                           ;   in Loop: Header=BB136_3 Depth=1
	s_delay_alu instid0(VALU_DEP_1)
	v_mov_b64_e32 v[34:35], v[36:37]
	s_and_saveexec_b32 s6, s96
	s_cbranch_execnz .LBB136_1018
	s_branch .LBB136_1019
.LBB136_1035:                           ;   in Loop: Header=BB136_3 Depth=1
	s_and_not1_b32 s7, s96, exec_lo
	s_and_b32 s8, s5, exec_lo
	s_delay_alu instid0(SALU_CYCLE_1)
	s_or_b32 s96, s7, s8
	s_cbranch_execnz .LBB136_1017
.LBB136_1036:                           ;   in Loop: Header=BB136_3 Depth=1
	v_readlane_b32 s7, v86, 9
	s_and_not1_b32 s6, s96, exec_lo
	s_and_b32 s7, s7, exec_lo
	s_delay_alu instid0(SALU_CYCLE_1) | instskip(NEXT) | instid1(SALU_CYCLE_1)
	s_or_b32 s96, s6, s7
	s_and_saveexec_b32 s6, s96
	s_cbranch_execnz .LBB136_1018
	s_branch .LBB136_1019
.LBB136_1037:                           ;   in Loop: Header=BB136_3 Depth=1
	ds_load_b64 v[36:37], v49 offset:31680
	ds_load_b64 v[38:39], v48 offset:32744
	s_wait_dscnt 0x0
	v_fmac_f64_e32 v[34:35], v[36:37], v[38:39]
	s_or_b32 exec_lo, exec_lo, s6
	s_and_saveexec_b32 s6, s17
	s_cbranch_execz .LBB136_105
.LBB136_1038:                           ;   in Loop: Header=BB136_3 Depth=1
	ds_load_b64 v[36:37], v49 offset:32192
	ds_load_b64 v[38:39], v48 offset:32752
	s_wait_dscnt 0x0
	v_fmac_f64_e32 v[34:35], v[36:37], v[38:39]
	s_or_b32 exec_lo, exec_lo, s6
	s_and_saveexec_b32 s6, s1
	s_cbranch_execnz .LBB136_106
	s_branch .LBB136_107
.LBB136_1039:                           ;   in Loop: Header=BB136_3 Depth=1
	ds_load_b64 v[36:37], v53 offset:29568
	ds_load_b64 v[38:39], v52 offset:32712
	s_wait_dscnt 0x0
	v_fmac_f64_e32 v[34:35], v[36:37], v[38:39]
	s_or_b32 exec_lo, exec_lo, s6
	s_and_saveexec_b32 s6, s19
	s_cbranch_execz .LBB136_143
.LBB136_1040:                           ;   in Loop: Header=BB136_3 Depth=1
	ds_load_b64 v[36:37], v53 offset:30080
	ds_load_b64 v[38:39], v52 offset:32720
	s_wait_dscnt 0x0
	v_fmac_f64_e32 v[34:35], v[36:37], v[38:39]
	s_or_b32 exec_lo, exec_lo, s6
	s_and_saveexec_b32 s6, s20
	s_cbranch_execz .LBB136_144
.LBB136_1041:                           ;   in Loop: Header=BB136_3 Depth=1
	ds_load_b64 v[36:37], v53 offset:30592
	ds_load_b64 v[38:39], v52 offset:32728
	s_wait_dscnt 0x0
	v_fmac_f64_e32 v[34:35], v[36:37], v[38:39]
	s_or_b32 exec_lo, exec_lo, s6
	s_and_saveexec_b32 s6, s21
	s_cbranch_execz .LBB136_145
.LBB136_1042:                           ;   in Loop: Header=BB136_3 Depth=1
	ds_load_b64 v[36:37], v53 offset:31104
	ds_load_b64 v[38:39], v52 offset:32736
	s_wait_dscnt 0x0
	v_fmac_f64_e32 v[34:35], v[36:37], v[38:39]
	s_or_b32 exec_lo, exec_lo, s6
	s_and_saveexec_b32 s6, s22
	s_cbranch_execz .LBB136_146
.LBB136_1043:                           ;   in Loop: Header=BB136_3 Depth=1
	ds_load_b64 v[36:37], v53 offset:31616
	ds_load_b64 v[38:39], v52 offset:32744
	s_wait_dscnt 0x0
	v_fmac_f64_e32 v[34:35], v[36:37], v[38:39]
	s_or_b32 exec_lo, exec_lo, s6
	s_and_saveexec_b32 s6, s2
	s_cbranch_execz .LBB136_147
.LBB136_1044:                           ;   in Loop: Header=BB136_3 Depth=1
	ds_load_b64 v[36:37], v53 offset:32128
	ds_load_b64 v[38:39], v52 offset:32752
	s_wait_dscnt 0x0
	v_fmac_f64_e32 v[34:35], v[36:37], v[38:39]
	s_or_b32 exec_lo, exec_lo, s6
	s_and_saveexec_b32 s6, s17
	s_cbranch_execnz .LBB136_148
	s_branch .LBB136_149
.LBB136_1045:                           ;   in Loop: Header=BB136_3 Depth=1
	ds_load_b64 v[36:37], v49 offset:27520
	ds_load_b64 v[38:39], v48 offset:28584
	s_wait_dscnt 0x0
	v_fmac_f64_e32 v[34:35], v[36:37], v[38:39]
	s_or_b32 exec_lo, exec_lo, s6
	s_and_saveexec_b32 s6, s17
	s_cbranch_execz .LBB136_201
.LBB136_1046:                           ;   in Loop: Header=BB136_3 Depth=1
	ds_load_b64 v[36:37], v49 offset:28032
	ds_load_b64 v[38:39], v48 offset:28592
	s_wait_dscnt 0x0
	v_fmac_f64_e32 v[34:35], v[36:37], v[38:39]
	s_or_b32 exec_lo, exec_lo, s6
	s_and_saveexec_b32 s6, s1
	s_cbranch_execnz .LBB136_202
	s_branch .LBB136_203
.LBB136_1047:                           ;   in Loop: Header=BB136_3 Depth=1
	ds_load_b64 v[36:37], v57 offset:30464
	ds_load_b64 v[38:39], v56 offset:32728
	s_wait_dscnt 0x0
	v_fmac_f64_e32 v[34:35], v[36:37], v[38:39]
	s_or_b32 exec_lo, exec_lo, s6
	s_and_saveexec_b32 s6, s3
	s_cbranch_execz .LBB136_259
.LBB136_1048:                           ;   in Loop: Header=BB136_3 Depth=1
	ds_load_b64 v[36:37], v57 offset:30976
	ds_load_b64 v[38:39], v56 offset:32736
	s_wait_dscnt 0x0
	v_fmac_f64_e32 v[34:35], v[36:37], v[38:39]
	s_or_b32 exec_lo, exec_lo, s6
	s_and_saveexec_b32 s6, s19
	s_cbranch_execz .LBB136_260
.LBB136_1049:                           ;   in Loop: Header=BB136_3 Depth=1
	ds_load_b64 v[36:37], v57 offset:31488
	ds_load_b64 v[38:39], v56 offset:32744
	s_wait_dscnt 0x0
	v_fmac_f64_e32 v[34:35], v[36:37], v[38:39]
	s_or_b32 exec_lo, exec_lo, s6
	s_and_saveexec_b32 s6, s21
	s_cbranch_execz .LBB136_261
.LBB136_1050:                           ;   in Loop: Header=BB136_3 Depth=1
	ds_load_b64 v[36:37], v57 offset:32000
	ds_load_b64 v[38:39], v56 offset:32752
	s_wait_dscnt 0x0
	v_fmac_f64_e32 v[34:35], v[36:37], v[38:39]
	s_or_b32 exec_lo, exec_lo, s6
	s_and_saveexec_b32 s6, s2
	s_cbranch_execnz .LBB136_262
	s_branch .LBB136_263
.LBB136_1051:                           ;   in Loop: Header=BB136_3 Depth=1
	ds_load_b64 v[36:37], v49 offset:23360
	ds_load_b64 v[38:39], v48 offset:24424
	s_wait_dscnt 0x0
	v_fmac_f64_e32 v[34:35], v[36:37], v[38:39]
	s_or_b32 exec_lo, exec_lo, s6
	s_and_saveexec_b32 s6, s17
	s_cbranch_execz .LBB136_347
.LBB136_1052:                           ;   in Loop: Header=BB136_3 Depth=1
	ds_load_b64 v[36:37], v49 offset:23872
	ds_load_b64 v[38:39], v48 offset:24432
	s_wait_dscnt 0x0
	v_fmac_f64_e32 v[34:35], v[36:37], v[38:39]
	s_or_b32 exec_lo, exec_lo, s6
	s_and_saveexec_b32 s6, s1
	s_cbranch_execnz .LBB136_348
	s_branch .LBB136_349
.LBB136_1053:                           ;   in Loop: Header=BB136_3 Depth=1
	ds_load_b64 v[36:37], v53 offset:21248
	ds_load_b64 v[38:39], v52 offset:24392
	s_wait_dscnt 0x0
	v_fmac_f64_e32 v[34:35], v[36:37], v[38:39]
	s_or_b32 exec_lo, exec_lo, s6
	s_and_saveexec_b32 s6, s19
	s_cbranch_execz .LBB136_385
.LBB136_1054:                           ;   in Loop: Header=BB136_3 Depth=1
	ds_load_b64 v[36:37], v53 offset:21760
	ds_load_b64 v[38:39], v52 offset:24400
	s_wait_dscnt 0x0
	v_fmac_f64_e32 v[34:35], v[36:37], v[38:39]
	s_or_b32 exec_lo, exec_lo, s6
	s_and_saveexec_b32 s6, s20
	s_cbranch_execz .LBB136_386
.LBB136_1055:                           ;   in Loop: Header=BB136_3 Depth=1
	ds_load_b64 v[36:37], v53 offset:22272
	ds_load_b64 v[38:39], v52 offset:24408
	s_wait_dscnt 0x0
	v_fmac_f64_e32 v[34:35], v[36:37], v[38:39]
	s_or_b32 exec_lo, exec_lo, s6
	s_and_saveexec_b32 s6, s21
	s_cbranch_execz .LBB136_387
.LBB136_1056:                           ;   in Loop: Header=BB136_3 Depth=1
	ds_load_b64 v[36:37], v53 offset:22784
	ds_load_b64 v[38:39], v52 offset:24416
	s_wait_dscnt 0x0
	v_fmac_f64_e32 v[34:35], v[36:37], v[38:39]
	s_or_b32 exec_lo, exec_lo, s6
	s_and_saveexec_b32 s6, s22
	s_cbranch_execz .LBB136_388
.LBB136_1057:                           ;   in Loop: Header=BB136_3 Depth=1
	ds_load_b64 v[36:37], v53 offset:23296
	ds_load_b64 v[38:39], v52 offset:24424
	s_wait_dscnt 0x0
	v_fmac_f64_e32 v[34:35], v[36:37], v[38:39]
	s_or_b32 exec_lo, exec_lo, s6
	s_and_saveexec_b32 s6, s2
	s_cbranch_execz .LBB136_389
.LBB136_1058:                           ;   in Loop: Header=BB136_3 Depth=1
	ds_load_b64 v[36:37], v53 offset:23808
	ds_load_b64 v[38:39], v52 offset:24432
	s_wait_dscnt 0x0
	v_fmac_f64_e32 v[34:35], v[36:37], v[38:39]
	s_or_b32 exec_lo, exec_lo, s6
	s_and_saveexec_b32 s6, s17
	s_cbranch_execnz .LBB136_390
	s_branch .LBB136_391
.LBB136_1059:                           ;   in Loop: Header=BB136_3 Depth=1
	ds_load_b64 v[36:37], v49 offset:19200
	ds_load_b64 v[38:39], v48 offset:20264
	s_wait_dscnt 0x0
	v_fmac_f64_e32 v[34:35], v[36:37], v[38:39]
	s_or_b32 exec_lo, exec_lo, s6
	s_and_saveexec_b32 s6, s17
	s_cbranch_execz .LBB136_443
.LBB136_1060:                           ;   in Loop: Header=BB136_3 Depth=1
	ds_load_b64 v[36:37], v49 offset:19712
	ds_load_b64 v[38:39], v48 offset:20272
	s_wait_dscnt 0x0
	v_fmac_f64_e32 v[34:35], v[36:37], v[38:39]
	s_or_b32 exec_lo, exec_lo, s6
	s_and_saveexec_b32 s6, s1
	s_cbranch_execnz .LBB136_444
	s_branch .LBB136_445
.LBB136_1061:                           ;   in Loop: Header=BB136_3 Depth=1
	ds_load_b64 v[36:37], v62 offset:31232
	ds_load_b64 v[38:39], v61 offset:32744
	s_wait_dscnt 0x0
	v_fmac_f64_e32 v[34:35], v[36:37], v[38:39]
	s_or_b32 exec_lo, exec_lo, s6
	s_and_saveexec_b32 s6, s3
	s_cbranch_execz .LBB136_537
.LBB136_1062:                           ;   in Loop: Header=BB136_3 Depth=1
	ds_load_b64 v[36:37], v62 offset:31744
	ds_load_b64 v[38:39], v61 offset:32752
	s_wait_dscnt 0x0
	v_fmac_f64_e32 v[34:35], v[36:37], v[38:39]
	s_or_b32 exec_lo, exec_lo, s6
	s_and_saveexec_b32 s6, s21
	s_delay_alu instid0(SALU_CYCLE_1)
	s_xor_b32 s6, exec_lo, s6
	s_cbranch_execnz .LBB136_538
	s_branch .LBB136_539
.LBB136_1063:                           ;   in Loop: Header=BB136_3 Depth=1
	ds_load_b64 v[36:37], v49 offset:15040
	ds_load_b64 v[38:39], v48 offset:16104
	s_wait_dscnt 0x0
	v_fmac_f64_e32 v[34:35], v[36:37], v[38:39]
	s_or_b32 exec_lo, exec_lo, s6
	s_and_saveexec_b32 s6, s17
	s_cbranch_execz .LBB136_579
.LBB136_1064:                           ;   in Loop: Header=BB136_3 Depth=1
	ds_load_b64 v[36:37], v49 offset:15552
	ds_load_b64 v[38:39], v48 offset:16112
	s_wait_dscnt 0x0
	v_fmac_f64_e32 v[34:35], v[36:37], v[38:39]
	s_or_b32 exec_lo, exec_lo, s6
	s_and_saveexec_b32 s6, s1
	s_cbranch_execnz .LBB136_580
	s_branch .LBB136_581
.LBB136_1065:                           ;   in Loop: Header=BB136_3 Depth=1
	ds_load_b64 v[36:37], v53 offset:12928
	ds_load_b64 v[38:39], v52 offset:16072
	s_wait_dscnt 0x0
	v_fmac_f64_e32 v[34:35], v[36:37], v[38:39]
	s_or_b32 exec_lo, exec_lo, s6
	s_and_saveexec_b32 s6, s19
	s_cbranch_execz .LBB136_617
.LBB136_1066:                           ;   in Loop: Header=BB136_3 Depth=1
	ds_load_b64 v[36:37], v53 offset:13440
	ds_load_b64 v[38:39], v52 offset:16080
	s_wait_dscnt 0x0
	v_fmac_f64_e32 v[34:35], v[36:37], v[38:39]
	s_or_b32 exec_lo, exec_lo, s6
	s_and_saveexec_b32 s6, s20
	s_cbranch_execz .LBB136_618
.LBB136_1067:                           ;   in Loop: Header=BB136_3 Depth=1
	ds_load_b64 v[36:37], v53 offset:13952
	ds_load_b64 v[38:39], v52 offset:16088
	s_wait_dscnt 0x0
	v_fmac_f64_e32 v[34:35], v[36:37], v[38:39]
	s_or_b32 exec_lo, exec_lo, s6
	s_and_saveexec_b32 s6, s21
	s_cbranch_execz .LBB136_619
.LBB136_1068:                           ;   in Loop: Header=BB136_3 Depth=1
	ds_load_b64 v[36:37], v53 offset:14464
	ds_load_b64 v[38:39], v52 offset:16096
	s_wait_dscnt 0x0
	v_fmac_f64_e32 v[34:35], v[36:37], v[38:39]
	s_or_b32 exec_lo, exec_lo, s6
	s_and_saveexec_b32 s6, s22
	s_cbranch_execz .LBB136_620
.LBB136_1069:                           ;   in Loop: Header=BB136_3 Depth=1
	ds_load_b64 v[36:37], v53 offset:14976
	ds_load_b64 v[38:39], v52 offset:16104
	s_wait_dscnt 0x0
	v_fmac_f64_e32 v[34:35], v[36:37], v[38:39]
	s_or_b32 exec_lo, exec_lo, s6
	s_and_saveexec_b32 s6, s2
	s_cbranch_execz .LBB136_621
.LBB136_1070:                           ;   in Loop: Header=BB136_3 Depth=1
	ds_load_b64 v[36:37], v53 offset:15488
	ds_load_b64 v[38:39], v52 offset:16112
	s_wait_dscnt 0x0
	v_fmac_f64_e32 v[34:35], v[36:37], v[38:39]
	s_or_b32 exec_lo, exec_lo, s6
	s_and_saveexec_b32 s6, s17
	s_cbranch_execnz .LBB136_622
	s_branch .LBB136_623
.LBB136_1071:                           ;   in Loop: Header=BB136_3 Depth=1
	ds_load_b64 v[36:37], v49 offset:10880
	ds_load_b64 v[38:39], v48 offset:11944
	s_wait_dscnt 0x0
	v_fmac_f64_e32 v[34:35], v[36:37], v[38:39]
	s_or_b32 exec_lo, exec_lo, s6
	s_and_saveexec_b32 s6, s17
	s_cbranch_execz .LBB136_675
.LBB136_1072:                           ;   in Loop: Header=BB136_3 Depth=1
	ds_load_b64 v[36:37], v49 offset:11392
	ds_load_b64 v[38:39], v48 offset:11952
	s_wait_dscnt 0x0
	v_fmac_f64_e32 v[34:35], v[36:37], v[38:39]
	s_or_b32 exec_lo, exec_lo, s6
	s_and_saveexec_b32 s6, s1
	s_cbranch_execnz .LBB136_676
	s_branch .LBB136_677
.LBB136_1073:                           ;   in Loop: Header=BB136_3 Depth=1
	ds_load_b64 v[36:37], v57 offset:13824
	ds_load_b64 v[38:39], v56 offset:16088
	s_wait_dscnt 0x0
	v_fmac_f64_e32 v[34:35], v[36:37], v[38:39]
	s_or_b32 exec_lo, exec_lo, s6
	s_and_saveexec_b32 s6, s3
	s_cbranch_execz .LBB136_733
.LBB136_1074:                           ;   in Loop: Header=BB136_3 Depth=1
	ds_load_b64 v[36:37], v57 offset:14336
	ds_load_b64 v[38:39], v56 offset:16096
	s_wait_dscnt 0x0
	v_fmac_f64_e32 v[34:35], v[36:37], v[38:39]
	s_or_b32 exec_lo, exec_lo, s6
	s_and_saveexec_b32 s6, s19
	s_cbranch_execz .LBB136_734
.LBB136_1075:                           ;   in Loop: Header=BB136_3 Depth=1
	ds_load_b64 v[36:37], v57 offset:14848
	ds_load_b64 v[38:39], v56 offset:16104
	s_wait_dscnt 0x0
	v_fmac_f64_e32 v[34:35], v[36:37], v[38:39]
	s_or_b32 exec_lo, exec_lo, s6
	s_and_saveexec_b32 s6, s21
	s_cbranch_execz .LBB136_735
.LBB136_1076:                           ;   in Loop: Header=BB136_3 Depth=1
	ds_load_b64 v[36:37], v57 offset:15360
	ds_load_b64 v[38:39], v56 offset:16112
	s_wait_dscnt 0x0
	v_fmac_f64_e32 v[34:35], v[36:37], v[38:39]
	s_or_b32 exec_lo, exec_lo, s6
	s_and_saveexec_b32 s6, s2
	s_cbranch_execnz .LBB136_736
	s_branch .LBB136_737
.LBB136_1077:                           ;   in Loop: Header=BB136_3 Depth=1
	ds_load_b64 v[36:37], v49 offset:6720
	ds_load_b64 v[38:39], v48 offset:7784
	s_wait_dscnt 0x0
	v_fmac_f64_e32 v[34:35], v[36:37], v[38:39]
	s_or_b32 exec_lo, exec_lo, s6
	s_and_saveexec_b32 s6, s17
	s_cbranch_execz .LBB136_821
.LBB136_1078:                           ;   in Loop: Header=BB136_3 Depth=1
	ds_load_b64 v[36:37], v49 offset:7232
	ds_load_b64 v[38:39], v48 offset:7792
	s_wait_dscnt 0x0
	v_fmac_f64_e32 v[34:35], v[36:37], v[38:39]
	s_or_b32 exec_lo, exec_lo, s6
	s_and_saveexec_b32 s6, s1
	s_cbranch_execnz .LBB136_822
	s_branch .LBB136_823
.LBB136_1079:                           ;   in Loop: Header=BB136_3 Depth=1
	ds_load_b64 v[36:37], v53 offset:4608
	ds_load_b64 v[38:39], v52 offset:7752
	s_wait_dscnt 0x0
	v_fmac_f64_e32 v[34:35], v[36:37], v[38:39]
	s_or_b32 exec_lo, exec_lo, s6
	s_and_saveexec_b32 s6, s19
	s_cbranch_execz .LBB136_859
.LBB136_1080:                           ;   in Loop: Header=BB136_3 Depth=1
	ds_load_b64 v[36:37], v53 offset:5120
	ds_load_b64 v[38:39], v52 offset:7760
	s_wait_dscnt 0x0
	v_fmac_f64_e32 v[34:35], v[36:37], v[38:39]
	s_or_b32 exec_lo, exec_lo, s6
	s_and_saveexec_b32 s6, s20
	s_cbranch_execz .LBB136_860
.LBB136_1081:                           ;   in Loop: Header=BB136_3 Depth=1
	ds_load_b64 v[36:37], v53 offset:5632
	ds_load_b64 v[38:39], v52 offset:7768
	s_wait_dscnt 0x0
	v_fmac_f64_e32 v[34:35], v[36:37], v[38:39]
	s_or_b32 exec_lo, exec_lo, s6
	s_and_saveexec_b32 s6, s21
	s_cbranch_execz .LBB136_861
.LBB136_1082:                           ;   in Loop: Header=BB136_3 Depth=1
	ds_load_b64 v[36:37], v53 offset:6144
	ds_load_b64 v[38:39], v52 offset:7776
	s_wait_dscnt 0x0
	v_fmac_f64_e32 v[34:35], v[36:37], v[38:39]
	s_or_b32 exec_lo, exec_lo, s6
	s_and_saveexec_b32 s6, s22
	s_cbranch_execz .LBB136_862
.LBB136_1083:                           ;   in Loop: Header=BB136_3 Depth=1
	ds_load_b64 v[36:37], v53 offset:6656
	ds_load_b64 v[38:39], v52 offset:7784
	s_wait_dscnt 0x0
	v_fmac_f64_e32 v[34:35], v[36:37], v[38:39]
	s_or_b32 exec_lo, exec_lo, s6
	s_and_saveexec_b32 s6, s2
	s_cbranch_execz .LBB136_863
.LBB136_1084:                           ;   in Loop: Header=BB136_3 Depth=1
	ds_load_b64 v[36:37], v53 offset:7168
	ds_load_b64 v[38:39], v52 offset:7792
	s_wait_dscnt 0x0
	v_fmac_f64_e32 v[34:35], v[36:37], v[38:39]
	s_or_b32 exec_lo, exec_lo, s6
	s_and_saveexec_b32 s6, s17
	s_cbranch_execnz .LBB136_864
	s_branch .LBB136_865
.LBB136_1085:                           ;   in Loop: Header=BB136_3 Depth=1
	ds_load_b64 v[36:37], v49 offset:2560
	ds_load_b64 v[38:39], v48 offset:3624
	s_wait_dscnt 0x0
	v_fmac_f64_e32 v[34:35], v[36:37], v[38:39]
	s_or_b32 exec_lo, exec_lo, s6
	s_and_saveexec_b32 s6, s17
	s_cbranch_execz .LBB136_917
.LBB136_1086:                           ;   in Loop: Header=BB136_3 Depth=1
	ds_load_b64 v[36:37], v49 offset:3072
	ds_load_b64 v[38:39], v48 offset:3632
	s_wait_dscnt 0x0
	v_fmac_f64_e32 v[34:35], v[36:37], v[38:39]
	s_or_b32 exec_lo, exec_lo, s6
	s_and_saveexec_b32 s6, s1
	s_cbranch_execnz .LBB136_918
	s_branch .LBB136_919
.LBB136_1087:
	s_endpgm
	.section	.rodata,"a",@progbits
	.p2align	6, 0x0
	.amdhsa_kernel _ZL19rocblas_trsv_deviceILi64ELi16ELb0ELb0ELb0ELb0EddPKPKdPKPdEviT7_lllT6_T8_lllPii
		.amdhsa_group_segment_fixed_size 41480
		.amdhsa_private_segment_fixed_size 0
		.amdhsa_kernarg_size 352
		.amdhsa_user_sgpr_count 2
		.amdhsa_user_sgpr_dispatch_ptr 0
		.amdhsa_user_sgpr_queue_ptr 0
		.amdhsa_user_sgpr_kernarg_segment_ptr 1
		.amdhsa_user_sgpr_dispatch_id 0
		.amdhsa_user_sgpr_kernarg_preload_length 0
		.amdhsa_user_sgpr_kernarg_preload_offset 0
		.amdhsa_user_sgpr_private_segment_size 0
		.amdhsa_wavefront_size32 1
		.amdhsa_uses_dynamic_stack 0
		.amdhsa_enable_private_segment 0
		.amdhsa_system_sgpr_workgroup_id_x 1
		.amdhsa_system_sgpr_workgroup_id_y 0
		.amdhsa_system_sgpr_workgroup_id_z 1
		.amdhsa_system_sgpr_workgroup_info 0
		.amdhsa_system_vgpr_workitem_id 1
		.amdhsa_next_free_vgpr 87
		.amdhsa_next_free_sgpr 105
		.amdhsa_named_barrier_count 0
		.amdhsa_reserve_vcc 1
		.amdhsa_float_round_mode_32 0
		.amdhsa_float_round_mode_16_64 0
		.amdhsa_float_denorm_mode_32 3
		.amdhsa_float_denorm_mode_16_64 3
		.amdhsa_fp16_overflow 0
		.amdhsa_memory_ordered 1
		.amdhsa_forward_progress 1
		.amdhsa_inst_pref_size 255
		.amdhsa_round_robin_scheduling 0
		.amdhsa_exception_fp_ieee_invalid_op 0
		.amdhsa_exception_fp_denorm_src 0
		.amdhsa_exception_fp_ieee_div_zero 0
		.amdhsa_exception_fp_ieee_overflow 0
		.amdhsa_exception_fp_ieee_underflow 0
		.amdhsa_exception_fp_ieee_inexact 0
		.amdhsa_exception_int_div_zero 0
	.end_amdhsa_kernel
	.section	.text._ZL19rocblas_trsv_deviceILi64ELi16ELb0ELb0ELb0ELb0EddPKPKdPKPdEviT7_lllT6_T8_lllPii,"axG",@progbits,_ZL19rocblas_trsv_deviceILi64ELi16ELb0ELb0ELb0ELb0EddPKPKdPKPdEviT7_lllT6_T8_lllPii,comdat
.Lfunc_end136:
	.size	_ZL19rocblas_trsv_deviceILi64ELi16ELb0ELb0ELb0ELb0EddPKPKdPKPdEviT7_lllT6_T8_lllPii, .Lfunc_end136-_ZL19rocblas_trsv_deviceILi64ELi16ELb0ELb0ELb0ELb0EddPKPKdPKPdEviT7_lllT6_T8_lllPii
                                        ; -- End function
	.set _ZL19rocblas_trsv_deviceILi64ELi16ELb0ELb0ELb0ELb0EddPKPKdPKPdEviT7_lllT6_T8_lllPii.num_vgpr, 87
	.set _ZL19rocblas_trsv_deviceILi64ELi16ELb0ELb0ELb0ELb0EddPKPKdPKPdEviT7_lllT6_T8_lllPii.num_agpr, 0
	.set _ZL19rocblas_trsv_deviceILi64ELi16ELb0ELb0ELb0ELb0EddPKPKdPKPdEviT7_lllT6_T8_lllPii.numbered_sgpr, 105
	.set _ZL19rocblas_trsv_deviceILi64ELi16ELb0ELb0ELb0ELb0EddPKPKdPKPdEviT7_lllT6_T8_lllPii.num_named_barrier, 0
	.set _ZL19rocblas_trsv_deviceILi64ELi16ELb0ELb0ELb0ELb0EddPKPKdPKPdEviT7_lllT6_T8_lllPii.private_seg_size, 0
	.set _ZL19rocblas_trsv_deviceILi64ELi16ELb0ELb0ELb0ELb0EddPKPKdPKPdEviT7_lllT6_T8_lllPii.uses_vcc, 1
	.set _ZL19rocblas_trsv_deviceILi64ELi16ELb0ELb0ELb0ELb0EddPKPKdPKPdEviT7_lllT6_T8_lllPii.uses_flat_scratch, 0
	.set _ZL19rocblas_trsv_deviceILi64ELi16ELb0ELb0ELb0ELb0EddPKPKdPKPdEviT7_lllT6_T8_lllPii.has_dyn_sized_stack, 0
	.set _ZL19rocblas_trsv_deviceILi64ELi16ELb0ELb0ELb0ELb0EddPKPKdPKPdEviT7_lllT6_T8_lllPii.has_recursion, 0
	.set _ZL19rocblas_trsv_deviceILi64ELi16ELb0ELb0ELb0ELb0EddPKPKdPKPdEviT7_lllT6_T8_lllPii.has_indirect_call, 0
	.section	.AMDGPU.csdata,"",@progbits
; Kernel info:
; codeLenInByte = 34056
; TotalNumSgprs: 107
; NumVgprs: 87
; ScratchSize: 0
; MemoryBound: 0
; FloatMode: 240
; IeeeMode: 1
; LDSByteSize: 41480 bytes/workgroup (compile time only)
; SGPRBlocks: 0
; VGPRBlocks: 5
; NumSGPRsForWavesPerEU: 107
; NumVGPRsForWavesPerEU: 87
; NamedBarCnt: 0
; Occupancy: 10
; WaveLimiterHint : 1
; COMPUTE_PGM_RSRC2:SCRATCH_EN: 0
; COMPUTE_PGM_RSRC2:USER_SGPR: 2
; COMPUTE_PGM_RSRC2:TRAP_HANDLER: 0
; COMPUTE_PGM_RSRC2:TGID_X_EN: 1
; COMPUTE_PGM_RSRC2:TGID_Y_EN: 0
; COMPUTE_PGM_RSRC2:TGID_Z_EN: 1
; COMPUTE_PGM_RSRC2:TIDIG_COMP_CNT: 1
	.section	.text._ZL19rocblas_trsv_deviceILi64ELi16ELb0ELb1ELb0ELb0EddPKPKdPKPdEviT7_lllT6_T8_lllPii,"axG",@progbits,_ZL19rocblas_trsv_deviceILi64ELi16ELb0ELb1ELb0ELb0EddPKPKdPKPdEviT7_lllT6_T8_lllPii,comdat
	.globl	_ZL19rocblas_trsv_deviceILi64ELi16ELb0ELb1ELb0ELb0EddPKPKdPKPdEviT7_lllT6_T8_lllPii ; -- Begin function _ZL19rocblas_trsv_deviceILi64ELi16ELb0ELb1ELb0ELb0EddPKPKdPKPdEviT7_lllT6_T8_lllPii
	.p2align	8
	.type	_ZL19rocblas_trsv_deviceILi64ELi16ELb0ELb1ELb0ELb0EddPKPKdPKPdEviT7_lllT6_T8_lllPii,@function
_ZL19rocblas_trsv_deviceILi64ELi16ELb0ELb1ELb0ELb0EddPKPKdPKPdEviT7_lllT6_T8_lllPii: ; @_ZL19rocblas_trsv_deviceILi64ELi16ELb0ELb1ELb0ELb0EddPKPKdPKPdEviT7_lllT6_T8_lllPii
; %bb.0:
	s_load_b32 s6, s[0:1], 0x58
	s_bfe_u32 s2, ttmp6, 0x40014
	s_lshr_b32 s3, ttmp7, 16
	s_add_co_i32 s2, s2, 1
	s_bfe_u32 s5, ttmp6, 0x40008
	s_mul_i32 s4, s3, s2
	s_getreg_b32 s2, hwreg(HW_REG_IB_STS2, 6, 4)
	s_add_co_i32 s5, s5, s4
	s_cmp_eq_u32 s2, 0
	s_mov_b32 s67, 0
	s_cselect_b32 s66, s3, s5
                                        ; implicit-def: $vgpr101 : SGPR spill to VGPR lane
	s_wait_kmcnt 0x0
	s_cmp_ge_u32 s66, s6
	v_writelane_b32 v101, s6, 0
	s_cbranch_scc1 .LBB137_1149
; %bb.1:
	s_clause 0x2
	s_load_b32 s3, s[0:1], 0x6c
	s_load_b32 s85, s[0:1], 0x0
	s_load_b64 s[12:13], s[0:1], 0x18
	s_bfe_u32 s5, ttmp6, 0x4000c
	s_and_b32 s4, ttmp6, 15
	s_add_co_i32 s5, s5, 1
	s_load_b256 s[68:75], s[0:1], 0x28
	s_mul_i32 s5, ttmp9, s5
	s_load_b64 s[80:81], s[0:1], 0x50
	s_add_co_i32 s4, s4, s5
	s_cmp_eq_u32 s2, 0
	s_load_b128 s[76:79], s[0:1], 0x8
	s_cselect_b32 s86, ttmp9, s4
	v_bfe_u32 v44, v0, 10, 10
	v_and_b32_e32 v2, 0x3ff, v0
	v_mov_b32_e32 v1, 0
	v_sub_co_u32 v45, s5, s86, 1
	s_delay_alu instid0(VALU_DEP_4)
	v_dual_add_nc_u32 v25, 32, v44 :: v_dual_add_nc_u32 v26, 48, v44
	s_wait_kmcnt 0x0
	s_and_b32 s0, s3, 0xffff
	s_add_co_i32 s1, s85, -1
	s_ashr_i32 s2, s85, 31
	s_ashr_i32 s3, s1, 31
	s_lshr_b32 s2, s2, 26
	s_lshr_b32 s3, s3, 26
	s_add_co_i32 s2, s85, s2
	s_add_co_i32 s1, s1, s3
	s_and_not1_b32 s2, s2, 63
	s_ashr_i32 s1, s1, 6
	s_sub_co_i32 s15, s85, s2
	s_cmp_eq_u32 s1, s86
	v_lshlrev_b32_e32 v12, 6, v2
	s_cselect_b32 s1, -1, 0
	s_cmp_lg_u32 s15, 0
	v_dual_mov_b32 v5, v1 :: v_dual_mov_b32 v3, v1
	s_cselect_b32 s4, -1, 0
	s_lshl_b32 s16, s86, 6
	s_add_nc_u64 s[2:3], s[12:13], 1
	v_dual_add_nc_u32 v13, s16, v44 :: v_dual_add_nc_u32 v10, s16, v2
	s_and_b32 s11, s4, s1
	v_mad_u32_u24 v4, v44, s0, v2
	s_xor_b32 s0, s5, -1
	s_delay_alu instid0(VALU_DEP_2) | instskip(SKIP_3) | instid1(VALU_DEP_3)
	v_subrev_nc_u32_e32 v6, 64, v13
	v_dual_ashrrev_i32 v11, 31, v10 :: v_dual_add_nc_u32 v22, 16, v44
	s_xor_b32 s88, s11, -1
	v_mad_nc_u64_u32 v[18:19], s2, s16, v[2:3]
	v_dual_ashrrev_i32 v7, 31, v6 :: v_dual_add_nc_u32 v3, v44, v12
	v_lshl_add_u32 v34, v44, 6, v2
	s_cmp_lt_i32 s86, 5
	v_add_nc_u32_e32 v14, v22, v12
	s_cselect_b32 vcc_lo, -1, 0
	v_lshl_add_u32 v15, v22, 6, v2
	v_dual_cndmask_b32 v23, v34, v3, vcc_lo :: v_dual_lshrrev_b32 v3, 1, v34
	s_or_b32 vcc_lo, vcc_lo, s11
	s_ashr_i32 s17, s16, 31
	s_delay_alu instid0(VALU_DEP_2) | instskip(NEXT) | instid1(VALU_DEP_2)
	v_dual_cndmask_b32 v24, v15, v14, vcc_lo :: v_dual_lshrrev_b32 v14, 10, v0
	v_dual_lshlrev_b32 v15, 9, v3 :: v_dual_bitop2_b32 v16, 1, v0 bitop3:0x40
	v_lshlrev_b32_e32 v48, 3, v2
	s_mul_i32 s1, s2, s17
	s_delay_alu instid0(VALU_DEP_3) | instskip(NEXT) | instid1(VALU_DEP_3)
	v_bitop3_b32 v35, v0, v14, 0x3ff bitop3:0xa8
	v_dual_sub_nc_u32 v46, 0, v15 :: v_dual_lshlrev_b32 v47, 3, v16
	v_lshrrev_b32_e32 v14, 2, v34
	s_mul_i32 s2, s3, s16
	v_cmp_eq_u32_e64 s3, 1, v16
	v_add3_u32 v19, s1, s2, v19
	v_cmp_gt_u32_e64 s1, 4, v34
	v_cmp_eq_u32_e64 s4, 0, v16
	v_cmp_eq_u32_e64 s2, 0, v44
	v_cmp_gt_u32_e64 s5, 2, v2
	v_dual_sub_nc_u32 v49, v47, v15 :: v_dual_lshlrev_b32 v16, 9, v14
	v_and_b32_e32 v17, 3, v0
	s_and_b32 s90, s3, s1
	s_and_b32 s91, s4, s1
	;; [unrolled: 1-line block ×3, first 2 shown]
	v_cmp_gt_u32_e64 s3, 16, v34
	v_cmp_eq_u32_e64 s4, 3, v17
	v_cmp_ne_u32_e64 s5, 3, v17
	v_dual_sub_nc_u32 v52, 0, v16 :: v_dual_lshlrev_b32 v53, 3, v17
	v_cmp_gt_u32_e64 s6, 2, v17
	s_and_b32 s93, s4, s3
	v_cmp_eq_u32_e64 s4, 2, v17
	v_cmp_eq_u32_e64 s7, 1, v17
	s_and_b32 s94, s5, s3
	v_cmp_eq_u32_e64 s5, 0, v17
	v_dual_lshlrev_b32 v17, 6, v34 :: v_dual_sub_nc_u32 v55, v53, v16
	s_and_b32 s95, s4, s3
	v_cmp_gt_u32_e64 s4, 4, v2
	v_and_b32_e32 v20, 7, v0
	s_delay_alu instid0(VALU_DEP_3)
	v_and_b32_e32 v17, 0xfffffe00, v17
	v_and_b32_e32 v16, -8, v34
	s_and_b32 s98, s5, s3
	s_and_b32 s99, s2, s4
	v_cmp_gt_u32_e64 s4, 64, v34
	v_sub_nc_u32_e32 v58, 0, v17
	v_add_nc_u32_e32 v57, 0x8000, v16
	v_lshrrev_b32_e32 v16, 4, v34
	v_cmp_eq_u32_e64 s5, 7, v20
	s_and_b32 s96, s6, s3
	v_cmp_ne_u32_e64 s6, 7, v20
	s_and_b32 s97, s7, s3
	v_cmp_eq_u32_e64 s7, 6, v20
	s_and_b32 s100, s5, s4
	v_cmp_gt_u32_e64 s5, 6, v20
	s_and_b32 s101, s6, s4
	v_cmp_eq_u32_e64 s6, 5, v20
	s_and_b32 s102, s7, s4
	v_cmp_gt_u32_e64 s7, 5, v20
	;; [unrolled: 4-line block ×3, first 2 shown]
	s_and_b32 vcc_hi, s7, s4
	v_cmp_eq_u32_e64 s7, 3, v20
	s_and_b32 s36, s5, s4
	v_cmp_gt_u32_e64 s5, 3, v20
	s_and_b32 s37, s6, s4
	v_cmp_eq_u32_e64 s6, 2, v20
	v_lshlrev_b32_e32 v59, 3, v20
	s_and_b32 s38, s7, s4
	s_and_b32 s39, s5, s4
	v_cmp_eq_u32_e64 s5, 1, v20
	v_cmp_gt_u32_e64 s7, 2, v20
	s_and_b32 s40, s6, s4
	v_cmp_eq_u32_e64 s6, 0, v20
	v_and_b32_e32 v20, 15, v0
	s_and_b32 s42, s5, s4
	v_cmp_gt_u32_e64 s5, 8, v2
	v_dual_sub_nc_u32 v60, v59, v17 :: v_dual_lshlrev_b32 v17, 9, v16
	s_and_b32 s43, s6, s4
	v_lshl_add_u32 v61, v16, 3, 0x8000
	s_and_b32 s44, s2, s5
	v_cmp_gt_u32_e64 s5, 0x100, v34
	v_lshrrev_b32_e32 v16, 5, v34
	v_cmp_eq_u32_e64 s6, 15, v20
	v_writelane_b32 v101, s0, 1
	s_and_b32 s41, s7, s4
	v_cmp_ne_u32_e64 s7, 15, v20
	v_cmp_eq_u32_e64 s8, 14, v20
	s_and_b32 s6, s6, s5
	v_cmp_gt_u32_e64 s10, 14, v20
	v_writelane_b32 v101, s6, 2
	s_and_b32 s6, s7, s5
	s_and_b32 s7, s8, s5
	v_cmp_eq_u32_e64 s8, 12, v20
	s_and_b32 s48, s10, s5
	v_writelane_b32 v101, s6, 3
	v_cmp_eq_u32_e64 s6, 13, v20
	v_cmp_eq_u32_e64 s10, 11, v20
	s_and_b32 s51, s8, s5
	v_cmp_gt_u32_e64 s8, 10, v20
	v_writelane_b32 v101, s7, 4
	s_and_b32 s49, s6, s5
	v_cmp_gt_u32_e64 s6, 12, v20
	v_cmp_gt_u32_e64 s7, 13, v20
	s_and_b32 s53, s10, s5
	v_cmp_gt_u32_e64 s10, 9, v20
	s_and_b32 s56, s8, s5
	s_and_b32 s52, s6, s5
	v_cmp_eq_u32_e64 s6, 10, v20
	s_and_b32 s50, s7, s5
	v_cmp_gt_u32_e64 s7, 11, v20
	s_and_b32 s58, s10, s5
	v_cmp_eq_u32_e64 s8, 7, v20
	s_and_b32 s55, s6, s5
	v_cmp_eq_u32_e64 s6, 8, v20
	;; [unrolled: 2-line block ×3, first 2 shown]
	v_cmp_eq_u32_e64 s10, 6, v20
	s_and_b32 s63, s8, s5
	s_and_b32 s61, s6, s5
	v_cmp_gt_u32_e64 s6, 7, v20
	s_and_b32 s57, s7, s5
	v_cmp_gt_u32_e64 s7, 8, v20
	s_and_b32 s23, s10, s5
	v_cmp_gt_u32_e64 s8, 5, v20
	s_and_b32 s64, s6, s5
	v_cmp_eq_u32_e64 s6, 5, v20
	s_and_b32 s62, s7, s5
	v_cmp_gt_u32_e64 s7, 6, v20
	v_cmp_gt_u32_e64 s10, 4, v20
	v_cmp_le_i32_e64 s14, s15, v2
	s_and_b32 s27, s6, s5
	v_cmp_eq_u32_e64 s6, 3, v20
	s_and_b32 s25, s7, s5
	v_cmp_eq_u32_e64 s7, 4, v20
	v_lshlrev_b32_e32 v63, 3, v20
	s_and_b32 s29, s8, s5
	s_and_b32 s24, s6, s5
	v_cmp_gt_u32_e64 s6, 2, v20
	s_and_b32 s31, s7, s5
	v_cmp_gt_u32_e64 s7, 3, v20
	s_and_b32 s34, s10, s5
	v_cmp_eq_u32_e64 s8, 2, v20
	s_and_b32 s30, s6, s5
	v_cmp_gt_u32_e64 s6, 16, v2
	s_and_b32 s26, s7, s5
	v_cmp_eq_u32_e64 s7, 0, v20
	v_cmp_eq_u32_e64 s10, 1, v20
	v_dual_sub_nc_u32 v65, v63, v17 :: v_dual_bitop2_b32 v64, 31, v0 bitop3:0x40
	s_and_b32 s84, s2, s6
	v_cmp_gt_u32_e64 s6, 32, v2
	s_and_b32 s45, s14, s11
	v_cmp_gt_i32_e64 s9, s15, v2
	v_lshl_add_u32 v51, v14, 3, 0x8000
	v_mul_i32_i24_e32 v14, 0xfffffe08, v2
	s_and_b32 s87, s7, s5
	s_xor_b32 s7, s45, -1
	s_and_b32 s6, s2, s6
	s_xor_b32 s89, vcc_lo, -1
	s_and_b32 s28, s8, s5
	s_and_b32 s33, s10, s5
	v_lshlrev_b32_e32 v0, 9, v16
	v_lshl_add_u32 v66, v16, 3, 0x8000
	v_dual_lshlrev_b32 v16, 9, v64 :: v_dual_lshlrev_b32 v67, 3, v64
	v_writelane_b32 v101, s6, 5
	s_and_b32 s46, s2, s7
	s_cmp_gt_i32 s86, 0
	v_mul_lo_u32 v14, v14, 6
	s_cselect_b32 s47, -1, 0
	s_and_b32 s9, s2, s9
	v_cmp_gt_i32_e64 s0, s85, v10
	v_sub_nc_u32_e32 v69, 0, v16
	v_writelane_b32 v101, s9, 6
	v_subrev_nc_u32_e32 v16, 48, v13
	v_cmp_gt_i32_e64 s9, s85, v6
	v_mul_u32_u24_e32 v15, 0x1f8, v2
	v_sub_nc_u32_e32 v62, 0, v17
	v_subrev_nc_u32_e32 v17, 32, v13
	v_cmp_gt_i32_e64 s10, s85, v16
	s_and_b32 s9, s9, s0
	v_add_nc_u32_e32 v13, -16, v13
	v_writelane_b32 v101, s9, 7
	v_mad_u32 v16, v15, 7, v14
	v_dual_add_nc_u32 v14, v25, v12 :: v_dual_add_nc_u32 v12, v26, v12
	v_lshl_add_u32 v15, v25, 6, v2
	v_lshl_add_u32 v27, v26, 6, v2
	v_cmp_gt_i32_e64 s11, s85, v17
	s_and_b32 s9, s10, s0
	v_cmp_ge_u32_e64 s6, v2, v44
	v_writelane_b32 v101, s9, 8
	v_cndmask_b32_e32 v28, v15, v14, vcc_lo
	v_dual_cndmask_b32 v27, v27, v12, vcc_lo :: v_dual_lshlrev_b32 v77, 3, v23
	v_cmp_gt_i32_e32 vcc_lo, s85, v13
	s_and_b32 s9, s11, s0
	v_cmp_ge_u32_e64 s7, v2, v22
	v_writelane_b32 v101, s9, 9
	v_cmp_ge_u32_e64 s8, v2, v25
	s_and_b32 s9, vcc_lo, s0
	v_cmp_le_i32_e32 vcc_lo, s15, v44
	v_mul_u32_u24_e32 v17, 0x1f0, v2
	v_writelane_b32 v101, s9, 10
	s_movk_i32 s9, 0x3800
	v_dual_sub_nc_u32 v68, 0, v0 :: v_dual_sub_nc_u32 v70, v67, v0
	v_mad_u32_u24 v79, 0x208, v64, s9
	v_cmp_le_i32_e64 s9, s15, v22
	s_or_b32 s10, vcc_lo, s14
	v_cmp_le_i32_e32 vcc_lo, s15, v25
	s_or_b32 s10, s10, s6
	v_dual_add_nc_u32 v0, s16, v4 :: v_dual_sub_nc_u32 v73, v16, v17
	v_writelane_b32 v101, s10, 11
	s_or_b32 s11, s9, s14
	v_cmp_le_i32_e64 s10, s15, v26
	s_or_b32 s11, s11, s7
	v_cmp_ge_u32_e64 s9, v2, v26
	v_writelane_b32 v101, s11, 12
	s_or_b32 s11, vcc_lo, s14
	s_or_b32 s10, s10, s14
	s_or_b32 s11, s11, s8
	;; [unrolled: 1-line block ×3, first 2 shown]
	v_writelane_b32 v101, s11, 13
	v_cmp_ne_u32_e64 s11, v2, v22
	v_mad_nc_u64_u32 v[12:13], s12, v44, v[18:19]
	v_mad_nc_u64_u32 v[14:15], s12, v22, v[18:19]
	;; [unrolled: 1-line block ×3, first 2 shown]
	v_writelane_b32 v101, s10, 14
	v_cmp_ne_u32_e64 s10, v2, v44
	v_mad_nc_u64_u32 v[18:19], s12, v26, v[18:19]
	v_mul_u64_e32 v[8:9], s[12:13], v[10:11]
	v_cmp_ne_u32_e64 s12, v2, v25
                                        ; implicit-def: $vgpr100 : SGPR spill to VGPR lane
	v_mad_u32_u24 v50, 0x1f8, v2, v48
	v_writelane_b32 v101, s10, 15
	s_or_b32 s10, s14, s10
	v_mad_u32 v13, s13, v44, v13
	v_mad_u32 v15, s13, v22, v15
	;; [unrolled: 1-line block ×3, first 2 shown]
	v_writelane_b32 v101, s10, 16
	s_or_b32 s10, s14, s11
	v_mad_u32 v19, s13, v26, v19
	v_cmp_ne_u32_e64 s13, v2, v26
	v_mad_i32_i24 v54, 0xfffffe08, v2, v50
	v_writelane_b32 v101, s11, 17
	v_add_nc_u64_e32 v[20:21], s[16:17], v[4:5]
	v_dual_lshlrev_b32 v23, 3, v44 :: v_dual_bitop2_b32 v37, v25, v2 bitop3:0x54
	s_delay_alu instid0(VALU_DEP_4)
	v_mad_u32_u24 v56, 0x1f8, v2, v54
	v_writelane_b32 v101, s10, 18
	s_or_b32 s10, s14, s12
	v_mul_u64_e32 v[10:11], s[74:75], v[10:11]
	v_mul_u64_e32 v[20:21], s[74:75], v[20:21]
	v_mad_i32_i24 v5, 0xfffffe08, v2, v56
	v_writelane_b32 v101, s12, 19
	v_dual_lshlrev_b32 v81, 3, v24 :: v_dual_bitop2_b32 v36, v22, v2 bitop3:0x54
	v_or_b32_e32 v86, 0xa000, v23
	s_delay_alu instid0(VALU_DEP_4)
	v_mad_u32_u24 v71, 0x1f8, v2, v5
	v_writelane_b32 v101, s10, 20
	s_or_b32 s10, s14, s13
	v_or_b32_e32 v38, v26, v2
	v_cmp_lt_u32_e32 vcc_lo, 0x3ff, v34
	v_mad_i32_i24 v72, 0xfffffe08, v2, v71
	v_writelane_b32 v101, s13, 21
	v_mov_b64_e32 v[24:25], 0
	v_lshl_add_u32 v3, v3, 3, 0x8000
	v_dual_lshlrev_b32 v82, 3, v28 :: v_dual_lshlrev_b32 v84, 3, v27
	v_writelane_b32 v101, s10, 22
	v_cmp_gt_u32_e64 s10, 0xf0, v34
	v_mad_u32_u24 v74, 0x1f8, v2, v72
	v_mul_u32_u24_e32 v88, 0x208, v64
	v_lshl_add_u32 v89, v4, 3, 0xa000
	v_lshl_add_u32 v90, v34, 3, 0x8000
	v_writelane_b32 v101, s10, 23
	v_cmp_gt_u32_e64 s10, 0xe0, v34
	v_mad_i32_i24 v75, 0xfffffe08, v2, v74
	v_add_nc_u32_e32 v91, 0x8000, v48
	v_add_nc_u32_e32 v93, v86, v48
	v_cmp_eq_u32_e64 s14, 0, v35
	v_writelane_b32 v101, s10, 24
	v_cmp_gt_u32_e64 s10, 0xd0, v34
	v_mad_u32_u24 v76, 0x1f8, v2, v75
	v_cmp_gt_u32_e64 s15, 2, v34
	v_cmp_gt_u32_e64 s16, 12, v34
	;; [unrolled: 1-line block ×3, first 2 shown]
	v_writelane_b32 v101, s10, 25
	v_cmp_gt_u32_e64 s10, 0xc0, v34
	v_mad_i32_i24 v78, 0xfffffe08, v2, v76
	v_cmp_gt_u32_e64 s18, 56, v34
	v_cmp_gt_u32_e64 s19, 48, v34
	;; [unrolled: 1-line block ×3, first 2 shown]
	v_writelane_b32 v101, s10, 26
	v_cmp_gt_u32_e64 s10, 0xb0, v34
	v_mad_u32_u24 v80, 0x1f8, v2, v78
	v_lshl_add_u32 v92, v44, 9, v78
	v_cmp_gt_u32_e64 s21, 32, v34
	v_cmp_gt_u32_e64 s22, 24, v34
	v_writelane_b32 v101, s10, 27
	v_cmp_gt_u32_e64 s10, 0xa0, v34
	v_mad_i32_i24 v83, 0xfffffe08, v2, v80
	v_cmp_gt_u32_e64 s35, 0x400, v34
	v_cmp_eq_u32_e64 s59, 0, v4
	v_cmp_gt_u32_e64 s60, 64, v4
	v_writelane_b32 v101, s10, 28
	v_cmp_gt_u32_e64 s10, 0x90, v34
	v_mad_u32_u24 v85, 0x1f8, v2, v83
	s_xor_b32 s13, vcc_lo, -1
	s_lshl_b64 s[78:79], s[78:79], 3
	s_lshl_b64 s[72:73], s[72:73], 3
	v_writelane_b32 v101, s10, 29
	v_cmp_gt_u32_e64 s10, 0x80, v34
	v_add_nc_u32_e32 v87, v85, v23
	v_mul_u64_e32 v[22:23], s[74:75], v[0:1]
                                        ; implicit-def: $vgpr26_vgpr27
                                        ; implicit-def: $vgpr28_vgpr29
                                        ; implicit-def: $vgpr30_vgpr31
                                        ; implicit-def: $vgpr32_vgpr33
	s_delay_alu instid0(VALU_DEP_3) | instskip(SKIP_1) | instid1(VALU_DEP_1)
	v_writelane_b32 v101, s10, 30
	v_cmp_gt_u32_e64 s10, 0x70, v34
	v_writelane_b32 v101, s10, 31
	v_cmp_gt_u32_e64 s10, 0x60, v34
	s_delay_alu instid0(VALU_DEP_1) | instskip(SKIP_1) | instid1(VALU_DEP_1)
	v_writelane_b32 v100, s10, 0
	v_cmp_gt_u32_e64 s10, 0x50, v34
	v_writelane_b32 v100, s10, 1
	v_cmp_gt_u32_e64 s10, 0x3e0, v34
	s_delay_alu instid0(VALU_DEP_1) | instskip(SKIP_1) | instid1(VALU_DEP_1)
	;; [unrolled: 5-line block ×14, first 2 shown]
	v_writelane_b32 v100, s10, 26
	v_cmp_gt_u32_e64 s10, 64, v37
	v_writelane_b32 v100, s10, 27
	v_cmp_gt_u32_e64 s10, 64, v38
	s_delay_alu instid0(VALU_DEP_1)
	v_writelane_b32 v100, s10, 28
	s_branch .LBB137_3
.LBB137_2:                              ;   in Loop: Header=BB137_3 Depth=1
	s_wait_xcnt 0x0
	s_or_b32 exec_lo, exec_lo, s10
	v_readlane_b32 s10, v101, 0
	s_add_co_i32 s66, s66, 0x10000
	global_wb scope:SCOPE_DEV
	s_wait_storecnt 0x0
	global_inv scope:SCOPE_DEV
	s_cmp_lt_u32 s66, s10
	s_cbranch_scc0 .LBB137_1149
.LBB137_3:                              ; =>This Loop Header: Depth=1
                                        ;     Child Loop BB137_553 Depth 2
                                        ;     Child Loop BB137_1002 Depth 2
                                        ;       Child Loop BB137_1004 Depth 3
                                        ;     Child Loop BB137_1039 Depth 2
	v_mov_b32_e32 v0, s66
	v_readlane_b32 s10, v101, 1
	s_clause 0x1
	global_load_b64 v[34:35], v0, s[76:77] scale_offset
	global_load_b64 v[36:37], v0, s[70:71] scale_offset
	s_and_not1_b32 vcc_lo, exec_lo, s10
	s_wait_loadcnt 0x1
	v_add_nc_u64_e32 v[38:39], s[78:79], v[34:35]
	s_delay_alu instid0(VALU_DEP_1)
	v_lshl_add_u64 v[34:35], v[8:9], 3, v[38:39]
	s_cbranch_vccz .LBB137_6
; %bb.4:                                ;   in Loop: Header=BB137_3 Depth=1
	s_and_not1_b32 vcc_lo, exec_lo, s88
	s_mov_b32 s10, -1
	s_cbranch_vccz .LBB137_15
.LBB137_5:                              ;   in Loop: Header=BB137_3 Depth=1
	s_and_b32 vcc_lo, exec_lo, s10
	s_cbranch_vccnz .LBB137_25
	s_branch .LBB137_66
.LBB137_6:                              ;   in Loop: Header=BB137_3 Depth=1
	v_mov_b64_e32 v[28:29], 0
	v_mov_b64_e32 v[26:27], 0
	s_delay_alu instid0(VALU_DEP_3)
	v_lshl_add_u64 v[40:41], v[6:7], 3, v[34:35]
	s_wait_loadcnt 0x0
	s_barrier_signal -1
	s_barrier_wait -1
	s_wait_xcnt 0x0
	s_mov_b32 s10, exec_lo
	v_readlane_b32 s11, v101, 7
	s_and_b32 s11, s10, s11
	s_delay_alu instid0(SALU_CYCLE_1)
	s_mov_b32 exec_lo, s11
	s_cbranch_execz .LBB137_8
; %bb.7:                                ;   in Loop: Header=BB137_3 Depth=1
	flat_load_b64 v[26:27], v[40:41]
.LBB137_8:                              ;   in Loop: Header=BB137_3 Depth=1
	s_wait_xcnt 0x0
	s_or_b32 exec_lo, exec_lo, s10
	s_wait_loadcnt_dscnt 0x0
	s_barrier_signal -1
	s_barrier_wait -1
	s_mov_b32 s10, exec_lo
	v_readlane_b32 s11, v101, 8
	s_and_b32 s11, s10, s11
	s_delay_alu instid0(SALU_CYCLE_1)
	s_mov_b32 exec_lo, s11
	s_cbranch_execz .LBB137_10
; %bb.9:                                ;   in Loop: Header=BB137_3 Depth=1
	flat_load_b64 v[28:29], v[40:41] offset:128
.LBB137_10:                             ;   in Loop: Header=BB137_3 Depth=1
	s_wait_xcnt 0x0
	s_or_b32 exec_lo, exec_lo, s10
	v_mov_b64_e32 v[32:33], 0
	v_mov_b64_e32 v[30:31], 0
	s_wait_loadcnt_dscnt 0x0
	s_barrier_signal -1
	s_barrier_wait -1
	s_mov_b32 s10, exec_lo
	v_readlane_b32 s11, v101, 9
	s_and_b32 s11, s10, s11
	s_delay_alu instid0(SALU_CYCLE_1)
	s_mov_b32 exec_lo, s11
	s_cbranch_execz .LBB137_12
; %bb.11:                               ;   in Loop: Header=BB137_3 Depth=1
	flat_load_b64 v[30:31], v[40:41] offset:256
.LBB137_12:                             ;   in Loop: Header=BB137_3 Depth=1
	s_wait_xcnt 0x0
	s_or_b32 exec_lo, exec_lo, s10
	s_wait_loadcnt_dscnt 0x0
	s_barrier_signal -1
	s_barrier_wait -1
	s_mov_b32 s10, exec_lo
	v_readlane_b32 s11, v101, 10
	s_and_b32 s11, s10, s11
	s_delay_alu instid0(SALU_CYCLE_1)
	s_mov_b32 exec_lo, s11
	s_cbranch_execz .LBB137_14
; %bb.13:                               ;   in Loop: Header=BB137_3 Depth=1
	flat_load_b64 v[32:33], v[40:41] offset:384
.LBB137_14:                             ;   in Loop: Header=BB137_3 Depth=1
	s_wait_xcnt 0x0
	s_or_b32 exec_lo, exec_lo, s10
	s_delay_alu instid0(SALU_CYCLE_1)
	s_and_not1_b32 vcc_lo, exec_lo, s88
	s_mov_b32 s10, -1
	s_cbranch_vccnz .LBB137_5
.LBB137_15:                             ;   in Loop: Header=BB137_3 Depth=1
	s_wait_xcnt 0x0
	s_and_saveexec_b32 s10, s6
	s_delay_alu instid0(SALU_CYCLE_1)
	s_xor_b32 s10, exec_lo, s10
	s_cbranch_execnz .LBB137_1060
; %bb.16:                               ;   in Loop: Header=BB137_3 Depth=1
	s_and_not1_saveexec_b32 s10, s10
	s_cbranch_execnz .LBB137_1067
.LBB137_17:                             ;   in Loop: Header=BB137_3 Depth=1
	s_or_b32 exec_lo, exec_lo, s10
	s_and_saveexec_b32 s10, s7
	s_delay_alu instid0(SALU_CYCLE_1)
	s_xor_b32 s10, exec_lo, s10
	s_cbranch_execnz .LBB137_1068
.LBB137_18:                             ;   in Loop: Header=BB137_3 Depth=1
	s_and_not1_saveexec_b32 s10, s10
	s_cbranch_execnz .LBB137_1075
.LBB137_19:                             ;   in Loop: Header=BB137_3 Depth=1
	s_or_b32 exec_lo, exec_lo, s10
	s_and_saveexec_b32 s10, s8
	s_delay_alu instid0(SALU_CYCLE_1)
	s_xor_b32 s10, exec_lo, s10
	s_cbranch_execnz .LBB137_1076
.LBB137_20:                             ;   in Loop: Header=BB137_3 Depth=1
	s_and_not1_saveexec_b32 s10, s10
	s_cbranch_execnz .LBB137_1083
.LBB137_21:                             ;   in Loop: Header=BB137_3 Depth=1
	s_or_b32 exec_lo, exec_lo, s10
	s_and_saveexec_b32 s10, s9
	s_delay_alu instid0(SALU_CYCLE_1)
	s_xor_b32 s10, exec_lo, s10
	s_cbranch_execnz .LBB137_1084
.LBB137_22:                             ;   in Loop: Header=BB137_3 Depth=1
	s_and_not1_saveexec_b32 s10, s10
	s_cbranch_execz .LBB137_24
.LBB137_23:                             ;   in Loop: Header=BB137_3 Depth=1
	v_lshl_add_u64 v[40:41], v[18:19], 3, v[38:39]
	flat_load_b64 v[40:41], v[40:41]
	s_wait_loadcnt_dscnt 0x0
	v_xor_b32_e32 v41, 0x80000000, v41
	ds_store_b64 v84, v[40:41]
.LBB137_24:                             ;   in Loop: Header=BB137_3 Depth=1
	s_or_b32 exec_lo, exec_lo, s10
	s_branch .LBB137_66
.LBB137_25:                             ;   in Loop: Header=BB137_3 Depth=1
	s_wait_xcnt 0x0
	s_mov_b32 s10, exec_lo
	v_readlane_b32 s11, v101, 11
	s_and_b32 s11, s10, s11
	s_delay_alu instid0(SALU_CYCLE_1)
	s_xor_b32 s10, s11, s10
	s_mov_b32 exec_lo, s11
	s_cbranch_execz .LBB137_33
; %bb.26:                               ;   in Loop: Header=BB137_3 Depth=1
	s_mov_b32 s11, exec_lo
	v_readlane_b32 s12, v101, 16
	s_and_b32 s12, s11, s12
	s_delay_alu instid0(SALU_CYCLE_1)
	s_xor_b32 s11, s12, s11
	s_mov_b32 exec_lo, s12
	s_cbranch_execz .LBB137_30
; %bb.27:                               ;   in Loop: Header=BB137_3 Depth=1
	s_mov_b32 s12, exec_lo
	v_readlane_b32 s65, v100, 25
	s_and_b32 s65, s12, s65
	s_delay_alu instid0(SALU_CYCLE_1)
	s_mov_b32 exec_lo, s65
; %bb.28:                               ;   in Loop: Header=BB137_3 Depth=1
	ds_store_b64 v87, v[24:25]
; %bb.29:                               ;   in Loop: Header=BB137_3 Depth=1
	s_or_b32 exec_lo, exec_lo, s12
.LBB137_30:                             ;   in Loop: Header=BB137_3 Depth=1
	s_and_not1_saveexec_b32 s11, s11
	s_cbranch_execz .LBB137_32
; %bb.31:                               ;   in Loop: Header=BB137_3 Depth=1
	v_lshl_add_u64 v[40:41], v[12:13], 3, v[38:39]
	flat_load_b64 v[40:41], v[40:41]
	s_wait_loadcnt_dscnt 0x0
	v_div_scale_f64 v[42:43], null, v[40:41], v[40:41], 1.0
	s_delay_alu instid0(VALU_DEP_1) | instskip(SKIP_1) | instid1(TRANS32_DEP_1)
	v_rcp_f64_e32 v[94:95], v[42:43]
	v_nop
	v_fma_f64 v[96:97], -v[42:43], v[94:95], 1.0
	s_delay_alu instid0(VALU_DEP_1) | instskip(NEXT) | instid1(VALU_DEP_1)
	v_fmac_f64_e32 v[94:95], v[94:95], v[96:97]
	v_fma_f64 v[96:97], -v[42:43], v[94:95], 1.0
	s_delay_alu instid0(VALU_DEP_1) | instskip(SKIP_1) | instid1(VALU_DEP_1)
	v_fmac_f64_e32 v[94:95], v[94:95], v[96:97]
	v_div_scale_f64 v[96:97], vcc_lo, 1.0, v[40:41], 1.0
	v_mul_f64_e32 v[98:99], v[96:97], v[94:95]
	s_delay_alu instid0(VALU_DEP_1) | instskip(NEXT) | instid1(VALU_DEP_1)
	v_fma_f64 v[42:43], -v[42:43], v[98:99], v[96:97]
	v_div_fmas_f64 v[42:43], v[42:43], v[94:95], v[98:99]
	s_delay_alu instid0(VALU_DEP_1)
	v_div_fixup_f64 v[40:41], v[42:43], v[40:41], 1.0
	ds_store_b64 v87, v[40:41]
.LBB137_32:                             ;   in Loop: Header=BB137_3 Depth=1
	s_or_b32 exec_lo, exec_lo, s11
.LBB137_33:                             ;   in Loop: Header=BB137_3 Depth=1
	s_and_not1_saveexec_b32 s10, s10
	s_cbranch_execz .LBB137_35
; %bb.34:                               ;   in Loop: Header=BB137_3 Depth=1
	v_lshl_add_u64 v[40:41], v[12:13], 3, v[38:39]
	flat_load_b64 v[40:41], v[40:41]
	s_wait_loadcnt_dscnt 0x0
	v_xor_b32_e32 v41, 0x80000000, v41
	ds_store_b64 v87, v[40:41]
.LBB137_35:                             ;   in Loop: Header=BB137_3 Depth=1
	s_or_b32 exec_lo, exec_lo, s10
	s_delay_alu instid0(SALU_CYCLE_1) | instskip(SKIP_2) | instid1(SALU_CYCLE_1)
	s_mov_b32 s10, exec_lo
	v_readlane_b32 s11, v101, 12
	s_and_b32 s11, s10, s11
	s_xor_b32 s10, s11, s10
	s_mov_b32 exec_lo, s11
	s_cbranch_execz .LBB137_43
; %bb.36:                               ;   in Loop: Header=BB137_3 Depth=1
	s_mov_b32 s11, exec_lo
	v_readlane_b32 s12, v101, 18
	s_and_b32 s12, s11, s12
	s_delay_alu instid0(SALU_CYCLE_1)
	s_xor_b32 s11, s12, s11
	s_mov_b32 exec_lo, s12
	s_cbranch_execz .LBB137_40
; %bb.37:                               ;   in Loop: Header=BB137_3 Depth=1
	s_mov_b32 s12, exec_lo
	v_readlane_b32 s65, v100, 26
	s_and_b32 s65, s12, s65
	s_delay_alu instid0(SALU_CYCLE_1)
	s_mov_b32 exec_lo, s65
; %bb.38:                               ;   in Loop: Header=BB137_3 Depth=1
	ds_store_b64 v81, v[24:25]
; %bb.39:                               ;   in Loop: Header=BB137_3 Depth=1
	s_or_b32 exec_lo, exec_lo, s12
.LBB137_40:                             ;   in Loop: Header=BB137_3 Depth=1
	s_and_not1_saveexec_b32 s11, s11
	s_cbranch_execz .LBB137_42
; %bb.41:                               ;   in Loop: Header=BB137_3 Depth=1
	v_lshl_add_u64 v[40:41], v[14:15], 3, v[38:39]
	flat_load_b64 v[40:41], v[40:41]
	s_wait_loadcnt_dscnt 0x0
	v_div_scale_f64 v[42:43], null, v[40:41], v[40:41], 1.0
	s_delay_alu instid0(VALU_DEP_1) | instskip(SKIP_1) | instid1(TRANS32_DEP_1)
	v_rcp_f64_e32 v[94:95], v[42:43]
	v_nop
	v_fma_f64 v[96:97], -v[42:43], v[94:95], 1.0
	s_delay_alu instid0(VALU_DEP_1) | instskip(NEXT) | instid1(VALU_DEP_1)
	v_fmac_f64_e32 v[94:95], v[94:95], v[96:97]
	v_fma_f64 v[96:97], -v[42:43], v[94:95], 1.0
	s_delay_alu instid0(VALU_DEP_1) | instskip(SKIP_1) | instid1(VALU_DEP_1)
	v_fmac_f64_e32 v[94:95], v[94:95], v[96:97]
	v_div_scale_f64 v[96:97], vcc_lo, 1.0, v[40:41], 1.0
	v_mul_f64_e32 v[98:99], v[96:97], v[94:95]
	s_delay_alu instid0(VALU_DEP_1) | instskip(NEXT) | instid1(VALU_DEP_1)
	v_fma_f64 v[42:43], -v[42:43], v[98:99], v[96:97]
	v_div_fmas_f64 v[42:43], v[42:43], v[94:95], v[98:99]
	s_delay_alu instid0(VALU_DEP_1)
	v_div_fixup_f64 v[40:41], v[42:43], v[40:41], 1.0
	ds_store_b64 v81, v[40:41]
.LBB137_42:                             ;   in Loop: Header=BB137_3 Depth=1
	s_or_b32 exec_lo, exec_lo, s11
.LBB137_43:                             ;   in Loop: Header=BB137_3 Depth=1
	s_and_not1_saveexec_b32 s10, s10
	s_cbranch_execz .LBB137_45
; %bb.44:                               ;   in Loop: Header=BB137_3 Depth=1
	v_lshl_add_u64 v[40:41], v[14:15], 3, v[38:39]
	flat_load_b64 v[40:41], v[40:41]
	s_wait_loadcnt_dscnt 0x0
	v_xor_b32_e32 v41, 0x80000000, v41
	ds_store_b64 v81, v[40:41]
.LBB137_45:                             ;   in Loop: Header=BB137_3 Depth=1
	s_or_b32 exec_lo, exec_lo, s10
	s_delay_alu instid0(SALU_CYCLE_1) | instskip(SKIP_2) | instid1(SALU_CYCLE_1)
	s_mov_b32 s10, exec_lo
	v_readlane_b32 s11, v101, 13
	s_and_b32 s11, s10, s11
	;; [unrolled: 63-line block ×3, first 2 shown]
	s_xor_b32 s10, s11, s10
	s_mov_b32 exec_lo, s11
	s_cbranch_execz .LBB137_63
; %bb.56:                               ;   in Loop: Header=BB137_3 Depth=1
	s_mov_b32 s11, exec_lo
	v_readlane_b32 s12, v101, 22
	s_and_b32 s12, s11, s12
	s_delay_alu instid0(SALU_CYCLE_1)
	s_xor_b32 s11, s12, s11
	s_mov_b32 exec_lo, s12
	s_cbranch_execz .LBB137_60
; %bb.57:                               ;   in Loop: Header=BB137_3 Depth=1
	s_mov_b32 s12, exec_lo
	v_readlane_b32 s65, v100, 28
	s_and_b32 s65, s12, s65
	s_delay_alu instid0(SALU_CYCLE_1)
	s_mov_b32 exec_lo, s65
; %bb.58:                               ;   in Loop: Header=BB137_3 Depth=1
	ds_store_b64 v84, v[24:25]
; %bb.59:                               ;   in Loop: Header=BB137_3 Depth=1
	s_or_b32 exec_lo, exec_lo, s12
                                        ; implicit-def: $vgpr38_vgpr39
.LBB137_60:                             ;   in Loop: Header=BB137_3 Depth=1
	s_and_not1_saveexec_b32 s11, s11
	s_cbranch_execz .LBB137_62
; %bb.61:                               ;   in Loop: Header=BB137_3 Depth=1
	v_lshl_add_u64 v[38:39], v[18:19], 3, v[38:39]
	flat_load_b64 v[38:39], v[38:39]
	s_wait_loadcnt_dscnt 0x0
	v_div_scale_f64 v[40:41], null, v[38:39], v[38:39], 1.0
	s_delay_alu instid0(VALU_DEP_1) | instskip(SKIP_1) | instid1(TRANS32_DEP_1)
	v_rcp_f64_e32 v[42:43], v[40:41]
	v_nop
	v_fma_f64 v[94:95], -v[40:41], v[42:43], 1.0
	s_delay_alu instid0(VALU_DEP_1) | instskip(NEXT) | instid1(VALU_DEP_1)
	v_fmac_f64_e32 v[42:43], v[42:43], v[94:95]
	v_fma_f64 v[94:95], -v[40:41], v[42:43], 1.0
	s_delay_alu instid0(VALU_DEP_1) | instskip(SKIP_1) | instid1(VALU_DEP_1)
	v_fmac_f64_e32 v[42:43], v[42:43], v[94:95]
	v_div_scale_f64 v[94:95], vcc_lo, 1.0, v[38:39], 1.0
	v_mul_f64_e32 v[96:97], v[94:95], v[42:43]
	s_delay_alu instid0(VALU_DEP_1) | instskip(NEXT) | instid1(VALU_DEP_1)
	v_fma_f64 v[40:41], -v[40:41], v[96:97], v[94:95]
	v_div_fmas_f64 v[40:41], v[40:41], v[42:43], v[96:97]
	s_delay_alu instid0(VALU_DEP_1)
	v_div_fixup_f64 v[38:39], v[40:41], v[38:39], 1.0
	ds_store_b64 v84, v[38:39]
.LBB137_62:                             ;   in Loop: Header=BB137_3 Depth=1
	s_or_b32 exec_lo, exec_lo, s11
                                        ; implicit-def: $vgpr38_vgpr39
.LBB137_63:                             ;   in Loop: Header=BB137_3 Depth=1
	s_and_not1_saveexec_b32 s10, s10
	s_cbranch_execz .LBB137_65
; %bb.64:                               ;   in Loop: Header=BB137_3 Depth=1
	v_lshl_add_u64 v[38:39], v[18:19], 3, v[38:39]
	flat_load_b64 v[38:39], v[38:39]
	s_wait_loadcnt_dscnt 0x0
	v_xor_b32_e32 v39, 0x80000000, v39
	ds_store_b64 v84, v[38:39]
.LBB137_65:                             ;   in Loop: Header=BB137_3 Depth=1
	s_or_b32 exec_lo, exec_lo, s10
.LBB137_66:                             ;   in Loop: Header=BB137_3 Depth=1
	s_delay_alu instid0(SALU_CYCLE_1)
	s_and_not1_b32 vcc_lo, exec_lo, s89
	s_wait_loadcnt_dscnt 0x0
	s_barrier_signal -1
	s_barrier_wait -1
	s_cbranch_vccnz .LBB137_996
; %bb.67:                               ;   in Loop: Header=BB137_3 Depth=1
	s_wait_xcnt 0x0
	s_and_saveexec_b32 s10, s14
	s_cbranch_execz .LBB137_69
; %bb.68:                               ;   in Loop: Header=BB137_3 Depth=1
	ds_load_b128 v[38:41], v1 offset:32752
	ds_load_b64 v[42:43], v1 offset:32240
	v_add_nc_u32_e64 v0, 0x7800, 0
	s_wait_dscnt 0x0
	v_mul_f64_e32 v[40:41], v[42:43], v[40:41]
	s_delay_alu instid0(VALU_DEP_1)
	v_mul_f64_e32 v[38:39], v[38:39], v[40:41]
	ds_store_2addr_b64 v0, v[38:39], v[38:39] offset0:191 offset1:254
.LBB137_69:                             ;   in Loop: Header=BB137_3 Depth=1
	s_or_b32 exec_lo, exec_lo, s10
	v_mov_b64_e32 v[38:39], 0
	s_wait_dscnt 0x0
	s_barrier_signal -1
	s_barrier_wait -1
	global_wb scope:SCOPE_DEV
	s_wait_storecnt 0x0
	global_inv scope:SCOPE_DEV
	s_and_saveexec_b32 s10, s1
	s_cbranch_execz .LBB137_73
; %bb.70:                               ;   in Loop: Header=BB137_3 Depth=1
	ds_load_b64 v[38:39], v47 offset:32224
	ds_load_b64 v[40:41], v46 offset:32752
	s_wait_dscnt 0x0
	v_fma_f64 v[38:39], v[38:39], v[40:41], 0
	s_and_saveexec_b32 s11, s15
	s_cbranch_execz .LBB137_72
; %bb.71:                               ;   in Loop: Header=BB137_3 Depth=1
	ds_load_b64 v[40:41], v48 offset:32736
	ds_load_b64 v[42:43], v1 offset:32760
	s_wait_dscnt 0x0
	v_fmac_f64_e32 v[38:39], v[40:41], v[42:43]
.LBB137_72:                             ;   in Loop: Header=BB137_3 Depth=1
	s_or_b32 exec_lo, exec_lo, s11
.LBB137_73:                             ;   in Loop: Header=BB137_3 Depth=1
	s_delay_alu instid0(SALU_CYCLE_1)
	s_or_b32 exec_lo, exec_lo, s10
	s_and_saveexec_b32 s10, s90
	s_cbranch_execz .LBB137_75
; %bb.74:                               ;   in Loop: Header=BB137_3 Depth=1
	ds_load_b64 v[40:41], v1 offset:31720
	s_wait_dscnt 0x0
	v_mul_f64_e32 v[38:39], v[38:39], v[40:41]
	s_delay_alu instid0(VALU_DEP_1) | instskip(NEXT) | instid1(VALU_DEP_2)
	v_xor_b32_e32 v41, 0x80000000, v39
	v_mov_b32_e32 v40, v38
	ds_store_b64 v3, v[40:41]
.LBB137_75:                             ;   in Loop: Header=BB137_3 Depth=1
	s_or_b32 exec_lo, exec_lo, s10
	s_wait_loadcnt_dscnt 0x0
	s_barrier_signal -1
	s_barrier_wait -1
	s_and_saveexec_b32 s10, s91
	s_cbranch_execz .LBB137_77
; %bb.76:                               ;   in Loop: Header=BB137_3 Depth=1
	ds_load_b64 v[40:41], v1 offset:31712
	ds_load_b64 v[42:43], v3
	s_wait_dscnt 0x0
	v_fma_f64 v[38:39], -v[40:41], v[42:43], v[38:39]
.LBB137_77:                             ;   in Loop: Header=BB137_3 Depth=1
	s_or_b32 exec_lo, exec_lo, s10
	s_barrier_signal -1
	s_barrier_wait -1
	s_and_saveexec_b32 s10, s91
	s_cbranch_execz .LBB137_79
; %bb.78:                               ;   in Loop: Header=BB137_3 Depth=1
	ds_load_b64 v[40:41], v1 offset:31200
	s_wait_dscnt 0x0
	v_mul_f64_e32 v[38:39], v[38:39], v[40:41]
	s_delay_alu instid0(VALU_DEP_1) | instskip(NEXT) | instid1(VALU_DEP_2)
	v_xor_b32_e32 v41, 0x80000000, v39
	v_mov_b32_e32 v40, v38
	ds_store_b64 v3, v[40:41]
.LBB137_79:                             ;   in Loop: Header=BB137_3 Depth=1
	s_or_b32 exec_lo, exec_lo, s10
	s_wait_dscnt 0x0
	s_barrier_signal -1
	s_barrier_wait -1
	s_barrier_signal -1
	s_barrier_wait -1
	s_and_saveexec_b32 s10, s1
; %bb.80:                               ;   in Loop: Header=BB137_3 Depth=1
	ds_store_b64 v49, v[38:39] offset:32736
; %bb.81:                               ;   in Loop: Header=BB137_3 Depth=1
	s_or_b32 exec_lo, exec_lo, s10
	s_wait_dscnt 0x0
	s_barrier_signal -1
	s_barrier_wait -1
	s_barrier_signal -1
	s_barrier_wait -1
	s_and_saveexec_b32 s10, s92
	s_cbranch_execz .LBB137_83
; %bb.82:                               ;   in Loop: Header=BB137_3 Depth=1
	ds_load_b64 v[38:39], v50 offset:32224
	s_wait_dscnt 0x0
	ds_store_b64 v48, v[38:39] offset:31216
	ds_load_b64 v[38:39], v50 offset:32232
	s_wait_dscnt 0x0
	ds_store_b64 v48, v[38:39] offset:31728
.LBB137_83:                             ;   in Loop: Header=BB137_3 Depth=1
	s_or_b32 exec_lo, exec_lo, s10
	s_wait_dscnt 0x0
	s_barrier_signal -1
	s_barrier_wait -1
	s_and_saveexec_b32 s10, s14
	s_cbranch_execz .LBB137_85
; %bb.84:                               ;   in Loop: Header=BB137_3 Depth=1
	ds_load_b128 v[38:41], v1 offset:31712
	ds_load_b64 v[42:43], v1 offset:31200
	v_add_nc_u32_e64 v0, 0x7800, 0
	s_wait_dscnt 0x0
	v_mul_f64_e32 v[40:41], v[42:43], v[40:41]
	s_delay_alu instid0(VALU_DEP_1)
	v_mul_f64_e32 v[38:39], v[38:39], v[40:41]
	ds_store_2addr_b64 v0, v[38:39], v[38:39] offset0:61 offset1:124
.LBB137_85:                             ;   in Loop: Header=BB137_3 Depth=1
	s_or_b32 exec_lo, exec_lo, s10
	v_mov_b64_e32 v[38:39], 0
	s_wait_dscnt 0x0
	s_barrier_signal -1
	s_barrier_wait -1
	global_wb scope:SCOPE_DEV
	s_wait_storecnt 0x0
	global_inv scope:SCOPE_DEV
	s_and_saveexec_b32 s10, s3
	s_cbranch_execz .LBB137_91
; %bb.86:                               ;   in Loop: Header=BB137_3 Depth=1
	ds_load_b64 v[38:39], v53 offset:31168
	ds_load_b64 v[40:41], v52 offset:32736
	s_wait_dscnt 0x0
	v_fma_f64 v[38:39], v[38:39], v[40:41], 0
	s_and_saveexec_b32 s11, s16
	s_cbranch_execnz .LBB137_1099
; %bb.87:                               ;   in Loop: Header=BB137_3 Depth=1
	s_or_b32 exec_lo, exec_lo, s11
	s_and_saveexec_b32 s11, s17
	s_cbranch_execnz .LBB137_1100
.LBB137_88:                             ;   in Loop: Header=BB137_3 Depth=1
	s_or_b32 exec_lo, exec_lo, s11
	s_and_saveexec_b32 s11, s1
	s_cbranch_execz .LBB137_90
.LBB137_89:                             ;   in Loop: Header=BB137_3 Depth=1
	ds_load_b64 v[40:41], v54 offset:32704
	ds_load_b64 v[42:43], v1 offset:32760
	s_wait_dscnt 0x0
	v_fmac_f64_e32 v[38:39], v[40:41], v[42:43]
.LBB137_90:                             ;   in Loop: Header=BB137_3 Depth=1
	s_or_b32 exec_lo, exec_lo, s11
.LBB137_91:                             ;   in Loop: Header=BB137_3 Depth=1
	s_delay_alu instid0(SALU_CYCLE_1)
	s_or_b32 exec_lo, exec_lo, s10
	s_and_saveexec_b32 s10, s93
	s_cbranch_execz .LBB137_93
; %bb.92:                               ;   in Loop: Header=BB137_3 Depth=1
	ds_load_b64 v[40:41], v1 offset:30680
	s_wait_dscnt 0x0
	v_mul_f64_e32 v[38:39], v[38:39], v[40:41]
	s_delay_alu instid0(VALU_DEP_1) | instskip(NEXT) | instid1(VALU_DEP_2)
	v_xor_b32_e32 v41, 0x80000000, v39
	v_mov_b32_e32 v40, v38
	ds_store_b64 v51, v[40:41]
.LBB137_93:                             ;   in Loop: Header=BB137_3 Depth=1
	s_or_b32 exec_lo, exec_lo, s10
	s_wait_loadcnt_dscnt 0x0
	s_barrier_signal -1
	s_barrier_wait -1
	s_and_saveexec_b32 s10, s94
	s_cbranch_execz .LBB137_95
; %bb.94:                               ;   in Loop: Header=BB137_3 Depth=1
	ds_load_b64 v[40:41], v53 offset:30656
	ds_load_b64 v[42:43], v51
	s_wait_dscnt 0x0
	v_fma_f64 v[38:39], -v[40:41], v[42:43], v[38:39]
.LBB137_95:                             ;   in Loop: Header=BB137_3 Depth=1
	s_or_b32 exec_lo, exec_lo, s10
	s_barrier_signal -1
	s_barrier_wait -1
	s_and_saveexec_b32 s10, s95
	s_cbranch_execz .LBB137_97
; %bb.96:                               ;   in Loop: Header=BB137_3 Depth=1
	ds_load_b64 v[40:41], v1 offset:30160
	s_wait_dscnt 0x0
	v_mul_f64_e32 v[38:39], v[38:39], v[40:41]
	s_delay_alu instid0(VALU_DEP_1) | instskip(NEXT) | instid1(VALU_DEP_2)
	v_xor_b32_e32 v41, 0x80000000, v39
	v_mov_b32_e32 v40, v38
	ds_store_b64 v51, v[40:41]
.LBB137_97:                             ;   in Loop: Header=BB137_3 Depth=1
	s_or_b32 exec_lo, exec_lo, s10
	s_wait_dscnt 0x0
	s_barrier_signal -1
	s_barrier_wait -1
	s_and_saveexec_b32 s10, s96
	s_cbranch_execz .LBB137_99
; %bb.98:                               ;   in Loop: Header=BB137_3 Depth=1
	ds_load_b64 v[40:41], v53 offset:30144
	ds_load_b64 v[42:43], v51
	s_wait_dscnt 0x0
	v_fma_f64 v[38:39], -v[40:41], v[42:43], v[38:39]
.LBB137_99:                             ;   in Loop: Header=BB137_3 Depth=1
	s_or_b32 exec_lo, exec_lo, s10
	s_barrier_signal -1
	s_barrier_wait -1
	s_and_saveexec_b32 s10, s97
	s_cbranch_execz .LBB137_101
; %bb.100:                              ;   in Loop: Header=BB137_3 Depth=1
	ds_load_b64 v[40:41], v1 offset:29640
	s_wait_dscnt 0x0
	v_mul_f64_e32 v[38:39], v[38:39], v[40:41]
	s_delay_alu instid0(VALU_DEP_1) | instskip(NEXT) | instid1(VALU_DEP_2)
	v_xor_b32_e32 v41, 0x80000000, v39
	v_mov_b32_e32 v40, v38
	ds_store_b64 v51, v[40:41]
.LBB137_101:                            ;   in Loop: Header=BB137_3 Depth=1
	s_or_b32 exec_lo, exec_lo, s10
	s_wait_dscnt 0x0
	s_barrier_signal -1
	s_barrier_wait -1
	s_and_saveexec_b32 s10, s98
	s_cbranch_execz .LBB137_103
; %bb.102:                              ;   in Loop: Header=BB137_3 Depth=1
	ds_load_b64 v[40:41], v1 offset:29632
	ds_load_b64 v[42:43], v51
	s_wait_dscnt 0x0
	v_fma_f64 v[38:39], -v[40:41], v[42:43], v[38:39]
.LBB137_103:                            ;   in Loop: Header=BB137_3 Depth=1
	s_or_b32 exec_lo, exec_lo, s10
	s_barrier_signal -1
	s_barrier_wait -1
	s_and_saveexec_b32 s10, s98
	s_cbranch_execz .LBB137_105
; %bb.104:                              ;   in Loop: Header=BB137_3 Depth=1
	ds_load_b64 v[40:41], v1 offset:29120
	s_wait_dscnt 0x0
	v_mul_f64_e32 v[38:39], v[38:39], v[40:41]
	s_delay_alu instid0(VALU_DEP_1) | instskip(NEXT) | instid1(VALU_DEP_2)
	v_xor_b32_e32 v41, 0x80000000, v39
	v_mov_b32_e32 v40, v38
	ds_store_b64 v51, v[40:41]
.LBB137_105:                            ;   in Loop: Header=BB137_3 Depth=1
	s_or_b32 exec_lo, exec_lo, s10
	s_wait_dscnt 0x0
	s_barrier_signal -1
	s_barrier_wait -1
	s_barrier_signal -1
	s_barrier_wait -1
	s_and_saveexec_b32 s10, s3
; %bb.106:                              ;   in Loop: Header=BB137_3 Depth=1
	ds_store_b64 v55, v[38:39] offset:32704
; %bb.107:                              ;   in Loop: Header=BB137_3 Depth=1
	s_or_b32 exec_lo, exec_lo, s10
	s_wait_dscnt 0x0
	s_barrier_signal -1
	s_barrier_wait -1
	s_barrier_signal -1
	s_barrier_wait -1
	s_and_saveexec_b32 s10, s99
	s_cbranch_execz .LBB137_109
; %bb.108:                              ;   in Loop: Header=BB137_3 Depth=1
	ds_load_b64 v[38:39], v56 offset:31168
	s_wait_dscnt 0x0
	ds_store_b64 v5, v[38:39] offset:29152
	ds_load_b64 v[38:39], v56 offset:31176
	s_wait_dscnt 0x0
	ds_store_b64 v5, v[38:39] offset:29664
	;; [unrolled: 3-line block ×4, first 2 shown]
.LBB137_109:                            ;   in Loop: Header=BB137_3 Depth=1
	s_or_b32 exec_lo, exec_lo, s10
	s_wait_dscnt 0x0
	s_barrier_signal -1
	s_barrier_wait -1
	s_and_saveexec_b32 s10, s14
	s_cbranch_execz .LBB137_111
; %bb.110:                              ;   in Loop: Header=BB137_3 Depth=1
	ds_load_b128 v[38:41], v1 offset:30672
	ds_load_b64 v[42:43], v1 offset:30160
	v_add_nc_u32_e64 v0, 0x7000, 0
	s_wait_dscnt 0x0
	v_mul_f64_e32 v[40:41], v[42:43], v[40:41]
	s_delay_alu instid0(VALU_DEP_1)
	v_mul_f64_e32 v[38:39], v[38:39], v[40:41]
	ds_store_2addr_b64 v0, v[38:39], v[38:39] offset0:187 offset1:250
.LBB137_111:                            ;   in Loop: Header=BB137_3 Depth=1
	s_or_b32 exec_lo, exec_lo, s10
	v_mov_b64_e32 v[38:39], 0
	s_wait_dscnt 0x0
	s_barrier_signal -1
	s_barrier_wait -1
	global_wb scope:SCOPE_DEV
	s_wait_storecnt 0x0
	global_inv scope:SCOPE_DEV
	s_and_saveexec_b32 s10, s1
	s_cbranch_execz .LBB137_115
; %bb.112:                              ;   in Loop: Header=BB137_3 Depth=1
	ds_load_b64 v[38:39], v47 offset:30144
	ds_load_b64 v[40:41], v46 offset:30672
	s_wait_dscnt 0x0
	v_fma_f64 v[38:39], v[38:39], v[40:41], 0
	s_and_saveexec_b32 s11, s15
	s_cbranch_execz .LBB137_114
; %bb.113:                              ;   in Loop: Header=BB137_3 Depth=1
	ds_load_b64 v[40:41], v5 offset:30656
	ds_load_b64 v[42:43], v1 offset:30680
	s_wait_dscnt 0x0
	v_fmac_f64_e32 v[38:39], v[40:41], v[42:43]
.LBB137_114:                            ;   in Loop: Header=BB137_3 Depth=1
	s_or_b32 exec_lo, exec_lo, s11
.LBB137_115:                            ;   in Loop: Header=BB137_3 Depth=1
	s_delay_alu instid0(SALU_CYCLE_1)
	s_or_b32 exec_lo, exec_lo, s10
	s_and_saveexec_b32 s10, s90
	s_cbranch_execz .LBB137_117
; %bb.116:                              ;   in Loop: Header=BB137_3 Depth=1
	ds_load_b64 v[40:41], v1 offset:29640
	s_wait_dscnt 0x0
	v_mul_f64_e32 v[38:39], v[38:39], v[40:41]
	s_delay_alu instid0(VALU_DEP_1) | instskip(NEXT) | instid1(VALU_DEP_2)
	v_xor_b32_e32 v41, 0x80000000, v39
	v_mov_b32_e32 v40, v38
	ds_store_b64 v3, v[40:41]
.LBB137_117:                            ;   in Loop: Header=BB137_3 Depth=1
	s_or_b32 exec_lo, exec_lo, s10
	s_wait_loadcnt_dscnt 0x0
	s_barrier_signal -1
	s_barrier_wait -1
	s_and_saveexec_b32 s10, s91
	s_cbranch_execz .LBB137_119
; %bb.118:                              ;   in Loop: Header=BB137_3 Depth=1
	ds_load_b64 v[40:41], v1 offset:29632
	ds_load_b64 v[42:43], v3
	s_wait_dscnt 0x0
	v_fma_f64 v[38:39], -v[40:41], v[42:43], v[38:39]
.LBB137_119:                            ;   in Loop: Header=BB137_3 Depth=1
	s_or_b32 exec_lo, exec_lo, s10
	s_barrier_signal -1
	s_barrier_wait -1
	s_and_saveexec_b32 s10, s91
	s_cbranch_execz .LBB137_121
; %bb.120:                              ;   in Loop: Header=BB137_3 Depth=1
	ds_load_b64 v[40:41], v1 offset:29120
	s_wait_dscnt 0x0
	v_mul_f64_e32 v[38:39], v[38:39], v[40:41]
	s_delay_alu instid0(VALU_DEP_1) | instskip(NEXT) | instid1(VALU_DEP_2)
	v_xor_b32_e32 v41, 0x80000000, v39
	v_mov_b32_e32 v40, v38
	ds_store_b64 v3, v[40:41]
.LBB137_121:                            ;   in Loop: Header=BB137_3 Depth=1
	s_or_b32 exec_lo, exec_lo, s10
	s_wait_dscnt 0x0
	s_barrier_signal -1
	s_barrier_wait -1
	s_barrier_signal -1
	s_barrier_wait -1
	s_and_saveexec_b32 s10, s1
; %bb.122:                              ;   in Loop: Header=BB137_3 Depth=1
	ds_store_b64 v49, v[38:39] offset:30656
; %bb.123:                              ;   in Loop: Header=BB137_3 Depth=1
	s_or_b32 exec_lo, exec_lo, s10
	s_wait_dscnt 0x0
	s_barrier_signal -1
	s_barrier_wait -1
	s_barrier_signal -1
	s_barrier_wait -1
	s_and_saveexec_b32 s10, s92
	s_cbranch_execz .LBB137_125
; %bb.124:                              ;   in Loop: Header=BB137_3 Depth=1
	ds_load_b64 v[38:39], v71 offset:30144
	s_wait_dscnt 0x0
	ds_store_b64 v5, v[38:39] offset:29136
	ds_load_b64 v[38:39], v71 offset:30152
	s_wait_dscnt 0x0
	ds_store_b64 v5, v[38:39] offset:29648
.LBB137_125:                            ;   in Loop: Header=BB137_3 Depth=1
	s_or_b32 exec_lo, exec_lo, s10
	s_wait_dscnt 0x0
	s_barrier_signal -1
	s_barrier_wait -1
	s_and_saveexec_b32 s10, s14
	s_cbranch_execz .LBB137_127
; %bb.126:                              ;   in Loop: Header=BB137_3 Depth=1
	ds_load_b128 v[38:41], v1 offset:29632
	ds_load_b64 v[42:43], v1 offset:29120
	v_add_nc_u32_e64 v0, 0x7000, 0
	s_wait_dscnt 0x0
	v_mul_f64_e32 v[40:41], v[42:43], v[40:41]
	s_delay_alu instid0(VALU_DEP_1)
	v_mul_f64_e32 v[38:39], v[38:39], v[40:41]
	ds_store_2addr_b64 v0, v[38:39], v[38:39] offset0:57 offset1:120
.LBB137_127:                            ;   in Loop: Header=BB137_3 Depth=1
	s_or_b32 exec_lo, exec_lo, s10
	v_mov_b64_e32 v[38:39], 0
	s_wait_dscnt 0x0
	s_barrier_signal -1
	s_barrier_wait -1
	global_wb scope:SCOPE_DEV
	s_wait_storecnt 0x0
	global_inv scope:SCOPE_DEV
	s_and_saveexec_b32 s10, s4
	s_cbranch_execz .LBB137_137
; %bb.128:                              ;   in Loop: Header=BB137_3 Depth=1
	ds_load_b64 v[38:39], v59 offset:29056
	ds_load_b64 v[40:41], v58 offset:32704
	s_wait_dscnt 0x0
	v_fma_f64 v[38:39], v[38:39], v[40:41], 0
	s_and_saveexec_b32 s11, s18
	s_cbranch_execnz .LBB137_1101
; %bb.129:                              ;   in Loop: Header=BB137_3 Depth=1
	s_or_b32 exec_lo, exec_lo, s11
	s_and_saveexec_b32 s11, s19
	s_cbranch_execnz .LBB137_1102
.LBB137_130:                            ;   in Loop: Header=BB137_3 Depth=1
	s_or_b32 exec_lo, exec_lo, s11
	s_and_saveexec_b32 s11, s20
	s_cbranch_execnz .LBB137_1103
.LBB137_131:                            ;   in Loop: Header=BB137_3 Depth=1
	s_or_b32 exec_lo, exec_lo, s11
	s_and_saveexec_b32 s11, s21
	s_cbranch_execnz .LBB137_1104
.LBB137_132:                            ;   in Loop: Header=BB137_3 Depth=1
	s_or_b32 exec_lo, exec_lo, s11
	s_and_saveexec_b32 s11, s22
	s_cbranch_execnz .LBB137_1105
.LBB137_133:                            ;   in Loop: Header=BB137_3 Depth=1
	s_or_b32 exec_lo, exec_lo, s11
	s_and_saveexec_b32 s11, s3
	s_cbranch_execnz .LBB137_1106
.LBB137_134:                            ;   in Loop: Header=BB137_3 Depth=1
	s_or_b32 exec_lo, exec_lo, s11
	s_and_saveexec_b32 s11, s17
	s_cbranch_execz .LBB137_136
.LBB137_135:                            ;   in Loop: Header=BB137_3 Depth=1
	ds_load_b64 v[40:41], v72 offset:32640
	ds_load_b64 v[42:43], v1 offset:32760
	s_wait_dscnt 0x0
	v_fmac_f64_e32 v[38:39], v[40:41], v[42:43]
.LBB137_136:                            ;   in Loop: Header=BB137_3 Depth=1
	s_or_b32 exec_lo, exec_lo, s11
.LBB137_137:                            ;   in Loop: Header=BB137_3 Depth=1
	s_delay_alu instid0(SALU_CYCLE_1)
	s_or_b32 exec_lo, exec_lo, s10
	s_and_saveexec_b32 s10, s100
	s_cbranch_execz .LBB137_139
; %bb.138:                              ;   in Loop: Header=BB137_3 Depth=1
	ds_load_b64 v[40:41], v1 offset:28600
	s_wait_dscnt 0x0
	v_mul_f64_e32 v[38:39], v[38:39], v[40:41]
	s_delay_alu instid0(VALU_DEP_1) | instskip(NEXT) | instid1(VALU_DEP_2)
	v_xor_b32_e32 v41, 0x80000000, v39
	v_mov_b32_e32 v40, v38
	ds_store_b64 v57, v[40:41]
.LBB137_139:                            ;   in Loop: Header=BB137_3 Depth=1
	s_or_b32 exec_lo, exec_lo, s10
	s_wait_loadcnt_dscnt 0x0
	s_barrier_signal -1
	s_barrier_wait -1
	s_and_saveexec_b32 s10, s101
	s_cbranch_execz .LBB137_141
; %bb.140:                              ;   in Loop: Header=BB137_3 Depth=1
	ds_load_b64 v[40:41], v59 offset:28544
	ds_load_b64 v[42:43], v57
	s_wait_dscnt 0x0
	v_fma_f64 v[38:39], -v[40:41], v[42:43], v[38:39]
.LBB137_141:                            ;   in Loop: Header=BB137_3 Depth=1
	s_or_b32 exec_lo, exec_lo, s10
	s_barrier_signal -1
	s_barrier_wait -1
	s_and_saveexec_b32 s10, s102
	s_cbranch_execz .LBB137_143
; %bb.142:                              ;   in Loop: Header=BB137_3 Depth=1
	ds_load_b64 v[40:41], v1 offset:28080
	s_wait_dscnt 0x0
	v_mul_f64_e32 v[38:39], v[38:39], v[40:41]
	s_delay_alu instid0(VALU_DEP_1) | instskip(NEXT) | instid1(VALU_DEP_2)
	v_xor_b32_e32 v41, 0x80000000, v39
	v_mov_b32_e32 v40, v38
	ds_store_b64 v57, v[40:41]
.LBB137_143:                            ;   in Loop: Header=BB137_3 Depth=1
	s_or_b32 exec_lo, exec_lo, s10
	s_wait_dscnt 0x0
	s_barrier_signal -1
	s_barrier_wait -1
	s_and_saveexec_b32 s10, s103
	s_cbranch_execz .LBB137_145
; %bb.144:                              ;   in Loop: Header=BB137_3 Depth=1
	ds_load_b64 v[40:41], v59 offset:28032
	ds_load_b64 v[42:43], v57
	s_wait_dscnt 0x0
	v_fma_f64 v[38:39], -v[40:41], v[42:43], v[38:39]
.LBB137_145:                            ;   in Loop: Header=BB137_3 Depth=1
	s_or_b32 exec_lo, exec_lo, s10
	s_barrier_signal -1
	s_barrier_wait -1
	s_and_saveexec_b32 s10, s104
	s_cbranch_execz .LBB137_147
; %bb.146:                              ;   in Loop: Header=BB137_3 Depth=1
	ds_load_b64 v[40:41], v1 offset:27560
	s_wait_dscnt 0x0
	v_mul_f64_e32 v[38:39], v[38:39], v[40:41]
	s_delay_alu instid0(VALU_DEP_1) | instskip(NEXT) | instid1(VALU_DEP_2)
	v_xor_b32_e32 v41, 0x80000000, v39
	v_mov_b32_e32 v40, v38
	ds_store_b64 v57, v[40:41]
.LBB137_147:                            ;   in Loop: Header=BB137_3 Depth=1
	s_or_b32 exec_lo, exec_lo, s10
	s_wait_dscnt 0x0
	s_barrier_signal -1
	s_barrier_wait -1
	s_and_saveexec_b32 s10, vcc_hi
	s_cbranch_execz .LBB137_149
; %bb.148:                              ;   in Loop: Header=BB137_3 Depth=1
	ds_load_b64 v[40:41], v59 offset:27520
	ds_load_b64 v[42:43], v57
	s_wait_dscnt 0x0
	v_fma_f64 v[38:39], -v[40:41], v[42:43], v[38:39]
.LBB137_149:                            ;   in Loop: Header=BB137_3 Depth=1
	s_or_b32 exec_lo, exec_lo, s10
	s_barrier_signal -1
	s_barrier_wait -1
	s_and_saveexec_b32 s10, s36
	s_cbranch_execz .LBB137_151
; %bb.150:                              ;   in Loop: Header=BB137_3 Depth=1
	ds_load_b64 v[40:41], v1 offset:27040
	s_wait_dscnt 0x0
	v_mul_f64_e32 v[38:39], v[38:39], v[40:41]
	s_delay_alu instid0(VALU_DEP_1) | instskip(NEXT) | instid1(VALU_DEP_2)
	v_xor_b32_e32 v41, 0x80000000, v39
	v_mov_b32_e32 v40, v38
	ds_store_b64 v57, v[40:41]
.LBB137_151:                            ;   in Loop: Header=BB137_3 Depth=1
	s_or_b32 exec_lo, exec_lo, s10
	s_wait_dscnt 0x0
	s_barrier_signal -1
	s_barrier_wait -1
	s_and_saveexec_b32 s10, s37
	s_cbranch_execz .LBB137_153
; %bb.152:                              ;   in Loop: Header=BB137_3 Depth=1
	ds_load_b64 v[40:41], v59 offset:27008
	ds_load_b64 v[42:43], v57
	s_wait_dscnt 0x0
	v_fma_f64 v[38:39], -v[40:41], v[42:43], v[38:39]
.LBB137_153:                            ;   in Loop: Header=BB137_3 Depth=1
	s_or_b32 exec_lo, exec_lo, s10
	s_barrier_signal -1
	s_barrier_wait -1
	s_and_saveexec_b32 s10, s38
	s_cbranch_execz .LBB137_155
; %bb.154:                              ;   in Loop: Header=BB137_3 Depth=1
	ds_load_b64 v[40:41], v1 offset:26520
	s_wait_dscnt 0x0
	v_mul_f64_e32 v[38:39], v[38:39], v[40:41]
	s_delay_alu instid0(VALU_DEP_1) | instskip(NEXT) | instid1(VALU_DEP_2)
	v_xor_b32_e32 v41, 0x80000000, v39
	v_mov_b32_e32 v40, v38
	ds_store_b64 v57, v[40:41]
.LBB137_155:                            ;   in Loop: Header=BB137_3 Depth=1
	s_or_b32 exec_lo, exec_lo, s10
	s_wait_dscnt 0x0
	s_barrier_signal -1
	s_barrier_wait -1
	s_and_saveexec_b32 s10, s39
	;; [unrolled: 26-line block ×4, first 2 shown]
	s_cbranch_execz .LBB137_165
; %bb.164:                              ;   in Loop: Header=BB137_3 Depth=1
	ds_load_b64 v[40:41], v1 offset:25472
	ds_load_b64 v[42:43], v57
	s_wait_dscnt 0x0
	v_fma_f64 v[38:39], -v[40:41], v[42:43], v[38:39]
.LBB137_165:                            ;   in Loop: Header=BB137_3 Depth=1
	s_or_b32 exec_lo, exec_lo, s10
	s_barrier_signal -1
	s_barrier_wait -1
	s_and_saveexec_b32 s10, s43
	s_cbranch_execz .LBB137_167
; %bb.166:                              ;   in Loop: Header=BB137_3 Depth=1
	ds_load_b64 v[40:41], v1 offset:24960
	s_wait_dscnt 0x0
	v_mul_f64_e32 v[38:39], v[38:39], v[40:41]
	s_delay_alu instid0(VALU_DEP_1) | instskip(NEXT) | instid1(VALU_DEP_2)
	v_xor_b32_e32 v41, 0x80000000, v39
	v_mov_b32_e32 v40, v38
	ds_store_b64 v57, v[40:41]
.LBB137_167:                            ;   in Loop: Header=BB137_3 Depth=1
	s_or_b32 exec_lo, exec_lo, s10
	s_wait_dscnt 0x0
	s_barrier_signal -1
	s_barrier_wait -1
	s_barrier_signal -1
	s_barrier_wait -1
	s_and_saveexec_b32 s10, s4
; %bb.168:                              ;   in Loop: Header=BB137_3 Depth=1
	ds_store_b64 v60, v[38:39] offset:32640
; %bb.169:                              ;   in Loop: Header=BB137_3 Depth=1
	s_or_b32 exec_lo, exec_lo, s10
	s_wait_dscnt 0x0
	s_barrier_signal -1
	s_barrier_wait -1
	s_barrier_signal -1
	s_barrier_wait -1
	s_and_saveexec_b32 s10, s44
	s_cbranch_execz .LBB137_171
; %bb.170:                              ;   in Loop: Header=BB137_3 Depth=1
	ds_load_b64 v[38:39], v74 offset:29056
	s_wait_dscnt 0x0
	ds_store_b64 v75, v[38:39] offset:25024
	ds_load_b64 v[38:39], v74 offset:29064
	s_wait_dscnt 0x0
	ds_store_b64 v75, v[38:39] offset:25536
	;; [unrolled: 3-line block ×8, first 2 shown]
.LBB137_171:                            ;   in Loop: Header=BB137_3 Depth=1
	s_or_b32 exec_lo, exec_lo, s10
	s_wait_dscnt 0x0
	s_barrier_signal -1
	s_barrier_wait -1
	s_and_saveexec_b32 s10, s14
	s_cbranch_execz .LBB137_173
; %bb.172:                              ;   in Loop: Header=BB137_3 Depth=1
	ds_load_b128 v[38:41], v1 offset:28592
	ds_load_b64 v[42:43], v1 offset:28080
	v_add_nc_u32_e64 v0, 0x6800, 0
	s_wait_dscnt 0x0
	v_mul_f64_e32 v[40:41], v[42:43], v[40:41]
	s_delay_alu instid0(VALU_DEP_1)
	v_mul_f64_e32 v[38:39], v[38:39], v[40:41]
	ds_store_2addr_b64 v0, v[38:39], v[38:39] offset0:183 offset1:246
.LBB137_173:                            ;   in Loop: Header=BB137_3 Depth=1
	s_or_b32 exec_lo, exec_lo, s10
	v_mov_b64_e32 v[38:39], 0
	s_wait_dscnt 0x0
	s_barrier_signal -1
	s_barrier_wait -1
	global_wb scope:SCOPE_DEV
	s_wait_storecnt 0x0
	global_inv scope:SCOPE_DEV
	s_and_saveexec_b32 s10, s1
	s_cbranch_execz .LBB137_177
; %bb.174:                              ;   in Loop: Header=BB137_3 Depth=1
	ds_load_b64 v[38:39], v47 offset:28064
	ds_load_b64 v[40:41], v46 offset:28592
	s_wait_dscnt 0x0
	v_fma_f64 v[38:39], v[38:39], v[40:41], 0
	s_and_saveexec_b32 s11, s15
	s_cbranch_execz .LBB137_176
; %bb.175:                              ;   in Loop: Header=BB137_3 Depth=1
	ds_load_b64 v[40:41], v75 offset:28576
	ds_load_b64 v[42:43], v1 offset:28600
	s_wait_dscnt 0x0
	v_fmac_f64_e32 v[38:39], v[40:41], v[42:43]
.LBB137_176:                            ;   in Loop: Header=BB137_3 Depth=1
	s_or_b32 exec_lo, exec_lo, s11
.LBB137_177:                            ;   in Loop: Header=BB137_3 Depth=1
	s_delay_alu instid0(SALU_CYCLE_1)
	s_or_b32 exec_lo, exec_lo, s10
	s_and_saveexec_b32 s10, s90
	s_cbranch_execz .LBB137_179
; %bb.178:                              ;   in Loop: Header=BB137_3 Depth=1
	ds_load_b64 v[40:41], v1 offset:27560
	s_wait_dscnt 0x0
	v_mul_f64_e32 v[38:39], v[38:39], v[40:41]
	s_delay_alu instid0(VALU_DEP_1) | instskip(NEXT) | instid1(VALU_DEP_2)
	v_xor_b32_e32 v41, 0x80000000, v39
	v_mov_b32_e32 v40, v38
	ds_store_b64 v3, v[40:41]
.LBB137_179:                            ;   in Loop: Header=BB137_3 Depth=1
	s_or_b32 exec_lo, exec_lo, s10
	s_wait_loadcnt_dscnt 0x0
	s_barrier_signal -1
	s_barrier_wait -1
	s_and_saveexec_b32 s10, s91
	s_cbranch_execz .LBB137_181
; %bb.180:                              ;   in Loop: Header=BB137_3 Depth=1
	ds_load_b64 v[40:41], v1 offset:27552
	ds_load_b64 v[42:43], v3
	s_wait_dscnt 0x0
	v_fma_f64 v[38:39], -v[40:41], v[42:43], v[38:39]
.LBB137_181:                            ;   in Loop: Header=BB137_3 Depth=1
	s_or_b32 exec_lo, exec_lo, s10
	s_barrier_signal -1
	s_barrier_wait -1
	s_and_saveexec_b32 s10, s91
	s_cbranch_execz .LBB137_183
; %bb.182:                              ;   in Loop: Header=BB137_3 Depth=1
	ds_load_b64 v[40:41], v1 offset:27040
	s_wait_dscnt 0x0
	v_mul_f64_e32 v[38:39], v[38:39], v[40:41]
	s_delay_alu instid0(VALU_DEP_1) | instskip(NEXT) | instid1(VALU_DEP_2)
	v_xor_b32_e32 v41, 0x80000000, v39
	v_mov_b32_e32 v40, v38
	ds_store_b64 v3, v[40:41]
.LBB137_183:                            ;   in Loop: Header=BB137_3 Depth=1
	s_or_b32 exec_lo, exec_lo, s10
	s_wait_dscnt 0x0
	s_barrier_signal -1
	s_barrier_wait -1
	s_barrier_signal -1
	s_barrier_wait -1
	s_and_saveexec_b32 s10, s1
; %bb.184:                              ;   in Loop: Header=BB137_3 Depth=1
	ds_store_b64 v49, v[38:39] offset:28576
; %bb.185:                              ;   in Loop: Header=BB137_3 Depth=1
	s_or_b32 exec_lo, exec_lo, s10
	s_wait_dscnt 0x0
	s_barrier_signal -1
	s_barrier_wait -1
	s_barrier_signal -1
	s_barrier_wait -1
	s_and_saveexec_b32 s10, s92
	s_cbranch_execz .LBB137_187
; %bb.186:                              ;   in Loop: Header=BB137_3 Depth=1
	ds_load_b64 v[38:39], v76 offset:28064
	s_wait_dscnt 0x0
	ds_store_b64 v75, v[38:39] offset:27056
	ds_load_b64 v[38:39], v76 offset:28072
	s_wait_dscnt 0x0
	ds_store_b64 v75, v[38:39] offset:27568
.LBB137_187:                            ;   in Loop: Header=BB137_3 Depth=1
	s_or_b32 exec_lo, exec_lo, s10
	s_wait_dscnt 0x0
	s_barrier_signal -1
	s_barrier_wait -1
	s_and_saveexec_b32 s10, s14
	s_cbranch_execz .LBB137_189
; %bb.188:                              ;   in Loop: Header=BB137_3 Depth=1
	ds_load_b128 v[38:41], v1 offset:27552
	ds_load_b64 v[42:43], v1 offset:27040
	v_add_nc_u32_e64 v0, 0x6800, 0
	s_wait_dscnt 0x0
	v_mul_f64_e32 v[40:41], v[42:43], v[40:41]
	s_delay_alu instid0(VALU_DEP_1)
	v_mul_f64_e32 v[38:39], v[38:39], v[40:41]
	ds_store_2addr_b64 v0, v[38:39], v[38:39] offset0:53 offset1:116
.LBB137_189:                            ;   in Loop: Header=BB137_3 Depth=1
	s_or_b32 exec_lo, exec_lo, s10
	v_mov_b64_e32 v[38:39], 0
	s_wait_dscnt 0x0
	s_barrier_signal -1
	s_barrier_wait -1
	global_wb scope:SCOPE_DEV
	s_wait_storecnt 0x0
	global_inv scope:SCOPE_DEV
	s_and_saveexec_b32 s10, s3
	s_cbranch_execz .LBB137_195
; %bb.190:                              ;   in Loop: Header=BB137_3 Depth=1
	ds_load_b64 v[38:39], v53 offset:27008
	ds_load_b64 v[40:41], v52 offset:28576
	s_wait_dscnt 0x0
	v_fma_f64 v[38:39], v[38:39], v[40:41], 0
	s_and_saveexec_b32 s11, s16
	s_cbranch_execnz .LBB137_1107
; %bb.191:                              ;   in Loop: Header=BB137_3 Depth=1
	s_or_b32 exec_lo, exec_lo, s11
	s_and_saveexec_b32 s11, s17
	s_cbranch_execnz .LBB137_1108
.LBB137_192:                            ;   in Loop: Header=BB137_3 Depth=1
	s_or_b32 exec_lo, exec_lo, s11
	s_and_saveexec_b32 s11, s1
	s_cbranch_execz .LBB137_194
.LBB137_193:                            ;   in Loop: Header=BB137_3 Depth=1
	ds_load_b64 v[40:41], v78 offset:28544
	ds_load_b64 v[42:43], v1 offset:28600
	s_wait_dscnt 0x0
	v_fmac_f64_e32 v[38:39], v[40:41], v[42:43]
.LBB137_194:                            ;   in Loop: Header=BB137_3 Depth=1
	s_or_b32 exec_lo, exec_lo, s11
.LBB137_195:                            ;   in Loop: Header=BB137_3 Depth=1
	s_delay_alu instid0(SALU_CYCLE_1)
	s_or_b32 exec_lo, exec_lo, s10
	s_and_saveexec_b32 s10, s93
	s_cbranch_execz .LBB137_197
; %bb.196:                              ;   in Loop: Header=BB137_3 Depth=1
	ds_load_b64 v[40:41], v1 offset:26520
	s_wait_dscnt 0x0
	v_mul_f64_e32 v[38:39], v[38:39], v[40:41]
	s_delay_alu instid0(VALU_DEP_1) | instskip(NEXT) | instid1(VALU_DEP_2)
	v_xor_b32_e32 v41, 0x80000000, v39
	v_mov_b32_e32 v40, v38
	ds_store_b64 v51, v[40:41]
.LBB137_197:                            ;   in Loop: Header=BB137_3 Depth=1
	s_or_b32 exec_lo, exec_lo, s10
	s_wait_loadcnt_dscnt 0x0
	s_barrier_signal -1
	s_barrier_wait -1
	s_and_saveexec_b32 s10, s94
	s_cbranch_execz .LBB137_199
; %bb.198:                              ;   in Loop: Header=BB137_3 Depth=1
	ds_load_b64 v[40:41], v53 offset:26496
	ds_load_b64 v[42:43], v51
	s_wait_dscnt 0x0
	v_fma_f64 v[38:39], -v[40:41], v[42:43], v[38:39]
.LBB137_199:                            ;   in Loop: Header=BB137_3 Depth=1
	s_or_b32 exec_lo, exec_lo, s10
	s_barrier_signal -1
	s_barrier_wait -1
	s_and_saveexec_b32 s10, s95
	s_cbranch_execz .LBB137_201
; %bb.200:                              ;   in Loop: Header=BB137_3 Depth=1
	ds_load_b64 v[40:41], v1 offset:26000
	s_wait_dscnt 0x0
	v_mul_f64_e32 v[38:39], v[38:39], v[40:41]
	s_delay_alu instid0(VALU_DEP_1) | instskip(NEXT) | instid1(VALU_DEP_2)
	v_xor_b32_e32 v41, 0x80000000, v39
	v_mov_b32_e32 v40, v38
	ds_store_b64 v51, v[40:41]
.LBB137_201:                            ;   in Loop: Header=BB137_3 Depth=1
	s_or_b32 exec_lo, exec_lo, s10
	s_wait_dscnt 0x0
	s_barrier_signal -1
	s_barrier_wait -1
	s_and_saveexec_b32 s10, s96
	s_cbranch_execz .LBB137_203
; %bb.202:                              ;   in Loop: Header=BB137_3 Depth=1
	ds_load_b64 v[40:41], v53 offset:25984
	ds_load_b64 v[42:43], v51
	s_wait_dscnt 0x0
	v_fma_f64 v[38:39], -v[40:41], v[42:43], v[38:39]
.LBB137_203:                            ;   in Loop: Header=BB137_3 Depth=1
	s_or_b32 exec_lo, exec_lo, s10
	s_barrier_signal -1
	s_barrier_wait -1
	s_and_saveexec_b32 s10, s97
	s_cbranch_execz .LBB137_205
; %bb.204:                              ;   in Loop: Header=BB137_3 Depth=1
	ds_load_b64 v[40:41], v1 offset:25480
	s_wait_dscnt 0x0
	v_mul_f64_e32 v[38:39], v[38:39], v[40:41]
	s_delay_alu instid0(VALU_DEP_1) | instskip(NEXT) | instid1(VALU_DEP_2)
	v_xor_b32_e32 v41, 0x80000000, v39
	v_mov_b32_e32 v40, v38
	ds_store_b64 v51, v[40:41]
.LBB137_205:                            ;   in Loop: Header=BB137_3 Depth=1
	s_or_b32 exec_lo, exec_lo, s10
	s_wait_dscnt 0x0
	s_barrier_signal -1
	s_barrier_wait -1
	s_and_saveexec_b32 s10, s98
	s_cbranch_execz .LBB137_207
; %bb.206:                              ;   in Loop: Header=BB137_3 Depth=1
	ds_load_b64 v[40:41], v1 offset:25472
	ds_load_b64 v[42:43], v51
	s_wait_dscnt 0x0
	v_fma_f64 v[38:39], -v[40:41], v[42:43], v[38:39]
.LBB137_207:                            ;   in Loop: Header=BB137_3 Depth=1
	s_or_b32 exec_lo, exec_lo, s10
	s_barrier_signal -1
	s_barrier_wait -1
	s_and_saveexec_b32 s10, s98
	s_cbranch_execz .LBB137_209
; %bb.208:                              ;   in Loop: Header=BB137_3 Depth=1
	ds_load_b64 v[40:41], v1 offset:24960
	s_wait_dscnt 0x0
	v_mul_f64_e32 v[38:39], v[38:39], v[40:41]
	s_delay_alu instid0(VALU_DEP_1) | instskip(NEXT) | instid1(VALU_DEP_2)
	v_xor_b32_e32 v41, 0x80000000, v39
	v_mov_b32_e32 v40, v38
	ds_store_b64 v51, v[40:41]
.LBB137_209:                            ;   in Loop: Header=BB137_3 Depth=1
	s_or_b32 exec_lo, exec_lo, s10
	s_wait_dscnt 0x0
	s_barrier_signal -1
	s_barrier_wait -1
	s_barrier_signal -1
	s_barrier_wait -1
	s_and_saveexec_b32 s10, s3
; %bb.210:                              ;   in Loop: Header=BB137_3 Depth=1
	ds_store_b64 v55, v[38:39] offset:28544
; %bb.211:                              ;   in Loop: Header=BB137_3 Depth=1
	s_or_b32 exec_lo, exec_lo, s10
	s_wait_dscnt 0x0
	s_barrier_signal -1
	s_barrier_wait -1
	s_barrier_signal -1
	s_barrier_wait -1
	s_and_saveexec_b32 s10, s99
	s_cbranch_execz .LBB137_213
; %bb.212:                              ;   in Loop: Header=BB137_3 Depth=1
	ds_load_b64 v[38:39], v80 offset:27008
	s_wait_dscnt 0x0
	ds_store_b64 v83, v[38:39] offset:24992
	ds_load_b64 v[38:39], v80 offset:27016
	s_wait_dscnt 0x0
	ds_store_b64 v83, v[38:39] offset:25504
	;; [unrolled: 3-line block ×4, first 2 shown]
.LBB137_213:                            ;   in Loop: Header=BB137_3 Depth=1
	s_or_b32 exec_lo, exec_lo, s10
	s_wait_dscnt 0x0
	s_barrier_signal -1
	s_barrier_wait -1
	s_and_saveexec_b32 s10, s14
	s_cbranch_execz .LBB137_215
; %bb.214:                              ;   in Loop: Header=BB137_3 Depth=1
	ds_load_b128 v[38:41], v1 offset:26512
	ds_load_b64 v[42:43], v1 offset:26000
	v_add_nc_u32_e64 v0, 0x6000, 0
	s_wait_dscnt 0x0
	v_mul_f64_e32 v[40:41], v[42:43], v[40:41]
	s_delay_alu instid0(VALU_DEP_1)
	v_mul_f64_e32 v[38:39], v[38:39], v[40:41]
	ds_store_2addr_b64 v0, v[38:39], v[38:39] offset0:179 offset1:242
.LBB137_215:                            ;   in Loop: Header=BB137_3 Depth=1
	s_or_b32 exec_lo, exec_lo, s10
	v_mov_b64_e32 v[38:39], 0
	s_wait_dscnt 0x0
	s_barrier_signal -1
	s_barrier_wait -1
	global_wb scope:SCOPE_DEV
	s_wait_storecnt 0x0
	global_inv scope:SCOPE_DEV
	s_and_saveexec_b32 s10, s1
	s_cbranch_execz .LBB137_219
; %bb.216:                              ;   in Loop: Header=BB137_3 Depth=1
	ds_load_b64 v[38:39], v47 offset:25984
	ds_load_b64 v[40:41], v46 offset:26512
	s_wait_dscnt 0x0
	v_fma_f64 v[38:39], v[38:39], v[40:41], 0
	s_and_saveexec_b32 s11, s15
	s_cbranch_execz .LBB137_218
; %bb.217:                              ;   in Loop: Header=BB137_3 Depth=1
	ds_load_b64 v[40:41], v83 offset:26496
	ds_load_b64 v[42:43], v1 offset:26520
	s_wait_dscnt 0x0
	v_fmac_f64_e32 v[38:39], v[40:41], v[42:43]
.LBB137_218:                            ;   in Loop: Header=BB137_3 Depth=1
	s_or_b32 exec_lo, exec_lo, s11
.LBB137_219:                            ;   in Loop: Header=BB137_3 Depth=1
	s_delay_alu instid0(SALU_CYCLE_1)
	s_or_b32 exec_lo, exec_lo, s10
	s_and_saveexec_b32 s10, s90
	s_cbranch_execz .LBB137_221
; %bb.220:                              ;   in Loop: Header=BB137_3 Depth=1
	ds_load_b64 v[40:41], v1 offset:25480
	s_wait_dscnt 0x0
	v_mul_f64_e32 v[38:39], v[38:39], v[40:41]
	s_delay_alu instid0(VALU_DEP_1) | instskip(NEXT) | instid1(VALU_DEP_2)
	v_xor_b32_e32 v41, 0x80000000, v39
	v_mov_b32_e32 v40, v38
	ds_store_b64 v3, v[40:41]
.LBB137_221:                            ;   in Loop: Header=BB137_3 Depth=1
	s_or_b32 exec_lo, exec_lo, s10
	s_wait_loadcnt_dscnt 0x0
	s_barrier_signal -1
	s_barrier_wait -1
	s_and_saveexec_b32 s10, s91
	s_cbranch_execz .LBB137_223
; %bb.222:                              ;   in Loop: Header=BB137_3 Depth=1
	ds_load_b64 v[40:41], v1 offset:25472
	ds_load_b64 v[42:43], v3
	s_wait_dscnt 0x0
	v_fma_f64 v[38:39], -v[40:41], v[42:43], v[38:39]
.LBB137_223:                            ;   in Loop: Header=BB137_3 Depth=1
	s_or_b32 exec_lo, exec_lo, s10
	s_barrier_signal -1
	s_barrier_wait -1
	s_and_saveexec_b32 s10, s91
	s_cbranch_execz .LBB137_225
; %bb.224:                              ;   in Loop: Header=BB137_3 Depth=1
	ds_load_b64 v[40:41], v1 offset:24960
	s_wait_dscnt 0x0
	v_mul_f64_e32 v[38:39], v[38:39], v[40:41]
	s_delay_alu instid0(VALU_DEP_1) | instskip(NEXT) | instid1(VALU_DEP_2)
	v_xor_b32_e32 v41, 0x80000000, v39
	v_mov_b32_e32 v40, v38
	ds_store_b64 v3, v[40:41]
.LBB137_225:                            ;   in Loop: Header=BB137_3 Depth=1
	s_or_b32 exec_lo, exec_lo, s10
	s_wait_dscnt 0x0
	s_barrier_signal -1
	s_barrier_wait -1
	s_barrier_signal -1
	s_barrier_wait -1
	s_and_saveexec_b32 s10, s1
; %bb.226:                              ;   in Loop: Header=BB137_3 Depth=1
	ds_store_b64 v49, v[38:39] offset:26496
; %bb.227:                              ;   in Loop: Header=BB137_3 Depth=1
	s_or_b32 exec_lo, exec_lo, s10
	s_wait_dscnt 0x0
	s_barrier_signal -1
	s_barrier_wait -1
	s_barrier_signal -1
	s_barrier_wait -1
	s_and_saveexec_b32 s10, s92
	s_cbranch_execz .LBB137_229
; %bb.228:                              ;   in Loop: Header=BB137_3 Depth=1
	ds_load_b64 v[38:39], v85 offset:25984
	s_wait_dscnt 0x0
	ds_store_b64 v83, v[38:39] offset:24976
	ds_load_b64 v[38:39], v85 offset:25992
	s_wait_dscnt 0x0
	ds_store_b64 v83, v[38:39] offset:25488
.LBB137_229:                            ;   in Loop: Header=BB137_3 Depth=1
	s_or_b32 exec_lo, exec_lo, s10
	s_wait_dscnt 0x0
	s_barrier_signal -1
	s_barrier_wait -1
	s_and_saveexec_b32 s10, s14
	s_cbranch_execz .LBB137_231
; %bb.230:                              ;   in Loop: Header=BB137_3 Depth=1
	ds_load_b128 v[38:41], v1 offset:25472
	ds_load_b64 v[42:43], v1 offset:24960
	v_add_nc_u32_e64 v0, 0x6000, 0
	s_wait_dscnt 0x0
	v_mul_f64_e32 v[40:41], v[42:43], v[40:41]
	s_delay_alu instid0(VALU_DEP_1)
	v_mul_f64_e32 v[38:39], v[38:39], v[40:41]
	ds_store_2addr_b64 v0, v[38:39], v[38:39] offset0:49 offset1:112
.LBB137_231:                            ;   in Loop: Header=BB137_3 Depth=1
	s_or_b32 exec_lo, exec_lo, s10
	v_mov_b64_e32 v[38:39], 0
	s_wait_dscnt 0x0
	s_barrier_signal -1
	s_barrier_wait -1
	global_wb scope:SCOPE_DEV
	s_wait_storecnt 0x0
	global_inv scope:SCOPE_DEV
	s_and_saveexec_b32 s65, s5
	s_cbranch_execz .LBB137_259
; %bb.232:                              ;   in Loop: Header=BB137_3 Depth=1
	ds_load_b64 v[38:39], v63 offset:24832
	ds_load_b64 v[40:41], v62 offset:32640
	s_wait_dscnt 0x0
	v_fma_f64 v[38:39], v[38:39], v[40:41], 0
	s_mov_b32 s10, exec_lo
	v_readlane_b32 s11, v101, 23
	s_and_b32 s11, s10, s11
	s_delay_alu instid0(SALU_CYCLE_1)
	s_mov_b32 exec_lo, s11
	s_cbranch_execz .LBB137_234
; %bb.233:                              ;   in Loop: Header=BB137_3 Depth=1
	ds_load_b64 v[40:41], v63 offset:25344
	ds_load_b64 v[42:43], v62 offset:32648
	s_wait_dscnt 0x0
	v_fmac_f64_e32 v[38:39], v[40:41], v[42:43]
.LBB137_234:                            ;   in Loop: Header=BB137_3 Depth=1
	s_or_b32 exec_lo, exec_lo, s10
	s_delay_alu instid0(SALU_CYCLE_1) | instskip(SKIP_2) | instid1(SALU_CYCLE_1)
	s_mov_b32 s10, exec_lo
	v_readlane_b32 s11, v101, 24
	s_and_b32 s11, s10, s11
	s_mov_b32 exec_lo, s11
	s_cbranch_execz .LBB137_236
; %bb.235:                              ;   in Loop: Header=BB137_3 Depth=1
	ds_load_b64 v[40:41], v63 offset:25856
	ds_load_b64 v[42:43], v62 offset:32656
	s_wait_dscnt 0x0
	v_fmac_f64_e32 v[38:39], v[40:41], v[42:43]
.LBB137_236:                            ;   in Loop: Header=BB137_3 Depth=1
	s_or_b32 exec_lo, exec_lo, s10
	s_delay_alu instid0(SALU_CYCLE_1) | instskip(SKIP_2) | instid1(SALU_CYCLE_1)
	s_mov_b32 s10, exec_lo
	v_readlane_b32 s11, v101, 25
	s_and_b32 s11, s10, s11
	;; [unrolled: 13-line block ×10, first 2 shown]
	s_mov_b32 exec_lo, s11
	s_cbranch_execnz .LBB137_1109
; %bb.253:                              ;   in Loop: Header=BB137_3 Depth=1
	s_or_b32 exec_lo, exec_lo, s10
	s_and_saveexec_b32 s10, s4
	s_cbranch_execnz .LBB137_1110
.LBB137_254:                            ;   in Loop: Header=BB137_3 Depth=1
	s_or_b32 exec_lo, exec_lo, s10
	s_and_saveexec_b32 s10, s19
	s_cbranch_execnz .LBB137_1111
.LBB137_255:                            ;   in Loop: Header=BB137_3 Depth=1
	s_or_b32 exec_lo, exec_lo, s10
	s_and_saveexec_b32 s10, s21
	s_cbranch_execnz .LBB137_1112
.LBB137_256:                            ;   in Loop: Header=BB137_3 Depth=1
	s_or_b32 exec_lo, exec_lo, s10
	s_and_saveexec_b32 s10, s3
	s_cbranch_execz .LBB137_258
.LBB137_257:                            ;   in Loop: Header=BB137_3 Depth=1
	ds_load_b64 v[40:41], v48 offset:32512
	ds_load_b64 v[42:43], v1 offset:32760
	s_wait_dscnt 0x0
	v_fmac_f64_e32 v[38:39], v[40:41], v[42:43]
.LBB137_258:                            ;   in Loop: Header=BB137_3 Depth=1
	s_or_b32 exec_lo, exec_lo, s10
.LBB137_259:                            ;   in Loop: Header=BB137_3 Depth=1
	s_delay_alu instid0(SALU_CYCLE_1) | instskip(NEXT) | instid1(SALU_CYCLE_1)
	s_or_b32 exec_lo, exec_lo, s65
	s_mov_b32 s10, exec_lo
	v_readlane_b32 s11, v101, 2
	s_and_b32 s11, s10, s11
	s_delay_alu instid0(SALU_CYCLE_1)
	s_mov_b32 exec_lo, s11
	s_cbranch_execz .LBB137_261
; %bb.260:                              ;   in Loop: Header=BB137_3 Depth=1
	ds_load_b64 v[40:41], v1 offset:24440
	s_wait_dscnt 0x0
	v_mul_f64_e32 v[38:39], v[38:39], v[40:41]
	s_delay_alu instid0(VALU_DEP_1) | instskip(NEXT) | instid1(VALU_DEP_2)
	v_xor_b32_e32 v41, 0x80000000, v39
	v_mov_b32_e32 v40, v38
	ds_store_b64 v61, v[40:41]
.LBB137_261:                            ;   in Loop: Header=BB137_3 Depth=1
	s_or_b32 exec_lo, exec_lo, s10
	s_wait_loadcnt_dscnt 0x0
	s_barrier_signal -1
	s_barrier_wait -1
	s_mov_b32 s10, exec_lo
	v_readlane_b32 s11, v101, 3
	s_and_b32 s11, s10, s11
	s_delay_alu instid0(SALU_CYCLE_1)
	s_mov_b32 exec_lo, s11
	s_cbranch_execz .LBB137_263
; %bb.262:                              ;   in Loop: Header=BB137_3 Depth=1
	ds_load_b64 v[40:41], v63 offset:24320
	ds_load_b64 v[42:43], v61
	s_wait_dscnt 0x0
	v_fma_f64 v[38:39], -v[40:41], v[42:43], v[38:39]
.LBB137_263:                            ;   in Loop: Header=BB137_3 Depth=1
	s_or_b32 exec_lo, exec_lo, s10
	s_barrier_signal -1
	s_barrier_wait -1
	s_mov_b32 s10, exec_lo
	v_readlane_b32 s11, v101, 4
	s_and_b32 s11, s10, s11
	s_delay_alu instid0(SALU_CYCLE_1)
	s_mov_b32 exec_lo, s11
	s_cbranch_execz .LBB137_265
; %bb.264:                              ;   in Loop: Header=BB137_3 Depth=1
	ds_load_b64 v[40:41], v1 offset:23920
	s_wait_dscnt 0x0
	v_mul_f64_e32 v[38:39], v[38:39], v[40:41]
	s_delay_alu instid0(VALU_DEP_1) | instskip(NEXT) | instid1(VALU_DEP_2)
	v_xor_b32_e32 v41, 0x80000000, v39
	v_mov_b32_e32 v40, v38
	ds_store_b64 v61, v[40:41]
.LBB137_265:                            ;   in Loop: Header=BB137_3 Depth=1
	s_or_b32 exec_lo, exec_lo, s10
	s_wait_dscnt 0x0
	s_barrier_signal -1
	s_barrier_wait -1
	s_and_saveexec_b32 s10, s48
	s_cbranch_execz .LBB137_267
; %bb.266:                              ;   in Loop: Header=BB137_3 Depth=1
	ds_load_b64 v[40:41], v63 offset:23808
	ds_load_b64 v[42:43], v61
	s_wait_dscnt 0x0
	v_fma_f64 v[38:39], -v[40:41], v[42:43], v[38:39]
.LBB137_267:                            ;   in Loop: Header=BB137_3 Depth=1
	s_or_b32 exec_lo, exec_lo, s10
	s_barrier_signal -1
	s_barrier_wait -1
	s_and_saveexec_b32 s10, s49
	s_cbranch_execz .LBB137_269
; %bb.268:                              ;   in Loop: Header=BB137_3 Depth=1
	ds_load_b64 v[40:41], v1 offset:23400
	s_wait_dscnt 0x0
	v_mul_f64_e32 v[38:39], v[38:39], v[40:41]
	s_delay_alu instid0(VALU_DEP_1) | instskip(NEXT) | instid1(VALU_DEP_2)
	v_xor_b32_e32 v41, 0x80000000, v39
	v_mov_b32_e32 v40, v38
	ds_store_b64 v61, v[40:41]
.LBB137_269:                            ;   in Loop: Header=BB137_3 Depth=1
	s_or_b32 exec_lo, exec_lo, s10
	s_wait_dscnt 0x0
	s_barrier_signal -1
	s_barrier_wait -1
	s_and_saveexec_b32 s10, s50
	s_cbranch_execz .LBB137_271
; %bb.270:                              ;   in Loop: Header=BB137_3 Depth=1
	ds_load_b64 v[40:41], v63 offset:23296
	ds_load_b64 v[42:43], v61
	s_wait_dscnt 0x0
	v_fma_f64 v[38:39], -v[40:41], v[42:43], v[38:39]
.LBB137_271:                            ;   in Loop: Header=BB137_3 Depth=1
	s_or_b32 exec_lo, exec_lo, s10
	s_barrier_signal -1
	s_barrier_wait -1
	s_and_saveexec_b32 s10, s51
	;; [unrolled: 26-line block ×14, first 2 shown]
	s_cbranch_execz .LBB137_321
; %bb.320:                              ;   in Loop: Header=BB137_3 Depth=1
	ds_load_b64 v[40:41], v1 offset:16640
	s_wait_dscnt 0x0
	v_mul_f64_e32 v[38:39], v[38:39], v[40:41]
	s_delay_alu instid0(VALU_DEP_1) | instskip(NEXT) | instid1(VALU_DEP_2)
	v_xor_b32_e32 v41, 0x80000000, v39
	v_mov_b32_e32 v40, v38
	ds_store_b64 v61, v[40:41]
.LBB137_321:                            ;   in Loop: Header=BB137_3 Depth=1
	s_or_b32 exec_lo, exec_lo, s10
	s_wait_dscnt 0x0
	s_barrier_signal -1
	s_barrier_wait -1
	s_barrier_signal -1
	s_barrier_wait -1
	s_and_saveexec_b32 s10, s5
; %bb.322:                              ;   in Loop: Header=BB137_3 Depth=1
	ds_store_b64 v65, v[38:39] offset:32512
; %bb.323:                              ;   in Loop: Header=BB137_3 Depth=1
	s_or_b32 exec_lo, exec_lo, s10
	s_wait_dscnt 0x0
	s_barrier_signal -1
	s_barrier_wait -1
	s_barrier_signal -1
	s_barrier_wait -1
	s_and_saveexec_b32 s10, s84
	s_cbranch_execz .LBB137_325
; %bb.324:                              ;   in Loop: Header=BB137_3 Depth=1
	ds_load_b64 v[38:39], v50 offset:24832
	s_wait_dscnt 0x0
	ds_store_b64 v54, v[38:39] offset:16768
	ds_load_b64 v[38:39], v50 offset:24840
	s_wait_dscnt 0x0
	ds_store_b64 v54, v[38:39] offset:17280
	;; [unrolled: 3-line block ×16, first 2 shown]
.LBB137_325:                            ;   in Loop: Header=BB137_3 Depth=1
	s_or_b32 exec_lo, exec_lo, s10
	s_wait_dscnt 0x0
	s_barrier_signal -1
	s_barrier_wait -1
	s_and_saveexec_b32 s10, s14
	s_cbranch_execz .LBB137_327
; %bb.326:                              ;   in Loop: Header=BB137_3 Depth=1
	ds_load_b128 v[38:41], v1 offset:24432
	ds_load_b64 v[42:43], v1 offset:23920
	v_add_nc_u32_e64 v0, 0x5800, 0
	s_wait_dscnt 0x0
	v_mul_f64_e32 v[40:41], v[42:43], v[40:41]
	s_delay_alu instid0(VALU_DEP_1)
	v_mul_f64_e32 v[38:39], v[38:39], v[40:41]
	ds_store_2addr_b64 v0, v[38:39], v[38:39] offset0:175 offset1:238
.LBB137_327:                            ;   in Loop: Header=BB137_3 Depth=1
	s_or_b32 exec_lo, exec_lo, s10
	v_mov_b64_e32 v[38:39], 0
	s_wait_dscnt 0x0
	s_barrier_signal -1
	s_barrier_wait -1
	global_wb scope:SCOPE_DEV
	s_wait_storecnt 0x0
	global_inv scope:SCOPE_DEV
	s_and_saveexec_b32 s10, s1
	s_cbranch_execz .LBB137_331
; %bb.328:                              ;   in Loop: Header=BB137_3 Depth=1
	ds_load_b64 v[38:39], v47 offset:23904
	ds_load_b64 v[40:41], v46 offset:24432
	s_wait_dscnt 0x0
	v_fma_f64 v[38:39], v[38:39], v[40:41], 0
	s_and_saveexec_b32 s11, s15
	s_cbranch_execz .LBB137_330
; %bb.329:                              ;   in Loop: Header=BB137_3 Depth=1
	ds_load_b64 v[40:41], v48 offset:24416
	ds_load_b64 v[42:43], v1 offset:24440
	s_wait_dscnt 0x0
	v_fmac_f64_e32 v[38:39], v[40:41], v[42:43]
.LBB137_330:                            ;   in Loop: Header=BB137_3 Depth=1
	s_or_b32 exec_lo, exec_lo, s11
.LBB137_331:                            ;   in Loop: Header=BB137_3 Depth=1
	s_delay_alu instid0(SALU_CYCLE_1)
	s_or_b32 exec_lo, exec_lo, s10
	s_and_saveexec_b32 s10, s90
	s_cbranch_execz .LBB137_333
; %bb.332:                              ;   in Loop: Header=BB137_3 Depth=1
	ds_load_b64 v[40:41], v1 offset:23400
	s_wait_dscnt 0x0
	v_mul_f64_e32 v[38:39], v[38:39], v[40:41]
	s_delay_alu instid0(VALU_DEP_1) | instskip(NEXT) | instid1(VALU_DEP_2)
	v_xor_b32_e32 v41, 0x80000000, v39
	v_mov_b32_e32 v40, v38
	ds_store_b64 v3, v[40:41]
.LBB137_333:                            ;   in Loop: Header=BB137_3 Depth=1
	s_or_b32 exec_lo, exec_lo, s10
	s_wait_loadcnt_dscnt 0x0
	s_barrier_signal -1
	s_barrier_wait -1
	s_and_saveexec_b32 s10, s91
	s_cbranch_execz .LBB137_335
; %bb.334:                              ;   in Loop: Header=BB137_3 Depth=1
	ds_load_b64 v[40:41], v1 offset:23392
	ds_load_b64 v[42:43], v3
	s_wait_dscnt 0x0
	v_fma_f64 v[38:39], -v[40:41], v[42:43], v[38:39]
.LBB137_335:                            ;   in Loop: Header=BB137_3 Depth=1
	s_or_b32 exec_lo, exec_lo, s10
	s_barrier_signal -1
	s_barrier_wait -1
	s_and_saveexec_b32 s10, s91
	s_cbranch_execz .LBB137_337
; %bb.336:                              ;   in Loop: Header=BB137_3 Depth=1
	ds_load_b64 v[40:41], v1 offset:22880
	s_wait_dscnt 0x0
	v_mul_f64_e32 v[38:39], v[38:39], v[40:41]
	s_delay_alu instid0(VALU_DEP_1) | instskip(NEXT) | instid1(VALU_DEP_2)
	v_xor_b32_e32 v41, 0x80000000, v39
	v_mov_b32_e32 v40, v38
	ds_store_b64 v3, v[40:41]
.LBB137_337:                            ;   in Loop: Header=BB137_3 Depth=1
	s_or_b32 exec_lo, exec_lo, s10
	s_wait_dscnt 0x0
	s_barrier_signal -1
	s_barrier_wait -1
	s_barrier_signal -1
	s_barrier_wait -1
	s_and_saveexec_b32 s10, s1
; %bb.338:                              ;   in Loop: Header=BB137_3 Depth=1
	ds_store_b64 v49, v[38:39] offset:24416
; %bb.339:                              ;   in Loop: Header=BB137_3 Depth=1
	s_or_b32 exec_lo, exec_lo, s10
	s_wait_dscnt 0x0
	s_barrier_signal -1
	s_barrier_wait -1
	s_barrier_signal -1
	s_barrier_wait -1
	s_and_saveexec_b32 s10, s92
	s_cbranch_execz .LBB137_341
; %bb.340:                              ;   in Loop: Header=BB137_3 Depth=1
	ds_load_b64 v[38:39], v50 offset:23904
	s_wait_dscnt 0x0
	ds_store_b64 v48, v[38:39] offset:22896
	ds_load_b64 v[38:39], v50 offset:23912
	s_wait_dscnt 0x0
	ds_store_b64 v48, v[38:39] offset:23408
.LBB137_341:                            ;   in Loop: Header=BB137_3 Depth=1
	s_or_b32 exec_lo, exec_lo, s10
	s_wait_dscnt 0x0
	s_barrier_signal -1
	s_barrier_wait -1
	s_and_saveexec_b32 s10, s14
	s_cbranch_execz .LBB137_343
; %bb.342:                              ;   in Loop: Header=BB137_3 Depth=1
	ds_load_b128 v[38:41], v1 offset:23392
	ds_load_b64 v[42:43], v1 offset:22880
	v_add_nc_u32_e64 v0, 0x5800, 0
	s_wait_dscnt 0x0
	v_mul_f64_e32 v[40:41], v[42:43], v[40:41]
	s_delay_alu instid0(VALU_DEP_1)
	v_mul_f64_e32 v[38:39], v[38:39], v[40:41]
	ds_store_2addr_b64 v0, v[38:39], v[38:39] offset0:45 offset1:108
.LBB137_343:                            ;   in Loop: Header=BB137_3 Depth=1
	s_or_b32 exec_lo, exec_lo, s10
	v_mov_b64_e32 v[38:39], 0
	s_wait_dscnt 0x0
	s_barrier_signal -1
	s_barrier_wait -1
	global_wb scope:SCOPE_DEV
	s_wait_storecnt 0x0
	global_inv scope:SCOPE_DEV
	s_and_saveexec_b32 s10, s3
	s_cbranch_execz .LBB137_349
; %bb.344:                              ;   in Loop: Header=BB137_3 Depth=1
	ds_load_b64 v[38:39], v53 offset:22848
	ds_load_b64 v[40:41], v52 offset:24416
	s_wait_dscnt 0x0
	v_fma_f64 v[38:39], v[38:39], v[40:41], 0
	s_and_saveexec_b32 s11, s16
	s_cbranch_execnz .LBB137_1113
; %bb.345:                              ;   in Loop: Header=BB137_3 Depth=1
	s_or_b32 exec_lo, exec_lo, s11
	s_and_saveexec_b32 s11, s17
	s_cbranch_execnz .LBB137_1114
.LBB137_346:                            ;   in Loop: Header=BB137_3 Depth=1
	s_or_b32 exec_lo, exec_lo, s11
	s_and_saveexec_b32 s11, s1
	s_cbranch_execz .LBB137_348
.LBB137_347:                            ;   in Loop: Header=BB137_3 Depth=1
	ds_load_b64 v[40:41], v54 offset:24384
	ds_load_b64 v[42:43], v1 offset:24440
	s_wait_dscnt 0x0
	v_fmac_f64_e32 v[38:39], v[40:41], v[42:43]
.LBB137_348:                            ;   in Loop: Header=BB137_3 Depth=1
	s_or_b32 exec_lo, exec_lo, s11
.LBB137_349:                            ;   in Loop: Header=BB137_3 Depth=1
	s_delay_alu instid0(SALU_CYCLE_1)
	s_or_b32 exec_lo, exec_lo, s10
	s_and_saveexec_b32 s10, s93
	s_cbranch_execz .LBB137_351
; %bb.350:                              ;   in Loop: Header=BB137_3 Depth=1
	ds_load_b64 v[40:41], v1 offset:22360
	s_wait_dscnt 0x0
	v_mul_f64_e32 v[38:39], v[38:39], v[40:41]
	s_delay_alu instid0(VALU_DEP_1) | instskip(NEXT) | instid1(VALU_DEP_2)
	v_xor_b32_e32 v41, 0x80000000, v39
	v_mov_b32_e32 v40, v38
	ds_store_b64 v51, v[40:41]
.LBB137_351:                            ;   in Loop: Header=BB137_3 Depth=1
	s_or_b32 exec_lo, exec_lo, s10
	s_wait_loadcnt_dscnt 0x0
	s_barrier_signal -1
	s_barrier_wait -1
	s_and_saveexec_b32 s10, s94
	s_cbranch_execz .LBB137_353
; %bb.352:                              ;   in Loop: Header=BB137_3 Depth=1
	ds_load_b64 v[40:41], v53 offset:22336
	ds_load_b64 v[42:43], v51
	s_wait_dscnt 0x0
	v_fma_f64 v[38:39], -v[40:41], v[42:43], v[38:39]
.LBB137_353:                            ;   in Loop: Header=BB137_3 Depth=1
	s_or_b32 exec_lo, exec_lo, s10
	s_barrier_signal -1
	s_barrier_wait -1
	s_and_saveexec_b32 s10, s95
	s_cbranch_execz .LBB137_355
; %bb.354:                              ;   in Loop: Header=BB137_3 Depth=1
	ds_load_b64 v[40:41], v1 offset:21840
	s_wait_dscnt 0x0
	v_mul_f64_e32 v[38:39], v[38:39], v[40:41]
	s_delay_alu instid0(VALU_DEP_1) | instskip(NEXT) | instid1(VALU_DEP_2)
	v_xor_b32_e32 v41, 0x80000000, v39
	v_mov_b32_e32 v40, v38
	ds_store_b64 v51, v[40:41]
.LBB137_355:                            ;   in Loop: Header=BB137_3 Depth=1
	s_or_b32 exec_lo, exec_lo, s10
	s_wait_dscnt 0x0
	s_barrier_signal -1
	s_barrier_wait -1
	s_and_saveexec_b32 s10, s96
	s_cbranch_execz .LBB137_357
; %bb.356:                              ;   in Loop: Header=BB137_3 Depth=1
	ds_load_b64 v[40:41], v53 offset:21824
	ds_load_b64 v[42:43], v51
	s_wait_dscnt 0x0
	v_fma_f64 v[38:39], -v[40:41], v[42:43], v[38:39]
.LBB137_357:                            ;   in Loop: Header=BB137_3 Depth=1
	s_or_b32 exec_lo, exec_lo, s10
	s_barrier_signal -1
	s_barrier_wait -1
	s_and_saveexec_b32 s10, s97
	s_cbranch_execz .LBB137_359
; %bb.358:                              ;   in Loop: Header=BB137_3 Depth=1
	ds_load_b64 v[40:41], v1 offset:21320
	s_wait_dscnt 0x0
	v_mul_f64_e32 v[38:39], v[38:39], v[40:41]
	s_delay_alu instid0(VALU_DEP_1) | instskip(NEXT) | instid1(VALU_DEP_2)
	v_xor_b32_e32 v41, 0x80000000, v39
	v_mov_b32_e32 v40, v38
	ds_store_b64 v51, v[40:41]
.LBB137_359:                            ;   in Loop: Header=BB137_3 Depth=1
	s_or_b32 exec_lo, exec_lo, s10
	s_wait_dscnt 0x0
	;; [unrolled: 26-line block ×3, first 2 shown]
	s_barrier_signal -1
	s_barrier_wait -1
	s_barrier_signal -1
	s_barrier_wait -1
	s_and_saveexec_b32 s10, s3
; %bb.364:                              ;   in Loop: Header=BB137_3 Depth=1
	ds_store_b64 v55, v[38:39] offset:24384
; %bb.365:                              ;   in Loop: Header=BB137_3 Depth=1
	s_or_b32 exec_lo, exec_lo, s10
	s_wait_dscnt 0x0
	s_barrier_signal -1
	s_barrier_wait -1
	s_barrier_signal -1
	s_barrier_wait -1
	s_and_saveexec_b32 s10, s99
	s_cbranch_execz .LBB137_367
; %bb.366:                              ;   in Loop: Header=BB137_3 Depth=1
	ds_load_b64 v[38:39], v56 offset:22848
	s_wait_dscnt 0x0
	ds_store_b64 v5, v[38:39] offset:20832
	ds_load_b64 v[38:39], v56 offset:22856
	s_wait_dscnt 0x0
	ds_store_b64 v5, v[38:39] offset:21344
	;; [unrolled: 3-line block ×4, first 2 shown]
.LBB137_367:                            ;   in Loop: Header=BB137_3 Depth=1
	s_or_b32 exec_lo, exec_lo, s10
	s_wait_dscnt 0x0
	s_barrier_signal -1
	s_barrier_wait -1
	s_and_saveexec_b32 s10, s14
	s_cbranch_execz .LBB137_369
; %bb.368:                              ;   in Loop: Header=BB137_3 Depth=1
	ds_load_b128 v[38:41], v1 offset:22352
	ds_load_b64 v[42:43], v1 offset:21840
	v_add_nc_u32_e64 v0, 0x5000, 0
	s_wait_dscnt 0x0
	v_mul_f64_e32 v[40:41], v[42:43], v[40:41]
	s_delay_alu instid0(VALU_DEP_1)
	v_mul_f64_e32 v[38:39], v[38:39], v[40:41]
	ds_store_2addr_b64 v0, v[38:39], v[38:39] offset0:171 offset1:234
.LBB137_369:                            ;   in Loop: Header=BB137_3 Depth=1
	s_or_b32 exec_lo, exec_lo, s10
	v_mov_b64_e32 v[38:39], 0
	s_wait_dscnt 0x0
	s_barrier_signal -1
	s_barrier_wait -1
	global_wb scope:SCOPE_DEV
	s_wait_storecnt 0x0
	global_inv scope:SCOPE_DEV
	s_and_saveexec_b32 s10, s1
	s_cbranch_execz .LBB137_373
; %bb.370:                              ;   in Loop: Header=BB137_3 Depth=1
	ds_load_b64 v[38:39], v47 offset:21824
	ds_load_b64 v[40:41], v46 offset:22352
	s_wait_dscnt 0x0
	v_fma_f64 v[38:39], v[38:39], v[40:41], 0
	s_and_saveexec_b32 s11, s15
	s_cbranch_execz .LBB137_372
; %bb.371:                              ;   in Loop: Header=BB137_3 Depth=1
	ds_load_b64 v[40:41], v5 offset:22336
	ds_load_b64 v[42:43], v1 offset:22360
	s_wait_dscnt 0x0
	v_fmac_f64_e32 v[38:39], v[40:41], v[42:43]
.LBB137_372:                            ;   in Loop: Header=BB137_3 Depth=1
	s_or_b32 exec_lo, exec_lo, s11
.LBB137_373:                            ;   in Loop: Header=BB137_3 Depth=1
	s_delay_alu instid0(SALU_CYCLE_1)
	s_or_b32 exec_lo, exec_lo, s10
	s_and_saveexec_b32 s10, s90
	s_cbranch_execz .LBB137_375
; %bb.374:                              ;   in Loop: Header=BB137_3 Depth=1
	ds_load_b64 v[40:41], v1 offset:21320
	s_wait_dscnt 0x0
	v_mul_f64_e32 v[38:39], v[38:39], v[40:41]
	s_delay_alu instid0(VALU_DEP_1) | instskip(NEXT) | instid1(VALU_DEP_2)
	v_xor_b32_e32 v41, 0x80000000, v39
	v_mov_b32_e32 v40, v38
	ds_store_b64 v3, v[40:41]
.LBB137_375:                            ;   in Loop: Header=BB137_3 Depth=1
	s_or_b32 exec_lo, exec_lo, s10
	s_wait_loadcnt_dscnt 0x0
	s_barrier_signal -1
	s_barrier_wait -1
	s_and_saveexec_b32 s10, s91
	s_cbranch_execz .LBB137_377
; %bb.376:                              ;   in Loop: Header=BB137_3 Depth=1
	ds_load_b64 v[40:41], v1 offset:21312
	ds_load_b64 v[42:43], v3
	s_wait_dscnt 0x0
	v_fma_f64 v[38:39], -v[40:41], v[42:43], v[38:39]
.LBB137_377:                            ;   in Loop: Header=BB137_3 Depth=1
	s_or_b32 exec_lo, exec_lo, s10
	s_barrier_signal -1
	s_barrier_wait -1
	s_and_saveexec_b32 s10, s91
	s_cbranch_execz .LBB137_379
; %bb.378:                              ;   in Loop: Header=BB137_3 Depth=1
	ds_load_b64 v[40:41], v1 offset:20800
	s_wait_dscnt 0x0
	v_mul_f64_e32 v[38:39], v[38:39], v[40:41]
	s_delay_alu instid0(VALU_DEP_1) | instskip(NEXT) | instid1(VALU_DEP_2)
	v_xor_b32_e32 v41, 0x80000000, v39
	v_mov_b32_e32 v40, v38
	ds_store_b64 v3, v[40:41]
.LBB137_379:                            ;   in Loop: Header=BB137_3 Depth=1
	s_or_b32 exec_lo, exec_lo, s10
	s_wait_dscnt 0x0
	s_barrier_signal -1
	s_barrier_wait -1
	s_barrier_signal -1
	s_barrier_wait -1
	s_and_saveexec_b32 s10, s1
; %bb.380:                              ;   in Loop: Header=BB137_3 Depth=1
	ds_store_b64 v49, v[38:39] offset:22336
; %bb.381:                              ;   in Loop: Header=BB137_3 Depth=1
	s_or_b32 exec_lo, exec_lo, s10
	s_wait_dscnt 0x0
	s_barrier_signal -1
	s_barrier_wait -1
	s_barrier_signal -1
	s_barrier_wait -1
	s_and_saveexec_b32 s10, s92
	s_cbranch_execz .LBB137_383
; %bb.382:                              ;   in Loop: Header=BB137_3 Depth=1
	ds_load_b64 v[38:39], v71 offset:21824
	s_wait_dscnt 0x0
	ds_store_b64 v5, v[38:39] offset:20816
	ds_load_b64 v[38:39], v71 offset:21832
	s_wait_dscnt 0x0
	ds_store_b64 v5, v[38:39] offset:21328
.LBB137_383:                            ;   in Loop: Header=BB137_3 Depth=1
	s_or_b32 exec_lo, exec_lo, s10
	s_wait_dscnt 0x0
	s_barrier_signal -1
	s_barrier_wait -1
	s_and_saveexec_b32 s10, s14
	s_cbranch_execz .LBB137_385
; %bb.384:                              ;   in Loop: Header=BB137_3 Depth=1
	ds_load_b128 v[38:41], v1 offset:21312
	ds_load_b64 v[42:43], v1 offset:20800
	v_add_nc_u32_e64 v0, 0x5000, 0
	s_wait_dscnt 0x0
	v_mul_f64_e32 v[40:41], v[42:43], v[40:41]
	s_delay_alu instid0(VALU_DEP_1)
	v_mul_f64_e32 v[38:39], v[38:39], v[40:41]
	ds_store_2addr_b64 v0, v[38:39], v[38:39] offset0:41 offset1:104
.LBB137_385:                            ;   in Loop: Header=BB137_3 Depth=1
	s_or_b32 exec_lo, exec_lo, s10
	v_mov_b64_e32 v[38:39], 0
	s_wait_dscnt 0x0
	s_barrier_signal -1
	s_barrier_wait -1
	global_wb scope:SCOPE_DEV
	s_wait_storecnt 0x0
	global_inv scope:SCOPE_DEV
	s_and_saveexec_b32 s10, s4
	s_cbranch_execz .LBB137_395
; %bb.386:                              ;   in Loop: Header=BB137_3 Depth=1
	ds_load_b64 v[38:39], v59 offset:20736
	ds_load_b64 v[40:41], v58 offset:24384
	s_wait_dscnt 0x0
	v_fma_f64 v[38:39], v[38:39], v[40:41], 0
	s_and_saveexec_b32 s11, s18
	s_cbranch_execnz .LBB137_1115
; %bb.387:                              ;   in Loop: Header=BB137_3 Depth=1
	s_or_b32 exec_lo, exec_lo, s11
	s_and_saveexec_b32 s11, s19
	s_cbranch_execnz .LBB137_1116
.LBB137_388:                            ;   in Loop: Header=BB137_3 Depth=1
	s_or_b32 exec_lo, exec_lo, s11
	s_and_saveexec_b32 s11, s20
	s_cbranch_execnz .LBB137_1117
.LBB137_389:                            ;   in Loop: Header=BB137_3 Depth=1
	s_or_b32 exec_lo, exec_lo, s11
	s_and_saveexec_b32 s11, s21
	s_cbranch_execnz .LBB137_1118
.LBB137_390:                            ;   in Loop: Header=BB137_3 Depth=1
	s_or_b32 exec_lo, exec_lo, s11
	s_and_saveexec_b32 s11, s22
	s_cbranch_execnz .LBB137_1119
.LBB137_391:                            ;   in Loop: Header=BB137_3 Depth=1
	s_or_b32 exec_lo, exec_lo, s11
	s_and_saveexec_b32 s11, s3
	s_cbranch_execnz .LBB137_1120
.LBB137_392:                            ;   in Loop: Header=BB137_3 Depth=1
	s_or_b32 exec_lo, exec_lo, s11
	s_and_saveexec_b32 s11, s17
	s_cbranch_execz .LBB137_394
.LBB137_393:                            ;   in Loop: Header=BB137_3 Depth=1
	ds_load_b64 v[40:41], v72 offset:24320
	ds_load_b64 v[42:43], v1 offset:24440
	s_wait_dscnt 0x0
	v_fmac_f64_e32 v[38:39], v[40:41], v[42:43]
.LBB137_394:                            ;   in Loop: Header=BB137_3 Depth=1
	s_or_b32 exec_lo, exec_lo, s11
.LBB137_395:                            ;   in Loop: Header=BB137_3 Depth=1
	s_delay_alu instid0(SALU_CYCLE_1)
	s_or_b32 exec_lo, exec_lo, s10
	s_and_saveexec_b32 s10, s100
	s_cbranch_execz .LBB137_397
; %bb.396:                              ;   in Loop: Header=BB137_3 Depth=1
	ds_load_b64 v[40:41], v1 offset:20280
	s_wait_dscnt 0x0
	v_mul_f64_e32 v[38:39], v[38:39], v[40:41]
	s_delay_alu instid0(VALU_DEP_1) | instskip(NEXT) | instid1(VALU_DEP_2)
	v_xor_b32_e32 v41, 0x80000000, v39
	v_mov_b32_e32 v40, v38
	ds_store_b64 v57, v[40:41]
.LBB137_397:                            ;   in Loop: Header=BB137_3 Depth=1
	s_or_b32 exec_lo, exec_lo, s10
	s_wait_loadcnt_dscnt 0x0
	s_barrier_signal -1
	s_barrier_wait -1
	s_and_saveexec_b32 s10, s101
	s_cbranch_execz .LBB137_399
; %bb.398:                              ;   in Loop: Header=BB137_3 Depth=1
	ds_load_b64 v[40:41], v59 offset:20224
	ds_load_b64 v[42:43], v57
	s_wait_dscnt 0x0
	v_fma_f64 v[38:39], -v[40:41], v[42:43], v[38:39]
.LBB137_399:                            ;   in Loop: Header=BB137_3 Depth=1
	s_or_b32 exec_lo, exec_lo, s10
	s_barrier_signal -1
	s_barrier_wait -1
	s_and_saveexec_b32 s10, s102
	s_cbranch_execz .LBB137_401
; %bb.400:                              ;   in Loop: Header=BB137_3 Depth=1
	ds_load_b64 v[40:41], v1 offset:19760
	s_wait_dscnt 0x0
	v_mul_f64_e32 v[38:39], v[38:39], v[40:41]
	s_delay_alu instid0(VALU_DEP_1) | instskip(NEXT) | instid1(VALU_DEP_2)
	v_xor_b32_e32 v41, 0x80000000, v39
	v_mov_b32_e32 v40, v38
	ds_store_b64 v57, v[40:41]
.LBB137_401:                            ;   in Loop: Header=BB137_3 Depth=1
	s_or_b32 exec_lo, exec_lo, s10
	s_wait_dscnt 0x0
	s_barrier_signal -1
	s_barrier_wait -1
	s_and_saveexec_b32 s10, s103
	s_cbranch_execz .LBB137_403
; %bb.402:                              ;   in Loop: Header=BB137_3 Depth=1
	ds_load_b64 v[40:41], v59 offset:19712
	ds_load_b64 v[42:43], v57
	s_wait_dscnt 0x0
	v_fma_f64 v[38:39], -v[40:41], v[42:43], v[38:39]
.LBB137_403:                            ;   in Loop: Header=BB137_3 Depth=1
	s_or_b32 exec_lo, exec_lo, s10
	s_barrier_signal -1
	s_barrier_wait -1
	s_and_saveexec_b32 s10, s104
	s_cbranch_execz .LBB137_405
; %bb.404:                              ;   in Loop: Header=BB137_3 Depth=1
	ds_load_b64 v[40:41], v1 offset:19240
	s_wait_dscnt 0x0
	v_mul_f64_e32 v[38:39], v[38:39], v[40:41]
	s_delay_alu instid0(VALU_DEP_1) | instskip(NEXT) | instid1(VALU_DEP_2)
	v_xor_b32_e32 v41, 0x80000000, v39
	v_mov_b32_e32 v40, v38
	ds_store_b64 v57, v[40:41]
.LBB137_405:                            ;   in Loop: Header=BB137_3 Depth=1
	s_or_b32 exec_lo, exec_lo, s10
	s_wait_dscnt 0x0
	s_barrier_signal -1
	s_barrier_wait -1
	s_and_saveexec_b32 s10, vcc_hi
	s_cbranch_execz .LBB137_407
; %bb.406:                              ;   in Loop: Header=BB137_3 Depth=1
	ds_load_b64 v[40:41], v59 offset:19200
	ds_load_b64 v[42:43], v57
	s_wait_dscnt 0x0
	v_fma_f64 v[38:39], -v[40:41], v[42:43], v[38:39]
.LBB137_407:                            ;   in Loop: Header=BB137_3 Depth=1
	s_or_b32 exec_lo, exec_lo, s10
	s_barrier_signal -1
	s_barrier_wait -1
	s_and_saveexec_b32 s10, s36
	s_cbranch_execz .LBB137_409
; %bb.408:                              ;   in Loop: Header=BB137_3 Depth=1
	ds_load_b64 v[40:41], v1 offset:18720
	s_wait_dscnt 0x0
	v_mul_f64_e32 v[38:39], v[38:39], v[40:41]
	s_delay_alu instid0(VALU_DEP_1) | instskip(NEXT) | instid1(VALU_DEP_2)
	v_xor_b32_e32 v41, 0x80000000, v39
	v_mov_b32_e32 v40, v38
	ds_store_b64 v57, v[40:41]
.LBB137_409:                            ;   in Loop: Header=BB137_3 Depth=1
	s_or_b32 exec_lo, exec_lo, s10
	s_wait_dscnt 0x0
	s_barrier_signal -1
	s_barrier_wait -1
	s_and_saveexec_b32 s10, s37
	s_cbranch_execz .LBB137_411
; %bb.410:                              ;   in Loop: Header=BB137_3 Depth=1
	ds_load_b64 v[40:41], v59 offset:18688
	ds_load_b64 v[42:43], v57
	s_wait_dscnt 0x0
	v_fma_f64 v[38:39], -v[40:41], v[42:43], v[38:39]
.LBB137_411:                            ;   in Loop: Header=BB137_3 Depth=1
	s_or_b32 exec_lo, exec_lo, s10
	s_barrier_signal -1
	s_barrier_wait -1
	s_and_saveexec_b32 s10, s38
	s_cbranch_execz .LBB137_413
; %bb.412:                              ;   in Loop: Header=BB137_3 Depth=1
	ds_load_b64 v[40:41], v1 offset:18200
	s_wait_dscnt 0x0
	v_mul_f64_e32 v[38:39], v[38:39], v[40:41]
	s_delay_alu instid0(VALU_DEP_1) | instskip(NEXT) | instid1(VALU_DEP_2)
	v_xor_b32_e32 v41, 0x80000000, v39
	v_mov_b32_e32 v40, v38
	ds_store_b64 v57, v[40:41]
.LBB137_413:                            ;   in Loop: Header=BB137_3 Depth=1
	s_or_b32 exec_lo, exec_lo, s10
	s_wait_dscnt 0x0
	s_barrier_signal -1
	s_barrier_wait -1
	s_and_saveexec_b32 s10, s39
	;; [unrolled: 26-line block ×4, first 2 shown]
	s_cbranch_execz .LBB137_423
; %bb.422:                              ;   in Loop: Header=BB137_3 Depth=1
	ds_load_b64 v[40:41], v1 offset:17152
	ds_load_b64 v[42:43], v57
	s_wait_dscnt 0x0
	v_fma_f64 v[38:39], -v[40:41], v[42:43], v[38:39]
.LBB137_423:                            ;   in Loop: Header=BB137_3 Depth=1
	s_or_b32 exec_lo, exec_lo, s10
	s_barrier_signal -1
	s_barrier_wait -1
	s_and_saveexec_b32 s10, s43
	s_cbranch_execz .LBB137_425
; %bb.424:                              ;   in Loop: Header=BB137_3 Depth=1
	ds_load_b64 v[40:41], v1 offset:16640
	s_wait_dscnt 0x0
	v_mul_f64_e32 v[38:39], v[38:39], v[40:41]
	s_delay_alu instid0(VALU_DEP_1) | instskip(NEXT) | instid1(VALU_DEP_2)
	v_xor_b32_e32 v41, 0x80000000, v39
	v_mov_b32_e32 v40, v38
	ds_store_b64 v57, v[40:41]
.LBB137_425:                            ;   in Loop: Header=BB137_3 Depth=1
	s_or_b32 exec_lo, exec_lo, s10
	s_wait_dscnt 0x0
	s_barrier_signal -1
	s_barrier_wait -1
	s_barrier_signal -1
	s_barrier_wait -1
	s_and_saveexec_b32 s10, s4
; %bb.426:                              ;   in Loop: Header=BB137_3 Depth=1
	ds_store_b64 v60, v[38:39] offset:24320
; %bb.427:                              ;   in Loop: Header=BB137_3 Depth=1
	s_or_b32 exec_lo, exec_lo, s10
	s_wait_dscnt 0x0
	s_barrier_signal -1
	s_barrier_wait -1
	s_barrier_signal -1
	s_barrier_wait -1
	s_and_saveexec_b32 s10, s44
	s_cbranch_execz .LBB137_429
; %bb.428:                              ;   in Loop: Header=BB137_3 Depth=1
	ds_load_b64 v[38:39], v74 offset:20736
	s_wait_dscnt 0x0
	ds_store_b64 v75, v[38:39] offset:16704
	ds_load_b64 v[38:39], v74 offset:20744
	s_wait_dscnt 0x0
	ds_store_b64 v75, v[38:39] offset:17216
	;; [unrolled: 3-line block ×8, first 2 shown]
.LBB137_429:                            ;   in Loop: Header=BB137_3 Depth=1
	s_or_b32 exec_lo, exec_lo, s10
	s_wait_dscnt 0x0
	s_barrier_signal -1
	s_barrier_wait -1
	s_and_saveexec_b32 s10, s14
	s_cbranch_execz .LBB137_431
; %bb.430:                              ;   in Loop: Header=BB137_3 Depth=1
	ds_load_b128 v[38:41], v1 offset:20272
	ds_load_b64 v[42:43], v1 offset:19760
	v_add_nc_u32_e64 v0, 0x4800, 0
	s_wait_dscnt 0x0
	v_mul_f64_e32 v[40:41], v[42:43], v[40:41]
	s_delay_alu instid0(VALU_DEP_1)
	v_mul_f64_e32 v[38:39], v[38:39], v[40:41]
	ds_store_2addr_b64 v0, v[38:39], v[38:39] offset0:167 offset1:230
.LBB137_431:                            ;   in Loop: Header=BB137_3 Depth=1
	s_or_b32 exec_lo, exec_lo, s10
	v_mov_b64_e32 v[38:39], 0
	s_wait_dscnt 0x0
	s_barrier_signal -1
	s_barrier_wait -1
	global_wb scope:SCOPE_DEV
	s_wait_storecnt 0x0
	global_inv scope:SCOPE_DEV
	s_and_saveexec_b32 s10, s1
	s_cbranch_execz .LBB137_435
; %bb.432:                              ;   in Loop: Header=BB137_3 Depth=1
	ds_load_b64 v[38:39], v47 offset:19744
	ds_load_b64 v[40:41], v46 offset:20272
	s_wait_dscnt 0x0
	v_fma_f64 v[38:39], v[38:39], v[40:41], 0
	s_and_saveexec_b32 s11, s15
	s_cbranch_execz .LBB137_434
; %bb.433:                              ;   in Loop: Header=BB137_3 Depth=1
	ds_load_b64 v[40:41], v75 offset:20256
	ds_load_b64 v[42:43], v1 offset:20280
	s_wait_dscnt 0x0
	v_fmac_f64_e32 v[38:39], v[40:41], v[42:43]
.LBB137_434:                            ;   in Loop: Header=BB137_3 Depth=1
	s_or_b32 exec_lo, exec_lo, s11
.LBB137_435:                            ;   in Loop: Header=BB137_3 Depth=1
	s_delay_alu instid0(SALU_CYCLE_1)
	s_or_b32 exec_lo, exec_lo, s10
	s_and_saveexec_b32 s10, s90
	s_cbranch_execz .LBB137_437
; %bb.436:                              ;   in Loop: Header=BB137_3 Depth=1
	ds_load_b64 v[40:41], v1 offset:19240
	s_wait_dscnt 0x0
	v_mul_f64_e32 v[38:39], v[38:39], v[40:41]
	s_delay_alu instid0(VALU_DEP_1) | instskip(NEXT) | instid1(VALU_DEP_2)
	v_xor_b32_e32 v41, 0x80000000, v39
	v_mov_b32_e32 v40, v38
	ds_store_b64 v3, v[40:41]
.LBB137_437:                            ;   in Loop: Header=BB137_3 Depth=1
	s_or_b32 exec_lo, exec_lo, s10
	s_wait_loadcnt_dscnt 0x0
	s_barrier_signal -1
	s_barrier_wait -1
	s_and_saveexec_b32 s10, s91
	s_cbranch_execz .LBB137_439
; %bb.438:                              ;   in Loop: Header=BB137_3 Depth=1
	ds_load_b64 v[40:41], v1 offset:19232
	ds_load_b64 v[42:43], v3
	s_wait_dscnt 0x0
	v_fma_f64 v[38:39], -v[40:41], v[42:43], v[38:39]
.LBB137_439:                            ;   in Loop: Header=BB137_3 Depth=1
	s_or_b32 exec_lo, exec_lo, s10
	s_barrier_signal -1
	s_barrier_wait -1
	s_and_saveexec_b32 s10, s91
	s_cbranch_execz .LBB137_441
; %bb.440:                              ;   in Loop: Header=BB137_3 Depth=1
	ds_load_b64 v[40:41], v1 offset:18720
	s_wait_dscnt 0x0
	v_mul_f64_e32 v[38:39], v[38:39], v[40:41]
	s_delay_alu instid0(VALU_DEP_1) | instskip(NEXT) | instid1(VALU_DEP_2)
	v_xor_b32_e32 v41, 0x80000000, v39
	v_mov_b32_e32 v40, v38
	ds_store_b64 v3, v[40:41]
.LBB137_441:                            ;   in Loop: Header=BB137_3 Depth=1
	s_or_b32 exec_lo, exec_lo, s10
	s_wait_dscnt 0x0
	s_barrier_signal -1
	s_barrier_wait -1
	s_barrier_signal -1
	s_barrier_wait -1
	s_and_saveexec_b32 s10, s1
; %bb.442:                              ;   in Loop: Header=BB137_3 Depth=1
	ds_store_b64 v49, v[38:39] offset:20256
; %bb.443:                              ;   in Loop: Header=BB137_3 Depth=1
	s_or_b32 exec_lo, exec_lo, s10
	s_wait_dscnt 0x0
	s_barrier_signal -1
	s_barrier_wait -1
	s_barrier_signal -1
	s_barrier_wait -1
	s_and_saveexec_b32 s10, s92
	s_cbranch_execz .LBB137_445
; %bb.444:                              ;   in Loop: Header=BB137_3 Depth=1
	ds_load_b64 v[38:39], v76 offset:19744
	s_wait_dscnt 0x0
	ds_store_b64 v75, v[38:39] offset:18736
	ds_load_b64 v[38:39], v76 offset:19752
	s_wait_dscnt 0x0
	ds_store_b64 v75, v[38:39] offset:19248
.LBB137_445:                            ;   in Loop: Header=BB137_3 Depth=1
	s_or_b32 exec_lo, exec_lo, s10
	s_wait_dscnt 0x0
	s_barrier_signal -1
	s_barrier_wait -1
	s_and_saveexec_b32 s10, s14
	s_cbranch_execz .LBB137_447
; %bb.446:                              ;   in Loop: Header=BB137_3 Depth=1
	ds_load_b128 v[38:41], v1 offset:19232
	ds_load_b64 v[42:43], v1 offset:18720
	v_add_nc_u32_e64 v0, 0x4800, 0
	s_wait_dscnt 0x0
	v_mul_f64_e32 v[40:41], v[42:43], v[40:41]
	s_delay_alu instid0(VALU_DEP_1)
	v_mul_f64_e32 v[38:39], v[38:39], v[40:41]
	ds_store_2addr_b64 v0, v[38:39], v[38:39] offset0:37 offset1:100
.LBB137_447:                            ;   in Loop: Header=BB137_3 Depth=1
	s_or_b32 exec_lo, exec_lo, s10
	v_mov_b64_e32 v[38:39], 0
	s_wait_dscnt 0x0
	s_barrier_signal -1
	s_barrier_wait -1
	global_wb scope:SCOPE_DEV
	s_wait_storecnt 0x0
	global_inv scope:SCOPE_DEV
	s_and_saveexec_b32 s10, s3
	s_cbranch_execz .LBB137_453
; %bb.448:                              ;   in Loop: Header=BB137_3 Depth=1
	ds_load_b64 v[38:39], v53 offset:18688
	ds_load_b64 v[40:41], v52 offset:20256
	s_wait_dscnt 0x0
	v_fma_f64 v[38:39], v[38:39], v[40:41], 0
	s_and_saveexec_b32 s11, s16
	s_cbranch_execnz .LBB137_1121
; %bb.449:                              ;   in Loop: Header=BB137_3 Depth=1
	s_or_b32 exec_lo, exec_lo, s11
	s_and_saveexec_b32 s11, s17
	s_cbranch_execnz .LBB137_1122
.LBB137_450:                            ;   in Loop: Header=BB137_3 Depth=1
	s_or_b32 exec_lo, exec_lo, s11
	s_and_saveexec_b32 s11, s1
	s_cbranch_execz .LBB137_452
.LBB137_451:                            ;   in Loop: Header=BB137_3 Depth=1
	ds_load_b64 v[40:41], v78 offset:20224
	ds_load_b64 v[42:43], v1 offset:20280
	s_wait_dscnt 0x0
	v_fmac_f64_e32 v[38:39], v[40:41], v[42:43]
.LBB137_452:                            ;   in Loop: Header=BB137_3 Depth=1
	s_or_b32 exec_lo, exec_lo, s11
.LBB137_453:                            ;   in Loop: Header=BB137_3 Depth=1
	s_delay_alu instid0(SALU_CYCLE_1)
	s_or_b32 exec_lo, exec_lo, s10
	s_and_saveexec_b32 s10, s93
	s_cbranch_execz .LBB137_455
; %bb.454:                              ;   in Loop: Header=BB137_3 Depth=1
	ds_load_b64 v[40:41], v1 offset:18200
	s_wait_dscnt 0x0
	v_mul_f64_e32 v[38:39], v[38:39], v[40:41]
	s_delay_alu instid0(VALU_DEP_1) | instskip(NEXT) | instid1(VALU_DEP_2)
	v_xor_b32_e32 v41, 0x80000000, v39
	v_mov_b32_e32 v40, v38
	ds_store_b64 v51, v[40:41]
.LBB137_455:                            ;   in Loop: Header=BB137_3 Depth=1
	s_or_b32 exec_lo, exec_lo, s10
	s_wait_loadcnt_dscnt 0x0
	s_barrier_signal -1
	s_barrier_wait -1
	s_and_saveexec_b32 s10, s94
	s_cbranch_execz .LBB137_457
; %bb.456:                              ;   in Loop: Header=BB137_3 Depth=1
	ds_load_b64 v[40:41], v53 offset:18176
	ds_load_b64 v[42:43], v51
	s_wait_dscnt 0x0
	v_fma_f64 v[38:39], -v[40:41], v[42:43], v[38:39]
.LBB137_457:                            ;   in Loop: Header=BB137_3 Depth=1
	s_or_b32 exec_lo, exec_lo, s10
	s_barrier_signal -1
	s_barrier_wait -1
	s_and_saveexec_b32 s10, s95
	s_cbranch_execz .LBB137_459
; %bb.458:                              ;   in Loop: Header=BB137_3 Depth=1
	ds_load_b64 v[40:41], v1 offset:17680
	s_wait_dscnt 0x0
	v_mul_f64_e32 v[38:39], v[38:39], v[40:41]
	s_delay_alu instid0(VALU_DEP_1) | instskip(NEXT) | instid1(VALU_DEP_2)
	v_xor_b32_e32 v41, 0x80000000, v39
	v_mov_b32_e32 v40, v38
	ds_store_b64 v51, v[40:41]
.LBB137_459:                            ;   in Loop: Header=BB137_3 Depth=1
	s_or_b32 exec_lo, exec_lo, s10
	s_wait_dscnt 0x0
	s_barrier_signal -1
	s_barrier_wait -1
	s_and_saveexec_b32 s10, s96
	s_cbranch_execz .LBB137_461
; %bb.460:                              ;   in Loop: Header=BB137_3 Depth=1
	ds_load_b64 v[40:41], v53 offset:17664
	ds_load_b64 v[42:43], v51
	s_wait_dscnt 0x0
	v_fma_f64 v[38:39], -v[40:41], v[42:43], v[38:39]
.LBB137_461:                            ;   in Loop: Header=BB137_3 Depth=1
	s_or_b32 exec_lo, exec_lo, s10
	s_barrier_signal -1
	s_barrier_wait -1
	s_and_saveexec_b32 s10, s97
	s_cbranch_execz .LBB137_463
; %bb.462:                              ;   in Loop: Header=BB137_3 Depth=1
	ds_load_b64 v[40:41], v1 offset:17160
	s_wait_dscnt 0x0
	v_mul_f64_e32 v[38:39], v[38:39], v[40:41]
	s_delay_alu instid0(VALU_DEP_1) | instskip(NEXT) | instid1(VALU_DEP_2)
	v_xor_b32_e32 v41, 0x80000000, v39
	v_mov_b32_e32 v40, v38
	ds_store_b64 v51, v[40:41]
.LBB137_463:                            ;   in Loop: Header=BB137_3 Depth=1
	s_or_b32 exec_lo, exec_lo, s10
	s_wait_dscnt 0x0
	;; [unrolled: 26-line block ×3, first 2 shown]
	s_barrier_signal -1
	s_barrier_wait -1
	s_barrier_signal -1
	s_barrier_wait -1
	s_and_saveexec_b32 s10, s3
; %bb.468:                              ;   in Loop: Header=BB137_3 Depth=1
	ds_store_b64 v55, v[38:39] offset:20224
; %bb.469:                              ;   in Loop: Header=BB137_3 Depth=1
	s_or_b32 exec_lo, exec_lo, s10
	s_wait_dscnt 0x0
	s_barrier_signal -1
	s_barrier_wait -1
	s_barrier_signal -1
	s_barrier_wait -1
	s_and_saveexec_b32 s10, s99
	s_cbranch_execz .LBB137_471
; %bb.470:                              ;   in Loop: Header=BB137_3 Depth=1
	ds_load_b64 v[38:39], v80 offset:18688
	s_wait_dscnt 0x0
	ds_store_b64 v83, v[38:39] offset:16672
	ds_load_b64 v[38:39], v80 offset:18696
	s_wait_dscnt 0x0
	ds_store_b64 v83, v[38:39] offset:17184
	;; [unrolled: 3-line block ×4, first 2 shown]
.LBB137_471:                            ;   in Loop: Header=BB137_3 Depth=1
	s_or_b32 exec_lo, exec_lo, s10
	s_wait_dscnt 0x0
	s_barrier_signal -1
	s_barrier_wait -1
	s_and_saveexec_b32 s10, s14
	s_cbranch_execz .LBB137_473
; %bb.472:                              ;   in Loop: Header=BB137_3 Depth=1
	ds_load_b128 v[38:41], v1 offset:18192
	ds_load_b64 v[42:43], v1 offset:17680
	v_add_nc_u32_e64 v0, 0x4000, 0
	s_wait_dscnt 0x0
	v_mul_f64_e32 v[40:41], v[42:43], v[40:41]
	s_delay_alu instid0(VALU_DEP_1)
	v_mul_f64_e32 v[38:39], v[38:39], v[40:41]
	ds_store_2addr_b64 v0, v[38:39], v[38:39] offset0:163 offset1:226
.LBB137_473:                            ;   in Loop: Header=BB137_3 Depth=1
	s_or_b32 exec_lo, exec_lo, s10
	v_mov_b64_e32 v[38:39], 0
	s_wait_dscnt 0x0
	s_barrier_signal -1
	s_barrier_wait -1
	global_wb scope:SCOPE_DEV
	s_wait_storecnt 0x0
	global_inv scope:SCOPE_DEV
	s_and_saveexec_b32 s10, s1
	s_cbranch_execz .LBB137_477
; %bb.474:                              ;   in Loop: Header=BB137_3 Depth=1
	ds_load_b64 v[38:39], v47 offset:17664
	ds_load_b64 v[40:41], v46 offset:18192
	s_wait_dscnt 0x0
	v_fma_f64 v[38:39], v[38:39], v[40:41], 0
	s_and_saveexec_b32 s11, s15
	s_cbranch_execz .LBB137_476
; %bb.475:                              ;   in Loop: Header=BB137_3 Depth=1
	ds_load_b64 v[40:41], v83 offset:18176
	ds_load_b64 v[42:43], v1 offset:18200
	s_wait_dscnt 0x0
	v_fmac_f64_e32 v[38:39], v[40:41], v[42:43]
.LBB137_476:                            ;   in Loop: Header=BB137_3 Depth=1
	s_or_b32 exec_lo, exec_lo, s11
.LBB137_477:                            ;   in Loop: Header=BB137_3 Depth=1
	s_delay_alu instid0(SALU_CYCLE_1)
	s_or_b32 exec_lo, exec_lo, s10
	s_and_saveexec_b32 s10, s90
	s_cbranch_execz .LBB137_479
; %bb.478:                              ;   in Loop: Header=BB137_3 Depth=1
	ds_load_b64 v[40:41], v1 offset:17160
	s_wait_dscnt 0x0
	v_mul_f64_e32 v[38:39], v[38:39], v[40:41]
	s_delay_alu instid0(VALU_DEP_1) | instskip(NEXT) | instid1(VALU_DEP_2)
	v_xor_b32_e32 v41, 0x80000000, v39
	v_mov_b32_e32 v40, v38
	ds_store_b64 v3, v[40:41]
.LBB137_479:                            ;   in Loop: Header=BB137_3 Depth=1
	s_or_b32 exec_lo, exec_lo, s10
	s_wait_loadcnt_dscnt 0x0
	s_barrier_signal -1
	s_barrier_wait -1
	s_and_saveexec_b32 s10, s91
	s_cbranch_execz .LBB137_481
; %bb.480:                              ;   in Loop: Header=BB137_3 Depth=1
	ds_load_b64 v[40:41], v1 offset:17152
	ds_load_b64 v[42:43], v3
	s_wait_dscnt 0x0
	v_fma_f64 v[38:39], -v[40:41], v[42:43], v[38:39]
.LBB137_481:                            ;   in Loop: Header=BB137_3 Depth=1
	s_or_b32 exec_lo, exec_lo, s10
	s_barrier_signal -1
	s_barrier_wait -1
	s_and_saveexec_b32 s10, s91
	s_cbranch_execz .LBB137_483
; %bb.482:                              ;   in Loop: Header=BB137_3 Depth=1
	ds_load_b64 v[40:41], v1 offset:16640
	s_wait_dscnt 0x0
	v_mul_f64_e32 v[38:39], v[38:39], v[40:41]
	s_delay_alu instid0(VALU_DEP_1) | instskip(NEXT) | instid1(VALU_DEP_2)
	v_xor_b32_e32 v41, 0x80000000, v39
	v_mov_b32_e32 v40, v38
	ds_store_b64 v3, v[40:41]
.LBB137_483:                            ;   in Loop: Header=BB137_3 Depth=1
	s_or_b32 exec_lo, exec_lo, s10
	s_wait_dscnt 0x0
	s_barrier_signal -1
	s_barrier_wait -1
	s_barrier_signal -1
	s_barrier_wait -1
	s_and_saveexec_b32 s10, s1
; %bb.484:                              ;   in Loop: Header=BB137_3 Depth=1
	ds_store_b64 v49, v[38:39] offset:18176
; %bb.485:                              ;   in Loop: Header=BB137_3 Depth=1
	s_or_b32 exec_lo, exec_lo, s10
	s_wait_dscnt 0x0
	s_barrier_signal -1
	s_barrier_wait -1
	s_barrier_signal -1
	s_barrier_wait -1
	s_and_saveexec_b32 s10, s92
	s_cbranch_execz .LBB137_487
; %bb.486:                              ;   in Loop: Header=BB137_3 Depth=1
	ds_load_b64 v[38:39], v85 offset:17664
	s_wait_dscnt 0x0
	ds_store_b64 v83, v[38:39] offset:16656
	ds_load_b64 v[38:39], v85 offset:17672
	s_wait_dscnt 0x0
	ds_store_b64 v83, v[38:39] offset:17168
.LBB137_487:                            ;   in Loop: Header=BB137_3 Depth=1
	s_or_b32 exec_lo, exec_lo, s10
	s_wait_dscnt 0x0
	s_barrier_signal -1
	s_barrier_wait -1
	s_and_saveexec_b32 s10, s14
	s_cbranch_execz .LBB137_489
; %bb.488:                              ;   in Loop: Header=BB137_3 Depth=1
	ds_load_b128 v[38:41], v1 offset:17152
	ds_load_b64 v[42:43], v1 offset:16640
	v_add_nc_u32_e64 v0, 0x4000, 0
	s_wait_dscnt 0x0
	v_mul_f64_e32 v[40:41], v[42:43], v[40:41]
	s_delay_alu instid0(VALU_DEP_1)
	v_mul_f64_e32 v[38:39], v[38:39], v[40:41]
	ds_store_2addr_b64 v0, v[38:39], v[38:39] offset0:33 offset1:96
.LBB137_489:                            ;   in Loop: Header=BB137_3 Depth=1
	s_or_b32 exec_lo, exec_lo, s10
	v_mov_b64_e32 v[38:39], 0
	s_wait_dscnt 0x0
	s_barrier_signal -1
	s_barrier_wait -1
	global_wb scope:SCOPE_DEV
	s_wait_storecnt 0x0
	global_inv scope:SCOPE_DEV
	s_and_saveexec_b32 s65, s35
	s_cbranch_execz .LBB137_551
; %bb.490:                              ;   in Loop: Header=BB137_3 Depth=1
	ds_load_b64 v[38:39], v67 offset:16384
	ds_load_b64 v[40:41], v68 offset:32512
	s_wait_dscnt 0x0
	v_fma_f64 v[38:39], v[38:39], v[40:41], 0
	s_mov_b32 s10, exec_lo
	v_readlane_b32 s11, v100, 2
	s_and_b32 s11, s10, s11
	s_delay_alu instid0(SALU_CYCLE_1)
	s_mov_b32 exec_lo, s11
	s_cbranch_execz .LBB137_492
; %bb.491:                              ;   in Loop: Header=BB137_3 Depth=1
	ds_load_b64 v[40:41], v67 offset:16896
	ds_load_b64 v[42:43], v68 offset:32520
	s_wait_dscnt 0x0
	v_fmac_f64_e32 v[38:39], v[40:41], v[42:43]
.LBB137_492:                            ;   in Loop: Header=BB137_3 Depth=1
	s_or_b32 exec_lo, exec_lo, s10
	s_delay_alu instid0(SALU_CYCLE_1) | instskip(SKIP_2) | instid1(SALU_CYCLE_1)
	s_mov_b32 s10, exec_lo
	v_readlane_b32 s11, v100, 3
	s_and_b32 s11, s10, s11
	s_mov_b32 exec_lo, s11
	s_cbranch_execz .LBB137_494
; %bb.493:                              ;   in Loop: Header=BB137_3 Depth=1
	ds_load_b64 v[40:41], v67 offset:17408
	ds_load_b64 v[42:43], v68 offset:32528
	s_wait_dscnt 0x0
	v_fmac_f64_e32 v[38:39], v[40:41], v[42:43]
.LBB137_494:                            ;   in Loop: Header=BB137_3 Depth=1
	s_or_b32 exec_lo, exec_lo, s10
	s_delay_alu instid0(SALU_CYCLE_1) | instskip(SKIP_2) | instid1(SALU_CYCLE_1)
	s_mov_b32 s10, exec_lo
	v_readlane_b32 s11, v100, 4
	s_and_b32 s11, s10, s11
	;; [unrolled: 13-line block ×22, first 2 shown]
	s_mov_b32 exec_lo, s11
	s_cbranch_execz .LBB137_536
; %bb.535:                              ;   in Loop: Header=BB137_3 Depth=1
	ds_load_b64 v[40:41], v67 offset:28160
	ds_load_b64 v[42:43], v68 offset:32696
	s_wait_dscnt 0x0
	v_fmac_f64_e32 v[38:39], v[40:41], v[42:43]
.LBB137_536:                            ;   in Loop: Header=BB137_3 Depth=1
	s_or_b32 exec_lo, exec_lo, s10
	s_and_saveexec_b32 s10, s5
	s_cbranch_execz .LBB137_538
; %bb.537:                              ;   in Loop: Header=BB137_3 Depth=1
	ds_load_b64 v[40:41], v67 offset:28672
	ds_load_b64 v[42:43], v68 offset:32704
	s_wait_dscnt 0x0
	v_fmac_f64_e32 v[38:39], v[40:41], v[42:43]
.LBB137_538:                            ;   in Loop: Header=BB137_3 Depth=1
	s_or_b32 exec_lo, exec_lo, s10
	s_delay_alu instid0(SALU_CYCLE_1) | instskip(SKIP_2) | instid1(SALU_CYCLE_1)
	s_mov_b32 s10, exec_lo
	v_readlane_b32 s11, v101, 24
	s_and_b32 s11, s10, s11
	s_mov_b32 exec_lo, s11
	s_cbranch_execz .LBB137_540
; %bb.539:                              ;   in Loop: Header=BB137_3 Depth=1
	ds_load_b64 v[40:41], v67 offset:29184
	ds_load_b64 v[42:43], v68 offset:32712
	s_wait_dscnt 0x0
	v_fmac_f64_e32 v[38:39], v[40:41], v[42:43]
.LBB137_540:                            ;   in Loop: Header=BB137_3 Depth=1
	s_or_b32 exec_lo, exec_lo, s10
	s_delay_alu instid0(SALU_CYCLE_1) | instskip(SKIP_2) | instid1(SALU_CYCLE_1)
	s_mov_b32 s10, exec_lo
	v_readlane_b32 s11, v101, 26
	s_and_b32 s11, s10, s11
	s_mov_b32 exec_lo, s11
	;; [unrolled: 13-line block ×5, first 2 shown]
	s_cbranch_execnz .LBB137_1123
; %bb.547:                              ;   in Loop: Header=BB137_3 Depth=1
	s_or_b32 exec_lo, exec_lo, s10
	s_and_saveexec_b32 s10, s4
	s_cbranch_execnz .LBB137_1124
.LBB137_548:                            ;   in Loop: Header=BB137_3 Depth=1
	s_or_b32 exec_lo, exec_lo, s10
	s_and_saveexec_b32 s10, s21
	s_delay_alu instid0(SALU_CYCLE_1)
	s_xor_b32 s10, exec_lo, s10
	s_cbranch_execz .LBB137_550
.LBB137_549:                            ;   in Loop: Header=BB137_3 Depth=1
	ds_load_b64 v[40:41], v48 offset:32256
	ds_load_b64 v[42:43], v1 offset:32760
	s_wait_dscnt 0x0
	v_fmac_f64_e32 v[38:39], v[40:41], v[42:43]
.LBB137_550:                            ;   in Loop: Header=BB137_3 Depth=1
	s_or_b32 exec_lo, exec_lo, s10
.LBB137_551:                            ;   in Loop: Header=BB137_3 Depth=1
	s_delay_alu instid0(SALU_CYCLE_1)
	s_or_b32 exec_lo, exec_lo, s65
	v_mov_b32_e32 v0, v69
	s_mov_b32 s10, 31
	s_branch .LBB137_553
.LBB137_552:                            ;   in Loop: Header=BB137_553 Depth=2
	s_or_b32 exec_lo, exec_lo, s11
	v_add_nc_u32_e32 v0, 0xfffff800, v0
	s_add_co_i32 s10, s10, -4
	s_cmp_eq_u32 s65, 0
	s_barrier_signal -1
	s_barrier_wait -1
	s_cbranch_scc1 .LBB137_569
.LBB137_553:                            ;   Parent Loop BB137_3 Depth=1
                                        ; =>  This Inner Loop Header: Depth=2
	s_delay_alu instid0(VALU_DEP_1) | instskip(SKIP_1) | instid1(SALU_CYCLE_1)
	v_cmp_eq_u32_e32 vcc_lo, 0xffffc200, v0
	s_and_b32 s12, s13, vcc_lo
	s_and_saveexec_b32 s11, s12
	s_cbranch_execz .LBB137_555
; %bb.554:                              ;   in Loop: Header=BB137_553 Depth=2
	ds_load_b64 v[40:41], v88
	s_wait_dscnt 0x0
	v_mul_f64_e32 v[38:39], v[38:39], v[40:41]
	s_delay_alu instid0(VALU_DEP_1) | instskip(NEXT) | instid1(VALU_DEP_2)
	v_xor_b32_e32 v41, 0x80000000, v39
	v_mov_b32_e32 v40, v38
	ds_store_b64 v66, v[40:41]
.LBB137_555:                            ;   in Loop: Header=BB137_553 Depth=2
	s_or_b32 exec_lo, exec_lo, s11
	v_cmp_gt_u32_e32 vcc_lo, s10, v64
	v_add_nc_u32_e32 v40, v79, v0
	s_wait_loadcnt_dscnt 0x0
	s_barrier_signal -1
	s_barrier_wait -1
	s_and_b32 s12, s13, vcc_lo
	s_delay_alu instid0(SALU_CYCLE_1)
	s_and_saveexec_b32 s11, s12
	s_cbranch_execz .LBB137_557
; %bb.556:                              ;   in Loop: Header=BB137_553 Depth=2
	ds_load_b64 v[42:43], v40 offset:1536
	ds_load_b64 v[94:95], v66
	s_wait_dscnt 0x0
	v_fma_f64 v[38:39], -v[42:43], v[94:95], v[38:39]
.LBB137_557:                            ;   in Loop: Header=BB137_553 Depth=2
	s_or_b32 exec_lo, exec_lo, s11
	s_add_co_i32 s11, s10, -1
	s_delay_alu instid0(SALU_CYCLE_1) | instskip(SKIP_3) | instid1(SALU_CYCLE_1)
	v_cmp_eq_u32_e32 vcc_lo, s11, v64
	s_barrier_signal -1
	s_barrier_wait -1
	s_and_b32 s12, s13, vcc_lo
	s_and_saveexec_b32 s65, s12
	s_cbranch_execz .LBB137_559
; %bb.558:                              ;   in Loop: Header=BB137_553 Depth=2
	ds_load_b64 v[42:43], v88
	s_wait_dscnt 0x0
	v_mul_f64_e32 v[38:39], v[38:39], v[42:43]
	s_delay_alu instid0(VALU_DEP_1) | instskip(NEXT) | instid1(VALU_DEP_2)
	v_xor_b32_e32 v43, 0x80000000, v39
	v_mov_b32_e32 v42, v38
	ds_store_b64 v66, v[42:43]
.LBB137_559:                            ;   in Loop: Header=BB137_553 Depth=2
	s_or_b32 exec_lo, exec_lo, s65
	v_cmp_gt_u32_e32 vcc_lo, s11, v64
	s_wait_dscnt 0x0
	s_barrier_signal -1
	s_barrier_wait -1
	s_and_b32 s12, s13, vcc_lo
	s_delay_alu instid0(SALU_CYCLE_1)
	s_and_saveexec_b32 s11, s12
	s_cbranch_execz .LBB137_561
; %bb.560:                              ;   in Loop: Header=BB137_553 Depth=2
	ds_load_b64 v[42:43], v40 offset:1024
	ds_load_b64 v[94:95], v66
	s_wait_dscnt 0x0
	v_fma_f64 v[38:39], -v[42:43], v[94:95], v[38:39]
.LBB137_561:                            ;   in Loop: Header=BB137_553 Depth=2
	s_or_b32 exec_lo, exec_lo, s11
	s_add_co_i32 s11, s10, -2
	s_delay_alu instid0(SALU_CYCLE_1) | instskip(SKIP_3) | instid1(SALU_CYCLE_1)
	v_cmp_eq_u32_e32 vcc_lo, s11, v64
	s_barrier_signal -1
	s_barrier_wait -1
	s_and_b32 s12, s13, vcc_lo
	s_and_saveexec_b32 s65, s12
	s_cbranch_execz .LBB137_563
; %bb.562:                              ;   in Loop: Header=BB137_553 Depth=2
	ds_load_b64 v[42:43], v88
	s_wait_dscnt 0x0
	v_mul_f64_e32 v[38:39], v[38:39], v[42:43]
	s_delay_alu instid0(VALU_DEP_1) | instskip(NEXT) | instid1(VALU_DEP_2)
	v_xor_b32_e32 v43, 0x80000000, v39
	v_mov_b32_e32 v42, v38
	ds_store_b64 v66, v[42:43]
.LBB137_563:                            ;   in Loop: Header=BB137_553 Depth=2
	s_or_b32 exec_lo, exec_lo, s65
	v_cmp_gt_u32_e32 vcc_lo, s11, v64
	s_wait_dscnt 0x0
	;; [unrolled: 33-line block ×3, first 2 shown]
	s_barrier_signal -1
	s_barrier_wait -1
	s_and_b32 s12, s13, vcc_lo
	s_delay_alu instid0(SALU_CYCLE_1)
	s_and_saveexec_b32 s11, s12
	s_cbranch_execz .LBB137_552
; %bb.568:                              ;   in Loop: Header=BB137_553 Depth=2
	ds_load_b64 v[40:41], v40
	ds_load_b64 v[42:43], v66
	s_wait_dscnt 0x0
	v_fma_f64 v[38:39], -v[40:41], v[42:43], v[38:39]
	s_branch .LBB137_552
.LBB137_569:                            ;   in Loop: Header=BB137_3 Depth=1
	s_and_saveexec_b32 s10, s35
; %bb.570:                              ;   in Loop: Header=BB137_3 Depth=1
	ds_store_b64 v70, v[38:39] offset:32256
; %bb.571:                              ;   in Loop: Header=BB137_3 Depth=1
	s_or_b32 exec_lo, exec_lo, s10
	s_wait_dscnt 0x0
	s_barrier_signal -1
	s_barrier_wait -1
	s_barrier_signal -1
	s_barrier_wait -1
	s_mov_b32 s10, exec_lo
	v_readlane_b32 s11, v101, 5
	s_and_b32 s11, s10, s11
	s_delay_alu instid0(SALU_CYCLE_1)
	s_mov_b32 exec_lo, s11
	s_cbranch_execz .LBB137_573
; %bb.572:                              ;   in Loop: Header=BB137_3 Depth=1
	ds_load_b64 v[38:39], v50 offset:16384
	s_wait_dscnt 0x0
	ds_store_b64 v54, v[38:39] offset:256
	ds_load_b64 v[38:39], v50 offset:16392
	s_wait_dscnt 0x0
	ds_store_b64 v54, v[38:39] offset:768
	;; [unrolled: 3-line block ×32, first 2 shown]
.LBB137_573:                            ;   in Loop: Header=BB137_3 Depth=1
	s_or_b32 exec_lo, exec_lo, s10
	s_wait_dscnt 0x0
	s_barrier_signal -1
	s_barrier_wait -1
	s_and_saveexec_b32 s10, s14
	s_cbranch_execz .LBB137_575
; %bb.574:                              ;   in Loop: Header=BB137_3 Depth=1
	ds_load_b128 v[38:41], v1 offset:16112
	ds_load_b64 v[42:43], v1 offset:15600
	v_add_nc_u32_e64 v0, 0x3800, 0
	s_wait_dscnt 0x0
	v_mul_f64_e32 v[40:41], v[42:43], v[40:41]
	s_delay_alu instid0(VALU_DEP_1)
	v_mul_f64_e32 v[38:39], v[38:39], v[40:41]
	ds_store_2addr_b64 v0, v[38:39], v[38:39] offset0:159 offset1:222
.LBB137_575:                            ;   in Loop: Header=BB137_3 Depth=1
	s_or_b32 exec_lo, exec_lo, s10
	v_mov_b64_e32 v[38:39], 0
	s_wait_dscnt 0x0
	s_barrier_signal -1
	s_barrier_wait -1
	global_wb scope:SCOPE_DEV
	s_wait_storecnt 0x0
	global_inv scope:SCOPE_DEV
	s_and_saveexec_b32 s10, s1
	s_cbranch_execz .LBB137_579
; %bb.576:                              ;   in Loop: Header=BB137_3 Depth=1
	ds_load_b64 v[38:39], v47 offset:15584
	ds_load_b64 v[40:41], v46 offset:16112
	s_wait_dscnt 0x0
	v_fma_f64 v[38:39], v[38:39], v[40:41], 0
	s_and_saveexec_b32 s11, s15
	s_cbranch_execz .LBB137_578
; %bb.577:                              ;   in Loop: Header=BB137_3 Depth=1
	ds_load_b64 v[40:41], v48 offset:16096
	ds_load_b64 v[42:43], v1 offset:16120
	s_wait_dscnt 0x0
	v_fmac_f64_e32 v[38:39], v[40:41], v[42:43]
.LBB137_578:                            ;   in Loop: Header=BB137_3 Depth=1
	s_or_b32 exec_lo, exec_lo, s11
.LBB137_579:                            ;   in Loop: Header=BB137_3 Depth=1
	s_delay_alu instid0(SALU_CYCLE_1)
	s_or_b32 exec_lo, exec_lo, s10
	s_and_saveexec_b32 s10, s90
	s_cbranch_execz .LBB137_581
; %bb.580:                              ;   in Loop: Header=BB137_3 Depth=1
	ds_load_b64 v[40:41], v1 offset:15080
	s_wait_dscnt 0x0
	v_mul_f64_e32 v[38:39], v[38:39], v[40:41]
	s_delay_alu instid0(VALU_DEP_1) | instskip(NEXT) | instid1(VALU_DEP_2)
	v_xor_b32_e32 v41, 0x80000000, v39
	v_mov_b32_e32 v40, v38
	ds_store_b64 v3, v[40:41]
.LBB137_581:                            ;   in Loop: Header=BB137_3 Depth=1
	s_or_b32 exec_lo, exec_lo, s10
	s_wait_loadcnt_dscnt 0x0
	s_barrier_signal -1
	s_barrier_wait -1
	s_and_saveexec_b32 s10, s91
	s_cbranch_execz .LBB137_583
; %bb.582:                              ;   in Loop: Header=BB137_3 Depth=1
	ds_load_b64 v[40:41], v1 offset:15072
	ds_load_b64 v[42:43], v3
	s_wait_dscnt 0x0
	v_fma_f64 v[38:39], -v[40:41], v[42:43], v[38:39]
.LBB137_583:                            ;   in Loop: Header=BB137_3 Depth=1
	s_or_b32 exec_lo, exec_lo, s10
	s_barrier_signal -1
	s_barrier_wait -1
	s_and_saveexec_b32 s10, s91
	s_cbranch_execz .LBB137_585
; %bb.584:                              ;   in Loop: Header=BB137_3 Depth=1
	ds_load_b64 v[40:41], v1 offset:14560
	s_wait_dscnt 0x0
	v_mul_f64_e32 v[38:39], v[38:39], v[40:41]
	s_delay_alu instid0(VALU_DEP_1) | instskip(NEXT) | instid1(VALU_DEP_2)
	v_xor_b32_e32 v41, 0x80000000, v39
	v_mov_b32_e32 v40, v38
	ds_store_b64 v3, v[40:41]
.LBB137_585:                            ;   in Loop: Header=BB137_3 Depth=1
	s_or_b32 exec_lo, exec_lo, s10
	s_wait_dscnt 0x0
	s_barrier_signal -1
	s_barrier_wait -1
	s_barrier_signal -1
	s_barrier_wait -1
	s_and_saveexec_b32 s10, s1
; %bb.586:                              ;   in Loop: Header=BB137_3 Depth=1
	ds_store_b64 v49, v[38:39] offset:16096
; %bb.587:                              ;   in Loop: Header=BB137_3 Depth=1
	s_or_b32 exec_lo, exec_lo, s10
	s_wait_dscnt 0x0
	s_barrier_signal -1
	s_barrier_wait -1
	s_barrier_signal -1
	s_barrier_wait -1
	s_and_saveexec_b32 s10, s92
	s_cbranch_execz .LBB137_589
; %bb.588:                              ;   in Loop: Header=BB137_3 Depth=1
	ds_load_b64 v[38:39], v50 offset:15584
	s_wait_dscnt 0x0
	ds_store_b64 v48, v[38:39] offset:14576
	ds_load_b64 v[38:39], v50 offset:15592
	s_wait_dscnt 0x0
	ds_store_b64 v48, v[38:39] offset:15088
.LBB137_589:                            ;   in Loop: Header=BB137_3 Depth=1
	s_or_b32 exec_lo, exec_lo, s10
	s_wait_dscnt 0x0
	s_barrier_signal -1
	s_barrier_wait -1
	s_and_saveexec_b32 s10, s14
	s_cbranch_execz .LBB137_591
; %bb.590:                              ;   in Loop: Header=BB137_3 Depth=1
	ds_load_b128 v[38:41], v1 offset:15072
	ds_load_b64 v[42:43], v1 offset:14560
	v_add_nc_u32_e64 v0, 0x3800, 0
	s_wait_dscnt 0x0
	v_mul_f64_e32 v[40:41], v[42:43], v[40:41]
	s_delay_alu instid0(VALU_DEP_1)
	v_mul_f64_e32 v[38:39], v[38:39], v[40:41]
	ds_store_2addr_b64 v0, v[38:39], v[38:39] offset0:29 offset1:92
.LBB137_591:                            ;   in Loop: Header=BB137_3 Depth=1
	s_or_b32 exec_lo, exec_lo, s10
	v_mov_b64_e32 v[38:39], 0
	s_wait_dscnt 0x0
	s_barrier_signal -1
	s_barrier_wait -1
	global_wb scope:SCOPE_DEV
	s_wait_storecnt 0x0
	global_inv scope:SCOPE_DEV
	s_and_saveexec_b32 s10, s3
	s_cbranch_execz .LBB137_597
; %bb.592:                              ;   in Loop: Header=BB137_3 Depth=1
	ds_load_b64 v[38:39], v53 offset:14528
	ds_load_b64 v[40:41], v52 offset:16096
	s_wait_dscnt 0x0
	v_fma_f64 v[38:39], v[38:39], v[40:41], 0
	s_and_saveexec_b32 s11, s16
	s_cbranch_execnz .LBB137_1125
; %bb.593:                              ;   in Loop: Header=BB137_3 Depth=1
	s_or_b32 exec_lo, exec_lo, s11
	s_and_saveexec_b32 s11, s17
	s_cbranch_execnz .LBB137_1126
.LBB137_594:                            ;   in Loop: Header=BB137_3 Depth=1
	s_or_b32 exec_lo, exec_lo, s11
	s_and_saveexec_b32 s11, s1
	s_cbranch_execz .LBB137_596
.LBB137_595:                            ;   in Loop: Header=BB137_3 Depth=1
	ds_load_b64 v[40:41], v54 offset:16064
	ds_load_b64 v[42:43], v1 offset:16120
	s_wait_dscnt 0x0
	v_fmac_f64_e32 v[38:39], v[40:41], v[42:43]
.LBB137_596:                            ;   in Loop: Header=BB137_3 Depth=1
	s_or_b32 exec_lo, exec_lo, s11
.LBB137_597:                            ;   in Loop: Header=BB137_3 Depth=1
	s_delay_alu instid0(SALU_CYCLE_1)
	s_or_b32 exec_lo, exec_lo, s10
	s_and_saveexec_b32 s10, s93
	s_cbranch_execz .LBB137_599
; %bb.598:                              ;   in Loop: Header=BB137_3 Depth=1
	ds_load_b64 v[40:41], v1 offset:14040
	s_wait_dscnt 0x0
	v_mul_f64_e32 v[38:39], v[38:39], v[40:41]
	s_delay_alu instid0(VALU_DEP_1) | instskip(NEXT) | instid1(VALU_DEP_2)
	v_xor_b32_e32 v41, 0x80000000, v39
	v_mov_b32_e32 v40, v38
	ds_store_b64 v51, v[40:41]
.LBB137_599:                            ;   in Loop: Header=BB137_3 Depth=1
	s_or_b32 exec_lo, exec_lo, s10
	s_wait_loadcnt_dscnt 0x0
	s_barrier_signal -1
	s_barrier_wait -1
	s_and_saveexec_b32 s10, s94
	s_cbranch_execz .LBB137_601
; %bb.600:                              ;   in Loop: Header=BB137_3 Depth=1
	ds_load_b64 v[40:41], v53 offset:14016
	ds_load_b64 v[42:43], v51
	s_wait_dscnt 0x0
	v_fma_f64 v[38:39], -v[40:41], v[42:43], v[38:39]
.LBB137_601:                            ;   in Loop: Header=BB137_3 Depth=1
	s_or_b32 exec_lo, exec_lo, s10
	s_barrier_signal -1
	s_barrier_wait -1
	s_and_saveexec_b32 s10, s95
	s_cbranch_execz .LBB137_603
; %bb.602:                              ;   in Loop: Header=BB137_3 Depth=1
	ds_load_b64 v[40:41], v1 offset:13520
	s_wait_dscnt 0x0
	v_mul_f64_e32 v[38:39], v[38:39], v[40:41]
	s_delay_alu instid0(VALU_DEP_1) | instskip(NEXT) | instid1(VALU_DEP_2)
	v_xor_b32_e32 v41, 0x80000000, v39
	v_mov_b32_e32 v40, v38
	ds_store_b64 v51, v[40:41]
.LBB137_603:                            ;   in Loop: Header=BB137_3 Depth=1
	s_or_b32 exec_lo, exec_lo, s10
	s_wait_dscnt 0x0
	s_barrier_signal -1
	s_barrier_wait -1
	s_and_saveexec_b32 s10, s96
	s_cbranch_execz .LBB137_605
; %bb.604:                              ;   in Loop: Header=BB137_3 Depth=1
	ds_load_b64 v[40:41], v53 offset:13504
	ds_load_b64 v[42:43], v51
	s_wait_dscnt 0x0
	v_fma_f64 v[38:39], -v[40:41], v[42:43], v[38:39]
.LBB137_605:                            ;   in Loop: Header=BB137_3 Depth=1
	s_or_b32 exec_lo, exec_lo, s10
	s_barrier_signal -1
	s_barrier_wait -1
	s_and_saveexec_b32 s10, s97
	s_cbranch_execz .LBB137_607
; %bb.606:                              ;   in Loop: Header=BB137_3 Depth=1
	ds_load_b64 v[40:41], v1 offset:13000
	s_wait_dscnt 0x0
	v_mul_f64_e32 v[38:39], v[38:39], v[40:41]
	s_delay_alu instid0(VALU_DEP_1) | instskip(NEXT) | instid1(VALU_DEP_2)
	v_xor_b32_e32 v41, 0x80000000, v39
	v_mov_b32_e32 v40, v38
	ds_store_b64 v51, v[40:41]
.LBB137_607:                            ;   in Loop: Header=BB137_3 Depth=1
	s_or_b32 exec_lo, exec_lo, s10
	s_wait_dscnt 0x0
	;; [unrolled: 26-line block ×3, first 2 shown]
	s_barrier_signal -1
	s_barrier_wait -1
	s_barrier_signal -1
	s_barrier_wait -1
	s_and_saveexec_b32 s10, s3
; %bb.612:                              ;   in Loop: Header=BB137_3 Depth=1
	ds_store_b64 v55, v[38:39] offset:16064
; %bb.613:                              ;   in Loop: Header=BB137_3 Depth=1
	s_or_b32 exec_lo, exec_lo, s10
	s_wait_dscnt 0x0
	s_barrier_signal -1
	s_barrier_wait -1
	s_barrier_signal -1
	s_barrier_wait -1
	s_and_saveexec_b32 s10, s99
	s_cbranch_execz .LBB137_615
; %bb.614:                              ;   in Loop: Header=BB137_3 Depth=1
	ds_load_b64 v[38:39], v56 offset:14528
	s_wait_dscnt 0x0
	ds_store_b64 v5, v[38:39] offset:12512
	ds_load_b64 v[38:39], v56 offset:14536
	s_wait_dscnt 0x0
	ds_store_b64 v5, v[38:39] offset:13024
	;; [unrolled: 3-line block ×4, first 2 shown]
.LBB137_615:                            ;   in Loop: Header=BB137_3 Depth=1
	s_or_b32 exec_lo, exec_lo, s10
	s_wait_dscnt 0x0
	s_barrier_signal -1
	s_barrier_wait -1
	s_and_saveexec_b32 s10, s14
	s_cbranch_execz .LBB137_617
; %bb.616:                              ;   in Loop: Header=BB137_3 Depth=1
	ds_load_b128 v[38:41], v1 offset:14032
	ds_load_b64 v[42:43], v1 offset:13520
	v_add_nc_u32_e64 v0, 0x3000, 0
	s_wait_dscnt 0x0
	v_mul_f64_e32 v[40:41], v[42:43], v[40:41]
	s_delay_alu instid0(VALU_DEP_1)
	v_mul_f64_e32 v[38:39], v[38:39], v[40:41]
	ds_store_2addr_b64 v0, v[38:39], v[38:39] offset0:155 offset1:218
.LBB137_617:                            ;   in Loop: Header=BB137_3 Depth=1
	s_or_b32 exec_lo, exec_lo, s10
	v_mov_b64_e32 v[38:39], 0
	s_wait_dscnt 0x0
	s_barrier_signal -1
	s_barrier_wait -1
	global_wb scope:SCOPE_DEV
	s_wait_storecnt 0x0
	global_inv scope:SCOPE_DEV
	s_and_saveexec_b32 s10, s1
	s_cbranch_execz .LBB137_621
; %bb.618:                              ;   in Loop: Header=BB137_3 Depth=1
	ds_load_b64 v[38:39], v47 offset:13504
	ds_load_b64 v[40:41], v46 offset:14032
	s_wait_dscnt 0x0
	v_fma_f64 v[38:39], v[38:39], v[40:41], 0
	s_and_saveexec_b32 s11, s15
	s_cbranch_execz .LBB137_620
; %bb.619:                              ;   in Loop: Header=BB137_3 Depth=1
	ds_load_b64 v[40:41], v5 offset:14016
	ds_load_b64 v[42:43], v1 offset:14040
	s_wait_dscnt 0x0
	v_fmac_f64_e32 v[38:39], v[40:41], v[42:43]
.LBB137_620:                            ;   in Loop: Header=BB137_3 Depth=1
	s_or_b32 exec_lo, exec_lo, s11
.LBB137_621:                            ;   in Loop: Header=BB137_3 Depth=1
	s_delay_alu instid0(SALU_CYCLE_1)
	s_or_b32 exec_lo, exec_lo, s10
	s_and_saveexec_b32 s10, s90
	s_cbranch_execz .LBB137_623
; %bb.622:                              ;   in Loop: Header=BB137_3 Depth=1
	ds_load_b64 v[40:41], v1 offset:13000
	s_wait_dscnt 0x0
	v_mul_f64_e32 v[38:39], v[38:39], v[40:41]
	s_delay_alu instid0(VALU_DEP_1) | instskip(NEXT) | instid1(VALU_DEP_2)
	v_xor_b32_e32 v41, 0x80000000, v39
	v_mov_b32_e32 v40, v38
	ds_store_b64 v3, v[40:41]
.LBB137_623:                            ;   in Loop: Header=BB137_3 Depth=1
	s_or_b32 exec_lo, exec_lo, s10
	s_wait_loadcnt_dscnt 0x0
	s_barrier_signal -1
	s_barrier_wait -1
	s_and_saveexec_b32 s10, s91
	s_cbranch_execz .LBB137_625
; %bb.624:                              ;   in Loop: Header=BB137_3 Depth=1
	ds_load_b64 v[40:41], v1 offset:12992
	ds_load_b64 v[42:43], v3
	s_wait_dscnt 0x0
	v_fma_f64 v[38:39], -v[40:41], v[42:43], v[38:39]
.LBB137_625:                            ;   in Loop: Header=BB137_3 Depth=1
	s_or_b32 exec_lo, exec_lo, s10
	s_barrier_signal -1
	s_barrier_wait -1
	s_and_saveexec_b32 s10, s91
	s_cbranch_execz .LBB137_627
; %bb.626:                              ;   in Loop: Header=BB137_3 Depth=1
	ds_load_b64 v[40:41], v1 offset:12480
	s_wait_dscnt 0x0
	v_mul_f64_e32 v[38:39], v[38:39], v[40:41]
	s_delay_alu instid0(VALU_DEP_1) | instskip(NEXT) | instid1(VALU_DEP_2)
	v_xor_b32_e32 v41, 0x80000000, v39
	v_mov_b32_e32 v40, v38
	ds_store_b64 v3, v[40:41]
.LBB137_627:                            ;   in Loop: Header=BB137_3 Depth=1
	s_or_b32 exec_lo, exec_lo, s10
	s_wait_dscnt 0x0
	s_barrier_signal -1
	s_barrier_wait -1
	s_barrier_signal -1
	s_barrier_wait -1
	s_and_saveexec_b32 s10, s1
; %bb.628:                              ;   in Loop: Header=BB137_3 Depth=1
	ds_store_b64 v49, v[38:39] offset:14016
; %bb.629:                              ;   in Loop: Header=BB137_3 Depth=1
	s_or_b32 exec_lo, exec_lo, s10
	s_wait_dscnt 0x0
	s_barrier_signal -1
	s_barrier_wait -1
	s_barrier_signal -1
	s_barrier_wait -1
	s_and_saveexec_b32 s10, s92
	s_cbranch_execz .LBB137_631
; %bb.630:                              ;   in Loop: Header=BB137_3 Depth=1
	ds_load_b64 v[38:39], v71 offset:13504
	s_wait_dscnt 0x0
	ds_store_b64 v5, v[38:39] offset:12496
	ds_load_b64 v[38:39], v71 offset:13512
	s_wait_dscnt 0x0
	ds_store_b64 v5, v[38:39] offset:13008
.LBB137_631:                            ;   in Loop: Header=BB137_3 Depth=1
	s_or_b32 exec_lo, exec_lo, s10
	s_wait_dscnt 0x0
	s_barrier_signal -1
	s_barrier_wait -1
	s_and_saveexec_b32 s10, s14
	s_cbranch_execz .LBB137_633
; %bb.632:                              ;   in Loop: Header=BB137_3 Depth=1
	ds_load_b128 v[38:41], v1 offset:12992
	ds_load_b64 v[42:43], v1 offset:12480
	v_add_nc_u32_e64 v0, 0x3000, 0
	s_wait_dscnt 0x0
	v_mul_f64_e32 v[40:41], v[42:43], v[40:41]
	s_delay_alu instid0(VALU_DEP_1)
	v_mul_f64_e32 v[38:39], v[38:39], v[40:41]
	ds_store_2addr_b64 v0, v[38:39], v[38:39] offset0:25 offset1:88
.LBB137_633:                            ;   in Loop: Header=BB137_3 Depth=1
	s_or_b32 exec_lo, exec_lo, s10
	v_mov_b64_e32 v[38:39], 0
	s_wait_dscnt 0x0
	s_barrier_signal -1
	s_barrier_wait -1
	global_wb scope:SCOPE_DEV
	s_wait_storecnt 0x0
	global_inv scope:SCOPE_DEV
	s_and_saveexec_b32 s10, s4
	s_cbranch_execz .LBB137_643
; %bb.634:                              ;   in Loop: Header=BB137_3 Depth=1
	ds_load_b64 v[38:39], v59 offset:12416
	ds_load_b64 v[40:41], v58 offset:16064
	s_wait_dscnt 0x0
	v_fma_f64 v[38:39], v[38:39], v[40:41], 0
	s_and_saveexec_b32 s11, s18
	s_cbranch_execnz .LBB137_1127
; %bb.635:                              ;   in Loop: Header=BB137_3 Depth=1
	s_or_b32 exec_lo, exec_lo, s11
	s_and_saveexec_b32 s11, s19
	s_cbranch_execnz .LBB137_1128
.LBB137_636:                            ;   in Loop: Header=BB137_3 Depth=1
	s_or_b32 exec_lo, exec_lo, s11
	s_and_saveexec_b32 s11, s20
	s_cbranch_execnz .LBB137_1129
.LBB137_637:                            ;   in Loop: Header=BB137_3 Depth=1
	s_or_b32 exec_lo, exec_lo, s11
	s_and_saveexec_b32 s11, s21
	s_cbranch_execnz .LBB137_1130
.LBB137_638:                            ;   in Loop: Header=BB137_3 Depth=1
	s_or_b32 exec_lo, exec_lo, s11
	s_and_saveexec_b32 s11, s22
	s_cbranch_execnz .LBB137_1131
.LBB137_639:                            ;   in Loop: Header=BB137_3 Depth=1
	s_or_b32 exec_lo, exec_lo, s11
	s_and_saveexec_b32 s11, s3
	s_cbranch_execnz .LBB137_1132
.LBB137_640:                            ;   in Loop: Header=BB137_3 Depth=1
	s_or_b32 exec_lo, exec_lo, s11
	s_and_saveexec_b32 s11, s17
	s_cbranch_execz .LBB137_642
.LBB137_641:                            ;   in Loop: Header=BB137_3 Depth=1
	ds_load_b64 v[40:41], v72 offset:16000
	ds_load_b64 v[42:43], v1 offset:16120
	s_wait_dscnt 0x0
	v_fmac_f64_e32 v[38:39], v[40:41], v[42:43]
.LBB137_642:                            ;   in Loop: Header=BB137_3 Depth=1
	s_or_b32 exec_lo, exec_lo, s11
.LBB137_643:                            ;   in Loop: Header=BB137_3 Depth=1
	s_delay_alu instid0(SALU_CYCLE_1)
	s_or_b32 exec_lo, exec_lo, s10
	s_and_saveexec_b32 s10, s100
	s_cbranch_execz .LBB137_645
; %bb.644:                              ;   in Loop: Header=BB137_3 Depth=1
	ds_load_b64 v[40:41], v1 offset:11960
	s_wait_dscnt 0x0
	v_mul_f64_e32 v[38:39], v[38:39], v[40:41]
	s_delay_alu instid0(VALU_DEP_1) | instskip(NEXT) | instid1(VALU_DEP_2)
	v_xor_b32_e32 v41, 0x80000000, v39
	v_mov_b32_e32 v40, v38
	ds_store_b64 v57, v[40:41]
.LBB137_645:                            ;   in Loop: Header=BB137_3 Depth=1
	s_or_b32 exec_lo, exec_lo, s10
	s_wait_loadcnt_dscnt 0x0
	s_barrier_signal -1
	s_barrier_wait -1
	s_and_saveexec_b32 s10, s101
	s_cbranch_execz .LBB137_647
; %bb.646:                              ;   in Loop: Header=BB137_3 Depth=1
	ds_load_b64 v[40:41], v59 offset:11904
	ds_load_b64 v[42:43], v57
	s_wait_dscnt 0x0
	v_fma_f64 v[38:39], -v[40:41], v[42:43], v[38:39]
.LBB137_647:                            ;   in Loop: Header=BB137_3 Depth=1
	s_or_b32 exec_lo, exec_lo, s10
	s_barrier_signal -1
	s_barrier_wait -1
	s_and_saveexec_b32 s10, s102
	s_cbranch_execz .LBB137_649
; %bb.648:                              ;   in Loop: Header=BB137_3 Depth=1
	ds_load_b64 v[40:41], v1 offset:11440
	s_wait_dscnt 0x0
	v_mul_f64_e32 v[38:39], v[38:39], v[40:41]
	s_delay_alu instid0(VALU_DEP_1) | instskip(NEXT) | instid1(VALU_DEP_2)
	v_xor_b32_e32 v41, 0x80000000, v39
	v_mov_b32_e32 v40, v38
	ds_store_b64 v57, v[40:41]
.LBB137_649:                            ;   in Loop: Header=BB137_3 Depth=1
	s_or_b32 exec_lo, exec_lo, s10
	s_wait_dscnt 0x0
	s_barrier_signal -1
	s_barrier_wait -1
	s_and_saveexec_b32 s10, s103
	s_cbranch_execz .LBB137_651
; %bb.650:                              ;   in Loop: Header=BB137_3 Depth=1
	ds_load_b64 v[40:41], v59 offset:11392
	ds_load_b64 v[42:43], v57
	s_wait_dscnt 0x0
	v_fma_f64 v[38:39], -v[40:41], v[42:43], v[38:39]
.LBB137_651:                            ;   in Loop: Header=BB137_3 Depth=1
	s_or_b32 exec_lo, exec_lo, s10
	s_barrier_signal -1
	s_barrier_wait -1
	s_and_saveexec_b32 s10, s104
	s_cbranch_execz .LBB137_653
; %bb.652:                              ;   in Loop: Header=BB137_3 Depth=1
	ds_load_b64 v[40:41], v1 offset:10920
	s_wait_dscnt 0x0
	v_mul_f64_e32 v[38:39], v[38:39], v[40:41]
	s_delay_alu instid0(VALU_DEP_1) | instskip(NEXT) | instid1(VALU_DEP_2)
	v_xor_b32_e32 v41, 0x80000000, v39
	v_mov_b32_e32 v40, v38
	ds_store_b64 v57, v[40:41]
.LBB137_653:                            ;   in Loop: Header=BB137_3 Depth=1
	s_or_b32 exec_lo, exec_lo, s10
	s_wait_dscnt 0x0
	s_barrier_signal -1
	s_barrier_wait -1
	s_and_saveexec_b32 s10, vcc_hi
	s_cbranch_execz .LBB137_655
; %bb.654:                              ;   in Loop: Header=BB137_3 Depth=1
	ds_load_b64 v[40:41], v59 offset:10880
	ds_load_b64 v[42:43], v57
	s_wait_dscnt 0x0
	v_fma_f64 v[38:39], -v[40:41], v[42:43], v[38:39]
.LBB137_655:                            ;   in Loop: Header=BB137_3 Depth=1
	s_or_b32 exec_lo, exec_lo, s10
	s_barrier_signal -1
	s_barrier_wait -1
	s_and_saveexec_b32 s10, s36
	s_cbranch_execz .LBB137_657
; %bb.656:                              ;   in Loop: Header=BB137_3 Depth=1
	ds_load_b64 v[40:41], v1 offset:10400
	s_wait_dscnt 0x0
	v_mul_f64_e32 v[38:39], v[38:39], v[40:41]
	s_delay_alu instid0(VALU_DEP_1) | instskip(NEXT) | instid1(VALU_DEP_2)
	v_xor_b32_e32 v41, 0x80000000, v39
	v_mov_b32_e32 v40, v38
	ds_store_b64 v57, v[40:41]
.LBB137_657:                            ;   in Loop: Header=BB137_3 Depth=1
	s_or_b32 exec_lo, exec_lo, s10
	s_wait_dscnt 0x0
	s_barrier_signal -1
	s_barrier_wait -1
	s_and_saveexec_b32 s10, s37
	s_cbranch_execz .LBB137_659
; %bb.658:                              ;   in Loop: Header=BB137_3 Depth=1
	ds_load_b64 v[40:41], v59 offset:10368
	ds_load_b64 v[42:43], v57
	s_wait_dscnt 0x0
	v_fma_f64 v[38:39], -v[40:41], v[42:43], v[38:39]
.LBB137_659:                            ;   in Loop: Header=BB137_3 Depth=1
	s_or_b32 exec_lo, exec_lo, s10
	s_barrier_signal -1
	s_barrier_wait -1
	s_and_saveexec_b32 s10, s38
	s_cbranch_execz .LBB137_661
; %bb.660:                              ;   in Loop: Header=BB137_3 Depth=1
	ds_load_b64 v[40:41], v1 offset:9880
	s_wait_dscnt 0x0
	v_mul_f64_e32 v[38:39], v[38:39], v[40:41]
	s_delay_alu instid0(VALU_DEP_1) | instskip(NEXT) | instid1(VALU_DEP_2)
	v_xor_b32_e32 v41, 0x80000000, v39
	v_mov_b32_e32 v40, v38
	ds_store_b64 v57, v[40:41]
.LBB137_661:                            ;   in Loop: Header=BB137_3 Depth=1
	s_or_b32 exec_lo, exec_lo, s10
	s_wait_dscnt 0x0
	s_barrier_signal -1
	s_barrier_wait -1
	s_and_saveexec_b32 s10, s39
	;; [unrolled: 26-line block ×4, first 2 shown]
	s_cbranch_execz .LBB137_671
; %bb.670:                              ;   in Loop: Header=BB137_3 Depth=1
	ds_load_b64 v[40:41], v1 offset:8832
	ds_load_b64 v[42:43], v57
	s_wait_dscnt 0x0
	v_fma_f64 v[38:39], -v[40:41], v[42:43], v[38:39]
.LBB137_671:                            ;   in Loop: Header=BB137_3 Depth=1
	s_or_b32 exec_lo, exec_lo, s10
	s_barrier_signal -1
	s_barrier_wait -1
	s_and_saveexec_b32 s10, s43
	s_cbranch_execz .LBB137_673
; %bb.672:                              ;   in Loop: Header=BB137_3 Depth=1
	ds_load_b64 v[40:41], v1 offset:8320
	s_wait_dscnt 0x0
	v_mul_f64_e32 v[38:39], v[38:39], v[40:41]
	s_delay_alu instid0(VALU_DEP_1) | instskip(NEXT) | instid1(VALU_DEP_2)
	v_xor_b32_e32 v41, 0x80000000, v39
	v_mov_b32_e32 v40, v38
	ds_store_b64 v57, v[40:41]
.LBB137_673:                            ;   in Loop: Header=BB137_3 Depth=1
	s_or_b32 exec_lo, exec_lo, s10
	s_wait_dscnt 0x0
	s_barrier_signal -1
	s_barrier_wait -1
	s_barrier_signal -1
	s_barrier_wait -1
	s_and_saveexec_b32 s10, s4
; %bb.674:                              ;   in Loop: Header=BB137_3 Depth=1
	ds_store_b64 v60, v[38:39] offset:16000
; %bb.675:                              ;   in Loop: Header=BB137_3 Depth=1
	s_or_b32 exec_lo, exec_lo, s10
	s_wait_dscnt 0x0
	s_barrier_signal -1
	s_barrier_wait -1
	s_barrier_signal -1
	s_barrier_wait -1
	s_and_saveexec_b32 s10, s44
	s_cbranch_execz .LBB137_677
; %bb.676:                              ;   in Loop: Header=BB137_3 Depth=1
	ds_load_b64 v[38:39], v74 offset:12416
	s_wait_dscnt 0x0
	ds_store_b64 v75, v[38:39] offset:8384
	ds_load_b64 v[38:39], v74 offset:12424
	s_wait_dscnt 0x0
	ds_store_b64 v75, v[38:39] offset:8896
	;; [unrolled: 3-line block ×8, first 2 shown]
.LBB137_677:                            ;   in Loop: Header=BB137_3 Depth=1
	s_or_b32 exec_lo, exec_lo, s10
	s_wait_dscnt 0x0
	s_barrier_signal -1
	s_barrier_wait -1
	s_and_saveexec_b32 s10, s14
	s_cbranch_execz .LBB137_679
; %bb.678:                              ;   in Loop: Header=BB137_3 Depth=1
	ds_load_b128 v[38:41], v1 offset:11952
	ds_load_b64 v[42:43], v1 offset:11440
	v_add_nc_u32_e64 v0, 0x2800, 0
	s_wait_dscnt 0x0
	v_mul_f64_e32 v[40:41], v[42:43], v[40:41]
	s_delay_alu instid0(VALU_DEP_1)
	v_mul_f64_e32 v[38:39], v[38:39], v[40:41]
	ds_store_2addr_b64 v0, v[38:39], v[38:39] offset0:151 offset1:214
.LBB137_679:                            ;   in Loop: Header=BB137_3 Depth=1
	s_or_b32 exec_lo, exec_lo, s10
	v_mov_b64_e32 v[38:39], 0
	s_wait_dscnt 0x0
	s_barrier_signal -1
	s_barrier_wait -1
	global_wb scope:SCOPE_DEV
	s_wait_storecnt 0x0
	global_inv scope:SCOPE_DEV
	s_and_saveexec_b32 s10, s1
	s_cbranch_execz .LBB137_683
; %bb.680:                              ;   in Loop: Header=BB137_3 Depth=1
	ds_load_b64 v[38:39], v47 offset:11424
	ds_load_b64 v[40:41], v46 offset:11952
	s_wait_dscnt 0x0
	v_fma_f64 v[38:39], v[38:39], v[40:41], 0
	s_and_saveexec_b32 s11, s15
	s_cbranch_execz .LBB137_682
; %bb.681:                              ;   in Loop: Header=BB137_3 Depth=1
	ds_load_b64 v[40:41], v75 offset:11936
	ds_load_b64 v[42:43], v1 offset:11960
	s_wait_dscnt 0x0
	v_fmac_f64_e32 v[38:39], v[40:41], v[42:43]
.LBB137_682:                            ;   in Loop: Header=BB137_3 Depth=1
	s_or_b32 exec_lo, exec_lo, s11
.LBB137_683:                            ;   in Loop: Header=BB137_3 Depth=1
	s_delay_alu instid0(SALU_CYCLE_1)
	s_or_b32 exec_lo, exec_lo, s10
	s_and_saveexec_b32 s10, s90
	s_cbranch_execz .LBB137_685
; %bb.684:                              ;   in Loop: Header=BB137_3 Depth=1
	ds_load_b64 v[40:41], v1 offset:10920
	s_wait_dscnt 0x0
	v_mul_f64_e32 v[38:39], v[38:39], v[40:41]
	s_delay_alu instid0(VALU_DEP_1) | instskip(NEXT) | instid1(VALU_DEP_2)
	v_xor_b32_e32 v41, 0x80000000, v39
	v_mov_b32_e32 v40, v38
	ds_store_b64 v3, v[40:41]
.LBB137_685:                            ;   in Loop: Header=BB137_3 Depth=1
	s_or_b32 exec_lo, exec_lo, s10
	s_wait_loadcnt_dscnt 0x0
	s_barrier_signal -1
	s_barrier_wait -1
	s_and_saveexec_b32 s10, s91
	s_cbranch_execz .LBB137_687
; %bb.686:                              ;   in Loop: Header=BB137_3 Depth=1
	ds_load_b64 v[40:41], v1 offset:10912
	ds_load_b64 v[42:43], v3
	s_wait_dscnt 0x0
	v_fma_f64 v[38:39], -v[40:41], v[42:43], v[38:39]
.LBB137_687:                            ;   in Loop: Header=BB137_3 Depth=1
	s_or_b32 exec_lo, exec_lo, s10
	s_barrier_signal -1
	s_barrier_wait -1
	s_and_saveexec_b32 s10, s91
	s_cbranch_execz .LBB137_689
; %bb.688:                              ;   in Loop: Header=BB137_3 Depth=1
	ds_load_b64 v[40:41], v1 offset:10400
	s_wait_dscnt 0x0
	v_mul_f64_e32 v[38:39], v[38:39], v[40:41]
	s_delay_alu instid0(VALU_DEP_1) | instskip(NEXT) | instid1(VALU_DEP_2)
	v_xor_b32_e32 v41, 0x80000000, v39
	v_mov_b32_e32 v40, v38
	ds_store_b64 v3, v[40:41]
.LBB137_689:                            ;   in Loop: Header=BB137_3 Depth=1
	s_or_b32 exec_lo, exec_lo, s10
	s_wait_dscnt 0x0
	s_barrier_signal -1
	s_barrier_wait -1
	s_barrier_signal -1
	s_barrier_wait -1
	s_and_saveexec_b32 s10, s1
; %bb.690:                              ;   in Loop: Header=BB137_3 Depth=1
	ds_store_b64 v49, v[38:39] offset:11936
; %bb.691:                              ;   in Loop: Header=BB137_3 Depth=1
	s_or_b32 exec_lo, exec_lo, s10
	s_wait_dscnt 0x0
	s_barrier_signal -1
	s_barrier_wait -1
	s_barrier_signal -1
	s_barrier_wait -1
	s_and_saveexec_b32 s10, s92
	s_cbranch_execz .LBB137_693
; %bb.692:                              ;   in Loop: Header=BB137_3 Depth=1
	ds_load_b64 v[38:39], v76 offset:11424
	s_wait_dscnt 0x0
	ds_store_b64 v75, v[38:39] offset:10416
	ds_load_b64 v[38:39], v76 offset:11432
	s_wait_dscnt 0x0
	ds_store_b64 v75, v[38:39] offset:10928
.LBB137_693:                            ;   in Loop: Header=BB137_3 Depth=1
	s_or_b32 exec_lo, exec_lo, s10
	s_wait_dscnt 0x0
	s_barrier_signal -1
	s_barrier_wait -1
	s_and_saveexec_b32 s10, s14
	s_cbranch_execz .LBB137_695
; %bb.694:                              ;   in Loop: Header=BB137_3 Depth=1
	ds_load_b128 v[38:41], v1 offset:10912
	ds_load_b64 v[42:43], v1 offset:10400
	v_add_nc_u32_e64 v0, 0x2800, 0
	s_wait_dscnt 0x0
	v_mul_f64_e32 v[40:41], v[42:43], v[40:41]
	s_delay_alu instid0(VALU_DEP_1)
	v_mul_f64_e32 v[38:39], v[38:39], v[40:41]
	ds_store_2addr_b64 v0, v[38:39], v[38:39] offset0:21 offset1:84
.LBB137_695:                            ;   in Loop: Header=BB137_3 Depth=1
	s_or_b32 exec_lo, exec_lo, s10
	v_mov_b64_e32 v[38:39], 0
	s_wait_dscnt 0x0
	s_barrier_signal -1
	s_barrier_wait -1
	global_wb scope:SCOPE_DEV
	s_wait_storecnt 0x0
	global_inv scope:SCOPE_DEV
	s_and_saveexec_b32 s10, s3
	s_cbranch_execz .LBB137_701
; %bb.696:                              ;   in Loop: Header=BB137_3 Depth=1
	ds_load_b64 v[38:39], v53 offset:10368
	ds_load_b64 v[40:41], v52 offset:11936
	s_wait_dscnt 0x0
	v_fma_f64 v[38:39], v[38:39], v[40:41], 0
	s_and_saveexec_b32 s11, s16
	s_cbranch_execnz .LBB137_1133
; %bb.697:                              ;   in Loop: Header=BB137_3 Depth=1
	s_or_b32 exec_lo, exec_lo, s11
	s_and_saveexec_b32 s11, s17
	s_cbranch_execnz .LBB137_1134
.LBB137_698:                            ;   in Loop: Header=BB137_3 Depth=1
	s_or_b32 exec_lo, exec_lo, s11
	s_and_saveexec_b32 s11, s1
	s_cbranch_execz .LBB137_700
.LBB137_699:                            ;   in Loop: Header=BB137_3 Depth=1
	ds_load_b64 v[40:41], v78 offset:11904
	ds_load_b64 v[42:43], v1 offset:11960
	s_wait_dscnt 0x0
	v_fmac_f64_e32 v[38:39], v[40:41], v[42:43]
.LBB137_700:                            ;   in Loop: Header=BB137_3 Depth=1
	s_or_b32 exec_lo, exec_lo, s11
.LBB137_701:                            ;   in Loop: Header=BB137_3 Depth=1
	s_delay_alu instid0(SALU_CYCLE_1)
	s_or_b32 exec_lo, exec_lo, s10
	s_and_saveexec_b32 s10, s93
	s_cbranch_execz .LBB137_703
; %bb.702:                              ;   in Loop: Header=BB137_3 Depth=1
	ds_load_b64 v[40:41], v1 offset:9880
	s_wait_dscnt 0x0
	v_mul_f64_e32 v[38:39], v[38:39], v[40:41]
	s_delay_alu instid0(VALU_DEP_1) | instskip(NEXT) | instid1(VALU_DEP_2)
	v_xor_b32_e32 v41, 0x80000000, v39
	v_mov_b32_e32 v40, v38
	ds_store_b64 v51, v[40:41]
.LBB137_703:                            ;   in Loop: Header=BB137_3 Depth=1
	s_or_b32 exec_lo, exec_lo, s10
	s_wait_loadcnt_dscnt 0x0
	s_barrier_signal -1
	s_barrier_wait -1
	s_and_saveexec_b32 s10, s94
	s_cbranch_execz .LBB137_705
; %bb.704:                              ;   in Loop: Header=BB137_3 Depth=1
	ds_load_b64 v[40:41], v53 offset:9856
	ds_load_b64 v[42:43], v51
	s_wait_dscnt 0x0
	v_fma_f64 v[38:39], -v[40:41], v[42:43], v[38:39]
.LBB137_705:                            ;   in Loop: Header=BB137_3 Depth=1
	s_or_b32 exec_lo, exec_lo, s10
	s_barrier_signal -1
	s_barrier_wait -1
	s_and_saveexec_b32 s10, s95
	s_cbranch_execz .LBB137_707
; %bb.706:                              ;   in Loop: Header=BB137_3 Depth=1
	ds_load_b64 v[40:41], v1 offset:9360
	s_wait_dscnt 0x0
	v_mul_f64_e32 v[38:39], v[38:39], v[40:41]
	s_delay_alu instid0(VALU_DEP_1) | instskip(NEXT) | instid1(VALU_DEP_2)
	v_xor_b32_e32 v41, 0x80000000, v39
	v_mov_b32_e32 v40, v38
	ds_store_b64 v51, v[40:41]
.LBB137_707:                            ;   in Loop: Header=BB137_3 Depth=1
	s_or_b32 exec_lo, exec_lo, s10
	s_wait_dscnt 0x0
	s_barrier_signal -1
	s_barrier_wait -1
	s_and_saveexec_b32 s10, s96
	s_cbranch_execz .LBB137_709
; %bb.708:                              ;   in Loop: Header=BB137_3 Depth=1
	ds_load_b64 v[40:41], v53 offset:9344
	ds_load_b64 v[42:43], v51
	s_wait_dscnt 0x0
	v_fma_f64 v[38:39], -v[40:41], v[42:43], v[38:39]
.LBB137_709:                            ;   in Loop: Header=BB137_3 Depth=1
	s_or_b32 exec_lo, exec_lo, s10
	s_barrier_signal -1
	s_barrier_wait -1
	s_and_saveexec_b32 s10, s97
	s_cbranch_execz .LBB137_711
; %bb.710:                              ;   in Loop: Header=BB137_3 Depth=1
	ds_load_b64 v[40:41], v1 offset:8840
	s_wait_dscnt 0x0
	v_mul_f64_e32 v[38:39], v[38:39], v[40:41]
	s_delay_alu instid0(VALU_DEP_1) | instskip(NEXT) | instid1(VALU_DEP_2)
	v_xor_b32_e32 v41, 0x80000000, v39
	v_mov_b32_e32 v40, v38
	ds_store_b64 v51, v[40:41]
.LBB137_711:                            ;   in Loop: Header=BB137_3 Depth=1
	s_or_b32 exec_lo, exec_lo, s10
	s_wait_dscnt 0x0
	;; [unrolled: 26-line block ×3, first 2 shown]
	s_barrier_signal -1
	s_barrier_wait -1
	s_barrier_signal -1
	s_barrier_wait -1
	s_and_saveexec_b32 s10, s3
; %bb.716:                              ;   in Loop: Header=BB137_3 Depth=1
	ds_store_b64 v55, v[38:39] offset:11904
; %bb.717:                              ;   in Loop: Header=BB137_3 Depth=1
	s_or_b32 exec_lo, exec_lo, s10
	s_wait_dscnt 0x0
	s_barrier_signal -1
	s_barrier_wait -1
	s_barrier_signal -1
	s_barrier_wait -1
	s_and_saveexec_b32 s10, s99
	s_cbranch_execz .LBB137_719
; %bb.718:                              ;   in Loop: Header=BB137_3 Depth=1
	ds_load_b64 v[38:39], v80 offset:10368
	s_wait_dscnt 0x0
	ds_store_b64 v83, v[38:39] offset:8352
	ds_load_b64 v[38:39], v80 offset:10376
	s_wait_dscnt 0x0
	ds_store_b64 v83, v[38:39] offset:8864
	;; [unrolled: 3-line block ×4, first 2 shown]
.LBB137_719:                            ;   in Loop: Header=BB137_3 Depth=1
	s_or_b32 exec_lo, exec_lo, s10
	s_wait_dscnt 0x0
	s_barrier_signal -1
	s_barrier_wait -1
	s_and_saveexec_b32 s10, s14
	s_cbranch_execz .LBB137_721
; %bb.720:                              ;   in Loop: Header=BB137_3 Depth=1
	ds_load_b128 v[38:41], v1 offset:9872
	ds_load_b64 v[42:43], v1 offset:9360
	v_add_nc_u32_e64 v0, 0x2000, 0
	s_wait_dscnt 0x0
	v_mul_f64_e32 v[40:41], v[42:43], v[40:41]
	s_delay_alu instid0(VALU_DEP_1)
	v_mul_f64_e32 v[38:39], v[38:39], v[40:41]
	ds_store_2addr_b64 v0, v[38:39], v[38:39] offset0:147 offset1:210
.LBB137_721:                            ;   in Loop: Header=BB137_3 Depth=1
	s_or_b32 exec_lo, exec_lo, s10
	v_mov_b64_e32 v[38:39], 0
	s_wait_dscnt 0x0
	s_barrier_signal -1
	s_barrier_wait -1
	global_wb scope:SCOPE_DEV
	s_wait_storecnt 0x0
	global_inv scope:SCOPE_DEV
	s_and_saveexec_b32 s10, s1
	s_cbranch_execz .LBB137_725
; %bb.722:                              ;   in Loop: Header=BB137_3 Depth=1
	ds_load_b64 v[38:39], v47 offset:9344
	ds_load_b64 v[40:41], v46 offset:9872
	s_wait_dscnt 0x0
	v_fma_f64 v[38:39], v[38:39], v[40:41], 0
	s_and_saveexec_b32 s11, s15
	s_cbranch_execz .LBB137_724
; %bb.723:                              ;   in Loop: Header=BB137_3 Depth=1
	ds_load_b64 v[40:41], v83 offset:9856
	ds_load_b64 v[42:43], v1 offset:9880
	s_wait_dscnt 0x0
	v_fmac_f64_e32 v[38:39], v[40:41], v[42:43]
.LBB137_724:                            ;   in Loop: Header=BB137_3 Depth=1
	s_or_b32 exec_lo, exec_lo, s11
.LBB137_725:                            ;   in Loop: Header=BB137_3 Depth=1
	s_delay_alu instid0(SALU_CYCLE_1)
	s_or_b32 exec_lo, exec_lo, s10
	s_and_saveexec_b32 s10, s90
	s_cbranch_execz .LBB137_727
; %bb.726:                              ;   in Loop: Header=BB137_3 Depth=1
	ds_load_b64 v[40:41], v1 offset:8840
	s_wait_dscnt 0x0
	v_mul_f64_e32 v[38:39], v[38:39], v[40:41]
	s_delay_alu instid0(VALU_DEP_1) | instskip(NEXT) | instid1(VALU_DEP_2)
	v_xor_b32_e32 v41, 0x80000000, v39
	v_mov_b32_e32 v40, v38
	ds_store_b64 v3, v[40:41]
.LBB137_727:                            ;   in Loop: Header=BB137_3 Depth=1
	s_or_b32 exec_lo, exec_lo, s10
	s_wait_loadcnt_dscnt 0x0
	s_barrier_signal -1
	s_barrier_wait -1
	s_and_saveexec_b32 s10, s91
	s_cbranch_execz .LBB137_729
; %bb.728:                              ;   in Loop: Header=BB137_3 Depth=1
	ds_load_b64 v[40:41], v1 offset:8832
	ds_load_b64 v[42:43], v3
	s_wait_dscnt 0x0
	v_fma_f64 v[38:39], -v[40:41], v[42:43], v[38:39]
.LBB137_729:                            ;   in Loop: Header=BB137_3 Depth=1
	s_or_b32 exec_lo, exec_lo, s10
	s_barrier_signal -1
	s_barrier_wait -1
	s_and_saveexec_b32 s10, s91
	s_cbranch_execz .LBB137_731
; %bb.730:                              ;   in Loop: Header=BB137_3 Depth=1
	ds_load_b64 v[40:41], v1 offset:8320
	s_wait_dscnt 0x0
	v_mul_f64_e32 v[38:39], v[38:39], v[40:41]
	s_delay_alu instid0(VALU_DEP_1) | instskip(NEXT) | instid1(VALU_DEP_2)
	v_xor_b32_e32 v41, 0x80000000, v39
	v_mov_b32_e32 v40, v38
	ds_store_b64 v3, v[40:41]
.LBB137_731:                            ;   in Loop: Header=BB137_3 Depth=1
	s_or_b32 exec_lo, exec_lo, s10
	s_wait_dscnt 0x0
	s_barrier_signal -1
	s_barrier_wait -1
	s_barrier_signal -1
	s_barrier_wait -1
	s_and_saveexec_b32 s10, s1
; %bb.732:                              ;   in Loop: Header=BB137_3 Depth=1
	ds_store_b64 v49, v[38:39] offset:9856
; %bb.733:                              ;   in Loop: Header=BB137_3 Depth=1
	s_or_b32 exec_lo, exec_lo, s10
	s_wait_dscnt 0x0
	s_barrier_signal -1
	s_barrier_wait -1
	s_barrier_signal -1
	s_barrier_wait -1
	s_and_saveexec_b32 s10, s92
	s_cbranch_execz .LBB137_735
; %bb.734:                              ;   in Loop: Header=BB137_3 Depth=1
	ds_load_b64 v[38:39], v85 offset:9344
	s_wait_dscnt 0x0
	ds_store_b64 v83, v[38:39] offset:8336
	ds_load_b64 v[38:39], v85 offset:9352
	s_wait_dscnt 0x0
	ds_store_b64 v83, v[38:39] offset:8848
.LBB137_735:                            ;   in Loop: Header=BB137_3 Depth=1
	s_or_b32 exec_lo, exec_lo, s10
	s_wait_dscnt 0x0
	s_barrier_signal -1
	s_barrier_wait -1
	s_and_saveexec_b32 s10, s14
	s_cbranch_execz .LBB137_737
; %bb.736:                              ;   in Loop: Header=BB137_3 Depth=1
	ds_load_b128 v[38:41], v1 offset:8832
	ds_load_b64 v[42:43], v1 offset:8320
	v_add_nc_u32_e64 v0, 0x2000, 0
	s_wait_dscnt 0x0
	v_mul_f64_e32 v[40:41], v[42:43], v[40:41]
	s_delay_alu instid0(VALU_DEP_1)
	v_mul_f64_e32 v[38:39], v[38:39], v[40:41]
	ds_store_2addr_b64 v0, v[38:39], v[38:39] offset0:17 offset1:80
.LBB137_737:                            ;   in Loop: Header=BB137_3 Depth=1
	s_or_b32 exec_lo, exec_lo, s10
	v_mov_b64_e32 v[38:39], 0
	s_wait_dscnt 0x0
	s_barrier_signal -1
	s_barrier_wait -1
	global_wb scope:SCOPE_DEV
	s_wait_storecnt 0x0
	global_inv scope:SCOPE_DEV
	s_and_saveexec_b32 s65, s5
	s_cbranch_execz .LBB137_765
; %bb.738:                              ;   in Loop: Header=BB137_3 Depth=1
	ds_load_b64 v[38:39], v63 offset:8192
	ds_load_b64 v[40:41], v62 offset:16000
	s_wait_dscnt 0x0
	v_fma_f64 v[38:39], v[38:39], v[40:41], 0
	s_mov_b32 s10, exec_lo
	v_readlane_b32 s11, v101, 23
	s_and_b32 s11, s10, s11
	s_delay_alu instid0(SALU_CYCLE_1)
	s_mov_b32 exec_lo, s11
	s_cbranch_execz .LBB137_740
; %bb.739:                              ;   in Loop: Header=BB137_3 Depth=1
	ds_load_b64 v[40:41], v63 offset:8704
	ds_load_b64 v[42:43], v62 offset:16008
	s_wait_dscnt 0x0
	v_fmac_f64_e32 v[38:39], v[40:41], v[42:43]
.LBB137_740:                            ;   in Loop: Header=BB137_3 Depth=1
	s_or_b32 exec_lo, exec_lo, s10
	s_delay_alu instid0(SALU_CYCLE_1) | instskip(SKIP_2) | instid1(SALU_CYCLE_1)
	s_mov_b32 s10, exec_lo
	v_readlane_b32 s11, v101, 24
	s_and_b32 s11, s10, s11
	s_mov_b32 exec_lo, s11
	s_cbranch_execz .LBB137_742
; %bb.741:                              ;   in Loop: Header=BB137_3 Depth=1
	ds_load_b64 v[40:41], v63 offset:9216
	ds_load_b64 v[42:43], v62 offset:16016
	s_wait_dscnt 0x0
	v_fmac_f64_e32 v[38:39], v[40:41], v[42:43]
.LBB137_742:                            ;   in Loop: Header=BB137_3 Depth=1
	s_or_b32 exec_lo, exec_lo, s10
	s_delay_alu instid0(SALU_CYCLE_1) | instskip(SKIP_2) | instid1(SALU_CYCLE_1)
	s_mov_b32 s10, exec_lo
	v_readlane_b32 s11, v101, 25
	s_and_b32 s11, s10, s11
	;; [unrolled: 13-line block ×10, first 2 shown]
	s_mov_b32 exec_lo, s11
	s_cbranch_execnz .LBB137_1135
; %bb.759:                              ;   in Loop: Header=BB137_3 Depth=1
	s_or_b32 exec_lo, exec_lo, s10
	s_and_saveexec_b32 s10, s4
	s_cbranch_execnz .LBB137_1136
.LBB137_760:                            ;   in Loop: Header=BB137_3 Depth=1
	s_or_b32 exec_lo, exec_lo, s10
	s_and_saveexec_b32 s10, s19
	s_cbranch_execnz .LBB137_1137
.LBB137_761:                            ;   in Loop: Header=BB137_3 Depth=1
	s_or_b32 exec_lo, exec_lo, s10
	s_and_saveexec_b32 s10, s21
	s_cbranch_execnz .LBB137_1138
.LBB137_762:                            ;   in Loop: Header=BB137_3 Depth=1
	s_or_b32 exec_lo, exec_lo, s10
	s_and_saveexec_b32 s10, s3
	s_cbranch_execz .LBB137_764
.LBB137_763:                            ;   in Loop: Header=BB137_3 Depth=1
	ds_load_b64 v[40:41], v48 offset:15872
	ds_load_b64 v[42:43], v1 offset:16120
	s_wait_dscnt 0x0
	v_fmac_f64_e32 v[38:39], v[40:41], v[42:43]
.LBB137_764:                            ;   in Loop: Header=BB137_3 Depth=1
	s_or_b32 exec_lo, exec_lo, s10
.LBB137_765:                            ;   in Loop: Header=BB137_3 Depth=1
	s_delay_alu instid0(SALU_CYCLE_1) | instskip(NEXT) | instid1(SALU_CYCLE_1)
	s_or_b32 exec_lo, exec_lo, s65
	s_mov_b32 s10, exec_lo
	v_readlane_b32 s11, v101, 2
	s_and_b32 s11, s10, s11
	s_delay_alu instid0(SALU_CYCLE_1)
	s_mov_b32 exec_lo, s11
	s_cbranch_execz .LBB137_767
; %bb.766:                              ;   in Loop: Header=BB137_3 Depth=1
	ds_load_b64 v[40:41], v1 offset:7800
	s_wait_dscnt 0x0
	v_mul_f64_e32 v[38:39], v[38:39], v[40:41]
	s_delay_alu instid0(VALU_DEP_1) | instskip(NEXT) | instid1(VALU_DEP_2)
	v_xor_b32_e32 v41, 0x80000000, v39
	v_mov_b32_e32 v40, v38
	ds_store_b64 v61, v[40:41]
.LBB137_767:                            ;   in Loop: Header=BB137_3 Depth=1
	s_or_b32 exec_lo, exec_lo, s10
	s_wait_loadcnt_dscnt 0x0
	s_barrier_signal -1
	s_barrier_wait -1
	s_mov_b32 s10, exec_lo
	v_readlane_b32 s11, v101, 3
	s_and_b32 s11, s10, s11
	s_delay_alu instid0(SALU_CYCLE_1)
	s_mov_b32 exec_lo, s11
	s_cbranch_execz .LBB137_769
; %bb.768:                              ;   in Loop: Header=BB137_3 Depth=1
	ds_load_b64 v[40:41], v63 offset:7680
	ds_load_b64 v[42:43], v61
	s_wait_dscnt 0x0
	v_fma_f64 v[38:39], -v[40:41], v[42:43], v[38:39]
.LBB137_769:                            ;   in Loop: Header=BB137_3 Depth=1
	s_or_b32 exec_lo, exec_lo, s10
	s_barrier_signal -1
	s_barrier_wait -1
	s_mov_b32 s10, exec_lo
	v_readlane_b32 s11, v101, 4
	s_and_b32 s11, s10, s11
	s_delay_alu instid0(SALU_CYCLE_1)
	s_mov_b32 exec_lo, s11
	s_cbranch_execz .LBB137_771
; %bb.770:                              ;   in Loop: Header=BB137_3 Depth=1
	ds_load_b64 v[40:41], v1 offset:7280
	s_wait_dscnt 0x0
	v_mul_f64_e32 v[38:39], v[38:39], v[40:41]
	s_delay_alu instid0(VALU_DEP_1) | instskip(NEXT) | instid1(VALU_DEP_2)
	v_xor_b32_e32 v41, 0x80000000, v39
	v_mov_b32_e32 v40, v38
	ds_store_b64 v61, v[40:41]
.LBB137_771:                            ;   in Loop: Header=BB137_3 Depth=1
	s_or_b32 exec_lo, exec_lo, s10
	s_wait_dscnt 0x0
	s_barrier_signal -1
	s_barrier_wait -1
	s_and_saveexec_b32 s10, s48
	s_cbranch_execz .LBB137_773
; %bb.772:                              ;   in Loop: Header=BB137_3 Depth=1
	ds_load_b64 v[40:41], v63 offset:7168
	ds_load_b64 v[42:43], v61
	s_wait_dscnt 0x0
	v_fma_f64 v[38:39], -v[40:41], v[42:43], v[38:39]
.LBB137_773:                            ;   in Loop: Header=BB137_3 Depth=1
	s_or_b32 exec_lo, exec_lo, s10
	s_barrier_signal -1
	s_barrier_wait -1
	s_and_saveexec_b32 s10, s49
	s_cbranch_execz .LBB137_775
; %bb.774:                              ;   in Loop: Header=BB137_3 Depth=1
	ds_load_b64 v[40:41], v1 offset:6760
	s_wait_dscnt 0x0
	v_mul_f64_e32 v[38:39], v[38:39], v[40:41]
	s_delay_alu instid0(VALU_DEP_1) | instskip(NEXT) | instid1(VALU_DEP_2)
	v_xor_b32_e32 v41, 0x80000000, v39
	v_mov_b32_e32 v40, v38
	ds_store_b64 v61, v[40:41]
.LBB137_775:                            ;   in Loop: Header=BB137_3 Depth=1
	s_or_b32 exec_lo, exec_lo, s10
	s_wait_dscnt 0x0
	s_barrier_signal -1
	s_barrier_wait -1
	s_and_saveexec_b32 s10, s50
	s_cbranch_execz .LBB137_777
; %bb.776:                              ;   in Loop: Header=BB137_3 Depth=1
	ds_load_b64 v[40:41], v63 offset:6656
	ds_load_b64 v[42:43], v61
	s_wait_dscnt 0x0
	v_fma_f64 v[38:39], -v[40:41], v[42:43], v[38:39]
.LBB137_777:                            ;   in Loop: Header=BB137_3 Depth=1
	s_or_b32 exec_lo, exec_lo, s10
	s_barrier_signal -1
	s_barrier_wait -1
	s_and_saveexec_b32 s10, s51
	;; [unrolled: 26-line block ×14, first 2 shown]
	s_cbranch_execz .LBB137_827
; %bb.826:                              ;   in Loop: Header=BB137_3 Depth=1
	ds_load_b64 v[40:41], v1
	s_wait_dscnt 0x0
	v_mul_f64_e32 v[38:39], v[38:39], v[40:41]
	s_delay_alu instid0(VALU_DEP_1) | instskip(NEXT) | instid1(VALU_DEP_2)
	v_xor_b32_e32 v41, 0x80000000, v39
	v_mov_b32_e32 v40, v38
	ds_store_b64 v61, v[40:41]
.LBB137_827:                            ;   in Loop: Header=BB137_3 Depth=1
	s_or_b32 exec_lo, exec_lo, s10
	s_wait_dscnt 0x0
	s_barrier_signal -1
	s_barrier_wait -1
	s_barrier_signal -1
	s_barrier_wait -1
	s_and_saveexec_b32 s10, s5
; %bb.828:                              ;   in Loop: Header=BB137_3 Depth=1
	ds_store_b64 v65, v[38:39] offset:15872
; %bb.829:                              ;   in Loop: Header=BB137_3 Depth=1
	s_or_b32 exec_lo, exec_lo, s10
	s_wait_dscnt 0x0
	s_barrier_signal -1
	s_barrier_wait -1
	s_barrier_signal -1
	s_barrier_wait -1
	s_and_saveexec_b32 s10, s84
	s_cbranch_execz .LBB137_831
; %bb.830:                              ;   in Loop: Header=BB137_3 Depth=1
	ds_load_b64 v[38:39], v50 offset:8192
	s_wait_dscnt 0x0
	ds_store_b64 v54, v[38:39] offset:128
	ds_load_b64 v[38:39], v50 offset:8200
	s_wait_dscnt 0x0
	ds_store_b64 v54, v[38:39] offset:640
	ds_load_b64 v[38:39], v50 offset:8208
	s_wait_dscnt 0x0
	ds_store_b64 v54, v[38:39] offset:1152
	ds_load_b64 v[38:39], v50 offset:8216
	s_wait_dscnt 0x0
	ds_store_b64 v54, v[38:39] offset:1664
	ds_load_b64 v[38:39], v50 offset:8224
	s_wait_dscnt 0x0
	ds_store_b64 v54, v[38:39] offset:2176
	ds_load_b64 v[38:39], v50 offset:8232
	s_wait_dscnt 0x0
	ds_store_b64 v54, v[38:39] offset:2688
	ds_load_b64 v[38:39], v50 offset:8240
	s_wait_dscnt 0x0
	ds_store_b64 v54, v[38:39] offset:3200
	ds_load_b64 v[38:39], v50 offset:8248
	s_wait_dscnt 0x0
	ds_store_b64 v54, v[38:39] offset:3712
	ds_load_b64 v[38:39], v50 offset:8256
	s_wait_dscnt 0x0
	ds_store_b64 v54, v[38:39] offset:4224
	ds_load_b64 v[38:39], v50 offset:8264
	s_wait_dscnt 0x0
	ds_store_b64 v54, v[38:39] offset:4736
	ds_load_b64 v[38:39], v50 offset:8272
	s_wait_dscnt 0x0
	ds_store_b64 v54, v[38:39] offset:5248
	ds_load_b64 v[38:39], v50 offset:8280
	s_wait_dscnt 0x0
	ds_store_b64 v54, v[38:39] offset:5760
	ds_load_b64 v[38:39], v50 offset:8288
	s_wait_dscnt 0x0
	ds_store_b64 v54, v[38:39] offset:6272
	ds_load_b64 v[38:39], v50 offset:8296
	s_wait_dscnt 0x0
	ds_store_b64 v54, v[38:39] offset:6784
	ds_load_b64 v[38:39], v50 offset:8304
	s_wait_dscnt 0x0
	ds_store_b64 v54, v[38:39] offset:7296
	ds_load_b64 v[38:39], v50 offset:8312
	s_wait_dscnt 0x0
	ds_store_b64 v54, v[38:39] offset:7808
.LBB137_831:                            ;   in Loop: Header=BB137_3 Depth=1
	s_or_b32 exec_lo, exec_lo, s10
	s_wait_dscnt 0x0
	s_barrier_signal -1
	s_barrier_wait -1
	s_and_saveexec_b32 s10, s14
	s_cbranch_execz .LBB137_833
; %bb.832:                              ;   in Loop: Header=BB137_3 Depth=1
	ds_load_b128 v[38:41], v1 offset:7792
	ds_load_b64 v[42:43], v1 offset:7280
	v_add_nc_u32_e64 v0, 0x1800, 0
	s_wait_dscnt 0x0
	v_mul_f64_e32 v[40:41], v[42:43], v[40:41]
	s_delay_alu instid0(VALU_DEP_1)
	v_mul_f64_e32 v[38:39], v[38:39], v[40:41]
	ds_store_2addr_b64 v0, v[38:39], v[38:39] offset0:143 offset1:206
.LBB137_833:                            ;   in Loop: Header=BB137_3 Depth=1
	s_or_b32 exec_lo, exec_lo, s10
	v_mov_b64_e32 v[38:39], 0
	s_wait_dscnt 0x0
	s_barrier_signal -1
	s_barrier_wait -1
	global_wb scope:SCOPE_DEV
	s_wait_storecnt 0x0
	global_inv scope:SCOPE_DEV
	s_and_saveexec_b32 s10, s1
	s_cbranch_execz .LBB137_837
; %bb.834:                              ;   in Loop: Header=BB137_3 Depth=1
	ds_load_b64 v[38:39], v47 offset:7264
	ds_load_b64 v[40:41], v46 offset:7792
	s_wait_dscnt 0x0
	v_fma_f64 v[38:39], v[38:39], v[40:41], 0
	s_and_saveexec_b32 s11, s15
	s_cbranch_execz .LBB137_836
; %bb.835:                              ;   in Loop: Header=BB137_3 Depth=1
	ds_load_b64 v[40:41], v48 offset:7776
	ds_load_b64 v[42:43], v1 offset:7800
	s_wait_dscnt 0x0
	v_fmac_f64_e32 v[38:39], v[40:41], v[42:43]
.LBB137_836:                            ;   in Loop: Header=BB137_3 Depth=1
	s_or_b32 exec_lo, exec_lo, s11
.LBB137_837:                            ;   in Loop: Header=BB137_3 Depth=1
	s_delay_alu instid0(SALU_CYCLE_1)
	s_or_b32 exec_lo, exec_lo, s10
	s_and_saveexec_b32 s10, s90
	s_cbranch_execz .LBB137_839
; %bb.838:                              ;   in Loop: Header=BB137_3 Depth=1
	ds_load_b64 v[40:41], v1 offset:6760
	s_wait_dscnt 0x0
	v_mul_f64_e32 v[38:39], v[38:39], v[40:41]
	s_delay_alu instid0(VALU_DEP_1) | instskip(NEXT) | instid1(VALU_DEP_2)
	v_xor_b32_e32 v41, 0x80000000, v39
	v_mov_b32_e32 v40, v38
	ds_store_b64 v3, v[40:41]
.LBB137_839:                            ;   in Loop: Header=BB137_3 Depth=1
	s_or_b32 exec_lo, exec_lo, s10
	s_wait_loadcnt_dscnt 0x0
	s_barrier_signal -1
	s_barrier_wait -1
	s_and_saveexec_b32 s10, s91
	s_cbranch_execz .LBB137_841
; %bb.840:                              ;   in Loop: Header=BB137_3 Depth=1
	ds_load_b64 v[40:41], v1 offset:6752
	ds_load_b64 v[42:43], v3
	s_wait_dscnt 0x0
	v_fma_f64 v[38:39], -v[40:41], v[42:43], v[38:39]
.LBB137_841:                            ;   in Loop: Header=BB137_3 Depth=1
	s_or_b32 exec_lo, exec_lo, s10
	s_barrier_signal -1
	s_barrier_wait -1
	s_and_saveexec_b32 s10, s91
	s_cbranch_execz .LBB137_843
; %bb.842:                              ;   in Loop: Header=BB137_3 Depth=1
	ds_load_b64 v[40:41], v1 offset:6240
	s_wait_dscnt 0x0
	v_mul_f64_e32 v[38:39], v[38:39], v[40:41]
	s_delay_alu instid0(VALU_DEP_1) | instskip(NEXT) | instid1(VALU_DEP_2)
	v_xor_b32_e32 v41, 0x80000000, v39
	v_mov_b32_e32 v40, v38
	ds_store_b64 v3, v[40:41]
.LBB137_843:                            ;   in Loop: Header=BB137_3 Depth=1
	s_or_b32 exec_lo, exec_lo, s10
	s_wait_dscnt 0x0
	s_barrier_signal -1
	s_barrier_wait -1
	s_barrier_signal -1
	s_barrier_wait -1
	s_and_saveexec_b32 s10, s1
; %bb.844:                              ;   in Loop: Header=BB137_3 Depth=1
	ds_store_b64 v49, v[38:39] offset:7776
; %bb.845:                              ;   in Loop: Header=BB137_3 Depth=1
	s_or_b32 exec_lo, exec_lo, s10
	s_wait_dscnt 0x0
	s_barrier_signal -1
	s_barrier_wait -1
	s_barrier_signal -1
	s_barrier_wait -1
	s_and_saveexec_b32 s10, s92
	s_cbranch_execz .LBB137_847
; %bb.846:                              ;   in Loop: Header=BB137_3 Depth=1
	ds_load_b64 v[38:39], v50 offset:7264
	s_wait_dscnt 0x0
	ds_store_b64 v48, v[38:39] offset:6256
	ds_load_b64 v[38:39], v50 offset:7272
	s_wait_dscnt 0x0
	ds_store_b64 v48, v[38:39] offset:6768
.LBB137_847:                            ;   in Loop: Header=BB137_3 Depth=1
	s_or_b32 exec_lo, exec_lo, s10
	s_wait_dscnt 0x0
	s_barrier_signal -1
	s_barrier_wait -1
	s_and_saveexec_b32 s10, s14
	s_cbranch_execz .LBB137_849
; %bb.848:                              ;   in Loop: Header=BB137_3 Depth=1
	ds_load_b128 v[38:41], v1 offset:6752
	ds_load_b64 v[42:43], v1 offset:6240
	v_add_nc_u32_e64 v0, 0x1800, 0
	s_wait_dscnt 0x0
	v_mul_f64_e32 v[40:41], v[42:43], v[40:41]
	s_delay_alu instid0(VALU_DEP_1)
	v_mul_f64_e32 v[38:39], v[38:39], v[40:41]
	ds_store_2addr_b64 v0, v[38:39], v[38:39] offset0:13 offset1:76
.LBB137_849:                            ;   in Loop: Header=BB137_3 Depth=1
	s_or_b32 exec_lo, exec_lo, s10
	v_mov_b64_e32 v[38:39], 0
	s_wait_dscnt 0x0
	s_barrier_signal -1
	s_barrier_wait -1
	global_wb scope:SCOPE_DEV
	s_wait_storecnt 0x0
	global_inv scope:SCOPE_DEV
	s_and_saveexec_b32 s10, s3
	s_cbranch_execz .LBB137_855
; %bb.850:                              ;   in Loop: Header=BB137_3 Depth=1
	ds_load_b64 v[38:39], v53 offset:6208
	ds_load_b64 v[40:41], v52 offset:7776
	s_wait_dscnt 0x0
	v_fma_f64 v[38:39], v[38:39], v[40:41], 0
	s_and_saveexec_b32 s11, s16
	s_cbranch_execnz .LBB137_1139
; %bb.851:                              ;   in Loop: Header=BB137_3 Depth=1
	s_or_b32 exec_lo, exec_lo, s11
	s_and_saveexec_b32 s11, s17
	s_cbranch_execnz .LBB137_1140
.LBB137_852:                            ;   in Loop: Header=BB137_3 Depth=1
	s_or_b32 exec_lo, exec_lo, s11
	s_and_saveexec_b32 s11, s1
	s_cbranch_execz .LBB137_854
.LBB137_853:                            ;   in Loop: Header=BB137_3 Depth=1
	ds_load_b64 v[40:41], v54 offset:7744
	ds_load_b64 v[42:43], v1 offset:7800
	s_wait_dscnt 0x0
	v_fmac_f64_e32 v[38:39], v[40:41], v[42:43]
.LBB137_854:                            ;   in Loop: Header=BB137_3 Depth=1
	s_or_b32 exec_lo, exec_lo, s11
.LBB137_855:                            ;   in Loop: Header=BB137_3 Depth=1
	s_delay_alu instid0(SALU_CYCLE_1)
	s_or_b32 exec_lo, exec_lo, s10
	s_and_saveexec_b32 s10, s93
	s_cbranch_execz .LBB137_857
; %bb.856:                              ;   in Loop: Header=BB137_3 Depth=1
	ds_load_b64 v[40:41], v1 offset:5720
	s_wait_dscnt 0x0
	v_mul_f64_e32 v[38:39], v[38:39], v[40:41]
	s_delay_alu instid0(VALU_DEP_1) | instskip(NEXT) | instid1(VALU_DEP_2)
	v_xor_b32_e32 v41, 0x80000000, v39
	v_mov_b32_e32 v40, v38
	ds_store_b64 v51, v[40:41]
.LBB137_857:                            ;   in Loop: Header=BB137_3 Depth=1
	s_or_b32 exec_lo, exec_lo, s10
	s_wait_loadcnt_dscnt 0x0
	s_barrier_signal -1
	s_barrier_wait -1
	s_and_saveexec_b32 s10, s94
	s_cbranch_execz .LBB137_859
; %bb.858:                              ;   in Loop: Header=BB137_3 Depth=1
	ds_load_b64 v[40:41], v53 offset:5696
	ds_load_b64 v[42:43], v51
	s_wait_dscnt 0x0
	v_fma_f64 v[38:39], -v[40:41], v[42:43], v[38:39]
.LBB137_859:                            ;   in Loop: Header=BB137_3 Depth=1
	s_or_b32 exec_lo, exec_lo, s10
	s_barrier_signal -1
	s_barrier_wait -1
	s_and_saveexec_b32 s10, s95
	s_cbranch_execz .LBB137_861
; %bb.860:                              ;   in Loop: Header=BB137_3 Depth=1
	ds_load_b64 v[40:41], v1 offset:5200
	s_wait_dscnt 0x0
	v_mul_f64_e32 v[38:39], v[38:39], v[40:41]
	s_delay_alu instid0(VALU_DEP_1) | instskip(NEXT) | instid1(VALU_DEP_2)
	v_xor_b32_e32 v41, 0x80000000, v39
	v_mov_b32_e32 v40, v38
	ds_store_b64 v51, v[40:41]
.LBB137_861:                            ;   in Loop: Header=BB137_3 Depth=1
	s_or_b32 exec_lo, exec_lo, s10
	s_wait_dscnt 0x0
	s_barrier_signal -1
	s_barrier_wait -1
	s_and_saveexec_b32 s10, s96
	s_cbranch_execz .LBB137_863
; %bb.862:                              ;   in Loop: Header=BB137_3 Depth=1
	ds_load_b64 v[40:41], v53 offset:5184
	ds_load_b64 v[42:43], v51
	s_wait_dscnt 0x0
	v_fma_f64 v[38:39], -v[40:41], v[42:43], v[38:39]
.LBB137_863:                            ;   in Loop: Header=BB137_3 Depth=1
	s_or_b32 exec_lo, exec_lo, s10
	s_barrier_signal -1
	s_barrier_wait -1
	s_and_saveexec_b32 s10, s97
	s_cbranch_execz .LBB137_865
; %bb.864:                              ;   in Loop: Header=BB137_3 Depth=1
	ds_load_b64 v[40:41], v1 offset:4680
	s_wait_dscnt 0x0
	v_mul_f64_e32 v[38:39], v[38:39], v[40:41]
	s_delay_alu instid0(VALU_DEP_1) | instskip(NEXT) | instid1(VALU_DEP_2)
	v_xor_b32_e32 v41, 0x80000000, v39
	v_mov_b32_e32 v40, v38
	ds_store_b64 v51, v[40:41]
.LBB137_865:                            ;   in Loop: Header=BB137_3 Depth=1
	s_or_b32 exec_lo, exec_lo, s10
	s_wait_dscnt 0x0
	;; [unrolled: 26-line block ×3, first 2 shown]
	s_barrier_signal -1
	s_barrier_wait -1
	s_barrier_signal -1
	s_barrier_wait -1
	s_and_saveexec_b32 s10, s3
; %bb.870:                              ;   in Loop: Header=BB137_3 Depth=1
	ds_store_b64 v55, v[38:39] offset:7744
; %bb.871:                              ;   in Loop: Header=BB137_3 Depth=1
	s_or_b32 exec_lo, exec_lo, s10
	s_wait_dscnt 0x0
	s_barrier_signal -1
	s_barrier_wait -1
	s_barrier_signal -1
	s_barrier_wait -1
	s_and_saveexec_b32 s10, s99
	s_cbranch_execz .LBB137_873
; %bb.872:                              ;   in Loop: Header=BB137_3 Depth=1
	ds_load_b64 v[38:39], v56 offset:6208
	s_wait_dscnt 0x0
	ds_store_b64 v5, v[38:39] offset:4192
	ds_load_b64 v[38:39], v56 offset:6216
	s_wait_dscnt 0x0
	ds_store_b64 v5, v[38:39] offset:4704
	;; [unrolled: 3-line block ×4, first 2 shown]
.LBB137_873:                            ;   in Loop: Header=BB137_3 Depth=1
	s_or_b32 exec_lo, exec_lo, s10
	s_wait_dscnt 0x0
	s_barrier_signal -1
	s_barrier_wait -1
	s_and_saveexec_b32 s10, s14
	s_cbranch_execz .LBB137_875
; %bb.874:                              ;   in Loop: Header=BB137_3 Depth=1
	ds_load_b128 v[38:41], v1 offset:5712
	ds_load_b64 v[42:43], v1 offset:5200
	v_add_nc_u32_e64 v0, 0x1000, 0
	s_wait_dscnt 0x0
	v_mul_f64_e32 v[40:41], v[42:43], v[40:41]
	s_delay_alu instid0(VALU_DEP_1)
	v_mul_f64_e32 v[38:39], v[38:39], v[40:41]
	ds_store_2addr_b64 v0, v[38:39], v[38:39] offset0:139 offset1:202
.LBB137_875:                            ;   in Loop: Header=BB137_3 Depth=1
	s_or_b32 exec_lo, exec_lo, s10
	v_mov_b64_e32 v[38:39], 0
	s_wait_dscnt 0x0
	s_barrier_signal -1
	s_barrier_wait -1
	global_wb scope:SCOPE_DEV
	s_wait_storecnt 0x0
	global_inv scope:SCOPE_DEV
	s_and_saveexec_b32 s10, s1
	s_cbranch_execz .LBB137_879
; %bb.876:                              ;   in Loop: Header=BB137_3 Depth=1
	ds_load_b64 v[38:39], v47 offset:5184
	ds_load_b64 v[40:41], v46 offset:5712
	s_wait_dscnt 0x0
	v_fma_f64 v[38:39], v[38:39], v[40:41], 0
	s_and_saveexec_b32 s11, s15
	s_cbranch_execz .LBB137_878
; %bb.877:                              ;   in Loop: Header=BB137_3 Depth=1
	ds_load_b64 v[40:41], v5 offset:5696
	ds_load_b64 v[42:43], v1 offset:5720
	s_wait_dscnt 0x0
	v_fmac_f64_e32 v[38:39], v[40:41], v[42:43]
.LBB137_878:                            ;   in Loop: Header=BB137_3 Depth=1
	s_or_b32 exec_lo, exec_lo, s11
.LBB137_879:                            ;   in Loop: Header=BB137_3 Depth=1
	s_delay_alu instid0(SALU_CYCLE_1)
	s_or_b32 exec_lo, exec_lo, s10
	s_and_saveexec_b32 s10, s90
	s_cbranch_execz .LBB137_881
; %bb.880:                              ;   in Loop: Header=BB137_3 Depth=1
	ds_load_b64 v[40:41], v1 offset:4680
	s_wait_dscnt 0x0
	v_mul_f64_e32 v[38:39], v[38:39], v[40:41]
	s_delay_alu instid0(VALU_DEP_1) | instskip(NEXT) | instid1(VALU_DEP_2)
	v_xor_b32_e32 v41, 0x80000000, v39
	v_mov_b32_e32 v40, v38
	ds_store_b64 v3, v[40:41]
.LBB137_881:                            ;   in Loop: Header=BB137_3 Depth=1
	s_or_b32 exec_lo, exec_lo, s10
	s_wait_loadcnt_dscnt 0x0
	s_barrier_signal -1
	s_barrier_wait -1
	s_and_saveexec_b32 s10, s91
	s_cbranch_execz .LBB137_883
; %bb.882:                              ;   in Loop: Header=BB137_3 Depth=1
	ds_load_b64 v[40:41], v1 offset:4672
	ds_load_b64 v[42:43], v3
	s_wait_dscnt 0x0
	v_fma_f64 v[38:39], -v[40:41], v[42:43], v[38:39]
.LBB137_883:                            ;   in Loop: Header=BB137_3 Depth=1
	s_or_b32 exec_lo, exec_lo, s10
	s_barrier_signal -1
	s_barrier_wait -1
	s_and_saveexec_b32 s10, s91
	s_cbranch_execz .LBB137_885
; %bb.884:                              ;   in Loop: Header=BB137_3 Depth=1
	ds_load_b64 v[40:41], v1 offset:4160
	s_wait_dscnt 0x0
	v_mul_f64_e32 v[38:39], v[38:39], v[40:41]
	s_delay_alu instid0(VALU_DEP_1) | instskip(NEXT) | instid1(VALU_DEP_2)
	v_xor_b32_e32 v41, 0x80000000, v39
	v_mov_b32_e32 v40, v38
	ds_store_b64 v3, v[40:41]
.LBB137_885:                            ;   in Loop: Header=BB137_3 Depth=1
	s_or_b32 exec_lo, exec_lo, s10
	s_wait_dscnt 0x0
	s_barrier_signal -1
	s_barrier_wait -1
	s_barrier_signal -1
	s_barrier_wait -1
	s_and_saveexec_b32 s10, s1
; %bb.886:                              ;   in Loop: Header=BB137_3 Depth=1
	ds_store_b64 v49, v[38:39] offset:5696
; %bb.887:                              ;   in Loop: Header=BB137_3 Depth=1
	s_or_b32 exec_lo, exec_lo, s10
	s_wait_dscnt 0x0
	s_barrier_signal -1
	s_barrier_wait -1
	s_barrier_signal -1
	s_barrier_wait -1
	s_and_saveexec_b32 s10, s92
	s_cbranch_execz .LBB137_889
; %bb.888:                              ;   in Loop: Header=BB137_3 Depth=1
	ds_load_b64 v[38:39], v71 offset:5184
	s_wait_dscnt 0x0
	ds_store_b64 v5, v[38:39] offset:4176
	ds_load_b64 v[38:39], v71 offset:5192
	s_wait_dscnt 0x0
	ds_store_b64 v5, v[38:39] offset:4688
.LBB137_889:                            ;   in Loop: Header=BB137_3 Depth=1
	s_or_b32 exec_lo, exec_lo, s10
	s_wait_dscnt 0x0
	s_barrier_signal -1
	s_barrier_wait -1
	s_and_saveexec_b32 s10, s14
	s_cbranch_execz .LBB137_891
; %bb.890:                              ;   in Loop: Header=BB137_3 Depth=1
	ds_load_b128 v[38:41], v1 offset:4672
	ds_load_b64 v[42:43], v1 offset:4160
	v_add_nc_u32_e64 v0, 0x1000, 0
	s_wait_dscnt 0x0
	v_mul_f64_e32 v[40:41], v[42:43], v[40:41]
	s_delay_alu instid0(VALU_DEP_1)
	v_mul_f64_e32 v[38:39], v[38:39], v[40:41]
	ds_store_2addr_b64 v0, v[38:39], v[38:39] offset0:9 offset1:72
.LBB137_891:                            ;   in Loop: Header=BB137_3 Depth=1
	s_or_b32 exec_lo, exec_lo, s10
	v_mov_b64_e32 v[38:39], 0
	s_wait_dscnt 0x0
	s_barrier_signal -1
	s_barrier_wait -1
	global_wb scope:SCOPE_DEV
	s_wait_storecnt 0x0
	global_inv scope:SCOPE_DEV
	s_and_saveexec_b32 s10, s4
	s_cbranch_execz .LBB137_901
; %bb.892:                              ;   in Loop: Header=BB137_3 Depth=1
	ds_load_b64 v[38:39], v59 offset:4096
	ds_load_b64 v[40:41], v58 offset:7744
	s_wait_dscnt 0x0
	v_fma_f64 v[38:39], v[38:39], v[40:41], 0
	s_and_saveexec_b32 s11, s18
	s_cbranch_execnz .LBB137_1141
; %bb.893:                              ;   in Loop: Header=BB137_3 Depth=1
	s_or_b32 exec_lo, exec_lo, s11
	s_and_saveexec_b32 s11, s19
	s_cbranch_execnz .LBB137_1142
.LBB137_894:                            ;   in Loop: Header=BB137_3 Depth=1
	s_or_b32 exec_lo, exec_lo, s11
	s_and_saveexec_b32 s11, s20
	s_cbranch_execnz .LBB137_1143
.LBB137_895:                            ;   in Loop: Header=BB137_3 Depth=1
	s_or_b32 exec_lo, exec_lo, s11
	s_and_saveexec_b32 s11, s21
	s_cbranch_execnz .LBB137_1144
.LBB137_896:                            ;   in Loop: Header=BB137_3 Depth=1
	s_or_b32 exec_lo, exec_lo, s11
	s_and_saveexec_b32 s11, s22
	s_cbranch_execnz .LBB137_1145
.LBB137_897:                            ;   in Loop: Header=BB137_3 Depth=1
	s_or_b32 exec_lo, exec_lo, s11
	s_and_saveexec_b32 s11, s3
	s_cbranch_execnz .LBB137_1146
.LBB137_898:                            ;   in Loop: Header=BB137_3 Depth=1
	s_or_b32 exec_lo, exec_lo, s11
	s_and_saveexec_b32 s11, s17
	s_cbranch_execz .LBB137_900
.LBB137_899:                            ;   in Loop: Header=BB137_3 Depth=1
	ds_load_b64 v[40:41], v72 offset:7680
	ds_load_b64 v[42:43], v1 offset:7800
	s_wait_dscnt 0x0
	v_fmac_f64_e32 v[38:39], v[40:41], v[42:43]
.LBB137_900:                            ;   in Loop: Header=BB137_3 Depth=1
	s_or_b32 exec_lo, exec_lo, s11
.LBB137_901:                            ;   in Loop: Header=BB137_3 Depth=1
	s_delay_alu instid0(SALU_CYCLE_1)
	s_or_b32 exec_lo, exec_lo, s10
	s_and_saveexec_b32 s10, s100
	s_cbranch_execz .LBB137_903
; %bb.902:                              ;   in Loop: Header=BB137_3 Depth=1
	ds_load_b64 v[40:41], v1 offset:3640
	s_wait_dscnt 0x0
	v_mul_f64_e32 v[38:39], v[38:39], v[40:41]
	s_delay_alu instid0(VALU_DEP_1) | instskip(NEXT) | instid1(VALU_DEP_2)
	v_xor_b32_e32 v41, 0x80000000, v39
	v_mov_b32_e32 v40, v38
	ds_store_b64 v57, v[40:41]
.LBB137_903:                            ;   in Loop: Header=BB137_3 Depth=1
	s_or_b32 exec_lo, exec_lo, s10
	s_wait_loadcnt_dscnt 0x0
	s_barrier_signal -1
	s_barrier_wait -1
	s_and_saveexec_b32 s10, s101
	s_cbranch_execz .LBB137_905
; %bb.904:                              ;   in Loop: Header=BB137_3 Depth=1
	ds_load_b64 v[40:41], v59 offset:3584
	ds_load_b64 v[42:43], v57
	s_wait_dscnt 0x0
	v_fma_f64 v[38:39], -v[40:41], v[42:43], v[38:39]
.LBB137_905:                            ;   in Loop: Header=BB137_3 Depth=1
	s_or_b32 exec_lo, exec_lo, s10
	s_barrier_signal -1
	s_barrier_wait -1
	s_and_saveexec_b32 s10, s102
	s_cbranch_execz .LBB137_907
; %bb.906:                              ;   in Loop: Header=BB137_3 Depth=1
	ds_load_b64 v[40:41], v1 offset:3120
	s_wait_dscnt 0x0
	v_mul_f64_e32 v[38:39], v[38:39], v[40:41]
	s_delay_alu instid0(VALU_DEP_1) | instskip(NEXT) | instid1(VALU_DEP_2)
	v_xor_b32_e32 v41, 0x80000000, v39
	v_mov_b32_e32 v40, v38
	ds_store_b64 v57, v[40:41]
.LBB137_907:                            ;   in Loop: Header=BB137_3 Depth=1
	s_or_b32 exec_lo, exec_lo, s10
	s_wait_dscnt 0x0
	s_barrier_signal -1
	s_barrier_wait -1
	s_and_saveexec_b32 s10, s103
	s_cbranch_execz .LBB137_909
; %bb.908:                              ;   in Loop: Header=BB137_3 Depth=1
	ds_load_b64 v[40:41], v59 offset:3072
	ds_load_b64 v[42:43], v57
	s_wait_dscnt 0x0
	v_fma_f64 v[38:39], -v[40:41], v[42:43], v[38:39]
.LBB137_909:                            ;   in Loop: Header=BB137_3 Depth=1
	s_or_b32 exec_lo, exec_lo, s10
	s_barrier_signal -1
	s_barrier_wait -1
	s_and_saveexec_b32 s10, s104
	s_cbranch_execz .LBB137_911
; %bb.910:                              ;   in Loop: Header=BB137_3 Depth=1
	ds_load_b64 v[40:41], v1 offset:2600
	s_wait_dscnt 0x0
	v_mul_f64_e32 v[38:39], v[38:39], v[40:41]
	s_delay_alu instid0(VALU_DEP_1) | instskip(NEXT) | instid1(VALU_DEP_2)
	v_xor_b32_e32 v41, 0x80000000, v39
	v_mov_b32_e32 v40, v38
	ds_store_b64 v57, v[40:41]
.LBB137_911:                            ;   in Loop: Header=BB137_3 Depth=1
	s_or_b32 exec_lo, exec_lo, s10
	s_wait_dscnt 0x0
	s_barrier_signal -1
	s_barrier_wait -1
	s_and_saveexec_b32 s10, vcc_hi
	s_cbranch_execz .LBB137_913
; %bb.912:                              ;   in Loop: Header=BB137_3 Depth=1
	ds_load_b64 v[40:41], v59 offset:2560
	ds_load_b64 v[42:43], v57
	s_wait_dscnt 0x0
	v_fma_f64 v[38:39], -v[40:41], v[42:43], v[38:39]
.LBB137_913:                            ;   in Loop: Header=BB137_3 Depth=1
	s_or_b32 exec_lo, exec_lo, s10
	s_barrier_signal -1
	s_barrier_wait -1
	s_and_saveexec_b32 s10, s36
	s_cbranch_execz .LBB137_915
; %bb.914:                              ;   in Loop: Header=BB137_3 Depth=1
	ds_load_b64 v[40:41], v1 offset:2080
	s_wait_dscnt 0x0
	v_mul_f64_e32 v[38:39], v[38:39], v[40:41]
	s_delay_alu instid0(VALU_DEP_1) | instskip(NEXT) | instid1(VALU_DEP_2)
	v_xor_b32_e32 v41, 0x80000000, v39
	v_mov_b32_e32 v40, v38
	ds_store_b64 v57, v[40:41]
.LBB137_915:                            ;   in Loop: Header=BB137_3 Depth=1
	s_or_b32 exec_lo, exec_lo, s10
	s_wait_dscnt 0x0
	s_barrier_signal -1
	s_barrier_wait -1
	s_and_saveexec_b32 s10, s37
	s_cbranch_execz .LBB137_917
; %bb.916:                              ;   in Loop: Header=BB137_3 Depth=1
	ds_load_b64 v[40:41], v59 offset:2048
	ds_load_b64 v[42:43], v57
	s_wait_dscnt 0x0
	v_fma_f64 v[38:39], -v[40:41], v[42:43], v[38:39]
.LBB137_917:                            ;   in Loop: Header=BB137_3 Depth=1
	s_or_b32 exec_lo, exec_lo, s10
	s_barrier_signal -1
	s_barrier_wait -1
	s_and_saveexec_b32 s10, s38
	s_cbranch_execz .LBB137_919
; %bb.918:                              ;   in Loop: Header=BB137_3 Depth=1
	ds_load_b64 v[40:41], v1 offset:1560
	s_wait_dscnt 0x0
	v_mul_f64_e32 v[38:39], v[38:39], v[40:41]
	s_delay_alu instid0(VALU_DEP_1) | instskip(NEXT) | instid1(VALU_DEP_2)
	v_xor_b32_e32 v41, 0x80000000, v39
	v_mov_b32_e32 v40, v38
	ds_store_b64 v57, v[40:41]
.LBB137_919:                            ;   in Loop: Header=BB137_3 Depth=1
	s_or_b32 exec_lo, exec_lo, s10
	s_wait_dscnt 0x0
	s_barrier_signal -1
	s_barrier_wait -1
	s_and_saveexec_b32 s10, s39
	s_cbranch_execz .LBB137_921
; %bb.920:                              ;   in Loop: Header=BB137_3 Depth=1
	ds_load_b64 v[40:41], v59 offset:1536
	ds_load_b64 v[42:43], v57
	s_wait_dscnt 0x0
	v_fma_f64 v[38:39], -v[40:41], v[42:43], v[38:39]
.LBB137_921:                            ;   in Loop: Header=BB137_3 Depth=1
	s_or_b32 exec_lo, exec_lo, s10
	s_barrier_signal -1
	s_barrier_wait -1
	s_and_saveexec_b32 s10, s40
	s_cbranch_execz .LBB137_923
; %bb.922:                              ;   in Loop: Header=BB137_3 Depth=1
	ds_load_b64 v[40:41], v1 offset:1040
	s_wait_dscnt 0x0
	v_mul_f64_e32 v[38:39], v[38:39], v[40:41]
	s_delay_alu instid0(VALU_DEP_1) | instskip(NEXT) | instid1(VALU_DEP_2)
	v_xor_b32_e32 v41, 0x80000000, v39
	v_mov_b32_e32 v40, v38
	ds_store_b64 v57, v[40:41]
.LBB137_923:                            ;   in Loop: Header=BB137_3 Depth=1
	s_or_b32 exec_lo, exec_lo, s10
	s_wait_dscnt 0x0
	s_barrier_signal -1
	s_barrier_wait -1
	s_and_saveexec_b32 s10, s41
	s_cbranch_execz .LBB137_925
; %bb.924:                              ;   in Loop: Header=BB137_3 Depth=1
	ds_load_b64 v[40:41], v59 offset:1024
	ds_load_b64 v[42:43], v57
	s_wait_dscnt 0x0
	v_fma_f64 v[38:39], -v[40:41], v[42:43], v[38:39]
.LBB137_925:                            ;   in Loop: Header=BB137_3 Depth=1
	s_or_b32 exec_lo, exec_lo, s10
	s_barrier_signal -1
	s_barrier_wait -1
	s_and_saveexec_b32 s10, s42
	s_cbranch_execz .LBB137_927
; %bb.926:                              ;   in Loop: Header=BB137_3 Depth=1
	ds_load_b64 v[40:41], v1 offset:520
	s_wait_dscnt 0x0
	v_mul_f64_e32 v[38:39], v[38:39], v[40:41]
	s_delay_alu instid0(VALU_DEP_1) | instskip(NEXT) | instid1(VALU_DEP_2)
	v_xor_b32_e32 v41, 0x80000000, v39
	v_mov_b32_e32 v40, v38
	ds_store_b64 v57, v[40:41]
.LBB137_927:                            ;   in Loop: Header=BB137_3 Depth=1
	s_or_b32 exec_lo, exec_lo, s10
	s_wait_dscnt 0x0
	s_barrier_signal -1
	s_barrier_wait -1
	s_and_saveexec_b32 s10, s43
	s_cbranch_execz .LBB137_929
; %bb.928:                              ;   in Loop: Header=BB137_3 Depth=1
	ds_load_b64 v[40:41], v1 offset:512
	ds_load_b64 v[42:43], v57
	s_wait_dscnt 0x0
	v_fma_f64 v[38:39], -v[40:41], v[42:43], v[38:39]
.LBB137_929:                            ;   in Loop: Header=BB137_3 Depth=1
	s_or_b32 exec_lo, exec_lo, s10
	s_barrier_signal -1
	s_barrier_wait -1
	s_and_saveexec_b32 s10, s43
	s_cbranch_execz .LBB137_931
; %bb.930:                              ;   in Loop: Header=BB137_3 Depth=1
	ds_load_b64 v[40:41], v1
	s_wait_dscnt 0x0
	v_mul_f64_e32 v[38:39], v[38:39], v[40:41]
	s_delay_alu instid0(VALU_DEP_1) | instskip(NEXT) | instid1(VALU_DEP_2)
	v_xor_b32_e32 v41, 0x80000000, v39
	v_mov_b32_e32 v40, v38
	ds_store_b64 v57, v[40:41]
.LBB137_931:                            ;   in Loop: Header=BB137_3 Depth=1
	s_or_b32 exec_lo, exec_lo, s10
	s_wait_dscnt 0x0
	s_barrier_signal -1
	s_barrier_wait -1
	s_barrier_signal -1
	s_barrier_wait -1
	s_and_saveexec_b32 s10, s4
; %bb.932:                              ;   in Loop: Header=BB137_3 Depth=1
	ds_store_b64 v60, v[38:39] offset:7680
; %bb.933:                              ;   in Loop: Header=BB137_3 Depth=1
	s_or_b32 exec_lo, exec_lo, s10
	s_wait_dscnt 0x0
	s_barrier_signal -1
	s_barrier_wait -1
	s_barrier_signal -1
	s_barrier_wait -1
	s_and_saveexec_b32 s10, s44
	s_cbranch_execz .LBB137_935
; %bb.934:                              ;   in Loop: Header=BB137_3 Depth=1
	ds_load_b64 v[38:39], v74 offset:4096
	s_wait_dscnt 0x0
	ds_store_b64 v75, v[38:39] offset:64
	ds_load_b64 v[38:39], v74 offset:4104
	s_wait_dscnt 0x0
	ds_store_b64 v75, v[38:39] offset:576
	;; [unrolled: 3-line block ×8, first 2 shown]
.LBB137_935:                            ;   in Loop: Header=BB137_3 Depth=1
	s_or_b32 exec_lo, exec_lo, s10
	s_wait_dscnt 0x0
	s_barrier_signal -1
	s_barrier_wait -1
	s_and_saveexec_b32 s10, s14
	s_cbranch_execz .LBB137_937
; %bb.936:                              ;   in Loop: Header=BB137_3 Depth=1
	ds_load_b128 v[38:41], v1 offset:3632
	ds_load_b64 v[42:43], v1 offset:3120
	v_add_nc_u32_e64 v0, 0x800, 0
	s_wait_dscnt 0x0
	v_mul_f64_e32 v[40:41], v[42:43], v[40:41]
	s_delay_alu instid0(VALU_DEP_1)
	v_mul_f64_e32 v[38:39], v[38:39], v[40:41]
	ds_store_2addr_b64 v0, v[38:39], v[38:39] offset0:135 offset1:198
.LBB137_937:                            ;   in Loop: Header=BB137_3 Depth=1
	s_or_b32 exec_lo, exec_lo, s10
	v_mov_b64_e32 v[38:39], 0
	s_wait_dscnt 0x0
	s_barrier_signal -1
	s_barrier_wait -1
	global_wb scope:SCOPE_DEV
	s_wait_storecnt 0x0
	global_inv scope:SCOPE_DEV
	s_and_saveexec_b32 s10, s1
	s_cbranch_execz .LBB137_941
; %bb.938:                              ;   in Loop: Header=BB137_3 Depth=1
	ds_load_b64 v[38:39], v47 offset:3104
	ds_load_b64 v[40:41], v46 offset:3632
	s_wait_dscnt 0x0
	v_fma_f64 v[38:39], v[38:39], v[40:41], 0
	s_and_saveexec_b32 s11, s15
	s_cbranch_execz .LBB137_940
; %bb.939:                              ;   in Loop: Header=BB137_3 Depth=1
	ds_load_b64 v[40:41], v75 offset:3616
	ds_load_b64 v[42:43], v1 offset:3640
	s_wait_dscnt 0x0
	v_fmac_f64_e32 v[38:39], v[40:41], v[42:43]
.LBB137_940:                            ;   in Loop: Header=BB137_3 Depth=1
	s_or_b32 exec_lo, exec_lo, s11
.LBB137_941:                            ;   in Loop: Header=BB137_3 Depth=1
	s_delay_alu instid0(SALU_CYCLE_1)
	s_or_b32 exec_lo, exec_lo, s10
	s_and_saveexec_b32 s10, s90
	s_cbranch_execz .LBB137_943
; %bb.942:                              ;   in Loop: Header=BB137_3 Depth=1
	ds_load_b64 v[40:41], v1 offset:2600
	s_wait_dscnt 0x0
	v_mul_f64_e32 v[38:39], v[38:39], v[40:41]
	s_delay_alu instid0(VALU_DEP_1) | instskip(NEXT) | instid1(VALU_DEP_2)
	v_xor_b32_e32 v41, 0x80000000, v39
	v_mov_b32_e32 v40, v38
	ds_store_b64 v3, v[40:41]
.LBB137_943:                            ;   in Loop: Header=BB137_3 Depth=1
	s_or_b32 exec_lo, exec_lo, s10
	s_wait_loadcnt_dscnt 0x0
	s_barrier_signal -1
	s_barrier_wait -1
	s_and_saveexec_b32 s10, s91
	s_cbranch_execz .LBB137_945
; %bb.944:                              ;   in Loop: Header=BB137_3 Depth=1
	ds_load_b64 v[40:41], v1 offset:2592
	ds_load_b64 v[42:43], v3
	s_wait_dscnt 0x0
	v_fma_f64 v[38:39], -v[40:41], v[42:43], v[38:39]
.LBB137_945:                            ;   in Loop: Header=BB137_3 Depth=1
	s_or_b32 exec_lo, exec_lo, s10
	s_barrier_signal -1
	s_barrier_wait -1
	s_and_saveexec_b32 s10, s91
	s_cbranch_execz .LBB137_947
; %bb.946:                              ;   in Loop: Header=BB137_3 Depth=1
	ds_load_b64 v[40:41], v1 offset:2080
	s_wait_dscnt 0x0
	v_mul_f64_e32 v[38:39], v[38:39], v[40:41]
	s_delay_alu instid0(VALU_DEP_1) | instskip(NEXT) | instid1(VALU_DEP_2)
	v_xor_b32_e32 v41, 0x80000000, v39
	v_mov_b32_e32 v40, v38
	ds_store_b64 v3, v[40:41]
.LBB137_947:                            ;   in Loop: Header=BB137_3 Depth=1
	s_or_b32 exec_lo, exec_lo, s10
	s_wait_dscnt 0x0
	s_barrier_signal -1
	s_barrier_wait -1
	s_barrier_signal -1
	s_barrier_wait -1
	s_and_saveexec_b32 s10, s1
; %bb.948:                              ;   in Loop: Header=BB137_3 Depth=1
	ds_store_b64 v49, v[38:39] offset:3616
; %bb.949:                              ;   in Loop: Header=BB137_3 Depth=1
	s_or_b32 exec_lo, exec_lo, s10
	s_wait_dscnt 0x0
	s_barrier_signal -1
	s_barrier_wait -1
	s_barrier_signal -1
	s_barrier_wait -1
	s_and_saveexec_b32 s10, s92
	s_cbranch_execz .LBB137_951
; %bb.950:                              ;   in Loop: Header=BB137_3 Depth=1
	ds_load_b64 v[38:39], v76 offset:3104
	s_wait_dscnt 0x0
	ds_store_b64 v75, v[38:39] offset:2096
	ds_load_b64 v[38:39], v76 offset:3112
	s_wait_dscnt 0x0
	ds_store_b64 v75, v[38:39] offset:2608
.LBB137_951:                            ;   in Loop: Header=BB137_3 Depth=1
	s_or_b32 exec_lo, exec_lo, s10
	s_wait_dscnt 0x0
	s_barrier_signal -1
	s_barrier_wait -1
	s_and_saveexec_b32 s10, s14
	s_cbranch_execz .LBB137_953
; %bb.952:                              ;   in Loop: Header=BB137_3 Depth=1
	ds_load_b128 v[38:41], v1 offset:2592
	ds_load_b64 v[42:43], v1 offset:2080
	v_add_nc_u32_e64 v0, 0x800, 0
	s_wait_dscnt 0x0
	v_mul_f64_e32 v[40:41], v[42:43], v[40:41]
	s_delay_alu instid0(VALU_DEP_1)
	v_mul_f64_e32 v[38:39], v[38:39], v[40:41]
	ds_store_2addr_b64 v0, v[38:39], v[38:39] offset0:5 offset1:68
.LBB137_953:                            ;   in Loop: Header=BB137_3 Depth=1
	s_or_b32 exec_lo, exec_lo, s10
	v_mov_b64_e32 v[38:39], 0
	s_wait_dscnt 0x0
	s_barrier_signal -1
	s_barrier_wait -1
	global_wb scope:SCOPE_DEV
	s_wait_storecnt 0x0
	global_inv scope:SCOPE_DEV
	s_and_saveexec_b32 s10, s3
	s_cbranch_execz .LBB137_959
; %bb.954:                              ;   in Loop: Header=BB137_3 Depth=1
	ds_load_b64 v[38:39], v53 offset:2048
	ds_load_b64 v[40:41], v52 offset:3616
	s_wait_dscnt 0x0
	v_fma_f64 v[38:39], v[38:39], v[40:41], 0
	s_and_saveexec_b32 s11, s16
	s_cbranch_execnz .LBB137_1147
; %bb.955:                              ;   in Loop: Header=BB137_3 Depth=1
	s_or_b32 exec_lo, exec_lo, s11
	s_and_saveexec_b32 s11, s17
	s_cbranch_execnz .LBB137_1148
.LBB137_956:                            ;   in Loop: Header=BB137_3 Depth=1
	s_or_b32 exec_lo, exec_lo, s11
	s_and_saveexec_b32 s11, s1
	s_cbranch_execz .LBB137_958
.LBB137_957:                            ;   in Loop: Header=BB137_3 Depth=1
	ds_load_b64 v[40:41], v78 offset:3584
	ds_load_b64 v[42:43], v1 offset:3640
	s_wait_dscnt 0x0
	v_fmac_f64_e32 v[38:39], v[40:41], v[42:43]
.LBB137_958:                            ;   in Loop: Header=BB137_3 Depth=1
	s_or_b32 exec_lo, exec_lo, s11
.LBB137_959:                            ;   in Loop: Header=BB137_3 Depth=1
	s_delay_alu instid0(SALU_CYCLE_1)
	s_or_b32 exec_lo, exec_lo, s10
	s_and_saveexec_b32 s10, s93
	s_cbranch_execz .LBB137_961
; %bb.960:                              ;   in Loop: Header=BB137_3 Depth=1
	ds_load_b64 v[40:41], v1 offset:1560
	s_wait_dscnt 0x0
	v_mul_f64_e32 v[38:39], v[38:39], v[40:41]
	s_delay_alu instid0(VALU_DEP_1) | instskip(NEXT) | instid1(VALU_DEP_2)
	v_xor_b32_e32 v41, 0x80000000, v39
	v_mov_b32_e32 v40, v38
	ds_store_b64 v51, v[40:41]
.LBB137_961:                            ;   in Loop: Header=BB137_3 Depth=1
	s_or_b32 exec_lo, exec_lo, s10
	s_wait_loadcnt_dscnt 0x0
	s_barrier_signal -1
	s_barrier_wait -1
	s_and_saveexec_b32 s10, s94
	s_cbranch_execz .LBB137_963
; %bb.962:                              ;   in Loop: Header=BB137_3 Depth=1
	ds_load_b64 v[40:41], v53 offset:1536
	ds_load_b64 v[42:43], v51
	s_wait_dscnt 0x0
	v_fma_f64 v[38:39], -v[40:41], v[42:43], v[38:39]
.LBB137_963:                            ;   in Loop: Header=BB137_3 Depth=1
	s_or_b32 exec_lo, exec_lo, s10
	s_barrier_signal -1
	s_barrier_wait -1
	s_and_saveexec_b32 s10, s95
	s_cbranch_execz .LBB137_965
; %bb.964:                              ;   in Loop: Header=BB137_3 Depth=1
	ds_load_b64 v[40:41], v1 offset:1040
	s_wait_dscnt 0x0
	v_mul_f64_e32 v[38:39], v[38:39], v[40:41]
	s_delay_alu instid0(VALU_DEP_1) | instskip(NEXT) | instid1(VALU_DEP_2)
	v_xor_b32_e32 v41, 0x80000000, v39
	v_mov_b32_e32 v40, v38
	ds_store_b64 v51, v[40:41]
.LBB137_965:                            ;   in Loop: Header=BB137_3 Depth=1
	s_or_b32 exec_lo, exec_lo, s10
	s_wait_dscnt 0x0
	s_barrier_signal -1
	s_barrier_wait -1
	s_and_saveexec_b32 s10, s96
	s_cbranch_execz .LBB137_967
; %bb.966:                              ;   in Loop: Header=BB137_3 Depth=1
	ds_load_b64 v[40:41], v53 offset:1024
	ds_load_b64 v[42:43], v51
	s_wait_dscnt 0x0
	v_fma_f64 v[38:39], -v[40:41], v[42:43], v[38:39]
.LBB137_967:                            ;   in Loop: Header=BB137_3 Depth=1
	s_or_b32 exec_lo, exec_lo, s10
	s_barrier_signal -1
	s_barrier_wait -1
	s_and_saveexec_b32 s10, s97
	s_cbranch_execz .LBB137_969
; %bb.968:                              ;   in Loop: Header=BB137_3 Depth=1
	ds_load_b64 v[40:41], v1 offset:520
	s_wait_dscnt 0x0
	v_mul_f64_e32 v[38:39], v[38:39], v[40:41]
	s_delay_alu instid0(VALU_DEP_1) | instskip(NEXT) | instid1(VALU_DEP_2)
	v_xor_b32_e32 v41, 0x80000000, v39
	v_mov_b32_e32 v40, v38
	ds_store_b64 v51, v[40:41]
.LBB137_969:                            ;   in Loop: Header=BB137_3 Depth=1
	s_or_b32 exec_lo, exec_lo, s10
	s_wait_dscnt 0x0
	s_barrier_signal -1
	s_barrier_wait -1
	s_and_saveexec_b32 s10, s98
	s_cbranch_execz .LBB137_971
; %bb.970:                              ;   in Loop: Header=BB137_3 Depth=1
	ds_load_b64 v[40:41], v1 offset:512
	ds_load_b64 v[42:43], v51
	s_wait_dscnt 0x0
	v_fma_f64 v[38:39], -v[40:41], v[42:43], v[38:39]
.LBB137_971:                            ;   in Loop: Header=BB137_3 Depth=1
	s_or_b32 exec_lo, exec_lo, s10
	s_barrier_signal -1
	s_barrier_wait -1
	s_and_saveexec_b32 s10, s98
	s_cbranch_execz .LBB137_973
; %bb.972:                              ;   in Loop: Header=BB137_3 Depth=1
	ds_load_b64 v[40:41], v1
	s_wait_dscnt 0x0
	v_mul_f64_e32 v[38:39], v[38:39], v[40:41]
	s_delay_alu instid0(VALU_DEP_1) | instskip(NEXT) | instid1(VALU_DEP_2)
	v_xor_b32_e32 v41, 0x80000000, v39
	v_mov_b32_e32 v40, v38
	ds_store_b64 v51, v[40:41]
.LBB137_973:                            ;   in Loop: Header=BB137_3 Depth=1
	s_or_b32 exec_lo, exec_lo, s10
	s_wait_dscnt 0x0
	s_barrier_signal -1
	s_barrier_wait -1
	s_barrier_signal -1
	s_barrier_wait -1
	s_and_saveexec_b32 s10, s3
; %bb.974:                              ;   in Loop: Header=BB137_3 Depth=1
	ds_store_b64 v55, v[38:39] offset:3584
; %bb.975:                              ;   in Loop: Header=BB137_3 Depth=1
	s_or_b32 exec_lo, exec_lo, s10
	s_wait_dscnt 0x0
	s_barrier_signal -1
	s_barrier_wait -1
	s_barrier_signal -1
	s_barrier_wait -1
	s_and_saveexec_b32 s10, s99
	s_cbranch_execz .LBB137_977
; %bb.976:                              ;   in Loop: Header=BB137_3 Depth=1
	ds_load_b64 v[38:39], v80 offset:2048
	s_wait_dscnt 0x0
	ds_store_b64 v83, v[38:39] offset:32
	ds_load_b64 v[38:39], v80 offset:2056
	s_wait_dscnt 0x0
	ds_store_b64 v83, v[38:39] offset:544
	;; [unrolled: 3-line block ×4, first 2 shown]
.LBB137_977:                            ;   in Loop: Header=BB137_3 Depth=1
	s_or_b32 exec_lo, exec_lo, s10
	s_wait_dscnt 0x0
	s_barrier_signal -1
	s_barrier_wait -1
	s_and_saveexec_b32 s10, s14
	s_cbranch_execz .LBB137_979
; %bb.978:                              ;   in Loop: Header=BB137_3 Depth=1
	ds_load_b128 v[38:41], v1 offset:1552
	ds_load_b64 v[42:43], v1 offset:1040
	s_wait_dscnt 0x0
	v_mul_f64_e32 v[40:41], v[42:43], v[40:41]
	s_delay_alu instid0(VALU_DEP_1)
	v_mul_f64_e32 v[38:39], v[38:39], v[40:41]
	ds_store_2addr_b64 v1, v[38:39], v[38:39] offset0:131 offset1:194
.LBB137_979:                            ;   in Loop: Header=BB137_3 Depth=1
	s_or_b32 exec_lo, exec_lo, s10
	v_mov_b64_e32 v[38:39], 0
	s_wait_dscnt 0x0
	s_barrier_signal -1
	s_barrier_wait -1
	global_wb scope:SCOPE_DEV
	s_wait_storecnt 0x0
	global_inv scope:SCOPE_DEV
	s_and_saveexec_b32 s10, s1
	s_cbranch_execz .LBB137_983
; %bb.980:                              ;   in Loop: Header=BB137_3 Depth=1
	ds_load_b64 v[38:39], v47 offset:1024
	ds_load_b64 v[40:41], v46 offset:1552
	s_wait_dscnt 0x0
	v_fma_f64 v[38:39], v[38:39], v[40:41], 0
	s_and_saveexec_b32 s11, s15
	s_cbranch_execz .LBB137_982
; %bb.981:                              ;   in Loop: Header=BB137_3 Depth=1
	ds_load_b64 v[40:41], v83 offset:1536
	ds_load_b64 v[42:43], v1 offset:1560
	s_wait_dscnt 0x0
	v_fmac_f64_e32 v[38:39], v[40:41], v[42:43]
.LBB137_982:                            ;   in Loop: Header=BB137_3 Depth=1
	s_or_b32 exec_lo, exec_lo, s11
.LBB137_983:                            ;   in Loop: Header=BB137_3 Depth=1
	s_delay_alu instid0(SALU_CYCLE_1)
	s_or_b32 exec_lo, exec_lo, s10
	s_and_saveexec_b32 s10, s90
	s_cbranch_execz .LBB137_985
; %bb.984:                              ;   in Loop: Header=BB137_3 Depth=1
	ds_load_b64 v[40:41], v1 offset:520
	s_wait_dscnt 0x0
	v_mul_f64_e32 v[38:39], v[38:39], v[40:41]
	s_delay_alu instid0(VALU_DEP_1) | instskip(NEXT) | instid1(VALU_DEP_2)
	v_xor_b32_e32 v41, 0x80000000, v39
	v_mov_b32_e32 v40, v38
	ds_store_b64 v3, v[40:41]
.LBB137_985:                            ;   in Loop: Header=BB137_3 Depth=1
	s_or_b32 exec_lo, exec_lo, s10
	s_wait_loadcnt_dscnt 0x0
	s_barrier_signal -1
	s_barrier_wait -1
	s_and_saveexec_b32 s10, s91
	s_cbranch_execz .LBB137_987
; %bb.986:                              ;   in Loop: Header=BB137_3 Depth=1
	ds_load_b64 v[40:41], v1 offset:512
	ds_load_b64 v[42:43], v3
	s_wait_dscnt 0x0
	v_fma_f64 v[38:39], -v[40:41], v[42:43], v[38:39]
.LBB137_987:                            ;   in Loop: Header=BB137_3 Depth=1
	s_or_b32 exec_lo, exec_lo, s10
	s_barrier_signal -1
	s_barrier_wait -1
	s_and_saveexec_b32 s10, s91
	s_cbranch_execz .LBB137_989
; %bb.988:                              ;   in Loop: Header=BB137_3 Depth=1
	ds_load_b64 v[40:41], v1
	s_wait_dscnt 0x0
	v_mul_f64_e32 v[38:39], v[38:39], v[40:41]
	s_delay_alu instid0(VALU_DEP_1) | instskip(NEXT) | instid1(VALU_DEP_2)
	v_xor_b32_e32 v41, 0x80000000, v39
	v_mov_b32_e32 v40, v38
	ds_store_b64 v3, v[40:41]
.LBB137_989:                            ;   in Loop: Header=BB137_3 Depth=1
	s_or_b32 exec_lo, exec_lo, s10
	s_wait_dscnt 0x0
	s_barrier_signal -1
	s_barrier_wait -1
	s_barrier_signal -1
	s_barrier_wait -1
	s_and_saveexec_b32 s10, s1
; %bb.990:                              ;   in Loop: Header=BB137_3 Depth=1
	ds_store_b64 v49, v[38:39] offset:1536
; %bb.991:                              ;   in Loop: Header=BB137_3 Depth=1
	s_or_b32 exec_lo, exec_lo, s10
	s_wait_dscnt 0x0
	s_barrier_signal -1
	s_barrier_wait -1
	s_barrier_signal -1
	s_barrier_wait -1
	s_and_saveexec_b32 s10, s92
	s_cbranch_execz .LBB137_993
; %bb.992:                              ;   in Loop: Header=BB137_3 Depth=1
	ds_load_b64 v[38:39], v85 offset:1024
	s_wait_dscnt 0x0
	ds_store_b64 v83, v[38:39] offset:16
	ds_load_b64 v[38:39], v85 offset:1032
	s_wait_dscnt 0x0
	ds_store_b64 v83, v[38:39] offset:528
.LBB137_993:                            ;   in Loop: Header=BB137_3 Depth=1
	s_or_b32 exec_lo, exec_lo, s10
	s_wait_dscnt 0x0
	s_barrier_signal -1
	s_barrier_wait -1
	s_and_saveexec_b32 s10, s14
	s_cbranch_execz .LBB137_995
; %bb.994:                              ;   in Loop: Header=BB137_3 Depth=1
	ds_load_b128 v[38:41], v1 offset:512
	ds_load_b64 v[42:43], v1
	s_wait_dscnt 0x0
	v_mul_f64_e32 v[40:41], v[42:43], v[40:41]
	s_delay_alu instid0(VALU_DEP_1)
	v_mul_f64_e32 v[38:39], v[38:39], v[40:41]
	ds_store_2addr_b64 v1, v[38:39], v[38:39] offset0:1 offset1:64
.LBB137_995:                            ;   in Loop: Header=BB137_3 Depth=1
	s_or_b32 exec_lo, exec_lo, s10
.LBB137_996:                            ;   in Loop: Header=BB137_3 Depth=1
	v_add_nc_u64_e32 v[36:37], s[72:73], v[36:37]
	v_mov_b64_e32 v[38:39], 0
	s_wait_dscnt 0x0
	s_barrier_signal -1
	s_barrier_wait -1
	s_wait_xcnt 0x0
	s_and_saveexec_b32 s10, s46
	s_cbranch_execz .LBB137_998
; %bb.997:                              ;   in Loop: Header=BB137_3 Depth=1
	v_lshl_add_u64 v[38:39], v[10:11], 3, v[36:37]
	flat_load_b64 v[38:39], v[38:39]
	s_wait_loadcnt_dscnt 0x0
	v_mul_f64_e64 v[38:39], v[38:39], -s[68:69]
.LBB137_998:                            ;   in Loop: Header=BB137_3 Depth=1
	s_or_b32 exec_lo, exec_lo, s10
	s_delay_alu instid0(SALU_CYCLE_1)
	s_and_not1_b32 vcc_lo, exec_lo, s47
	s_cbranch_vccnz .LBB137_1024
; %bb.999:                              ;   in Loop: Header=BB137_3 Depth=1
	v_mov_b32_e32 v94, -1
	s_lshl_b64 s[10:11], s[66:67], 2
	s_delay_alu instid0(SALU_CYCLE_1)
	s_add_nc_u64 s[82:83], s[80:81], s[10:11]
	s_mov_b32 s10, 0
	s_branch .LBB137_1002
.LBB137_1000:                           ;   in Loop: Header=BB137_1002 Depth=2
	s_wait_xcnt 0x0
	ds_load_b64 v[40:41], v86 offset:384
	s_wait_loadcnt_dscnt 0x0
	v_fmac_f64_e32 v[38:39], v[42:43], v[40:41]
.LBB137_1001:                           ;   in Loop: Header=BB137_1002 Depth=2
	s_or_b32 exec_lo, exec_lo, s11
	s_add_co_i32 s10, s10, 1
	s_delay_alu instid0(SALU_CYCLE_1)
	s_cmp_eq_u32 s10, s86
	s_cbranch_scc1 .LBB137_1024
.LBB137_1002:                           ;   Parent Loop BB137_3 Depth=1
                                        ; =>  This Loop Header: Depth=2
                                        ;       Child Loop BB137_1004 Depth 3
	v_cmp_gt_i32_e32 vcc_lo, s10, v94
	s_and_b32 s12, s59, vcc_lo
	s_delay_alu instid0(SALU_CYCLE_1)
	s_and_saveexec_b32 s11, s12
	s_cbranch_execz .LBB137_1005
; %bb.1003:                             ;   in Loop: Header=BB137_1002 Depth=2
	global_load_b32 v94, v1, s[82:83]
	s_wait_loadcnt 0x0
	v_cmp_le_i32_e32 vcc_lo, s10, v94
	s_cbranch_vccnz .LBB137_1005
.LBB137_1004:                           ;   Parent Loop BB137_3 Depth=1
                                        ;     Parent Loop BB137_1002 Depth=2
                                        ; =>    This Inner Loop Header: Depth=3
	global_wb scope:SCOPE_DEV
	s_wait_storecnt 0x0
	global_inv scope:SCOPE_DEV
	global_load_b32 v94, v1, s[82:83]
	s_wait_loadcnt 0x0
	v_cmp_gt_i32_e32 vcc_lo, s10, v94
	s_cbranch_vccnz .LBB137_1004
.LBB137_1005:                           ;   in Loop: Header=BB137_1002 Depth=2
	s_or_b32 exec_lo, exec_lo, s11
	s_lshl_b32 s65, s10, 6
	global_wb scope:SCOPE_DEV
	s_wait_storecnt 0x0
	global_inv scope:SCOPE_DEV
	s_wait_loadcnt 0x0
	s_barrier_signal -1
	s_barrier_wait -1
	s_and_saveexec_b32 s11, s60
	s_cbranch_execz .LBB137_1009
; %bb.1006:                             ;   in Loop: Header=BB137_1002 Depth=2
	v_mov_b64_e32 v[40:41], 0
	v_or_b32_e32 v0, s65, v4
	s_mov_b32 s12, exec_lo
	s_delay_alu instid0(VALU_DEP_1)
	v_cmpx_gt_i32_e64 s85, v0
	s_cbranch_execz .LBB137_1008
; %bb.1007:                             ;   in Loop: Header=BB137_1002 Depth=2
	v_mul_u64_e32 v[40:41], s[74:75], v[0:1]
	s_delay_alu instid0(VALU_DEP_1)
	v_lshl_add_u64 v[40:41], v[40:41], 3, v[36:37]
	flat_load_b64 v[40:41], v[40:41]
.LBB137_1008:                           ;   in Loop: Header=BB137_1002 Depth=2
	s_wait_xcnt 0x0
	s_or_b32 exec_lo, exec_lo, s12
	s_wait_loadcnt_dscnt 0x0
	ds_store_b64 v89, v[40:41]
.LBB137_1009:                           ;   in Loop: Header=BB137_1002 Depth=2
	s_or_b32 exec_lo, exec_lo, s11
	v_add_nc_u32_e32 v0, s65, v44
	v_cmp_ne_u32_e32 vcc_lo, s10, v45
	s_wait_dscnt 0x0
	s_barrier_signal -1
	s_barrier_wait -1
	v_cmp_gt_i32_e64 s65, s85, v0
	v_lshl_add_u64 v[40:41], v[0:1], 3, v[34:35]
	v_cndmask_b32_e64 v95, 0, 1, vcc_lo
	s_and_b32 s12, s65, s0
	s_delay_alu instid0(SALU_CYCLE_1)
	s_and_saveexec_b32 s11, s12
	s_cbranch_execz .LBB137_1013
; %bb.1010:                             ;   in Loop: Header=BB137_1002 Depth=2
	v_mov_b64_e32 v[42:43], v[26:27]
	s_and_not1_b32 vcc_lo, exec_lo, vcc_lo
	s_cbranch_vccnz .LBB137_1012
; %bb.1011:                             ;   in Loop: Header=BB137_1002 Depth=2
	flat_load_b64 v[42:43], v[40:41]
.LBB137_1012:                           ;   in Loop: Header=BB137_1002 Depth=2
	ds_load_b64 v[96:97], v86
	s_wait_loadcnt_dscnt 0x0
	v_fmac_f64_e32 v[38:39], v[42:43], v[96:97]
.LBB137_1013:                           ;   in Loop: Header=BB137_1002 Depth=2
	s_or_b32 exec_lo, exec_lo, s11
	v_add_nc_u32_e32 v42, 16, v0
	s_delay_alu instid0(VALU_DEP_1) | instskip(SKIP_1) | instid1(SALU_CYCLE_1)
	v_cmp_gt_i32_e32 vcc_lo, s85, v42
	s_and_b32 s12, vcc_lo, s0
	s_and_saveexec_b32 s11, s12
	s_cbranch_execz .LBB137_1017
; %bb.1014:                             ;   in Loop: Header=BB137_1002 Depth=2
	v_cmp_ne_u32_e32 vcc_lo, 1, v95
	v_mov_b64_e32 v[42:43], v[28:29]
	s_cbranch_vccnz .LBB137_1016
; %bb.1015:                             ;   in Loop: Header=BB137_1002 Depth=2
	flat_load_b64 v[42:43], v[40:41] offset:128
.LBB137_1016:                           ;   in Loop: Header=BB137_1002 Depth=2
	ds_load_b64 v[96:97], v86 offset:128
	s_wait_loadcnt_dscnt 0x0
	v_fmac_f64_e32 v[38:39], v[42:43], v[96:97]
.LBB137_1017:                           ;   in Loop: Header=BB137_1002 Depth=2
	s_or_b32 exec_lo, exec_lo, s11
	v_add_nc_u32_e32 v42, 32, v0
	s_delay_alu instid0(VALU_DEP_1) | instskip(SKIP_1) | instid1(SALU_CYCLE_1)
	v_cmp_gt_i32_e32 vcc_lo, s85, v42
	s_and_b32 s12, vcc_lo, s0
	s_and_saveexec_b32 s11, s12
	s_cbranch_execz .LBB137_1021
; %bb.1018:                             ;   in Loop: Header=BB137_1002 Depth=2
	v_cmp_ne_u32_e32 vcc_lo, 1, v95
	v_mov_b64_e32 v[42:43], v[30:31]
	s_cbranch_vccnz .LBB137_1020
; %bb.1019:                             ;   in Loop: Header=BB137_1002 Depth=2
	flat_load_b64 v[42:43], v[40:41] offset:256
.LBB137_1020:                           ;   in Loop: Header=BB137_1002 Depth=2
	ds_load_b64 v[96:97], v86 offset:256
	s_wait_loadcnt_dscnt 0x0
	v_fmac_f64_e32 v[38:39], v[42:43], v[96:97]
.LBB137_1021:                           ;   in Loop: Header=BB137_1002 Depth=2
	s_or_b32 exec_lo, exec_lo, s11
	v_add_nc_u32_e32 v0, 48, v0
	s_delay_alu instid0(VALU_DEP_1) | instskip(SKIP_1) | instid1(SALU_CYCLE_1)
	v_cmp_gt_i32_e32 vcc_lo, s85, v0
	s_and_b32 s12, vcc_lo, s0
	s_and_saveexec_b32 s11, s12
	s_cbranch_execz .LBB137_1001
; %bb.1022:                             ;   in Loop: Header=BB137_1002 Depth=2
	v_cmp_ne_u32_e32 vcc_lo, 1, v95
	v_mov_b64_e32 v[42:43], v[32:33]
	s_cbranch_vccnz .LBB137_1000
; %bb.1023:                             ;   in Loop: Header=BB137_1002 Depth=2
	flat_load_b64 v[42:43], v[40:41] offset:384
	s_branch .LBB137_1000
.LBB137_1024:                           ;   in Loop: Header=BB137_3 Depth=1
	ds_store_b64 v90, v[38:39]
	s_wait_dscnt 0x0
	s_barrier_signal -1
	s_barrier_wait -1
	s_and_saveexec_b32 s10, s2
	s_cbranch_execz .LBB137_1026
; %bb.1025:                             ;   in Loop: Header=BB137_3 Depth=1
	ds_load_2addr_stride64_b64 v[40:43], v91 offset0:1 offset1:2
	ds_load_2addr_stride64_b64 v[94:97], v91 offset0:3 offset1:4
	s_wait_dscnt 0x1
	v_add_f64_e32 v[34:35], v[38:39], v[40:41]
	s_delay_alu instid0(VALU_DEP_1) | instskip(SKIP_1) | instid1(VALU_DEP_1)
	v_add_f64_e32 v[34:35], v[34:35], v[42:43]
	s_wait_dscnt 0x0
	v_add_f64_e32 v[34:35], v[34:35], v[94:95]
	s_delay_alu instid0(VALU_DEP_1) | instskip(SKIP_4) | instid1(VALU_DEP_1)
	v_add_f64_e32 v[34:35], v[34:35], v[96:97]
	ds_load_2addr_stride64_b64 v[38:41], v91 offset0:5 offset1:6
	ds_load_2addr_stride64_b64 v[94:97], v91 offset0:7 offset1:8
	s_wait_dscnt 0x1
	v_add_f64_e32 v[34:35], v[34:35], v[38:39]
	v_add_f64_e32 v[34:35], v[34:35], v[40:41]
	s_wait_dscnt 0x0
	s_delay_alu instid0(VALU_DEP_1) | instskip(NEXT) | instid1(VALU_DEP_1)
	v_add_f64_e32 v[34:35], v[34:35], v[94:95]
	v_add_f64_e32 v[34:35], v[34:35], v[96:97]
	ds_load_2addr_stride64_b64 v[38:41], v91 offset0:9 offset1:10
	ds_load_2addr_stride64_b64 v[94:97], v91 offset0:11 offset1:12
	s_wait_dscnt 0x1
	v_add_f64_e32 v[34:35], v[34:35], v[38:39]
	s_delay_alu instid0(VALU_DEP_1) | instskip(SKIP_4) | instid1(VALU_DEP_1)
	v_add_f64_e32 v[34:35], v[34:35], v[40:41]
	ds_load_2addr_stride64_b64 v[38:41], v91 offset0:13 offset1:14
	ds_load_b64 v[42:43], v91 offset:7680
	s_wait_dscnt 0x2
	v_add_f64_e32 v[34:35], v[34:35], v[94:95]
	v_add_f64_e32 v[34:35], v[34:35], v[96:97]
	s_wait_dscnt 0x1
	s_delay_alu instid0(VALU_DEP_1) | instskip(NEXT) | instid1(VALU_DEP_1)
	v_add_f64_e32 v[34:35], v[34:35], v[38:39]
	v_add_f64_e32 v[34:35], v[34:35], v[40:41]
	s_wait_dscnt 0x0
	s_delay_alu instid0(VALU_DEP_1) | instskip(NEXT) | instid1(VALU_DEP_1)
	v_add_f64_e32 v[34:35], v[34:35], v[42:43]
	v_xor_b32_e32 v0, 0x80000000, v35
	s_delay_alu instid0(VALU_DEP_2) | instskip(NEXT) | instid1(VALU_DEP_2)
	v_cndmask_b32_e64 v38, v34, 0, s45
	v_cndmask_b32_e64 v39, v0, 0, s45
.LBB137_1026:                           ;   in Loop: Header=BB137_3 Depth=1
	s_or_b32 exec_lo, exec_lo, s10
	s_delay_alu instid0(SALU_CYCLE_1)
	s_and_not1_b32 vcc_lo, exec_lo, s89
	s_cbranch_vccnz .LBB137_1036
; %bb.1027:                             ;   in Loop: Header=BB137_3 Depth=1
	s_and_saveexec_b32 s10, s2
; %bb.1028:                             ;   in Loop: Header=BB137_3 Depth=1
	ds_store_b64 v93, v[38:39]
; %bb.1029:                             ;   in Loop: Header=BB137_3 Depth=1
	s_or_b32 exec_lo, exec_lo, s10
	v_mov_b64_e32 v[34:35], 0
	s_wait_dscnt 0x0
	s_barrier_signal -1
	s_barrier_wait -1
	s_and_saveexec_b32 s10, s6
	s_cbranch_execnz .LBB137_1091
; %bb.1030:                             ;   in Loop: Header=BB137_3 Depth=1
	s_or_b32 exec_lo, exec_lo, s10
	s_and_saveexec_b32 s10, s7
	s_cbranch_execnz .LBB137_1092
.LBB137_1031:                           ;   in Loop: Header=BB137_3 Depth=1
	s_or_b32 exec_lo, exec_lo, s10
	s_and_saveexec_b32 s10, s8
	s_cbranch_execnz .LBB137_1093
.LBB137_1032:                           ;   in Loop: Header=BB137_3 Depth=1
	s_or_b32 exec_lo, exec_lo, s10
	s_and_saveexec_b32 s10, s9
	s_cbranch_execz .LBB137_1034
.LBB137_1033:                           ;   in Loop: Header=BB137_3 Depth=1
	ds_load_b64 v[40:41], v92 offset:24576
	ds_load_b64 v[42:43], v86 offset:384
	s_wait_dscnt 0x0
	v_fmac_f64_e32 v[34:35], v[40:41], v[42:43]
.LBB137_1034:                           ;   in Loop: Header=BB137_3 Depth=1
	s_or_b32 exec_lo, exec_lo, s10
	s_mov_b32 s10, 0
	s_mov_b32 s65, 0
	ds_store_b64 v90, v[34:35]
	s_wait_dscnt 0x0
	s_barrier_signal -1
	s_barrier_wait -1
                                        ; implicit-def: $vgpr40_vgpr41
	s_and_saveexec_b32 s82, s2
	s_cbranch_execz .LBB137_1094
; %bb.1035:                             ;   in Loop: Header=BB137_3 Depth=1
	ds_load_2addr_stride64_b64 v[40:43], v91 offset0:1 offset1:2
	ds_load_2addr_stride64_b64 v[94:97], v91 offset0:3 offset1:4
	s_mov_b32 s65, exec_lo
	s_wait_dscnt 0x1
	v_add_f64_e32 v[34:35], v[34:35], v[40:41]
	s_delay_alu instid0(VALU_DEP_1) | instskip(SKIP_1) | instid1(VALU_DEP_1)
	v_add_f64_e32 v[34:35], v[42:43], v[34:35]
	s_wait_dscnt 0x0
	v_add_f64_e32 v[34:35], v[94:95], v[34:35]
	s_delay_alu instid0(VALU_DEP_1) | instskip(SKIP_4) | instid1(VALU_DEP_1)
	v_add_f64_e32 v[34:35], v[96:97], v[34:35]
	ds_load_2addr_stride64_b64 v[40:43], v91 offset0:5 offset1:6
	ds_load_2addr_stride64_b64 v[94:97], v91 offset0:7 offset1:8
	s_wait_dscnt 0x1
	v_add_f64_e32 v[34:35], v[40:41], v[34:35]
	v_add_f64_e32 v[34:35], v[42:43], v[34:35]
	s_wait_dscnt 0x0
	s_delay_alu instid0(VALU_DEP_1) | instskip(NEXT) | instid1(VALU_DEP_1)
	v_add_f64_e32 v[34:35], v[94:95], v[34:35]
	v_add_f64_e32 v[34:35], v[96:97], v[34:35]
	ds_load_2addr_stride64_b64 v[40:43], v91 offset0:9 offset1:10
	ds_load_2addr_stride64_b64 v[94:97], v91 offset0:11 offset1:12
	s_wait_dscnt 0x1
	v_add_f64_e32 v[34:35], v[40:41], v[34:35]
	s_delay_alu instid0(VALU_DEP_1) | instskip(SKIP_1) | instid1(VALU_DEP_1)
	v_add_f64_e32 v[34:35], v[42:43], v[34:35]
	s_wait_dscnt 0x0
	v_add_f64_e32 v[34:35], v[94:95], v[34:35]
	ds_load_2addr_stride64_b64 v[40:43], v91 offset0:13 offset1:14
	ds_load_b64 v[94:95], v91 offset:7680
	v_add_f64_e32 v[34:35], v[96:97], v[34:35]
	s_wait_dscnt 0x1
	s_delay_alu instid0(VALU_DEP_1) | instskip(NEXT) | instid1(VALU_DEP_1)
	v_add_f64_e32 v[34:35], v[40:41], v[34:35]
	v_add_f64_e32 v[34:35], v[42:43], v[34:35]
	s_wait_dscnt 0x0
	s_delay_alu instid0(VALU_DEP_1) | instskip(SKIP_1) | instid1(SALU_CYCLE_1)
	v_add_f64_e32 v[40:41], v[94:95], v[34:35]
	s_or_b32 exec_lo, exec_lo, s82
	s_and_b32 vcc_lo, exec_lo, s10
	s_cbranch_vccnz .LBB137_1037
	s_branch .LBB137_1095
.LBB137_1036:                           ;   in Loop: Header=BB137_3 Depth=1
	s_mov_b32 s65, 0
                                        ; implicit-def: $vgpr40_vgpr41
	s_cbranch_execz .LBB137_1095
.LBB137_1037:                           ;   in Loop: Header=BB137_3 Depth=1
	v_dual_mov_b32 v0, v2 :: v_dual_mov_b32 v34, v73
	s_mov_b32 s10, 0
	s_branch .LBB137_1039
.LBB137_1038:                           ;   in Loop: Header=BB137_1039 Depth=2
	s_or_b32 exec_lo, exec_lo, s11
	v_add_nc_u32_e32 v34, 0x800, v34
	v_add_nc_u32_e32 v0, -4, v0
	s_add_co_i32 s10, s10, 4
	s_delay_alu instid0(SALU_CYCLE_1)
	s_cmp_lg_u32 s10, 64
	s_barrier_signal -1
	s_barrier_wait -1
	s_cbranch_scc0 .LBB137_1055
.LBB137_1039:                           ;   Parent Loop BB137_3 Depth=1
                                        ; =>  This Inner Loop Header: Depth=2
	s_delay_alu instid0(VALU_DEP_1) | instskip(SKIP_2) | instid1(SALU_CYCLE_1)
	v_cmp_eq_u32_e32 vcc_lo, 0, v0
	v_add_nc_u32_e32 v35, v85, v48
	s_and_b32 s12, s2, vcc_lo
	s_and_saveexec_b32 s11, s12
	s_cbranch_execz .LBB137_1041
; %bb.1040:                             ;   in Loop: Header=BB137_1039 Depth=2
	ds_load_b64 v[40:41], v35
	s_wait_dscnt 0x0
	v_mul_f64_e32 v[38:39], v[38:39], v[40:41]
	ds_store_b64 v1, v[38:39] offset:41472
.LBB137_1041:                           ;   in Loop: Header=BB137_1039 Depth=2
	s_or_b32 exec_lo, exec_lo, s11
	v_cmp_lt_u32_e32 vcc_lo, s10, v2
	s_wait_dscnt 0x0
	s_barrier_signal -1
	s_barrier_wait -1
	s_and_b32 s12, s2, vcc_lo
	s_delay_alu instid0(SALU_CYCLE_1)
	s_and_saveexec_b32 s11, s12
	s_cbranch_execz .LBB137_1043
; %bb.1042:                             ;   in Loop: Header=BB137_1039 Depth=2
	ds_load_b64 v[40:41], v34
	ds_load_b64 v[42:43], v1 offset:41472
	s_wait_dscnt 0x0
	v_fmac_f64_e32 v[38:39], v[40:41], v[42:43]
.LBB137_1043:                           ;   in Loop: Header=BB137_1039 Depth=2
	s_or_b32 exec_lo, exec_lo, s11
	s_or_b32 s11, s10, 1
	s_delay_alu instid0(SALU_CYCLE_1) | instskip(SKIP_3) | instid1(SALU_CYCLE_1)
	v_cmp_eq_u32_e32 vcc_lo, s11, v2
	s_barrier_signal -1
	s_barrier_wait -1
	s_and_b32 s82, s2, vcc_lo
	s_and_saveexec_b32 s12, s82
	s_cbranch_execz .LBB137_1045
; %bb.1044:                             ;   in Loop: Header=BB137_1039 Depth=2
	ds_load_b64 v[40:41], v35
	s_wait_dscnt 0x0
	v_mul_f64_e32 v[38:39], v[38:39], v[40:41]
	ds_store_b64 v1, v[38:39] offset:41472
.LBB137_1045:                           ;   in Loop: Header=BB137_1039 Depth=2
	s_or_b32 exec_lo, exec_lo, s12
	v_cmp_lt_u32_e32 vcc_lo, s11, v2
	s_wait_dscnt 0x0
	s_barrier_signal -1
	s_barrier_wait -1
	s_and_b32 s12, s2, vcc_lo
	s_delay_alu instid0(SALU_CYCLE_1)
	s_and_saveexec_b32 s11, s12
	s_cbranch_execz .LBB137_1047
; %bb.1046:                             ;   in Loop: Header=BB137_1039 Depth=2
	ds_load_b64 v[40:41], v34 offset:512
	ds_load_b64 v[42:43], v1 offset:41472
	s_wait_dscnt 0x0
	v_fmac_f64_e32 v[38:39], v[40:41], v[42:43]
.LBB137_1047:                           ;   in Loop: Header=BB137_1039 Depth=2
	s_or_b32 exec_lo, exec_lo, s11
	s_or_b32 s11, s10, 2
	s_delay_alu instid0(SALU_CYCLE_1) | instskip(SKIP_3) | instid1(SALU_CYCLE_1)
	v_cmp_eq_u32_e32 vcc_lo, s11, v2
	s_barrier_signal -1
	s_barrier_wait -1
	s_and_b32 s82, s2, vcc_lo
	s_and_saveexec_b32 s12, s82
	s_cbranch_execz .LBB137_1049
; %bb.1048:                             ;   in Loop: Header=BB137_1039 Depth=2
	ds_load_b64 v[40:41], v35
	s_wait_dscnt 0x0
	v_mul_f64_e32 v[38:39], v[38:39], v[40:41]
	ds_store_b64 v1, v[38:39] offset:41472
.LBB137_1049:                           ;   in Loop: Header=BB137_1039 Depth=2
	s_or_b32 exec_lo, exec_lo, s12
	v_cmp_lt_u32_e32 vcc_lo, s11, v2
	s_wait_dscnt 0x0
	s_barrier_signal -1
	s_barrier_wait -1
	s_and_b32 s12, s2, vcc_lo
	s_delay_alu instid0(SALU_CYCLE_1)
	s_and_saveexec_b32 s11, s12
	s_cbranch_execz .LBB137_1051
; %bb.1050:                             ;   in Loop: Header=BB137_1039 Depth=2
	ds_load_b64 v[40:41], v34 offset:1024
	ds_load_b64 v[42:43], v1 offset:41472
	s_wait_dscnt 0x0
	v_fmac_f64_e32 v[38:39], v[40:41], v[42:43]
.LBB137_1051:                           ;   in Loop: Header=BB137_1039 Depth=2
	s_or_b32 exec_lo, exec_lo, s11
	s_or_b32 s11, s10, 3
	s_delay_alu instid0(SALU_CYCLE_1) | instskip(SKIP_3) | instid1(SALU_CYCLE_1)
	v_cmp_eq_u32_e32 vcc_lo, s11, v2
	s_barrier_signal -1
	s_barrier_wait -1
	s_and_b32 s82, s2, vcc_lo
	s_and_saveexec_b32 s12, s82
	s_cbranch_execz .LBB137_1053
; %bb.1052:                             ;   in Loop: Header=BB137_1039 Depth=2
	ds_load_b64 v[40:41], v35
	s_wait_dscnt 0x0
	v_mul_f64_e32 v[38:39], v[38:39], v[40:41]
	ds_store_b64 v1, v[38:39] offset:41472
.LBB137_1053:                           ;   in Loop: Header=BB137_1039 Depth=2
	s_or_b32 exec_lo, exec_lo, s12
	v_cmp_lt_u32_e32 vcc_lo, s11, v2
	s_wait_dscnt 0x0
	s_barrier_signal -1
	s_barrier_wait -1
	s_and_b32 s12, s2, vcc_lo
	s_delay_alu instid0(SALU_CYCLE_1)
	s_and_saveexec_b32 s11, s12
	s_cbranch_execz .LBB137_1038
; %bb.1054:                             ;   in Loop: Header=BB137_1039 Depth=2
	ds_load_b64 v[40:41], v34 offset:1536
	ds_load_b64 v[42:43], v1 offset:41472
	s_wait_dscnt 0x0
	v_fmac_f64_e32 v[38:39], v[40:41], v[42:43]
	s_branch .LBB137_1038
.LBB137_1055:                           ;   in Loop: Header=BB137_3 Depth=1
	s_and_b32 vcc_lo, exec_lo, s88
	s_mov_b32 s10, -1
	s_cbranch_vccz .LBB137_1057
; %bb.1056:                             ;   in Loop: Header=BB137_3 Depth=1
	s_and_not1_b32 s11, s65, exec_lo
	s_and_b32 s12, s2, exec_lo
	s_mov_b32 s10, 0
	s_or_b32 s65, s11, s12
.LBB137_1057:                           ;   in Loop: Header=BB137_3 Depth=1
	s_and_not1_b32 vcc_lo, exec_lo, s10
	s_cbranch_vccnz .LBB137_1059
; %bb.1058:                             ;   in Loop: Header=BB137_3 Depth=1
	v_readlane_b32 s11, v101, 6
	s_and_not1_b32 s10, s65, exec_lo
	s_and_b32 s11, s11, exec_lo
	s_delay_alu instid0(SALU_CYCLE_1)
	s_or_b32 s65, s10, s11
.LBB137_1059:                           ;   in Loop: Header=BB137_3 Depth=1
	v_mov_b64_e32 v[34:35], v[20:21]
	s_and_saveexec_b32 s10, s65
	s_cbranch_execnz .LBB137_1096
	s_branch .LBB137_1097
.LBB137_1060:                           ;   in Loop: Header=BB137_3 Depth=1
	s_mov_b32 s11, exec_lo
	v_readlane_b32 s12, v101, 15
	s_and_b32 s12, s11, s12
	s_delay_alu instid0(SALU_CYCLE_1)
	s_xor_b32 s11, s12, s11
	s_mov_b32 exec_lo, s12
	s_cbranch_execz .LBB137_1064
; %bb.1061:                             ;   in Loop: Header=BB137_3 Depth=1
	s_mov_b32 s12, exec_lo
	v_readlane_b32 s65, v100, 25
	s_and_b32 s65, s12, s65
	s_delay_alu instid0(SALU_CYCLE_1)
	s_mov_b32 exec_lo, s65
; %bb.1062:                             ;   in Loop: Header=BB137_3 Depth=1
	ds_store_b64 v77, v[24:25]
; %bb.1063:                             ;   in Loop: Header=BB137_3 Depth=1
	s_or_b32 exec_lo, exec_lo, s12
.LBB137_1064:                           ;   in Loop: Header=BB137_3 Depth=1
	s_and_not1_saveexec_b32 s11, s11
	s_cbranch_execz .LBB137_1066
; %bb.1065:                             ;   in Loop: Header=BB137_3 Depth=1
	v_lshl_add_u64 v[40:41], v[12:13], 3, v[38:39]
	flat_load_b64 v[40:41], v[40:41]
	s_wait_loadcnt_dscnt 0x0
	v_div_scale_f64 v[42:43], null, v[40:41], v[40:41], 1.0
	s_delay_alu instid0(VALU_DEP_1) | instskip(SKIP_1) | instid1(TRANS32_DEP_1)
	v_rcp_f64_e32 v[94:95], v[42:43]
	v_nop
	v_fma_f64 v[96:97], -v[42:43], v[94:95], 1.0
	s_delay_alu instid0(VALU_DEP_1) | instskip(NEXT) | instid1(VALU_DEP_1)
	v_fmac_f64_e32 v[94:95], v[94:95], v[96:97]
	v_fma_f64 v[96:97], -v[42:43], v[94:95], 1.0
	s_delay_alu instid0(VALU_DEP_1) | instskip(SKIP_1) | instid1(VALU_DEP_1)
	v_fmac_f64_e32 v[94:95], v[94:95], v[96:97]
	v_div_scale_f64 v[96:97], vcc_lo, 1.0, v[40:41], 1.0
	v_mul_f64_e32 v[98:99], v[96:97], v[94:95]
	s_delay_alu instid0(VALU_DEP_1) | instskip(NEXT) | instid1(VALU_DEP_1)
	v_fma_f64 v[42:43], -v[42:43], v[98:99], v[96:97]
	v_div_fmas_f64 v[42:43], v[42:43], v[94:95], v[98:99]
	s_delay_alu instid0(VALU_DEP_1)
	v_div_fixup_f64 v[40:41], v[42:43], v[40:41], 1.0
	ds_store_b64 v77, v[40:41]
.LBB137_1066:                           ;   in Loop: Header=BB137_3 Depth=1
	s_or_b32 exec_lo, exec_lo, s11
	s_and_not1_saveexec_b32 s10, s10
	s_cbranch_execz .LBB137_17
.LBB137_1067:                           ;   in Loop: Header=BB137_3 Depth=1
	v_lshl_add_u64 v[40:41], v[12:13], 3, v[38:39]
	flat_load_b64 v[40:41], v[40:41]
	s_wait_loadcnt_dscnt 0x0
	v_xor_b32_e32 v41, 0x80000000, v41
	ds_store_b64 v77, v[40:41]
	s_or_b32 exec_lo, exec_lo, s10
	s_and_saveexec_b32 s10, s7
	s_delay_alu instid0(SALU_CYCLE_1)
	s_xor_b32 s10, exec_lo, s10
	s_cbranch_execz .LBB137_18
.LBB137_1068:                           ;   in Loop: Header=BB137_3 Depth=1
	s_mov_b32 s11, exec_lo
	v_readlane_b32 s12, v101, 17
	s_and_b32 s12, s11, s12
	s_delay_alu instid0(SALU_CYCLE_1)
	s_xor_b32 s11, s12, s11
	s_mov_b32 exec_lo, s12
	s_cbranch_execz .LBB137_1072
; %bb.1069:                             ;   in Loop: Header=BB137_3 Depth=1
	s_mov_b32 s12, exec_lo
	v_readlane_b32 s65, v100, 26
	s_and_b32 s65, s12, s65
	s_delay_alu instid0(SALU_CYCLE_1)
	s_mov_b32 exec_lo, s65
; %bb.1070:                             ;   in Loop: Header=BB137_3 Depth=1
	ds_store_b64 v81, v[24:25]
; %bb.1071:                             ;   in Loop: Header=BB137_3 Depth=1
	s_or_b32 exec_lo, exec_lo, s12
.LBB137_1072:                           ;   in Loop: Header=BB137_3 Depth=1
	s_and_not1_saveexec_b32 s11, s11
	s_cbranch_execz .LBB137_1074
; %bb.1073:                             ;   in Loop: Header=BB137_3 Depth=1
	v_lshl_add_u64 v[40:41], v[14:15], 3, v[38:39]
	flat_load_b64 v[40:41], v[40:41]
	s_wait_loadcnt_dscnt 0x0
	v_div_scale_f64 v[42:43], null, v[40:41], v[40:41], 1.0
	s_delay_alu instid0(VALU_DEP_1) | instskip(SKIP_1) | instid1(TRANS32_DEP_1)
	v_rcp_f64_e32 v[94:95], v[42:43]
	v_nop
	v_fma_f64 v[96:97], -v[42:43], v[94:95], 1.0
	s_delay_alu instid0(VALU_DEP_1) | instskip(NEXT) | instid1(VALU_DEP_1)
	v_fmac_f64_e32 v[94:95], v[94:95], v[96:97]
	v_fma_f64 v[96:97], -v[42:43], v[94:95], 1.0
	s_delay_alu instid0(VALU_DEP_1) | instskip(SKIP_1) | instid1(VALU_DEP_1)
	v_fmac_f64_e32 v[94:95], v[94:95], v[96:97]
	v_div_scale_f64 v[96:97], vcc_lo, 1.0, v[40:41], 1.0
	v_mul_f64_e32 v[98:99], v[96:97], v[94:95]
	s_delay_alu instid0(VALU_DEP_1) | instskip(NEXT) | instid1(VALU_DEP_1)
	v_fma_f64 v[42:43], -v[42:43], v[98:99], v[96:97]
	v_div_fmas_f64 v[42:43], v[42:43], v[94:95], v[98:99]
	s_delay_alu instid0(VALU_DEP_1)
	v_div_fixup_f64 v[40:41], v[42:43], v[40:41], 1.0
	ds_store_b64 v81, v[40:41]
.LBB137_1074:                           ;   in Loop: Header=BB137_3 Depth=1
	s_or_b32 exec_lo, exec_lo, s11
	s_and_not1_saveexec_b32 s10, s10
	s_cbranch_execz .LBB137_19
.LBB137_1075:                           ;   in Loop: Header=BB137_3 Depth=1
	v_lshl_add_u64 v[40:41], v[14:15], 3, v[38:39]
	flat_load_b64 v[40:41], v[40:41]
	s_wait_loadcnt_dscnt 0x0
	v_xor_b32_e32 v41, 0x80000000, v41
	ds_store_b64 v81, v[40:41]
	s_or_b32 exec_lo, exec_lo, s10
	s_and_saveexec_b32 s10, s8
	s_delay_alu instid0(SALU_CYCLE_1)
	s_xor_b32 s10, exec_lo, s10
	s_cbranch_execz .LBB137_20
.LBB137_1076:                           ;   in Loop: Header=BB137_3 Depth=1
	s_mov_b32 s11, exec_lo
	v_readlane_b32 s12, v101, 19
	s_and_b32 s12, s11, s12
	s_delay_alu instid0(SALU_CYCLE_1)
	s_xor_b32 s11, s12, s11
	s_mov_b32 exec_lo, s12
	s_cbranch_execz .LBB137_1080
; %bb.1077:                             ;   in Loop: Header=BB137_3 Depth=1
	s_mov_b32 s12, exec_lo
	v_readlane_b32 s65, v100, 27
	s_and_b32 s65, s12, s65
	s_delay_alu instid0(SALU_CYCLE_1)
	s_mov_b32 exec_lo, s65
; %bb.1078:                             ;   in Loop: Header=BB137_3 Depth=1
	ds_store_b64 v82, v[24:25]
; %bb.1079:                             ;   in Loop: Header=BB137_3 Depth=1
	s_or_b32 exec_lo, exec_lo, s12
.LBB137_1080:                           ;   in Loop: Header=BB137_3 Depth=1
	s_and_not1_saveexec_b32 s11, s11
	s_cbranch_execz .LBB137_1082
; %bb.1081:                             ;   in Loop: Header=BB137_3 Depth=1
	v_lshl_add_u64 v[40:41], v[16:17], 3, v[38:39]
	flat_load_b64 v[40:41], v[40:41]
	s_wait_loadcnt_dscnt 0x0
	v_div_scale_f64 v[42:43], null, v[40:41], v[40:41], 1.0
	s_delay_alu instid0(VALU_DEP_1) | instskip(SKIP_1) | instid1(TRANS32_DEP_1)
	v_rcp_f64_e32 v[94:95], v[42:43]
	v_nop
	v_fma_f64 v[96:97], -v[42:43], v[94:95], 1.0
	s_delay_alu instid0(VALU_DEP_1) | instskip(NEXT) | instid1(VALU_DEP_1)
	v_fmac_f64_e32 v[94:95], v[94:95], v[96:97]
	v_fma_f64 v[96:97], -v[42:43], v[94:95], 1.0
	s_delay_alu instid0(VALU_DEP_1) | instskip(SKIP_1) | instid1(VALU_DEP_1)
	v_fmac_f64_e32 v[94:95], v[94:95], v[96:97]
	v_div_scale_f64 v[96:97], vcc_lo, 1.0, v[40:41], 1.0
	v_mul_f64_e32 v[98:99], v[96:97], v[94:95]
	s_delay_alu instid0(VALU_DEP_1) | instskip(NEXT) | instid1(VALU_DEP_1)
	v_fma_f64 v[42:43], -v[42:43], v[98:99], v[96:97]
	v_div_fmas_f64 v[42:43], v[42:43], v[94:95], v[98:99]
	s_delay_alu instid0(VALU_DEP_1)
	v_div_fixup_f64 v[40:41], v[42:43], v[40:41], 1.0
	ds_store_b64 v82, v[40:41]
.LBB137_1082:                           ;   in Loop: Header=BB137_3 Depth=1
	s_or_b32 exec_lo, exec_lo, s11
	s_and_not1_saveexec_b32 s10, s10
	s_cbranch_execz .LBB137_21
.LBB137_1083:                           ;   in Loop: Header=BB137_3 Depth=1
	v_lshl_add_u64 v[40:41], v[16:17], 3, v[38:39]
	flat_load_b64 v[40:41], v[40:41]
	s_wait_loadcnt_dscnt 0x0
	v_xor_b32_e32 v41, 0x80000000, v41
	ds_store_b64 v82, v[40:41]
	s_or_b32 exec_lo, exec_lo, s10
	s_and_saveexec_b32 s10, s9
	s_delay_alu instid0(SALU_CYCLE_1)
	s_xor_b32 s10, exec_lo, s10
	s_cbranch_execz .LBB137_22
.LBB137_1084:                           ;   in Loop: Header=BB137_3 Depth=1
	s_mov_b32 s11, exec_lo
	v_readlane_b32 s12, v101, 21
	s_and_b32 s12, s11, s12
	s_delay_alu instid0(SALU_CYCLE_1)
	s_xor_b32 s11, s12, s11
	s_mov_b32 exec_lo, s12
	s_cbranch_execz .LBB137_1088
; %bb.1085:                             ;   in Loop: Header=BB137_3 Depth=1
	s_mov_b32 s12, exec_lo
	v_readlane_b32 s65, v100, 28
	s_and_b32 s65, s12, s65
	s_delay_alu instid0(SALU_CYCLE_1)
	s_mov_b32 exec_lo, s65
; %bb.1086:                             ;   in Loop: Header=BB137_3 Depth=1
	ds_store_b64 v84, v[24:25]
; %bb.1087:                             ;   in Loop: Header=BB137_3 Depth=1
	s_or_b32 exec_lo, exec_lo, s12
.LBB137_1088:                           ;   in Loop: Header=BB137_3 Depth=1
	s_and_not1_saveexec_b32 s11, s11
	s_cbranch_execz .LBB137_1090
; %bb.1089:                             ;   in Loop: Header=BB137_3 Depth=1
	v_lshl_add_u64 v[40:41], v[18:19], 3, v[38:39]
	flat_load_b64 v[40:41], v[40:41]
	s_wait_loadcnt_dscnt 0x0
	v_div_scale_f64 v[42:43], null, v[40:41], v[40:41], 1.0
	s_delay_alu instid0(VALU_DEP_1) | instskip(SKIP_1) | instid1(TRANS32_DEP_1)
	v_rcp_f64_e32 v[94:95], v[42:43]
	v_nop
	v_fma_f64 v[96:97], -v[42:43], v[94:95], 1.0
	s_delay_alu instid0(VALU_DEP_1) | instskip(NEXT) | instid1(VALU_DEP_1)
	v_fmac_f64_e32 v[94:95], v[94:95], v[96:97]
	v_fma_f64 v[96:97], -v[42:43], v[94:95], 1.0
	s_delay_alu instid0(VALU_DEP_1) | instskip(SKIP_1) | instid1(VALU_DEP_1)
	v_fmac_f64_e32 v[94:95], v[94:95], v[96:97]
	v_div_scale_f64 v[96:97], vcc_lo, 1.0, v[40:41], 1.0
	v_mul_f64_e32 v[98:99], v[96:97], v[94:95]
	s_delay_alu instid0(VALU_DEP_1) | instskip(NEXT) | instid1(VALU_DEP_1)
	v_fma_f64 v[42:43], -v[42:43], v[98:99], v[96:97]
	v_div_fmas_f64 v[42:43], v[42:43], v[94:95], v[98:99]
	s_delay_alu instid0(VALU_DEP_1)
	v_div_fixup_f64 v[40:41], v[42:43], v[40:41], 1.0
	ds_store_b64 v84, v[40:41]
.LBB137_1090:                           ;   in Loop: Header=BB137_3 Depth=1
	s_or_b32 exec_lo, exec_lo, s11
	s_and_not1_saveexec_b32 s10, s10
	s_cbranch_execnz .LBB137_23
	s_branch .LBB137_24
.LBB137_1091:                           ;   in Loop: Header=BB137_3 Depth=1
	ds_load_b64 v[34:35], v92
	ds_load_b64 v[40:41], v86
	s_wait_dscnt 0x0
	v_fma_f64 v[34:35], v[34:35], v[40:41], 0
	s_or_b32 exec_lo, exec_lo, s10
	s_and_saveexec_b32 s10, s7
	s_cbranch_execz .LBB137_1031
.LBB137_1092:                           ;   in Loop: Header=BB137_3 Depth=1
	ds_load_b64 v[40:41], v92 offset:8192
	ds_load_b64 v[42:43], v86 offset:128
	s_wait_dscnt 0x0
	v_fmac_f64_e32 v[34:35], v[40:41], v[42:43]
	s_or_b32 exec_lo, exec_lo, s10
	s_and_saveexec_b32 s10, s8
	s_cbranch_execz .LBB137_1032
.LBB137_1093:                           ;   in Loop: Header=BB137_3 Depth=1
	ds_load_b64 v[40:41], v92 offset:16384
	ds_load_b64 v[42:43], v86 offset:256
	s_wait_dscnt 0x0
	v_fmac_f64_e32 v[34:35], v[40:41], v[42:43]
	s_or_b32 exec_lo, exec_lo, s10
	s_and_saveexec_b32 s10, s9
	s_cbranch_execnz .LBB137_1033
	s_branch .LBB137_1034
.LBB137_1094:                           ;   in Loop: Header=BB137_3 Depth=1
	s_or_b32 exec_lo, exec_lo, s82
	s_delay_alu instid0(SALU_CYCLE_1)
	s_and_b32 vcc_lo, exec_lo, s10
	s_cbranch_vccnz .LBB137_1037
.LBB137_1095:                           ;   in Loop: Header=BB137_3 Depth=1
	s_delay_alu instid0(VALU_DEP_1)
	v_mov_b64_e32 v[38:39], v[40:41]
	v_mov_b64_e32 v[34:35], v[22:23]
	s_and_saveexec_b32 s10, s65
	s_cbranch_execz .LBB137_1097
.LBB137_1096:                           ;   in Loop: Header=BB137_3 Depth=1
	s_delay_alu instid0(VALU_DEP_1)
	v_lshl_add_u64 v[34:35], v[34:35], 3, v[36:37]
	flat_store_b64 v[34:35], v[38:39]
.LBB137_1097:                           ;   in Loop: Header=BB137_3 Depth=1
	s_wait_xcnt 0x0
	s_or_b32 exec_lo, exec_lo, s10
	global_wb scope:SCOPE_DEV
	s_wait_storecnt_dscnt 0x0
	global_inv scope:SCOPE_DEV
	s_wait_loadcnt 0x0
	s_barrier_signal -1
	s_barrier_wait -1
	s_and_saveexec_b32 s10, s59
	s_cbranch_execz .LBB137_2
; %bb.1098:                             ;   in Loop: Header=BB137_3 Depth=1
	s_lshl_b64 s[82:83], s[66:67], 2
	s_delay_alu instid0(SALU_CYCLE_1)
	s_add_nc_u64 s[82:83], s[80:81], s[82:83]
	global_load_b32 v0, v1, s[82:83]
	s_wait_loadcnt 0x0
	v_add_nc_u32_e32 v0, 1, v0
	global_store_b32 v1, v0, s[82:83]
	s_branch .LBB137_2
.LBB137_1099:                           ;   in Loop: Header=BB137_3 Depth=1
	ds_load_b64 v[40:41], v53 offset:31680
	ds_load_b64 v[42:43], v52 offset:32744
	s_wait_dscnt 0x0
	v_fmac_f64_e32 v[38:39], v[40:41], v[42:43]
	s_or_b32 exec_lo, exec_lo, s11
	s_and_saveexec_b32 s11, s17
	s_cbranch_execz .LBB137_88
.LBB137_1100:                           ;   in Loop: Header=BB137_3 Depth=1
	ds_load_b64 v[40:41], v53 offset:32192
	ds_load_b64 v[42:43], v52 offset:32752
	s_wait_dscnt 0x0
	v_fmac_f64_e32 v[38:39], v[40:41], v[42:43]
	s_or_b32 exec_lo, exec_lo, s11
	s_and_saveexec_b32 s11, s1
	s_cbranch_execnz .LBB137_89
	s_branch .LBB137_90
.LBB137_1101:                           ;   in Loop: Header=BB137_3 Depth=1
	ds_load_b64 v[40:41], v59 offset:29568
	ds_load_b64 v[42:43], v58 offset:32712
	s_wait_dscnt 0x0
	v_fmac_f64_e32 v[38:39], v[40:41], v[42:43]
	s_or_b32 exec_lo, exec_lo, s11
	s_and_saveexec_b32 s11, s19
	s_cbranch_execz .LBB137_130
.LBB137_1102:                           ;   in Loop: Header=BB137_3 Depth=1
	ds_load_b64 v[40:41], v59 offset:30080
	ds_load_b64 v[42:43], v58 offset:32720
	s_wait_dscnt 0x0
	v_fmac_f64_e32 v[38:39], v[40:41], v[42:43]
	s_or_b32 exec_lo, exec_lo, s11
	s_and_saveexec_b32 s11, s20
	s_cbranch_execz .LBB137_131
.LBB137_1103:                           ;   in Loop: Header=BB137_3 Depth=1
	ds_load_b64 v[40:41], v59 offset:30592
	ds_load_b64 v[42:43], v58 offset:32728
	s_wait_dscnt 0x0
	v_fmac_f64_e32 v[38:39], v[40:41], v[42:43]
	s_or_b32 exec_lo, exec_lo, s11
	s_and_saveexec_b32 s11, s21
	s_cbranch_execz .LBB137_132
.LBB137_1104:                           ;   in Loop: Header=BB137_3 Depth=1
	ds_load_b64 v[40:41], v59 offset:31104
	ds_load_b64 v[42:43], v58 offset:32736
	s_wait_dscnt 0x0
	v_fmac_f64_e32 v[38:39], v[40:41], v[42:43]
	s_or_b32 exec_lo, exec_lo, s11
	s_and_saveexec_b32 s11, s22
	s_cbranch_execz .LBB137_133
.LBB137_1105:                           ;   in Loop: Header=BB137_3 Depth=1
	ds_load_b64 v[40:41], v59 offset:31616
	ds_load_b64 v[42:43], v58 offset:32744
	s_wait_dscnt 0x0
	v_fmac_f64_e32 v[38:39], v[40:41], v[42:43]
	s_or_b32 exec_lo, exec_lo, s11
	s_and_saveexec_b32 s11, s3
	s_cbranch_execz .LBB137_134
.LBB137_1106:                           ;   in Loop: Header=BB137_3 Depth=1
	ds_load_b64 v[40:41], v59 offset:32128
	ds_load_b64 v[42:43], v58 offset:32752
	s_wait_dscnt 0x0
	v_fmac_f64_e32 v[38:39], v[40:41], v[42:43]
	s_or_b32 exec_lo, exec_lo, s11
	s_and_saveexec_b32 s11, s17
	s_cbranch_execnz .LBB137_135
	s_branch .LBB137_136
.LBB137_1107:                           ;   in Loop: Header=BB137_3 Depth=1
	ds_load_b64 v[40:41], v53 offset:27520
	ds_load_b64 v[42:43], v52 offset:28584
	s_wait_dscnt 0x0
	v_fmac_f64_e32 v[38:39], v[40:41], v[42:43]
	s_or_b32 exec_lo, exec_lo, s11
	s_and_saveexec_b32 s11, s17
	s_cbranch_execz .LBB137_192
.LBB137_1108:                           ;   in Loop: Header=BB137_3 Depth=1
	ds_load_b64 v[40:41], v53 offset:28032
	ds_load_b64 v[42:43], v52 offset:28592
	s_wait_dscnt 0x0
	v_fmac_f64_e32 v[38:39], v[40:41], v[42:43]
	s_or_b32 exec_lo, exec_lo, s11
	s_and_saveexec_b32 s11, s1
	s_cbranch_execnz .LBB137_193
	s_branch .LBB137_194
.LBB137_1109:                           ;   in Loop: Header=BB137_3 Depth=1
	ds_load_b64 v[40:41], v63 offset:30464
	ds_load_b64 v[42:43], v62 offset:32728
	s_wait_dscnt 0x0
	v_fmac_f64_e32 v[38:39], v[40:41], v[42:43]
	s_or_b32 exec_lo, exec_lo, s10
	s_and_saveexec_b32 s10, s4
	s_cbranch_execz .LBB137_254
.LBB137_1110:                           ;   in Loop: Header=BB137_3 Depth=1
	ds_load_b64 v[40:41], v63 offset:30976
	ds_load_b64 v[42:43], v62 offset:32736
	s_wait_dscnt 0x0
	v_fmac_f64_e32 v[38:39], v[40:41], v[42:43]
	s_or_b32 exec_lo, exec_lo, s10
	s_and_saveexec_b32 s10, s19
	s_cbranch_execz .LBB137_255
.LBB137_1111:                           ;   in Loop: Header=BB137_3 Depth=1
	ds_load_b64 v[40:41], v63 offset:31488
	ds_load_b64 v[42:43], v62 offset:32744
	s_wait_dscnt 0x0
	v_fmac_f64_e32 v[38:39], v[40:41], v[42:43]
	s_or_b32 exec_lo, exec_lo, s10
	s_and_saveexec_b32 s10, s21
	s_cbranch_execz .LBB137_256
.LBB137_1112:                           ;   in Loop: Header=BB137_3 Depth=1
	ds_load_b64 v[40:41], v63 offset:32000
	ds_load_b64 v[42:43], v62 offset:32752
	s_wait_dscnt 0x0
	v_fmac_f64_e32 v[38:39], v[40:41], v[42:43]
	s_or_b32 exec_lo, exec_lo, s10
	s_and_saveexec_b32 s10, s3
	s_cbranch_execnz .LBB137_257
	s_branch .LBB137_258
.LBB137_1113:                           ;   in Loop: Header=BB137_3 Depth=1
	ds_load_b64 v[40:41], v53 offset:23360
	ds_load_b64 v[42:43], v52 offset:24424
	s_wait_dscnt 0x0
	v_fmac_f64_e32 v[38:39], v[40:41], v[42:43]
	s_or_b32 exec_lo, exec_lo, s11
	s_and_saveexec_b32 s11, s17
	s_cbranch_execz .LBB137_346
.LBB137_1114:                           ;   in Loop: Header=BB137_3 Depth=1
	ds_load_b64 v[40:41], v53 offset:23872
	ds_load_b64 v[42:43], v52 offset:24432
	s_wait_dscnt 0x0
	v_fmac_f64_e32 v[38:39], v[40:41], v[42:43]
	s_or_b32 exec_lo, exec_lo, s11
	s_and_saveexec_b32 s11, s1
	s_cbranch_execnz .LBB137_347
	s_branch .LBB137_348
.LBB137_1115:                           ;   in Loop: Header=BB137_3 Depth=1
	ds_load_b64 v[40:41], v59 offset:21248
	ds_load_b64 v[42:43], v58 offset:24392
	s_wait_dscnt 0x0
	v_fmac_f64_e32 v[38:39], v[40:41], v[42:43]
	s_or_b32 exec_lo, exec_lo, s11
	s_and_saveexec_b32 s11, s19
	s_cbranch_execz .LBB137_388
.LBB137_1116:                           ;   in Loop: Header=BB137_3 Depth=1
	ds_load_b64 v[40:41], v59 offset:21760
	ds_load_b64 v[42:43], v58 offset:24400
	s_wait_dscnt 0x0
	v_fmac_f64_e32 v[38:39], v[40:41], v[42:43]
	s_or_b32 exec_lo, exec_lo, s11
	s_and_saveexec_b32 s11, s20
	s_cbranch_execz .LBB137_389
.LBB137_1117:                           ;   in Loop: Header=BB137_3 Depth=1
	ds_load_b64 v[40:41], v59 offset:22272
	ds_load_b64 v[42:43], v58 offset:24408
	s_wait_dscnt 0x0
	v_fmac_f64_e32 v[38:39], v[40:41], v[42:43]
	s_or_b32 exec_lo, exec_lo, s11
	s_and_saveexec_b32 s11, s21
	s_cbranch_execz .LBB137_390
.LBB137_1118:                           ;   in Loop: Header=BB137_3 Depth=1
	ds_load_b64 v[40:41], v59 offset:22784
	ds_load_b64 v[42:43], v58 offset:24416
	s_wait_dscnt 0x0
	v_fmac_f64_e32 v[38:39], v[40:41], v[42:43]
	s_or_b32 exec_lo, exec_lo, s11
	s_and_saveexec_b32 s11, s22
	s_cbranch_execz .LBB137_391
.LBB137_1119:                           ;   in Loop: Header=BB137_3 Depth=1
	ds_load_b64 v[40:41], v59 offset:23296
	ds_load_b64 v[42:43], v58 offset:24424
	s_wait_dscnt 0x0
	v_fmac_f64_e32 v[38:39], v[40:41], v[42:43]
	s_or_b32 exec_lo, exec_lo, s11
	s_and_saveexec_b32 s11, s3
	s_cbranch_execz .LBB137_392
.LBB137_1120:                           ;   in Loop: Header=BB137_3 Depth=1
	ds_load_b64 v[40:41], v59 offset:23808
	ds_load_b64 v[42:43], v58 offset:24432
	s_wait_dscnt 0x0
	v_fmac_f64_e32 v[38:39], v[40:41], v[42:43]
	s_or_b32 exec_lo, exec_lo, s11
	s_and_saveexec_b32 s11, s17
	s_cbranch_execnz .LBB137_393
	s_branch .LBB137_394
.LBB137_1121:                           ;   in Loop: Header=BB137_3 Depth=1
	ds_load_b64 v[40:41], v53 offset:19200
	ds_load_b64 v[42:43], v52 offset:20264
	s_wait_dscnt 0x0
	v_fmac_f64_e32 v[38:39], v[40:41], v[42:43]
	s_or_b32 exec_lo, exec_lo, s11
	s_and_saveexec_b32 s11, s17
	s_cbranch_execz .LBB137_450
.LBB137_1122:                           ;   in Loop: Header=BB137_3 Depth=1
	ds_load_b64 v[40:41], v53 offset:19712
	ds_load_b64 v[42:43], v52 offset:20272
	s_wait_dscnt 0x0
	v_fmac_f64_e32 v[38:39], v[40:41], v[42:43]
	s_or_b32 exec_lo, exec_lo, s11
	s_and_saveexec_b32 s11, s1
	s_cbranch_execnz .LBB137_451
	s_branch .LBB137_452
.LBB137_1123:                           ;   in Loop: Header=BB137_3 Depth=1
	ds_load_b64 v[40:41], v67 offset:31232
	ds_load_b64 v[42:43], v68 offset:32744
	s_wait_dscnt 0x0
	v_fmac_f64_e32 v[38:39], v[40:41], v[42:43]
	s_or_b32 exec_lo, exec_lo, s10
	s_and_saveexec_b32 s10, s4
	s_cbranch_execz .LBB137_548
.LBB137_1124:                           ;   in Loop: Header=BB137_3 Depth=1
	ds_load_b64 v[40:41], v67 offset:31744
	ds_load_b64 v[42:43], v68 offset:32752
	s_wait_dscnt 0x0
	v_fmac_f64_e32 v[38:39], v[40:41], v[42:43]
	s_or_b32 exec_lo, exec_lo, s10
	s_and_saveexec_b32 s10, s21
	s_delay_alu instid0(SALU_CYCLE_1)
	s_xor_b32 s10, exec_lo, s10
	s_cbranch_execnz .LBB137_549
	s_branch .LBB137_550
.LBB137_1125:                           ;   in Loop: Header=BB137_3 Depth=1
	ds_load_b64 v[40:41], v53 offset:15040
	ds_load_b64 v[42:43], v52 offset:16104
	s_wait_dscnt 0x0
	v_fmac_f64_e32 v[38:39], v[40:41], v[42:43]
	s_or_b32 exec_lo, exec_lo, s11
	s_and_saveexec_b32 s11, s17
	s_cbranch_execz .LBB137_594
.LBB137_1126:                           ;   in Loop: Header=BB137_3 Depth=1
	ds_load_b64 v[40:41], v53 offset:15552
	ds_load_b64 v[42:43], v52 offset:16112
	s_wait_dscnt 0x0
	v_fmac_f64_e32 v[38:39], v[40:41], v[42:43]
	s_or_b32 exec_lo, exec_lo, s11
	s_and_saveexec_b32 s11, s1
	s_cbranch_execnz .LBB137_595
	s_branch .LBB137_596
.LBB137_1127:                           ;   in Loop: Header=BB137_3 Depth=1
	ds_load_b64 v[40:41], v59 offset:12928
	ds_load_b64 v[42:43], v58 offset:16072
	s_wait_dscnt 0x0
	v_fmac_f64_e32 v[38:39], v[40:41], v[42:43]
	s_or_b32 exec_lo, exec_lo, s11
	s_and_saveexec_b32 s11, s19
	s_cbranch_execz .LBB137_636
.LBB137_1128:                           ;   in Loop: Header=BB137_3 Depth=1
	ds_load_b64 v[40:41], v59 offset:13440
	ds_load_b64 v[42:43], v58 offset:16080
	s_wait_dscnt 0x0
	v_fmac_f64_e32 v[38:39], v[40:41], v[42:43]
	s_or_b32 exec_lo, exec_lo, s11
	s_and_saveexec_b32 s11, s20
	s_cbranch_execz .LBB137_637
.LBB137_1129:                           ;   in Loop: Header=BB137_3 Depth=1
	ds_load_b64 v[40:41], v59 offset:13952
	ds_load_b64 v[42:43], v58 offset:16088
	s_wait_dscnt 0x0
	v_fmac_f64_e32 v[38:39], v[40:41], v[42:43]
	s_or_b32 exec_lo, exec_lo, s11
	s_and_saveexec_b32 s11, s21
	s_cbranch_execz .LBB137_638
.LBB137_1130:                           ;   in Loop: Header=BB137_3 Depth=1
	ds_load_b64 v[40:41], v59 offset:14464
	ds_load_b64 v[42:43], v58 offset:16096
	s_wait_dscnt 0x0
	v_fmac_f64_e32 v[38:39], v[40:41], v[42:43]
	s_or_b32 exec_lo, exec_lo, s11
	s_and_saveexec_b32 s11, s22
	s_cbranch_execz .LBB137_639
.LBB137_1131:                           ;   in Loop: Header=BB137_3 Depth=1
	ds_load_b64 v[40:41], v59 offset:14976
	ds_load_b64 v[42:43], v58 offset:16104
	s_wait_dscnt 0x0
	v_fmac_f64_e32 v[38:39], v[40:41], v[42:43]
	s_or_b32 exec_lo, exec_lo, s11
	s_and_saveexec_b32 s11, s3
	s_cbranch_execz .LBB137_640
.LBB137_1132:                           ;   in Loop: Header=BB137_3 Depth=1
	ds_load_b64 v[40:41], v59 offset:15488
	ds_load_b64 v[42:43], v58 offset:16112
	s_wait_dscnt 0x0
	v_fmac_f64_e32 v[38:39], v[40:41], v[42:43]
	s_or_b32 exec_lo, exec_lo, s11
	s_and_saveexec_b32 s11, s17
	s_cbranch_execnz .LBB137_641
	s_branch .LBB137_642
.LBB137_1133:                           ;   in Loop: Header=BB137_3 Depth=1
	ds_load_b64 v[40:41], v53 offset:10880
	ds_load_b64 v[42:43], v52 offset:11944
	s_wait_dscnt 0x0
	v_fmac_f64_e32 v[38:39], v[40:41], v[42:43]
	s_or_b32 exec_lo, exec_lo, s11
	s_and_saveexec_b32 s11, s17
	s_cbranch_execz .LBB137_698
.LBB137_1134:                           ;   in Loop: Header=BB137_3 Depth=1
	ds_load_b64 v[40:41], v53 offset:11392
	ds_load_b64 v[42:43], v52 offset:11952
	s_wait_dscnt 0x0
	v_fmac_f64_e32 v[38:39], v[40:41], v[42:43]
	s_or_b32 exec_lo, exec_lo, s11
	s_and_saveexec_b32 s11, s1
	s_cbranch_execnz .LBB137_699
	s_branch .LBB137_700
.LBB137_1135:                           ;   in Loop: Header=BB137_3 Depth=1
	ds_load_b64 v[40:41], v63 offset:13824
	ds_load_b64 v[42:43], v62 offset:16088
	s_wait_dscnt 0x0
	v_fmac_f64_e32 v[38:39], v[40:41], v[42:43]
	s_or_b32 exec_lo, exec_lo, s10
	s_and_saveexec_b32 s10, s4
	s_cbranch_execz .LBB137_760
.LBB137_1136:                           ;   in Loop: Header=BB137_3 Depth=1
	ds_load_b64 v[40:41], v63 offset:14336
	ds_load_b64 v[42:43], v62 offset:16096
	s_wait_dscnt 0x0
	v_fmac_f64_e32 v[38:39], v[40:41], v[42:43]
	s_or_b32 exec_lo, exec_lo, s10
	s_and_saveexec_b32 s10, s19
	s_cbranch_execz .LBB137_761
.LBB137_1137:                           ;   in Loop: Header=BB137_3 Depth=1
	ds_load_b64 v[40:41], v63 offset:14848
	ds_load_b64 v[42:43], v62 offset:16104
	s_wait_dscnt 0x0
	v_fmac_f64_e32 v[38:39], v[40:41], v[42:43]
	s_or_b32 exec_lo, exec_lo, s10
	s_and_saveexec_b32 s10, s21
	s_cbranch_execz .LBB137_762
.LBB137_1138:                           ;   in Loop: Header=BB137_3 Depth=1
	ds_load_b64 v[40:41], v63 offset:15360
	ds_load_b64 v[42:43], v62 offset:16112
	s_wait_dscnt 0x0
	v_fmac_f64_e32 v[38:39], v[40:41], v[42:43]
	s_or_b32 exec_lo, exec_lo, s10
	s_and_saveexec_b32 s10, s3
	s_cbranch_execnz .LBB137_763
	s_branch .LBB137_764
.LBB137_1139:                           ;   in Loop: Header=BB137_3 Depth=1
	ds_load_b64 v[40:41], v53 offset:6720
	ds_load_b64 v[42:43], v52 offset:7784
	s_wait_dscnt 0x0
	v_fmac_f64_e32 v[38:39], v[40:41], v[42:43]
	s_or_b32 exec_lo, exec_lo, s11
	s_and_saveexec_b32 s11, s17
	s_cbranch_execz .LBB137_852
.LBB137_1140:                           ;   in Loop: Header=BB137_3 Depth=1
	ds_load_b64 v[40:41], v53 offset:7232
	ds_load_b64 v[42:43], v52 offset:7792
	s_wait_dscnt 0x0
	v_fmac_f64_e32 v[38:39], v[40:41], v[42:43]
	s_or_b32 exec_lo, exec_lo, s11
	s_and_saveexec_b32 s11, s1
	s_cbranch_execnz .LBB137_853
	s_branch .LBB137_854
.LBB137_1141:                           ;   in Loop: Header=BB137_3 Depth=1
	ds_load_b64 v[40:41], v59 offset:4608
	ds_load_b64 v[42:43], v58 offset:7752
	s_wait_dscnt 0x0
	v_fmac_f64_e32 v[38:39], v[40:41], v[42:43]
	s_or_b32 exec_lo, exec_lo, s11
	s_and_saveexec_b32 s11, s19
	s_cbranch_execz .LBB137_894
.LBB137_1142:                           ;   in Loop: Header=BB137_3 Depth=1
	ds_load_b64 v[40:41], v59 offset:5120
	ds_load_b64 v[42:43], v58 offset:7760
	s_wait_dscnt 0x0
	v_fmac_f64_e32 v[38:39], v[40:41], v[42:43]
	s_or_b32 exec_lo, exec_lo, s11
	s_and_saveexec_b32 s11, s20
	s_cbranch_execz .LBB137_895
.LBB137_1143:                           ;   in Loop: Header=BB137_3 Depth=1
	ds_load_b64 v[40:41], v59 offset:5632
	ds_load_b64 v[42:43], v58 offset:7768
	s_wait_dscnt 0x0
	v_fmac_f64_e32 v[38:39], v[40:41], v[42:43]
	s_or_b32 exec_lo, exec_lo, s11
	s_and_saveexec_b32 s11, s21
	s_cbranch_execz .LBB137_896
.LBB137_1144:                           ;   in Loop: Header=BB137_3 Depth=1
	ds_load_b64 v[40:41], v59 offset:6144
	ds_load_b64 v[42:43], v58 offset:7776
	s_wait_dscnt 0x0
	v_fmac_f64_e32 v[38:39], v[40:41], v[42:43]
	s_or_b32 exec_lo, exec_lo, s11
	s_and_saveexec_b32 s11, s22
	s_cbranch_execz .LBB137_897
.LBB137_1145:                           ;   in Loop: Header=BB137_3 Depth=1
	ds_load_b64 v[40:41], v59 offset:6656
	ds_load_b64 v[42:43], v58 offset:7784
	s_wait_dscnt 0x0
	v_fmac_f64_e32 v[38:39], v[40:41], v[42:43]
	s_or_b32 exec_lo, exec_lo, s11
	s_and_saveexec_b32 s11, s3
	s_cbranch_execz .LBB137_898
.LBB137_1146:                           ;   in Loop: Header=BB137_3 Depth=1
	ds_load_b64 v[40:41], v59 offset:7168
	ds_load_b64 v[42:43], v58 offset:7792
	s_wait_dscnt 0x0
	v_fmac_f64_e32 v[38:39], v[40:41], v[42:43]
	s_or_b32 exec_lo, exec_lo, s11
	s_and_saveexec_b32 s11, s17
	s_cbranch_execnz .LBB137_899
	s_branch .LBB137_900
.LBB137_1147:                           ;   in Loop: Header=BB137_3 Depth=1
	ds_load_b64 v[40:41], v53 offset:2560
	ds_load_b64 v[42:43], v52 offset:3624
	s_wait_dscnt 0x0
	v_fmac_f64_e32 v[38:39], v[40:41], v[42:43]
	s_or_b32 exec_lo, exec_lo, s11
	s_and_saveexec_b32 s11, s17
	s_cbranch_execz .LBB137_956
.LBB137_1148:                           ;   in Loop: Header=BB137_3 Depth=1
	ds_load_b64 v[40:41], v53 offset:3072
	ds_load_b64 v[42:43], v52 offset:3632
	s_wait_dscnt 0x0
	v_fmac_f64_e32 v[38:39], v[40:41], v[42:43]
	s_or_b32 exec_lo, exec_lo, s11
	s_and_saveexec_b32 s11, s1
	s_cbranch_execnz .LBB137_957
	s_branch .LBB137_958
.LBB137_1149:
	s_endpgm
	.section	.rodata,"a",@progbits
	.p2align	6, 0x0
	.amdhsa_kernel _ZL19rocblas_trsv_deviceILi64ELi16ELb0ELb1ELb0ELb0EddPKPKdPKPdEviT7_lllT6_T8_lllPii
		.amdhsa_group_segment_fixed_size 41480
		.amdhsa_private_segment_fixed_size 0
		.amdhsa_kernarg_size 352
		.amdhsa_user_sgpr_count 2
		.amdhsa_user_sgpr_dispatch_ptr 0
		.amdhsa_user_sgpr_queue_ptr 0
		.amdhsa_user_sgpr_kernarg_segment_ptr 1
		.amdhsa_user_sgpr_dispatch_id 0
		.amdhsa_user_sgpr_kernarg_preload_length 0
		.amdhsa_user_sgpr_kernarg_preload_offset 0
		.amdhsa_user_sgpr_private_segment_size 0
		.amdhsa_wavefront_size32 1
		.amdhsa_uses_dynamic_stack 0
		.amdhsa_enable_private_segment 0
		.amdhsa_system_sgpr_workgroup_id_x 1
		.amdhsa_system_sgpr_workgroup_id_y 0
		.amdhsa_system_sgpr_workgroup_id_z 1
		.amdhsa_system_sgpr_workgroup_info 0
		.amdhsa_system_vgpr_workitem_id 1
		.amdhsa_next_free_vgpr 102
		.amdhsa_next_free_sgpr 105
		.amdhsa_named_barrier_count 0
		.amdhsa_reserve_vcc 1
		.amdhsa_float_round_mode_32 0
		.amdhsa_float_round_mode_16_64 0
		.amdhsa_float_denorm_mode_32 3
		.amdhsa_float_denorm_mode_16_64 3
		.amdhsa_fp16_overflow 0
		.amdhsa_memory_ordered 1
		.amdhsa_forward_progress 1
		.amdhsa_inst_pref_size 255
		.amdhsa_round_robin_scheduling 0
		.amdhsa_exception_fp_ieee_invalid_op 0
		.amdhsa_exception_fp_denorm_src 0
		.amdhsa_exception_fp_ieee_div_zero 0
		.amdhsa_exception_fp_ieee_overflow 0
		.amdhsa_exception_fp_ieee_underflow 0
		.amdhsa_exception_fp_ieee_inexact 0
		.amdhsa_exception_int_div_zero 0
	.end_amdhsa_kernel
	.section	.text._ZL19rocblas_trsv_deviceILi64ELi16ELb0ELb1ELb0ELb0EddPKPKdPKPdEviT7_lllT6_T8_lllPii,"axG",@progbits,_ZL19rocblas_trsv_deviceILi64ELi16ELb0ELb1ELb0ELb0EddPKPKdPKPdEviT7_lllT6_T8_lllPii,comdat
.Lfunc_end137:
	.size	_ZL19rocblas_trsv_deviceILi64ELi16ELb0ELb1ELb0ELb0EddPKPKdPKPdEviT7_lllT6_T8_lllPii, .Lfunc_end137-_ZL19rocblas_trsv_deviceILi64ELi16ELb0ELb1ELb0ELb0EddPKPKdPKPdEviT7_lllT6_T8_lllPii
                                        ; -- End function
	.set _ZL19rocblas_trsv_deviceILi64ELi16ELb0ELb1ELb0ELb0EddPKPKdPKPdEviT7_lllT6_T8_lllPii.num_vgpr, 102
	.set _ZL19rocblas_trsv_deviceILi64ELi16ELb0ELb1ELb0ELb0EddPKPKdPKPdEviT7_lllT6_T8_lllPii.num_agpr, 0
	.set _ZL19rocblas_trsv_deviceILi64ELi16ELb0ELb1ELb0ELb0EddPKPKdPKPdEviT7_lllT6_T8_lllPii.numbered_sgpr, 105
	.set _ZL19rocblas_trsv_deviceILi64ELi16ELb0ELb1ELb0ELb0EddPKPKdPKPdEviT7_lllT6_T8_lllPii.num_named_barrier, 0
	.set _ZL19rocblas_trsv_deviceILi64ELi16ELb0ELb1ELb0ELb0EddPKPKdPKPdEviT7_lllT6_T8_lllPii.private_seg_size, 0
	.set _ZL19rocblas_trsv_deviceILi64ELi16ELb0ELb1ELb0ELb0EddPKPKdPKPdEviT7_lllT6_T8_lllPii.uses_vcc, 1
	.set _ZL19rocblas_trsv_deviceILi64ELi16ELb0ELb1ELb0ELb0EddPKPKdPKPdEviT7_lllT6_T8_lllPii.uses_flat_scratch, 0
	.set _ZL19rocblas_trsv_deviceILi64ELi16ELb0ELb1ELb0ELb0EddPKPKdPKPdEviT7_lllT6_T8_lllPii.has_dyn_sized_stack, 0
	.set _ZL19rocblas_trsv_deviceILi64ELi16ELb0ELb1ELb0ELb0EddPKPKdPKPdEviT7_lllT6_T8_lllPii.has_recursion, 0
	.set _ZL19rocblas_trsv_deviceILi64ELi16ELb0ELb1ELb0ELb0EddPKPKdPKPdEviT7_lllT6_T8_lllPii.has_indirect_call, 0
	.section	.AMDGPU.csdata,"",@progbits
; Kernel info:
; codeLenInByte = 38260
; TotalNumSgprs: 107
; NumVgprs: 102
; ScratchSize: 0
; MemoryBound: 0
; FloatMode: 240
; IeeeMode: 1
; LDSByteSize: 41480 bytes/workgroup (compile time only)
; SGPRBlocks: 0
; VGPRBlocks: 6
; NumSGPRsForWavesPerEU: 107
; NumVGPRsForWavesPerEU: 102
; NamedBarCnt: 0
; Occupancy: 9
; WaveLimiterHint : 1
; COMPUTE_PGM_RSRC2:SCRATCH_EN: 0
; COMPUTE_PGM_RSRC2:USER_SGPR: 2
; COMPUTE_PGM_RSRC2:TRAP_HANDLER: 0
; COMPUTE_PGM_RSRC2:TGID_X_EN: 1
; COMPUTE_PGM_RSRC2:TGID_Y_EN: 0
; COMPUTE_PGM_RSRC2:TGID_Z_EN: 1
; COMPUTE_PGM_RSRC2:TIDIG_COMP_CNT: 1
	.section	.text._ZL19rocblas_trsv_deviceILi64ELi16ELb0ELb1ELb1ELb0EddPKPKdPKPdEviT7_lllT6_T8_lllPii,"axG",@progbits,_ZL19rocblas_trsv_deviceILi64ELi16ELb0ELb1ELb1ELb0EddPKPKdPKPdEviT7_lllT6_T8_lllPii,comdat
	.globl	_ZL19rocblas_trsv_deviceILi64ELi16ELb0ELb1ELb1ELb0EddPKPKdPKPdEviT7_lllT6_T8_lllPii ; -- Begin function _ZL19rocblas_trsv_deviceILi64ELi16ELb0ELb1ELb1ELb0EddPKPKdPKPdEviT7_lllT6_T8_lllPii
	.p2align	8
	.type	_ZL19rocblas_trsv_deviceILi64ELi16ELb0ELb1ELb1ELb0EddPKPKdPKPdEviT7_lllT6_T8_lllPii,@function
_ZL19rocblas_trsv_deviceILi64ELi16ELb0ELb1ELb1ELb0EddPKPKdPKPdEviT7_lllT6_T8_lllPii: ; @_ZL19rocblas_trsv_deviceILi64ELi16ELb0ELb1ELb1ELb0EddPKPKdPKPdEviT7_lllT6_T8_lllPii
; %bb.0:
	s_load_b32 s6, s[0:1], 0x58
	s_bfe_u32 s2, ttmp6, 0x40014
	s_lshr_b32 s3, ttmp7, 16
	s_add_co_i32 s2, s2, 1
	s_bfe_u32 s5, ttmp6, 0x40008
	s_mul_i32 s4, s3, s2
	s_getreg_b32 s2, hwreg(HW_REG_IB_STS2, 6, 4)
	s_add_co_i32 s5, s5, s4
	s_cmp_eq_u32 s2, 0
	s_mov_b32 s67, 0
	s_cselect_b32 s66, s3, s5
                                        ; implicit-def: $vgpr101 : SGPR spill to VGPR lane
	s_wait_kmcnt 0x0
	s_cmp_ge_u32 s66, s6
	v_writelane_b32 v101, s6, 0
	s_cbranch_scc1 .LBB138_1149
; %bb.1:
	s_clause 0x2
	s_load_b32 s3, s[0:1], 0x6c
	s_load_b32 s85, s[0:1], 0x0
	s_load_b64 s[12:13], s[0:1], 0x18
	s_bfe_u32 s5, ttmp6, 0x4000c
	s_and_b32 s4, ttmp6, 15
	s_add_co_i32 s5, s5, 1
	s_load_b256 s[68:75], s[0:1], 0x28
	s_mul_i32 s5, ttmp9, s5
	s_load_b64 s[80:81], s[0:1], 0x50
	s_add_co_i32 s4, s4, s5
	s_cmp_eq_u32 s2, 0
	s_load_b128 s[76:79], s[0:1], 0x8
	s_cselect_b32 s86, ttmp9, s4
	v_bfe_u32 v44, v0, 10, 10
	v_and_b32_e32 v2, 0x3ff, v0
	v_mov_b32_e32 v1, 0
	v_sub_co_u32 v45, s5, s86, 1
	s_delay_alu instid0(VALU_DEP_4)
	v_dual_add_nc_u32 v25, 32, v44 :: v_dual_add_nc_u32 v26, 48, v44
	s_wait_kmcnt 0x0
	s_and_b32 s0, s3, 0xffff
	s_add_co_i32 s1, s85, -1
	s_ashr_i32 s2, s85, 31
	s_ashr_i32 s3, s1, 31
	s_lshr_b32 s2, s2, 26
	s_lshr_b32 s3, s3, 26
	s_add_co_i32 s2, s85, s2
	s_add_co_i32 s1, s1, s3
	s_and_not1_b32 s2, s2, 63
	s_ashr_i32 s1, s1, 6
	s_sub_co_i32 s15, s85, s2
	s_cmp_eq_u32 s1, s86
	v_lshlrev_b32_e32 v12, 6, v2
	s_cselect_b32 s1, -1, 0
	s_cmp_lg_u32 s15, 0
	v_dual_mov_b32 v5, v1 :: v_dual_mov_b32 v3, v1
	s_cselect_b32 s4, -1, 0
	s_lshl_b32 s16, s86, 6
	s_add_nc_u64 s[2:3], s[12:13], 1
	v_dual_add_nc_u32 v13, s16, v44 :: v_dual_add_nc_u32 v10, s16, v2
	s_and_b32 s11, s4, s1
	v_mad_u32_u24 v4, v44, s0, v2
	s_xor_b32 s0, s5, -1
	s_delay_alu instid0(VALU_DEP_2) | instskip(SKIP_3) | instid1(VALU_DEP_3)
	v_subrev_nc_u32_e32 v6, 64, v13
	v_dual_ashrrev_i32 v11, 31, v10 :: v_dual_add_nc_u32 v22, 16, v44
	s_xor_b32 s88, s11, -1
	v_mad_nc_u64_u32 v[18:19], s2, s16, v[2:3]
	v_dual_ashrrev_i32 v7, 31, v6 :: v_dual_add_nc_u32 v3, v44, v12
	v_lshl_add_u32 v34, v44, 6, v2
	s_cmp_lt_i32 s86, 5
	v_add_nc_u32_e32 v14, v22, v12
	s_cselect_b32 vcc_lo, -1, 0
	v_lshl_add_u32 v15, v22, 6, v2
	v_dual_cndmask_b32 v23, v34, v3, vcc_lo :: v_dual_lshrrev_b32 v3, 1, v34
	s_or_b32 vcc_lo, vcc_lo, s11
	s_ashr_i32 s17, s16, 31
	s_delay_alu instid0(VALU_DEP_2) | instskip(NEXT) | instid1(VALU_DEP_2)
	v_dual_cndmask_b32 v24, v15, v14, vcc_lo :: v_dual_lshrrev_b32 v14, 10, v0
	v_dual_lshlrev_b32 v15, 9, v3 :: v_dual_bitop2_b32 v16, 1, v0 bitop3:0x40
	v_lshlrev_b32_e32 v48, 3, v2
	s_mul_i32 s1, s2, s17
	s_delay_alu instid0(VALU_DEP_3) | instskip(NEXT) | instid1(VALU_DEP_3)
	v_bitop3_b32 v35, v0, v14, 0x3ff bitop3:0xa8
	v_dual_sub_nc_u32 v46, 0, v15 :: v_dual_lshlrev_b32 v47, 3, v16
	v_lshrrev_b32_e32 v14, 2, v34
	s_mul_i32 s2, s3, s16
	v_cmp_eq_u32_e64 s3, 1, v16
	v_add3_u32 v19, s1, s2, v19
	v_cmp_gt_u32_e64 s1, 4, v34
	v_cmp_eq_u32_e64 s4, 0, v16
	v_cmp_eq_u32_e64 s2, 0, v44
	v_cmp_gt_u32_e64 s5, 2, v2
	v_dual_sub_nc_u32 v49, v47, v15 :: v_dual_lshlrev_b32 v16, 9, v14
	v_and_b32_e32 v17, 3, v0
	s_and_b32 s90, s3, s1
	s_and_b32 s91, s4, s1
	;; [unrolled: 1-line block ×3, first 2 shown]
	v_cmp_gt_u32_e64 s3, 16, v34
	v_cmp_eq_u32_e64 s4, 3, v17
	v_cmp_ne_u32_e64 s5, 3, v17
	v_dual_sub_nc_u32 v52, 0, v16 :: v_dual_lshlrev_b32 v53, 3, v17
	v_cmp_gt_u32_e64 s6, 2, v17
	s_and_b32 s93, s4, s3
	v_cmp_eq_u32_e64 s4, 2, v17
	v_cmp_eq_u32_e64 s7, 1, v17
	s_and_b32 s94, s5, s3
	v_cmp_eq_u32_e64 s5, 0, v17
	v_dual_lshlrev_b32 v17, 6, v34 :: v_dual_sub_nc_u32 v55, v53, v16
	s_and_b32 s95, s4, s3
	v_cmp_gt_u32_e64 s4, 4, v2
	v_and_b32_e32 v20, 7, v0
	s_delay_alu instid0(VALU_DEP_3)
	v_and_b32_e32 v17, 0xfffffe00, v17
	v_and_b32_e32 v16, -8, v34
	s_and_b32 s98, s5, s3
	s_and_b32 s99, s2, s4
	v_cmp_gt_u32_e64 s4, 64, v34
	v_sub_nc_u32_e32 v58, 0, v17
	v_add_nc_u32_e32 v57, 0x8000, v16
	v_lshrrev_b32_e32 v16, 4, v34
	v_cmp_eq_u32_e64 s5, 7, v20
	s_and_b32 s96, s6, s3
	v_cmp_ne_u32_e64 s6, 7, v20
	s_and_b32 s97, s7, s3
	v_cmp_eq_u32_e64 s7, 6, v20
	s_and_b32 s100, s5, s4
	v_cmp_gt_u32_e64 s5, 6, v20
	s_and_b32 s101, s6, s4
	v_cmp_eq_u32_e64 s6, 5, v20
	s_and_b32 s102, s7, s4
	v_cmp_gt_u32_e64 s7, 5, v20
	;; [unrolled: 4-line block ×3, first 2 shown]
	s_and_b32 vcc_hi, s7, s4
	v_cmp_eq_u32_e64 s7, 3, v20
	s_and_b32 s36, s5, s4
	v_cmp_gt_u32_e64 s5, 3, v20
	s_and_b32 s37, s6, s4
	v_cmp_eq_u32_e64 s6, 2, v20
	v_lshlrev_b32_e32 v59, 3, v20
	s_and_b32 s38, s7, s4
	s_and_b32 s39, s5, s4
	v_cmp_eq_u32_e64 s5, 1, v20
	v_cmp_gt_u32_e64 s7, 2, v20
	s_and_b32 s40, s6, s4
	v_cmp_eq_u32_e64 s6, 0, v20
	v_and_b32_e32 v20, 15, v0
	s_and_b32 s42, s5, s4
	v_cmp_gt_u32_e64 s5, 8, v2
	v_dual_sub_nc_u32 v60, v59, v17 :: v_dual_lshlrev_b32 v17, 9, v16
	s_and_b32 s43, s6, s4
	v_lshl_add_u32 v61, v16, 3, 0x8000
	s_and_b32 s44, s2, s5
	v_cmp_gt_u32_e64 s5, 0x100, v34
	v_lshrrev_b32_e32 v16, 5, v34
	v_cmp_eq_u32_e64 s6, 15, v20
	v_writelane_b32 v101, s0, 1
	s_and_b32 s41, s7, s4
	v_cmp_ne_u32_e64 s7, 15, v20
	v_cmp_eq_u32_e64 s8, 14, v20
	s_and_b32 s6, s6, s5
	v_cmp_gt_u32_e64 s10, 14, v20
	v_writelane_b32 v101, s6, 2
	s_and_b32 s6, s7, s5
	s_and_b32 s7, s8, s5
	v_cmp_eq_u32_e64 s8, 12, v20
	s_and_b32 s48, s10, s5
	v_writelane_b32 v101, s6, 3
	v_cmp_eq_u32_e64 s6, 13, v20
	v_cmp_eq_u32_e64 s10, 11, v20
	s_and_b32 s51, s8, s5
	v_cmp_gt_u32_e64 s8, 10, v20
	v_writelane_b32 v101, s7, 4
	s_and_b32 s49, s6, s5
	v_cmp_gt_u32_e64 s6, 12, v20
	v_cmp_gt_u32_e64 s7, 13, v20
	s_and_b32 s53, s10, s5
	v_cmp_gt_u32_e64 s10, 9, v20
	s_and_b32 s56, s8, s5
	s_and_b32 s52, s6, s5
	v_cmp_eq_u32_e64 s6, 10, v20
	s_and_b32 s50, s7, s5
	v_cmp_gt_u32_e64 s7, 11, v20
	s_and_b32 s58, s10, s5
	v_cmp_eq_u32_e64 s8, 7, v20
	s_and_b32 s55, s6, s5
	v_cmp_eq_u32_e64 s6, 8, v20
	;; [unrolled: 2-line block ×3, first 2 shown]
	v_cmp_eq_u32_e64 s10, 6, v20
	s_and_b32 s63, s8, s5
	s_and_b32 s61, s6, s5
	v_cmp_gt_u32_e64 s6, 7, v20
	s_and_b32 s57, s7, s5
	v_cmp_gt_u32_e64 s7, 8, v20
	;; [unrolled: 2-line block ×3, first 2 shown]
	s_and_b32 s64, s6, s5
	v_cmp_eq_u32_e64 s6, 5, v20
	s_and_b32 s62, s7, s5
	v_cmp_gt_u32_e64 s7, 6, v20
	v_cmp_gt_u32_e64 s10, 4, v20
	v_cmp_le_i32_e64 s14, s15, v2
	s_and_b32 s27, s6, s5
	v_cmp_eq_u32_e64 s6, 3, v20
	s_and_b32 s25, s7, s5
	v_cmp_eq_u32_e64 s7, 4, v20
	v_lshlrev_b32_e32 v63, 3, v20
	s_and_b32 s29, s8, s5
	s_and_b32 s24, s6, s5
	v_cmp_gt_u32_e64 s6, 2, v20
	s_and_b32 s31, s7, s5
	v_cmp_gt_u32_e64 s7, 3, v20
	s_and_b32 s34, s10, s5
	v_cmp_eq_u32_e64 s8, 2, v20
	s_and_b32 s30, s6, s5
	v_cmp_gt_u32_e64 s6, 16, v2
	s_and_b32 s26, s7, s5
	v_cmp_eq_u32_e64 s7, 0, v20
	v_cmp_eq_u32_e64 s10, 1, v20
	v_dual_sub_nc_u32 v65, v63, v17 :: v_dual_bitop2_b32 v64, 31, v0 bitop3:0x40
	s_and_b32 s84, s2, s6
	v_cmp_gt_u32_e64 s6, 32, v2
	s_and_b32 s45, s14, s11
	v_cmp_gt_i32_e64 s9, s15, v2
	v_lshl_add_u32 v51, v14, 3, 0x8000
	v_mul_i32_i24_e32 v14, 0xfffffe08, v2
	s_and_b32 s87, s7, s5
	s_xor_b32 s7, s45, -1
	s_and_b32 s6, s2, s6
	s_xor_b32 s89, vcc_lo, -1
	s_and_b32 s28, s8, s5
	s_and_b32 s33, s10, s5
	v_lshlrev_b32_e32 v0, 9, v16
	v_lshl_add_u32 v66, v16, 3, 0x8000
	v_dual_lshlrev_b32 v16, 9, v64 :: v_dual_lshlrev_b32 v67, 3, v64
	v_writelane_b32 v101, s6, 5
	s_and_b32 s46, s2, s7
	s_cmp_gt_i32 s86, 0
	v_mul_lo_u32 v14, v14, 6
	s_cselect_b32 s47, -1, 0
	s_and_b32 s9, s2, s9
	v_cmp_gt_i32_e64 s0, s85, v10
	v_sub_nc_u32_e32 v69, 0, v16
	v_writelane_b32 v101, s9, 6
	v_subrev_nc_u32_e32 v16, 48, v13
	v_cmp_gt_i32_e64 s9, s85, v6
	v_mul_u32_u24_e32 v15, 0x1f8, v2
	v_sub_nc_u32_e32 v62, 0, v17
	v_subrev_nc_u32_e32 v17, 32, v13
	v_cmp_gt_i32_e64 s10, s85, v16
	s_and_b32 s9, s9, s0
	v_add_nc_u32_e32 v13, -16, v13
	v_writelane_b32 v101, s9, 7
	v_mad_u32 v16, v15, 7, v14
	v_dual_add_nc_u32 v14, v25, v12 :: v_dual_add_nc_u32 v12, v26, v12
	v_lshl_add_u32 v15, v25, 6, v2
	v_lshl_add_u32 v27, v26, 6, v2
	v_cmp_gt_i32_e64 s11, s85, v17
	s_and_b32 s9, s10, s0
	v_cmp_ge_u32_e64 s6, v2, v44
	v_writelane_b32 v101, s9, 8
	v_cndmask_b32_e32 v28, v15, v14, vcc_lo
	v_dual_cndmask_b32 v27, v27, v12, vcc_lo :: v_dual_lshlrev_b32 v77, 3, v23
	v_cmp_gt_i32_e32 vcc_lo, s85, v13
	s_and_b32 s9, s11, s0
	v_cmp_ge_u32_e64 s7, v2, v22
	v_writelane_b32 v101, s9, 9
	v_cmp_ge_u32_e64 s8, v2, v25
	s_and_b32 s9, vcc_lo, s0
	v_cmp_le_i32_e32 vcc_lo, s15, v44
	v_mul_u32_u24_e32 v17, 0x1f0, v2
	v_writelane_b32 v101, s9, 10
	s_movk_i32 s9, 0x3800
	v_dual_sub_nc_u32 v68, 0, v0 :: v_dual_sub_nc_u32 v70, v67, v0
	v_mad_u32_u24 v79, 0x208, v64, s9
	v_cmp_le_i32_e64 s9, s15, v22
	s_or_b32 s10, vcc_lo, s14
	v_cmp_le_i32_e32 vcc_lo, s15, v25
	s_or_b32 s10, s10, s6
	v_dual_add_nc_u32 v0, s16, v4 :: v_dual_sub_nc_u32 v73, v16, v17
	v_writelane_b32 v101, s10, 11
	s_or_b32 s11, s9, s14
	v_cmp_le_i32_e64 s10, s15, v26
	s_or_b32 s11, s11, s7
	v_cmp_ge_u32_e64 s9, v2, v26
	v_writelane_b32 v101, s11, 12
	s_or_b32 s11, vcc_lo, s14
	s_or_b32 s10, s10, s14
	s_or_b32 s11, s11, s8
	;; [unrolled: 1-line block ×3, first 2 shown]
	v_writelane_b32 v101, s11, 13
	v_cmp_ne_u32_e64 s11, v2, v22
	v_mad_nc_u64_u32 v[12:13], s12, v44, v[18:19]
	v_mad_nc_u64_u32 v[14:15], s12, v22, v[18:19]
	v_mad_nc_u64_u32 v[16:17], s12, v25, v[18:19]
	v_writelane_b32 v101, s10, 14
	v_cmp_ne_u32_e64 s10, v2, v44
	v_mad_nc_u64_u32 v[18:19], s12, v26, v[18:19]
	v_mul_u64_e32 v[8:9], s[12:13], v[10:11]
	v_cmp_ne_u32_e64 s12, v2, v25
                                        ; implicit-def: $vgpr100 : SGPR spill to VGPR lane
	v_mad_u32_u24 v50, 0x1f8, v2, v48
	v_writelane_b32 v101, s10, 15
	s_or_b32 s10, s14, s10
	v_mad_u32 v13, s13, v44, v13
	v_mad_u32 v15, s13, v22, v15
	;; [unrolled: 1-line block ×3, first 2 shown]
	v_writelane_b32 v101, s10, 16
	s_or_b32 s10, s14, s11
	v_mad_u32 v19, s13, v26, v19
	v_cmp_ne_u32_e64 s13, v2, v26
	v_mad_i32_i24 v54, 0xfffffe08, v2, v50
	v_writelane_b32 v101, s11, 17
	v_add_nc_u64_e32 v[20:21], s[16:17], v[4:5]
	v_dual_lshlrev_b32 v23, 3, v44 :: v_dual_bitop2_b32 v37, v25, v2 bitop3:0x54
	s_delay_alu instid0(VALU_DEP_4)
	v_mad_u32_u24 v56, 0x1f8, v2, v54
	v_writelane_b32 v101, s10, 18
	s_or_b32 s10, s14, s12
	v_mul_u64_e32 v[10:11], s[74:75], v[10:11]
	v_mul_u64_e32 v[20:21], s[74:75], v[20:21]
	v_mad_i32_i24 v5, 0xfffffe08, v2, v56
	v_writelane_b32 v101, s12, 19
	v_dual_lshlrev_b32 v81, 3, v24 :: v_dual_bitop2_b32 v36, v22, v2 bitop3:0x54
	v_or_b32_e32 v86, 0xa000, v23
	s_delay_alu instid0(VALU_DEP_4)
	v_mad_u32_u24 v71, 0x1f8, v2, v5
	v_writelane_b32 v101, s10, 20
	s_or_b32 s10, s14, s13
	v_or_b32_e32 v38, v26, v2
	v_cmp_lt_u32_e32 vcc_lo, 0x3ff, v34
	v_mad_i32_i24 v72, 0xfffffe08, v2, v71
	v_writelane_b32 v101, s13, 21
	v_mov_b64_e32 v[24:25], 0
	v_lshl_add_u32 v3, v3, 3, 0x8000
	v_dual_lshlrev_b32 v82, 3, v28 :: v_dual_lshlrev_b32 v84, 3, v27
	v_writelane_b32 v101, s10, 22
	v_cmp_gt_u32_e64 s10, 0xf0, v34
	v_mad_u32_u24 v74, 0x1f8, v2, v72
	v_mul_u32_u24_e32 v88, 0x208, v64
	v_lshl_add_u32 v89, v4, 3, 0xa000
	v_lshl_add_u32 v90, v34, 3, 0x8000
	v_writelane_b32 v101, s10, 23
	v_cmp_gt_u32_e64 s10, 0xe0, v34
	v_mad_i32_i24 v75, 0xfffffe08, v2, v74
	v_add_nc_u32_e32 v91, 0x8000, v48
	v_add_nc_u32_e32 v93, v86, v48
	v_cmp_eq_u32_e64 s14, 0, v35
	v_writelane_b32 v101, s10, 24
	v_cmp_gt_u32_e64 s10, 0xd0, v34
	v_mad_u32_u24 v76, 0x1f8, v2, v75
	v_cmp_gt_u32_e64 s15, 2, v34
	v_cmp_gt_u32_e64 s16, 12, v34
	;; [unrolled: 1-line block ×3, first 2 shown]
	v_writelane_b32 v101, s10, 25
	v_cmp_gt_u32_e64 s10, 0xc0, v34
	v_mad_i32_i24 v78, 0xfffffe08, v2, v76
	v_cmp_gt_u32_e64 s18, 56, v34
	v_cmp_gt_u32_e64 s19, 48, v34
	;; [unrolled: 1-line block ×3, first 2 shown]
	v_writelane_b32 v101, s10, 26
	v_cmp_gt_u32_e64 s10, 0xb0, v34
	v_mad_u32_u24 v80, 0x1f8, v2, v78
	v_lshl_add_u32 v92, v44, 9, v78
	v_cmp_gt_u32_e64 s21, 32, v34
	v_cmp_gt_u32_e64 s22, 24, v34
	v_writelane_b32 v101, s10, 27
	v_cmp_gt_u32_e64 s10, 0xa0, v34
	v_mad_i32_i24 v83, 0xfffffe08, v2, v80
	v_cmp_gt_u32_e64 s35, 0x400, v34
	v_cmp_eq_u32_e64 s59, 0, v4
	v_cmp_gt_u32_e64 s60, 64, v4
	v_writelane_b32 v101, s10, 28
	v_cmp_gt_u32_e64 s10, 0x90, v34
	v_mad_u32_u24 v85, 0x1f8, v2, v83
	s_xor_b32 s13, vcc_lo, -1
	s_lshl_b64 s[78:79], s[78:79], 3
	s_lshl_b64 s[72:73], s[72:73], 3
	v_writelane_b32 v101, s10, 29
	v_cmp_gt_u32_e64 s10, 0x80, v34
	v_add_nc_u32_e32 v87, v85, v23
	v_mul_u64_e32 v[22:23], s[74:75], v[0:1]
                                        ; implicit-def: $vgpr26_vgpr27
                                        ; implicit-def: $vgpr28_vgpr29
                                        ; implicit-def: $vgpr30_vgpr31
                                        ; implicit-def: $vgpr32_vgpr33
	s_delay_alu instid0(VALU_DEP_3) | instskip(SKIP_1) | instid1(VALU_DEP_1)
	v_writelane_b32 v101, s10, 30
	v_cmp_gt_u32_e64 s10, 0x70, v34
	v_writelane_b32 v101, s10, 31
	v_cmp_gt_u32_e64 s10, 0x60, v34
	s_delay_alu instid0(VALU_DEP_1) | instskip(SKIP_1) | instid1(VALU_DEP_1)
	v_writelane_b32 v100, s10, 0
	v_cmp_gt_u32_e64 s10, 0x50, v34
	v_writelane_b32 v100, s10, 1
	v_cmp_gt_u32_e64 s10, 0x3e0, v34
	s_delay_alu instid0(VALU_DEP_1) | instskip(SKIP_1) | instid1(VALU_DEP_1)
	v_writelane_b32 v100, s10, 2
	v_cmp_gt_u32_e64 s10, 0x3c0, v34
	v_writelane_b32 v100, s10, 3
	v_cmp_gt_u32_e64 s10, 0x3a0, v34
	s_delay_alu instid0(VALU_DEP_1) | instskip(SKIP_1) | instid1(VALU_DEP_1)
	v_writelane_b32 v100, s10, 4
	v_cmp_gt_u32_e64 s10, 0x380, v34
	v_writelane_b32 v100, s10, 5
	v_cmp_gt_u32_e64 s10, 0x360, v34
	s_delay_alu instid0(VALU_DEP_1) | instskip(SKIP_1) | instid1(VALU_DEP_1)
	v_writelane_b32 v100, s10, 6
	v_cmp_gt_u32_e64 s10, 0x340, v34
	v_writelane_b32 v100, s10, 7
	v_cmp_gt_u32_e64 s10, 0x320, v34
	s_delay_alu instid0(VALU_DEP_1) | instskip(SKIP_1) | instid1(VALU_DEP_1)
	v_writelane_b32 v100, s10, 8
	v_cmp_gt_u32_e64 s10, 0x300, v34
	v_writelane_b32 v100, s10, 9
	v_cmp_gt_u32_e64 s10, 0x2e0, v34
	s_delay_alu instid0(VALU_DEP_1) | instskip(SKIP_1) | instid1(VALU_DEP_1)
	v_writelane_b32 v100, s10, 10
	v_cmp_gt_u32_e64 s10, 0x2c0, v34
	v_writelane_b32 v100, s10, 11
	v_cmp_gt_u32_e64 s10, 0x2a0, v34
	s_delay_alu instid0(VALU_DEP_1) | instskip(SKIP_1) | instid1(VALU_DEP_1)
	v_writelane_b32 v100, s10, 12
	v_cmp_gt_u32_e64 s10, 0x280, v34
	v_writelane_b32 v100, s10, 13
	v_cmp_gt_u32_e64 s10, 0x260, v34
	s_delay_alu instid0(VALU_DEP_1) | instskip(SKIP_1) | instid1(VALU_DEP_1)
	v_writelane_b32 v100, s10, 14
	v_cmp_gt_u32_e64 s10, 0x240, v34
	v_writelane_b32 v100, s10, 15
	v_cmp_gt_u32_e64 s10, 0x220, v34
	s_delay_alu instid0(VALU_DEP_1) | instskip(SKIP_1) | instid1(VALU_DEP_1)
	v_writelane_b32 v100, s10, 16
	v_cmp_gt_u32_e64 s10, 0x200, v34
	v_writelane_b32 v100, s10, 17
	v_cmp_gt_u32_e64 s10, 0x1e0, v34
	s_delay_alu instid0(VALU_DEP_1) | instskip(SKIP_1) | instid1(VALU_DEP_1)
	v_writelane_b32 v100, s10, 18
	v_cmp_gt_u32_e64 s10, 0x1c0, v34
	v_writelane_b32 v100, s10, 19
	v_cmp_gt_u32_e64 s10, 0x1a0, v34
	s_delay_alu instid0(VALU_DEP_1) | instskip(SKIP_1) | instid1(VALU_DEP_1)
	v_writelane_b32 v100, s10, 20
	v_cmp_gt_u32_e64 s10, 0x180, v34
	v_writelane_b32 v100, s10, 21
	v_cmp_gt_u32_e64 s10, 0x160, v34
	s_delay_alu instid0(VALU_DEP_1) | instskip(SKIP_1) | instid1(VALU_DEP_1)
	v_writelane_b32 v100, s10, 22
	v_cmp_gt_u32_e64 s10, 0x140, v34
	v_writelane_b32 v100, s10, 23
	v_cmp_gt_u32_e64 s10, 0x120, v34
	s_delay_alu instid0(VALU_DEP_1) | instskip(SKIP_1) | instid1(VALU_DEP_1)
	v_writelane_b32 v100, s10, 24
	v_cmp_gt_u32_e64 s10, 64, v35
	v_writelane_b32 v100, s10, 25
	v_cmp_gt_u32_e64 s10, 64, v36
	s_delay_alu instid0(VALU_DEP_1) | instskip(SKIP_1) | instid1(VALU_DEP_1)
	v_writelane_b32 v100, s10, 26
	v_cmp_gt_u32_e64 s10, 64, v37
	v_writelane_b32 v100, s10, 27
	v_cmp_gt_u32_e64 s10, 64, v38
	s_delay_alu instid0(VALU_DEP_1)
	v_writelane_b32 v100, s10, 28
	s_branch .LBB138_3
.LBB138_2:                              ;   in Loop: Header=BB138_3 Depth=1
	s_wait_xcnt 0x0
	s_or_b32 exec_lo, exec_lo, s10
	v_readlane_b32 s10, v101, 0
	s_add_co_i32 s66, s66, 0x10000
	global_wb scope:SCOPE_DEV
	s_wait_storecnt 0x0
	global_inv scope:SCOPE_DEV
	s_cmp_lt_u32 s66, s10
	s_cbranch_scc0 .LBB138_1149
.LBB138_3:                              ; =>This Loop Header: Depth=1
                                        ;     Child Loop BB138_553 Depth 2
                                        ;     Child Loop BB138_1002 Depth 2
                                        ;       Child Loop BB138_1004 Depth 3
                                        ;     Child Loop BB138_1039 Depth 2
	v_mov_b32_e32 v0, s66
	v_readlane_b32 s10, v101, 1
	s_clause 0x1
	global_load_b64 v[34:35], v0, s[76:77] scale_offset
	global_load_b64 v[36:37], v0, s[70:71] scale_offset
	s_and_not1_b32 vcc_lo, exec_lo, s10
	s_wait_loadcnt 0x1
	v_add_nc_u64_e32 v[38:39], s[78:79], v[34:35]
	s_delay_alu instid0(VALU_DEP_1)
	v_lshl_add_u64 v[34:35], v[8:9], 3, v[38:39]
	s_cbranch_vccz .LBB138_6
; %bb.4:                                ;   in Loop: Header=BB138_3 Depth=1
	s_and_not1_b32 vcc_lo, exec_lo, s88
	s_mov_b32 s10, -1
	s_cbranch_vccz .LBB138_15
.LBB138_5:                              ;   in Loop: Header=BB138_3 Depth=1
	s_and_b32 vcc_lo, exec_lo, s10
	s_cbranch_vccnz .LBB138_25
	s_branch .LBB138_66
.LBB138_6:                              ;   in Loop: Header=BB138_3 Depth=1
	v_mov_b64_e32 v[28:29], 0
	v_mov_b64_e32 v[26:27], 0
	s_delay_alu instid0(VALU_DEP_3)
	v_lshl_add_u64 v[40:41], v[6:7], 3, v[34:35]
	s_wait_loadcnt 0x0
	s_barrier_signal -1
	s_barrier_wait -1
	s_wait_xcnt 0x0
	s_mov_b32 s10, exec_lo
	v_readlane_b32 s11, v101, 7
	s_and_b32 s11, s10, s11
	s_delay_alu instid0(SALU_CYCLE_1)
	s_mov_b32 exec_lo, s11
	s_cbranch_execz .LBB138_8
; %bb.7:                                ;   in Loop: Header=BB138_3 Depth=1
	flat_load_b64 v[26:27], v[40:41]
.LBB138_8:                              ;   in Loop: Header=BB138_3 Depth=1
	s_wait_xcnt 0x0
	s_or_b32 exec_lo, exec_lo, s10
	s_wait_loadcnt_dscnt 0x0
	s_barrier_signal -1
	s_barrier_wait -1
	s_mov_b32 s10, exec_lo
	v_readlane_b32 s11, v101, 8
	s_and_b32 s11, s10, s11
	s_delay_alu instid0(SALU_CYCLE_1)
	s_mov_b32 exec_lo, s11
	s_cbranch_execz .LBB138_10
; %bb.9:                                ;   in Loop: Header=BB138_3 Depth=1
	flat_load_b64 v[28:29], v[40:41] offset:128
.LBB138_10:                             ;   in Loop: Header=BB138_3 Depth=1
	s_wait_xcnt 0x0
	s_or_b32 exec_lo, exec_lo, s10
	v_mov_b64_e32 v[32:33], 0
	v_mov_b64_e32 v[30:31], 0
	s_wait_loadcnt_dscnt 0x0
	s_barrier_signal -1
	s_barrier_wait -1
	s_mov_b32 s10, exec_lo
	v_readlane_b32 s11, v101, 9
	s_and_b32 s11, s10, s11
	s_delay_alu instid0(SALU_CYCLE_1)
	s_mov_b32 exec_lo, s11
	s_cbranch_execz .LBB138_12
; %bb.11:                               ;   in Loop: Header=BB138_3 Depth=1
	flat_load_b64 v[30:31], v[40:41] offset:256
.LBB138_12:                             ;   in Loop: Header=BB138_3 Depth=1
	s_wait_xcnt 0x0
	s_or_b32 exec_lo, exec_lo, s10
	s_wait_loadcnt_dscnt 0x0
	s_barrier_signal -1
	s_barrier_wait -1
	s_mov_b32 s10, exec_lo
	v_readlane_b32 s11, v101, 10
	s_and_b32 s11, s10, s11
	s_delay_alu instid0(SALU_CYCLE_1)
	s_mov_b32 exec_lo, s11
	s_cbranch_execz .LBB138_14
; %bb.13:                               ;   in Loop: Header=BB138_3 Depth=1
	flat_load_b64 v[32:33], v[40:41] offset:384
.LBB138_14:                             ;   in Loop: Header=BB138_3 Depth=1
	s_wait_xcnt 0x0
	s_or_b32 exec_lo, exec_lo, s10
	s_delay_alu instid0(SALU_CYCLE_1)
	s_and_not1_b32 vcc_lo, exec_lo, s88
	s_mov_b32 s10, -1
	s_cbranch_vccnz .LBB138_5
.LBB138_15:                             ;   in Loop: Header=BB138_3 Depth=1
	s_wait_xcnt 0x0
	s_and_saveexec_b32 s10, s6
	s_delay_alu instid0(SALU_CYCLE_1)
	s_xor_b32 s10, exec_lo, s10
	s_cbranch_execnz .LBB138_1060
; %bb.16:                               ;   in Loop: Header=BB138_3 Depth=1
	s_and_not1_saveexec_b32 s10, s10
	s_cbranch_execnz .LBB138_1067
.LBB138_17:                             ;   in Loop: Header=BB138_3 Depth=1
	s_or_b32 exec_lo, exec_lo, s10
	s_and_saveexec_b32 s10, s7
	s_delay_alu instid0(SALU_CYCLE_1)
	s_xor_b32 s10, exec_lo, s10
	s_cbranch_execnz .LBB138_1068
.LBB138_18:                             ;   in Loop: Header=BB138_3 Depth=1
	s_and_not1_saveexec_b32 s10, s10
	s_cbranch_execnz .LBB138_1075
.LBB138_19:                             ;   in Loop: Header=BB138_3 Depth=1
	s_or_b32 exec_lo, exec_lo, s10
	s_and_saveexec_b32 s10, s8
	s_delay_alu instid0(SALU_CYCLE_1)
	s_xor_b32 s10, exec_lo, s10
	s_cbranch_execnz .LBB138_1076
.LBB138_20:                             ;   in Loop: Header=BB138_3 Depth=1
	s_and_not1_saveexec_b32 s10, s10
	s_cbranch_execnz .LBB138_1083
.LBB138_21:                             ;   in Loop: Header=BB138_3 Depth=1
	s_or_b32 exec_lo, exec_lo, s10
	s_and_saveexec_b32 s10, s9
	s_delay_alu instid0(SALU_CYCLE_1)
	s_xor_b32 s10, exec_lo, s10
	s_cbranch_execnz .LBB138_1084
.LBB138_22:                             ;   in Loop: Header=BB138_3 Depth=1
	s_and_not1_saveexec_b32 s10, s10
	s_cbranch_execz .LBB138_24
.LBB138_23:                             ;   in Loop: Header=BB138_3 Depth=1
	v_lshl_add_u64 v[40:41], v[18:19], 3, v[38:39]
	flat_load_b64 v[40:41], v[40:41]
	s_wait_loadcnt_dscnt 0x0
	v_xor_b32_e32 v41, 0x80000000, v41
	ds_store_b64 v84, v[40:41]
.LBB138_24:                             ;   in Loop: Header=BB138_3 Depth=1
	s_or_b32 exec_lo, exec_lo, s10
	s_branch .LBB138_66
.LBB138_25:                             ;   in Loop: Header=BB138_3 Depth=1
	s_wait_xcnt 0x0
	s_mov_b32 s10, exec_lo
	v_readlane_b32 s11, v101, 11
	s_and_b32 s11, s10, s11
	s_delay_alu instid0(SALU_CYCLE_1)
	s_xor_b32 s10, s11, s10
	s_mov_b32 exec_lo, s11
	s_cbranch_execz .LBB138_33
; %bb.26:                               ;   in Loop: Header=BB138_3 Depth=1
	s_mov_b32 s11, exec_lo
	v_readlane_b32 s12, v101, 16
	s_and_b32 s12, s11, s12
	s_delay_alu instid0(SALU_CYCLE_1)
	s_xor_b32 s11, s12, s11
	s_mov_b32 exec_lo, s12
	s_cbranch_execz .LBB138_30
; %bb.27:                               ;   in Loop: Header=BB138_3 Depth=1
	s_mov_b32 s12, exec_lo
	v_readlane_b32 s65, v100, 25
	s_and_b32 s65, s12, s65
	s_delay_alu instid0(SALU_CYCLE_1)
	s_mov_b32 exec_lo, s65
; %bb.28:                               ;   in Loop: Header=BB138_3 Depth=1
	ds_store_b64 v87, v[24:25]
; %bb.29:                               ;   in Loop: Header=BB138_3 Depth=1
	s_or_b32 exec_lo, exec_lo, s12
.LBB138_30:                             ;   in Loop: Header=BB138_3 Depth=1
	s_and_not1_saveexec_b32 s11, s11
	s_cbranch_execz .LBB138_32
; %bb.31:                               ;   in Loop: Header=BB138_3 Depth=1
	v_lshl_add_u64 v[40:41], v[12:13], 3, v[38:39]
	flat_load_b64 v[40:41], v[40:41]
	s_wait_loadcnt_dscnt 0x0
	v_div_scale_f64 v[42:43], null, v[40:41], v[40:41], 1.0
	s_delay_alu instid0(VALU_DEP_1) | instskip(SKIP_1) | instid1(TRANS32_DEP_1)
	v_rcp_f64_e32 v[94:95], v[42:43]
	v_nop
	v_fma_f64 v[96:97], -v[42:43], v[94:95], 1.0
	s_delay_alu instid0(VALU_DEP_1) | instskip(NEXT) | instid1(VALU_DEP_1)
	v_fmac_f64_e32 v[94:95], v[94:95], v[96:97]
	v_fma_f64 v[96:97], -v[42:43], v[94:95], 1.0
	s_delay_alu instid0(VALU_DEP_1) | instskip(SKIP_1) | instid1(VALU_DEP_1)
	v_fmac_f64_e32 v[94:95], v[94:95], v[96:97]
	v_div_scale_f64 v[96:97], vcc_lo, 1.0, v[40:41], 1.0
	v_mul_f64_e32 v[98:99], v[96:97], v[94:95]
	s_delay_alu instid0(VALU_DEP_1) | instskip(NEXT) | instid1(VALU_DEP_1)
	v_fma_f64 v[42:43], -v[42:43], v[98:99], v[96:97]
	v_div_fmas_f64 v[42:43], v[42:43], v[94:95], v[98:99]
	s_delay_alu instid0(VALU_DEP_1)
	v_div_fixup_f64 v[40:41], v[42:43], v[40:41], 1.0
	ds_store_b64 v87, v[40:41]
.LBB138_32:                             ;   in Loop: Header=BB138_3 Depth=1
	s_or_b32 exec_lo, exec_lo, s11
.LBB138_33:                             ;   in Loop: Header=BB138_3 Depth=1
	s_and_not1_saveexec_b32 s10, s10
	s_cbranch_execz .LBB138_35
; %bb.34:                               ;   in Loop: Header=BB138_3 Depth=1
	v_lshl_add_u64 v[40:41], v[12:13], 3, v[38:39]
	flat_load_b64 v[40:41], v[40:41]
	s_wait_loadcnt_dscnt 0x0
	v_xor_b32_e32 v41, 0x80000000, v41
	ds_store_b64 v87, v[40:41]
.LBB138_35:                             ;   in Loop: Header=BB138_3 Depth=1
	s_or_b32 exec_lo, exec_lo, s10
	s_delay_alu instid0(SALU_CYCLE_1) | instskip(SKIP_2) | instid1(SALU_CYCLE_1)
	s_mov_b32 s10, exec_lo
	v_readlane_b32 s11, v101, 12
	s_and_b32 s11, s10, s11
	s_xor_b32 s10, s11, s10
	s_mov_b32 exec_lo, s11
	s_cbranch_execz .LBB138_43
; %bb.36:                               ;   in Loop: Header=BB138_3 Depth=1
	s_mov_b32 s11, exec_lo
	v_readlane_b32 s12, v101, 18
	s_and_b32 s12, s11, s12
	s_delay_alu instid0(SALU_CYCLE_1)
	s_xor_b32 s11, s12, s11
	s_mov_b32 exec_lo, s12
	s_cbranch_execz .LBB138_40
; %bb.37:                               ;   in Loop: Header=BB138_3 Depth=1
	s_mov_b32 s12, exec_lo
	v_readlane_b32 s65, v100, 26
	s_and_b32 s65, s12, s65
	s_delay_alu instid0(SALU_CYCLE_1)
	s_mov_b32 exec_lo, s65
; %bb.38:                               ;   in Loop: Header=BB138_3 Depth=1
	ds_store_b64 v81, v[24:25]
; %bb.39:                               ;   in Loop: Header=BB138_3 Depth=1
	s_or_b32 exec_lo, exec_lo, s12
.LBB138_40:                             ;   in Loop: Header=BB138_3 Depth=1
	s_and_not1_saveexec_b32 s11, s11
	s_cbranch_execz .LBB138_42
; %bb.41:                               ;   in Loop: Header=BB138_3 Depth=1
	v_lshl_add_u64 v[40:41], v[14:15], 3, v[38:39]
	flat_load_b64 v[40:41], v[40:41]
	s_wait_loadcnt_dscnt 0x0
	v_div_scale_f64 v[42:43], null, v[40:41], v[40:41], 1.0
	s_delay_alu instid0(VALU_DEP_1) | instskip(SKIP_1) | instid1(TRANS32_DEP_1)
	v_rcp_f64_e32 v[94:95], v[42:43]
	v_nop
	v_fma_f64 v[96:97], -v[42:43], v[94:95], 1.0
	s_delay_alu instid0(VALU_DEP_1) | instskip(NEXT) | instid1(VALU_DEP_1)
	v_fmac_f64_e32 v[94:95], v[94:95], v[96:97]
	v_fma_f64 v[96:97], -v[42:43], v[94:95], 1.0
	s_delay_alu instid0(VALU_DEP_1) | instskip(SKIP_1) | instid1(VALU_DEP_1)
	v_fmac_f64_e32 v[94:95], v[94:95], v[96:97]
	v_div_scale_f64 v[96:97], vcc_lo, 1.0, v[40:41], 1.0
	v_mul_f64_e32 v[98:99], v[96:97], v[94:95]
	s_delay_alu instid0(VALU_DEP_1) | instskip(NEXT) | instid1(VALU_DEP_1)
	v_fma_f64 v[42:43], -v[42:43], v[98:99], v[96:97]
	v_div_fmas_f64 v[42:43], v[42:43], v[94:95], v[98:99]
	s_delay_alu instid0(VALU_DEP_1)
	v_div_fixup_f64 v[40:41], v[42:43], v[40:41], 1.0
	ds_store_b64 v81, v[40:41]
.LBB138_42:                             ;   in Loop: Header=BB138_3 Depth=1
	s_or_b32 exec_lo, exec_lo, s11
.LBB138_43:                             ;   in Loop: Header=BB138_3 Depth=1
	s_and_not1_saveexec_b32 s10, s10
	s_cbranch_execz .LBB138_45
; %bb.44:                               ;   in Loop: Header=BB138_3 Depth=1
	v_lshl_add_u64 v[40:41], v[14:15], 3, v[38:39]
	flat_load_b64 v[40:41], v[40:41]
	s_wait_loadcnt_dscnt 0x0
	v_xor_b32_e32 v41, 0x80000000, v41
	ds_store_b64 v81, v[40:41]
.LBB138_45:                             ;   in Loop: Header=BB138_3 Depth=1
	s_or_b32 exec_lo, exec_lo, s10
	s_delay_alu instid0(SALU_CYCLE_1) | instskip(SKIP_2) | instid1(SALU_CYCLE_1)
	s_mov_b32 s10, exec_lo
	v_readlane_b32 s11, v101, 13
	s_and_b32 s11, s10, s11
	;; [unrolled: 63-line block ×3, first 2 shown]
	s_xor_b32 s10, s11, s10
	s_mov_b32 exec_lo, s11
	s_cbranch_execz .LBB138_63
; %bb.56:                               ;   in Loop: Header=BB138_3 Depth=1
	s_mov_b32 s11, exec_lo
	v_readlane_b32 s12, v101, 22
	s_and_b32 s12, s11, s12
	s_delay_alu instid0(SALU_CYCLE_1)
	s_xor_b32 s11, s12, s11
	s_mov_b32 exec_lo, s12
	s_cbranch_execz .LBB138_60
; %bb.57:                               ;   in Loop: Header=BB138_3 Depth=1
	s_mov_b32 s12, exec_lo
	v_readlane_b32 s65, v100, 28
	s_and_b32 s65, s12, s65
	s_delay_alu instid0(SALU_CYCLE_1)
	s_mov_b32 exec_lo, s65
; %bb.58:                               ;   in Loop: Header=BB138_3 Depth=1
	ds_store_b64 v84, v[24:25]
; %bb.59:                               ;   in Loop: Header=BB138_3 Depth=1
	s_or_b32 exec_lo, exec_lo, s12
                                        ; implicit-def: $vgpr38_vgpr39
.LBB138_60:                             ;   in Loop: Header=BB138_3 Depth=1
	s_and_not1_saveexec_b32 s11, s11
	s_cbranch_execz .LBB138_62
; %bb.61:                               ;   in Loop: Header=BB138_3 Depth=1
	v_lshl_add_u64 v[38:39], v[18:19], 3, v[38:39]
	flat_load_b64 v[38:39], v[38:39]
	s_wait_loadcnt_dscnt 0x0
	v_div_scale_f64 v[40:41], null, v[38:39], v[38:39], 1.0
	s_delay_alu instid0(VALU_DEP_1) | instskip(SKIP_1) | instid1(TRANS32_DEP_1)
	v_rcp_f64_e32 v[42:43], v[40:41]
	v_nop
	v_fma_f64 v[94:95], -v[40:41], v[42:43], 1.0
	s_delay_alu instid0(VALU_DEP_1) | instskip(NEXT) | instid1(VALU_DEP_1)
	v_fmac_f64_e32 v[42:43], v[42:43], v[94:95]
	v_fma_f64 v[94:95], -v[40:41], v[42:43], 1.0
	s_delay_alu instid0(VALU_DEP_1) | instskip(SKIP_1) | instid1(VALU_DEP_1)
	v_fmac_f64_e32 v[42:43], v[42:43], v[94:95]
	v_div_scale_f64 v[94:95], vcc_lo, 1.0, v[38:39], 1.0
	v_mul_f64_e32 v[96:97], v[94:95], v[42:43]
	s_delay_alu instid0(VALU_DEP_1) | instskip(NEXT) | instid1(VALU_DEP_1)
	v_fma_f64 v[40:41], -v[40:41], v[96:97], v[94:95]
	v_div_fmas_f64 v[40:41], v[40:41], v[42:43], v[96:97]
	s_delay_alu instid0(VALU_DEP_1)
	v_div_fixup_f64 v[38:39], v[40:41], v[38:39], 1.0
	ds_store_b64 v84, v[38:39]
.LBB138_62:                             ;   in Loop: Header=BB138_3 Depth=1
	s_or_b32 exec_lo, exec_lo, s11
                                        ; implicit-def: $vgpr38_vgpr39
.LBB138_63:                             ;   in Loop: Header=BB138_3 Depth=1
	s_and_not1_saveexec_b32 s10, s10
	s_cbranch_execz .LBB138_65
; %bb.64:                               ;   in Loop: Header=BB138_3 Depth=1
	v_lshl_add_u64 v[38:39], v[18:19], 3, v[38:39]
	flat_load_b64 v[38:39], v[38:39]
	s_wait_loadcnt_dscnt 0x0
	v_xor_b32_e32 v39, 0x80000000, v39
	ds_store_b64 v84, v[38:39]
.LBB138_65:                             ;   in Loop: Header=BB138_3 Depth=1
	s_or_b32 exec_lo, exec_lo, s10
.LBB138_66:                             ;   in Loop: Header=BB138_3 Depth=1
	s_delay_alu instid0(SALU_CYCLE_1)
	s_and_not1_b32 vcc_lo, exec_lo, s89
	s_wait_loadcnt_dscnt 0x0
	s_barrier_signal -1
	s_barrier_wait -1
	s_cbranch_vccnz .LBB138_996
; %bb.67:                               ;   in Loop: Header=BB138_3 Depth=1
	s_wait_xcnt 0x0
	s_and_saveexec_b32 s10, s14
	s_cbranch_execz .LBB138_69
; %bb.68:                               ;   in Loop: Header=BB138_3 Depth=1
	ds_load_b128 v[38:41], v1 offset:32752
	ds_load_b64 v[42:43], v1 offset:32240
	v_add_nc_u32_e64 v0, 0x7800, 0
	s_wait_dscnt 0x0
	v_mul_f64_e32 v[40:41], v[42:43], v[40:41]
	s_delay_alu instid0(VALU_DEP_1)
	v_mul_f64_e32 v[38:39], v[38:39], v[40:41]
	ds_store_2addr_b64 v0, v[38:39], v[38:39] offset0:191 offset1:254
.LBB138_69:                             ;   in Loop: Header=BB138_3 Depth=1
	s_or_b32 exec_lo, exec_lo, s10
	v_mov_b64_e32 v[38:39], 0
	s_wait_dscnt 0x0
	s_barrier_signal -1
	s_barrier_wait -1
	global_wb scope:SCOPE_DEV
	s_wait_storecnt 0x0
	global_inv scope:SCOPE_DEV
	s_and_saveexec_b32 s10, s1
	s_cbranch_execz .LBB138_73
; %bb.70:                               ;   in Loop: Header=BB138_3 Depth=1
	ds_load_b64 v[38:39], v47 offset:32224
	ds_load_b64 v[40:41], v46 offset:32752
	s_wait_dscnt 0x0
	v_fma_f64 v[38:39], v[38:39], v[40:41], 0
	s_and_saveexec_b32 s11, s15
	s_cbranch_execz .LBB138_72
; %bb.71:                               ;   in Loop: Header=BB138_3 Depth=1
	ds_load_b64 v[40:41], v48 offset:32736
	ds_load_b64 v[42:43], v1 offset:32760
	s_wait_dscnt 0x0
	v_fmac_f64_e32 v[38:39], v[40:41], v[42:43]
.LBB138_72:                             ;   in Loop: Header=BB138_3 Depth=1
	s_or_b32 exec_lo, exec_lo, s11
.LBB138_73:                             ;   in Loop: Header=BB138_3 Depth=1
	s_delay_alu instid0(SALU_CYCLE_1)
	s_or_b32 exec_lo, exec_lo, s10
	s_and_saveexec_b32 s10, s90
	s_cbranch_execz .LBB138_75
; %bb.74:                               ;   in Loop: Header=BB138_3 Depth=1
	ds_load_b64 v[40:41], v1 offset:31720
	s_wait_dscnt 0x0
	v_mul_f64_e32 v[38:39], v[38:39], v[40:41]
	s_delay_alu instid0(VALU_DEP_1) | instskip(NEXT) | instid1(VALU_DEP_2)
	v_xor_b32_e32 v41, 0x80000000, v39
	v_mov_b32_e32 v40, v38
	ds_store_b64 v3, v[40:41]
.LBB138_75:                             ;   in Loop: Header=BB138_3 Depth=1
	s_or_b32 exec_lo, exec_lo, s10
	s_wait_loadcnt_dscnt 0x0
	s_barrier_signal -1
	s_barrier_wait -1
	s_and_saveexec_b32 s10, s91
	s_cbranch_execz .LBB138_77
; %bb.76:                               ;   in Loop: Header=BB138_3 Depth=1
	ds_load_b64 v[40:41], v1 offset:31712
	ds_load_b64 v[42:43], v3
	s_wait_dscnt 0x0
	v_fma_f64 v[38:39], -v[40:41], v[42:43], v[38:39]
.LBB138_77:                             ;   in Loop: Header=BB138_3 Depth=1
	s_or_b32 exec_lo, exec_lo, s10
	s_barrier_signal -1
	s_barrier_wait -1
	s_and_saveexec_b32 s10, s91
	s_cbranch_execz .LBB138_79
; %bb.78:                               ;   in Loop: Header=BB138_3 Depth=1
	ds_load_b64 v[40:41], v1 offset:31200
	s_wait_dscnt 0x0
	v_mul_f64_e32 v[38:39], v[38:39], v[40:41]
	s_delay_alu instid0(VALU_DEP_1) | instskip(NEXT) | instid1(VALU_DEP_2)
	v_xor_b32_e32 v41, 0x80000000, v39
	v_mov_b32_e32 v40, v38
	ds_store_b64 v3, v[40:41]
.LBB138_79:                             ;   in Loop: Header=BB138_3 Depth=1
	s_or_b32 exec_lo, exec_lo, s10
	s_wait_dscnt 0x0
	s_barrier_signal -1
	s_barrier_wait -1
	s_barrier_signal -1
	s_barrier_wait -1
	s_and_saveexec_b32 s10, s1
; %bb.80:                               ;   in Loop: Header=BB138_3 Depth=1
	ds_store_b64 v49, v[38:39] offset:32736
; %bb.81:                               ;   in Loop: Header=BB138_3 Depth=1
	s_or_b32 exec_lo, exec_lo, s10
	s_wait_dscnt 0x0
	s_barrier_signal -1
	s_barrier_wait -1
	s_barrier_signal -1
	s_barrier_wait -1
	s_and_saveexec_b32 s10, s92
	s_cbranch_execz .LBB138_83
; %bb.82:                               ;   in Loop: Header=BB138_3 Depth=1
	ds_load_b64 v[38:39], v50 offset:32224
	s_wait_dscnt 0x0
	ds_store_b64 v48, v[38:39] offset:31216
	ds_load_b64 v[38:39], v50 offset:32232
	s_wait_dscnt 0x0
	ds_store_b64 v48, v[38:39] offset:31728
.LBB138_83:                             ;   in Loop: Header=BB138_3 Depth=1
	s_or_b32 exec_lo, exec_lo, s10
	s_wait_dscnt 0x0
	s_barrier_signal -1
	s_barrier_wait -1
	s_and_saveexec_b32 s10, s14
	s_cbranch_execz .LBB138_85
; %bb.84:                               ;   in Loop: Header=BB138_3 Depth=1
	ds_load_b128 v[38:41], v1 offset:31712
	ds_load_b64 v[42:43], v1 offset:31200
	v_add_nc_u32_e64 v0, 0x7800, 0
	s_wait_dscnt 0x0
	v_mul_f64_e32 v[40:41], v[42:43], v[40:41]
	s_delay_alu instid0(VALU_DEP_1)
	v_mul_f64_e32 v[38:39], v[38:39], v[40:41]
	ds_store_2addr_b64 v0, v[38:39], v[38:39] offset0:61 offset1:124
.LBB138_85:                             ;   in Loop: Header=BB138_3 Depth=1
	s_or_b32 exec_lo, exec_lo, s10
	v_mov_b64_e32 v[38:39], 0
	s_wait_dscnt 0x0
	s_barrier_signal -1
	s_barrier_wait -1
	global_wb scope:SCOPE_DEV
	s_wait_storecnt 0x0
	global_inv scope:SCOPE_DEV
	s_and_saveexec_b32 s10, s3
	s_cbranch_execz .LBB138_91
; %bb.86:                               ;   in Loop: Header=BB138_3 Depth=1
	ds_load_b64 v[38:39], v53 offset:31168
	ds_load_b64 v[40:41], v52 offset:32736
	s_wait_dscnt 0x0
	v_fma_f64 v[38:39], v[38:39], v[40:41], 0
	s_and_saveexec_b32 s11, s16
	s_cbranch_execnz .LBB138_1099
; %bb.87:                               ;   in Loop: Header=BB138_3 Depth=1
	s_or_b32 exec_lo, exec_lo, s11
	s_and_saveexec_b32 s11, s17
	s_cbranch_execnz .LBB138_1100
.LBB138_88:                             ;   in Loop: Header=BB138_3 Depth=1
	s_or_b32 exec_lo, exec_lo, s11
	s_and_saveexec_b32 s11, s1
	s_cbranch_execz .LBB138_90
.LBB138_89:                             ;   in Loop: Header=BB138_3 Depth=1
	ds_load_b64 v[40:41], v54 offset:32704
	ds_load_b64 v[42:43], v1 offset:32760
	s_wait_dscnt 0x0
	v_fmac_f64_e32 v[38:39], v[40:41], v[42:43]
.LBB138_90:                             ;   in Loop: Header=BB138_3 Depth=1
	s_or_b32 exec_lo, exec_lo, s11
.LBB138_91:                             ;   in Loop: Header=BB138_3 Depth=1
	s_delay_alu instid0(SALU_CYCLE_1)
	s_or_b32 exec_lo, exec_lo, s10
	s_and_saveexec_b32 s10, s93
	s_cbranch_execz .LBB138_93
; %bb.92:                               ;   in Loop: Header=BB138_3 Depth=1
	ds_load_b64 v[40:41], v1 offset:30680
	s_wait_dscnt 0x0
	v_mul_f64_e32 v[38:39], v[38:39], v[40:41]
	s_delay_alu instid0(VALU_DEP_1) | instskip(NEXT) | instid1(VALU_DEP_2)
	v_xor_b32_e32 v41, 0x80000000, v39
	v_mov_b32_e32 v40, v38
	ds_store_b64 v51, v[40:41]
.LBB138_93:                             ;   in Loop: Header=BB138_3 Depth=1
	s_or_b32 exec_lo, exec_lo, s10
	s_wait_loadcnt_dscnt 0x0
	s_barrier_signal -1
	s_barrier_wait -1
	s_and_saveexec_b32 s10, s94
	s_cbranch_execz .LBB138_95
; %bb.94:                               ;   in Loop: Header=BB138_3 Depth=1
	ds_load_b64 v[40:41], v53 offset:30656
	ds_load_b64 v[42:43], v51
	s_wait_dscnt 0x0
	v_fma_f64 v[38:39], -v[40:41], v[42:43], v[38:39]
.LBB138_95:                             ;   in Loop: Header=BB138_3 Depth=1
	s_or_b32 exec_lo, exec_lo, s10
	s_barrier_signal -1
	s_barrier_wait -1
	s_and_saveexec_b32 s10, s95
	s_cbranch_execz .LBB138_97
; %bb.96:                               ;   in Loop: Header=BB138_3 Depth=1
	ds_load_b64 v[40:41], v1 offset:30160
	s_wait_dscnt 0x0
	v_mul_f64_e32 v[38:39], v[38:39], v[40:41]
	s_delay_alu instid0(VALU_DEP_1) | instskip(NEXT) | instid1(VALU_DEP_2)
	v_xor_b32_e32 v41, 0x80000000, v39
	v_mov_b32_e32 v40, v38
	ds_store_b64 v51, v[40:41]
.LBB138_97:                             ;   in Loop: Header=BB138_3 Depth=1
	s_or_b32 exec_lo, exec_lo, s10
	s_wait_dscnt 0x0
	s_barrier_signal -1
	s_barrier_wait -1
	s_and_saveexec_b32 s10, s96
	s_cbranch_execz .LBB138_99
; %bb.98:                               ;   in Loop: Header=BB138_3 Depth=1
	ds_load_b64 v[40:41], v53 offset:30144
	ds_load_b64 v[42:43], v51
	s_wait_dscnt 0x0
	v_fma_f64 v[38:39], -v[40:41], v[42:43], v[38:39]
.LBB138_99:                             ;   in Loop: Header=BB138_3 Depth=1
	s_or_b32 exec_lo, exec_lo, s10
	s_barrier_signal -1
	s_barrier_wait -1
	s_and_saveexec_b32 s10, s97
	s_cbranch_execz .LBB138_101
; %bb.100:                              ;   in Loop: Header=BB138_3 Depth=1
	ds_load_b64 v[40:41], v1 offset:29640
	s_wait_dscnt 0x0
	v_mul_f64_e32 v[38:39], v[38:39], v[40:41]
	s_delay_alu instid0(VALU_DEP_1) | instskip(NEXT) | instid1(VALU_DEP_2)
	v_xor_b32_e32 v41, 0x80000000, v39
	v_mov_b32_e32 v40, v38
	ds_store_b64 v51, v[40:41]
.LBB138_101:                            ;   in Loop: Header=BB138_3 Depth=1
	s_or_b32 exec_lo, exec_lo, s10
	s_wait_dscnt 0x0
	s_barrier_signal -1
	s_barrier_wait -1
	s_and_saveexec_b32 s10, s98
	s_cbranch_execz .LBB138_103
; %bb.102:                              ;   in Loop: Header=BB138_3 Depth=1
	ds_load_b64 v[40:41], v1 offset:29632
	ds_load_b64 v[42:43], v51
	s_wait_dscnt 0x0
	v_fma_f64 v[38:39], -v[40:41], v[42:43], v[38:39]
.LBB138_103:                            ;   in Loop: Header=BB138_3 Depth=1
	s_or_b32 exec_lo, exec_lo, s10
	s_barrier_signal -1
	s_barrier_wait -1
	s_and_saveexec_b32 s10, s98
	s_cbranch_execz .LBB138_105
; %bb.104:                              ;   in Loop: Header=BB138_3 Depth=1
	ds_load_b64 v[40:41], v1 offset:29120
	s_wait_dscnt 0x0
	v_mul_f64_e32 v[38:39], v[38:39], v[40:41]
	s_delay_alu instid0(VALU_DEP_1) | instskip(NEXT) | instid1(VALU_DEP_2)
	v_xor_b32_e32 v41, 0x80000000, v39
	v_mov_b32_e32 v40, v38
	ds_store_b64 v51, v[40:41]
.LBB138_105:                            ;   in Loop: Header=BB138_3 Depth=1
	s_or_b32 exec_lo, exec_lo, s10
	s_wait_dscnt 0x0
	s_barrier_signal -1
	s_barrier_wait -1
	s_barrier_signal -1
	s_barrier_wait -1
	s_and_saveexec_b32 s10, s3
; %bb.106:                              ;   in Loop: Header=BB138_3 Depth=1
	ds_store_b64 v55, v[38:39] offset:32704
; %bb.107:                              ;   in Loop: Header=BB138_3 Depth=1
	s_or_b32 exec_lo, exec_lo, s10
	s_wait_dscnt 0x0
	s_barrier_signal -1
	s_barrier_wait -1
	s_barrier_signal -1
	s_barrier_wait -1
	s_and_saveexec_b32 s10, s99
	s_cbranch_execz .LBB138_109
; %bb.108:                              ;   in Loop: Header=BB138_3 Depth=1
	ds_load_b64 v[38:39], v56 offset:31168
	s_wait_dscnt 0x0
	ds_store_b64 v5, v[38:39] offset:29152
	ds_load_b64 v[38:39], v56 offset:31176
	s_wait_dscnt 0x0
	ds_store_b64 v5, v[38:39] offset:29664
	;; [unrolled: 3-line block ×4, first 2 shown]
.LBB138_109:                            ;   in Loop: Header=BB138_3 Depth=1
	s_or_b32 exec_lo, exec_lo, s10
	s_wait_dscnt 0x0
	s_barrier_signal -1
	s_barrier_wait -1
	s_and_saveexec_b32 s10, s14
	s_cbranch_execz .LBB138_111
; %bb.110:                              ;   in Loop: Header=BB138_3 Depth=1
	ds_load_b128 v[38:41], v1 offset:30672
	ds_load_b64 v[42:43], v1 offset:30160
	v_add_nc_u32_e64 v0, 0x7000, 0
	s_wait_dscnt 0x0
	v_mul_f64_e32 v[40:41], v[42:43], v[40:41]
	s_delay_alu instid0(VALU_DEP_1)
	v_mul_f64_e32 v[38:39], v[38:39], v[40:41]
	ds_store_2addr_b64 v0, v[38:39], v[38:39] offset0:187 offset1:250
.LBB138_111:                            ;   in Loop: Header=BB138_3 Depth=1
	s_or_b32 exec_lo, exec_lo, s10
	v_mov_b64_e32 v[38:39], 0
	s_wait_dscnt 0x0
	s_barrier_signal -1
	s_barrier_wait -1
	global_wb scope:SCOPE_DEV
	s_wait_storecnt 0x0
	global_inv scope:SCOPE_DEV
	s_and_saveexec_b32 s10, s1
	s_cbranch_execz .LBB138_115
; %bb.112:                              ;   in Loop: Header=BB138_3 Depth=1
	ds_load_b64 v[38:39], v47 offset:30144
	ds_load_b64 v[40:41], v46 offset:30672
	s_wait_dscnt 0x0
	v_fma_f64 v[38:39], v[38:39], v[40:41], 0
	s_and_saveexec_b32 s11, s15
	s_cbranch_execz .LBB138_114
; %bb.113:                              ;   in Loop: Header=BB138_3 Depth=1
	ds_load_b64 v[40:41], v5 offset:30656
	ds_load_b64 v[42:43], v1 offset:30680
	s_wait_dscnt 0x0
	v_fmac_f64_e32 v[38:39], v[40:41], v[42:43]
.LBB138_114:                            ;   in Loop: Header=BB138_3 Depth=1
	s_or_b32 exec_lo, exec_lo, s11
.LBB138_115:                            ;   in Loop: Header=BB138_3 Depth=1
	s_delay_alu instid0(SALU_CYCLE_1)
	s_or_b32 exec_lo, exec_lo, s10
	s_and_saveexec_b32 s10, s90
	s_cbranch_execz .LBB138_117
; %bb.116:                              ;   in Loop: Header=BB138_3 Depth=1
	ds_load_b64 v[40:41], v1 offset:29640
	s_wait_dscnt 0x0
	v_mul_f64_e32 v[38:39], v[38:39], v[40:41]
	s_delay_alu instid0(VALU_DEP_1) | instskip(NEXT) | instid1(VALU_DEP_2)
	v_xor_b32_e32 v41, 0x80000000, v39
	v_mov_b32_e32 v40, v38
	ds_store_b64 v3, v[40:41]
.LBB138_117:                            ;   in Loop: Header=BB138_3 Depth=1
	s_or_b32 exec_lo, exec_lo, s10
	s_wait_loadcnt_dscnt 0x0
	s_barrier_signal -1
	s_barrier_wait -1
	s_and_saveexec_b32 s10, s91
	s_cbranch_execz .LBB138_119
; %bb.118:                              ;   in Loop: Header=BB138_3 Depth=1
	ds_load_b64 v[40:41], v1 offset:29632
	ds_load_b64 v[42:43], v3
	s_wait_dscnt 0x0
	v_fma_f64 v[38:39], -v[40:41], v[42:43], v[38:39]
.LBB138_119:                            ;   in Loop: Header=BB138_3 Depth=1
	s_or_b32 exec_lo, exec_lo, s10
	s_barrier_signal -1
	s_barrier_wait -1
	s_and_saveexec_b32 s10, s91
	s_cbranch_execz .LBB138_121
; %bb.120:                              ;   in Loop: Header=BB138_3 Depth=1
	ds_load_b64 v[40:41], v1 offset:29120
	s_wait_dscnt 0x0
	v_mul_f64_e32 v[38:39], v[38:39], v[40:41]
	s_delay_alu instid0(VALU_DEP_1) | instskip(NEXT) | instid1(VALU_DEP_2)
	v_xor_b32_e32 v41, 0x80000000, v39
	v_mov_b32_e32 v40, v38
	ds_store_b64 v3, v[40:41]
.LBB138_121:                            ;   in Loop: Header=BB138_3 Depth=1
	s_or_b32 exec_lo, exec_lo, s10
	s_wait_dscnt 0x0
	s_barrier_signal -1
	s_barrier_wait -1
	s_barrier_signal -1
	s_barrier_wait -1
	s_and_saveexec_b32 s10, s1
; %bb.122:                              ;   in Loop: Header=BB138_3 Depth=1
	ds_store_b64 v49, v[38:39] offset:30656
; %bb.123:                              ;   in Loop: Header=BB138_3 Depth=1
	s_or_b32 exec_lo, exec_lo, s10
	s_wait_dscnt 0x0
	s_barrier_signal -1
	s_barrier_wait -1
	s_barrier_signal -1
	s_barrier_wait -1
	s_and_saveexec_b32 s10, s92
	s_cbranch_execz .LBB138_125
; %bb.124:                              ;   in Loop: Header=BB138_3 Depth=1
	ds_load_b64 v[38:39], v71 offset:30144
	s_wait_dscnt 0x0
	ds_store_b64 v5, v[38:39] offset:29136
	ds_load_b64 v[38:39], v71 offset:30152
	s_wait_dscnt 0x0
	ds_store_b64 v5, v[38:39] offset:29648
.LBB138_125:                            ;   in Loop: Header=BB138_3 Depth=1
	s_or_b32 exec_lo, exec_lo, s10
	s_wait_dscnt 0x0
	s_barrier_signal -1
	s_barrier_wait -1
	s_and_saveexec_b32 s10, s14
	s_cbranch_execz .LBB138_127
; %bb.126:                              ;   in Loop: Header=BB138_3 Depth=1
	ds_load_b128 v[38:41], v1 offset:29632
	ds_load_b64 v[42:43], v1 offset:29120
	v_add_nc_u32_e64 v0, 0x7000, 0
	s_wait_dscnt 0x0
	v_mul_f64_e32 v[40:41], v[42:43], v[40:41]
	s_delay_alu instid0(VALU_DEP_1)
	v_mul_f64_e32 v[38:39], v[38:39], v[40:41]
	ds_store_2addr_b64 v0, v[38:39], v[38:39] offset0:57 offset1:120
.LBB138_127:                            ;   in Loop: Header=BB138_3 Depth=1
	s_or_b32 exec_lo, exec_lo, s10
	v_mov_b64_e32 v[38:39], 0
	s_wait_dscnt 0x0
	s_barrier_signal -1
	s_barrier_wait -1
	global_wb scope:SCOPE_DEV
	s_wait_storecnt 0x0
	global_inv scope:SCOPE_DEV
	s_and_saveexec_b32 s10, s4
	s_cbranch_execz .LBB138_137
; %bb.128:                              ;   in Loop: Header=BB138_3 Depth=1
	ds_load_b64 v[38:39], v59 offset:29056
	ds_load_b64 v[40:41], v58 offset:32704
	s_wait_dscnt 0x0
	v_fma_f64 v[38:39], v[38:39], v[40:41], 0
	s_and_saveexec_b32 s11, s18
	s_cbranch_execnz .LBB138_1101
; %bb.129:                              ;   in Loop: Header=BB138_3 Depth=1
	s_or_b32 exec_lo, exec_lo, s11
	s_and_saveexec_b32 s11, s19
	s_cbranch_execnz .LBB138_1102
.LBB138_130:                            ;   in Loop: Header=BB138_3 Depth=1
	s_or_b32 exec_lo, exec_lo, s11
	s_and_saveexec_b32 s11, s20
	s_cbranch_execnz .LBB138_1103
.LBB138_131:                            ;   in Loop: Header=BB138_3 Depth=1
	s_or_b32 exec_lo, exec_lo, s11
	s_and_saveexec_b32 s11, s21
	s_cbranch_execnz .LBB138_1104
.LBB138_132:                            ;   in Loop: Header=BB138_3 Depth=1
	s_or_b32 exec_lo, exec_lo, s11
	s_and_saveexec_b32 s11, s22
	s_cbranch_execnz .LBB138_1105
.LBB138_133:                            ;   in Loop: Header=BB138_3 Depth=1
	s_or_b32 exec_lo, exec_lo, s11
	s_and_saveexec_b32 s11, s3
	s_cbranch_execnz .LBB138_1106
.LBB138_134:                            ;   in Loop: Header=BB138_3 Depth=1
	s_or_b32 exec_lo, exec_lo, s11
	s_and_saveexec_b32 s11, s17
	s_cbranch_execz .LBB138_136
.LBB138_135:                            ;   in Loop: Header=BB138_3 Depth=1
	ds_load_b64 v[40:41], v72 offset:32640
	ds_load_b64 v[42:43], v1 offset:32760
	s_wait_dscnt 0x0
	v_fmac_f64_e32 v[38:39], v[40:41], v[42:43]
.LBB138_136:                            ;   in Loop: Header=BB138_3 Depth=1
	s_or_b32 exec_lo, exec_lo, s11
.LBB138_137:                            ;   in Loop: Header=BB138_3 Depth=1
	s_delay_alu instid0(SALU_CYCLE_1)
	s_or_b32 exec_lo, exec_lo, s10
	s_and_saveexec_b32 s10, s100
	s_cbranch_execz .LBB138_139
; %bb.138:                              ;   in Loop: Header=BB138_3 Depth=1
	ds_load_b64 v[40:41], v1 offset:28600
	s_wait_dscnt 0x0
	v_mul_f64_e32 v[38:39], v[38:39], v[40:41]
	s_delay_alu instid0(VALU_DEP_1) | instskip(NEXT) | instid1(VALU_DEP_2)
	v_xor_b32_e32 v41, 0x80000000, v39
	v_mov_b32_e32 v40, v38
	ds_store_b64 v57, v[40:41]
.LBB138_139:                            ;   in Loop: Header=BB138_3 Depth=1
	s_or_b32 exec_lo, exec_lo, s10
	s_wait_loadcnt_dscnt 0x0
	s_barrier_signal -1
	s_barrier_wait -1
	s_and_saveexec_b32 s10, s101
	s_cbranch_execz .LBB138_141
; %bb.140:                              ;   in Loop: Header=BB138_3 Depth=1
	ds_load_b64 v[40:41], v59 offset:28544
	ds_load_b64 v[42:43], v57
	s_wait_dscnt 0x0
	v_fma_f64 v[38:39], -v[40:41], v[42:43], v[38:39]
.LBB138_141:                            ;   in Loop: Header=BB138_3 Depth=1
	s_or_b32 exec_lo, exec_lo, s10
	s_barrier_signal -1
	s_barrier_wait -1
	s_and_saveexec_b32 s10, s102
	s_cbranch_execz .LBB138_143
; %bb.142:                              ;   in Loop: Header=BB138_3 Depth=1
	ds_load_b64 v[40:41], v1 offset:28080
	s_wait_dscnt 0x0
	v_mul_f64_e32 v[38:39], v[38:39], v[40:41]
	s_delay_alu instid0(VALU_DEP_1) | instskip(NEXT) | instid1(VALU_DEP_2)
	v_xor_b32_e32 v41, 0x80000000, v39
	v_mov_b32_e32 v40, v38
	ds_store_b64 v57, v[40:41]
.LBB138_143:                            ;   in Loop: Header=BB138_3 Depth=1
	s_or_b32 exec_lo, exec_lo, s10
	s_wait_dscnt 0x0
	s_barrier_signal -1
	s_barrier_wait -1
	s_and_saveexec_b32 s10, s103
	s_cbranch_execz .LBB138_145
; %bb.144:                              ;   in Loop: Header=BB138_3 Depth=1
	ds_load_b64 v[40:41], v59 offset:28032
	ds_load_b64 v[42:43], v57
	s_wait_dscnt 0x0
	v_fma_f64 v[38:39], -v[40:41], v[42:43], v[38:39]
.LBB138_145:                            ;   in Loop: Header=BB138_3 Depth=1
	s_or_b32 exec_lo, exec_lo, s10
	s_barrier_signal -1
	s_barrier_wait -1
	s_and_saveexec_b32 s10, s104
	s_cbranch_execz .LBB138_147
; %bb.146:                              ;   in Loop: Header=BB138_3 Depth=1
	ds_load_b64 v[40:41], v1 offset:27560
	s_wait_dscnt 0x0
	v_mul_f64_e32 v[38:39], v[38:39], v[40:41]
	s_delay_alu instid0(VALU_DEP_1) | instskip(NEXT) | instid1(VALU_DEP_2)
	v_xor_b32_e32 v41, 0x80000000, v39
	v_mov_b32_e32 v40, v38
	ds_store_b64 v57, v[40:41]
.LBB138_147:                            ;   in Loop: Header=BB138_3 Depth=1
	s_or_b32 exec_lo, exec_lo, s10
	s_wait_dscnt 0x0
	s_barrier_signal -1
	s_barrier_wait -1
	s_and_saveexec_b32 s10, vcc_hi
	s_cbranch_execz .LBB138_149
; %bb.148:                              ;   in Loop: Header=BB138_3 Depth=1
	ds_load_b64 v[40:41], v59 offset:27520
	ds_load_b64 v[42:43], v57
	s_wait_dscnt 0x0
	v_fma_f64 v[38:39], -v[40:41], v[42:43], v[38:39]
.LBB138_149:                            ;   in Loop: Header=BB138_3 Depth=1
	s_or_b32 exec_lo, exec_lo, s10
	s_barrier_signal -1
	s_barrier_wait -1
	s_and_saveexec_b32 s10, s36
	s_cbranch_execz .LBB138_151
; %bb.150:                              ;   in Loop: Header=BB138_3 Depth=1
	ds_load_b64 v[40:41], v1 offset:27040
	s_wait_dscnt 0x0
	v_mul_f64_e32 v[38:39], v[38:39], v[40:41]
	s_delay_alu instid0(VALU_DEP_1) | instskip(NEXT) | instid1(VALU_DEP_2)
	v_xor_b32_e32 v41, 0x80000000, v39
	v_mov_b32_e32 v40, v38
	ds_store_b64 v57, v[40:41]
.LBB138_151:                            ;   in Loop: Header=BB138_3 Depth=1
	s_or_b32 exec_lo, exec_lo, s10
	s_wait_dscnt 0x0
	s_barrier_signal -1
	s_barrier_wait -1
	s_and_saveexec_b32 s10, s37
	s_cbranch_execz .LBB138_153
; %bb.152:                              ;   in Loop: Header=BB138_3 Depth=1
	ds_load_b64 v[40:41], v59 offset:27008
	ds_load_b64 v[42:43], v57
	s_wait_dscnt 0x0
	v_fma_f64 v[38:39], -v[40:41], v[42:43], v[38:39]
.LBB138_153:                            ;   in Loop: Header=BB138_3 Depth=1
	s_or_b32 exec_lo, exec_lo, s10
	s_barrier_signal -1
	s_barrier_wait -1
	s_and_saveexec_b32 s10, s38
	s_cbranch_execz .LBB138_155
; %bb.154:                              ;   in Loop: Header=BB138_3 Depth=1
	ds_load_b64 v[40:41], v1 offset:26520
	s_wait_dscnt 0x0
	v_mul_f64_e32 v[38:39], v[38:39], v[40:41]
	s_delay_alu instid0(VALU_DEP_1) | instskip(NEXT) | instid1(VALU_DEP_2)
	v_xor_b32_e32 v41, 0x80000000, v39
	v_mov_b32_e32 v40, v38
	ds_store_b64 v57, v[40:41]
.LBB138_155:                            ;   in Loop: Header=BB138_3 Depth=1
	s_or_b32 exec_lo, exec_lo, s10
	s_wait_dscnt 0x0
	s_barrier_signal -1
	s_barrier_wait -1
	s_and_saveexec_b32 s10, s39
	s_cbranch_execz .LBB138_157
; %bb.156:                              ;   in Loop: Header=BB138_3 Depth=1
	ds_load_b64 v[40:41], v59 offset:26496
	ds_load_b64 v[42:43], v57
	s_wait_dscnt 0x0
	v_fma_f64 v[38:39], -v[40:41], v[42:43], v[38:39]
.LBB138_157:                            ;   in Loop: Header=BB138_3 Depth=1
	s_or_b32 exec_lo, exec_lo, s10
	s_barrier_signal -1
	s_barrier_wait -1
	s_and_saveexec_b32 s10, s40
	s_cbranch_execz .LBB138_159
; %bb.158:                              ;   in Loop: Header=BB138_3 Depth=1
	ds_load_b64 v[40:41], v1 offset:26000
	s_wait_dscnt 0x0
	v_mul_f64_e32 v[38:39], v[38:39], v[40:41]
	s_delay_alu instid0(VALU_DEP_1) | instskip(NEXT) | instid1(VALU_DEP_2)
	v_xor_b32_e32 v41, 0x80000000, v39
	v_mov_b32_e32 v40, v38
	ds_store_b64 v57, v[40:41]
.LBB138_159:                            ;   in Loop: Header=BB138_3 Depth=1
	s_or_b32 exec_lo, exec_lo, s10
	s_wait_dscnt 0x0
	s_barrier_signal -1
	s_barrier_wait -1
	s_and_saveexec_b32 s10, s41
	s_cbranch_execz .LBB138_161
; %bb.160:                              ;   in Loop: Header=BB138_3 Depth=1
	ds_load_b64 v[40:41], v59 offset:25984
	ds_load_b64 v[42:43], v57
	s_wait_dscnt 0x0
	v_fma_f64 v[38:39], -v[40:41], v[42:43], v[38:39]
.LBB138_161:                            ;   in Loop: Header=BB138_3 Depth=1
	s_or_b32 exec_lo, exec_lo, s10
	s_barrier_signal -1
	s_barrier_wait -1
	s_and_saveexec_b32 s10, s42
	s_cbranch_execz .LBB138_163
; %bb.162:                              ;   in Loop: Header=BB138_3 Depth=1
	ds_load_b64 v[40:41], v1 offset:25480
	s_wait_dscnt 0x0
	v_mul_f64_e32 v[38:39], v[38:39], v[40:41]
	s_delay_alu instid0(VALU_DEP_1) | instskip(NEXT) | instid1(VALU_DEP_2)
	v_xor_b32_e32 v41, 0x80000000, v39
	v_mov_b32_e32 v40, v38
	ds_store_b64 v57, v[40:41]
.LBB138_163:                            ;   in Loop: Header=BB138_3 Depth=1
	s_or_b32 exec_lo, exec_lo, s10
	s_wait_dscnt 0x0
	s_barrier_signal -1
	s_barrier_wait -1
	s_and_saveexec_b32 s10, s43
	s_cbranch_execz .LBB138_165
; %bb.164:                              ;   in Loop: Header=BB138_3 Depth=1
	ds_load_b64 v[40:41], v1 offset:25472
	ds_load_b64 v[42:43], v57
	s_wait_dscnt 0x0
	v_fma_f64 v[38:39], -v[40:41], v[42:43], v[38:39]
.LBB138_165:                            ;   in Loop: Header=BB138_3 Depth=1
	s_or_b32 exec_lo, exec_lo, s10
	s_barrier_signal -1
	s_barrier_wait -1
	s_and_saveexec_b32 s10, s43
	s_cbranch_execz .LBB138_167
; %bb.166:                              ;   in Loop: Header=BB138_3 Depth=1
	ds_load_b64 v[40:41], v1 offset:24960
	s_wait_dscnt 0x0
	v_mul_f64_e32 v[38:39], v[38:39], v[40:41]
	s_delay_alu instid0(VALU_DEP_1) | instskip(NEXT) | instid1(VALU_DEP_2)
	v_xor_b32_e32 v41, 0x80000000, v39
	v_mov_b32_e32 v40, v38
	ds_store_b64 v57, v[40:41]
.LBB138_167:                            ;   in Loop: Header=BB138_3 Depth=1
	s_or_b32 exec_lo, exec_lo, s10
	s_wait_dscnt 0x0
	s_barrier_signal -1
	s_barrier_wait -1
	s_barrier_signal -1
	s_barrier_wait -1
	s_and_saveexec_b32 s10, s4
; %bb.168:                              ;   in Loop: Header=BB138_3 Depth=1
	ds_store_b64 v60, v[38:39] offset:32640
; %bb.169:                              ;   in Loop: Header=BB138_3 Depth=1
	s_or_b32 exec_lo, exec_lo, s10
	s_wait_dscnt 0x0
	s_barrier_signal -1
	s_barrier_wait -1
	s_barrier_signal -1
	s_barrier_wait -1
	s_and_saveexec_b32 s10, s44
	s_cbranch_execz .LBB138_171
; %bb.170:                              ;   in Loop: Header=BB138_3 Depth=1
	ds_load_b64 v[38:39], v74 offset:29056
	s_wait_dscnt 0x0
	ds_store_b64 v75, v[38:39] offset:25024
	ds_load_b64 v[38:39], v74 offset:29064
	s_wait_dscnt 0x0
	ds_store_b64 v75, v[38:39] offset:25536
	ds_load_b64 v[38:39], v74 offset:29072
	s_wait_dscnt 0x0
	ds_store_b64 v75, v[38:39] offset:26048
	ds_load_b64 v[38:39], v74 offset:29080
	s_wait_dscnt 0x0
	ds_store_b64 v75, v[38:39] offset:26560
	ds_load_b64 v[38:39], v74 offset:29088
	s_wait_dscnt 0x0
	ds_store_b64 v75, v[38:39] offset:27072
	ds_load_b64 v[38:39], v74 offset:29096
	s_wait_dscnt 0x0
	ds_store_b64 v75, v[38:39] offset:27584
	ds_load_b64 v[38:39], v74 offset:29104
	s_wait_dscnt 0x0
	ds_store_b64 v75, v[38:39] offset:28096
	ds_load_b64 v[38:39], v74 offset:29112
	s_wait_dscnt 0x0
	ds_store_b64 v75, v[38:39] offset:28608
.LBB138_171:                            ;   in Loop: Header=BB138_3 Depth=1
	s_or_b32 exec_lo, exec_lo, s10
	s_wait_dscnt 0x0
	s_barrier_signal -1
	s_barrier_wait -1
	s_and_saveexec_b32 s10, s14
	s_cbranch_execz .LBB138_173
; %bb.172:                              ;   in Loop: Header=BB138_3 Depth=1
	ds_load_b128 v[38:41], v1 offset:28592
	ds_load_b64 v[42:43], v1 offset:28080
	v_add_nc_u32_e64 v0, 0x6800, 0
	s_wait_dscnt 0x0
	v_mul_f64_e32 v[40:41], v[42:43], v[40:41]
	s_delay_alu instid0(VALU_DEP_1)
	v_mul_f64_e32 v[38:39], v[38:39], v[40:41]
	ds_store_2addr_b64 v0, v[38:39], v[38:39] offset0:183 offset1:246
.LBB138_173:                            ;   in Loop: Header=BB138_3 Depth=1
	s_or_b32 exec_lo, exec_lo, s10
	v_mov_b64_e32 v[38:39], 0
	s_wait_dscnt 0x0
	s_barrier_signal -1
	s_barrier_wait -1
	global_wb scope:SCOPE_DEV
	s_wait_storecnt 0x0
	global_inv scope:SCOPE_DEV
	s_and_saveexec_b32 s10, s1
	s_cbranch_execz .LBB138_177
; %bb.174:                              ;   in Loop: Header=BB138_3 Depth=1
	ds_load_b64 v[38:39], v47 offset:28064
	ds_load_b64 v[40:41], v46 offset:28592
	s_wait_dscnt 0x0
	v_fma_f64 v[38:39], v[38:39], v[40:41], 0
	s_and_saveexec_b32 s11, s15
	s_cbranch_execz .LBB138_176
; %bb.175:                              ;   in Loop: Header=BB138_3 Depth=1
	ds_load_b64 v[40:41], v75 offset:28576
	ds_load_b64 v[42:43], v1 offset:28600
	s_wait_dscnt 0x0
	v_fmac_f64_e32 v[38:39], v[40:41], v[42:43]
.LBB138_176:                            ;   in Loop: Header=BB138_3 Depth=1
	s_or_b32 exec_lo, exec_lo, s11
.LBB138_177:                            ;   in Loop: Header=BB138_3 Depth=1
	s_delay_alu instid0(SALU_CYCLE_1)
	s_or_b32 exec_lo, exec_lo, s10
	s_and_saveexec_b32 s10, s90
	s_cbranch_execz .LBB138_179
; %bb.178:                              ;   in Loop: Header=BB138_3 Depth=1
	ds_load_b64 v[40:41], v1 offset:27560
	s_wait_dscnt 0x0
	v_mul_f64_e32 v[38:39], v[38:39], v[40:41]
	s_delay_alu instid0(VALU_DEP_1) | instskip(NEXT) | instid1(VALU_DEP_2)
	v_xor_b32_e32 v41, 0x80000000, v39
	v_mov_b32_e32 v40, v38
	ds_store_b64 v3, v[40:41]
.LBB138_179:                            ;   in Loop: Header=BB138_3 Depth=1
	s_or_b32 exec_lo, exec_lo, s10
	s_wait_loadcnt_dscnt 0x0
	s_barrier_signal -1
	s_barrier_wait -1
	s_and_saveexec_b32 s10, s91
	s_cbranch_execz .LBB138_181
; %bb.180:                              ;   in Loop: Header=BB138_3 Depth=1
	ds_load_b64 v[40:41], v1 offset:27552
	ds_load_b64 v[42:43], v3
	s_wait_dscnt 0x0
	v_fma_f64 v[38:39], -v[40:41], v[42:43], v[38:39]
.LBB138_181:                            ;   in Loop: Header=BB138_3 Depth=1
	s_or_b32 exec_lo, exec_lo, s10
	s_barrier_signal -1
	s_barrier_wait -1
	s_and_saveexec_b32 s10, s91
	s_cbranch_execz .LBB138_183
; %bb.182:                              ;   in Loop: Header=BB138_3 Depth=1
	ds_load_b64 v[40:41], v1 offset:27040
	s_wait_dscnt 0x0
	v_mul_f64_e32 v[38:39], v[38:39], v[40:41]
	s_delay_alu instid0(VALU_DEP_1) | instskip(NEXT) | instid1(VALU_DEP_2)
	v_xor_b32_e32 v41, 0x80000000, v39
	v_mov_b32_e32 v40, v38
	ds_store_b64 v3, v[40:41]
.LBB138_183:                            ;   in Loop: Header=BB138_3 Depth=1
	s_or_b32 exec_lo, exec_lo, s10
	s_wait_dscnt 0x0
	s_barrier_signal -1
	s_barrier_wait -1
	s_barrier_signal -1
	s_barrier_wait -1
	s_and_saveexec_b32 s10, s1
; %bb.184:                              ;   in Loop: Header=BB138_3 Depth=1
	ds_store_b64 v49, v[38:39] offset:28576
; %bb.185:                              ;   in Loop: Header=BB138_3 Depth=1
	s_or_b32 exec_lo, exec_lo, s10
	s_wait_dscnt 0x0
	s_barrier_signal -1
	s_barrier_wait -1
	s_barrier_signal -1
	s_barrier_wait -1
	s_and_saveexec_b32 s10, s92
	s_cbranch_execz .LBB138_187
; %bb.186:                              ;   in Loop: Header=BB138_3 Depth=1
	ds_load_b64 v[38:39], v76 offset:28064
	s_wait_dscnt 0x0
	ds_store_b64 v75, v[38:39] offset:27056
	ds_load_b64 v[38:39], v76 offset:28072
	s_wait_dscnt 0x0
	ds_store_b64 v75, v[38:39] offset:27568
.LBB138_187:                            ;   in Loop: Header=BB138_3 Depth=1
	s_or_b32 exec_lo, exec_lo, s10
	s_wait_dscnt 0x0
	s_barrier_signal -1
	s_barrier_wait -1
	s_and_saveexec_b32 s10, s14
	s_cbranch_execz .LBB138_189
; %bb.188:                              ;   in Loop: Header=BB138_3 Depth=1
	ds_load_b128 v[38:41], v1 offset:27552
	ds_load_b64 v[42:43], v1 offset:27040
	v_add_nc_u32_e64 v0, 0x6800, 0
	s_wait_dscnt 0x0
	v_mul_f64_e32 v[40:41], v[42:43], v[40:41]
	s_delay_alu instid0(VALU_DEP_1)
	v_mul_f64_e32 v[38:39], v[38:39], v[40:41]
	ds_store_2addr_b64 v0, v[38:39], v[38:39] offset0:53 offset1:116
.LBB138_189:                            ;   in Loop: Header=BB138_3 Depth=1
	s_or_b32 exec_lo, exec_lo, s10
	v_mov_b64_e32 v[38:39], 0
	s_wait_dscnt 0x0
	s_barrier_signal -1
	s_barrier_wait -1
	global_wb scope:SCOPE_DEV
	s_wait_storecnt 0x0
	global_inv scope:SCOPE_DEV
	s_and_saveexec_b32 s10, s3
	s_cbranch_execz .LBB138_195
; %bb.190:                              ;   in Loop: Header=BB138_3 Depth=1
	ds_load_b64 v[38:39], v53 offset:27008
	ds_load_b64 v[40:41], v52 offset:28576
	s_wait_dscnt 0x0
	v_fma_f64 v[38:39], v[38:39], v[40:41], 0
	s_and_saveexec_b32 s11, s16
	s_cbranch_execnz .LBB138_1107
; %bb.191:                              ;   in Loop: Header=BB138_3 Depth=1
	s_or_b32 exec_lo, exec_lo, s11
	s_and_saveexec_b32 s11, s17
	s_cbranch_execnz .LBB138_1108
.LBB138_192:                            ;   in Loop: Header=BB138_3 Depth=1
	s_or_b32 exec_lo, exec_lo, s11
	s_and_saveexec_b32 s11, s1
	s_cbranch_execz .LBB138_194
.LBB138_193:                            ;   in Loop: Header=BB138_3 Depth=1
	ds_load_b64 v[40:41], v78 offset:28544
	ds_load_b64 v[42:43], v1 offset:28600
	s_wait_dscnt 0x0
	v_fmac_f64_e32 v[38:39], v[40:41], v[42:43]
.LBB138_194:                            ;   in Loop: Header=BB138_3 Depth=1
	s_or_b32 exec_lo, exec_lo, s11
.LBB138_195:                            ;   in Loop: Header=BB138_3 Depth=1
	s_delay_alu instid0(SALU_CYCLE_1)
	s_or_b32 exec_lo, exec_lo, s10
	s_and_saveexec_b32 s10, s93
	s_cbranch_execz .LBB138_197
; %bb.196:                              ;   in Loop: Header=BB138_3 Depth=1
	ds_load_b64 v[40:41], v1 offset:26520
	s_wait_dscnt 0x0
	v_mul_f64_e32 v[38:39], v[38:39], v[40:41]
	s_delay_alu instid0(VALU_DEP_1) | instskip(NEXT) | instid1(VALU_DEP_2)
	v_xor_b32_e32 v41, 0x80000000, v39
	v_mov_b32_e32 v40, v38
	ds_store_b64 v51, v[40:41]
.LBB138_197:                            ;   in Loop: Header=BB138_3 Depth=1
	s_or_b32 exec_lo, exec_lo, s10
	s_wait_loadcnt_dscnt 0x0
	s_barrier_signal -1
	s_barrier_wait -1
	s_and_saveexec_b32 s10, s94
	s_cbranch_execz .LBB138_199
; %bb.198:                              ;   in Loop: Header=BB138_3 Depth=1
	ds_load_b64 v[40:41], v53 offset:26496
	ds_load_b64 v[42:43], v51
	s_wait_dscnt 0x0
	v_fma_f64 v[38:39], -v[40:41], v[42:43], v[38:39]
.LBB138_199:                            ;   in Loop: Header=BB138_3 Depth=1
	s_or_b32 exec_lo, exec_lo, s10
	s_barrier_signal -1
	s_barrier_wait -1
	s_and_saveexec_b32 s10, s95
	s_cbranch_execz .LBB138_201
; %bb.200:                              ;   in Loop: Header=BB138_3 Depth=1
	ds_load_b64 v[40:41], v1 offset:26000
	s_wait_dscnt 0x0
	v_mul_f64_e32 v[38:39], v[38:39], v[40:41]
	s_delay_alu instid0(VALU_DEP_1) | instskip(NEXT) | instid1(VALU_DEP_2)
	v_xor_b32_e32 v41, 0x80000000, v39
	v_mov_b32_e32 v40, v38
	ds_store_b64 v51, v[40:41]
.LBB138_201:                            ;   in Loop: Header=BB138_3 Depth=1
	s_or_b32 exec_lo, exec_lo, s10
	s_wait_dscnt 0x0
	s_barrier_signal -1
	s_barrier_wait -1
	s_and_saveexec_b32 s10, s96
	s_cbranch_execz .LBB138_203
; %bb.202:                              ;   in Loop: Header=BB138_3 Depth=1
	ds_load_b64 v[40:41], v53 offset:25984
	ds_load_b64 v[42:43], v51
	s_wait_dscnt 0x0
	v_fma_f64 v[38:39], -v[40:41], v[42:43], v[38:39]
.LBB138_203:                            ;   in Loop: Header=BB138_3 Depth=1
	s_or_b32 exec_lo, exec_lo, s10
	s_barrier_signal -1
	s_barrier_wait -1
	s_and_saveexec_b32 s10, s97
	s_cbranch_execz .LBB138_205
; %bb.204:                              ;   in Loop: Header=BB138_3 Depth=1
	ds_load_b64 v[40:41], v1 offset:25480
	s_wait_dscnt 0x0
	v_mul_f64_e32 v[38:39], v[38:39], v[40:41]
	s_delay_alu instid0(VALU_DEP_1) | instskip(NEXT) | instid1(VALU_DEP_2)
	v_xor_b32_e32 v41, 0x80000000, v39
	v_mov_b32_e32 v40, v38
	ds_store_b64 v51, v[40:41]
.LBB138_205:                            ;   in Loop: Header=BB138_3 Depth=1
	s_or_b32 exec_lo, exec_lo, s10
	s_wait_dscnt 0x0
	;; [unrolled: 26-line block ×3, first 2 shown]
	s_barrier_signal -1
	s_barrier_wait -1
	s_barrier_signal -1
	s_barrier_wait -1
	s_and_saveexec_b32 s10, s3
; %bb.210:                              ;   in Loop: Header=BB138_3 Depth=1
	ds_store_b64 v55, v[38:39] offset:28544
; %bb.211:                              ;   in Loop: Header=BB138_3 Depth=1
	s_or_b32 exec_lo, exec_lo, s10
	s_wait_dscnt 0x0
	s_barrier_signal -1
	s_barrier_wait -1
	s_barrier_signal -1
	s_barrier_wait -1
	s_and_saveexec_b32 s10, s99
	s_cbranch_execz .LBB138_213
; %bb.212:                              ;   in Loop: Header=BB138_3 Depth=1
	ds_load_b64 v[38:39], v80 offset:27008
	s_wait_dscnt 0x0
	ds_store_b64 v83, v[38:39] offset:24992
	ds_load_b64 v[38:39], v80 offset:27016
	s_wait_dscnt 0x0
	ds_store_b64 v83, v[38:39] offset:25504
	;; [unrolled: 3-line block ×4, first 2 shown]
.LBB138_213:                            ;   in Loop: Header=BB138_3 Depth=1
	s_or_b32 exec_lo, exec_lo, s10
	s_wait_dscnt 0x0
	s_barrier_signal -1
	s_barrier_wait -1
	s_and_saveexec_b32 s10, s14
	s_cbranch_execz .LBB138_215
; %bb.214:                              ;   in Loop: Header=BB138_3 Depth=1
	ds_load_b128 v[38:41], v1 offset:26512
	ds_load_b64 v[42:43], v1 offset:26000
	v_add_nc_u32_e64 v0, 0x6000, 0
	s_wait_dscnt 0x0
	v_mul_f64_e32 v[40:41], v[42:43], v[40:41]
	s_delay_alu instid0(VALU_DEP_1)
	v_mul_f64_e32 v[38:39], v[38:39], v[40:41]
	ds_store_2addr_b64 v0, v[38:39], v[38:39] offset0:179 offset1:242
.LBB138_215:                            ;   in Loop: Header=BB138_3 Depth=1
	s_or_b32 exec_lo, exec_lo, s10
	v_mov_b64_e32 v[38:39], 0
	s_wait_dscnt 0x0
	s_barrier_signal -1
	s_barrier_wait -1
	global_wb scope:SCOPE_DEV
	s_wait_storecnt 0x0
	global_inv scope:SCOPE_DEV
	s_and_saveexec_b32 s10, s1
	s_cbranch_execz .LBB138_219
; %bb.216:                              ;   in Loop: Header=BB138_3 Depth=1
	ds_load_b64 v[38:39], v47 offset:25984
	ds_load_b64 v[40:41], v46 offset:26512
	s_wait_dscnt 0x0
	v_fma_f64 v[38:39], v[38:39], v[40:41], 0
	s_and_saveexec_b32 s11, s15
	s_cbranch_execz .LBB138_218
; %bb.217:                              ;   in Loop: Header=BB138_3 Depth=1
	ds_load_b64 v[40:41], v83 offset:26496
	ds_load_b64 v[42:43], v1 offset:26520
	s_wait_dscnt 0x0
	v_fmac_f64_e32 v[38:39], v[40:41], v[42:43]
.LBB138_218:                            ;   in Loop: Header=BB138_3 Depth=1
	s_or_b32 exec_lo, exec_lo, s11
.LBB138_219:                            ;   in Loop: Header=BB138_3 Depth=1
	s_delay_alu instid0(SALU_CYCLE_1)
	s_or_b32 exec_lo, exec_lo, s10
	s_and_saveexec_b32 s10, s90
	s_cbranch_execz .LBB138_221
; %bb.220:                              ;   in Loop: Header=BB138_3 Depth=1
	ds_load_b64 v[40:41], v1 offset:25480
	s_wait_dscnt 0x0
	v_mul_f64_e32 v[38:39], v[38:39], v[40:41]
	s_delay_alu instid0(VALU_DEP_1) | instskip(NEXT) | instid1(VALU_DEP_2)
	v_xor_b32_e32 v41, 0x80000000, v39
	v_mov_b32_e32 v40, v38
	ds_store_b64 v3, v[40:41]
.LBB138_221:                            ;   in Loop: Header=BB138_3 Depth=1
	s_or_b32 exec_lo, exec_lo, s10
	s_wait_loadcnt_dscnt 0x0
	s_barrier_signal -1
	s_barrier_wait -1
	s_and_saveexec_b32 s10, s91
	s_cbranch_execz .LBB138_223
; %bb.222:                              ;   in Loop: Header=BB138_3 Depth=1
	ds_load_b64 v[40:41], v1 offset:25472
	ds_load_b64 v[42:43], v3
	s_wait_dscnt 0x0
	v_fma_f64 v[38:39], -v[40:41], v[42:43], v[38:39]
.LBB138_223:                            ;   in Loop: Header=BB138_3 Depth=1
	s_or_b32 exec_lo, exec_lo, s10
	s_barrier_signal -1
	s_barrier_wait -1
	s_and_saveexec_b32 s10, s91
	s_cbranch_execz .LBB138_225
; %bb.224:                              ;   in Loop: Header=BB138_3 Depth=1
	ds_load_b64 v[40:41], v1 offset:24960
	s_wait_dscnt 0x0
	v_mul_f64_e32 v[38:39], v[38:39], v[40:41]
	s_delay_alu instid0(VALU_DEP_1) | instskip(NEXT) | instid1(VALU_DEP_2)
	v_xor_b32_e32 v41, 0x80000000, v39
	v_mov_b32_e32 v40, v38
	ds_store_b64 v3, v[40:41]
.LBB138_225:                            ;   in Loop: Header=BB138_3 Depth=1
	s_or_b32 exec_lo, exec_lo, s10
	s_wait_dscnt 0x0
	s_barrier_signal -1
	s_barrier_wait -1
	s_barrier_signal -1
	s_barrier_wait -1
	s_and_saveexec_b32 s10, s1
; %bb.226:                              ;   in Loop: Header=BB138_3 Depth=1
	ds_store_b64 v49, v[38:39] offset:26496
; %bb.227:                              ;   in Loop: Header=BB138_3 Depth=1
	s_or_b32 exec_lo, exec_lo, s10
	s_wait_dscnt 0x0
	s_barrier_signal -1
	s_barrier_wait -1
	s_barrier_signal -1
	s_barrier_wait -1
	s_and_saveexec_b32 s10, s92
	s_cbranch_execz .LBB138_229
; %bb.228:                              ;   in Loop: Header=BB138_3 Depth=1
	ds_load_b64 v[38:39], v85 offset:25984
	s_wait_dscnt 0x0
	ds_store_b64 v83, v[38:39] offset:24976
	ds_load_b64 v[38:39], v85 offset:25992
	s_wait_dscnt 0x0
	ds_store_b64 v83, v[38:39] offset:25488
.LBB138_229:                            ;   in Loop: Header=BB138_3 Depth=1
	s_or_b32 exec_lo, exec_lo, s10
	s_wait_dscnt 0x0
	s_barrier_signal -1
	s_barrier_wait -1
	s_and_saveexec_b32 s10, s14
	s_cbranch_execz .LBB138_231
; %bb.230:                              ;   in Loop: Header=BB138_3 Depth=1
	ds_load_b128 v[38:41], v1 offset:25472
	ds_load_b64 v[42:43], v1 offset:24960
	v_add_nc_u32_e64 v0, 0x6000, 0
	s_wait_dscnt 0x0
	v_mul_f64_e32 v[40:41], v[42:43], v[40:41]
	s_delay_alu instid0(VALU_DEP_1)
	v_mul_f64_e32 v[38:39], v[38:39], v[40:41]
	ds_store_2addr_b64 v0, v[38:39], v[38:39] offset0:49 offset1:112
.LBB138_231:                            ;   in Loop: Header=BB138_3 Depth=1
	s_or_b32 exec_lo, exec_lo, s10
	v_mov_b64_e32 v[38:39], 0
	s_wait_dscnt 0x0
	s_barrier_signal -1
	s_barrier_wait -1
	global_wb scope:SCOPE_DEV
	s_wait_storecnt 0x0
	global_inv scope:SCOPE_DEV
	s_and_saveexec_b32 s65, s5
	s_cbranch_execz .LBB138_259
; %bb.232:                              ;   in Loop: Header=BB138_3 Depth=1
	ds_load_b64 v[38:39], v63 offset:24832
	ds_load_b64 v[40:41], v62 offset:32640
	s_wait_dscnt 0x0
	v_fma_f64 v[38:39], v[38:39], v[40:41], 0
	s_mov_b32 s10, exec_lo
	v_readlane_b32 s11, v101, 23
	s_and_b32 s11, s10, s11
	s_delay_alu instid0(SALU_CYCLE_1)
	s_mov_b32 exec_lo, s11
	s_cbranch_execz .LBB138_234
; %bb.233:                              ;   in Loop: Header=BB138_3 Depth=1
	ds_load_b64 v[40:41], v63 offset:25344
	ds_load_b64 v[42:43], v62 offset:32648
	s_wait_dscnt 0x0
	v_fmac_f64_e32 v[38:39], v[40:41], v[42:43]
.LBB138_234:                            ;   in Loop: Header=BB138_3 Depth=1
	s_or_b32 exec_lo, exec_lo, s10
	s_delay_alu instid0(SALU_CYCLE_1) | instskip(SKIP_2) | instid1(SALU_CYCLE_1)
	s_mov_b32 s10, exec_lo
	v_readlane_b32 s11, v101, 24
	s_and_b32 s11, s10, s11
	s_mov_b32 exec_lo, s11
	s_cbranch_execz .LBB138_236
; %bb.235:                              ;   in Loop: Header=BB138_3 Depth=1
	ds_load_b64 v[40:41], v63 offset:25856
	ds_load_b64 v[42:43], v62 offset:32656
	s_wait_dscnt 0x0
	v_fmac_f64_e32 v[38:39], v[40:41], v[42:43]
.LBB138_236:                            ;   in Loop: Header=BB138_3 Depth=1
	s_or_b32 exec_lo, exec_lo, s10
	s_delay_alu instid0(SALU_CYCLE_1) | instskip(SKIP_2) | instid1(SALU_CYCLE_1)
	s_mov_b32 s10, exec_lo
	v_readlane_b32 s11, v101, 25
	s_and_b32 s11, s10, s11
	;; [unrolled: 13-line block ×10, first 2 shown]
	s_mov_b32 exec_lo, s11
	s_cbranch_execnz .LBB138_1109
; %bb.253:                              ;   in Loop: Header=BB138_3 Depth=1
	s_or_b32 exec_lo, exec_lo, s10
	s_and_saveexec_b32 s10, s4
	s_cbranch_execnz .LBB138_1110
.LBB138_254:                            ;   in Loop: Header=BB138_3 Depth=1
	s_or_b32 exec_lo, exec_lo, s10
	s_and_saveexec_b32 s10, s19
	s_cbranch_execnz .LBB138_1111
.LBB138_255:                            ;   in Loop: Header=BB138_3 Depth=1
	s_or_b32 exec_lo, exec_lo, s10
	s_and_saveexec_b32 s10, s21
	s_cbranch_execnz .LBB138_1112
.LBB138_256:                            ;   in Loop: Header=BB138_3 Depth=1
	s_or_b32 exec_lo, exec_lo, s10
	s_and_saveexec_b32 s10, s3
	s_cbranch_execz .LBB138_258
.LBB138_257:                            ;   in Loop: Header=BB138_3 Depth=1
	ds_load_b64 v[40:41], v48 offset:32512
	ds_load_b64 v[42:43], v1 offset:32760
	s_wait_dscnt 0x0
	v_fmac_f64_e32 v[38:39], v[40:41], v[42:43]
.LBB138_258:                            ;   in Loop: Header=BB138_3 Depth=1
	s_or_b32 exec_lo, exec_lo, s10
.LBB138_259:                            ;   in Loop: Header=BB138_3 Depth=1
	s_delay_alu instid0(SALU_CYCLE_1) | instskip(NEXT) | instid1(SALU_CYCLE_1)
	s_or_b32 exec_lo, exec_lo, s65
	s_mov_b32 s10, exec_lo
	v_readlane_b32 s11, v101, 2
	s_and_b32 s11, s10, s11
	s_delay_alu instid0(SALU_CYCLE_1)
	s_mov_b32 exec_lo, s11
	s_cbranch_execz .LBB138_261
; %bb.260:                              ;   in Loop: Header=BB138_3 Depth=1
	ds_load_b64 v[40:41], v1 offset:24440
	s_wait_dscnt 0x0
	v_mul_f64_e32 v[38:39], v[38:39], v[40:41]
	s_delay_alu instid0(VALU_DEP_1) | instskip(NEXT) | instid1(VALU_DEP_2)
	v_xor_b32_e32 v41, 0x80000000, v39
	v_mov_b32_e32 v40, v38
	ds_store_b64 v61, v[40:41]
.LBB138_261:                            ;   in Loop: Header=BB138_3 Depth=1
	s_or_b32 exec_lo, exec_lo, s10
	s_wait_loadcnt_dscnt 0x0
	s_barrier_signal -1
	s_barrier_wait -1
	s_mov_b32 s10, exec_lo
	v_readlane_b32 s11, v101, 3
	s_and_b32 s11, s10, s11
	s_delay_alu instid0(SALU_CYCLE_1)
	s_mov_b32 exec_lo, s11
	s_cbranch_execz .LBB138_263
; %bb.262:                              ;   in Loop: Header=BB138_3 Depth=1
	ds_load_b64 v[40:41], v63 offset:24320
	ds_load_b64 v[42:43], v61
	s_wait_dscnt 0x0
	v_fma_f64 v[38:39], -v[40:41], v[42:43], v[38:39]
.LBB138_263:                            ;   in Loop: Header=BB138_3 Depth=1
	s_or_b32 exec_lo, exec_lo, s10
	s_barrier_signal -1
	s_barrier_wait -1
	s_mov_b32 s10, exec_lo
	v_readlane_b32 s11, v101, 4
	s_and_b32 s11, s10, s11
	s_delay_alu instid0(SALU_CYCLE_1)
	s_mov_b32 exec_lo, s11
	s_cbranch_execz .LBB138_265
; %bb.264:                              ;   in Loop: Header=BB138_3 Depth=1
	ds_load_b64 v[40:41], v1 offset:23920
	s_wait_dscnt 0x0
	v_mul_f64_e32 v[38:39], v[38:39], v[40:41]
	s_delay_alu instid0(VALU_DEP_1) | instskip(NEXT) | instid1(VALU_DEP_2)
	v_xor_b32_e32 v41, 0x80000000, v39
	v_mov_b32_e32 v40, v38
	ds_store_b64 v61, v[40:41]
.LBB138_265:                            ;   in Loop: Header=BB138_3 Depth=1
	s_or_b32 exec_lo, exec_lo, s10
	s_wait_dscnt 0x0
	s_barrier_signal -1
	s_barrier_wait -1
	s_and_saveexec_b32 s10, s48
	s_cbranch_execz .LBB138_267
; %bb.266:                              ;   in Loop: Header=BB138_3 Depth=1
	ds_load_b64 v[40:41], v63 offset:23808
	ds_load_b64 v[42:43], v61
	s_wait_dscnt 0x0
	v_fma_f64 v[38:39], -v[40:41], v[42:43], v[38:39]
.LBB138_267:                            ;   in Loop: Header=BB138_3 Depth=1
	s_or_b32 exec_lo, exec_lo, s10
	s_barrier_signal -1
	s_barrier_wait -1
	s_and_saveexec_b32 s10, s49
	s_cbranch_execz .LBB138_269
; %bb.268:                              ;   in Loop: Header=BB138_3 Depth=1
	ds_load_b64 v[40:41], v1 offset:23400
	s_wait_dscnt 0x0
	v_mul_f64_e32 v[38:39], v[38:39], v[40:41]
	s_delay_alu instid0(VALU_DEP_1) | instskip(NEXT) | instid1(VALU_DEP_2)
	v_xor_b32_e32 v41, 0x80000000, v39
	v_mov_b32_e32 v40, v38
	ds_store_b64 v61, v[40:41]
.LBB138_269:                            ;   in Loop: Header=BB138_3 Depth=1
	s_or_b32 exec_lo, exec_lo, s10
	s_wait_dscnt 0x0
	s_barrier_signal -1
	s_barrier_wait -1
	s_and_saveexec_b32 s10, s50
	s_cbranch_execz .LBB138_271
; %bb.270:                              ;   in Loop: Header=BB138_3 Depth=1
	ds_load_b64 v[40:41], v63 offset:23296
	ds_load_b64 v[42:43], v61
	s_wait_dscnt 0x0
	v_fma_f64 v[38:39], -v[40:41], v[42:43], v[38:39]
.LBB138_271:                            ;   in Loop: Header=BB138_3 Depth=1
	s_or_b32 exec_lo, exec_lo, s10
	s_barrier_signal -1
	s_barrier_wait -1
	s_and_saveexec_b32 s10, s51
	;; [unrolled: 26-line block ×14, first 2 shown]
	s_cbranch_execz .LBB138_321
; %bb.320:                              ;   in Loop: Header=BB138_3 Depth=1
	ds_load_b64 v[40:41], v1 offset:16640
	s_wait_dscnt 0x0
	v_mul_f64_e32 v[38:39], v[38:39], v[40:41]
	s_delay_alu instid0(VALU_DEP_1) | instskip(NEXT) | instid1(VALU_DEP_2)
	v_xor_b32_e32 v41, 0x80000000, v39
	v_mov_b32_e32 v40, v38
	ds_store_b64 v61, v[40:41]
.LBB138_321:                            ;   in Loop: Header=BB138_3 Depth=1
	s_or_b32 exec_lo, exec_lo, s10
	s_wait_dscnt 0x0
	s_barrier_signal -1
	s_barrier_wait -1
	s_barrier_signal -1
	s_barrier_wait -1
	s_and_saveexec_b32 s10, s5
; %bb.322:                              ;   in Loop: Header=BB138_3 Depth=1
	ds_store_b64 v65, v[38:39] offset:32512
; %bb.323:                              ;   in Loop: Header=BB138_3 Depth=1
	s_or_b32 exec_lo, exec_lo, s10
	s_wait_dscnt 0x0
	s_barrier_signal -1
	s_barrier_wait -1
	s_barrier_signal -1
	s_barrier_wait -1
	s_and_saveexec_b32 s10, s84
	s_cbranch_execz .LBB138_325
; %bb.324:                              ;   in Loop: Header=BB138_3 Depth=1
	ds_load_b64 v[38:39], v50 offset:24832
	s_wait_dscnt 0x0
	ds_store_b64 v54, v[38:39] offset:16768
	ds_load_b64 v[38:39], v50 offset:24840
	s_wait_dscnt 0x0
	ds_store_b64 v54, v[38:39] offset:17280
	;; [unrolled: 3-line block ×16, first 2 shown]
.LBB138_325:                            ;   in Loop: Header=BB138_3 Depth=1
	s_or_b32 exec_lo, exec_lo, s10
	s_wait_dscnt 0x0
	s_barrier_signal -1
	s_barrier_wait -1
	s_and_saveexec_b32 s10, s14
	s_cbranch_execz .LBB138_327
; %bb.326:                              ;   in Loop: Header=BB138_3 Depth=1
	ds_load_b128 v[38:41], v1 offset:24432
	ds_load_b64 v[42:43], v1 offset:23920
	v_add_nc_u32_e64 v0, 0x5800, 0
	s_wait_dscnt 0x0
	v_mul_f64_e32 v[40:41], v[42:43], v[40:41]
	s_delay_alu instid0(VALU_DEP_1)
	v_mul_f64_e32 v[38:39], v[38:39], v[40:41]
	ds_store_2addr_b64 v0, v[38:39], v[38:39] offset0:175 offset1:238
.LBB138_327:                            ;   in Loop: Header=BB138_3 Depth=1
	s_or_b32 exec_lo, exec_lo, s10
	v_mov_b64_e32 v[38:39], 0
	s_wait_dscnt 0x0
	s_barrier_signal -1
	s_barrier_wait -1
	global_wb scope:SCOPE_DEV
	s_wait_storecnt 0x0
	global_inv scope:SCOPE_DEV
	s_and_saveexec_b32 s10, s1
	s_cbranch_execz .LBB138_331
; %bb.328:                              ;   in Loop: Header=BB138_3 Depth=1
	ds_load_b64 v[38:39], v47 offset:23904
	ds_load_b64 v[40:41], v46 offset:24432
	s_wait_dscnt 0x0
	v_fma_f64 v[38:39], v[38:39], v[40:41], 0
	s_and_saveexec_b32 s11, s15
	s_cbranch_execz .LBB138_330
; %bb.329:                              ;   in Loop: Header=BB138_3 Depth=1
	ds_load_b64 v[40:41], v48 offset:24416
	ds_load_b64 v[42:43], v1 offset:24440
	s_wait_dscnt 0x0
	v_fmac_f64_e32 v[38:39], v[40:41], v[42:43]
.LBB138_330:                            ;   in Loop: Header=BB138_3 Depth=1
	s_or_b32 exec_lo, exec_lo, s11
.LBB138_331:                            ;   in Loop: Header=BB138_3 Depth=1
	s_delay_alu instid0(SALU_CYCLE_1)
	s_or_b32 exec_lo, exec_lo, s10
	s_and_saveexec_b32 s10, s90
	s_cbranch_execz .LBB138_333
; %bb.332:                              ;   in Loop: Header=BB138_3 Depth=1
	ds_load_b64 v[40:41], v1 offset:23400
	s_wait_dscnt 0x0
	v_mul_f64_e32 v[38:39], v[38:39], v[40:41]
	s_delay_alu instid0(VALU_DEP_1) | instskip(NEXT) | instid1(VALU_DEP_2)
	v_xor_b32_e32 v41, 0x80000000, v39
	v_mov_b32_e32 v40, v38
	ds_store_b64 v3, v[40:41]
.LBB138_333:                            ;   in Loop: Header=BB138_3 Depth=1
	s_or_b32 exec_lo, exec_lo, s10
	s_wait_loadcnt_dscnt 0x0
	s_barrier_signal -1
	s_barrier_wait -1
	s_and_saveexec_b32 s10, s91
	s_cbranch_execz .LBB138_335
; %bb.334:                              ;   in Loop: Header=BB138_3 Depth=1
	ds_load_b64 v[40:41], v1 offset:23392
	ds_load_b64 v[42:43], v3
	s_wait_dscnt 0x0
	v_fma_f64 v[38:39], -v[40:41], v[42:43], v[38:39]
.LBB138_335:                            ;   in Loop: Header=BB138_3 Depth=1
	s_or_b32 exec_lo, exec_lo, s10
	s_barrier_signal -1
	s_barrier_wait -1
	s_and_saveexec_b32 s10, s91
	s_cbranch_execz .LBB138_337
; %bb.336:                              ;   in Loop: Header=BB138_3 Depth=1
	ds_load_b64 v[40:41], v1 offset:22880
	s_wait_dscnt 0x0
	v_mul_f64_e32 v[38:39], v[38:39], v[40:41]
	s_delay_alu instid0(VALU_DEP_1) | instskip(NEXT) | instid1(VALU_DEP_2)
	v_xor_b32_e32 v41, 0x80000000, v39
	v_mov_b32_e32 v40, v38
	ds_store_b64 v3, v[40:41]
.LBB138_337:                            ;   in Loop: Header=BB138_3 Depth=1
	s_or_b32 exec_lo, exec_lo, s10
	s_wait_dscnt 0x0
	s_barrier_signal -1
	s_barrier_wait -1
	s_barrier_signal -1
	s_barrier_wait -1
	s_and_saveexec_b32 s10, s1
; %bb.338:                              ;   in Loop: Header=BB138_3 Depth=1
	ds_store_b64 v49, v[38:39] offset:24416
; %bb.339:                              ;   in Loop: Header=BB138_3 Depth=1
	s_or_b32 exec_lo, exec_lo, s10
	s_wait_dscnt 0x0
	s_barrier_signal -1
	s_barrier_wait -1
	s_barrier_signal -1
	s_barrier_wait -1
	s_and_saveexec_b32 s10, s92
	s_cbranch_execz .LBB138_341
; %bb.340:                              ;   in Loop: Header=BB138_3 Depth=1
	ds_load_b64 v[38:39], v50 offset:23904
	s_wait_dscnt 0x0
	ds_store_b64 v48, v[38:39] offset:22896
	ds_load_b64 v[38:39], v50 offset:23912
	s_wait_dscnt 0x0
	ds_store_b64 v48, v[38:39] offset:23408
.LBB138_341:                            ;   in Loop: Header=BB138_3 Depth=1
	s_or_b32 exec_lo, exec_lo, s10
	s_wait_dscnt 0x0
	s_barrier_signal -1
	s_barrier_wait -1
	s_and_saveexec_b32 s10, s14
	s_cbranch_execz .LBB138_343
; %bb.342:                              ;   in Loop: Header=BB138_3 Depth=1
	ds_load_b128 v[38:41], v1 offset:23392
	ds_load_b64 v[42:43], v1 offset:22880
	v_add_nc_u32_e64 v0, 0x5800, 0
	s_wait_dscnt 0x0
	v_mul_f64_e32 v[40:41], v[42:43], v[40:41]
	s_delay_alu instid0(VALU_DEP_1)
	v_mul_f64_e32 v[38:39], v[38:39], v[40:41]
	ds_store_2addr_b64 v0, v[38:39], v[38:39] offset0:45 offset1:108
.LBB138_343:                            ;   in Loop: Header=BB138_3 Depth=1
	s_or_b32 exec_lo, exec_lo, s10
	v_mov_b64_e32 v[38:39], 0
	s_wait_dscnt 0x0
	s_barrier_signal -1
	s_barrier_wait -1
	global_wb scope:SCOPE_DEV
	s_wait_storecnt 0x0
	global_inv scope:SCOPE_DEV
	s_and_saveexec_b32 s10, s3
	s_cbranch_execz .LBB138_349
; %bb.344:                              ;   in Loop: Header=BB138_3 Depth=1
	ds_load_b64 v[38:39], v53 offset:22848
	ds_load_b64 v[40:41], v52 offset:24416
	s_wait_dscnt 0x0
	v_fma_f64 v[38:39], v[38:39], v[40:41], 0
	s_and_saveexec_b32 s11, s16
	s_cbranch_execnz .LBB138_1113
; %bb.345:                              ;   in Loop: Header=BB138_3 Depth=1
	s_or_b32 exec_lo, exec_lo, s11
	s_and_saveexec_b32 s11, s17
	s_cbranch_execnz .LBB138_1114
.LBB138_346:                            ;   in Loop: Header=BB138_3 Depth=1
	s_or_b32 exec_lo, exec_lo, s11
	s_and_saveexec_b32 s11, s1
	s_cbranch_execz .LBB138_348
.LBB138_347:                            ;   in Loop: Header=BB138_3 Depth=1
	ds_load_b64 v[40:41], v54 offset:24384
	ds_load_b64 v[42:43], v1 offset:24440
	s_wait_dscnt 0x0
	v_fmac_f64_e32 v[38:39], v[40:41], v[42:43]
.LBB138_348:                            ;   in Loop: Header=BB138_3 Depth=1
	s_or_b32 exec_lo, exec_lo, s11
.LBB138_349:                            ;   in Loop: Header=BB138_3 Depth=1
	s_delay_alu instid0(SALU_CYCLE_1)
	s_or_b32 exec_lo, exec_lo, s10
	s_and_saveexec_b32 s10, s93
	s_cbranch_execz .LBB138_351
; %bb.350:                              ;   in Loop: Header=BB138_3 Depth=1
	ds_load_b64 v[40:41], v1 offset:22360
	s_wait_dscnt 0x0
	v_mul_f64_e32 v[38:39], v[38:39], v[40:41]
	s_delay_alu instid0(VALU_DEP_1) | instskip(NEXT) | instid1(VALU_DEP_2)
	v_xor_b32_e32 v41, 0x80000000, v39
	v_mov_b32_e32 v40, v38
	ds_store_b64 v51, v[40:41]
.LBB138_351:                            ;   in Loop: Header=BB138_3 Depth=1
	s_or_b32 exec_lo, exec_lo, s10
	s_wait_loadcnt_dscnt 0x0
	s_barrier_signal -1
	s_barrier_wait -1
	s_and_saveexec_b32 s10, s94
	s_cbranch_execz .LBB138_353
; %bb.352:                              ;   in Loop: Header=BB138_3 Depth=1
	ds_load_b64 v[40:41], v53 offset:22336
	ds_load_b64 v[42:43], v51
	s_wait_dscnt 0x0
	v_fma_f64 v[38:39], -v[40:41], v[42:43], v[38:39]
.LBB138_353:                            ;   in Loop: Header=BB138_3 Depth=1
	s_or_b32 exec_lo, exec_lo, s10
	s_barrier_signal -1
	s_barrier_wait -1
	s_and_saveexec_b32 s10, s95
	s_cbranch_execz .LBB138_355
; %bb.354:                              ;   in Loop: Header=BB138_3 Depth=1
	ds_load_b64 v[40:41], v1 offset:21840
	s_wait_dscnt 0x0
	v_mul_f64_e32 v[38:39], v[38:39], v[40:41]
	s_delay_alu instid0(VALU_DEP_1) | instskip(NEXT) | instid1(VALU_DEP_2)
	v_xor_b32_e32 v41, 0x80000000, v39
	v_mov_b32_e32 v40, v38
	ds_store_b64 v51, v[40:41]
.LBB138_355:                            ;   in Loop: Header=BB138_3 Depth=1
	s_or_b32 exec_lo, exec_lo, s10
	s_wait_dscnt 0x0
	s_barrier_signal -1
	s_barrier_wait -1
	s_and_saveexec_b32 s10, s96
	s_cbranch_execz .LBB138_357
; %bb.356:                              ;   in Loop: Header=BB138_3 Depth=1
	ds_load_b64 v[40:41], v53 offset:21824
	ds_load_b64 v[42:43], v51
	s_wait_dscnt 0x0
	v_fma_f64 v[38:39], -v[40:41], v[42:43], v[38:39]
.LBB138_357:                            ;   in Loop: Header=BB138_3 Depth=1
	s_or_b32 exec_lo, exec_lo, s10
	s_barrier_signal -1
	s_barrier_wait -1
	s_and_saveexec_b32 s10, s97
	s_cbranch_execz .LBB138_359
; %bb.358:                              ;   in Loop: Header=BB138_3 Depth=1
	ds_load_b64 v[40:41], v1 offset:21320
	s_wait_dscnt 0x0
	v_mul_f64_e32 v[38:39], v[38:39], v[40:41]
	s_delay_alu instid0(VALU_DEP_1) | instskip(NEXT) | instid1(VALU_DEP_2)
	v_xor_b32_e32 v41, 0x80000000, v39
	v_mov_b32_e32 v40, v38
	ds_store_b64 v51, v[40:41]
.LBB138_359:                            ;   in Loop: Header=BB138_3 Depth=1
	s_or_b32 exec_lo, exec_lo, s10
	s_wait_dscnt 0x0
	;; [unrolled: 26-line block ×3, first 2 shown]
	s_barrier_signal -1
	s_barrier_wait -1
	s_barrier_signal -1
	s_barrier_wait -1
	s_and_saveexec_b32 s10, s3
; %bb.364:                              ;   in Loop: Header=BB138_3 Depth=1
	ds_store_b64 v55, v[38:39] offset:24384
; %bb.365:                              ;   in Loop: Header=BB138_3 Depth=1
	s_or_b32 exec_lo, exec_lo, s10
	s_wait_dscnt 0x0
	s_barrier_signal -1
	s_barrier_wait -1
	s_barrier_signal -1
	s_barrier_wait -1
	s_and_saveexec_b32 s10, s99
	s_cbranch_execz .LBB138_367
; %bb.366:                              ;   in Loop: Header=BB138_3 Depth=1
	ds_load_b64 v[38:39], v56 offset:22848
	s_wait_dscnt 0x0
	ds_store_b64 v5, v[38:39] offset:20832
	ds_load_b64 v[38:39], v56 offset:22856
	s_wait_dscnt 0x0
	ds_store_b64 v5, v[38:39] offset:21344
	;; [unrolled: 3-line block ×4, first 2 shown]
.LBB138_367:                            ;   in Loop: Header=BB138_3 Depth=1
	s_or_b32 exec_lo, exec_lo, s10
	s_wait_dscnt 0x0
	s_barrier_signal -1
	s_barrier_wait -1
	s_and_saveexec_b32 s10, s14
	s_cbranch_execz .LBB138_369
; %bb.368:                              ;   in Loop: Header=BB138_3 Depth=1
	ds_load_b128 v[38:41], v1 offset:22352
	ds_load_b64 v[42:43], v1 offset:21840
	v_add_nc_u32_e64 v0, 0x5000, 0
	s_wait_dscnt 0x0
	v_mul_f64_e32 v[40:41], v[42:43], v[40:41]
	s_delay_alu instid0(VALU_DEP_1)
	v_mul_f64_e32 v[38:39], v[38:39], v[40:41]
	ds_store_2addr_b64 v0, v[38:39], v[38:39] offset0:171 offset1:234
.LBB138_369:                            ;   in Loop: Header=BB138_3 Depth=1
	s_or_b32 exec_lo, exec_lo, s10
	v_mov_b64_e32 v[38:39], 0
	s_wait_dscnt 0x0
	s_barrier_signal -1
	s_barrier_wait -1
	global_wb scope:SCOPE_DEV
	s_wait_storecnt 0x0
	global_inv scope:SCOPE_DEV
	s_and_saveexec_b32 s10, s1
	s_cbranch_execz .LBB138_373
; %bb.370:                              ;   in Loop: Header=BB138_3 Depth=1
	ds_load_b64 v[38:39], v47 offset:21824
	ds_load_b64 v[40:41], v46 offset:22352
	s_wait_dscnt 0x0
	v_fma_f64 v[38:39], v[38:39], v[40:41], 0
	s_and_saveexec_b32 s11, s15
	s_cbranch_execz .LBB138_372
; %bb.371:                              ;   in Loop: Header=BB138_3 Depth=1
	ds_load_b64 v[40:41], v5 offset:22336
	ds_load_b64 v[42:43], v1 offset:22360
	s_wait_dscnt 0x0
	v_fmac_f64_e32 v[38:39], v[40:41], v[42:43]
.LBB138_372:                            ;   in Loop: Header=BB138_3 Depth=1
	s_or_b32 exec_lo, exec_lo, s11
.LBB138_373:                            ;   in Loop: Header=BB138_3 Depth=1
	s_delay_alu instid0(SALU_CYCLE_1)
	s_or_b32 exec_lo, exec_lo, s10
	s_and_saveexec_b32 s10, s90
	s_cbranch_execz .LBB138_375
; %bb.374:                              ;   in Loop: Header=BB138_3 Depth=1
	ds_load_b64 v[40:41], v1 offset:21320
	s_wait_dscnt 0x0
	v_mul_f64_e32 v[38:39], v[38:39], v[40:41]
	s_delay_alu instid0(VALU_DEP_1) | instskip(NEXT) | instid1(VALU_DEP_2)
	v_xor_b32_e32 v41, 0x80000000, v39
	v_mov_b32_e32 v40, v38
	ds_store_b64 v3, v[40:41]
.LBB138_375:                            ;   in Loop: Header=BB138_3 Depth=1
	s_or_b32 exec_lo, exec_lo, s10
	s_wait_loadcnt_dscnt 0x0
	s_barrier_signal -1
	s_barrier_wait -1
	s_and_saveexec_b32 s10, s91
	s_cbranch_execz .LBB138_377
; %bb.376:                              ;   in Loop: Header=BB138_3 Depth=1
	ds_load_b64 v[40:41], v1 offset:21312
	ds_load_b64 v[42:43], v3
	s_wait_dscnt 0x0
	v_fma_f64 v[38:39], -v[40:41], v[42:43], v[38:39]
.LBB138_377:                            ;   in Loop: Header=BB138_3 Depth=1
	s_or_b32 exec_lo, exec_lo, s10
	s_barrier_signal -1
	s_barrier_wait -1
	s_and_saveexec_b32 s10, s91
	s_cbranch_execz .LBB138_379
; %bb.378:                              ;   in Loop: Header=BB138_3 Depth=1
	ds_load_b64 v[40:41], v1 offset:20800
	s_wait_dscnt 0x0
	v_mul_f64_e32 v[38:39], v[38:39], v[40:41]
	s_delay_alu instid0(VALU_DEP_1) | instskip(NEXT) | instid1(VALU_DEP_2)
	v_xor_b32_e32 v41, 0x80000000, v39
	v_mov_b32_e32 v40, v38
	ds_store_b64 v3, v[40:41]
.LBB138_379:                            ;   in Loop: Header=BB138_3 Depth=1
	s_or_b32 exec_lo, exec_lo, s10
	s_wait_dscnt 0x0
	s_barrier_signal -1
	s_barrier_wait -1
	s_barrier_signal -1
	s_barrier_wait -1
	s_and_saveexec_b32 s10, s1
; %bb.380:                              ;   in Loop: Header=BB138_3 Depth=1
	ds_store_b64 v49, v[38:39] offset:22336
; %bb.381:                              ;   in Loop: Header=BB138_3 Depth=1
	s_or_b32 exec_lo, exec_lo, s10
	s_wait_dscnt 0x0
	s_barrier_signal -1
	s_barrier_wait -1
	s_barrier_signal -1
	s_barrier_wait -1
	s_and_saveexec_b32 s10, s92
	s_cbranch_execz .LBB138_383
; %bb.382:                              ;   in Loop: Header=BB138_3 Depth=1
	ds_load_b64 v[38:39], v71 offset:21824
	s_wait_dscnt 0x0
	ds_store_b64 v5, v[38:39] offset:20816
	ds_load_b64 v[38:39], v71 offset:21832
	s_wait_dscnt 0x0
	ds_store_b64 v5, v[38:39] offset:21328
.LBB138_383:                            ;   in Loop: Header=BB138_3 Depth=1
	s_or_b32 exec_lo, exec_lo, s10
	s_wait_dscnt 0x0
	s_barrier_signal -1
	s_barrier_wait -1
	s_and_saveexec_b32 s10, s14
	s_cbranch_execz .LBB138_385
; %bb.384:                              ;   in Loop: Header=BB138_3 Depth=1
	ds_load_b128 v[38:41], v1 offset:21312
	ds_load_b64 v[42:43], v1 offset:20800
	v_add_nc_u32_e64 v0, 0x5000, 0
	s_wait_dscnt 0x0
	v_mul_f64_e32 v[40:41], v[42:43], v[40:41]
	s_delay_alu instid0(VALU_DEP_1)
	v_mul_f64_e32 v[38:39], v[38:39], v[40:41]
	ds_store_2addr_b64 v0, v[38:39], v[38:39] offset0:41 offset1:104
.LBB138_385:                            ;   in Loop: Header=BB138_3 Depth=1
	s_or_b32 exec_lo, exec_lo, s10
	v_mov_b64_e32 v[38:39], 0
	s_wait_dscnt 0x0
	s_barrier_signal -1
	s_barrier_wait -1
	global_wb scope:SCOPE_DEV
	s_wait_storecnt 0x0
	global_inv scope:SCOPE_DEV
	s_and_saveexec_b32 s10, s4
	s_cbranch_execz .LBB138_395
; %bb.386:                              ;   in Loop: Header=BB138_3 Depth=1
	ds_load_b64 v[38:39], v59 offset:20736
	ds_load_b64 v[40:41], v58 offset:24384
	s_wait_dscnt 0x0
	v_fma_f64 v[38:39], v[38:39], v[40:41], 0
	s_and_saveexec_b32 s11, s18
	s_cbranch_execnz .LBB138_1115
; %bb.387:                              ;   in Loop: Header=BB138_3 Depth=1
	s_or_b32 exec_lo, exec_lo, s11
	s_and_saveexec_b32 s11, s19
	s_cbranch_execnz .LBB138_1116
.LBB138_388:                            ;   in Loop: Header=BB138_3 Depth=1
	s_or_b32 exec_lo, exec_lo, s11
	s_and_saveexec_b32 s11, s20
	s_cbranch_execnz .LBB138_1117
.LBB138_389:                            ;   in Loop: Header=BB138_3 Depth=1
	s_or_b32 exec_lo, exec_lo, s11
	s_and_saveexec_b32 s11, s21
	s_cbranch_execnz .LBB138_1118
.LBB138_390:                            ;   in Loop: Header=BB138_3 Depth=1
	s_or_b32 exec_lo, exec_lo, s11
	s_and_saveexec_b32 s11, s22
	s_cbranch_execnz .LBB138_1119
.LBB138_391:                            ;   in Loop: Header=BB138_3 Depth=1
	s_or_b32 exec_lo, exec_lo, s11
	s_and_saveexec_b32 s11, s3
	s_cbranch_execnz .LBB138_1120
.LBB138_392:                            ;   in Loop: Header=BB138_3 Depth=1
	s_or_b32 exec_lo, exec_lo, s11
	s_and_saveexec_b32 s11, s17
	s_cbranch_execz .LBB138_394
.LBB138_393:                            ;   in Loop: Header=BB138_3 Depth=1
	ds_load_b64 v[40:41], v72 offset:24320
	ds_load_b64 v[42:43], v1 offset:24440
	s_wait_dscnt 0x0
	v_fmac_f64_e32 v[38:39], v[40:41], v[42:43]
.LBB138_394:                            ;   in Loop: Header=BB138_3 Depth=1
	s_or_b32 exec_lo, exec_lo, s11
.LBB138_395:                            ;   in Loop: Header=BB138_3 Depth=1
	s_delay_alu instid0(SALU_CYCLE_1)
	s_or_b32 exec_lo, exec_lo, s10
	s_and_saveexec_b32 s10, s100
	s_cbranch_execz .LBB138_397
; %bb.396:                              ;   in Loop: Header=BB138_3 Depth=1
	ds_load_b64 v[40:41], v1 offset:20280
	s_wait_dscnt 0x0
	v_mul_f64_e32 v[38:39], v[38:39], v[40:41]
	s_delay_alu instid0(VALU_DEP_1) | instskip(NEXT) | instid1(VALU_DEP_2)
	v_xor_b32_e32 v41, 0x80000000, v39
	v_mov_b32_e32 v40, v38
	ds_store_b64 v57, v[40:41]
.LBB138_397:                            ;   in Loop: Header=BB138_3 Depth=1
	s_or_b32 exec_lo, exec_lo, s10
	s_wait_loadcnt_dscnt 0x0
	s_barrier_signal -1
	s_barrier_wait -1
	s_and_saveexec_b32 s10, s101
	s_cbranch_execz .LBB138_399
; %bb.398:                              ;   in Loop: Header=BB138_3 Depth=1
	ds_load_b64 v[40:41], v59 offset:20224
	ds_load_b64 v[42:43], v57
	s_wait_dscnt 0x0
	v_fma_f64 v[38:39], -v[40:41], v[42:43], v[38:39]
.LBB138_399:                            ;   in Loop: Header=BB138_3 Depth=1
	s_or_b32 exec_lo, exec_lo, s10
	s_barrier_signal -1
	s_barrier_wait -1
	s_and_saveexec_b32 s10, s102
	s_cbranch_execz .LBB138_401
; %bb.400:                              ;   in Loop: Header=BB138_3 Depth=1
	ds_load_b64 v[40:41], v1 offset:19760
	s_wait_dscnt 0x0
	v_mul_f64_e32 v[38:39], v[38:39], v[40:41]
	s_delay_alu instid0(VALU_DEP_1) | instskip(NEXT) | instid1(VALU_DEP_2)
	v_xor_b32_e32 v41, 0x80000000, v39
	v_mov_b32_e32 v40, v38
	ds_store_b64 v57, v[40:41]
.LBB138_401:                            ;   in Loop: Header=BB138_3 Depth=1
	s_or_b32 exec_lo, exec_lo, s10
	s_wait_dscnt 0x0
	s_barrier_signal -1
	s_barrier_wait -1
	s_and_saveexec_b32 s10, s103
	s_cbranch_execz .LBB138_403
; %bb.402:                              ;   in Loop: Header=BB138_3 Depth=1
	ds_load_b64 v[40:41], v59 offset:19712
	ds_load_b64 v[42:43], v57
	s_wait_dscnt 0x0
	v_fma_f64 v[38:39], -v[40:41], v[42:43], v[38:39]
.LBB138_403:                            ;   in Loop: Header=BB138_3 Depth=1
	s_or_b32 exec_lo, exec_lo, s10
	s_barrier_signal -1
	s_barrier_wait -1
	s_and_saveexec_b32 s10, s104
	s_cbranch_execz .LBB138_405
; %bb.404:                              ;   in Loop: Header=BB138_3 Depth=1
	ds_load_b64 v[40:41], v1 offset:19240
	s_wait_dscnt 0x0
	v_mul_f64_e32 v[38:39], v[38:39], v[40:41]
	s_delay_alu instid0(VALU_DEP_1) | instskip(NEXT) | instid1(VALU_DEP_2)
	v_xor_b32_e32 v41, 0x80000000, v39
	v_mov_b32_e32 v40, v38
	ds_store_b64 v57, v[40:41]
.LBB138_405:                            ;   in Loop: Header=BB138_3 Depth=1
	s_or_b32 exec_lo, exec_lo, s10
	s_wait_dscnt 0x0
	s_barrier_signal -1
	s_barrier_wait -1
	s_and_saveexec_b32 s10, vcc_hi
	s_cbranch_execz .LBB138_407
; %bb.406:                              ;   in Loop: Header=BB138_3 Depth=1
	ds_load_b64 v[40:41], v59 offset:19200
	ds_load_b64 v[42:43], v57
	s_wait_dscnt 0x0
	v_fma_f64 v[38:39], -v[40:41], v[42:43], v[38:39]
.LBB138_407:                            ;   in Loop: Header=BB138_3 Depth=1
	s_or_b32 exec_lo, exec_lo, s10
	s_barrier_signal -1
	s_barrier_wait -1
	s_and_saveexec_b32 s10, s36
	s_cbranch_execz .LBB138_409
; %bb.408:                              ;   in Loop: Header=BB138_3 Depth=1
	ds_load_b64 v[40:41], v1 offset:18720
	s_wait_dscnt 0x0
	v_mul_f64_e32 v[38:39], v[38:39], v[40:41]
	s_delay_alu instid0(VALU_DEP_1) | instskip(NEXT) | instid1(VALU_DEP_2)
	v_xor_b32_e32 v41, 0x80000000, v39
	v_mov_b32_e32 v40, v38
	ds_store_b64 v57, v[40:41]
.LBB138_409:                            ;   in Loop: Header=BB138_3 Depth=1
	s_or_b32 exec_lo, exec_lo, s10
	s_wait_dscnt 0x0
	s_barrier_signal -1
	s_barrier_wait -1
	s_and_saveexec_b32 s10, s37
	s_cbranch_execz .LBB138_411
; %bb.410:                              ;   in Loop: Header=BB138_3 Depth=1
	ds_load_b64 v[40:41], v59 offset:18688
	ds_load_b64 v[42:43], v57
	s_wait_dscnt 0x0
	v_fma_f64 v[38:39], -v[40:41], v[42:43], v[38:39]
.LBB138_411:                            ;   in Loop: Header=BB138_3 Depth=1
	s_or_b32 exec_lo, exec_lo, s10
	s_barrier_signal -1
	s_barrier_wait -1
	s_and_saveexec_b32 s10, s38
	s_cbranch_execz .LBB138_413
; %bb.412:                              ;   in Loop: Header=BB138_3 Depth=1
	ds_load_b64 v[40:41], v1 offset:18200
	s_wait_dscnt 0x0
	v_mul_f64_e32 v[38:39], v[38:39], v[40:41]
	s_delay_alu instid0(VALU_DEP_1) | instskip(NEXT) | instid1(VALU_DEP_2)
	v_xor_b32_e32 v41, 0x80000000, v39
	v_mov_b32_e32 v40, v38
	ds_store_b64 v57, v[40:41]
.LBB138_413:                            ;   in Loop: Header=BB138_3 Depth=1
	s_or_b32 exec_lo, exec_lo, s10
	s_wait_dscnt 0x0
	s_barrier_signal -1
	s_barrier_wait -1
	s_and_saveexec_b32 s10, s39
	;; [unrolled: 26-line block ×4, first 2 shown]
	s_cbranch_execz .LBB138_423
; %bb.422:                              ;   in Loop: Header=BB138_3 Depth=1
	ds_load_b64 v[40:41], v1 offset:17152
	ds_load_b64 v[42:43], v57
	s_wait_dscnt 0x0
	v_fma_f64 v[38:39], -v[40:41], v[42:43], v[38:39]
.LBB138_423:                            ;   in Loop: Header=BB138_3 Depth=1
	s_or_b32 exec_lo, exec_lo, s10
	s_barrier_signal -1
	s_barrier_wait -1
	s_and_saveexec_b32 s10, s43
	s_cbranch_execz .LBB138_425
; %bb.424:                              ;   in Loop: Header=BB138_3 Depth=1
	ds_load_b64 v[40:41], v1 offset:16640
	s_wait_dscnt 0x0
	v_mul_f64_e32 v[38:39], v[38:39], v[40:41]
	s_delay_alu instid0(VALU_DEP_1) | instskip(NEXT) | instid1(VALU_DEP_2)
	v_xor_b32_e32 v41, 0x80000000, v39
	v_mov_b32_e32 v40, v38
	ds_store_b64 v57, v[40:41]
.LBB138_425:                            ;   in Loop: Header=BB138_3 Depth=1
	s_or_b32 exec_lo, exec_lo, s10
	s_wait_dscnt 0x0
	s_barrier_signal -1
	s_barrier_wait -1
	s_barrier_signal -1
	s_barrier_wait -1
	s_and_saveexec_b32 s10, s4
; %bb.426:                              ;   in Loop: Header=BB138_3 Depth=1
	ds_store_b64 v60, v[38:39] offset:24320
; %bb.427:                              ;   in Loop: Header=BB138_3 Depth=1
	s_or_b32 exec_lo, exec_lo, s10
	s_wait_dscnt 0x0
	s_barrier_signal -1
	s_barrier_wait -1
	s_barrier_signal -1
	s_barrier_wait -1
	s_and_saveexec_b32 s10, s44
	s_cbranch_execz .LBB138_429
; %bb.428:                              ;   in Loop: Header=BB138_3 Depth=1
	ds_load_b64 v[38:39], v74 offset:20736
	s_wait_dscnt 0x0
	ds_store_b64 v75, v[38:39] offset:16704
	ds_load_b64 v[38:39], v74 offset:20744
	s_wait_dscnt 0x0
	ds_store_b64 v75, v[38:39] offset:17216
	;; [unrolled: 3-line block ×8, first 2 shown]
.LBB138_429:                            ;   in Loop: Header=BB138_3 Depth=1
	s_or_b32 exec_lo, exec_lo, s10
	s_wait_dscnt 0x0
	s_barrier_signal -1
	s_barrier_wait -1
	s_and_saveexec_b32 s10, s14
	s_cbranch_execz .LBB138_431
; %bb.430:                              ;   in Loop: Header=BB138_3 Depth=1
	ds_load_b128 v[38:41], v1 offset:20272
	ds_load_b64 v[42:43], v1 offset:19760
	v_add_nc_u32_e64 v0, 0x4800, 0
	s_wait_dscnt 0x0
	v_mul_f64_e32 v[40:41], v[42:43], v[40:41]
	s_delay_alu instid0(VALU_DEP_1)
	v_mul_f64_e32 v[38:39], v[38:39], v[40:41]
	ds_store_2addr_b64 v0, v[38:39], v[38:39] offset0:167 offset1:230
.LBB138_431:                            ;   in Loop: Header=BB138_3 Depth=1
	s_or_b32 exec_lo, exec_lo, s10
	v_mov_b64_e32 v[38:39], 0
	s_wait_dscnt 0x0
	s_barrier_signal -1
	s_barrier_wait -1
	global_wb scope:SCOPE_DEV
	s_wait_storecnt 0x0
	global_inv scope:SCOPE_DEV
	s_and_saveexec_b32 s10, s1
	s_cbranch_execz .LBB138_435
; %bb.432:                              ;   in Loop: Header=BB138_3 Depth=1
	ds_load_b64 v[38:39], v47 offset:19744
	ds_load_b64 v[40:41], v46 offset:20272
	s_wait_dscnt 0x0
	v_fma_f64 v[38:39], v[38:39], v[40:41], 0
	s_and_saveexec_b32 s11, s15
	s_cbranch_execz .LBB138_434
; %bb.433:                              ;   in Loop: Header=BB138_3 Depth=1
	ds_load_b64 v[40:41], v75 offset:20256
	ds_load_b64 v[42:43], v1 offset:20280
	s_wait_dscnt 0x0
	v_fmac_f64_e32 v[38:39], v[40:41], v[42:43]
.LBB138_434:                            ;   in Loop: Header=BB138_3 Depth=1
	s_or_b32 exec_lo, exec_lo, s11
.LBB138_435:                            ;   in Loop: Header=BB138_3 Depth=1
	s_delay_alu instid0(SALU_CYCLE_1)
	s_or_b32 exec_lo, exec_lo, s10
	s_and_saveexec_b32 s10, s90
	s_cbranch_execz .LBB138_437
; %bb.436:                              ;   in Loop: Header=BB138_3 Depth=1
	ds_load_b64 v[40:41], v1 offset:19240
	s_wait_dscnt 0x0
	v_mul_f64_e32 v[38:39], v[38:39], v[40:41]
	s_delay_alu instid0(VALU_DEP_1) | instskip(NEXT) | instid1(VALU_DEP_2)
	v_xor_b32_e32 v41, 0x80000000, v39
	v_mov_b32_e32 v40, v38
	ds_store_b64 v3, v[40:41]
.LBB138_437:                            ;   in Loop: Header=BB138_3 Depth=1
	s_or_b32 exec_lo, exec_lo, s10
	s_wait_loadcnt_dscnt 0x0
	s_barrier_signal -1
	s_barrier_wait -1
	s_and_saveexec_b32 s10, s91
	s_cbranch_execz .LBB138_439
; %bb.438:                              ;   in Loop: Header=BB138_3 Depth=1
	ds_load_b64 v[40:41], v1 offset:19232
	ds_load_b64 v[42:43], v3
	s_wait_dscnt 0x0
	v_fma_f64 v[38:39], -v[40:41], v[42:43], v[38:39]
.LBB138_439:                            ;   in Loop: Header=BB138_3 Depth=1
	s_or_b32 exec_lo, exec_lo, s10
	s_barrier_signal -1
	s_barrier_wait -1
	s_and_saveexec_b32 s10, s91
	s_cbranch_execz .LBB138_441
; %bb.440:                              ;   in Loop: Header=BB138_3 Depth=1
	ds_load_b64 v[40:41], v1 offset:18720
	s_wait_dscnt 0x0
	v_mul_f64_e32 v[38:39], v[38:39], v[40:41]
	s_delay_alu instid0(VALU_DEP_1) | instskip(NEXT) | instid1(VALU_DEP_2)
	v_xor_b32_e32 v41, 0x80000000, v39
	v_mov_b32_e32 v40, v38
	ds_store_b64 v3, v[40:41]
.LBB138_441:                            ;   in Loop: Header=BB138_3 Depth=1
	s_or_b32 exec_lo, exec_lo, s10
	s_wait_dscnt 0x0
	s_barrier_signal -1
	s_barrier_wait -1
	s_barrier_signal -1
	s_barrier_wait -1
	s_and_saveexec_b32 s10, s1
; %bb.442:                              ;   in Loop: Header=BB138_3 Depth=1
	ds_store_b64 v49, v[38:39] offset:20256
; %bb.443:                              ;   in Loop: Header=BB138_3 Depth=1
	s_or_b32 exec_lo, exec_lo, s10
	s_wait_dscnt 0x0
	s_barrier_signal -1
	s_barrier_wait -1
	s_barrier_signal -1
	s_barrier_wait -1
	s_and_saveexec_b32 s10, s92
	s_cbranch_execz .LBB138_445
; %bb.444:                              ;   in Loop: Header=BB138_3 Depth=1
	ds_load_b64 v[38:39], v76 offset:19744
	s_wait_dscnt 0x0
	ds_store_b64 v75, v[38:39] offset:18736
	ds_load_b64 v[38:39], v76 offset:19752
	s_wait_dscnt 0x0
	ds_store_b64 v75, v[38:39] offset:19248
.LBB138_445:                            ;   in Loop: Header=BB138_3 Depth=1
	s_or_b32 exec_lo, exec_lo, s10
	s_wait_dscnt 0x0
	s_barrier_signal -1
	s_barrier_wait -1
	s_and_saveexec_b32 s10, s14
	s_cbranch_execz .LBB138_447
; %bb.446:                              ;   in Loop: Header=BB138_3 Depth=1
	ds_load_b128 v[38:41], v1 offset:19232
	ds_load_b64 v[42:43], v1 offset:18720
	v_add_nc_u32_e64 v0, 0x4800, 0
	s_wait_dscnt 0x0
	v_mul_f64_e32 v[40:41], v[42:43], v[40:41]
	s_delay_alu instid0(VALU_DEP_1)
	v_mul_f64_e32 v[38:39], v[38:39], v[40:41]
	ds_store_2addr_b64 v0, v[38:39], v[38:39] offset0:37 offset1:100
.LBB138_447:                            ;   in Loop: Header=BB138_3 Depth=1
	s_or_b32 exec_lo, exec_lo, s10
	v_mov_b64_e32 v[38:39], 0
	s_wait_dscnt 0x0
	s_barrier_signal -1
	s_barrier_wait -1
	global_wb scope:SCOPE_DEV
	s_wait_storecnt 0x0
	global_inv scope:SCOPE_DEV
	s_and_saveexec_b32 s10, s3
	s_cbranch_execz .LBB138_453
; %bb.448:                              ;   in Loop: Header=BB138_3 Depth=1
	ds_load_b64 v[38:39], v53 offset:18688
	ds_load_b64 v[40:41], v52 offset:20256
	s_wait_dscnt 0x0
	v_fma_f64 v[38:39], v[38:39], v[40:41], 0
	s_and_saveexec_b32 s11, s16
	s_cbranch_execnz .LBB138_1121
; %bb.449:                              ;   in Loop: Header=BB138_3 Depth=1
	s_or_b32 exec_lo, exec_lo, s11
	s_and_saveexec_b32 s11, s17
	s_cbranch_execnz .LBB138_1122
.LBB138_450:                            ;   in Loop: Header=BB138_3 Depth=1
	s_or_b32 exec_lo, exec_lo, s11
	s_and_saveexec_b32 s11, s1
	s_cbranch_execz .LBB138_452
.LBB138_451:                            ;   in Loop: Header=BB138_3 Depth=1
	ds_load_b64 v[40:41], v78 offset:20224
	ds_load_b64 v[42:43], v1 offset:20280
	s_wait_dscnt 0x0
	v_fmac_f64_e32 v[38:39], v[40:41], v[42:43]
.LBB138_452:                            ;   in Loop: Header=BB138_3 Depth=1
	s_or_b32 exec_lo, exec_lo, s11
.LBB138_453:                            ;   in Loop: Header=BB138_3 Depth=1
	s_delay_alu instid0(SALU_CYCLE_1)
	s_or_b32 exec_lo, exec_lo, s10
	s_and_saveexec_b32 s10, s93
	s_cbranch_execz .LBB138_455
; %bb.454:                              ;   in Loop: Header=BB138_3 Depth=1
	ds_load_b64 v[40:41], v1 offset:18200
	s_wait_dscnt 0x0
	v_mul_f64_e32 v[38:39], v[38:39], v[40:41]
	s_delay_alu instid0(VALU_DEP_1) | instskip(NEXT) | instid1(VALU_DEP_2)
	v_xor_b32_e32 v41, 0x80000000, v39
	v_mov_b32_e32 v40, v38
	ds_store_b64 v51, v[40:41]
.LBB138_455:                            ;   in Loop: Header=BB138_3 Depth=1
	s_or_b32 exec_lo, exec_lo, s10
	s_wait_loadcnt_dscnt 0x0
	s_barrier_signal -1
	s_barrier_wait -1
	s_and_saveexec_b32 s10, s94
	s_cbranch_execz .LBB138_457
; %bb.456:                              ;   in Loop: Header=BB138_3 Depth=1
	ds_load_b64 v[40:41], v53 offset:18176
	ds_load_b64 v[42:43], v51
	s_wait_dscnt 0x0
	v_fma_f64 v[38:39], -v[40:41], v[42:43], v[38:39]
.LBB138_457:                            ;   in Loop: Header=BB138_3 Depth=1
	s_or_b32 exec_lo, exec_lo, s10
	s_barrier_signal -1
	s_barrier_wait -1
	s_and_saveexec_b32 s10, s95
	s_cbranch_execz .LBB138_459
; %bb.458:                              ;   in Loop: Header=BB138_3 Depth=1
	ds_load_b64 v[40:41], v1 offset:17680
	s_wait_dscnt 0x0
	v_mul_f64_e32 v[38:39], v[38:39], v[40:41]
	s_delay_alu instid0(VALU_DEP_1) | instskip(NEXT) | instid1(VALU_DEP_2)
	v_xor_b32_e32 v41, 0x80000000, v39
	v_mov_b32_e32 v40, v38
	ds_store_b64 v51, v[40:41]
.LBB138_459:                            ;   in Loop: Header=BB138_3 Depth=1
	s_or_b32 exec_lo, exec_lo, s10
	s_wait_dscnt 0x0
	s_barrier_signal -1
	s_barrier_wait -1
	s_and_saveexec_b32 s10, s96
	s_cbranch_execz .LBB138_461
; %bb.460:                              ;   in Loop: Header=BB138_3 Depth=1
	ds_load_b64 v[40:41], v53 offset:17664
	ds_load_b64 v[42:43], v51
	s_wait_dscnt 0x0
	v_fma_f64 v[38:39], -v[40:41], v[42:43], v[38:39]
.LBB138_461:                            ;   in Loop: Header=BB138_3 Depth=1
	s_or_b32 exec_lo, exec_lo, s10
	s_barrier_signal -1
	s_barrier_wait -1
	s_and_saveexec_b32 s10, s97
	s_cbranch_execz .LBB138_463
; %bb.462:                              ;   in Loop: Header=BB138_3 Depth=1
	ds_load_b64 v[40:41], v1 offset:17160
	s_wait_dscnt 0x0
	v_mul_f64_e32 v[38:39], v[38:39], v[40:41]
	s_delay_alu instid0(VALU_DEP_1) | instskip(NEXT) | instid1(VALU_DEP_2)
	v_xor_b32_e32 v41, 0x80000000, v39
	v_mov_b32_e32 v40, v38
	ds_store_b64 v51, v[40:41]
.LBB138_463:                            ;   in Loop: Header=BB138_3 Depth=1
	s_or_b32 exec_lo, exec_lo, s10
	s_wait_dscnt 0x0
	;; [unrolled: 26-line block ×3, first 2 shown]
	s_barrier_signal -1
	s_barrier_wait -1
	s_barrier_signal -1
	s_barrier_wait -1
	s_and_saveexec_b32 s10, s3
; %bb.468:                              ;   in Loop: Header=BB138_3 Depth=1
	ds_store_b64 v55, v[38:39] offset:20224
; %bb.469:                              ;   in Loop: Header=BB138_3 Depth=1
	s_or_b32 exec_lo, exec_lo, s10
	s_wait_dscnt 0x0
	s_barrier_signal -1
	s_barrier_wait -1
	s_barrier_signal -1
	s_barrier_wait -1
	s_and_saveexec_b32 s10, s99
	s_cbranch_execz .LBB138_471
; %bb.470:                              ;   in Loop: Header=BB138_3 Depth=1
	ds_load_b64 v[38:39], v80 offset:18688
	s_wait_dscnt 0x0
	ds_store_b64 v83, v[38:39] offset:16672
	ds_load_b64 v[38:39], v80 offset:18696
	s_wait_dscnt 0x0
	ds_store_b64 v83, v[38:39] offset:17184
	;; [unrolled: 3-line block ×4, first 2 shown]
.LBB138_471:                            ;   in Loop: Header=BB138_3 Depth=1
	s_or_b32 exec_lo, exec_lo, s10
	s_wait_dscnt 0x0
	s_barrier_signal -1
	s_barrier_wait -1
	s_and_saveexec_b32 s10, s14
	s_cbranch_execz .LBB138_473
; %bb.472:                              ;   in Loop: Header=BB138_3 Depth=1
	ds_load_b128 v[38:41], v1 offset:18192
	ds_load_b64 v[42:43], v1 offset:17680
	v_add_nc_u32_e64 v0, 0x4000, 0
	s_wait_dscnt 0x0
	v_mul_f64_e32 v[40:41], v[42:43], v[40:41]
	s_delay_alu instid0(VALU_DEP_1)
	v_mul_f64_e32 v[38:39], v[38:39], v[40:41]
	ds_store_2addr_b64 v0, v[38:39], v[38:39] offset0:163 offset1:226
.LBB138_473:                            ;   in Loop: Header=BB138_3 Depth=1
	s_or_b32 exec_lo, exec_lo, s10
	v_mov_b64_e32 v[38:39], 0
	s_wait_dscnt 0x0
	s_barrier_signal -1
	s_barrier_wait -1
	global_wb scope:SCOPE_DEV
	s_wait_storecnt 0x0
	global_inv scope:SCOPE_DEV
	s_and_saveexec_b32 s10, s1
	s_cbranch_execz .LBB138_477
; %bb.474:                              ;   in Loop: Header=BB138_3 Depth=1
	ds_load_b64 v[38:39], v47 offset:17664
	ds_load_b64 v[40:41], v46 offset:18192
	s_wait_dscnt 0x0
	v_fma_f64 v[38:39], v[38:39], v[40:41], 0
	s_and_saveexec_b32 s11, s15
	s_cbranch_execz .LBB138_476
; %bb.475:                              ;   in Loop: Header=BB138_3 Depth=1
	ds_load_b64 v[40:41], v83 offset:18176
	ds_load_b64 v[42:43], v1 offset:18200
	s_wait_dscnt 0x0
	v_fmac_f64_e32 v[38:39], v[40:41], v[42:43]
.LBB138_476:                            ;   in Loop: Header=BB138_3 Depth=1
	s_or_b32 exec_lo, exec_lo, s11
.LBB138_477:                            ;   in Loop: Header=BB138_3 Depth=1
	s_delay_alu instid0(SALU_CYCLE_1)
	s_or_b32 exec_lo, exec_lo, s10
	s_and_saveexec_b32 s10, s90
	s_cbranch_execz .LBB138_479
; %bb.478:                              ;   in Loop: Header=BB138_3 Depth=1
	ds_load_b64 v[40:41], v1 offset:17160
	s_wait_dscnt 0x0
	v_mul_f64_e32 v[38:39], v[38:39], v[40:41]
	s_delay_alu instid0(VALU_DEP_1) | instskip(NEXT) | instid1(VALU_DEP_2)
	v_xor_b32_e32 v41, 0x80000000, v39
	v_mov_b32_e32 v40, v38
	ds_store_b64 v3, v[40:41]
.LBB138_479:                            ;   in Loop: Header=BB138_3 Depth=1
	s_or_b32 exec_lo, exec_lo, s10
	s_wait_loadcnt_dscnt 0x0
	s_barrier_signal -1
	s_barrier_wait -1
	s_and_saveexec_b32 s10, s91
	s_cbranch_execz .LBB138_481
; %bb.480:                              ;   in Loop: Header=BB138_3 Depth=1
	ds_load_b64 v[40:41], v1 offset:17152
	ds_load_b64 v[42:43], v3
	s_wait_dscnt 0x0
	v_fma_f64 v[38:39], -v[40:41], v[42:43], v[38:39]
.LBB138_481:                            ;   in Loop: Header=BB138_3 Depth=1
	s_or_b32 exec_lo, exec_lo, s10
	s_barrier_signal -1
	s_barrier_wait -1
	s_and_saveexec_b32 s10, s91
	s_cbranch_execz .LBB138_483
; %bb.482:                              ;   in Loop: Header=BB138_3 Depth=1
	ds_load_b64 v[40:41], v1 offset:16640
	s_wait_dscnt 0x0
	v_mul_f64_e32 v[38:39], v[38:39], v[40:41]
	s_delay_alu instid0(VALU_DEP_1) | instskip(NEXT) | instid1(VALU_DEP_2)
	v_xor_b32_e32 v41, 0x80000000, v39
	v_mov_b32_e32 v40, v38
	ds_store_b64 v3, v[40:41]
.LBB138_483:                            ;   in Loop: Header=BB138_3 Depth=1
	s_or_b32 exec_lo, exec_lo, s10
	s_wait_dscnt 0x0
	s_barrier_signal -1
	s_barrier_wait -1
	s_barrier_signal -1
	s_barrier_wait -1
	s_and_saveexec_b32 s10, s1
; %bb.484:                              ;   in Loop: Header=BB138_3 Depth=1
	ds_store_b64 v49, v[38:39] offset:18176
; %bb.485:                              ;   in Loop: Header=BB138_3 Depth=1
	s_or_b32 exec_lo, exec_lo, s10
	s_wait_dscnt 0x0
	s_barrier_signal -1
	s_barrier_wait -1
	s_barrier_signal -1
	s_barrier_wait -1
	s_and_saveexec_b32 s10, s92
	s_cbranch_execz .LBB138_487
; %bb.486:                              ;   in Loop: Header=BB138_3 Depth=1
	ds_load_b64 v[38:39], v85 offset:17664
	s_wait_dscnt 0x0
	ds_store_b64 v83, v[38:39] offset:16656
	ds_load_b64 v[38:39], v85 offset:17672
	s_wait_dscnt 0x0
	ds_store_b64 v83, v[38:39] offset:17168
.LBB138_487:                            ;   in Loop: Header=BB138_3 Depth=1
	s_or_b32 exec_lo, exec_lo, s10
	s_wait_dscnt 0x0
	s_barrier_signal -1
	s_barrier_wait -1
	s_and_saveexec_b32 s10, s14
	s_cbranch_execz .LBB138_489
; %bb.488:                              ;   in Loop: Header=BB138_3 Depth=1
	ds_load_b128 v[38:41], v1 offset:17152
	ds_load_b64 v[42:43], v1 offset:16640
	v_add_nc_u32_e64 v0, 0x4000, 0
	s_wait_dscnt 0x0
	v_mul_f64_e32 v[40:41], v[42:43], v[40:41]
	s_delay_alu instid0(VALU_DEP_1)
	v_mul_f64_e32 v[38:39], v[38:39], v[40:41]
	ds_store_2addr_b64 v0, v[38:39], v[38:39] offset0:33 offset1:96
.LBB138_489:                            ;   in Loop: Header=BB138_3 Depth=1
	s_or_b32 exec_lo, exec_lo, s10
	v_mov_b64_e32 v[38:39], 0
	s_wait_dscnt 0x0
	s_barrier_signal -1
	s_barrier_wait -1
	global_wb scope:SCOPE_DEV
	s_wait_storecnt 0x0
	global_inv scope:SCOPE_DEV
	s_and_saveexec_b32 s65, s35
	s_cbranch_execz .LBB138_551
; %bb.490:                              ;   in Loop: Header=BB138_3 Depth=1
	ds_load_b64 v[38:39], v67 offset:16384
	ds_load_b64 v[40:41], v68 offset:32512
	s_wait_dscnt 0x0
	v_fma_f64 v[38:39], v[38:39], v[40:41], 0
	s_mov_b32 s10, exec_lo
	v_readlane_b32 s11, v100, 2
	s_and_b32 s11, s10, s11
	s_delay_alu instid0(SALU_CYCLE_1)
	s_mov_b32 exec_lo, s11
	s_cbranch_execz .LBB138_492
; %bb.491:                              ;   in Loop: Header=BB138_3 Depth=1
	ds_load_b64 v[40:41], v67 offset:16896
	ds_load_b64 v[42:43], v68 offset:32520
	s_wait_dscnt 0x0
	v_fmac_f64_e32 v[38:39], v[40:41], v[42:43]
.LBB138_492:                            ;   in Loop: Header=BB138_3 Depth=1
	s_or_b32 exec_lo, exec_lo, s10
	s_delay_alu instid0(SALU_CYCLE_1) | instskip(SKIP_2) | instid1(SALU_CYCLE_1)
	s_mov_b32 s10, exec_lo
	v_readlane_b32 s11, v100, 3
	s_and_b32 s11, s10, s11
	s_mov_b32 exec_lo, s11
	s_cbranch_execz .LBB138_494
; %bb.493:                              ;   in Loop: Header=BB138_3 Depth=1
	ds_load_b64 v[40:41], v67 offset:17408
	ds_load_b64 v[42:43], v68 offset:32528
	s_wait_dscnt 0x0
	v_fmac_f64_e32 v[38:39], v[40:41], v[42:43]
.LBB138_494:                            ;   in Loop: Header=BB138_3 Depth=1
	s_or_b32 exec_lo, exec_lo, s10
	s_delay_alu instid0(SALU_CYCLE_1) | instskip(SKIP_2) | instid1(SALU_CYCLE_1)
	s_mov_b32 s10, exec_lo
	v_readlane_b32 s11, v100, 4
	s_and_b32 s11, s10, s11
	;; [unrolled: 13-line block ×22, first 2 shown]
	s_mov_b32 exec_lo, s11
	s_cbranch_execz .LBB138_536
; %bb.535:                              ;   in Loop: Header=BB138_3 Depth=1
	ds_load_b64 v[40:41], v67 offset:28160
	ds_load_b64 v[42:43], v68 offset:32696
	s_wait_dscnt 0x0
	v_fmac_f64_e32 v[38:39], v[40:41], v[42:43]
.LBB138_536:                            ;   in Loop: Header=BB138_3 Depth=1
	s_or_b32 exec_lo, exec_lo, s10
	s_and_saveexec_b32 s10, s5
	s_cbranch_execz .LBB138_538
; %bb.537:                              ;   in Loop: Header=BB138_3 Depth=1
	ds_load_b64 v[40:41], v67 offset:28672
	ds_load_b64 v[42:43], v68 offset:32704
	s_wait_dscnt 0x0
	v_fmac_f64_e32 v[38:39], v[40:41], v[42:43]
.LBB138_538:                            ;   in Loop: Header=BB138_3 Depth=1
	s_or_b32 exec_lo, exec_lo, s10
	s_delay_alu instid0(SALU_CYCLE_1) | instskip(SKIP_2) | instid1(SALU_CYCLE_1)
	s_mov_b32 s10, exec_lo
	v_readlane_b32 s11, v101, 24
	s_and_b32 s11, s10, s11
	s_mov_b32 exec_lo, s11
	s_cbranch_execz .LBB138_540
; %bb.539:                              ;   in Loop: Header=BB138_3 Depth=1
	ds_load_b64 v[40:41], v67 offset:29184
	ds_load_b64 v[42:43], v68 offset:32712
	s_wait_dscnt 0x0
	v_fmac_f64_e32 v[38:39], v[40:41], v[42:43]
.LBB138_540:                            ;   in Loop: Header=BB138_3 Depth=1
	s_or_b32 exec_lo, exec_lo, s10
	s_delay_alu instid0(SALU_CYCLE_1) | instskip(SKIP_2) | instid1(SALU_CYCLE_1)
	s_mov_b32 s10, exec_lo
	v_readlane_b32 s11, v101, 26
	s_and_b32 s11, s10, s11
	s_mov_b32 exec_lo, s11
	;; [unrolled: 13-line block ×5, first 2 shown]
	s_cbranch_execnz .LBB138_1123
; %bb.547:                              ;   in Loop: Header=BB138_3 Depth=1
	s_or_b32 exec_lo, exec_lo, s10
	s_and_saveexec_b32 s10, s4
	s_cbranch_execnz .LBB138_1124
.LBB138_548:                            ;   in Loop: Header=BB138_3 Depth=1
	s_or_b32 exec_lo, exec_lo, s10
	s_and_saveexec_b32 s10, s21
	s_delay_alu instid0(SALU_CYCLE_1)
	s_xor_b32 s10, exec_lo, s10
	s_cbranch_execz .LBB138_550
.LBB138_549:                            ;   in Loop: Header=BB138_3 Depth=1
	ds_load_b64 v[40:41], v48 offset:32256
	ds_load_b64 v[42:43], v1 offset:32760
	s_wait_dscnt 0x0
	v_fmac_f64_e32 v[38:39], v[40:41], v[42:43]
.LBB138_550:                            ;   in Loop: Header=BB138_3 Depth=1
	s_or_b32 exec_lo, exec_lo, s10
.LBB138_551:                            ;   in Loop: Header=BB138_3 Depth=1
	s_delay_alu instid0(SALU_CYCLE_1)
	s_or_b32 exec_lo, exec_lo, s65
	v_mov_b32_e32 v0, v69
	s_mov_b32 s10, 31
	s_branch .LBB138_553
.LBB138_552:                            ;   in Loop: Header=BB138_553 Depth=2
	s_or_b32 exec_lo, exec_lo, s11
	v_add_nc_u32_e32 v0, 0xfffff800, v0
	s_add_co_i32 s10, s10, -4
	s_cmp_eq_u32 s65, 0
	s_barrier_signal -1
	s_barrier_wait -1
	s_cbranch_scc1 .LBB138_569
.LBB138_553:                            ;   Parent Loop BB138_3 Depth=1
                                        ; =>  This Inner Loop Header: Depth=2
	s_delay_alu instid0(VALU_DEP_1) | instskip(SKIP_1) | instid1(SALU_CYCLE_1)
	v_cmp_eq_u32_e32 vcc_lo, 0xffffc200, v0
	s_and_b32 s12, s13, vcc_lo
	s_and_saveexec_b32 s11, s12
	s_cbranch_execz .LBB138_555
; %bb.554:                              ;   in Loop: Header=BB138_553 Depth=2
	ds_load_b64 v[40:41], v88
	s_wait_dscnt 0x0
	v_mul_f64_e32 v[38:39], v[38:39], v[40:41]
	s_delay_alu instid0(VALU_DEP_1) | instskip(NEXT) | instid1(VALU_DEP_2)
	v_xor_b32_e32 v41, 0x80000000, v39
	v_mov_b32_e32 v40, v38
	ds_store_b64 v66, v[40:41]
.LBB138_555:                            ;   in Loop: Header=BB138_553 Depth=2
	s_or_b32 exec_lo, exec_lo, s11
	v_cmp_gt_u32_e32 vcc_lo, s10, v64
	v_add_nc_u32_e32 v40, v79, v0
	s_wait_loadcnt_dscnt 0x0
	s_barrier_signal -1
	s_barrier_wait -1
	s_and_b32 s12, s13, vcc_lo
	s_delay_alu instid0(SALU_CYCLE_1)
	s_and_saveexec_b32 s11, s12
	s_cbranch_execz .LBB138_557
; %bb.556:                              ;   in Loop: Header=BB138_553 Depth=2
	ds_load_b64 v[42:43], v40 offset:1536
	ds_load_b64 v[94:95], v66
	s_wait_dscnt 0x0
	v_fma_f64 v[38:39], -v[42:43], v[94:95], v[38:39]
.LBB138_557:                            ;   in Loop: Header=BB138_553 Depth=2
	s_or_b32 exec_lo, exec_lo, s11
	s_add_co_i32 s11, s10, -1
	s_delay_alu instid0(SALU_CYCLE_1) | instskip(SKIP_3) | instid1(SALU_CYCLE_1)
	v_cmp_eq_u32_e32 vcc_lo, s11, v64
	s_barrier_signal -1
	s_barrier_wait -1
	s_and_b32 s12, s13, vcc_lo
	s_and_saveexec_b32 s65, s12
	s_cbranch_execz .LBB138_559
; %bb.558:                              ;   in Loop: Header=BB138_553 Depth=2
	ds_load_b64 v[42:43], v88
	s_wait_dscnt 0x0
	v_mul_f64_e32 v[38:39], v[38:39], v[42:43]
	s_delay_alu instid0(VALU_DEP_1) | instskip(NEXT) | instid1(VALU_DEP_2)
	v_xor_b32_e32 v43, 0x80000000, v39
	v_mov_b32_e32 v42, v38
	ds_store_b64 v66, v[42:43]
.LBB138_559:                            ;   in Loop: Header=BB138_553 Depth=2
	s_or_b32 exec_lo, exec_lo, s65
	v_cmp_gt_u32_e32 vcc_lo, s11, v64
	s_wait_dscnt 0x0
	s_barrier_signal -1
	s_barrier_wait -1
	s_and_b32 s12, s13, vcc_lo
	s_delay_alu instid0(SALU_CYCLE_1)
	s_and_saveexec_b32 s11, s12
	s_cbranch_execz .LBB138_561
; %bb.560:                              ;   in Loop: Header=BB138_553 Depth=2
	ds_load_b64 v[42:43], v40 offset:1024
	ds_load_b64 v[94:95], v66
	s_wait_dscnt 0x0
	v_fma_f64 v[38:39], -v[42:43], v[94:95], v[38:39]
.LBB138_561:                            ;   in Loop: Header=BB138_553 Depth=2
	s_or_b32 exec_lo, exec_lo, s11
	s_add_co_i32 s11, s10, -2
	s_delay_alu instid0(SALU_CYCLE_1) | instskip(SKIP_3) | instid1(SALU_CYCLE_1)
	v_cmp_eq_u32_e32 vcc_lo, s11, v64
	s_barrier_signal -1
	s_barrier_wait -1
	s_and_b32 s12, s13, vcc_lo
	s_and_saveexec_b32 s65, s12
	s_cbranch_execz .LBB138_563
; %bb.562:                              ;   in Loop: Header=BB138_553 Depth=2
	ds_load_b64 v[42:43], v88
	s_wait_dscnt 0x0
	v_mul_f64_e32 v[38:39], v[38:39], v[42:43]
	s_delay_alu instid0(VALU_DEP_1) | instskip(NEXT) | instid1(VALU_DEP_2)
	v_xor_b32_e32 v43, 0x80000000, v39
	v_mov_b32_e32 v42, v38
	ds_store_b64 v66, v[42:43]
.LBB138_563:                            ;   in Loop: Header=BB138_553 Depth=2
	s_or_b32 exec_lo, exec_lo, s65
	v_cmp_gt_u32_e32 vcc_lo, s11, v64
	s_wait_dscnt 0x0
	;; [unrolled: 33-line block ×3, first 2 shown]
	s_barrier_signal -1
	s_barrier_wait -1
	s_and_b32 s12, s13, vcc_lo
	s_delay_alu instid0(SALU_CYCLE_1)
	s_and_saveexec_b32 s11, s12
	s_cbranch_execz .LBB138_552
; %bb.568:                              ;   in Loop: Header=BB138_553 Depth=2
	ds_load_b64 v[40:41], v40
	ds_load_b64 v[42:43], v66
	s_wait_dscnt 0x0
	v_fma_f64 v[38:39], -v[40:41], v[42:43], v[38:39]
	s_branch .LBB138_552
.LBB138_569:                            ;   in Loop: Header=BB138_3 Depth=1
	s_and_saveexec_b32 s10, s35
; %bb.570:                              ;   in Loop: Header=BB138_3 Depth=1
	ds_store_b64 v70, v[38:39] offset:32256
; %bb.571:                              ;   in Loop: Header=BB138_3 Depth=1
	s_or_b32 exec_lo, exec_lo, s10
	s_wait_dscnt 0x0
	s_barrier_signal -1
	s_barrier_wait -1
	s_barrier_signal -1
	s_barrier_wait -1
	s_mov_b32 s10, exec_lo
	v_readlane_b32 s11, v101, 5
	s_and_b32 s11, s10, s11
	s_delay_alu instid0(SALU_CYCLE_1)
	s_mov_b32 exec_lo, s11
	s_cbranch_execz .LBB138_573
; %bb.572:                              ;   in Loop: Header=BB138_3 Depth=1
	ds_load_b64 v[38:39], v50 offset:16384
	s_wait_dscnt 0x0
	ds_store_b64 v54, v[38:39] offset:256
	ds_load_b64 v[38:39], v50 offset:16392
	s_wait_dscnt 0x0
	ds_store_b64 v54, v[38:39] offset:768
	;; [unrolled: 3-line block ×32, first 2 shown]
.LBB138_573:                            ;   in Loop: Header=BB138_3 Depth=1
	s_or_b32 exec_lo, exec_lo, s10
	s_wait_dscnt 0x0
	s_barrier_signal -1
	s_barrier_wait -1
	s_and_saveexec_b32 s10, s14
	s_cbranch_execz .LBB138_575
; %bb.574:                              ;   in Loop: Header=BB138_3 Depth=1
	ds_load_b128 v[38:41], v1 offset:16112
	ds_load_b64 v[42:43], v1 offset:15600
	v_add_nc_u32_e64 v0, 0x3800, 0
	s_wait_dscnt 0x0
	v_mul_f64_e32 v[40:41], v[42:43], v[40:41]
	s_delay_alu instid0(VALU_DEP_1)
	v_mul_f64_e32 v[38:39], v[38:39], v[40:41]
	ds_store_2addr_b64 v0, v[38:39], v[38:39] offset0:159 offset1:222
.LBB138_575:                            ;   in Loop: Header=BB138_3 Depth=1
	s_or_b32 exec_lo, exec_lo, s10
	v_mov_b64_e32 v[38:39], 0
	s_wait_dscnt 0x0
	s_barrier_signal -1
	s_barrier_wait -1
	global_wb scope:SCOPE_DEV
	s_wait_storecnt 0x0
	global_inv scope:SCOPE_DEV
	s_and_saveexec_b32 s10, s1
	s_cbranch_execz .LBB138_579
; %bb.576:                              ;   in Loop: Header=BB138_3 Depth=1
	ds_load_b64 v[38:39], v47 offset:15584
	ds_load_b64 v[40:41], v46 offset:16112
	s_wait_dscnt 0x0
	v_fma_f64 v[38:39], v[38:39], v[40:41], 0
	s_and_saveexec_b32 s11, s15
	s_cbranch_execz .LBB138_578
; %bb.577:                              ;   in Loop: Header=BB138_3 Depth=1
	ds_load_b64 v[40:41], v48 offset:16096
	ds_load_b64 v[42:43], v1 offset:16120
	s_wait_dscnt 0x0
	v_fmac_f64_e32 v[38:39], v[40:41], v[42:43]
.LBB138_578:                            ;   in Loop: Header=BB138_3 Depth=1
	s_or_b32 exec_lo, exec_lo, s11
.LBB138_579:                            ;   in Loop: Header=BB138_3 Depth=1
	s_delay_alu instid0(SALU_CYCLE_1)
	s_or_b32 exec_lo, exec_lo, s10
	s_and_saveexec_b32 s10, s90
	s_cbranch_execz .LBB138_581
; %bb.580:                              ;   in Loop: Header=BB138_3 Depth=1
	ds_load_b64 v[40:41], v1 offset:15080
	s_wait_dscnt 0x0
	v_mul_f64_e32 v[38:39], v[38:39], v[40:41]
	s_delay_alu instid0(VALU_DEP_1) | instskip(NEXT) | instid1(VALU_DEP_2)
	v_xor_b32_e32 v41, 0x80000000, v39
	v_mov_b32_e32 v40, v38
	ds_store_b64 v3, v[40:41]
.LBB138_581:                            ;   in Loop: Header=BB138_3 Depth=1
	s_or_b32 exec_lo, exec_lo, s10
	s_wait_loadcnt_dscnt 0x0
	s_barrier_signal -1
	s_barrier_wait -1
	s_and_saveexec_b32 s10, s91
	s_cbranch_execz .LBB138_583
; %bb.582:                              ;   in Loop: Header=BB138_3 Depth=1
	ds_load_b64 v[40:41], v1 offset:15072
	ds_load_b64 v[42:43], v3
	s_wait_dscnt 0x0
	v_fma_f64 v[38:39], -v[40:41], v[42:43], v[38:39]
.LBB138_583:                            ;   in Loop: Header=BB138_3 Depth=1
	s_or_b32 exec_lo, exec_lo, s10
	s_barrier_signal -1
	s_barrier_wait -1
	s_and_saveexec_b32 s10, s91
	s_cbranch_execz .LBB138_585
; %bb.584:                              ;   in Loop: Header=BB138_3 Depth=1
	ds_load_b64 v[40:41], v1 offset:14560
	s_wait_dscnt 0x0
	v_mul_f64_e32 v[38:39], v[38:39], v[40:41]
	s_delay_alu instid0(VALU_DEP_1) | instskip(NEXT) | instid1(VALU_DEP_2)
	v_xor_b32_e32 v41, 0x80000000, v39
	v_mov_b32_e32 v40, v38
	ds_store_b64 v3, v[40:41]
.LBB138_585:                            ;   in Loop: Header=BB138_3 Depth=1
	s_or_b32 exec_lo, exec_lo, s10
	s_wait_dscnt 0x0
	s_barrier_signal -1
	s_barrier_wait -1
	s_barrier_signal -1
	s_barrier_wait -1
	s_and_saveexec_b32 s10, s1
; %bb.586:                              ;   in Loop: Header=BB138_3 Depth=1
	ds_store_b64 v49, v[38:39] offset:16096
; %bb.587:                              ;   in Loop: Header=BB138_3 Depth=1
	s_or_b32 exec_lo, exec_lo, s10
	s_wait_dscnt 0x0
	s_barrier_signal -1
	s_barrier_wait -1
	s_barrier_signal -1
	s_barrier_wait -1
	s_and_saveexec_b32 s10, s92
	s_cbranch_execz .LBB138_589
; %bb.588:                              ;   in Loop: Header=BB138_3 Depth=1
	ds_load_b64 v[38:39], v50 offset:15584
	s_wait_dscnt 0x0
	ds_store_b64 v48, v[38:39] offset:14576
	ds_load_b64 v[38:39], v50 offset:15592
	s_wait_dscnt 0x0
	ds_store_b64 v48, v[38:39] offset:15088
.LBB138_589:                            ;   in Loop: Header=BB138_3 Depth=1
	s_or_b32 exec_lo, exec_lo, s10
	s_wait_dscnt 0x0
	s_barrier_signal -1
	s_barrier_wait -1
	s_and_saveexec_b32 s10, s14
	s_cbranch_execz .LBB138_591
; %bb.590:                              ;   in Loop: Header=BB138_3 Depth=1
	ds_load_b128 v[38:41], v1 offset:15072
	ds_load_b64 v[42:43], v1 offset:14560
	v_add_nc_u32_e64 v0, 0x3800, 0
	s_wait_dscnt 0x0
	v_mul_f64_e32 v[40:41], v[42:43], v[40:41]
	s_delay_alu instid0(VALU_DEP_1)
	v_mul_f64_e32 v[38:39], v[38:39], v[40:41]
	ds_store_2addr_b64 v0, v[38:39], v[38:39] offset0:29 offset1:92
.LBB138_591:                            ;   in Loop: Header=BB138_3 Depth=1
	s_or_b32 exec_lo, exec_lo, s10
	v_mov_b64_e32 v[38:39], 0
	s_wait_dscnt 0x0
	s_barrier_signal -1
	s_barrier_wait -1
	global_wb scope:SCOPE_DEV
	s_wait_storecnt 0x0
	global_inv scope:SCOPE_DEV
	s_and_saveexec_b32 s10, s3
	s_cbranch_execz .LBB138_597
; %bb.592:                              ;   in Loop: Header=BB138_3 Depth=1
	ds_load_b64 v[38:39], v53 offset:14528
	ds_load_b64 v[40:41], v52 offset:16096
	s_wait_dscnt 0x0
	v_fma_f64 v[38:39], v[38:39], v[40:41], 0
	s_and_saveexec_b32 s11, s16
	s_cbranch_execnz .LBB138_1125
; %bb.593:                              ;   in Loop: Header=BB138_3 Depth=1
	s_or_b32 exec_lo, exec_lo, s11
	s_and_saveexec_b32 s11, s17
	s_cbranch_execnz .LBB138_1126
.LBB138_594:                            ;   in Loop: Header=BB138_3 Depth=1
	s_or_b32 exec_lo, exec_lo, s11
	s_and_saveexec_b32 s11, s1
	s_cbranch_execz .LBB138_596
.LBB138_595:                            ;   in Loop: Header=BB138_3 Depth=1
	ds_load_b64 v[40:41], v54 offset:16064
	ds_load_b64 v[42:43], v1 offset:16120
	s_wait_dscnt 0x0
	v_fmac_f64_e32 v[38:39], v[40:41], v[42:43]
.LBB138_596:                            ;   in Loop: Header=BB138_3 Depth=1
	s_or_b32 exec_lo, exec_lo, s11
.LBB138_597:                            ;   in Loop: Header=BB138_3 Depth=1
	s_delay_alu instid0(SALU_CYCLE_1)
	s_or_b32 exec_lo, exec_lo, s10
	s_and_saveexec_b32 s10, s93
	s_cbranch_execz .LBB138_599
; %bb.598:                              ;   in Loop: Header=BB138_3 Depth=1
	ds_load_b64 v[40:41], v1 offset:14040
	s_wait_dscnt 0x0
	v_mul_f64_e32 v[38:39], v[38:39], v[40:41]
	s_delay_alu instid0(VALU_DEP_1) | instskip(NEXT) | instid1(VALU_DEP_2)
	v_xor_b32_e32 v41, 0x80000000, v39
	v_mov_b32_e32 v40, v38
	ds_store_b64 v51, v[40:41]
.LBB138_599:                            ;   in Loop: Header=BB138_3 Depth=1
	s_or_b32 exec_lo, exec_lo, s10
	s_wait_loadcnt_dscnt 0x0
	s_barrier_signal -1
	s_barrier_wait -1
	s_and_saveexec_b32 s10, s94
	s_cbranch_execz .LBB138_601
; %bb.600:                              ;   in Loop: Header=BB138_3 Depth=1
	ds_load_b64 v[40:41], v53 offset:14016
	ds_load_b64 v[42:43], v51
	s_wait_dscnt 0x0
	v_fma_f64 v[38:39], -v[40:41], v[42:43], v[38:39]
.LBB138_601:                            ;   in Loop: Header=BB138_3 Depth=1
	s_or_b32 exec_lo, exec_lo, s10
	s_barrier_signal -1
	s_barrier_wait -1
	s_and_saveexec_b32 s10, s95
	s_cbranch_execz .LBB138_603
; %bb.602:                              ;   in Loop: Header=BB138_3 Depth=1
	ds_load_b64 v[40:41], v1 offset:13520
	s_wait_dscnt 0x0
	v_mul_f64_e32 v[38:39], v[38:39], v[40:41]
	s_delay_alu instid0(VALU_DEP_1) | instskip(NEXT) | instid1(VALU_DEP_2)
	v_xor_b32_e32 v41, 0x80000000, v39
	v_mov_b32_e32 v40, v38
	ds_store_b64 v51, v[40:41]
.LBB138_603:                            ;   in Loop: Header=BB138_3 Depth=1
	s_or_b32 exec_lo, exec_lo, s10
	s_wait_dscnt 0x0
	s_barrier_signal -1
	s_barrier_wait -1
	s_and_saveexec_b32 s10, s96
	s_cbranch_execz .LBB138_605
; %bb.604:                              ;   in Loop: Header=BB138_3 Depth=1
	ds_load_b64 v[40:41], v53 offset:13504
	ds_load_b64 v[42:43], v51
	s_wait_dscnt 0x0
	v_fma_f64 v[38:39], -v[40:41], v[42:43], v[38:39]
.LBB138_605:                            ;   in Loop: Header=BB138_3 Depth=1
	s_or_b32 exec_lo, exec_lo, s10
	s_barrier_signal -1
	s_barrier_wait -1
	s_and_saveexec_b32 s10, s97
	s_cbranch_execz .LBB138_607
; %bb.606:                              ;   in Loop: Header=BB138_3 Depth=1
	ds_load_b64 v[40:41], v1 offset:13000
	s_wait_dscnt 0x0
	v_mul_f64_e32 v[38:39], v[38:39], v[40:41]
	s_delay_alu instid0(VALU_DEP_1) | instskip(NEXT) | instid1(VALU_DEP_2)
	v_xor_b32_e32 v41, 0x80000000, v39
	v_mov_b32_e32 v40, v38
	ds_store_b64 v51, v[40:41]
.LBB138_607:                            ;   in Loop: Header=BB138_3 Depth=1
	s_or_b32 exec_lo, exec_lo, s10
	s_wait_dscnt 0x0
	s_barrier_signal -1
	s_barrier_wait -1
	s_and_saveexec_b32 s10, s98
	s_cbranch_execz .LBB138_609
; %bb.608:                              ;   in Loop: Header=BB138_3 Depth=1
	ds_load_b64 v[40:41], v1 offset:12992
	ds_load_b64 v[42:43], v51
	s_wait_dscnt 0x0
	v_fma_f64 v[38:39], -v[40:41], v[42:43], v[38:39]
.LBB138_609:                            ;   in Loop: Header=BB138_3 Depth=1
	s_or_b32 exec_lo, exec_lo, s10
	s_barrier_signal -1
	s_barrier_wait -1
	s_and_saveexec_b32 s10, s98
	s_cbranch_execz .LBB138_611
; %bb.610:                              ;   in Loop: Header=BB138_3 Depth=1
	ds_load_b64 v[40:41], v1 offset:12480
	s_wait_dscnt 0x0
	v_mul_f64_e32 v[38:39], v[38:39], v[40:41]
	s_delay_alu instid0(VALU_DEP_1) | instskip(NEXT) | instid1(VALU_DEP_2)
	v_xor_b32_e32 v41, 0x80000000, v39
	v_mov_b32_e32 v40, v38
	ds_store_b64 v51, v[40:41]
.LBB138_611:                            ;   in Loop: Header=BB138_3 Depth=1
	s_or_b32 exec_lo, exec_lo, s10
	s_wait_dscnt 0x0
	s_barrier_signal -1
	s_barrier_wait -1
	s_barrier_signal -1
	s_barrier_wait -1
	s_and_saveexec_b32 s10, s3
; %bb.612:                              ;   in Loop: Header=BB138_3 Depth=1
	ds_store_b64 v55, v[38:39] offset:16064
; %bb.613:                              ;   in Loop: Header=BB138_3 Depth=1
	s_or_b32 exec_lo, exec_lo, s10
	s_wait_dscnt 0x0
	s_barrier_signal -1
	s_barrier_wait -1
	s_barrier_signal -1
	s_barrier_wait -1
	s_and_saveexec_b32 s10, s99
	s_cbranch_execz .LBB138_615
; %bb.614:                              ;   in Loop: Header=BB138_3 Depth=1
	ds_load_b64 v[38:39], v56 offset:14528
	s_wait_dscnt 0x0
	ds_store_b64 v5, v[38:39] offset:12512
	ds_load_b64 v[38:39], v56 offset:14536
	s_wait_dscnt 0x0
	ds_store_b64 v5, v[38:39] offset:13024
	;; [unrolled: 3-line block ×4, first 2 shown]
.LBB138_615:                            ;   in Loop: Header=BB138_3 Depth=1
	s_or_b32 exec_lo, exec_lo, s10
	s_wait_dscnt 0x0
	s_barrier_signal -1
	s_barrier_wait -1
	s_and_saveexec_b32 s10, s14
	s_cbranch_execz .LBB138_617
; %bb.616:                              ;   in Loop: Header=BB138_3 Depth=1
	ds_load_b128 v[38:41], v1 offset:14032
	ds_load_b64 v[42:43], v1 offset:13520
	v_add_nc_u32_e64 v0, 0x3000, 0
	s_wait_dscnt 0x0
	v_mul_f64_e32 v[40:41], v[42:43], v[40:41]
	s_delay_alu instid0(VALU_DEP_1)
	v_mul_f64_e32 v[38:39], v[38:39], v[40:41]
	ds_store_2addr_b64 v0, v[38:39], v[38:39] offset0:155 offset1:218
.LBB138_617:                            ;   in Loop: Header=BB138_3 Depth=1
	s_or_b32 exec_lo, exec_lo, s10
	v_mov_b64_e32 v[38:39], 0
	s_wait_dscnt 0x0
	s_barrier_signal -1
	s_barrier_wait -1
	global_wb scope:SCOPE_DEV
	s_wait_storecnt 0x0
	global_inv scope:SCOPE_DEV
	s_and_saveexec_b32 s10, s1
	s_cbranch_execz .LBB138_621
; %bb.618:                              ;   in Loop: Header=BB138_3 Depth=1
	ds_load_b64 v[38:39], v47 offset:13504
	ds_load_b64 v[40:41], v46 offset:14032
	s_wait_dscnt 0x0
	v_fma_f64 v[38:39], v[38:39], v[40:41], 0
	s_and_saveexec_b32 s11, s15
	s_cbranch_execz .LBB138_620
; %bb.619:                              ;   in Loop: Header=BB138_3 Depth=1
	ds_load_b64 v[40:41], v5 offset:14016
	ds_load_b64 v[42:43], v1 offset:14040
	s_wait_dscnt 0x0
	v_fmac_f64_e32 v[38:39], v[40:41], v[42:43]
.LBB138_620:                            ;   in Loop: Header=BB138_3 Depth=1
	s_or_b32 exec_lo, exec_lo, s11
.LBB138_621:                            ;   in Loop: Header=BB138_3 Depth=1
	s_delay_alu instid0(SALU_CYCLE_1)
	s_or_b32 exec_lo, exec_lo, s10
	s_and_saveexec_b32 s10, s90
	s_cbranch_execz .LBB138_623
; %bb.622:                              ;   in Loop: Header=BB138_3 Depth=1
	ds_load_b64 v[40:41], v1 offset:13000
	s_wait_dscnt 0x0
	v_mul_f64_e32 v[38:39], v[38:39], v[40:41]
	s_delay_alu instid0(VALU_DEP_1) | instskip(NEXT) | instid1(VALU_DEP_2)
	v_xor_b32_e32 v41, 0x80000000, v39
	v_mov_b32_e32 v40, v38
	ds_store_b64 v3, v[40:41]
.LBB138_623:                            ;   in Loop: Header=BB138_3 Depth=1
	s_or_b32 exec_lo, exec_lo, s10
	s_wait_loadcnt_dscnt 0x0
	s_barrier_signal -1
	s_barrier_wait -1
	s_and_saveexec_b32 s10, s91
	s_cbranch_execz .LBB138_625
; %bb.624:                              ;   in Loop: Header=BB138_3 Depth=1
	ds_load_b64 v[40:41], v1 offset:12992
	ds_load_b64 v[42:43], v3
	s_wait_dscnt 0x0
	v_fma_f64 v[38:39], -v[40:41], v[42:43], v[38:39]
.LBB138_625:                            ;   in Loop: Header=BB138_3 Depth=1
	s_or_b32 exec_lo, exec_lo, s10
	s_barrier_signal -1
	s_barrier_wait -1
	s_and_saveexec_b32 s10, s91
	s_cbranch_execz .LBB138_627
; %bb.626:                              ;   in Loop: Header=BB138_3 Depth=1
	ds_load_b64 v[40:41], v1 offset:12480
	s_wait_dscnt 0x0
	v_mul_f64_e32 v[38:39], v[38:39], v[40:41]
	s_delay_alu instid0(VALU_DEP_1) | instskip(NEXT) | instid1(VALU_DEP_2)
	v_xor_b32_e32 v41, 0x80000000, v39
	v_mov_b32_e32 v40, v38
	ds_store_b64 v3, v[40:41]
.LBB138_627:                            ;   in Loop: Header=BB138_3 Depth=1
	s_or_b32 exec_lo, exec_lo, s10
	s_wait_dscnt 0x0
	s_barrier_signal -1
	s_barrier_wait -1
	s_barrier_signal -1
	s_barrier_wait -1
	s_and_saveexec_b32 s10, s1
; %bb.628:                              ;   in Loop: Header=BB138_3 Depth=1
	ds_store_b64 v49, v[38:39] offset:14016
; %bb.629:                              ;   in Loop: Header=BB138_3 Depth=1
	s_or_b32 exec_lo, exec_lo, s10
	s_wait_dscnt 0x0
	s_barrier_signal -1
	s_barrier_wait -1
	s_barrier_signal -1
	s_barrier_wait -1
	s_and_saveexec_b32 s10, s92
	s_cbranch_execz .LBB138_631
; %bb.630:                              ;   in Loop: Header=BB138_3 Depth=1
	ds_load_b64 v[38:39], v71 offset:13504
	s_wait_dscnt 0x0
	ds_store_b64 v5, v[38:39] offset:12496
	ds_load_b64 v[38:39], v71 offset:13512
	s_wait_dscnt 0x0
	ds_store_b64 v5, v[38:39] offset:13008
.LBB138_631:                            ;   in Loop: Header=BB138_3 Depth=1
	s_or_b32 exec_lo, exec_lo, s10
	s_wait_dscnt 0x0
	s_barrier_signal -1
	s_barrier_wait -1
	s_and_saveexec_b32 s10, s14
	s_cbranch_execz .LBB138_633
; %bb.632:                              ;   in Loop: Header=BB138_3 Depth=1
	ds_load_b128 v[38:41], v1 offset:12992
	ds_load_b64 v[42:43], v1 offset:12480
	v_add_nc_u32_e64 v0, 0x3000, 0
	s_wait_dscnt 0x0
	v_mul_f64_e32 v[40:41], v[42:43], v[40:41]
	s_delay_alu instid0(VALU_DEP_1)
	v_mul_f64_e32 v[38:39], v[38:39], v[40:41]
	ds_store_2addr_b64 v0, v[38:39], v[38:39] offset0:25 offset1:88
.LBB138_633:                            ;   in Loop: Header=BB138_3 Depth=1
	s_or_b32 exec_lo, exec_lo, s10
	v_mov_b64_e32 v[38:39], 0
	s_wait_dscnt 0x0
	s_barrier_signal -1
	s_barrier_wait -1
	global_wb scope:SCOPE_DEV
	s_wait_storecnt 0x0
	global_inv scope:SCOPE_DEV
	s_and_saveexec_b32 s10, s4
	s_cbranch_execz .LBB138_643
; %bb.634:                              ;   in Loop: Header=BB138_3 Depth=1
	ds_load_b64 v[38:39], v59 offset:12416
	ds_load_b64 v[40:41], v58 offset:16064
	s_wait_dscnt 0x0
	v_fma_f64 v[38:39], v[38:39], v[40:41], 0
	s_and_saveexec_b32 s11, s18
	s_cbranch_execnz .LBB138_1127
; %bb.635:                              ;   in Loop: Header=BB138_3 Depth=1
	s_or_b32 exec_lo, exec_lo, s11
	s_and_saveexec_b32 s11, s19
	s_cbranch_execnz .LBB138_1128
.LBB138_636:                            ;   in Loop: Header=BB138_3 Depth=1
	s_or_b32 exec_lo, exec_lo, s11
	s_and_saveexec_b32 s11, s20
	s_cbranch_execnz .LBB138_1129
.LBB138_637:                            ;   in Loop: Header=BB138_3 Depth=1
	s_or_b32 exec_lo, exec_lo, s11
	s_and_saveexec_b32 s11, s21
	s_cbranch_execnz .LBB138_1130
.LBB138_638:                            ;   in Loop: Header=BB138_3 Depth=1
	s_or_b32 exec_lo, exec_lo, s11
	s_and_saveexec_b32 s11, s22
	s_cbranch_execnz .LBB138_1131
.LBB138_639:                            ;   in Loop: Header=BB138_3 Depth=1
	s_or_b32 exec_lo, exec_lo, s11
	s_and_saveexec_b32 s11, s3
	s_cbranch_execnz .LBB138_1132
.LBB138_640:                            ;   in Loop: Header=BB138_3 Depth=1
	s_or_b32 exec_lo, exec_lo, s11
	s_and_saveexec_b32 s11, s17
	s_cbranch_execz .LBB138_642
.LBB138_641:                            ;   in Loop: Header=BB138_3 Depth=1
	ds_load_b64 v[40:41], v72 offset:16000
	ds_load_b64 v[42:43], v1 offset:16120
	s_wait_dscnt 0x0
	v_fmac_f64_e32 v[38:39], v[40:41], v[42:43]
.LBB138_642:                            ;   in Loop: Header=BB138_3 Depth=1
	s_or_b32 exec_lo, exec_lo, s11
.LBB138_643:                            ;   in Loop: Header=BB138_3 Depth=1
	s_delay_alu instid0(SALU_CYCLE_1)
	s_or_b32 exec_lo, exec_lo, s10
	s_and_saveexec_b32 s10, s100
	s_cbranch_execz .LBB138_645
; %bb.644:                              ;   in Loop: Header=BB138_3 Depth=1
	ds_load_b64 v[40:41], v1 offset:11960
	s_wait_dscnt 0x0
	v_mul_f64_e32 v[38:39], v[38:39], v[40:41]
	s_delay_alu instid0(VALU_DEP_1) | instskip(NEXT) | instid1(VALU_DEP_2)
	v_xor_b32_e32 v41, 0x80000000, v39
	v_mov_b32_e32 v40, v38
	ds_store_b64 v57, v[40:41]
.LBB138_645:                            ;   in Loop: Header=BB138_3 Depth=1
	s_or_b32 exec_lo, exec_lo, s10
	s_wait_loadcnt_dscnt 0x0
	s_barrier_signal -1
	s_barrier_wait -1
	s_and_saveexec_b32 s10, s101
	s_cbranch_execz .LBB138_647
; %bb.646:                              ;   in Loop: Header=BB138_3 Depth=1
	ds_load_b64 v[40:41], v59 offset:11904
	ds_load_b64 v[42:43], v57
	s_wait_dscnt 0x0
	v_fma_f64 v[38:39], -v[40:41], v[42:43], v[38:39]
.LBB138_647:                            ;   in Loop: Header=BB138_3 Depth=1
	s_or_b32 exec_lo, exec_lo, s10
	s_barrier_signal -1
	s_barrier_wait -1
	s_and_saveexec_b32 s10, s102
	s_cbranch_execz .LBB138_649
; %bb.648:                              ;   in Loop: Header=BB138_3 Depth=1
	ds_load_b64 v[40:41], v1 offset:11440
	s_wait_dscnt 0x0
	v_mul_f64_e32 v[38:39], v[38:39], v[40:41]
	s_delay_alu instid0(VALU_DEP_1) | instskip(NEXT) | instid1(VALU_DEP_2)
	v_xor_b32_e32 v41, 0x80000000, v39
	v_mov_b32_e32 v40, v38
	ds_store_b64 v57, v[40:41]
.LBB138_649:                            ;   in Loop: Header=BB138_3 Depth=1
	s_or_b32 exec_lo, exec_lo, s10
	s_wait_dscnt 0x0
	s_barrier_signal -1
	s_barrier_wait -1
	s_and_saveexec_b32 s10, s103
	s_cbranch_execz .LBB138_651
; %bb.650:                              ;   in Loop: Header=BB138_3 Depth=1
	ds_load_b64 v[40:41], v59 offset:11392
	ds_load_b64 v[42:43], v57
	s_wait_dscnt 0x0
	v_fma_f64 v[38:39], -v[40:41], v[42:43], v[38:39]
.LBB138_651:                            ;   in Loop: Header=BB138_3 Depth=1
	s_or_b32 exec_lo, exec_lo, s10
	s_barrier_signal -1
	s_barrier_wait -1
	s_and_saveexec_b32 s10, s104
	s_cbranch_execz .LBB138_653
; %bb.652:                              ;   in Loop: Header=BB138_3 Depth=1
	ds_load_b64 v[40:41], v1 offset:10920
	s_wait_dscnt 0x0
	v_mul_f64_e32 v[38:39], v[38:39], v[40:41]
	s_delay_alu instid0(VALU_DEP_1) | instskip(NEXT) | instid1(VALU_DEP_2)
	v_xor_b32_e32 v41, 0x80000000, v39
	v_mov_b32_e32 v40, v38
	ds_store_b64 v57, v[40:41]
.LBB138_653:                            ;   in Loop: Header=BB138_3 Depth=1
	s_or_b32 exec_lo, exec_lo, s10
	s_wait_dscnt 0x0
	s_barrier_signal -1
	s_barrier_wait -1
	s_and_saveexec_b32 s10, vcc_hi
	s_cbranch_execz .LBB138_655
; %bb.654:                              ;   in Loop: Header=BB138_3 Depth=1
	ds_load_b64 v[40:41], v59 offset:10880
	ds_load_b64 v[42:43], v57
	s_wait_dscnt 0x0
	v_fma_f64 v[38:39], -v[40:41], v[42:43], v[38:39]
.LBB138_655:                            ;   in Loop: Header=BB138_3 Depth=1
	s_or_b32 exec_lo, exec_lo, s10
	s_barrier_signal -1
	s_barrier_wait -1
	s_and_saveexec_b32 s10, s36
	s_cbranch_execz .LBB138_657
; %bb.656:                              ;   in Loop: Header=BB138_3 Depth=1
	ds_load_b64 v[40:41], v1 offset:10400
	s_wait_dscnt 0x0
	v_mul_f64_e32 v[38:39], v[38:39], v[40:41]
	s_delay_alu instid0(VALU_DEP_1) | instskip(NEXT) | instid1(VALU_DEP_2)
	v_xor_b32_e32 v41, 0x80000000, v39
	v_mov_b32_e32 v40, v38
	ds_store_b64 v57, v[40:41]
.LBB138_657:                            ;   in Loop: Header=BB138_3 Depth=1
	s_or_b32 exec_lo, exec_lo, s10
	s_wait_dscnt 0x0
	s_barrier_signal -1
	s_barrier_wait -1
	s_and_saveexec_b32 s10, s37
	s_cbranch_execz .LBB138_659
; %bb.658:                              ;   in Loop: Header=BB138_3 Depth=1
	ds_load_b64 v[40:41], v59 offset:10368
	ds_load_b64 v[42:43], v57
	s_wait_dscnt 0x0
	v_fma_f64 v[38:39], -v[40:41], v[42:43], v[38:39]
.LBB138_659:                            ;   in Loop: Header=BB138_3 Depth=1
	s_or_b32 exec_lo, exec_lo, s10
	s_barrier_signal -1
	s_barrier_wait -1
	s_and_saveexec_b32 s10, s38
	s_cbranch_execz .LBB138_661
; %bb.660:                              ;   in Loop: Header=BB138_3 Depth=1
	ds_load_b64 v[40:41], v1 offset:9880
	s_wait_dscnt 0x0
	v_mul_f64_e32 v[38:39], v[38:39], v[40:41]
	s_delay_alu instid0(VALU_DEP_1) | instskip(NEXT) | instid1(VALU_DEP_2)
	v_xor_b32_e32 v41, 0x80000000, v39
	v_mov_b32_e32 v40, v38
	ds_store_b64 v57, v[40:41]
.LBB138_661:                            ;   in Loop: Header=BB138_3 Depth=1
	s_or_b32 exec_lo, exec_lo, s10
	s_wait_dscnt 0x0
	s_barrier_signal -1
	s_barrier_wait -1
	s_and_saveexec_b32 s10, s39
	s_cbranch_execz .LBB138_663
; %bb.662:                              ;   in Loop: Header=BB138_3 Depth=1
	ds_load_b64 v[40:41], v59 offset:9856
	ds_load_b64 v[42:43], v57
	s_wait_dscnt 0x0
	v_fma_f64 v[38:39], -v[40:41], v[42:43], v[38:39]
.LBB138_663:                            ;   in Loop: Header=BB138_3 Depth=1
	s_or_b32 exec_lo, exec_lo, s10
	s_barrier_signal -1
	s_barrier_wait -1
	s_and_saveexec_b32 s10, s40
	s_cbranch_execz .LBB138_665
; %bb.664:                              ;   in Loop: Header=BB138_3 Depth=1
	ds_load_b64 v[40:41], v1 offset:9360
	s_wait_dscnt 0x0
	v_mul_f64_e32 v[38:39], v[38:39], v[40:41]
	s_delay_alu instid0(VALU_DEP_1) | instskip(NEXT) | instid1(VALU_DEP_2)
	v_xor_b32_e32 v41, 0x80000000, v39
	v_mov_b32_e32 v40, v38
	ds_store_b64 v57, v[40:41]
.LBB138_665:                            ;   in Loop: Header=BB138_3 Depth=1
	s_or_b32 exec_lo, exec_lo, s10
	s_wait_dscnt 0x0
	s_barrier_signal -1
	s_barrier_wait -1
	s_and_saveexec_b32 s10, s41
	s_cbranch_execz .LBB138_667
; %bb.666:                              ;   in Loop: Header=BB138_3 Depth=1
	ds_load_b64 v[40:41], v59 offset:9344
	ds_load_b64 v[42:43], v57
	s_wait_dscnt 0x0
	v_fma_f64 v[38:39], -v[40:41], v[42:43], v[38:39]
.LBB138_667:                            ;   in Loop: Header=BB138_3 Depth=1
	s_or_b32 exec_lo, exec_lo, s10
	s_barrier_signal -1
	s_barrier_wait -1
	s_and_saveexec_b32 s10, s42
	s_cbranch_execz .LBB138_669
; %bb.668:                              ;   in Loop: Header=BB138_3 Depth=1
	ds_load_b64 v[40:41], v1 offset:8840
	s_wait_dscnt 0x0
	v_mul_f64_e32 v[38:39], v[38:39], v[40:41]
	s_delay_alu instid0(VALU_DEP_1) | instskip(NEXT) | instid1(VALU_DEP_2)
	v_xor_b32_e32 v41, 0x80000000, v39
	v_mov_b32_e32 v40, v38
	ds_store_b64 v57, v[40:41]
.LBB138_669:                            ;   in Loop: Header=BB138_3 Depth=1
	s_or_b32 exec_lo, exec_lo, s10
	s_wait_dscnt 0x0
	s_barrier_signal -1
	s_barrier_wait -1
	s_and_saveexec_b32 s10, s43
	s_cbranch_execz .LBB138_671
; %bb.670:                              ;   in Loop: Header=BB138_3 Depth=1
	ds_load_b64 v[40:41], v1 offset:8832
	ds_load_b64 v[42:43], v57
	s_wait_dscnt 0x0
	v_fma_f64 v[38:39], -v[40:41], v[42:43], v[38:39]
.LBB138_671:                            ;   in Loop: Header=BB138_3 Depth=1
	s_or_b32 exec_lo, exec_lo, s10
	s_barrier_signal -1
	s_barrier_wait -1
	s_and_saveexec_b32 s10, s43
	s_cbranch_execz .LBB138_673
; %bb.672:                              ;   in Loop: Header=BB138_3 Depth=1
	ds_load_b64 v[40:41], v1 offset:8320
	s_wait_dscnt 0x0
	v_mul_f64_e32 v[38:39], v[38:39], v[40:41]
	s_delay_alu instid0(VALU_DEP_1) | instskip(NEXT) | instid1(VALU_DEP_2)
	v_xor_b32_e32 v41, 0x80000000, v39
	v_mov_b32_e32 v40, v38
	ds_store_b64 v57, v[40:41]
.LBB138_673:                            ;   in Loop: Header=BB138_3 Depth=1
	s_or_b32 exec_lo, exec_lo, s10
	s_wait_dscnt 0x0
	s_barrier_signal -1
	s_barrier_wait -1
	s_barrier_signal -1
	s_barrier_wait -1
	s_and_saveexec_b32 s10, s4
; %bb.674:                              ;   in Loop: Header=BB138_3 Depth=1
	ds_store_b64 v60, v[38:39] offset:16000
; %bb.675:                              ;   in Loop: Header=BB138_3 Depth=1
	s_or_b32 exec_lo, exec_lo, s10
	s_wait_dscnt 0x0
	s_barrier_signal -1
	s_barrier_wait -1
	s_barrier_signal -1
	s_barrier_wait -1
	s_and_saveexec_b32 s10, s44
	s_cbranch_execz .LBB138_677
; %bb.676:                              ;   in Loop: Header=BB138_3 Depth=1
	ds_load_b64 v[38:39], v74 offset:12416
	s_wait_dscnt 0x0
	ds_store_b64 v75, v[38:39] offset:8384
	ds_load_b64 v[38:39], v74 offset:12424
	s_wait_dscnt 0x0
	ds_store_b64 v75, v[38:39] offset:8896
	;; [unrolled: 3-line block ×8, first 2 shown]
.LBB138_677:                            ;   in Loop: Header=BB138_3 Depth=1
	s_or_b32 exec_lo, exec_lo, s10
	s_wait_dscnt 0x0
	s_barrier_signal -1
	s_barrier_wait -1
	s_and_saveexec_b32 s10, s14
	s_cbranch_execz .LBB138_679
; %bb.678:                              ;   in Loop: Header=BB138_3 Depth=1
	ds_load_b128 v[38:41], v1 offset:11952
	ds_load_b64 v[42:43], v1 offset:11440
	v_add_nc_u32_e64 v0, 0x2800, 0
	s_wait_dscnt 0x0
	v_mul_f64_e32 v[40:41], v[42:43], v[40:41]
	s_delay_alu instid0(VALU_DEP_1)
	v_mul_f64_e32 v[38:39], v[38:39], v[40:41]
	ds_store_2addr_b64 v0, v[38:39], v[38:39] offset0:151 offset1:214
.LBB138_679:                            ;   in Loop: Header=BB138_3 Depth=1
	s_or_b32 exec_lo, exec_lo, s10
	v_mov_b64_e32 v[38:39], 0
	s_wait_dscnt 0x0
	s_barrier_signal -1
	s_barrier_wait -1
	global_wb scope:SCOPE_DEV
	s_wait_storecnt 0x0
	global_inv scope:SCOPE_DEV
	s_and_saveexec_b32 s10, s1
	s_cbranch_execz .LBB138_683
; %bb.680:                              ;   in Loop: Header=BB138_3 Depth=1
	ds_load_b64 v[38:39], v47 offset:11424
	ds_load_b64 v[40:41], v46 offset:11952
	s_wait_dscnt 0x0
	v_fma_f64 v[38:39], v[38:39], v[40:41], 0
	s_and_saveexec_b32 s11, s15
	s_cbranch_execz .LBB138_682
; %bb.681:                              ;   in Loop: Header=BB138_3 Depth=1
	ds_load_b64 v[40:41], v75 offset:11936
	ds_load_b64 v[42:43], v1 offset:11960
	s_wait_dscnt 0x0
	v_fmac_f64_e32 v[38:39], v[40:41], v[42:43]
.LBB138_682:                            ;   in Loop: Header=BB138_3 Depth=1
	s_or_b32 exec_lo, exec_lo, s11
.LBB138_683:                            ;   in Loop: Header=BB138_3 Depth=1
	s_delay_alu instid0(SALU_CYCLE_1)
	s_or_b32 exec_lo, exec_lo, s10
	s_and_saveexec_b32 s10, s90
	s_cbranch_execz .LBB138_685
; %bb.684:                              ;   in Loop: Header=BB138_3 Depth=1
	ds_load_b64 v[40:41], v1 offset:10920
	s_wait_dscnt 0x0
	v_mul_f64_e32 v[38:39], v[38:39], v[40:41]
	s_delay_alu instid0(VALU_DEP_1) | instskip(NEXT) | instid1(VALU_DEP_2)
	v_xor_b32_e32 v41, 0x80000000, v39
	v_mov_b32_e32 v40, v38
	ds_store_b64 v3, v[40:41]
.LBB138_685:                            ;   in Loop: Header=BB138_3 Depth=1
	s_or_b32 exec_lo, exec_lo, s10
	s_wait_loadcnt_dscnt 0x0
	s_barrier_signal -1
	s_barrier_wait -1
	s_and_saveexec_b32 s10, s91
	s_cbranch_execz .LBB138_687
; %bb.686:                              ;   in Loop: Header=BB138_3 Depth=1
	ds_load_b64 v[40:41], v1 offset:10912
	ds_load_b64 v[42:43], v3
	s_wait_dscnt 0x0
	v_fma_f64 v[38:39], -v[40:41], v[42:43], v[38:39]
.LBB138_687:                            ;   in Loop: Header=BB138_3 Depth=1
	s_or_b32 exec_lo, exec_lo, s10
	s_barrier_signal -1
	s_barrier_wait -1
	s_and_saveexec_b32 s10, s91
	s_cbranch_execz .LBB138_689
; %bb.688:                              ;   in Loop: Header=BB138_3 Depth=1
	ds_load_b64 v[40:41], v1 offset:10400
	s_wait_dscnt 0x0
	v_mul_f64_e32 v[38:39], v[38:39], v[40:41]
	s_delay_alu instid0(VALU_DEP_1) | instskip(NEXT) | instid1(VALU_DEP_2)
	v_xor_b32_e32 v41, 0x80000000, v39
	v_mov_b32_e32 v40, v38
	ds_store_b64 v3, v[40:41]
.LBB138_689:                            ;   in Loop: Header=BB138_3 Depth=1
	s_or_b32 exec_lo, exec_lo, s10
	s_wait_dscnt 0x0
	s_barrier_signal -1
	s_barrier_wait -1
	s_barrier_signal -1
	s_barrier_wait -1
	s_and_saveexec_b32 s10, s1
; %bb.690:                              ;   in Loop: Header=BB138_3 Depth=1
	ds_store_b64 v49, v[38:39] offset:11936
; %bb.691:                              ;   in Loop: Header=BB138_3 Depth=1
	s_or_b32 exec_lo, exec_lo, s10
	s_wait_dscnt 0x0
	s_barrier_signal -1
	s_barrier_wait -1
	s_barrier_signal -1
	s_barrier_wait -1
	s_and_saveexec_b32 s10, s92
	s_cbranch_execz .LBB138_693
; %bb.692:                              ;   in Loop: Header=BB138_3 Depth=1
	ds_load_b64 v[38:39], v76 offset:11424
	s_wait_dscnt 0x0
	ds_store_b64 v75, v[38:39] offset:10416
	ds_load_b64 v[38:39], v76 offset:11432
	s_wait_dscnt 0x0
	ds_store_b64 v75, v[38:39] offset:10928
.LBB138_693:                            ;   in Loop: Header=BB138_3 Depth=1
	s_or_b32 exec_lo, exec_lo, s10
	s_wait_dscnt 0x0
	s_barrier_signal -1
	s_barrier_wait -1
	s_and_saveexec_b32 s10, s14
	s_cbranch_execz .LBB138_695
; %bb.694:                              ;   in Loop: Header=BB138_3 Depth=1
	ds_load_b128 v[38:41], v1 offset:10912
	ds_load_b64 v[42:43], v1 offset:10400
	v_add_nc_u32_e64 v0, 0x2800, 0
	s_wait_dscnt 0x0
	v_mul_f64_e32 v[40:41], v[42:43], v[40:41]
	s_delay_alu instid0(VALU_DEP_1)
	v_mul_f64_e32 v[38:39], v[38:39], v[40:41]
	ds_store_2addr_b64 v0, v[38:39], v[38:39] offset0:21 offset1:84
.LBB138_695:                            ;   in Loop: Header=BB138_3 Depth=1
	s_or_b32 exec_lo, exec_lo, s10
	v_mov_b64_e32 v[38:39], 0
	s_wait_dscnt 0x0
	s_barrier_signal -1
	s_barrier_wait -1
	global_wb scope:SCOPE_DEV
	s_wait_storecnt 0x0
	global_inv scope:SCOPE_DEV
	s_and_saveexec_b32 s10, s3
	s_cbranch_execz .LBB138_701
; %bb.696:                              ;   in Loop: Header=BB138_3 Depth=1
	ds_load_b64 v[38:39], v53 offset:10368
	ds_load_b64 v[40:41], v52 offset:11936
	s_wait_dscnt 0x0
	v_fma_f64 v[38:39], v[38:39], v[40:41], 0
	s_and_saveexec_b32 s11, s16
	s_cbranch_execnz .LBB138_1133
; %bb.697:                              ;   in Loop: Header=BB138_3 Depth=1
	s_or_b32 exec_lo, exec_lo, s11
	s_and_saveexec_b32 s11, s17
	s_cbranch_execnz .LBB138_1134
.LBB138_698:                            ;   in Loop: Header=BB138_3 Depth=1
	s_or_b32 exec_lo, exec_lo, s11
	s_and_saveexec_b32 s11, s1
	s_cbranch_execz .LBB138_700
.LBB138_699:                            ;   in Loop: Header=BB138_3 Depth=1
	ds_load_b64 v[40:41], v78 offset:11904
	ds_load_b64 v[42:43], v1 offset:11960
	s_wait_dscnt 0x0
	v_fmac_f64_e32 v[38:39], v[40:41], v[42:43]
.LBB138_700:                            ;   in Loop: Header=BB138_3 Depth=1
	s_or_b32 exec_lo, exec_lo, s11
.LBB138_701:                            ;   in Loop: Header=BB138_3 Depth=1
	s_delay_alu instid0(SALU_CYCLE_1)
	s_or_b32 exec_lo, exec_lo, s10
	s_and_saveexec_b32 s10, s93
	s_cbranch_execz .LBB138_703
; %bb.702:                              ;   in Loop: Header=BB138_3 Depth=1
	ds_load_b64 v[40:41], v1 offset:9880
	s_wait_dscnt 0x0
	v_mul_f64_e32 v[38:39], v[38:39], v[40:41]
	s_delay_alu instid0(VALU_DEP_1) | instskip(NEXT) | instid1(VALU_DEP_2)
	v_xor_b32_e32 v41, 0x80000000, v39
	v_mov_b32_e32 v40, v38
	ds_store_b64 v51, v[40:41]
.LBB138_703:                            ;   in Loop: Header=BB138_3 Depth=1
	s_or_b32 exec_lo, exec_lo, s10
	s_wait_loadcnt_dscnt 0x0
	s_barrier_signal -1
	s_barrier_wait -1
	s_and_saveexec_b32 s10, s94
	s_cbranch_execz .LBB138_705
; %bb.704:                              ;   in Loop: Header=BB138_3 Depth=1
	ds_load_b64 v[40:41], v53 offset:9856
	ds_load_b64 v[42:43], v51
	s_wait_dscnt 0x0
	v_fma_f64 v[38:39], -v[40:41], v[42:43], v[38:39]
.LBB138_705:                            ;   in Loop: Header=BB138_3 Depth=1
	s_or_b32 exec_lo, exec_lo, s10
	s_barrier_signal -1
	s_barrier_wait -1
	s_and_saveexec_b32 s10, s95
	s_cbranch_execz .LBB138_707
; %bb.706:                              ;   in Loop: Header=BB138_3 Depth=1
	ds_load_b64 v[40:41], v1 offset:9360
	s_wait_dscnt 0x0
	v_mul_f64_e32 v[38:39], v[38:39], v[40:41]
	s_delay_alu instid0(VALU_DEP_1) | instskip(NEXT) | instid1(VALU_DEP_2)
	v_xor_b32_e32 v41, 0x80000000, v39
	v_mov_b32_e32 v40, v38
	ds_store_b64 v51, v[40:41]
.LBB138_707:                            ;   in Loop: Header=BB138_3 Depth=1
	s_or_b32 exec_lo, exec_lo, s10
	s_wait_dscnt 0x0
	s_barrier_signal -1
	s_barrier_wait -1
	s_and_saveexec_b32 s10, s96
	s_cbranch_execz .LBB138_709
; %bb.708:                              ;   in Loop: Header=BB138_3 Depth=1
	ds_load_b64 v[40:41], v53 offset:9344
	ds_load_b64 v[42:43], v51
	s_wait_dscnt 0x0
	v_fma_f64 v[38:39], -v[40:41], v[42:43], v[38:39]
.LBB138_709:                            ;   in Loop: Header=BB138_3 Depth=1
	s_or_b32 exec_lo, exec_lo, s10
	s_barrier_signal -1
	s_barrier_wait -1
	s_and_saveexec_b32 s10, s97
	s_cbranch_execz .LBB138_711
; %bb.710:                              ;   in Loop: Header=BB138_3 Depth=1
	ds_load_b64 v[40:41], v1 offset:8840
	s_wait_dscnt 0x0
	v_mul_f64_e32 v[38:39], v[38:39], v[40:41]
	s_delay_alu instid0(VALU_DEP_1) | instskip(NEXT) | instid1(VALU_DEP_2)
	v_xor_b32_e32 v41, 0x80000000, v39
	v_mov_b32_e32 v40, v38
	ds_store_b64 v51, v[40:41]
.LBB138_711:                            ;   in Loop: Header=BB138_3 Depth=1
	s_or_b32 exec_lo, exec_lo, s10
	s_wait_dscnt 0x0
	;; [unrolled: 26-line block ×3, first 2 shown]
	s_barrier_signal -1
	s_barrier_wait -1
	s_barrier_signal -1
	s_barrier_wait -1
	s_and_saveexec_b32 s10, s3
; %bb.716:                              ;   in Loop: Header=BB138_3 Depth=1
	ds_store_b64 v55, v[38:39] offset:11904
; %bb.717:                              ;   in Loop: Header=BB138_3 Depth=1
	s_or_b32 exec_lo, exec_lo, s10
	s_wait_dscnt 0x0
	s_barrier_signal -1
	s_barrier_wait -1
	s_barrier_signal -1
	s_barrier_wait -1
	s_and_saveexec_b32 s10, s99
	s_cbranch_execz .LBB138_719
; %bb.718:                              ;   in Loop: Header=BB138_3 Depth=1
	ds_load_b64 v[38:39], v80 offset:10368
	s_wait_dscnt 0x0
	ds_store_b64 v83, v[38:39] offset:8352
	ds_load_b64 v[38:39], v80 offset:10376
	s_wait_dscnt 0x0
	ds_store_b64 v83, v[38:39] offset:8864
	;; [unrolled: 3-line block ×4, first 2 shown]
.LBB138_719:                            ;   in Loop: Header=BB138_3 Depth=1
	s_or_b32 exec_lo, exec_lo, s10
	s_wait_dscnt 0x0
	s_barrier_signal -1
	s_barrier_wait -1
	s_and_saveexec_b32 s10, s14
	s_cbranch_execz .LBB138_721
; %bb.720:                              ;   in Loop: Header=BB138_3 Depth=1
	ds_load_b128 v[38:41], v1 offset:9872
	ds_load_b64 v[42:43], v1 offset:9360
	v_add_nc_u32_e64 v0, 0x2000, 0
	s_wait_dscnt 0x0
	v_mul_f64_e32 v[40:41], v[42:43], v[40:41]
	s_delay_alu instid0(VALU_DEP_1)
	v_mul_f64_e32 v[38:39], v[38:39], v[40:41]
	ds_store_2addr_b64 v0, v[38:39], v[38:39] offset0:147 offset1:210
.LBB138_721:                            ;   in Loop: Header=BB138_3 Depth=1
	s_or_b32 exec_lo, exec_lo, s10
	v_mov_b64_e32 v[38:39], 0
	s_wait_dscnt 0x0
	s_barrier_signal -1
	s_barrier_wait -1
	global_wb scope:SCOPE_DEV
	s_wait_storecnt 0x0
	global_inv scope:SCOPE_DEV
	s_and_saveexec_b32 s10, s1
	s_cbranch_execz .LBB138_725
; %bb.722:                              ;   in Loop: Header=BB138_3 Depth=1
	ds_load_b64 v[38:39], v47 offset:9344
	ds_load_b64 v[40:41], v46 offset:9872
	s_wait_dscnt 0x0
	v_fma_f64 v[38:39], v[38:39], v[40:41], 0
	s_and_saveexec_b32 s11, s15
	s_cbranch_execz .LBB138_724
; %bb.723:                              ;   in Loop: Header=BB138_3 Depth=1
	ds_load_b64 v[40:41], v83 offset:9856
	ds_load_b64 v[42:43], v1 offset:9880
	s_wait_dscnt 0x0
	v_fmac_f64_e32 v[38:39], v[40:41], v[42:43]
.LBB138_724:                            ;   in Loop: Header=BB138_3 Depth=1
	s_or_b32 exec_lo, exec_lo, s11
.LBB138_725:                            ;   in Loop: Header=BB138_3 Depth=1
	s_delay_alu instid0(SALU_CYCLE_1)
	s_or_b32 exec_lo, exec_lo, s10
	s_and_saveexec_b32 s10, s90
	s_cbranch_execz .LBB138_727
; %bb.726:                              ;   in Loop: Header=BB138_3 Depth=1
	ds_load_b64 v[40:41], v1 offset:8840
	s_wait_dscnt 0x0
	v_mul_f64_e32 v[38:39], v[38:39], v[40:41]
	s_delay_alu instid0(VALU_DEP_1) | instskip(NEXT) | instid1(VALU_DEP_2)
	v_xor_b32_e32 v41, 0x80000000, v39
	v_mov_b32_e32 v40, v38
	ds_store_b64 v3, v[40:41]
.LBB138_727:                            ;   in Loop: Header=BB138_3 Depth=1
	s_or_b32 exec_lo, exec_lo, s10
	s_wait_loadcnt_dscnt 0x0
	s_barrier_signal -1
	s_barrier_wait -1
	s_and_saveexec_b32 s10, s91
	s_cbranch_execz .LBB138_729
; %bb.728:                              ;   in Loop: Header=BB138_3 Depth=1
	ds_load_b64 v[40:41], v1 offset:8832
	ds_load_b64 v[42:43], v3
	s_wait_dscnt 0x0
	v_fma_f64 v[38:39], -v[40:41], v[42:43], v[38:39]
.LBB138_729:                            ;   in Loop: Header=BB138_3 Depth=1
	s_or_b32 exec_lo, exec_lo, s10
	s_barrier_signal -1
	s_barrier_wait -1
	s_and_saveexec_b32 s10, s91
	s_cbranch_execz .LBB138_731
; %bb.730:                              ;   in Loop: Header=BB138_3 Depth=1
	ds_load_b64 v[40:41], v1 offset:8320
	s_wait_dscnt 0x0
	v_mul_f64_e32 v[38:39], v[38:39], v[40:41]
	s_delay_alu instid0(VALU_DEP_1) | instskip(NEXT) | instid1(VALU_DEP_2)
	v_xor_b32_e32 v41, 0x80000000, v39
	v_mov_b32_e32 v40, v38
	ds_store_b64 v3, v[40:41]
.LBB138_731:                            ;   in Loop: Header=BB138_3 Depth=1
	s_or_b32 exec_lo, exec_lo, s10
	s_wait_dscnt 0x0
	s_barrier_signal -1
	s_barrier_wait -1
	s_barrier_signal -1
	s_barrier_wait -1
	s_and_saveexec_b32 s10, s1
; %bb.732:                              ;   in Loop: Header=BB138_3 Depth=1
	ds_store_b64 v49, v[38:39] offset:9856
; %bb.733:                              ;   in Loop: Header=BB138_3 Depth=1
	s_or_b32 exec_lo, exec_lo, s10
	s_wait_dscnt 0x0
	s_barrier_signal -1
	s_barrier_wait -1
	s_barrier_signal -1
	s_barrier_wait -1
	s_and_saveexec_b32 s10, s92
	s_cbranch_execz .LBB138_735
; %bb.734:                              ;   in Loop: Header=BB138_3 Depth=1
	ds_load_b64 v[38:39], v85 offset:9344
	s_wait_dscnt 0x0
	ds_store_b64 v83, v[38:39] offset:8336
	ds_load_b64 v[38:39], v85 offset:9352
	s_wait_dscnt 0x0
	ds_store_b64 v83, v[38:39] offset:8848
.LBB138_735:                            ;   in Loop: Header=BB138_3 Depth=1
	s_or_b32 exec_lo, exec_lo, s10
	s_wait_dscnt 0x0
	s_barrier_signal -1
	s_barrier_wait -1
	s_and_saveexec_b32 s10, s14
	s_cbranch_execz .LBB138_737
; %bb.736:                              ;   in Loop: Header=BB138_3 Depth=1
	ds_load_b128 v[38:41], v1 offset:8832
	ds_load_b64 v[42:43], v1 offset:8320
	v_add_nc_u32_e64 v0, 0x2000, 0
	s_wait_dscnt 0x0
	v_mul_f64_e32 v[40:41], v[42:43], v[40:41]
	s_delay_alu instid0(VALU_DEP_1)
	v_mul_f64_e32 v[38:39], v[38:39], v[40:41]
	ds_store_2addr_b64 v0, v[38:39], v[38:39] offset0:17 offset1:80
.LBB138_737:                            ;   in Loop: Header=BB138_3 Depth=1
	s_or_b32 exec_lo, exec_lo, s10
	v_mov_b64_e32 v[38:39], 0
	s_wait_dscnt 0x0
	s_barrier_signal -1
	s_barrier_wait -1
	global_wb scope:SCOPE_DEV
	s_wait_storecnt 0x0
	global_inv scope:SCOPE_DEV
	s_and_saveexec_b32 s65, s5
	s_cbranch_execz .LBB138_765
; %bb.738:                              ;   in Loop: Header=BB138_3 Depth=1
	ds_load_b64 v[38:39], v63 offset:8192
	ds_load_b64 v[40:41], v62 offset:16000
	s_wait_dscnt 0x0
	v_fma_f64 v[38:39], v[38:39], v[40:41], 0
	s_mov_b32 s10, exec_lo
	v_readlane_b32 s11, v101, 23
	s_and_b32 s11, s10, s11
	s_delay_alu instid0(SALU_CYCLE_1)
	s_mov_b32 exec_lo, s11
	s_cbranch_execz .LBB138_740
; %bb.739:                              ;   in Loop: Header=BB138_3 Depth=1
	ds_load_b64 v[40:41], v63 offset:8704
	ds_load_b64 v[42:43], v62 offset:16008
	s_wait_dscnt 0x0
	v_fmac_f64_e32 v[38:39], v[40:41], v[42:43]
.LBB138_740:                            ;   in Loop: Header=BB138_3 Depth=1
	s_or_b32 exec_lo, exec_lo, s10
	s_delay_alu instid0(SALU_CYCLE_1) | instskip(SKIP_2) | instid1(SALU_CYCLE_1)
	s_mov_b32 s10, exec_lo
	v_readlane_b32 s11, v101, 24
	s_and_b32 s11, s10, s11
	s_mov_b32 exec_lo, s11
	s_cbranch_execz .LBB138_742
; %bb.741:                              ;   in Loop: Header=BB138_3 Depth=1
	ds_load_b64 v[40:41], v63 offset:9216
	ds_load_b64 v[42:43], v62 offset:16016
	s_wait_dscnt 0x0
	v_fmac_f64_e32 v[38:39], v[40:41], v[42:43]
.LBB138_742:                            ;   in Loop: Header=BB138_3 Depth=1
	s_or_b32 exec_lo, exec_lo, s10
	s_delay_alu instid0(SALU_CYCLE_1) | instskip(SKIP_2) | instid1(SALU_CYCLE_1)
	s_mov_b32 s10, exec_lo
	v_readlane_b32 s11, v101, 25
	s_and_b32 s11, s10, s11
	;; [unrolled: 13-line block ×10, first 2 shown]
	s_mov_b32 exec_lo, s11
	s_cbranch_execnz .LBB138_1135
; %bb.759:                              ;   in Loop: Header=BB138_3 Depth=1
	s_or_b32 exec_lo, exec_lo, s10
	s_and_saveexec_b32 s10, s4
	s_cbranch_execnz .LBB138_1136
.LBB138_760:                            ;   in Loop: Header=BB138_3 Depth=1
	s_or_b32 exec_lo, exec_lo, s10
	s_and_saveexec_b32 s10, s19
	s_cbranch_execnz .LBB138_1137
.LBB138_761:                            ;   in Loop: Header=BB138_3 Depth=1
	s_or_b32 exec_lo, exec_lo, s10
	s_and_saveexec_b32 s10, s21
	s_cbranch_execnz .LBB138_1138
.LBB138_762:                            ;   in Loop: Header=BB138_3 Depth=1
	s_or_b32 exec_lo, exec_lo, s10
	s_and_saveexec_b32 s10, s3
	s_cbranch_execz .LBB138_764
.LBB138_763:                            ;   in Loop: Header=BB138_3 Depth=1
	ds_load_b64 v[40:41], v48 offset:15872
	ds_load_b64 v[42:43], v1 offset:16120
	s_wait_dscnt 0x0
	v_fmac_f64_e32 v[38:39], v[40:41], v[42:43]
.LBB138_764:                            ;   in Loop: Header=BB138_3 Depth=1
	s_or_b32 exec_lo, exec_lo, s10
.LBB138_765:                            ;   in Loop: Header=BB138_3 Depth=1
	s_delay_alu instid0(SALU_CYCLE_1) | instskip(NEXT) | instid1(SALU_CYCLE_1)
	s_or_b32 exec_lo, exec_lo, s65
	s_mov_b32 s10, exec_lo
	v_readlane_b32 s11, v101, 2
	s_and_b32 s11, s10, s11
	s_delay_alu instid0(SALU_CYCLE_1)
	s_mov_b32 exec_lo, s11
	s_cbranch_execz .LBB138_767
; %bb.766:                              ;   in Loop: Header=BB138_3 Depth=1
	ds_load_b64 v[40:41], v1 offset:7800
	s_wait_dscnt 0x0
	v_mul_f64_e32 v[38:39], v[38:39], v[40:41]
	s_delay_alu instid0(VALU_DEP_1) | instskip(NEXT) | instid1(VALU_DEP_2)
	v_xor_b32_e32 v41, 0x80000000, v39
	v_mov_b32_e32 v40, v38
	ds_store_b64 v61, v[40:41]
.LBB138_767:                            ;   in Loop: Header=BB138_3 Depth=1
	s_or_b32 exec_lo, exec_lo, s10
	s_wait_loadcnt_dscnt 0x0
	s_barrier_signal -1
	s_barrier_wait -1
	s_mov_b32 s10, exec_lo
	v_readlane_b32 s11, v101, 3
	s_and_b32 s11, s10, s11
	s_delay_alu instid0(SALU_CYCLE_1)
	s_mov_b32 exec_lo, s11
	s_cbranch_execz .LBB138_769
; %bb.768:                              ;   in Loop: Header=BB138_3 Depth=1
	ds_load_b64 v[40:41], v63 offset:7680
	ds_load_b64 v[42:43], v61
	s_wait_dscnt 0x0
	v_fma_f64 v[38:39], -v[40:41], v[42:43], v[38:39]
.LBB138_769:                            ;   in Loop: Header=BB138_3 Depth=1
	s_or_b32 exec_lo, exec_lo, s10
	s_barrier_signal -1
	s_barrier_wait -1
	s_mov_b32 s10, exec_lo
	v_readlane_b32 s11, v101, 4
	s_and_b32 s11, s10, s11
	s_delay_alu instid0(SALU_CYCLE_1)
	s_mov_b32 exec_lo, s11
	s_cbranch_execz .LBB138_771
; %bb.770:                              ;   in Loop: Header=BB138_3 Depth=1
	ds_load_b64 v[40:41], v1 offset:7280
	s_wait_dscnt 0x0
	v_mul_f64_e32 v[38:39], v[38:39], v[40:41]
	s_delay_alu instid0(VALU_DEP_1) | instskip(NEXT) | instid1(VALU_DEP_2)
	v_xor_b32_e32 v41, 0x80000000, v39
	v_mov_b32_e32 v40, v38
	ds_store_b64 v61, v[40:41]
.LBB138_771:                            ;   in Loop: Header=BB138_3 Depth=1
	s_or_b32 exec_lo, exec_lo, s10
	s_wait_dscnt 0x0
	s_barrier_signal -1
	s_barrier_wait -1
	s_and_saveexec_b32 s10, s48
	s_cbranch_execz .LBB138_773
; %bb.772:                              ;   in Loop: Header=BB138_3 Depth=1
	ds_load_b64 v[40:41], v63 offset:7168
	ds_load_b64 v[42:43], v61
	s_wait_dscnt 0x0
	v_fma_f64 v[38:39], -v[40:41], v[42:43], v[38:39]
.LBB138_773:                            ;   in Loop: Header=BB138_3 Depth=1
	s_or_b32 exec_lo, exec_lo, s10
	s_barrier_signal -1
	s_barrier_wait -1
	s_and_saveexec_b32 s10, s49
	s_cbranch_execz .LBB138_775
; %bb.774:                              ;   in Loop: Header=BB138_3 Depth=1
	ds_load_b64 v[40:41], v1 offset:6760
	s_wait_dscnt 0x0
	v_mul_f64_e32 v[38:39], v[38:39], v[40:41]
	s_delay_alu instid0(VALU_DEP_1) | instskip(NEXT) | instid1(VALU_DEP_2)
	v_xor_b32_e32 v41, 0x80000000, v39
	v_mov_b32_e32 v40, v38
	ds_store_b64 v61, v[40:41]
.LBB138_775:                            ;   in Loop: Header=BB138_3 Depth=1
	s_or_b32 exec_lo, exec_lo, s10
	s_wait_dscnt 0x0
	s_barrier_signal -1
	s_barrier_wait -1
	s_and_saveexec_b32 s10, s50
	s_cbranch_execz .LBB138_777
; %bb.776:                              ;   in Loop: Header=BB138_3 Depth=1
	ds_load_b64 v[40:41], v63 offset:6656
	ds_load_b64 v[42:43], v61
	s_wait_dscnt 0x0
	v_fma_f64 v[38:39], -v[40:41], v[42:43], v[38:39]
.LBB138_777:                            ;   in Loop: Header=BB138_3 Depth=1
	s_or_b32 exec_lo, exec_lo, s10
	s_barrier_signal -1
	s_barrier_wait -1
	s_and_saveexec_b32 s10, s51
	;; [unrolled: 26-line block ×14, first 2 shown]
	s_cbranch_execz .LBB138_827
; %bb.826:                              ;   in Loop: Header=BB138_3 Depth=1
	ds_load_b64 v[40:41], v1
	s_wait_dscnt 0x0
	v_mul_f64_e32 v[38:39], v[38:39], v[40:41]
	s_delay_alu instid0(VALU_DEP_1) | instskip(NEXT) | instid1(VALU_DEP_2)
	v_xor_b32_e32 v41, 0x80000000, v39
	v_mov_b32_e32 v40, v38
	ds_store_b64 v61, v[40:41]
.LBB138_827:                            ;   in Loop: Header=BB138_3 Depth=1
	s_or_b32 exec_lo, exec_lo, s10
	s_wait_dscnt 0x0
	s_barrier_signal -1
	s_barrier_wait -1
	s_barrier_signal -1
	s_barrier_wait -1
	s_and_saveexec_b32 s10, s5
; %bb.828:                              ;   in Loop: Header=BB138_3 Depth=1
	ds_store_b64 v65, v[38:39] offset:15872
; %bb.829:                              ;   in Loop: Header=BB138_3 Depth=1
	s_or_b32 exec_lo, exec_lo, s10
	s_wait_dscnt 0x0
	s_barrier_signal -1
	s_barrier_wait -1
	s_barrier_signal -1
	s_barrier_wait -1
	s_and_saveexec_b32 s10, s84
	s_cbranch_execz .LBB138_831
; %bb.830:                              ;   in Loop: Header=BB138_3 Depth=1
	ds_load_b64 v[38:39], v50 offset:8192
	s_wait_dscnt 0x0
	ds_store_b64 v54, v[38:39] offset:128
	ds_load_b64 v[38:39], v50 offset:8200
	s_wait_dscnt 0x0
	ds_store_b64 v54, v[38:39] offset:640
	;; [unrolled: 3-line block ×16, first 2 shown]
.LBB138_831:                            ;   in Loop: Header=BB138_3 Depth=1
	s_or_b32 exec_lo, exec_lo, s10
	s_wait_dscnt 0x0
	s_barrier_signal -1
	s_barrier_wait -1
	s_and_saveexec_b32 s10, s14
	s_cbranch_execz .LBB138_833
; %bb.832:                              ;   in Loop: Header=BB138_3 Depth=1
	ds_load_b128 v[38:41], v1 offset:7792
	ds_load_b64 v[42:43], v1 offset:7280
	v_add_nc_u32_e64 v0, 0x1800, 0
	s_wait_dscnt 0x0
	v_mul_f64_e32 v[40:41], v[42:43], v[40:41]
	s_delay_alu instid0(VALU_DEP_1)
	v_mul_f64_e32 v[38:39], v[38:39], v[40:41]
	ds_store_2addr_b64 v0, v[38:39], v[38:39] offset0:143 offset1:206
.LBB138_833:                            ;   in Loop: Header=BB138_3 Depth=1
	s_or_b32 exec_lo, exec_lo, s10
	v_mov_b64_e32 v[38:39], 0
	s_wait_dscnt 0x0
	s_barrier_signal -1
	s_barrier_wait -1
	global_wb scope:SCOPE_DEV
	s_wait_storecnt 0x0
	global_inv scope:SCOPE_DEV
	s_and_saveexec_b32 s10, s1
	s_cbranch_execz .LBB138_837
; %bb.834:                              ;   in Loop: Header=BB138_3 Depth=1
	ds_load_b64 v[38:39], v47 offset:7264
	ds_load_b64 v[40:41], v46 offset:7792
	s_wait_dscnt 0x0
	v_fma_f64 v[38:39], v[38:39], v[40:41], 0
	s_and_saveexec_b32 s11, s15
	s_cbranch_execz .LBB138_836
; %bb.835:                              ;   in Loop: Header=BB138_3 Depth=1
	ds_load_b64 v[40:41], v48 offset:7776
	ds_load_b64 v[42:43], v1 offset:7800
	s_wait_dscnt 0x0
	v_fmac_f64_e32 v[38:39], v[40:41], v[42:43]
.LBB138_836:                            ;   in Loop: Header=BB138_3 Depth=1
	s_or_b32 exec_lo, exec_lo, s11
.LBB138_837:                            ;   in Loop: Header=BB138_3 Depth=1
	s_delay_alu instid0(SALU_CYCLE_1)
	s_or_b32 exec_lo, exec_lo, s10
	s_and_saveexec_b32 s10, s90
	s_cbranch_execz .LBB138_839
; %bb.838:                              ;   in Loop: Header=BB138_3 Depth=1
	ds_load_b64 v[40:41], v1 offset:6760
	s_wait_dscnt 0x0
	v_mul_f64_e32 v[38:39], v[38:39], v[40:41]
	s_delay_alu instid0(VALU_DEP_1) | instskip(NEXT) | instid1(VALU_DEP_2)
	v_xor_b32_e32 v41, 0x80000000, v39
	v_mov_b32_e32 v40, v38
	ds_store_b64 v3, v[40:41]
.LBB138_839:                            ;   in Loop: Header=BB138_3 Depth=1
	s_or_b32 exec_lo, exec_lo, s10
	s_wait_loadcnt_dscnt 0x0
	s_barrier_signal -1
	s_barrier_wait -1
	s_and_saveexec_b32 s10, s91
	s_cbranch_execz .LBB138_841
; %bb.840:                              ;   in Loop: Header=BB138_3 Depth=1
	ds_load_b64 v[40:41], v1 offset:6752
	ds_load_b64 v[42:43], v3
	s_wait_dscnt 0x0
	v_fma_f64 v[38:39], -v[40:41], v[42:43], v[38:39]
.LBB138_841:                            ;   in Loop: Header=BB138_3 Depth=1
	s_or_b32 exec_lo, exec_lo, s10
	s_barrier_signal -1
	s_barrier_wait -1
	s_and_saveexec_b32 s10, s91
	s_cbranch_execz .LBB138_843
; %bb.842:                              ;   in Loop: Header=BB138_3 Depth=1
	ds_load_b64 v[40:41], v1 offset:6240
	s_wait_dscnt 0x0
	v_mul_f64_e32 v[38:39], v[38:39], v[40:41]
	s_delay_alu instid0(VALU_DEP_1) | instskip(NEXT) | instid1(VALU_DEP_2)
	v_xor_b32_e32 v41, 0x80000000, v39
	v_mov_b32_e32 v40, v38
	ds_store_b64 v3, v[40:41]
.LBB138_843:                            ;   in Loop: Header=BB138_3 Depth=1
	s_or_b32 exec_lo, exec_lo, s10
	s_wait_dscnt 0x0
	s_barrier_signal -1
	s_barrier_wait -1
	s_barrier_signal -1
	s_barrier_wait -1
	s_and_saveexec_b32 s10, s1
; %bb.844:                              ;   in Loop: Header=BB138_3 Depth=1
	ds_store_b64 v49, v[38:39] offset:7776
; %bb.845:                              ;   in Loop: Header=BB138_3 Depth=1
	s_or_b32 exec_lo, exec_lo, s10
	s_wait_dscnt 0x0
	s_barrier_signal -1
	s_barrier_wait -1
	s_barrier_signal -1
	s_barrier_wait -1
	s_and_saveexec_b32 s10, s92
	s_cbranch_execz .LBB138_847
; %bb.846:                              ;   in Loop: Header=BB138_3 Depth=1
	ds_load_b64 v[38:39], v50 offset:7264
	s_wait_dscnt 0x0
	ds_store_b64 v48, v[38:39] offset:6256
	ds_load_b64 v[38:39], v50 offset:7272
	s_wait_dscnt 0x0
	ds_store_b64 v48, v[38:39] offset:6768
.LBB138_847:                            ;   in Loop: Header=BB138_3 Depth=1
	s_or_b32 exec_lo, exec_lo, s10
	s_wait_dscnt 0x0
	s_barrier_signal -1
	s_barrier_wait -1
	s_and_saveexec_b32 s10, s14
	s_cbranch_execz .LBB138_849
; %bb.848:                              ;   in Loop: Header=BB138_3 Depth=1
	ds_load_b128 v[38:41], v1 offset:6752
	ds_load_b64 v[42:43], v1 offset:6240
	v_add_nc_u32_e64 v0, 0x1800, 0
	s_wait_dscnt 0x0
	v_mul_f64_e32 v[40:41], v[42:43], v[40:41]
	s_delay_alu instid0(VALU_DEP_1)
	v_mul_f64_e32 v[38:39], v[38:39], v[40:41]
	ds_store_2addr_b64 v0, v[38:39], v[38:39] offset0:13 offset1:76
.LBB138_849:                            ;   in Loop: Header=BB138_3 Depth=1
	s_or_b32 exec_lo, exec_lo, s10
	v_mov_b64_e32 v[38:39], 0
	s_wait_dscnt 0x0
	s_barrier_signal -1
	s_barrier_wait -1
	global_wb scope:SCOPE_DEV
	s_wait_storecnt 0x0
	global_inv scope:SCOPE_DEV
	s_and_saveexec_b32 s10, s3
	s_cbranch_execz .LBB138_855
; %bb.850:                              ;   in Loop: Header=BB138_3 Depth=1
	ds_load_b64 v[38:39], v53 offset:6208
	ds_load_b64 v[40:41], v52 offset:7776
	s_wait_dscnt 0x0
	v_fma_f64 v[38:39], v[38:39], v[40:41], 0
	s_and_saveexec_b32 s11, s16
	s_cbranch_execnz .LBB138_1139
; %bb.851:                              ;   in Loop: Header=BB138_3 Depth=1
	s_or_b32 exec_lo, exec_lo, s11
	s_and_saveexec_b32 s11, s17
	s_cbranch_execnz .LBB138_1140
.LBB138_852:                            ;   in Loop: Header=BB138_3 Depth=1
	s_or_b32 exec_lo, exec_lo, s11
	s_and_saveexec_b32 s11, s1
	s_cbranch_execz .LBB138_854
.LBB138_853:                            ;   in Loop: Header=BB138_3 Depth=1
	ds_load_b64 v[40:41], v54 offset:7744
	ds_load_b64 v[42:43], v1 offset:7800
	s_wait_dscnt 0x0
	v_fmac_f64_e32 v[38:39], v[40:41], v[42:43]
.LBB138_854:                            ;   in Loop: Header=BB138_3 Depth=1
	s_or_b32 exec_lo, exec_lo, s11
.LBB138_855:                            ;   in Loop: Header=BB138_3 Depth=1
	s_delay_alu instid0(SALU_CYCLE_1)
	s_or_b32 exec_lo, exec_lo, s10
	s_and_saveexec_b32 s10, s93
	s_cbranch_execz .LBB138_857
; %bb.856:                              ;   in Loop: Header=BB138_3 Depth=1
	ds_load_b64 v[40:41], v1 offset:5720
	s_wait_dscnt 0x0
	v_mul_f64_e32 v[38:39], v[38:39], v[40:41]
	s_delay_alu instid0(VALU_DEP_1) | instskip(NEXT) | instid1(VALU_DEP_2)
	v_xor_b32_e32 v41, 0x80000000, v39
	v_mov_b32_e32 v40, v38
	ds_store_b64 v51, v[40:41]
.LBB138_857:                            ;   in Loop: Header=BB138_3 Depth=1
	s_or_b32 exec_lo, exec_lo, s10
	s_wait_loadcnt_dscnt 0x0
	s_barrier_signal -1
	s_barrier_wait -1
	s_and_saveexec_b32 s10, s94
	s_cbranch_execz .LBB138_859
; %bb.858:                              ;   in Loop: Header=BB138_3 Depth=1
	ds_load_b64 v[40:41], v53 offset:5696
	ds_load_b64 v[42:43], v51
	s_wait_dscnt 0x0
	v_fma_f64 v[38:39], -v[40:41], v[42:43], v[38:39]
.LBB138_859:                            ;   in Loop: Header=BB138_3 Depth=1
	s_or_b32 exec_lo, exec_lo, s10
	s_barrier_signal -1
	s_barrier_wait -1
	s_and_saveexec_b32 s10, s95
	s_cbranch_execz .LBB138_861
; %bb.860:                              ;   in Loop: Header=BB138_3 Depth=1
	ds_load_b64 v[40:41], v1 offset:5200
	s_wait_dscnt 0x0
	v_mul_f64_e32 v[38:39], v[38:39], v[40:41]
	s_delay_alu instid0(VALU_DEP_1) | instskip(NEXT) | instid1(VALU_DEP_2)
	v_xor_b32_e32 v41, 0x80000000, v39
	v_mov_b32_e32 v40, v38
	ds_store_b64 v51, v[40:41]
.LBB138_861:                            ;   in Loop: Header=BB138_3 Depth=1
	s_or_b32 exec_lo, exec_lo, s10
	s_wait_dscnt 0x0
	s_barrier_signal -1
	s_barrier_wait -1
	s_and_saveexec_b32 s10, s96
	s_cbranch_execz .LBB138_863
; %bb.862:                              ;   in Loop: Header=BB138_3 Depth=1
	ds_load_b64 v[40:41], v53 offset:5184
	ds_load_b64 v[42:43], v51
	s_wait_dscnt 0x0
	v_fma_f64 v[38:39], -v[40:41], v[42:43], v[38:39]
.LBB138_863:                            ;   in Loop: Header=BB138_3 Depth=1
	s_or_b32 exec_lo, exec_lo, s10
	s_barrier_signal -1
	s_barrier_wait -1
	s_and_saveexec_b32 s10, s97
	s_cbranch_execz .LBB138_865
; %bb.864:                              ;   in Loop: Header=BB138_3 Depth=1
	ds_load_b64 v[40:41], v1 offset:4680
	s_wait_dscnt 0x0
	v_mul_f64_e32 v[38:39], v[38:39], v[40:41]
	s_delay_alu instid0(VALU_DEP_1) | instskip(NEXT) | instid1(VALU_DEP_2)
	v_xor_b32_e32 v41, 0x80000000, v39
	v_mov_b32_e32 v40, v38
	ds_store_b64 v51, v[40:41]
.LBB138_865:                            ;   in Loop: Header=BB138_3 Depth=1
	s_or_b32 exec_lo, exec_lo, s10
	s_wait_dscnt 0x0
	;; [unrolled: 26-line block ×3, first 2 shown]
	s_barrier_signal -1
	s_barrier_wait -1
	s_barrier_signal -1
	s_barrier_wait -1
	s_and_saveexec_b32 s10, s3
; %bb.870:                              ;   in Loop: Header=BB138_3 Depth=1
	ds_store_b64 v55, v[38:39] offset:7744
; %bb.871:                              ;   in Loop: Header=BB138_3 Depth=1
	s_or_b32 exec_lo, exec_lo, s10
	s_wait_dscnt 0x0
	s_barrier_signal -1
	s_barrier_wait -1
	s_barrier_signal -1
	s_barrier_wait -1
	s_and_saveexec_b32 s10, s99
	s_cbranch_execz .LBB138_873
; %bb.872:                              ;   in Loop: Header=BB138_3 Depth=1
	ds_load_b64 v[38:39], v56 offset:6208
	s_wait_dscnt 0x0
	ds_store_b64 v5, v[38:39] offset:4192
	ds_load_b64 v[38:39], v56 offset:6216
	s_wait_dscnt 0x0
	ds_store_b64 v5, v[38:39] offset:4704
	;; [unrolled: 3-line block ×4, first 2 shown]
.LBB138_873:                            ;   in Loop: Header=BB138_3 Depth=1
	s_or_b32 exec_lo, exec_lo, s10
	s_wait_dscnt 0x0
	s_barrier_signal -1
	s_barrier_wait -1
	s_and_saveexec_b32 s10, s14
	s_cbranch_execz .LBB138_875
; %bb.874:                              ;   in Loop: Header=BB138_3 Depth=1
	ds_load_b128 v[38:41], v1 offset:5712
	ds_load_b64 v[42:43], v1 offset:5200
	v_add_nc_u32_e64 v0, 0x1000, 0
	s_wait_dscnt 0x0
	v_mul_f64_e32 v[40:41], v[42:43], v[40:41]
	s_delay_alu instid0(VALU_DEP_1)
	v_mul_f64_e32 v[38:39], v[38:39], v[40:41]
	ds_store_2addr_b64 v0, v[38:39], v[38:39] offset0:139 offset1:202
.LBB138_875:                            ;   in Loop: Header=BB138_3 Depth=1
	s_or_b32 exec_lo, exec_lo, s10
	v_mov_b64_e32 v[38:39], 0
	s_wait_dscnt 0x0
	s_barrier_signal -1
	s_barrier_wait -1
	global_wb scope:SCOPE_DEV
	s_wait_storecnt 0x0
	global_inv scope:SCOPE_DEV
	s_and_saveexec_b32 s10, s1
	s_cbranch_execz .LBB138_879
; %bb.876:                              ;   in Loop: Header=BB138_3 Depth=1
	ds_load_b64 v[38:39], v47 offset:5184
	ds_load_b64 v[40:41], v46 offset:5712
	s_wait_dscnt 0x0
	v_fma_f64 v[38:39], v[38:39], v[40:41], 0
	s_and_saveexec_b32 s11, s15
	s_cbranch_execz .LBB138_878
; %bb.877:                              ;   in Loop: Header=BB138_3 Depth=1
	ds_load_b64 v[40:41], v5 offset:5696
	ds_load_b64 v[42:43], v1 offset:5720
	s_wait_dscnt 0x0
	v_fmac_f64_e32 v[38:39], v[40:41], v[42:43]
.LBB138_878:                            ;   in Loop: Header=BB138_3 Depth=1
	s_or_b32 exec_lo, exec_lo, s11
.LBB138_879:                            ;   in Loop: Header=BB138_3 Depth=1
	s_delay_alu instid0(SALU_CYCLE_1)
	s_or_b32 exec_lo, exec_lo, s10
	s_and_saveexec_b32 s10, s90
	s_cbranch_execz .LBB138_881
; %bb.880:                              ;   in Loop: Header=BB138_3 Depth=1
	ds_load_b64 v[40:41], v1 offset:4680
	s_wait_dscnt 0x0
	v_mul_f64_e32 v[38:39], v[38:39], v[40:41]
	s_delay_alu instid0(VALU_DEP_1) | instskip(NEXT) | instid1(VALU_DEP_2)
	v_xor_b32_e32 v41, 0x80000000, v39
	v_mov_b32_e32 v40, v38
	ds_store_b64 v3, v[40:41]
.LBB138_881:                            ;   in Loop: Header=BB138_3 Depth=1
	s_or_b32 exec_lo, exec_lo, s10
	s_wait_loadcnt_dscnt 0x0
	s_barrier_signal -1
	s_barrier_wait -1
	s_and_saveexec_b32 s10, s91
	s_cbranch_execz .LBB138_883
; %bb.882:                              ;   in Loop: Header=BB138_3 Depth=1
	ds_load_b64 v[40:41], v1 offset:4672
	ds_load_b64 v[42:43], v3
	s_wait_dscnt 0x0
	v_fma_f64 v[38:39], -v[40:41], v[42:43], v[38:39]
.LBB138_883:                            ;   in Loop: Header=BB138_3 Depth=1
	s_or_b32 exec_lo, exec_lo, s10
	s_barrier_signal -1
	s_barrier_wait -1
	s_and_saveexec_b32 s10, s91
	s_cbranch_execz .LBB138_885
; %bb.884:                              ;   in Loop: Header=BB138_3 Depth=1
	ds_load_b64 v[40:41], v1 offset:4160
	s_wait_dscnt 0x0
	v_mul_f64_e32 v[38:39], v[38:39], v[40:41]
	s_delay_alu instid0(VALU_DEP_1) | instskip(NEXT) | instid1(VALU_DEP_2)
	v_xor_b32_e32 v41, 0x80000000, v39
	v_mov_b32_e32 v40, v38
	ds_store_b64 v3, v[40:41]
.LBB138_885:                            ;   in Loop: Header=BB138_3 Depth=1
	s_or_b32 exec_lo, exec_lo, s10
	s_wait_dscnt 0x0
	s_barrier_signal -1
	s_barrier_wait -1
	s_barrier_signal -1
	s_barrier_wait -1
	s_and_saveexec_b32 s10, s1
; %bb.886:                              ;   in Loop: Header=BB138_3 Depth=1
	ds_store_b64 v49, v[38:39] offset:5696
; %bb.887:                              ;   in Loop: Header=BB138_3 Depth=1
	s_or_b32 exec_lo, exec_lo, s10
	s_wait_dscnt 0x0
	s_barrier_signal -1
	s_barrier_wait -1
	s_barrier_signal -1
	s_barrier_wait -1
	s_and_saveexec_b32 s10, s92
	s_cbranch_execz .LBB138_889
; %bb.888:                              ;   in Loop: Header=BB138_3 Depth=1
	ds_load_b64 v[38:39], v71 offset:5184
	s_wait_dscnt 0x0
	ds_store_b64 v5, v[38:39] offset:4176
	ds_load_b64 v[38:39], v71 offset:5192
	s_wait_dscnt 0x0
	ds_store_b64 v5, v[38:39] offset:4688
.LBB138_889:                            ;   in Loop: Header=BB138_3 Depth=1
	s_or_b32 exec_lo, exec_lo, s10
	s_wait_dscnt 0x0
	s_barrier_signal -1
	s_barrier_wait -1
	s_and_saveexec_b32 s10, s14
	s_cbranch_execz .LBB138_891
; %bb.890:                              ;   in Loop: Header=BB138_3 Depth=1
	ds_load_b128 v[38:41], v1 offset:4672
	ds_load_b64 v[42:43], v1 offset:4160
	v_add_nc_u32_e64 v0, 0x1000, 0
	s_wait_dscnt 0x0
	v_mul_f64_e32 v[40:41], v[42:43], v[40:41]
	s_delay_alu instid0(VALU_DEP_1)
	v_mul_f64_e32 v[38:39], v[38:39], v[40:41]
	ds_store_2addr_b64 v0, v[38:39], v[38:39] offset0:9 offset1:72
.LBB138_891:                            ;   in Loop: Header=BB138_3 Depth=1
	s_or_b32 exec_lo, exec_lo, s10
	v_mov_b64_e32 v[38:39], 0
	s_wait_dscnt 0x0
	s_barrier_signal -1
	s_barrier_wait -1
	global_wb scope:SCOPE_DEV
	s_wait_storecnt 0x0
	global_inv scope:SCOPE_DEV
	s_and_saveexec_b32 s10, s4
	s_cbranch_execz .LBB138_901
; %bb.892:                              ;   in Loop: Header=BB138_3 Depth=1
	ds_load_b64 v[38:39], v59 offset:4096
	ds_load_b64 v[40:41], v58 offset:7744
	s_wait_dscnt 0x0
	v_fma_f64 v[38:39], v[38:39], v[40:41], 0
	s_and_saveexec_b32 s11, s18
	s_cbranch_execnz .LBB138_1141
; %bb.893:                              ;   in Loop: Header=BB138_3 Depth=1
	s_or_b32 exec_lo, exec_lo, s11
	s_and_saveexec_b32 s11, s19
	s_cbranch_execnz .LBB138_1142
.LBB138_894:                            ;   in Loop: Header=BB138_3 Depth=1
	s_or_b32 exec_lo, exec_lo, s11
	s_and_saveexec_b32 s11, s20
	s_cbranch_execnz .LBB138_1143
.LBB138_895:                            ;   in Loop: Header=BB138_3 Depth=1
	s_or_b32 exec_lo, exec_lo, s11
	s_and_saveexec_b32 s11, s21
	s_cbranch_execnz .LBB138_1144
.LBB138_896:                            ;   in Loop: Header=BB138_3 Depth=1
	s_or_b32 exec_lo, exec_lo, s11
	s_and_saveexec_b32 s11, s22
	s_cbranch_execnz .LBB138_1145
.LBB138_897:                            ;   in Loop: Header=BB138_3 Depth=1
	s_or_b32 exec_lo, exec_lo, s11
	s_and_saveexec_b32 s11, s3
	s_cbranch_execnz .LBB138_1146
.LBB138_898:                            ;   in Loop: Header=BB138_3 Depth=1
	s_or_b32 exec_lo, exec_lo, s11
	s_and_saveexec_b32 s11, s17
	s_cbranch_execz .LBB138_900
.LBB138_899:                            ;   in Loop: Header=BB138_3 Depth=1
	ds_load_b64 v[40:41], v72 offset:7680
	ds_load_b64 v[42:43], v1 offset:7800
	s_wait_dscnt 0x0
	v_fmac_f64_e32 v[38:39], v[40:41], v[42:43]
.LBB138_900:                            ;   in Loop: Header=BB138_3 Depth=1
	s_or_b32 exec_lo, exec_lo, s11
.LBB138_901:                            ;   in Loop: Header=BB138_3 Depth=1
	s_delay_alu instid0(SALU_CYCLE_1)
	s_or_b32 exec_lo, exec_lo, s10
	s_and_saveexec_b32 s10, s100
	s_cbranch_execz .LBB138_903
; %bb.902:                              ;   in Loop: Header=BB138_3 Depth=1
	ds_load_b64 v[40:41], v1 offset:3640
	s_wait_dscnt 0x0
	v_mul_f64_e32 v[38:39], v[38:39], v[40:41]
	s_delay_alu instid0(VALU_DEP_1) | instskip(NEXT) | instid1(VALU_DEP_2)
	v_xor_b32_e32 v41, 0x80000000, v39
	v_mov_b32_e32 v40, v38
	ds_store_b64 v57, v[40:41]
.LBB138_903:                            ;   in Loop: Header=BB138_3 Depth=1
	s_or_b32 exec_lo, exec_lo, s10
	s_wait_loadcnt_dscnt 0x0
	s_barrier_signal -1
	s_barrier_wait -1
	s_and_saveexec_b32 s10, s101
	s_cbranch_execz .LBB138_905
; %bb.904:                              ;   in Loop: Header=BB138_3 Depth=1
	ds_load_b64 v[40:41], v59 offset:3584
	ds_load_b64 v[42:43], v57
	s_wait_dscnt 0x0
	v_fma_f64 v[38:39], -v[40:41], v[42:43], v[38:39]
.LBB138_905:                            ;   in Loop: Header=BB138_3 Depth=1
	s_or_b32 exec_lo, exec_lo, s10
	s_barrier_signal -1
	s_barrier_wait -1
	s_and_saveexec_b32 s10, s102
	s_cbranch_execz .LBB138_907
; %bb.906:                              ;   in Loop: Header=BB138_3 Depth=1
	ds_load_b64 v[40:41], v1 offset:3120
	s_wait_dscnt 0x0
	v_mul_f64_e32 v[38:39], v[38:39], v[40:41]
	s_delay_alu instid0(VALU_DEP_1) | instskip(NEXT) | instid1(VALU_DEP_2)
	v_xor_b32_e32 v41, 0x80000000, v39
	v_mov_b32_e32 v40, v38
	ds_store_b64 v57, v[40:41]
.LBB138_907:                            ;   in Loop: Header=BB138_3 Depth=1
	s_or_b32 exec_lo, exec_lo, s10
	s_wait_dscnt 0x0
	s_barrier_signal -1
	s_barrier_wait -1
	s_and_saveexec_b32 s10, s103
	s_cbranch_execz .LBB138_909
; %bb.908:                              ;   in Loop: Header=BB138_3 Depth=1
	ds_load_b64 v[40:41], v59 offset:3072
	ds_load_b64 v[42:43], v57
	s_wait_dscnt 0x0
	v_fma_f64 v[38:39], -v[40:41], v[42:43], v[38:39]
.LBB138_909:                            ;   in Loop: Header=BB138_3 Depth=1
	s_or_b32 exec_lo, exec_lo, s10
	s_barrier_signal -1
	s_barrier_wait -1
	s_and_saveexec_b32 s10, s104
	s_cbranch_execz .LBB138_911
; %bb.910:                              ;   in Loop: Header=BB138_3 Depth=1
	ds_load_b64 v[40:41], v1 offset:2600
	s_wait_dscnt 0x0
	v_mul_f64_e32 v[38:39], v[38:39], v[40:41]
	s_delay_alu instid0(VALU_DEP_1) | instskip(NEXT) | instid1(VALU_DEP_2)
	v_xor_b32_e32 v41, 0x80000000, v39
	v_mov_b32_e32 v40, v38
	ds_store_b64 v57, v[40:41]
.LBB138_911:                            ;   in Loop: Header=BB138_3 Depth=1
	s_or_b32 exec_lo, exec_lo, s10
	s_wait_dscnt 0x0
	s_barrier_signal -1
	s_barrier_wait -1
	s_and_saveexec_b32 s10, vcc_hi
	s_cbranch_execz .LBB138_913
; %bb.912:                              ;   in Loop: Header=BB138_3 Depth=1
	ds_load_b64 v[40:41], v59 offset:2560
	ds_load_b64 v[42:43], v57
	s_wait_dscnt 0x0
	v_fma_f64 v[38:39], -v[40:41], v[42:43], v[38:39]
.LBB138_913:                            ;   in Loop: Header=BB138_3 Depth=1
	s_or_b32 exec_lo, exec_lo, s10
	s_barrier_signal -1
	s_barrier_wait -1
	s_and_saveexec_b32 s10, s36
	s_cbranch_execz .LBB138_915
; %bb.914:                              ;   in Loop: Header=BB138_3 Depth=1
	ds_load_b64 v[40:41], v1 offset:2080
	s_wait_dscnt 0x0
	v_mul_f64_e32 v[38:39], v[38:39], v[40:41]
	s_delay_alu instid0(VALU_DEP_1) | instskip(NEXT) | instid1(VALU_DEP_2)
	v_xor_b32_e32 v41, 0x80000000, v39
	v_mov_b32_e32 v40, v38
	ds_store_b64 v57, v[40:41]
.LBB138_915:                            ;   in Loop: Header=BB138_3 Depth=1
	s_or_b32 exec_lo, exec_lo, s10
	s_wait_dscnt 0x0
	s_barrier_signal -1
	s_barrier_wait -1
	s_and_saveexec_b32 s10, s37
	s_cbranch_execz .LBB138_917
; %bb.916:                              ;   in Loop: Header=BB138_3 Depth=1
	ds_load_b64 v[40:41], v59 offset:2048
	ds_load_b64 v[42:43], v57
	s_wait_dscnt 0x0
	v_fma_f64 v[38:39], -v[40:41], v[42:43], v[38:39]
.LBB138_917:                            ;   in Loop: Header=BB138_3 Depth=1
	s_or_b32 exec_lo, exec_lo, s10
	s_barrier_signal -1
	s_barrier_wait -1
	s_and_saveexec_b32 s10, s38
	s_cbranch_execz .LBB138_919
; %bb.918:                              ;   in Loop: Header=BB138_3 Depth=1
	ds_load_b64 v[40:41], v1 offset:1560
	s_wait_dscnt 0x0
	v_mul_f64_e32 v[38:39], v[38:39], v[40:41]
	s_delay_alu instid0(VALU_DEP_1) | instskip(NEXT) | instid1(VALU_DEP_2)
	v_xor_b32_e32 v41, 0x80000000, v39
	v_mov_b32_e32 v40, v38
	ds_store_b64 v57, v[40:41]
.LBB138_919:                            ;   in Loop: Header=BB138_3 Depth=1
	s_or_b32 exec_lo, exec_lo, s10
	s_wait_dscnt 0x0
	s_barrier_signal -1
	s_barrier_wait -1
	s_and_saveexec_b32 s10, s39
	;; [unrolled: 26-line block ×4, first 2 shown]
	s_cbranch_execz .LBB138_929
; %bb.928:                              ;   in Loop: Header=BB138_3 Depth=1
	ds_load_b64 v[40:41], v1 offset:512
	ds_load_b64 v[42:43], v57
	s_wait_dscnt 0x0
	v_fma_f64 v[38:39], -v[40:41], v[42:43], v[38:39]
.LBB138_929:                            ;   in Loop: Header=BB138_3 Depth=1
	s_or_b32 exec_lo, exec_lo, s10
	s_barrier_signal -1
	s_barrier_wait -1
	s_and_saveexec_b32 s10, s43
	s_cbranch_execz .LBB138_931
; %bb.930:                              ;   in Loop: Header=BB138_3 Depth=1
	ds_load_b64 v[40:41], v1
	s_wait_dscnt 0x0
	v_mul_f64_e32 v[38:39], v[38:39], v[40:41]
	s_delay_alu instid0(VALU_DEP_1) | instskip(NEXT) | instid1(VALU_DEP_2)
	v_xor_b32_e32 v41, 0x80000000, v39
	v_mov_b32_e32 v40, v38
	ds_store_b64 v57, v[40:41]
.LBB138_931:                            ;   in Loop: Header=BB138_3 Depth=1
	s_or_b32 exec_lo, exec_lo, s10
	s_wait_dscnt 0x0
	s_barrier_signal -1
	s_barrier_wait -1
	s_barrier_signal -1
	s_barrier_wait -1
	s_and_saveexec_b32 s10, s4
; %bb.932:                              ;   in Loop: Header=BB138_3 Depth=1
	ds_store_b64 v60, v[38:39] offset:7680
; %bb.933:                              ;   in Loop: Header=BB138_3 Depth=1
	s_or_b32 exec_lo, exec_lo, s10
	s_wait_dscnt 0x0
	s_barrier_signal -1
	s_barrier_wait -1
	s_barrier_signal -1
	s_barrier_wait -1
	s_and_saveexec_b32 s10, s44
	s_cbranch_execz .LBB138_935
; %bb.934:                              ;   in Loop: Header=BB138_3 Depth=1
	ds_load_b64 v[38:39], v74 offset:4096
	s_wait_dscnt 0x0
	ds_store_b64 v75, v[38:39] offset:64
	ds_load_b64 v[38:39], v74 offset:4104
	s_wait_dscnt 0x0
	ds_store_b64 v75, v[38:39] offset:576
	;; [unrolled: 3-line block ×8, first 2 shown]
.LBB138_935:                            ;   in Loop: Header=BB138_3 Depth=1
	s_or_b32 exec_lo, exec_lo, s10
	s_wait_dscnt 0x0
	s_barrier_signal -1
	s_barrier_wait -1
	s_and_saveexec_b32 s10, s14
	s_cbranch_execz .LBB138_937
; %bb.936:                              ;   in Loop: Header=BB138_3 Depth=1
	ds_load_b128 v[38:41], v1 offset:3632
	ds_load_b64 v[42:43], v1 offset:3120
	v_add_nc_u32_e64 v0, 0x800, 0
	s_wait_dscnt 0x0
	v_mul_f64_e32 v[40:41], v[42:43], v[40:41]
	s_delay_alu instid0(VALU_DEP_1)
	v_mul_f64_e32 v[38:39], v[38:39], v[40:41]
	ds_store_2addr_b64 v0, v[38:39], v[38:39] offset0:135 offset1:198
.LBB138_937:                            ;   in Loop: Header=BB138_3 Depth=1
	s_or_b32 exec_lo, exec_lo, s10
	v_mov_b64_e32 v[38:39], 0
	s_wait_dscnt 0x0
	s_barrier_signal -1
	s_barrier_wait -1
	global_wb scope:SCOPE_DEV
	s_wait_storecnt 0x0
	global_inv scope:SCOPE_DEV
	s_and_saveexec_b32 s10, s1
	s_cbranch_execz .LBB138_941
; %bb.938:                              ;   in Loop: Header=BB138_3 Depth=1
	ds_load_b64 v[38:39], v47 offset:3104
	ds_load_b64 v[40:41], v46 offset:3632
	s_wait_dscnt 0x0
	v_fma_f64 v[38:39], v[38:39], v[40:41], 0
	s_and_saveexec_b32 s11, s15
	s_cbranch_execz .LBB138_940
; %bb.939:                              ;   in Loop: Header=BB138_3 Depth=1
	ds_load_b64 v[40:41], v75 offset:3616
	ds_load_b64 v[42:43], v1 offset:3640
	s_wait_dscnt 0x0
	v_fmac_f64_e32 v[38:39], v[40:41], v[42:43]
.LBB138_940:                            ;   in Loop: Header=BB138_3 Depth=1
	s_or_b32 exec_lo, exec_lo, s11
.LBB138_941:                            ;   in Loop: Header=BB138_3 Depth=1
	s_delay_alu instid0(SALU_CYCLE_1)
	s_or_b32 exec_lo, exec_lo, s10
	s_and_saveexec_b32 s10, s90
	s_cbranch_execz .LBB138_943
; %bb.942:                              ;   in Loop: Header=BB138_3 Depth=1
	ds_load_b64 v[40:41], v1 offset:2600
	s_wait_dscnt 0x0
	v_mul_f64_e32 v[38:39], v[38:39], v[40:41]
	s_delay_alu instid0(VALU_DEP_1) | instskip(NEXT) | instid1(VALU_DEP_2)
	v_xor_b32_e32 v41, 0x80000000, v39
	v_mov_b32_e32 v40, v38
	ds_store_b64 v3, v[40:41]
.LBB138_943:                            ;   in Loop: Header=BB138_3 Depth=1
	s_or_b32 exec_lo, exec_lo, s10
	s_wait_loadcnt_dscnt 0x0
	s_barrier_signal -1
	s_barrier_wait -1
	s_and_saveexec_b32 s10, s91
	s_cbranch_execz .LBB138_945
; %bb.944:                              ;   in Loop: Header=BB138_3 Depth=1
	ds_load_b64 v[40:41], v1 offset:2592
	ds_load_b64 v[42:43], v3
	s_wait_dscnt 0x0
	v_fma_f64 v[38:39], -v[40:41], v[42:43], v[38:39]
.LBB138_945:                            ;   in Loop: Header=BB138_3 Depth=1
	s_or_b32 exec_lo, exec_lo, s10
	s_barrier_signal -1
	s_barrier_wait -1
	s_and_saveexec_b32 s10, s91
	s_cbranch_execz .LBB138_947
; %bb.946:                              ;   in Loop: Header=BB138_3 Depth=1
	ds_load_b64 v[40:41], v1 offset:2080
	s_wait_dscnt 0x0
	v_mul_f64_e32 v[38:39], v[38:39], v[40:41]
	s_delay_alu instid0(VALU_DEP_1) | instskip(NEXT) | instid1(VALU_DEP_2)
	v_xor_b32_e32 v41, 0x80000000, v39
	v_mov_b32_e32 v40, v38
	ds_store_b64 v3, v[40:41]
.LBB138_947:                            ;   in Loop: Header=BB138_3 Depth=1
	s_or_b32 exec_lo, exec_lo, s10
	s_wait_dscnt 0x0
	s_barrier_signal -1
	s_barrier_wait -1
	s_barrier_signal -1
	s_barrier_wait -1
	s_and_saveexec_b32 s10, s1
; %bb.948:                              ;   in Loop: Header=BB138_3 Depth=1
	ds_store_b64 v49, v[38:39] offset:3616
; %bb.949:                              ;   in Loop: Header=BB138_3 Depth=1
	s_or_b32 exec_lo, exec_lo, s10
	s_wait_dscnt 0x0
	s_barrier_signal -1
	s_barrier_wait -1
	s_barrier_signal -1
	s_barrier_wait -1
	s_and_saveexec_b32 s10, s92
	s_cbranch_execz .LBB138_951
; %bb.950:                              ;   in Loop: Header=BB138_3 Depth=1
	ds_load_b64 v[38:39], v76 offset:3104
	s_wait_dscnt 0x0
	ds_store_b64 v75, v[38:39] offset:2096
	ds_load_b64 v[38:39], v76 offset:3112
	s_wait_dscnt 0x0
	ds_store_b64 v75, v[38:39] offset:2608
.LBB138_951:                            ;   in Loop: Header=BB138_3 Depth=1
	s_or_b32 exec_lo, exec_lo, s10
	s_wait_dscnt 0x0
	s_barrier_signal -1
	s_barrier_wait -1
	s_and_saveexec_b32 s10, s14
	s_cbranch_execz .LBB138_953
; %bb.952:                              ;   in Loop: Header=BB138_3 Depth=1
	ds_load_b128 v[38:41], v1 offset:2592
	ds_load_b64 v[42:43], v1 offset:2080
	v_add_nc_u32_e64 v0, 0x800, 0
	s_wait_dscnt 0x0
	v_mul_f64_e32 v[40:41], v[42:43], v[40:41]
	s_delay_alu instid0(VALU_DEP_1)
	v_mul_f64_e32 v[38:39], v[38:39], v[40:41]
	ds_store_2addr_b64 v0, v[38:39], v[38:39] offset0:5 offset1:68
.LBB138_953:                            ;   in Loop: Header=BB138_3 Depth=1
	s_or_b32 exec_lo, exec_lo, s10
	v_mov_b64_e32 v[38:39], 0
	s_wait_dscnt 0x0
	s_barrier_signal -1
	s_barrier_wait -1
	global_wb scope:SCOPE_DEV
	s_wait_storecnt 0x0
	global_inv scope:SCOPE_DEV
	s_and_saveexec_b32 s10, s3
	s_cbranch_execz .LBB138_959
; %bb.954:                              ;   in Loop: Header=BB138_3 Depth=1
	ds_load_b64 v[38:39], v53 offset:2048
	ds_load_b64 v[40:41], v52 offset:3616
	s_wait_dscnt 0x0
	v_fma_f64 v[38:39], v[38:39], v[40:41], 0
	s_and_saveexec_b32 s11, s16
	s_cbranch_execnz .LBB138_1147
; %bb.955:                              ;   in Loop: Header=BB138_3 Depth=1
	s_or_b32 exec_lo, exec_lo, s11
	s_and_saveexec_b32 s11, s17
	s_cbranch_execnz .LBB138_1148
.LBB138_956:                            ;   in Loop: Header=BB138_3 Depth=1
	s_or_b32 exec_lo, exec_lo, s11
	s_and_saveexec_b32 s11, s1
	s_cbranch_execz .LBB138_958
.LBB138_957:                            ;   in Loop: Header=BB138_3 Depth=1
	ds_load_b64 v[40:41], v78 offset:3584
	ds_load_b64 v[42:43], v1 offset:3640
	s_wait_dscnt 0x0
	v_fmac_f64_e32 v[38:39], v[40:41], v[42:43]
.LBB138_958:                            ;   in Loop: Header=BB138_3 Depth=1
	s_or_b32 exec_lo, exec_lo, s11
.LBB138_959:                            ;   in Loop: Header=BB138_3 Depth=1
	s_delay_alu instid0(SALU_CYCLE_1)
	s_or_b32 exec_lo, exec_lo, s10
	s_and_saveexec_b32 s10, s93
	s_cbranch_execz .LBB138_961
; %bb.960:                              ;   in Loop: Header=BB138_3 Depth=1
	ds_load_b64 v[40:41], v1 offset:1560
	s_wait_dscnt 0x0
	v_mul_f64_e32 v[38:39], v[38:39], v[40:41]
	s_delay_alu instid0(VALU_DEP_1) | instskip(NEXT) | instid1(VALU_DEP_2)
	v_xor_b32_e32 v41, 0x80000000, v39
	v_mov_b32_e32 v40, v38
	ds_store_b64 v51, v[40:41]
.LBB138_961:                            ;   in Loop: Header=BB138_3 Depth=1
	s_or_b32 exec_lo, exec_lo, s10
	s_wait_loadcnt_dscnt 0x0
	s_barrier_signal -1
	s_barrier_wait -1
	s_and_saveexec_b32 s10, s94
	s_cbranch_execz .LBB138_963
; %bb.962:                              ;   in Loop: Header=BB138_3 Depth=1
	ds_load_b64 v[40:41], v53 offset:1536
	ds_load_b64 v[42:43], v51
	s_wait_dscnt 0x0
	v_fma_f64 v[38:39], -v[40:41], v[42:43], v[38:39]
.LBB138_963:                            ;   in Loop: Header=BB138_3 Depth=1
	s_or_b32 exec_lo, exec_lo, s10
	s_barrier_signal -1
	s_barrier_wait -1
	s_and_saveexec_b32 s10, s95
	s_cbranch_execz .LBB138_965
; %bb.964:                              ;   in Loop: Header=BB138_3 Depth=1
	ds_load_b64 v[40:41], v1 offset:1040
	s_wait_dscnt 0x0
	v_mul_f64_e32 v[38:39], v[38:39], v[40:41]
	s_delay_alu instid0(VALU_DEP_1) | instskip(NEXT) | instid1(VALU_DEP_2)
	v_xor_b32_e32 v41, 0x80000000, v39
	v_mov_b32_e32 v40, v38
	ds_store_b64 v51, v[40:41]
.LBB138_965:                            ;   in Loop: Header=BB138_3 Depth=1
	s_or_b32 exec_lo, exec_lo, s10
	s_wait_dscnt 0x0
	s_barrier_signal -1
	s_barrier_wait -1
	s_and_saveexec_b32 s10, s96
	s_cbranch_execz .LBB138_967
; %bb.966:                              ;   in Loop: Header=BB138_3 Depth=1
	ds_load_b64 v[40:41], v53 offset:1024
	ds_load_b64 v[42:43], v51
	s_wait_dscnt 0x0
	v_fma_f64 v[38:39], -v[40:41], v[42:43], v[38:39]
.LBB138_967:                            ;   in Loop: Header=BB138_3 Depth=1
	s_or_b32 exec_lo, exec_lo, s10
	s_barrier_signal -1
	s_barrier_wait -1
	s_and_saveexec_b32 s10, s97
	s_cbranch_execz .LBB138_969
; %bb.968:                              ;   in Loop: Header=BB138_3 Depth=1
	ds_load_b64 v[40:41], v1 offset:520
	s_wait_dscnt 0x0
	v_mul_f64_e32 v[38:39], v[38:39], v[40:41]
	s_delay_alu instid0(VALU_DEP_1) | instskip(NEXT) | instid1(VALU_DEP_2)
	v_xor_b32_e32 v41, 0x80000000, v39
	v_mov_b32_e32 v40, v38
	ds_store_b64 v51, v[40:41]
.LBB138_969:                            ;   in Loop: Header=BB138_3 Depth=1
	s_or_b32 exec_lo, exec_lo, s10
	s_wait_dscnt 0x0
	s_barrier_signal -1
	s_barrier_wait -1
	s_and_saveexec_b32 s10, s98
	s_cbranch_execz .LBB138_971
; %bb.970:                              ;   in Loop: Header=BB138_3 Depth=1
	ds_load_b64 v[40:41], v1 offset:512
	ds_load_b64 v[42:43], v51
	s_wait_dscnt 0x0
	v_fma_f64 v[38:39], -v[40:41], v[42:43], v[38:39]
.LBB138_971:                            ;   in Loop: Header=BB138_3 Depth=1
	s_or_b32 exec_lo, exec_lo, s10
	s_barrier_signal -1
	s_barrier_wait -1
	s_and_saveexec_b32 s10, s98
	s_cbranch_execz .LBB138_973
; %bb.972:                              ;   in Loop: Header=BB138_3 Depth=1
	ds_load_b64 v[40:41], v1
	s_wait_dscnt 0x0
	v_mul_f64_e32 v[38:39], v[38:39], v[40:41]
	s_delay_alu instid0(VALU_DEP_1) | instskip(NEXT) | instid1(VALU_DEP_2)
	v_xor_b32_e32 v41, 0x80000000, v39
	v_mov_b32_e32 v40, v38
	ds_store_b64 v51, v[40:41]
.LBB138_973:                            ;   in Loop: Header=BB138_3 Depth=1
	s_or_b32 exec_lo, exec_lo, s10
	s_wait_dscnt 0x0
	s_barrier_signal -1
	s_barrier_wait -1
	s_barrier_signal -1
	s_barrier_wait -1
	s_and_saveexec_b32 s10, s3
; %bb.974:                              ;   in Loop: Header=BB138_3 Depth=1
	ds_store_b64 v55, v[38:39] offset:3584
; %bb.975:                              ;   in Loop: Header=BB138_3 Depth=1
	s_or_b32 exec_lo, exec_lo, s10
	s_wait_dscnt 0x0
	s_barrier_signal -1
	s_barrier_wait -1
	s_barrier_signal -1
	s_barrier_wait -1
	s_and_saveexec_b32 s10, s99
	s_cbranch_execz .LBB138_977
; %bb.976:                              ;   in Loop: Header=BB138_3 Depth=1
	ds_load_b64 v[38:39], v80 offset:2048
	s_wait_dscnt 0x0
	ds_store_b64 v83, v[38:39] offset:32
	ds_load_b64 v[38:39], v80 offset:2056
	s_wait_dscnt 0x0
	ds_store_b64 v83, v[38:39] offset:544
	ds_load_b64 v[38:39], v80 offset:2064
	s_wait_dscnt 0x0
	ds_store_b64 v83, v[38:39] offset:1056
	ds_load_b64 v[38:39], v80 offset:2072
	s_wait_dscnt 0x0
	ds_store_b64 v83, v[38:39] offset:1568
.LBB138_977:                            ;   in Loop: Header=BB138_3 Depth=1
	s_or_b32 exec_lo, exec_lo, s10
	s_wait_dscnt 0x0
	s_barrier_signal -1
	s_barrier_wait -1
	s_and_saveexec_b32 s10, s14
	s_cbranch_execz .LBB138_979
; %bb.978:                              ;   in Loop: Header=BB138_3 Depth=1
	ds_load_b128 v[38:41], v1 offset:1552
	ds_load_b64 v[42:43], v1 offset:1040
	s_wait_dscnt 0x0
	v_mul_f64_e32 v[40:41], v[42:43], v[40:41]
	s_delay_alu instid0(VALU_DEP_1)
	v_mul_f64_e32 v[38:39], v[38:39], v[40:41]
	ds_store_2addr_b64 v1, v[38:39], v[38:39] offset0:131 offset1:194
.LBB138_979:                            ;   in Loop: Header=BB138_3 Depth=1
	s_or_b32 exec_lo, exec_lo, s10
	v_mov_b64_e32 v[38:39], 0
	s_wait_dscnt 0x0
	s_barrier_signal -1
	s_barrier_wait -1
	global_wb scope:SCOPE_DEV
	s_wait_storecnt 0x0
	global_inv scope:SCOPE_DEV
	s_and_saveexec_b32 s10, s1
	s_cbranch_execz .LBB138_983
; %bb.980:                              ;   in Loop: Header=BB138_3 Depth=1
	ds_load_b64 v[38:39], v47 offset:1024
	ds_load_b64 v[40:41], v46 offset:1552
	s_wait_dscnt 0x0
	v_fma_f64 v[38:39], v[38:39], v[40:41], 0
	s_and_saveexec_b32 s11, s15
	s_cbranch_execz .LBB138_982
; %bb.981:                              ;   in Loop: Header=BB138_3 Depth=1
	ds_load_b64 v[40:41], v83 offset:1536
	ds_load_b64 v[42:43], v1 offset:1560
	s_wait_dscnt 0x0
	v_fmac_f64_e32 v[38:39], v[40:41], v[42:43]
.LBB138_982:                            ;   in Loop: Header=BB138_3 Depth=1
	s_or_b32 exec_lo, exec_lo, s11
.LBB138_983:                            ;   in Loop: Header=BB138_3 Depth=1
	s_delay_alu instid0(SALU_CYCLE_1)
	s_or_b32 exec_lo, exec_lo, s10
	s_and_saveexec_b32 s10, s90
	s_cbranch_execz .LBB138_985
; %bb.984:                              ;   in Loop: Header=BB138_3 Depth=1
	ds_load_b64 v[40:41], v1 offset:520
	s_wait_dscnt 0x0
	v_mul_f64_e32 v[38:39], v[38:39], v[40:41]
	s_delay_alu instid0(VALU_DEP_1) | instskip(NEXT) | instid1(VALU_DEP_2)
	v_xor_b32_e32 v41, 0x80000000, v39
	v_mov_b32_e32 v40, v38
	ds_store_b64 v3, v[40:41]
.LBB138_985:                            ;   in Loop: Header=BB138_3 Depth=1
	s_or_b32 exec_lo, exec_lo, s10
	s_wait_loadcnt_dscnt 0x0
	s_barrier_signal -1
	s_barrier_wait -1
	s_and_saveexec_b32 s10, s91
	s_cbranch_execz .LBB138_987
; %bb.986:                              ;   in Loop: Header=BB138_3 Depth=1
	ds_load_b64 v[40:41], v1 offset:512
	ds_load_b64 v[42:43], v3
	s_wait_dscnt 0x0
	v_fma_f64 v[38:39], -v[40:41], v[42:43], v[38:39]
.LBB138_987:                            ;   in Loop: Header=BB138_3 Depth=1
	s_or_b32 exec_lo, exec_lo, s10
	s_barrier_signal -1
	s_barrier_wait -1
	s_and_saveexec_b32 s10, s91
	s_cbranch_execz .LBB138_989
; %bb.988:                              ;   in Loop: Header=BB138_3 Depth=1
	ds_load_b64 v[40:41], v1
	s_wait_dscnt 0x0
	v_mul_f64_e32 v[38:39], v[38:39], v[40:41]
	s_delay_alu instid0(VALU_DEP_1) | instskip(NEXT) | instid1(VALU_DEP_2)
	v_xor_b32_e32 v41, 0x80000000, v39
	v_mov_b32_e32 v40, v38
	ds_store_b64 v3, v[40:41]
.LBB138_989:                            ;   in Loop: Header=BB138_3 Depth=1
	s_or_b32 exec_lo, exec_lo, s10
	s_wait_dscnt 0x0
	s_barrier_signal -1
	s_barrier_wait -1
	s_barrier_signal -1
	s_barrier_wait -1
	s_and_saveexec_b32 s10, s1
; %bb.990:                              ;   in Loop: Header=BB138_3 Depth=1
	ds_store_b64 v49, v[38:39] offset:1536
; %bb.991:                              ;   in Loop: Header=BB138_3 Depth=1
	s_or_b32 exec_lo, exec_lo, s10
	s_wait_dscnt 0x0
	s_barrier_signal -1
	s_barrier_wait -1
	s_barrier_signal -1
	s_barrier_wait -1
	s_and_saveexec_b32 s10, s92
	s_cbranch_execz .LBB138_993
; %bb.992:                              ;   in Loop: Header=BB138_3 Depth=1
	ds_load_b64 v[38:39], v85 offset:1024
	s_wait_dscnt 0x0
	ds_store_b64 v83, v[38:39] offset:16
	ds_load_b64 v[38:39], v85 offset:1032
	s_wait_dscnt 0x0
	ds_store_b64 v83, v[38:39] offset:528
.LBB138_993:                            ;   in Loop: Header=BB138_3 Depth=1
	s_or_b32 exec_lo, exec_lo, s10
	s_wait_dscnt 0x0
	s_barrier_signal -1
	s_barrier_wait -1
	s_and_saveexec_b32 s10, s14
	s_cbranch_execz .LBB138_995
; %bb.994:                              ;   in Loop: Header=BB138_3 Depth=1
	ds_load_b128 v[38:41], v1 offset:512
	ds_load_b64 v[42:43], v1
	s_wait_dscnt 0x0
	v_mul_f64_e32 v[40:41], v[42:43], v[40:41]
	s_delay_alu instid0(VALU_DEP_1)
	v_mul_f64_e32 v[38:39], v[38:39], v[40:41]
	ds_store_2addr_b64 v1, v[38:39], v[38:39] offset0:1 offset1:64
.LBB138_995:                            ;   in Loop: Header=BB138_3 Depth=1
	s_or_b32 exec_lo, exec_lo, s10
.LBB138_996:                            ;   in Loop: Header=BB138_3 Depth=1
	v_add_nc_u64_e32 v[36:37], s[72:73], v[36:37]
	v_mov_b64_e32 v[38:39], 0
	s_wait_dscnt 0x0
	s_barrier_signal -1
	s_barrier_wait -1
	s_wait_xcnt 0x0
	s_and_saveexec_b32 s10, s46
	s_cbranch_execz .LBB138_998
; %bb.997:                              ;   in Loop: Header=BB138_3 Depth=1
	v_lshl_add_u64 v[38:39], v[10:11], 3, v[36:37]
	flat_load_b64 v[38:39], v[38:39]
	s_wait_loadcnt_dscnt 0x0
	v_mul_f64_e64 v[38:39], v[38:39], -s[68:69]
.LBB138_998:                            ;   in Loop: Header=BB138_3 Depth=1
	s_or_b32 exec_lo, exec_lo, s10
	s_delay_alu instid0(SALU_CYCLE_1)
	s_and_not1_b32 vcc_lo, exec_lo, s47
	s_cbranch_vccnz .LBB138_1024
; %bb.999:                              ;   in Loop: Header=BB138_3 Depth=1
	v_mov_b32_e32 v94, -1
	s_lshl_b64 s[10:11], s[66:67], 2
	s_delay_alu instid0(SALU_CYCLE_1)
	s_add_nc_u64 s[82:83], s[80:81], s[10:11]
	s_mov_b32 s10, 0
	s_branch .LBB138_1002
.LBB138_1000:                           ;   in Loop: Header=BB138_1002 Depth=2
	s_wait_xcnt 0x0
	ds_load_b64 v[40:41], v86 offset:384
	s_wait_loadcnt_dscnt 0x0
	v_fmac_f64_e32 v[38:39], v[42:43], v[40:41]
.LBB138_1001:                           ;   in Loop: Header=BB138_1002 Depth=2
	s_or_b32 exec_lo, exec_lo, s11
	s_add_co_i32 s10, s10, 1
	s_delay_alu instid0(SALU_CYCLE_1)
	s_cmp_eq_u32 s10, s86
	s_cbranch_scc1 .LBB138_1024
.LBB138_1002:                           ;   Parent Loop BB138_3 Depth=1
                                        ; =>  This Loop Header: Depth=2
                                        ;       Child Loop BB138_1004 Depth 3
	v_cmp_gt_i32_e32 vcc_lo, s10, v94
	s_and_b32 s12, s59, vcc_lo
	s_delay_alu instid0(SALU_CYCLE_1)
	s_and_saveexec_b32 s11, s12
	s_cbranch_execz .LBB138_1005
; %bb.1003:                             ;   in Loop: Header=BB138_1002 Depth=2
	global_load_b32 v94, v1, s[82:83]
	s_wait_loadcnt 0x0
	v_cmp_le_i32_e32 vcc_lo, s10, v94
	s_cbranch_vccnz .LBB138_1005
.LBB138_1004:                           ;   Parent Loop BB138_3 Depth=1
                                        ;     Parent Loop BB138_1002 Depth=2
                                        ; =>    This Inner Loop Header: Depth=3
	global_wb scope:SCOPE_DEV
	s_wait_storecnt 0x0
	global_inv scope:SCOPE_DEV
	global_load_b32 v94, v1, s[82:83]
	s_wait_loadcnt 0x0
	v_cmp_gt_i32_e32 vcc_lo, s10, v94
	s_cbranch_vccnz .LBB138_1004
.LBB138_1005:                           ;   in Loop: Header=BB138_1002 Depth=2
	s_or_b32 exec_lo, exec_lo, s11
	s_lshl_b32 s65, s10, 6
	global_wb scope:SCOPE_DEV
	s_wait_storecnt 0x0
	global_inv scope:SCOPE_DEV
	s_wait_loadcnt 0x0
	s_barrier_signal -1
	s_barrier_wait -1
	s_and_saveexec_b32 s11, s60
	s_cbranch_execz .LBB138_1009
; %bb.1006:                             ;   in Loop: Header=BB138_1002 Depth=2
	v_mov_b64_e32 v[40:41], 0
	v_or_b32_e32 v0, s65, v4
	s_mov_b32 s12, exec_lo
	s_delay_alu instid0(VALU_DEP_1)
	v_cmpx_gt_i32_e64 s85, v0
	s_cbranch_execz .LBB138_1008
; %bb.1007:                             ;   in Loop: Header=BB138_1002 Depth=2
	v_mul_u64_e32 v[40:41], s[74:75], v[0:1]
	s_delay_alu instid0(VALU_DEP_1)
	v_lshl_add_u64 v[40:41], v[40:41], 3, v[36:37]
	flat_load_b64 v[40:41], v[40:41]
.LBB138_1008:                           ;   in Loop: Header=BB138_1002 Depth=2
	s_wait_xcnt 0x0
	s_or_b32 exec_lo, exec_lo, s12
	s_wait_loadcnt_dscnt 0x0
	ds_store_b64 v89, v[40:41]
.LBB138_1009:                           ;   in Loop: Header=BB138_1002 Depth=2
	s_or_b32 exec_lo, exec_lo, s11
	v_add_nc_u32_e32 v0, s65, v44
	v_cmp_ne_u32_e32 vcc_lo, s10, v45
	s_wait_dscnt 0x0
	s_barrier_signal -1
	s_barrier_wait -1
	v_cmp_gt_i32_e64 s65, s85, v0
	v_lshl_add_u64 v[40:41], v[0:1], 3, v[34:35]
	v_cndmask_b32_e64 v95, 0, 1, vcc_lo
	s_and_b32 s12, s65, s0
	s_delay_alu instid0(SALU_CYCLE_1)
	s_and_saveexec_b32 s11, s12
	s_cbranch_execz .LBB138_1013
; %bb.1010:                             ;   in Loop: Header=BB138_1002 Depth=2
	v_mov_b64_e32 v[42:43], v[26:27]
	s_and_not1_b32 vcc_lo, exec_lo, vcc_lo
	s_cbranch_vccnz .LBB138_1012
; %bb.1011:                             ;   in Loop: Header=BB138_1002 Depth=2
	flat_load_b64 v[42:43], v[40:41]
.LBB138_1012:                           ;   in Loop: Header=BB138_1002 Depth=2
	ds_load_b64 v[96:97], v86
	s_wait_loadcnt_dscnt 0x0
	v_fmac_f64_e32 v[38:39], v[42:43], v[96:97]
.LBB138_1013:                           ;   in Loop: Header=BB138_1002 Depth=2
	s_or_b32 exec_lo, exec_lo, s11
	v_add_nc_u32_e32 v42, 16, v0
	s_delay_alu instid0(VALU_DEP_1) | instskip(SKIP_1) | instid1(SALU_CYCLE_1)
	v_cmp_gt_i32_e32 vcc_lo, s85, v42
	s_and_b32 s12, vcc_lo, s0
	s_and_saveexec_b32 s11, s12
	s_cbranch_execz .LBB138_1017
; %bb.1014:                             ;   in Loop: Header=BB138_1002 Depth=2
	v_cmp_ne_u32_e32 vcc_lo, 1, v95
	v_mov_b64_e32 v[42:43], v[28:29]
	s_cbranch_vccnz .LBB138_1016
; %bb.1015:                             ;   in Loop: Header=BB138_1002 Depth=2
	flat_load_b64 v[42:43], v[40:41] offset:128
.LBB138_1016:                           ;   in Loop: Header=BB138_1002 Depth=2
	ds_load_b64 v[96:97], v86 offset:128
	s_wait_loadcnt_dscnt 0x0
	v_fmac_f64_e32 v[38:39], v[42:43], v[96:97]
.LBB138_1017:                           ;   in Loop: Header=BB138_1002 Depth=2
	s_or_b32 exec_lo, exec_lo, s11
	v_add_nc_u32_e32 v42, 32, v0
	s_delay_alu instid0(VALU_DEP_1) | instskip(SKIP_1) | instid1(SALU_CYCLE_1)
	v_cmp_gt_i32_e32 vcc_lo, s85, v42
	s_and_b32 s12, vcc_lo, s0
	s_and_saveexec_b32 s11, s12
	s_cbranch_execz .LBB138_1021
; %bb.1018:                             ;   in Loop: Header=BB138_1002 Depth=2
	v_cmp_ne_u32_e32 vcc_lo, 1, v95
	v_mov_b64_e32 v[42:43], v[30:31]
	s_cbranch_vccnz .LBB138_1020
; %bb.1019:                             ;   in Loop: Header=BB138_1002 Depth=2
	flat_load_b64 v[42:43], v[40:41] offset:256
.LBB138_1020:                           ;   in Loop: Header=BB138_1002 Depth=2
	ds_load_b64 v[96:97], v86 offset:256
	s_wait_loadcnt_dscnt 0x0
	v_fmac_f64_e32 v[38:39], v[42:43], v[96:97]
.LBB138_1021:                           ;   in Loop: Header=BB138_1002 Depth=2
	s_or_b32 exec_lo, exec_lo, s11
	v_add_nc_u32_e32 v0, 48, v0
	s_delay_alu instid0(VALU_DEP_1) | instskip(SKIP_1) | instid1(SALU_CYCLE_1)
	v_cmp_gt_i32_e32 vcc_lo, s85, v0
	s_and_b32 s12, vcc_lo, s0
	s_and_saveexec_b32 s11, s12
	s_cbranch_execz .LBB138_1001
; %bb.1022:                             ;   in Loop: Header=BB138_1002 Depth=2
	v_cmp_ne_u32_e32 vcc_lo, 1, v95
	v_mov_b64_e32 v[42:43], v[32:33]
	s_cbranch_vccnz .LBB138_1000
; %bb.1023:                             ;   in Loop: Header=BB138_1002 Depth=2
	flat_load_b64 v[42:43], v[40:41] offset:384
	s_branch .LBB138_1000
.LBB138_1024:                           ;   in Loop: Header=BB138_3 Depth=1
	ds_store_b64 v90, v[38:39]
	s_wait_dscnt 0x0
	s_barrier_signal -1
	s_barrier_wait -1
	s_and_saveexec_b32 s10, s2
	s_cbranch_execz .LBB138_1026
; %bb.1025:                             ;   in Loop: Header=BB138_3 Depth=1
	ds_load_2addr_stride64_b64 v[40:43], v91 offset0:1 offset1:2
	ds_load_2addr_stride64_b64 v[94:97], v91 offset0:3 offset1:4
	s_wait_dscnt 0x1
	v_add_f64_e32 v[34:35], v[38:39], v[40:41]
	s_delay_alu instid0(VALU_DEP_1) | instskip(SKIP_1) | instid1(VALU_DEP_1)
	v_add_f64_e32 v[34:35], v[34:35], v[42:43]
	s_wait_dscnt 0x0
	v_add_f64_e32 v[34:35], v[34:35], v[94:95]
	s_delay_alu instid0(VALU_DEP_1) | instskip(SKIP_4) | instid1(VALU_DEP_1)
	v_add_f64_e32 v[34:35], v[34:35], v[96:97]
	ds_load_2addr_stride64_b64 v[38:41], v91 offset0:5 offset1:6
	ds_load_2addr_stride64_b64 v[94:97], v91 offset0:7 offset1:8
	s_wait_dscnt 0x1
	v_add_f64_e32 v[34:35], v[34:35], v[38:39]
	v_add_f64_e32 v[34:35], v[34:35], v[40:41]
	s_wait_dscnt 0x0
	s_delay_alu instid0(VALU_DEP_1) | instskip(NEXT) | instid1(VALU_DEP_1)
	v_add_f64_e32 v[34:35], v[34:35], v[94:95]
	v_add_f64_e32 v[34:35], v[34:35], v[96:97]
	ds_load_2addr_stride64_b64 v[38:41], v91 offset0:9 offset1:10
	ds_load_2addr_stride64_b64 v[94:97], v91 offset0:11 offset1:12
	s_wait_dscnt 0x1
	v_add_f64_e32 v[34:35], v[34:35], v[38:39]
	s_delay_alu instid0(VALU_DEP_1) | instskip(SKIP_4) | instid1(VALU_DEP_1)
	v_add_f64_e32 v[34:35], v[34:35], v[40:41]
	ds_load_2addr_stride64_b64 v[38:41], v91 offset0:13 offset1:14
	ds_load_b64 v[42:43], v91 offset:7680
	s_wait_dscnt 0x2
	v_add_f64_e32 v[34:35], v[34:35], v[94:95]
	v_add_f64_e32 v[34:35], v[34:35], v[96:97]
	s_wait_dscnt 0x1
	s_delay_alu instid0(VALU_DEP_1) | instskip(NEXT) | instid1(VALU_DEP_1)
	v_add_f64_e32 v[34:35], v[34:35], v[38:39]
	v_add_f64_e32 v[34:35], v[34:35], v[40:41]
	s_wait_dscnt 0x0
	s_delay_alu instid0(VALU_DEP_1) | instskip(NEXT) | instid1(VALU_DEP_1)
	v_add_f64_e32 v[34:35], v[34:35], v[42:43]
	v_xor_b32_e32 v0, 0x80000000, v35
	s_delay_alu instid0(VALU_DEP_2) | instskip(NEXT) | instid1(VALU_DEP_2)
	v_cndmask_b32_e64 v38, v34, 0, s45
	v_cndmask_b32_e64 v39, v0, 0, s45
.LBB138_1026:                           ;   in Loop: Header=BB138_3 Depth=1
	s_or_b32 exec_lo, exec_lo, s10
	s_delay_alu instid0(SALU_CYCLE_1)
	s_and_not1_b32 vcc_lo, exec_lo, s89
	s_cbranch_vccnz .LBB138_1036
; %bb.1027:                             ;   in Loop: Header=BB138_3 Depth=1
	s_and_saveexec_b32 s10, s2
; %bb.1028:                             ;   in Loop: Header=BB138_3 Depth=1
	ds_store_b64 v93, v[38:39]
; %bb.1029:                             ;   in Loop: Header=BB138_3 Depth=1
	s_or_b32 exec_lo, exec_lo, s10
	v_mov_b64_e32 v[34:35], 0
	s_wait_dscnt 0x0
	s_barrier_signal -1
	s_barrier_wait -1
	s_and_saveexec_b32 s10, s6
	s_cbranch_execnz .LBB138_1091
; %bb.1030:                             ;   in Loop: Header=BB138_3 Depth=1
	s_or_b32 exec_lo, exec_lo, s10
	s_and_saveexec_b32 s10, s7
	s_cbranch_execnz .LBB138_1092
.LBB138_1031:                           ;   in Loop: Header=BB138_3 Depth=1
	s_or_b32 exec_lo, exec_lo, s10
	s_and_saveexec_b32 s10, s8
	s_cbranch_execnz .LBB138_1093
.LBB138_1032:                           ;   in Loop: Header=BB138_3 Depth=1
	s_or_b32 exec_lo, exec_lo, s10
	s_and_saveexec_b32 s10, s9
	s_cbranch_execz .LBB138_1034
.LBB138_1033:                           ;   in Loop: Header=BB138_3 Depth=1
	ds_load_b64 v[40:41], v92 offset:24576
	ds_load_b64 v[42:43], v86 offset:384
	s_wait_dscnt 0x0
	v_fmac_f64_e32 v[34:35], v[40:41], v[42:43]
.LBB138_1034:                           ;   in Loop: Header=BB138_3 Depth=1
	s_or_b32 exec_lo, exec_lo, s10
	s_mov_b32 s10, 0
	s_mov_b32 s65, 0
	ds_store_b64 v90, v[34:35]
	s_wait_dscnt 0x0
	s_barrier_signal -1
	s_barrier_wait -1
                                        ; implicit-def: $vgpr40_vgpr41
	s_and_saveexec_b32 s82, s2
	s_cbranch_execz .LBB138_1094
; %bb.1035:                             ;   in Loop: Header=BB138_3 Depth=1
	ds_load_2addr_stride64_b64 v[40:43], v91 offset0:1 offset1:2
	ds_load_2addr_stride64_b64 v[94:97], v91 offset0:3 offset1:4
	s_mov_b32 s65, exec_lo
	s_wait_dscnt 0x1
	v_add_f64_e32 v[34:35], v[34:35], v[40:41]
	s_delay_alu instid0(VALU_DEP_1) | instskip(SKIP_1) | instid1(VALU_DEP_1)
	v_add_f64_e32 v[34:35], v[42:43], v[34:35]
	s_wait_dscnt 0x0
	v_add_f64_e32 v[34:35], v[94:95], v[34:35]
	s_delay_alu instid0(VALU_DEP_1) | instskip(SKIP_4) | instid1(VALU_DEP_1)
	v_add_f64_e32 v[34:35], v[96:97], v[34:35]
	ds_load_2addr_stride64_b64 v[40:43], v91 offset0:5 offset1:6
	ds_load_2addr_stride64_b64 v[94:97], v91 offset0:7 offset1:8
	s_wait_dscnt 0x1
	v_add_f64_e32 v[34:35], v[40:41], v[34:35]
	v_add_f64_e32 v[34:35], v[42:43], v[34:35]
	s_wait_dscnt 0x0
	s_delay_alu instid0(VALU_DEP_1) | instskip(NEXT) | instid1(VALU_DEP_1)
	v_add_f64_e32 v[34:35], v[94:95], v[34:35]
	v_add_f64_e32 v[34:35], v[96:97], v[34:35]
	ds_load_2addr_stride64_b64 v[40:43], v91 offset0:9 offset1:10
	ds_load_2addr_stride64_b64 v[94:97], v91 offset0:11 offset1:12
	s_wait_dscnt 0x1
	v_add_f64_e32 v[34:35], v[40:41], v[34:35]
	s_delay_alu instid0(VALU_DEP_1) | instskip(SKIP_1) | instid1(VALU_DEP_1)
	v_add_f64_e32 v[34:35], v[42:43], v[34:35]
	s_wait_dscnt 0x0
	v_add_f64_e32 v[34:35], v[94:95], v[34:35]
	ds_load_2addr_stride64_b64 v[40:43], v91 offset0:13 offset1:14
	ds_load_b64 v[94:95], v91 offset:7680
	v_add_f64_e32 v[34:35], v[96:97], v[34:35]
	s_wait_dscnt 0x1
	s_delay_alu instid0(VALU_DEP_1) | instskip(NEXT) | instid1(VALU_DEP_1)
	v_add_f64_e32 v[34:35], v[40:41], v[34:35]
	v_add_f64_e32 v[34:35], v[42:43], v[34:35]
	s_wait_dscnt 0x0
	s_delay_alu instid0(VALU_DEP_1) | instskip(SKIP_1) | instid1(SALU_CYCLE_1)
	v_add_f64_e32 v[40:41], v[94:95], v[34:35]
	s_or_b32 exec_lo, exec_lo, s82
	s_and_b32 vcc_lo, exec_lo, s10
	s_cbranch_vccnz .LBB138_1037
	s_branch .LBB138_1095
.LBB138_1036:                           ;   in Loop: Header=BB138_3 Depth=1
	s_mov_b32 s65, 0
                                        ; implicit-def: $vgpr40_vgpr41
	s_cbranch_execz .LBB138_1095
.LBB138_1037:                           ;   in Loop: Header=BB138_3 Depth=1
	v_dual_mov_b32 v0, v2 :: v_dual_mov_b32 v34, v73
	s_mov_b32 s10, 0
	s_branch .LBB138_1039
.LBB138_1038:                           ;   in Loop: Header=BB138_1039 Depth=2
	s_or_b32 exec_lo, exec_lo, s11
	v_add_nc_u32_e32 v34, 0x800, v34
	v_add_nc_u32_e32 v0, -4, v0
	s_add_co_i32 s10, s10, 4
	s_delay_alu instid0(SALU_CYCLE_1)
	s_cmp_lg_u32 s10, 64
	s_barrier_signal -1
	s_barrier_wait -1
	s_cbranch_scc0 .LBB138_1055
.LBB138_1039:                           ;   Parent Loop BB138_3 Depth=1
                                        ; =>  This Inner Loop Header: Depth=2
	s_delay_alu instid0(VALU_DEP_1) | instskip(SKIP_2) | instid1(SALU_CYCLE_1)
	v_cmp_eq_u32_e32 vcc_lo, 0, v0
	v_add_nc_u32_e32 v35, v85, v48
	s_and_b32 s12, s2, vcc_lo
	s_and_saveexec_b32 s11, s12
	s_cbranch_execz .LBB138_1041
; %bb.1040:                             ;   in Loop: Header=BB138_1039 Depth=2
	ds_load_b64 v[40:41], v35
	s_wait_dscnt 0x0
	v_mul_f64_e32 v[38:39], v[38:39], v[40:41]
	ds_store_b64 v1, v[38:39] offset:41472
.LBB138_1041:                           ;   in Loop: Header=BB138_1039 Depth=2
	s_or_b32 exec_lo, exec_lo, s11
	v_cmp_lt_u32_e32 vcc_lo, s10, v2
	s_wait_dscnt 0x0
	s_barrier_signal -1
	s_barrier_wait -1
	s_and_b32 s12, s2, vcc_lo
	s_delay_alu instid0(SALU_CYCLE_1)
	s_and_saveexec_b32 s11, s12
	s_cbranch_execz .LBB138_1043
; %bb.1042:                             ;   in Loop: Header=BB138_1039 Depth=2
	ds_load_b64 v[40:41], v34
	ds_load_b64 v[42:43], v1 offset:41472
	s_wait_dscnt 0x0
	v_fmac_f64_e32 v[38:39], v[40:41], v[42:43]
.LBB138_1043:                           ;   in Loop: Header=BB138_1039 Depth=2
	s_or_b32 exec_lo, exec_lo, s11
	s_or_b32 s11, s10, 1
	s_delay_alu instid0(SALU_CYCLE_1) | instskip(SKIP_3) | instid1(SALU_CYCLE_1)
	v_cmp_eq_u32_e32 vcc_lo, s11, v2
	s_barrier_signal -1
	s_barrier_wait -1
	s_and_b32 s82, s2, vcc_lo
	s_and_saveexec_b32 s12, s82
	s_cbranch_execz .LBB138_1045
; %bb.1044:                             ;   in Loop: Header=BB138_1039 Depth=2
	ds_load_b64 v[40:41], v35
	s_wait_dscnt 0x0
	v_mul_f64_e32 v[38:39], v[38:39], v[40:41]
	ds_store_b64 v1, v[38:39] offset:41472
.LBB138_1045:                           ;   in Loop: Header=BB138_1039 Depth=2
	s_or_b32 exec_lo, exec_lo, s12
	v_cmp_lt_u32_e32 vcc_lo, s11, v2
	s_wait_dscnt 0x0
	s_barrier_signal -1
	s_barrier_wait -1
	s_and_b32 s12, s2, vcc_lo
	s_delay_alu instid0(SALU_CYCLE_1)
	s_and_saveexec_b32 s11, s12
	s_cbranch_execz .LBB138_1047
; %bb.1046:                             ;   in Loop: Header=BB138_1039 Depth=2
	ds_load_b64 v[40:41], v34 offset:512
	ds_load_b64 v[42:43], v1 offset:41472
	s_wait_dscnt 0x0
	v_fmac_f64_e32 v[38:39], v[40:41], v[42:43]
.LBB138_1047:                           ;   in Loop: Header=BB138_1039 Depth=2
	s_or_b32 exec_lo, exec_lo, s11
	s_or_b32 s11, s10, 2
	s_delay_alu instid0(SALU_CYCLE_1) | instskip(SKIP_3) | instid1(SALU_CYCLE_1)
	v_cmp_eq_u32_e32 vcc_lo, s11, v2
	s_barrier_signal -1
	s_barrier_wait -1
	s_and_b32 s82, s2, vcc_lo
	s_and_saveexec_b32 s12, s82
	s_cbranch_execz .LBB138_1049
; %bb.1048:                             ;   in Loop: Header=BB138_1039 Depth=2
	ds_load_b64 v[40:41], v35
	s_wait_dscnt 0x0
	v_mul_f64_e32 v[38:39], v[38:39], v[40:41]
	ds_store_b64 v1, v[38:39] offset:41472
.LBB138_1049:                           ;   in Loop: Header=BB138_1039 Depth=2
	s_or_b32 exec_lo, exec_lo, s12
	v_cmp_lt_u32_e32 vcc_lo, s11, v2
	s_wait_dscnt 0x0
	s_barrier_signal -1
	s_barrier_wait -1
	s_and_b32 s12, s2, vcc_lo
	s_delay_alu instid0(SALU_CYCLE_1)
	s_and_saveexec_b32 s11, s12
	s_cbranch_execz .LBB138_1051
; %bb.1050:                             ;   in Loop: Header=BB138_1039 Depth=2
	ds_load_b64 v[40:41], v34 offset:1024
	ds_load_b64 v[42:43], v1 offset:41472
	s_wait_dscnt 0x0
	v_fmac_f64_e32 v[38:39], v[40:41], v[42:43]
.LBB138_1051:                           ;   in Loop: Header=BB138_1039 Depth=2
	s_or_b32 exec_lo, exec_lo, s11
	s_or_b32 s11, s10, 3
	s_delay_alu instid0(SALU_CYCLE_1) | instskip(SKIP_3) | instid1(SALU_CYCLE_1)
	v_cmp_eq_u32_e32 vcc_lo, s11, v2
	s_barrier_signal -1
	s_barrier_wait -1
	s_and_b32 s82, s2, vcc_lo
	s_and_saveexec_b32 s12, s82
	s_cbranch_execz .LBB138_1053
; %bb.1052:                             ;   in Loop: Header=BB138_1039 Depth=2
	ds_load_b64 v[40:41], v35
	s_wait_dscnt 0x0
	v_mul_f64_e32 v[38:39], v[38:39], v[40:41]
	ds_store_b64 v1, v[38:39] offset:41472
.LBB138_1053:                           ;   in Loop: Header=BB138_1039 Depth=2
	s_or_b32 exec_lo, exec_lo, s12
	v_cmp_lt_u32_e32 vcc_lo, s11, v2
	s_wait_dscnt 0x0
	s_barrier_signal -1
	s_barrier_wait -1
	s_and_b32 s12, s2, vcc_lo
	s_delay_alu instid0(SALU_CYCLE_1)
	s_and_saveexec_b32 s11, s12
	s_cbranch_execz .LBB138_1038
; %bb.1054:                             ;   in Loop: Header=BB138_1039 Depth=2
	ds_load_b64 v[40:41], v34 offset:1536
	ds_load_b64 v[42:43], v1 offset:41472
	s_wait_dscnt 0x0
	v_fmac_f64_e32 v[38:39], v[40:41], v[42:43]
	s_branch .LBB138_1038
.LBB138_1055:                           ;   in Loop: Header=BB138_3 Depth=1
	s_and_b32 vcc_lo, exec_lo, s88
	s_mov_b32 s10, -1
	s_cbranch_vccz .LBB138_1057
; %bb.1056:                             ;   in Loop: Header=BB138_3 Depth=1
	s_and_not1_b32 s11, s65, exec_lo
	s_and_b32 s12, s2, exec_lo
	s_mov_b32 s10, 0
	s_or_b32 s65, s11, s12
.LBB138_1057:                           ;   in Loop: Header=BB138_3 Depth=1
	s_and_not1_b32 vcc_lo, exec_lo, s10
	s_cbranch_vccnz .LBB138_1059
; %bb.1058:                             ;   in Loop: Header=BB138_3 Depth=1
	v_readlane_b32 s11, v101, 6
	s_and_not1_b32 s10, s65, exec_lo
	s_and_b32 s11, s11, exec_lo
	s_delay_alu instid0(SALU_CYCLE_1)
	s_or_b32 s65, s10, s11
.LBB138_1059:                           ;   in Loop: Header=BB138_3 Depth=1
	v_mov_b64_e32 v[34:35], v[20:21]
	s_and_saveexec_b32 s10, s65
	s_cbranch_execnz .LBB138_1096
	s_branch .LBB138_1097
.LBB138_1060:                           ;   in Loop: Header=BB138_3 Depth=1
	s_mov_b32 s11, exec_lo
	v_readlane_b32 s12, v101, 15
	s_and_b32 s12, s11, s12
	s_delay_alu instid0(SALU_CYCLE_1)
	s_xor_b32 s11, s12, s11
	s_mov_b32 exec_lo, s12
	s_cbranch_execz .LBB138_1064
; %bb.1061:                             ;   in Loop: Header=BB138_3 Depth=1
	s_mov_b32 s12, exec_lo
	v_readlane_b32 s65, v100, 25
	s_and_b32 s65, s12, s65
	s_delay_alu instid0(SALU_CYCLE_1)
	s_mov_b32 exec_lo, s65
; %bb.1062:                             ;   in Loop: Header=BB138_3 Depth=1
	ds_store_b64 v77, v[24:25]
; %bb.1063:                             ;   in Loop: Header=BB138_3 Depth=1
	s_or_b32 exec_lo, exec_lo, s12
.LBB138_1064:                           ;   in Loop: Header=BB138_3 Depth=1
	s_and_not1_saveexec_b32 s11, s11
	s_cbranch_execz .LBB138_1066
; %bb.1065:                             ;   in Loop: Header=BB138_3 Depth=1
	v_lshl_add_u64 v[40:41], v[12:13], 3, v[38:39]
	flat_load_b64 v[40:41], v[40:41]
	s_wait_loadcnt_dscnt 0x0
	v_div_scale_f64 v[42:43], null, v[40:41], v[40:41], 1.0
	s_delay_alu instid0(VALU_DEP_1) | instskip(SKIP_1) | instid1(TRANS32_DEP_1)
	v_rcp_f64_e32 v[94:95], v[42:43]
	v_nop
	v_fma_f64 v[96:97], -v[42:43], v[94:95], 1.0
	s_delay_alu instid0(VALU_DEP_1) | instskip(NEXT) | instid1(VALU_DEP_1)
	v_fmac_f64_e32 v[94:95], v[94:95], v[96:97]
	v_fma_f64 v[96:97], -v[42:43], v[94:95], 1.0
	s_delay_alu instid0(VALU_DEP_1) | instskip(SKIP_1) | instid1(VALU_DEP_1)
	v_fmac_f64_e32 v[94:95], v[94:95], v[96:97]
	v_div_scale_f64 v[96:97], vcc_lo, 1.0, v[40:41], 1.0
	v_mul_f64_e32 v[98:99], v[96:97], v[94:95]
	s_delay_alu instid0(VALU_DEP_1) | instskip(NEXT) | instid1(VALU_DEP_1)
	v_fma_f64 v[42:43], -v[42:43], v[98:99], v[96:97]
	v_div_fmas_f64 v[42:43], v[42:43], v[94:95], v[98:99]
	s_delay_alu instid0(VALU_DEP_1)
	v_div_fixup_f64 v[40:41], v[42:43], v[40:41], 1.0
	ds_store_b64 v77, v[40:41]
.LBB138_1066:                           ;   in Loop: Header=BB138_3 Depth=1
	s_or_b32 exec_lo, exec_lo, s11
	s_and_not1_saveexec_b32 s10, s10
	s_cbranch_execz .LBB138_17
.LBB138_1067:                           ;   in Loop: Header=BB138_3 Depth=1
	v_lshl_add_u64 v[40:41], v[12:13], 3, v[38:39]
	flat_load_b64 v[40:41], v[40:41]
	s_wait_loadcnt_dscnt 0x0
	v_xor_b32_e32 v41, 0x80000000, v41
	ds_store_b64 v77, v[40:41]
	s_or_b32 exec_lo, exec_lo, s10
	s_and_saveexec_b32 s10, s7
	s_delay_alu instid0(SALU_CYCLE_1)
	s_xor_b32 s10, exec_lo, s10
	s_cbranch_execz .LBB138_18
.LBB138_1068:                           ;   in Loop: Header=BB138_3 Depth=1
	s_mov_b32 s11, exec_lo
	v_readlane_b32 s12, v101, 17
	s_and_b32 s12, s11, s12
	s_delay_alu instid0(SALU_CYCLE_1)
	s_xor_b32 s11, s12, s11
	s_mov_b32 exec_lo, s12
	s_cbranch_execz .LBB138_1072
; %bb.1069:                             ;   in Loop: Header=BB138_3 Depth=1
	s_mov_b32 s12, exec_lo
	v_readlane_b32 s65, v100, 26
	s_and_b32 s65, s12, s65
	s_delay_alu instid0(SALU_CYCLE_1)
	s_mov_b32 exec_lo, s65
; %bb.1070:                             ;   in Loop: Header=BB138_3 Depth=1
	ds_store_b64 v81, v[24:25]
; %bb.1071:                             ;   in Loop: Header=BB138_3 Depth=1
	s_or_b32 exec_lo, exec_lo, s12
.LBB138_1072:                           ;   in Loop: Header=BB138_3 Depth=1
	s_and_not1_saveexec_b32 s11, s11
	s_cbranch_execz .LBB138_1074
; %bb.1073:                             ;   in Loop: Header=BB138_3 Depth=1
	v_lshl_add_u64 v[40:41], v[14:15], 3, v[38:39]
	flat_load_b64 v[40:41], v[40:41]
	s_wait_loadcnt_dscnt 0x0
	v_div_scale_f64 v[42:43], null, v[40:41], v[40:41], 1.0
	s_delay_alu instid0(VALU_DEP_1) | instskip(SKIP_1) | instid1(TRANS32_DEP_1)
	v_rcp_f64_e32 v[94:95], v[42:43]
	v_nop
	v_fma_f64 v[96:97], -v[42:43], v[94:95], 1.0
	s_delay_alu instid0(VALU_DEP_1) | instskip(NEXT) | instid1(VALU_DEP_1)
	v_fmac_f64_e32 v[94:95], v[94:95], v[96:97]
	v_fma_f64 v[96:97], -v[42:43], v[94:95], 1.0
	s_delay_alu instid0(VALU_DEP_1) | instskip(SKIP_1) | instid1(VALU_DEP_1)
	v_fmac_f64_e32 v[94:95], v[94:95], v[96:97]
	v_div_scale_f64 v[96:97], vcc_lo, 1.0, v[40:41], 1.0
	v_mul_f64_e32 v[98:99], v[96:97], v[94:95]
	s_delay_alu instid0(VALU_DEP_1) | instskip(NEXT) | instid1(VALU_DEP_1)
	v_fma_f64 v[42:43], -v[42:43], v[98:99], v[96:97]
	v_div_fmas_f64 v[42:43], v[42:43], v[94:95], v[98:99]
	s_delay_alu instid0(VALU_DEP_1)
	v_div_fixup_f64 v[40:41], v[42:43], v[40:41], 1.0
	ds_store_b64 v81, v[40:41]
.LBB138_1074:                           ;   in Loop: Header=BB138_3 Depth=1
	s_or_b32 exec_lo, exec_lo, s11
	s_and_not1_saveexec_b32 s10, s10
	s_cbranch_execz .LBB138_19
.LBB138_1075:                           ;   in Loop: Header=BB138_3 Depth=1
	v_lshl_add_u64 v[40:41], v[14:15], 3, v[38:39]
	flat_load_b64 v[40:41], v[40:41]
	s_wait_loadcnt_dscnt 0x0
	v_xor_b32_e32 v41, 0x80000000, v41
	ds_store_b64 v81, v[40:41]
	s_or_b32 exec_lo, exec_lo, s10
	s_and_saveexec_b32 s10, s8
	s_delay_alu instid0(SALU_CYCLE_1)
	s_xor_b32 s10, exec_lo, s10
	s_cbranch_execz .LBB138_20
.LBB138_1076:                           ;   in Loop: Header=BB138_3 Depth=1
	s_mov_b32 s11, exec_lo
	v_readlane_b32 s12, v101, 19
	s_and_b32 s12, s11, s12
	s_delay_alu instid0(SALU_CYCLE_1)
	s_xor_b32 s11, s12, s11
	s_mov_b32 exec_lo, s12
	s_cbranch_execz .LBB138_1080
; %bb.1077:                             ;   in Loop: Header=BB138_3 Depth=1
	s_mov_b32 s12, exec_lo
	v_readlane_b32 s65, v100, 27
	s_and_b32 s65, s12, s65
	s_delay_alu instid0(SALU_CYCLE_1)
	s_mov_b32 exec_lo, s65
; %bb.1078:                             ;   in Loop: Header=BB138_3 Depth=1
	ds_store_b64 v82, v[24:25]
; %bb.1079:                             ;   in Loop: Header=BB138_3 Depth=1
	s_or_b32 exec_lo, exec_lo, s12
.LBB138_1080:                           ;   in Loop: Header=BB138_3 Depth=1
	s_and_not1_saveexec_b32 s11, s11
	s_cbranch_execz .LBB138_1082
; %bb.1081:                             ;   in Loop: Header=BB138_3 Depth=1
	v_lshl_add_u64 v[40:41], v[16:17], 3, v[38:39]
	flat_load_b64 v[40:41], v[40:41]
	s_wait_loadcnt_dscnt 0x0
	v_div_scale_f64 v[42:43], null, v[40:41], v[40:41], 1.0
	s_delay_alu instid0(VALU_DEP_1) | instskip(SKIP_1) | instid1(TRANS32_DEP_1)
	v_rcp_f64_e32 v[94:95], v[42:43]
	v_nop
	v_fma_f64 v[96:97], -v[42:43], v[94:95], 1.0
	s_delay_alu instid0(VALU_DEP_1) | instskip(NEXT) | instid1(VALU_DEP_1)
	v_fmac_f64_e32 v[94:95], v[94:95], v[96:97]
	v_fma_f64 v[96:97], -v[42:43], v[94:95], 1.0
	s_delay_alu instid0(VALU_DEP_1) | instskip(SKIP_1) | instid1(VALU_DEP_1)
	v_fmac_f64_e32 v[94:95], v[94:95], v[96:97]
	v_div_scale_f64 v[96:97], vcc_lo, 1.0, v[40:41], 1.0
	v_mul_f64_e32 v[98:99], v[96:97], v[94:95]
	s_delay_alu instid0(VALU_DEP_1) | instskip(NEXT) | instid1(VALU_DEP_1)
	v_fma_f64 v[42:43], -v[42:43], v[98:99], v[96:97]
	v_div_fmas_f64 v[42:43], v[42:43], v[94:95], v[98:99]
	s_delay_alu instid0(VALU_DEP_1)
	v_div_fixup_f64 v[40:41], v[42:43], v[40:41], 1.0
	ds_store_b64 v82, v[40:41]
.LBB138_1082:                           ;   in Loop: Header=BB138_3 Depth=1
	s_or_b32 exec_lo, exec_lo, s11
	s_and_not1_saveexec_b32 s10, s10
	s_cbranch_execz .LBB138_21
.LBB138_1083:                           ;   in Loop: Header=BB138_3 Depth=1
	v_lshl_add_u64 v[40:41], v[16:17], 3, v[38:39]
	flat_load_b64 v[40:41], v[40:41]
	s_wait_loadcnt_dscnt 0x0
	v_xor_b32_e32 v41, 0x80000000, v41
	ds_store_b64 v82, v[40:41]
	s_or_b32 exec_lo, exec_lo, s10
	s_and_saveexec_b32 s10, s9
	s_delay_alu instid0(SALU_CYCLE_1)
	s_xor_b32 s10, exec_lo, s10
	s_cbranch_execz .LBB138_22
.LBB138_1084:                           ;   in Loop: Header=BB138_3 Depth=1
	s_mov_b32 s11, exec_lo
	v_readlane_b32 s12, v101, 21
	s_and_b32 s12, s11, s12
	s_delay_alu instid0(SALU_CYCLE_1)
	s_xor_b32 s11, s12, s11
	s_mov_b32 exec_lo, s12
	s_cbranch_execz .LBB138_1088
; %bb.1085:                             ;   in Loop: Header=BB138_3 Depth=1
	s_mov_b32 s12, exec_lo
	v_readlane_b32 s65, v100, 28
	s_and_b32 s65, s12, s65
	s_delay_alu instid0(SALU_CYCLE_1)
	s_mov_b32 exec_lo, s65
; %bb.1086:                             ;   in Loop: Header=BB138_3 Depth=1
	ds_store_b64 v84, v[24:25]
; %bb.1087:                             ;   in Loop: Header=BB138_3 Depth=1
	s_or_b32 exec_lo, exec_lo, s12
.LBB138_1088:                           ;   in Loop: Header=BB138_3 Depth=1
	s_and_not1_saveexec_b32 s11, s11
	s_cbranch_execz .LBB138_1090
; %bb.1089:                             ;   in Loop: Header=BB138_3 Depth=1
	v_lshl_add_u64 v[40:41], v[18:19], 3, v[38:39]
	flat_load_b64 v[40:41], v[40:41]
	s_wait_loadcnt_dscnt 0x0
	v_div_scale_f64 v[42:43], null, v[40:41], v[40:41], 1.0
	s_delay_alu instid0(VALU_DEP_1) | instskip(SKIP_1) | instid1(TRANS32_DEP_1)
	v_rcp_f64_e32 v[94:95], v[42:43]
	v_nop
	v_fma_f64 v[96:97], -v[42:43], v[94:95], 1.0
	s_delay_alu instid0(VALU_DEP_1) | instskip(NEXT) | instid1(VALU_DEP_1)
	v_fmac_f64_e32 v[94:95], v[94:95], v[96:97]
	v_fma_f64 v[96:97], -v[42:43], v[94:95], 1.0
	s_delay_alu instid0(VALU_DEP_1) | instskip(SKIP_1) | instid1(VALU_DEP_1)
	v_fmac_f64_e32 v[94:95], v[94:95], v[96:97]
	v_div_scale_f64 v[96:97], vcc_lo, 1.0, v[40:41], 1.0
	v_mul_f64_e32 v[98:99], v[96:97], v[94:95]
	s_delay_alu instid0(VALU_DEP_1) | instskip(NEXT) | instid1(VALU_DEP_1)
	v_fma_f64 v[42:43], -v[42:43], v[98:99], v[96:97]
	v_div_fmas_f64 v[42:43], v[42:43], v[94:95], v[98:99]
	s_delay_alu instid0(VALU_DEP_1)
	v_div_fixup_f64 v[40:41], v[42:43], v[40:41], 1.0
	ds_store_b64 v84, v[40:41]
.LBB138_1090:                           ;   in Loop: Header=BB138_3 Depth=1
	s_or_b32 exec_lo, exec_lo, s11
	s_and_not1_saveexec_b32 s10, s10
	s_cbranch_execnz .LBB138_23
	s_branch .LBB138_24
.LBB138_1091:                           ;   in Loop: Header=BB138_3 Depth=1
	ds_load_b64 v[34:35], v92
	ds_load_b64 v[40:41], v86
	s_wait_dscnt 0x0
	v_fma_f64 v[34:35], v[34:35], v[40:41], 0
	s_or_b32 exec_lo, exec_lo, s10
	s_and_saveexec_b32 s10, s7
	s_cbranch_execz .LBB138_1031
.LBB138_1092:                           ;   in Loop: Header=BB138_3 Depth=1
	ds_load_b64 v[40:41], v92 offset:8192
	ds_load_b64 v[42:43], v86 offset:128
	s_wait_dscnt 0x0
	v_fmac_f64_e32 v[34:35], v[40:41], v[42:43]
	s_or_b32 exec_lo, exec_lo, s10
	s_and_saveexec_b32 s10, s8
	s_cbranch_execz .LBB138_1032
.LBB138_1093:                           ;   in Loop: Header=BB138_3 Depth=1
	ds_load_b64 v[40:41], v92 offset:16384
	ds_load_b64 v[42:43], v86 offset:256
	s_wait_dscnt 0x0
	v_fmac_f64_e32 v[34:35], v[40:41], v[42:43]
	s_or_b32 exec_lo, exec_lo, s10
	s_and_saveexec_b32 s10, s9
	s_cbranch_execnz .LBB138_1033
	s_branch .LBB138_1034
.LBB138_1094:                           ;   in Loop: Header=BB138_3 Depth=1
	s_or_b32 exec_lo, exec_lo, s82
	s_delay_alu instid0(SALU_CYCLE_1)
	s_and_b32 vcc_lo, exec_lo, s10
	s_cbranch_vccnz .LBB138_1037
.LBB138_1095:                           ;   in Loop: Header=BB138_3 Depth=1
	s_delay_alu instid0(VALU_DEP_1)
	v_mov_b64_e32 v[38:39], v[40:41]
	v_mov_b64_e32 v[34:35], v[22:23]
	s_and_saveexec_b32 s10, s65
	s_cbranch_execz .LBB138_1097
.LBB138_1096:                           ;   in Loop: Header=BB138_3 Depth=1
	s_delay_alu instid0(VALU_DEP_1)
	v_lshl_add_u64 v[34:35], v[34:35], 3, v[36:37]
	flat_store_b64 v[34:35], v[38:39]
.LBB138_1097:                           ;   in Loop: Header=BB138_3 Depth=1
	s_wait_xcnt 0x0
	s_or_b32 exec_lo, exec_lo, s10
	global_wb scope:SCOPE_DEV
	s_wait_storecnt_dscnt 0x0
	global_inv scope:SCOPE_DEV
	s_wait_loadcnt 0x0
	s_barrier_signal -1
	s_barrier_wait -1
	s_and_saveexec_b32 s10, s59
	s_cbranch_execz .LBB138_2
; %bb.1098:                             ;   in Loop: Header=BB138_3 Depth=1
	s_lshl_b64 s[82:83], s[66:67], 2
	s_delay_alu instid0(SALU_CYCLE_1)
	s_add_nc_u64 s[82:83], s[80:81], s[82:83]
	global_load_b32 v0, v1, s[82:83]
	s_wait_loadcnt 0x0
	v_add_nc_u32_e32 v0, 1, v0
	global_store_b32 v1, v0, s[82:83]
	s_branch .LBB138_2
.LBB138_1099:                           ;   in Loop: Header=BB138_3 Depth=1
	ds_load_b64 v[40:41], v53 offset:31680
	ds_load_b64 v[42:43], v52 offset:32744
	s_wait_dscnt 0x0
	v_fmac_f64_e32 v[38:39], v[40:41], v[42:43]
	s_or_b32 exec_lo, exec_lo, s11
	s_and_saveexec_b32 s11, s17
	s_cbranch_execz .LBB138_88
.LBB138_1100:                           ;   in Loop: Header=BB138_3 Depth=1
	ds_load_b64 v[40:41], v53 offset:32192
	ds_load_b64 v[42:43], v52 offset:32752
	s_wait_dscnt 0x0
	v_fmac_f64_e32 v[38:39], v[40:41], v[42:43]
	s_or_b32 exec_lo, exec_lo, s11
	s_and_saveexec_b32 s11, s1
	s_cbranch_execnz .LBB138_89
	s_branch .LBB138_90
.LBB138_1101:                           ;   in Loop: Header=BB138_3 Depth=1
	ds_load_b64 v[40:41], v59 offset:29568
	ds_load_b64 v[42:43], v58 offset:32712
	s_wait_dscnt 0x0
	v_fmac_f64_e32 v[38:39], v[40:41], v[42:43]
	s_or_b32 exec_lo, exec_lo, s11
	s_and_saveexec_b32 s11, s19
	s_cbranch_execz .LBB138_130
.LBB138_1102:                           ;   in Loop: Header=BB138_3 Depth=1
	ds_load_b64 v[40:41], v59 offset:30080
	ds_load_b64 v[42:43], v58 offset:32720
	s_wait_dscnt 0x0
	v_fmac_f64_e32 v[38:39], v[40:41], v[42:43]
	s_or_b32 exec_lo, exec_lo, s11
	s_and_saveexec_b32 s11, s20
	s_cbranch_execz .LBB138_131
.LBB138_1103:                           ;   in Loop: Header=BB138_3 Depth=1
	ds_load_b64 v[40:41], v59 offset:30592
	ds_load_b64 v[42:43], v58 offset:32728
	s_wait_dscnt 0x0
	v_fmac_f64_e32 v[38:39], v[40:41], v[42:43]
	s_or_b32 exec_lo, exec_lo, s11
	s_and_saveexec_b32 s11, s21
	s_cbranch_execz .LBB138_132
.LBB138_1104:                           ;   in Loop: Header=BB138_3 Depth=1
	ds_load_b64 v[40:41], v59 offset:31104
	ds_load_b64 v[42:43], v58 offset:32736
	s_wait_dscnt 0x0
	v_fmac_f64_e32 v[38:39], v[40:41], v[42:43]
	s_or_b32 exec_lo, exec_lo, s11
	s_and_saveexec_b32 s11, s22
	s_cbranch_execz .LBB138_133
.LBB138_1105:                           ;   in Loop: Header=BB138_3 Depth=1
	ds_load_b64 v[40:41], v59 offset:31616
	ds_load_b64 v[42:43], v58 offset:32744
	s_wait_dscnt 0x0
	v_fmac_f64_e32 v[38:39], v[40:41], v[42:43]
	s_or_b32 exec_lo, exec_lo, s11
	s_and_saveexec_b32 s11, s3
	s_cbranch_execz .LBB138_134
.LBB138_1106:                           ;   in Loop: Header=BB138_3 Depth=1
	ds_load_b64 v[40:41], v59 offset:32128
	ds_load_b64 v[42:43], v58 offset:32752
	s_wait_dscnt 0x0
	v_fmac_f64_e32 v[38:39], v[40:41], v[42:43]
	s_or_b32 exec_lo, exec_lo, s11
	s_and_saveexec_b32 s11, s17
	s_cbranch_execnz .LBB138_135
	s_branch .LBB138_136
.LBB138_1107:                           ;   in Loop: Header=BB138_3 Depth=1
	ds_load_b64 v[40:41], v53 offset:27520
	ds_load_b64 v[42:43], v52 offset:28584
	s_wait_dscnt 0x0
	v_fmac_f64_e32 v[38:39], v[40:41], v[42:43]
	s_or_b32 exec_lo, exec_lo, s11
	s_and_saveexec_b32 s11, s17
	s_cbranch_execz .LBB138_192
.LBB138_1108:                           ;   in Loop: Header=BB138_3 Depth=1
	ds_load_b64 v[40:41], v53 offset:28032
	ds_load_b64 v[42:43], v52 offset:28592
	s_wait_dscnt 0x0
	v_fmac_f64_e32 v[38:39], v[40:41], v[42:43]
	s_or_b32 exec_lo, exec_lo, s11
	s_and_saveexec_b32 s11, s1
	s_cbranch_execnz .LBB138_193
	s_branch .LBB138_194
.LBB138_1109:                           ;   in Loop: Header=BB138_3 Depth=1
	ds_load_b64 v[40:41], v63 offset:30464
	ds_load_b64 v[42:43], v62 offset:32728
	s_wait_dscnt 0x0
	v_fmac_f64_e32 v[38:39], v[40:41], v[42:43]
	s_or_b32 exec_lo, exec_lo, s10
	s_and_saveexec_b32 s10, s4
	s_cbranch_execz .LBB138_254
.LBB138_1110:                           ;   in Loop: Header=BB138_3 Depth=1
	ds_load_b64 v[40:41], v63 offset:30976
	ds_load_b64 v[42:43], v62 offset:32736
	s_wait_dscnt 0x0
	v_fmac_f64_e32 v[38:39], v[40:41], v[42:43]
	s_or_b32 exec_lo, exec_lo, s10
	s_and_saveexec_b32 s10, s19
	s_cbranch_execz .LBB138_255
.LBB138_1111:                           ;   in Loop: Header=BB138_3 Depth=1
	ds_load_b64 v[40:41], v63 offset:31488
	ds_load_b64 v[42:43], v62 offset:32744
	s_wait_dscnt 0x0
	v_fmac_f64_e32 v[38:39], v[40:41], v[42:43]
	s_or_b32 exec_lo, exec_lo, s10
	s_and_saveexec_b32 s10, s21
	s_cbranch_execz .LBB138_256
.LBB138_1112:                           ;   in Loop: Header=BB138_3 Depth=1
	ds_load_b64 v[40:41], v63 offset:32000
	ds_load_b64 v[42:43], v62 offset:32752
	s_wait_dscnt 0x0
	v_fmac_f64_e32 v[38:39], v[40:41], v[42:43]
	s_or_b32 exec_lo, exec_lo, s10
	s_and_saveexec_b32 s10, s3
	s_cbranch_execnz .LBB138_257
	s_branch .LBB138_258
.LBB138_1113:                           ;   in Loop: Header=BB138_3 Depth=1
	ds_load_b64 v[40:41], v53 offset:23360
	ds_load_b64 v[42:43], v52 offset:24424
	s_wait_dscnt 0x0
	v_fmac_f64_e32 v[38:39], v[40:41], v[42:43]
	s_or_b32 exec_lo, exec_lo, s11
	s_and_saveexec_b32 s11, s17
	s_cbranch_execz .LBB138_346
.LBB138_1114:                           ;   in Loop: Header=BB138_3 Depth=1
	ds_load_b64 v[40:41], v53 offset:23872
	ds_load_b64 v[42:43], v52 offset:24432
	s_wait_dscnt 0x0
	v_fmac_f64_e32 v[38:39], v[40:41], v[42:43]
	s_or_b32 exec_lo, exec_lo, s11
	s_and_saveexec_b32 s11, s1
	s_cbranch_execnz .LBB138_347
	s_branch .LBB138_348
.LBB138_1115:                           ;   in Loop: Header=BB138_3 Depth=1
	ds_load_b64 v[40:41], v59 offset:21248
	ds_load_b64 v[42:43], v58 offset:24392
	s_wait_dscnt 0x0
	v_fmac_f64_e32 v[38:39], v[40:41], v[42:43]
	s_or_b32 exec_lo, exec_lo, s11
	s_and_saveexec_b32 s11, s19
	s_cbranch_execz .LBB138_388
.LBB138_1116:                           ;   in Loop: Header=BB138_3 Depth=1
	ds_load_b64 v[40:41], v59 offset:21760
	ds_load_b64 v[42:43], v58 offset:24400
	s_wait_dscnt 0x0
	v_fmac_f64_e32 v[38:39], v[40:41], v[42:43]
	s_or_b32 exec_lo, exec_lo, s11
	s_and_saveexec_b32 s11, s20
	s_cbranch_execz .LBB138_389
.LBB138_1117:                           ;   in Loop: Header=BB138_3 Depth=1
	ds_load_b64 v[40:41], v59 offset:22272
	ds_load_b64 v[42:43], v58 offset:24408
	s_wait_dscnt 0x0
	v_fmac_f64_e32 v[38:39], v[40:41], v[42:43]
	s_or_b32 exec_lo, exec_lo, s11
	s_and_saveexec_b32 s11, s21
	s_cbranch_execz .LBB138_390
.LBB138_1118:                           ;   in Loop: Header=BB138_3 Depth=1
	ds_load_b64 v[40:41], v59 offset:22784
	ds_load_b64 v[42:43], v58 offset:24416
	s_wait_dscnt 0x0
	v_fmac_f64_e32 v[38:39], v[40:41], v[42:43]
	s_or_b32 exec_lo, exec_lo, s11
	s_and_saveexec_b32 s11, s22
	s_cbranch_execz .LBB138_391
.LBB138_1119:                           ;   in Loop: Header=BB138_3 Depth=1
	ds_load_b64 v[40:41], v59 offset:23296
	ds_load_b64 v[42:43], v58 offset:24424
	s_wait_dscnt 0x0
	v_fmac_f64_e32 v[38:39], v[40:41], v[42:43]
	s_or_b32 exec_lo, exec_lo, s11
	s_and_saveexec_b32 s11, s3
	s_cbranch_execz .LBB138_392
.LBB138_1120:                           ;   in Loop: Header=BB138_3 Depth=1
	ds_load_b64 v[40:41], v59 offset:23808
	ds_load_b64 v[42:43], v58 offset:24432
	s_wait_dscnt 0x0
	v_fmac_f64_e32 v[38:39], v[40:41], v[42:43]
	s_or_b32 exec_lo, exec_lo, s11
	s_and_saveexec_b32 s11, s17
	s_cbranch_execnz .LBB138_393
	s_branch .LBB138_394
.LBB138_1121:                           ;   in Loop: Header=BB138_3 Depth=1
	ds_load_b64 v[40:41], v53 offset:19200
	ds_load_b64 v[42:43], v52 offset:20264
	s_wait_dscnt 0x0
	v_fmac_f64_e32 v[38:39], v[40:41], v[42:43]
	s_or_b32 exec_lo, exec_lo, s11
	s_and_saveexec_b32 s11, s17
	s_cbranch_execz .LBB138_450
.LBB138_1122:                           ;   in Loop: Header=BB138_3 Depth=1
	ds_load_b64 v[40:41], v53 offset:19712
	ds_load_b64 v[42:43], v52 offset:20272
	s_wait_dscnt 0x0
	v_fmac_f64_e32 v[38:39], v[40:41], v[42:43]
	s_or_b32 exec_lo, exec_lo, s11
	s_and_saveexec_b32 s11, s1
	s_cbranch_execnz .LBB138_451
	s_branch .LBB138_452
.LBB138_1123:                           ;   in Loop: Header=BB138_3 Depth=1
	ds_load_b64 v[40:41], v67 offset:31232
	ds_load_b64 v[42:43], v68 offset:32744
	s_wait_dscnt 0x0
	v_fmac_f64_e32 v[38:39], v[40:41], v[42:43]
	s_or_b32 exec_lo, exec_lo, s10
	s_and_saveexec_b32 s10, s4
	s_cbranch_execz .LBB138_548
.LBB138_1124:                           ;   in Loop: Header=BB138_3 Depth=1
	ds_load_b64 v[40:41], v67 offset:31744
	ds_load_b64 v[42:43], v68 offset:32752
	s_wait_dscnt 0x0
	v_fmac_f64_e32 v[38:39], v[40:41], v[42:43]
	s_or_b32 exec_lo, exec_lo, s10
	s_and_saveexec_b32 s10, s21
	s_delay_alu instid0(SALU_CYCLE_1)
	s_xor_b32 s10, exec_lo, s10
	s_cbranch_execnz .LBB138_549
	s_branch .LBB138_550
.LBB138_1125:                           ;   in Loop: Header=BB138_3 Depth=1
	ds_load_b64 v[40:41], v53 offset:15040
	ds_load_b64 v[42:43], v52 offset:16104
	s_wait_dscnt 0x0
	v_fmac_f64_e32 v[38:39], v[40:41], v[42:43]
	s_or_b32 exec_lo, exec_lo, s11
	s_and_saveexec_b32 s11, s17
	s_cbranch_execz .LBB138_594
.LBB138_1126:                           ;   in Loop: Header=BB138_3 Depth=1
	ds_load_b64 v[40:41], v53 offset:15552
	ds_load_b64 v[42:43], v52 offset:16112
	s_wait_dscnt 0x0
	v_fmac_f64_e32 v[38:39], v[40:41], v[42:43]
	s_or_b32 exec_lo, exec_lo, s11
	s_and_saveexec_b32 s11, s1
	s_cbranch_execnz .LBB138_595
	s_branch .LBB138_596
.LBB138_1127:                           ;   in Loop: Header=BB138_3 Depth=1
	ds_load_b64 v[40:41], v59 offset:12928
	ds_load_b64 v[42:43], v58 offset:16072
	s_wait_dscnt 0x0
	v_fmac_f64_e32 v[38:39], v[40:41], v[42:43]
	s_or_b32 exec_lo, exec_lo, s11
	s_and_saveexec_b32 s11, s19
	s_cbranch_execz .LBB138_636
.LBB138_1128:                           ;   in Loop: Header=BB138_3 Depth=1
	ds_load_b64 v[40:41], v59 offset:13440
	ds_load_b64 v[42:43], v58 offset:16080
	s_wait_dscnt 0x0
	v_fmac_f64_e32 v[38:39], v[40:41], v[42:43]
	s_or_b32 exec_lo, exec_lo, s11
	s_and_saveexec_b32 s11, s20
	s_cbranch_execz .LBB138_637
.LBB138_1129:                           ;   in Loop: Header=BB138_3 Depth=1
	ds_load_b64 v[40:41], v59 offset:13952
	ds_load_b64 v[42:43], v58 offset:16088
	s_wait_dscnt 0x0
	v_fmac_f64_e32 v[38:39], v[40:41], v[42:43]
	s_or_b32 exec_lo, exec_lo, s11
	s_and_saveexec_b32 s11, s21
	s_cbranch_execz .LBB138_638
.LBB138_1130:                           ;   in Loop: Header=BB138_3 Depth=1
	ds_load_b64 v[40:41], v59 offset:14464
	ds_load_b64 v[42:43], v58 offset:16096
	s_wait_dscnt 0x0
	v_fmac_f64_e32 v[38:39], v[40:41], v[42:43]
	s_or_b32 exec_lo, exec_lo, s11
	s_and_saveexec_b32 s11, s22
	s_cbranch_execz .LBB138_639
.LBB138_1131:                           ;   in Loop: Header=BB138_3 Depth=1
	ds_load_b64 v[40:41], v59 offset:14976
	ds_load_b64 v[42:43], v58 offset:16104
	s_wait_dscnt 0x0
	v_fmac_f64_e32 v[38:39], v[40:41], v[42:43]
	s_or_b32 exec_lo, exec_lo, s11
	s_and_saveexec_b32 s11, s3
	s_cbranch_execz .LBB138_640
.LBB138_1132:                           ;   in Loop: Header=BB138_3 Depth=1
	ds_load_b64 v[40:41], v59 offset:15488
	ds_load_b64 v[42:43], v58 offset:16112
	s_wait_dscnt 0x0
	v_fmac_f64_e32 v[38:39], v[40:41], v[42:43]
	s_or_b32 exec_lo, exec_lo, s11
	s_and_saveexec_b32 s11, s17
	s_cbranch_execnz .LBB138_641
	s_branch .LBB138_642
.LBB138_1133:                           ;   in Loop: Header=BB138_3 Depth=1
	ds_load_b64 v[40:41], v53 offset:10880
	ds_load_b64 v[42:43], v52 offset:11944
	s_wait_dscnt 0x0
	v_fmac_f64_e32 v[38:39], v[40:41], v[42:43]
	s_or_b32 exec_lo, exec_lo, s11
	s_and_saveexec_b32 s11, s17
	s_cbranch_execz .LBB138_698
.LBB138_1134:                           ;   in Loop: Header=BB138_3 Depth=1
	ds_load_b64 v[40:41], v53 offset:11392
	ds_load_b64 v[42:43], v52 offset:11952
	s_wait_dscnt 0x0
	v_fmac_f64_e32 v[38:39], v[40:41], v[42:43]
	s_or_b32 exec_lo, exec_lo, s11
	s_and_saveexec_b32 s11, s1
	s_cbranch_execnz .LBB138_699
	s_branch .LBB138_700
.LBB138_1135:                           ;   in Loop: Header=BB138_3 Depth=1
	ds_load_b64 v[40:41], v63 offset:13824
	ds_load_b64 v[42:43], v62 offset:16088
	s_wait_dscnt 0x0
	v_fmac_f64_e32 v[38:39], v[40:41], v[42:43]
	s_or_b32 exec_lo, exec_lo, s10
	s_and_saveexec_b32 s10, s4
	s_cbranch_execz .LBB138_760
.LBB138_1136:                           ;   in Loop: Header=BB138_3 Depth=1
	ds_load_b64 v[40:41], v63 offset:14336
	ds_load_b64 v[42:43], v62 offset:16096
	s_wait_dscnt 0x0
	v_fmac_f64_e32 v[38:39], v[40:41], v[42:43]
	s_or_b32 exec_lo, exec_lo, s10
	s_and_saveexec_b32 s10, s19
	s_cbranch_execz .LBB138_761
.LBB138_1137:                           ;   in Loop: Header=BB138_3 Depth=1
	ds_load_b64 v[40:41], v63 offset:14848
	ds_load_b64 v[42:43], v62 offset:16104
	s_wait_dscnt 0x0
	v_fmac_f64_e32 v[38:39], v[40:41], v[42:43]
	s_or_b32 exec_lo, exec_lo, s10
	s_and_saveexec_b32 s10, s21
	s_cbranch_execz .LBB138_762
.LBB138_1138:                           ;   in Loop: Header=BB138_3 Depth=1
	ds_load_b64 v[40:41], v63 offset:15360
	ds_load_b64 v[42:43], v62 offset:16112
	s_wait_dscnt 0x0
	v_fmac_f64_e32 v[38:39], v[40:41], v[42:43]
	s_or_b32 exec_lo, exec_lo, s10
	s_and_saveexec_b32 s10, s3
	s_cbranch_execnz .LBB138_763
	s_branch .LBB138_764
.LBB138_1139:                           ;   in Loop: Header=BB138_3 Depth=1
	ds_load_b64 v[40:41], v53 offset:6720
	ds_load_b64 v[42:43], v52 offset:7784
	s_wait_dscnt 0x0
	v_fmac_f64_e32 v[38:39], v[40:41], v[42:43]
	s_or_b32 exec_lo, exec_lo, s11
	s_and_saveexec_b32 s11, s17
	s_cbranch_execz .LBB138_852
.LBB138_1140:                           ;   in Loop: Header=BB138_3 Depth=1
	ds_load_b64 v[40:41], v53 offset:7232
	ds_load_b64 v[42:43], v52 offset:7792
	s_wait_dscnt 0x0
	v_fmac_f64_e32 v[38:39], v[40:41], v[42:43]
	s_or_b32 exec_lo, exec_lo, s11
	s_and_saveexec_b32 s11, s1
	s_cbranch_execnz .LBB138_853
	s_branch .LBB138_854
.LBB138_1141:                           ;   in Loop: Header=BB138_3 Depth=1
	ds_load_b64 v[40:41], v59 offset:4608
	ds_load_b64 v[42:43], v58 offset:7752
	s_wait_dscnt 0x0
	v_fmac_f64_e32 v[38:39], v[40:41], v[42:43]
	s_or_b32 exec_lo, exec_lo, s11
	s_and_saveexec_b32 s11, s19
	s_cbranch_execz .LBB138_894
.LBB138_1142:                           ;   in Loop: Header=BB138_3 Depth=1
	ds_load_b64 v[40:41], v59 offset:5120
	ds_load_b64 v[42:43], v58 offset:7760
	s_wait_dscnt 0x0
	v_fmac_f64_e32 v[38:39], v[40:41], v[42:43]
	s_or_b32 exec_lo, exec_lo, s11
	s_and_saveexec_b32 s11, s20
	s_cbranch_execz .LBB138_895
.LBB138_1143:                           ;   in Loop: Header=BB138_3 Depth=1
	ds_load_b64 v[40:41], v59 offset:5632
	ds_load_b64 v[42:43], v58 offset:7768
	s_wait_dscnt 0x0
	v_fmac_f64_e32 v[38:39], v[40:41], v[42:43]
	s_or_b32 exec_lo, exec_lo, s11
	s_and_saveexec_b32 s11, s21
	s_cbranch_execz .LBB138_896
.LBB138_1144:                           ;   in Loop: Header=BB138_3 Depth=1
	ds_load_b64 v[40:41], v59 offset:6144
	ds_load_b64 v[42:43], v58 offset:7776
	s_wait_dscnt 0x0
	v_fmac_f64_e32 v[38:39], v[40:41], v[42:43]
	s_or_b32 exec_lo, exec_lo, s11
	s_and_saveexec_b32 s11, s22
	s_cbranch_execz .LBB138_897
.LBB138_1145:                           ;   in Loop: Header=BB138_3 Depth=1
	ds_load_b64 v[40:41], v59 offset:6656
	ds_load_b64 v[42:43], v58 offset:7784
	s_wait_dscnt 0x0
	v_fmac_f64_e32 v[38:39], v[40:41], v[42:43]
	s_or_b32 exec_lo, exec_lo, s11
	s_and_saveexec_b32 s11, s3
	s_cbranch_execz .LBB138_898
.LBB138_1146:                           ;   in Loop: Header=BB138_3 Depth=1
	ds_load_b64 v[40:41], v59 offset:7168
	ds_load_b64 v[42:43], v58 offset:7792
	s_wait_dscnt 0x0
	v_fmac_f64_e32 v[38:39], v[40:41], v[42:43]
	s_or_b32 exec_lo, exec_lo, s11
	s_and_saveexec_b32 s11, s17
	s_cbranch_execnz .LBB138_899
	s_branch .LBB138_900
.LBB138_1147:                           ;   in Loop: Header=BB138_3 Depth=1
	ds_load_b64 v[40:41], v53 offset:2560
	ds_load_b64 v[42:43], v52 offset:3624
	s_wait_dscnt 0x0
	v_fmac_f64_e32 v[38:39], v[40:41], v[42:43]
	s_or_b32 exec_lo, exec_lo, s11
	s_and_saveexec_b32 s11, s17
	s_cbranch_execz .LBB138_956
.LBB138_1148:                           ;   in Loop: Header=BB138_3 Depth=1
	ds_load_b64 v[40:41], v53 offset:3072
	ds_load_b64 v[42:43], v52 offset:3632
	s_wait_dscnt 0x0
	v_fmac_f64_e32 v[38:39], v[40:41], v[42:43]
	s_or_b32 exec_lo, exec_lo, s11
	s_and_saveexec_b32 s11, s1
	s_cbranch_execnz .LBB138_957
	s_branch .LBB138_958
.LBB138_1149:
	s_endpgm
	.section	.rodata,"a",@progbits
	.p2align	6, 0x0
	.amdhsa_kernel _ZL19rocblas_trsv_deviceILi64ELi16ELb0ELb1ELb1ELb0EddPKPKdPKPdEviT7_lllT6_T8_lllPii
		.amdhsa_group_segment_fixed_size 41480
		.amdhsa_private_segment_fixed_size 0
		.amdhsa_kernarg_size 352
		.amdhsa_user_sgpr_count 2
		.amdhsa_user_sgpr_dispatch_ptr 0
		.amdhsa_user_sgpr_queue_ptr 0
		.amdhsa_user_sgpr_kernarg_segment_ptr 1
		.amdhsa_user_sgpr_dispatch_id 0
		.amdhsa_user_sgpr_kernarg_preload_length 0
		.amdhsa_user_sgpr_kernarg_preload_offset 0
		.amdhsa_user_sgpr_private_segment_size 0
		.amdhsa_wavefront_size32 1
		.amdhsa_uses_dynamic_stack 0
		.amdhsa_enable_private_segment 0
		.amdhsa_system_sgpr_workgroup_id_x 1
		.amdhsa_system_sgpr_workgroup_id_y 0
		.amdhsa_system_sgpr_workgroup_id_z 1
		.amdhsa_system_sgpr_workgroup_info 0
		.amdhsa_system_vgpr_workitem_id 1
		.amdhsa_next_free_vgpr 102
		.amdhsa_next_free_sgpr 105
		.amdhsa_named_barrier_count 0
		.amdhsa_reserve_vcc 1
		.amdhsa_float_round_mode_32 0
		.amdhsa_float_round_mode_16_64 0
		.amdhsa_float_denorm_mode_32 3
		.amdhsa_float_denorm_mode_16_64 3
		.amdhsa_fp16_overflow 0
		.amdhsa_memory_ordered 1
		.amdhsa_forward_progress 1
		.amdhsa_inst_pref_size 255
		.amdhsa_round_robin_scheduling 0
		.amdhsa_exception_fp_ieee_invalid_op 0
		.amdhsa_exception_fp_denorm_src 0
		.amdhsa_exception_fp_ieee_div_zero 0
		.amdhsa_exception_fp_ieee_overflow 0
		.amdhsa_exception_fp_ieee_underflow 0
		.amdhsa_exception_fp_ieee_inexact 0
		.amdhsa_exception_int_div_zero 0
	.end_amdhsa_kernel
	.section	.text._ZL19rocblas_trsv_deviceILi64ELi16ELb0ELb1ELb1ELb0EddPKPKdPKPdEviT7_lllT6_T8_lllPii,"axG",@progbits,_ZL19rocblas_trsv_deviceILi64ELi16ELb0ELb1ELb1ELb0EddPKPKdPKPdEviT7_lllT6_T8_lllPii,comdat
.Lfunc_end138:
	.size	_ZL19rocblas_trsv_deviceILi64ELi16ELb0ELb1ELb1ELb0EddPKPKdPKPdEviT7_lllT6_T8_lllPii, .Lfunc_end138-_ZL19rocblas_trsv_deviceILi64ELi16ELb0ELb1ELb1ELb0EddPKPKdPKPdEviT7_lllT6_T8_lllPii
                                        ; -- End function
	.set _ZL19rocblas_trsv_deviceILi64ELi16ELb0ELb1ELb1ELb0EddPKPKdPKPdEviT7_lllT6_T8_lllPii.num_vgpr, 102
	.set _ZL19rocblas_trsv_deviceILi64ELi16ELb0ELb1ELb1ELb0EddPKPKdPKPdEviT7_lllT6_T8_lllPii.num_agpr, 0
	.set _ZL19rocblas_trsv_deviceILi64ELi16ELb0ELb1ELb1ELb0EddPKPKdPKPdEviT7_lllT6_T8_lllPii.numbered_sgpr, 105
	.set _ZL19rocblas_trsv_deviceILi64ELi16ELb0ELb1ELb1ELb0EddPKPKdPKPdEviT7_lllT6_T8_lllPii.num_named_barrier, 0
	.set _ZL19rocblas_trsv_deviceILi64ELi16ELb0ELb1ELb1ELb0EddPKPKdPKPdEviT7_lllT6_T8_lllPii.private_seg_size, 0
	.set _ZL19rocblas_trsv_deviceILi64ELi16ELb0ELb1ELb1ELb0EddPKPKdPKPdEviT7_lllT6_T8_lllPii.uses_vcc, 1
	.set _ZL19rocblas_trsv_deviceILi64ELi16ELb0ELb1ELb1ELb0EddPKPKdPKPdEviT7_lllT6_T8_lllPii.uses_flat_scratch, 0
	.set _ZL19rocblas_trsv_deviceILi64ELi16ELb0ELb1ELb1ELb0EddPKPKdPKPdEviT7_lllT6_T8_lllPii.has_dyn_sized_stack, 0
	.set _ZL19rocblas_trsv_deviceILi64ELi16ELb0ELb1ELb1ELb0EddPKPKdPKPdEviT7_lllT6_T8_lllPii.has_recursion, 0
	.set _ZL19rocblas_trsv_deviceILi64ELi16ELb0ELb1ELb1ELb0EddPKPKdPKPdEviT7_lllT6_T8_lllPii.has_indirect_call, 0
	.section	.AMDGPU.csdata,"",@progbits
; Kernel info:
; codeLenInByte = 38260
; TotalNumSgprs: 107
; NumVgprs: 102
; ScratchSize: 0
; MemoryBound: 0
; FloatMode: 240
; IeeeMode: 1
; LDSByteSize: 41480 bytes/workgroup (compile time only)
; SGPRBlocks: 0
; VGPRBlocks: 6
; NumSGPRsForWavesPerEU: 107
; NumVGPRsForWavesPerEU: 102
; NamedBarCnt: 0
; Occupancy: 9
; WaveLimiterHint : 1
; COMPUTE_PGM_RSRC2:SCRATCH_EN: 0
; COMPUTE_PGM_RSRC2:USER_SGPR: 2
; COMPUTE_PGM_RSRC2:TRAP_HANDLER: 0
; COMPUTE_PGM_RSRC2:TGID_X_EN: 1
; COMPUTE_PGM_RSRC2:TGID_Y_EN: 0
; COMPUTE_PGM_RSRC2:TGID_Z_EN: 1
; COMPUTE_PGM_RSRC2:TIDIG_COMP_CNT: 1
	.section	.text._ZL19rocblas_trsv_deviceILi64ELi16ELb1ELb0ELb0ELb1EddPKPKdPKPdEviT7_lllT6_T8_lllPii,"axG",@progbits,_ZL19rocblas_trsv_deviceILi64ELi16ELb1ELb0ELb0ELb1EddPKPKdPKPdEviT7_lllT6_T8_lllPii,comdat
	.globl	_ZL19rocblas_trsv_deviceILi64ELi16ELb1ELb0ELb0ELb1EddPKPKdPKPdEviT7_lllT6_T8_lllPii ; -- Begin function _ZL19rocblas_trsv_deviceILi64ELi16ELb1ELb0ELb0ELb1EddPKPKdPKPdEviT7_lllT6_T8_lllPii
	.p2align	8
	.type	_ZL19rocblas_trsv_deviceILi64ELi16ELb1ELb0ELb0ELb1EddPKPKdPKPdEviT7_lllT6_T8_lllPii,@function
_ZL19rocblas_trsv_deviceILi64ELi16ELb1ELb0ELb0ELb1EddPKPKdPKPdEviT7_lllT6_T8_lllPii: ; @_ZL19rocblas_trsv_deviceILi64ELi16ELb1ELb0ELb0ELb1EddPKPKdPKPdEviT7_lllT6_T8_lllPii
; %bb.0:
	s_load_b32 s6, s[0:1], 0x58
	s_bfe_u32 s2, ttmp6, 0x40014
	s_lshr_b32 s3, ttmp7, 16
	s_add_co_i32 s2, s2, 1
	s_bfe_u32 s5, ttmp6, 0x40008
	s_mul_i32 s4, s3, s2
	s_getreg_b32 s2, hwreg(HW_REG_IB_STS2, 6, 4)
	s_add_co_i32 s5, s5, s4
	s_cmp_eq_u32 s2, 0
	s_mov_b32 s67, 0
	s_cselect_b32 s66, s3, s5
                                        ; implicit-def: $vgpr89 : SGPR spill to VGPR lane
	s_wait_kmcnt 0x0
	s_cmp_ge_u32 s66, s6
	v_writelane_b32 v89, s6, 0
	s_cbranch_scc1 .LBB139_1055
; %bb.1:
	s_clause 0x3
	s_load_b32 s3, s[0:1], 0x6c
	s_load_b32 s95, s[0:1], 0x0
	s_load_b64 s[80:81], s[0:1], 0x18
	s_load_b256 s[68:75], s[0:1], 0x28
	s_bfe_u32 s5, ttmp6, 0x4000c
	s_and_b32 s4, ttmp6, 15
	s_add_co_i32 s5, s5, 1
	s_clause 0x1
	s_load_b64 s[82:83], s[0:1], 0x50
	s_load_b128 s[76:79], s[0:1], 0x8
	s_mul_i32 s5, ttmp9, s5
	v_bfe_u32 v2, v0, 10, 10
	s_add_co_i32 s4, s4, s5
	s_cmp_eq_u32 s2, 0
	v_and_b32_e32 v4, 0x3ff, v0
	s_cselect_b32 s96, ttmp9, s4
	v_dual_mov_b32 v1, 0 :: v_dual_lshrrev_b32 v3, 10, v0
	s_delay_alu instid0(VALU_DEP_2)
	v_dual_lshlrev_b32 v14, 6, v2 :: v_dual_lshlrev_b32 v53, 3, v4
	v_sub_co_u32 v5, s5, s96, 1
	s_wait_kmcnt 0x0
	s_add_co_i32 s0, s95, -1
	s_ashr_i32 s1, s95, 31
	s_and_b32 s2, s3, 0xffff
	s_ashr_i32 s3, s0, 31
	s_lshr_b32 s1, s1, 26
	s_lshr_b32 s3, s3, 26
	s_add_co_i32 s1, s95, s1
	s_add_co_i32 s0, s0, s3
	s_and_not1_b32 s1, s1, 63
	s_ashr_i32 s0, s0, 6
	s_sub_co_i32 s16, s95, s1
	s_cmp_eq_u32 s0, s96
	v_mov_b32_e32 v7, v1
	s_cselect_b32 s3, -1, 0
	s_cmp_lg_u32 s16, 0
	v_add_nc_u32_e32 v47, v14, v4
	s_cselect_b32 s4, -1, 0
	s_lshl_b32 s12, s96, 6
	s_delay_alu instid0(SALU_CYCLE_1) | instskip(SKIP_2) | instid1(VALU_DEP_3)
	v_dual_add_nc_u32 v16, s12, v2 :: v_dual_bitop2_b32 v6, v14, v4 bitop3:0x14
	v_dual_add_nc_u32 v8, s12, v4 :: v_dual_bitop2_b32 v15, v14, v4 bitop3:0x40
	v_and_b32_e32 v14, 3, v0
	v_lshrrev_b16 v17, 1, v6
	s_delay_alu instid0(VALU_DEP_4)
	v_subrev_nc_u32_e32 v12, 64, v16
	v_bitop3_b32 v46, v0, v3, 0x3ff bitop3:0xa8
	s_and_b32 s9, s4, s3
	v_lshlrev_b32_e32 v56, 3, v14
	v_mad_u32_u24 v6, v2, s2, v4
	v_ashrrev_i32_e32 v13, 31, v12
	s_xor_b32 s2, s5, -1
	s_ashr_i32 s13, s12, 31
	s_xor_b32 s98, s9, -1
	s_add_nc_u64 s[0:1], s[80:81], 1
	v_mul_u64_e32 v[10:11], s[80:81], v[12:13]
	v_add_nc_u16 v13, v15, v17
	v_and_b32_e32 v15, 1, v0
	v_ashrrev_i32_e32 v9, 31, v8
	s_cmp_gt_i32 s96, 4
	v_writelane_b32 v89, s2, 1
	v_and_b32_e32 v3, 0xffff, v13
	v_lshlrev_b32_e32 v13, 3, v15
	s_mul_u64 s[14:15], s[0:1], s[12:13]
	s_cselect_b32 s1, -1, 0
	v_cmp_gt_i32_e32 vcc_lo, s16, v4
	s_and_b32 s99, s1, s98
	v_lshl_or_b32 v51, v3, 9, v13
	v_lshrrev_b32_e32 v13, 2, v47
	v_cmp_eq_u32_e64 s2, 1, v15
	v_cmp_gt_u32_e64 s1, 4, v47
	v_lshl_add_u32 v50, v3, 3, 0x8000
	v_mul_u32_u24_e32 v52, 0x208, v3
	v_lshlrev_b32_e32 v3, 3, v13
	v_mul_u32_u24_e32 v54, 0x208, v13
	s_xor_b32 s3, s2, -1
	s_and_b32 s101, s2, s1
	s_and_b32 s100, s3, s1
	v_cmp_gt_u32_e64 s2, 16, v47
	v_lshl_or_b32 v57, v13, 9, v56
	v_and_b32_e32 v13, 7, v0
	v_add_nc_u32_e32 v55, 0x8000, v3
	v_sub_nc_u32_e32 v3, v54, v3
	v_cmp_eq_u32_e64 s3, 0, v14
	v_cmp_ne_u32_e64 s4, 0, v14
	v_cmp_eq_u32_e64 s5, 1, v14
	v_cmp_lt_u32_e64 s6, 1, v13
	v_dual_add_nc_u32 v58, v3, v56 :: v_dual_lshrrev_b32 v3, 3, v47
	s_and_b32 s102, s3, s2
	s_and_b32 s103, s4, s2
	v_cmp_lt_u32_e64 s3, 1, v14
	v_cmp_eq_u32_e64 s4, 2, v14
	s_and_b32 s104, s5, s2
	v_cmp_eq_u32_e64 s5, 3, v14
	v_and_b32_e32 v14, 0x1fff8, v47
	s_and_b32 vcc_hi, s3, s2
	s_and_b32 s31, s4, s2
	v_cmp_gt_u32_e64 s3, 64, v47
	v_cmp_eq_u32_e64 s4, 0, v13
	v_mul_u32_u24_e32 v59, 0x208, v3
	s_and_b32 s33, s5, s2
	v_cmp_ne_u32_e64 s5, 0, v13
	v_lshlrev_b32_e32 v60, 3, v13
	s_and_b32 s34, s4, s3
	v_cmp_eq_u32_e64 s4, 1, v13
	v_sub_nc_u32_e32 v15, v59, v14
	v_cmp_eq_u32_e64 s7, 2, v13
	v_cmp_lt_u32_e64 s8, 2, v13
	s_and_b32 s35, s5, s3
	s_and_b32 s36, s4, s3
	;; [unrolled: 1-line block ×3, first 2 shown]
	v_cmp_eq_u32_e64 s4, 3, v13
	v_cmp_lt_u32_e64 s5, 3, v13
	v_cmp_eq_u32_e64 s6, 4, v13
	v_lshl_or_b32 v62, v3, 9, v60
	v_dual_add_nc_u32 v63, v15, v60 :: v_dual_lshrrev_b32 v3, 4, v47
	s_and_b32 s38, s7, s3
	s_and_b32 s39, s8, s3
	v_cmp_lt_u32_e64 s7, 4, v13
	v_cmp_eq_u32_e64 s8, 5, v13
	s_and_b32 s40, s4, s3
	s_and_b32 s41, s5, s3
	;; [unrolled: 1-line block ×3, first 2 shown]
	v_cmp_lt_u32_e64 s4, 5, v13
	v_cmp_eq_u32_e64 s5, 6, v13
	v_cmp_eq_u32_e64 s6, 7, v13
	v_and_b32_e32 v13, 15, v0
	v_add_nc_u32_e32 v61, 0x8000, v14
	v_lshlrev_b32_e32 v14, 3, v3
	s_and_b32 s45, s4, s3
	s_and_b32 s46, s5, s3
	v_cmp_gt_u32_e64 s4, 0x100, v47
	v_cmp_eq_u32_e64 s5, 0, v13
	s_and_b32 s47, s6, s3
	v_cmp_ne_u32_e64 s6, 0, v13
	s_and_b32 s43, s7, s3
	v_cmp_eq_u32_e64 s7, 1, v13
	s_and_b32 s5, s5, s4
	s_and_b32 s44, s8, s3
	v_writelane_b32 v89, s5, 2
	s_and_b32 s6, s6, s4
	v_cmp_lt_u32_e64 s8, 1, v13
	v_cmp_eq_u32_e64 s5, 2, v13
	v_mul_u32_u24_e32 v64, 0x208, v3
	v_writelane_b32 v89, s6, 3
	s_and_b32 s6, s7, s4
	v_cmp_lt_u32_e64 s7, 3, v13
	s_and_b32 s5, s5, s4
	v_dual_lshlrev_b32 v65, 3, v13 :: v_dual_sub_nc_u32 v15, v64, v14
	v_writelane_b32 v89, s6, 4
	s_and_b32 s6, s8, s4
	v_cmp_eq_u32_e64 s8, 4, v13
	s_and_b32 s19, s7, s4
	v_cmp_eq_u32_e64 s7, 6, v13
	v_writelane_b32 v89, s6, 5
	v_cmp_lt_u32_e64 s6, 2, v13
	s_and_b32 s21, s8, s4
	v_cmp_lt_u32_e64 s8, 6, v13
	s_and_b32 s29, s7, s4
	v_writelane_b32 v89, s5, 6
	v_cmp_eq_u32_e64 s5, 3, v13
	s_and_b32 s53, s6, s4
	v_cmp_lt_u32_e64 s6, 4, v13
	s_and_b32 s57, s8, s4
	v_cmp_eq_u32_e64 s8, 9, v13
	s_and_b32 s54, s5, s4
	v_cmp_eq_u32_e64 s5, 5, v13
	s_and_b32 s23, s6, s4
	v_cmp_lt_u32_e64 s6, 5, v13
	s_and_b32 s62, s8, s4
	v_cmp_lt_u32_e64 s8, 11, v13
	s_and_b32 s25, s5, s4
	v_cmp_eq_u32_e64 s5, 7, v13
	s_and_b32 s27, s6, s4
	v_cmp_lt_u32_e64 s6, 7, v13
	v_cmp_lt_u32_e64 s7, 8, v13
	s_and_b32 s24, s8, s4
	s_and_b32 s58, s5, s4
	v_cmp_eq_u32_e64 s5, 8, v13
	s_and_b32 s59, s6, s4
	v_cmp_lt_u32_e64 s6, 9, v13
	v_cmp_eq_u32_e64 s8, 14, v13
	s_and_b32 s61, s7, s4
	s_and_b32 s60, s5, s4
	v_cmp_eq_u32_e64 s5, 10, v13
	s_and_b32 s63, s6, s4
	v_cmp_lt_u32_e64 s6, 10, v13
	v_cmp_eq_u32_e64 s7, 11, v13
	s_and_b32 s48, s8, s4
	s_and_b32 s64, s5, s4
	v_cmp_eq_u32_e64 s5, 12, v13
	s_and_b32 s20, s6, s4
	v_cmp_lt_u32_e64 s6, 12, v13
	v_cmp_le_i32_e64 s8, s16, v4
	s_and_b32 s22, s7, s4
	s_and_b32 s26, s5, s4
	v_cmp_eq_u32_e64 s5, 13, v13
	s_and_b32 s28, s6, s4
	v_cmp_eq_u32_e64 s6, 15, v13
	v_cmp_lt_u32_e64 s7, 13, v13
	s_and_b32 s50, s8, s9
	s_and_b32 s97, s5, s4
	v_cmp_eq_u32_e64 s5, 0, v2
	v_lshl_or_b32 v67, v3, 9, v65
	v_dual_add_nc_u32 v68, v15, v65 :: v_dual_lshrrev_b32 v3, 5, v47
	s_and_b32 s49, s6, s4
	s_xor_b32 s6, s50, -1
	s_and_b32 s94, s7, s4
	s_and_b32 s51, s5, s6
	s_cmp_gt_i32 s96, 0
	v_cmp_gt_i32_e64 s0, s95, v8
	v_dual_lshlrev_b32 v70, 3, v3 :: v_dual_bitop2_b32 v69, 31, v0 bitop3:0x40
	v_lshlrev_b32_e32 v71, 9, v3
	s_cselect_b32 s52, -1, 0
	v_subrev_nc_u32_e32 v3, 48, v16
	s_and_b32 s6, s5, vcc_lo
	v_cmp_gt_i32_e32 vcc_lo, s95, v12
	v_writelane_b32 v89, s6, 7
	v_add_nc_u32_e32 v66, 0x8000, v14
	v_add_nc_u64_e32 v[14:15], s[12:13], v[6:7]
	v_subrev_nc_u32_e32 v7, 32, v16
	v_cmp_gt_i32_e64 s6, s95, v3
	s_and_b32 s11, s0, vcc_lo
	v_dual_add_nc_u32 v40, 48, v2 :: v_dual_add_nc_u32 v13, -16, v16
	v_writelane_b32 v89, s11, 8
	v_cmp_gt_i32_e64 s7, s95, v7
	s_and_b32 s6, s0, s6
	v_lshlrev_b32_e32 v17, 3, v69
	v_cmp_gt_i32_e64 s9, s95, v13
	v_writelane_b32 v89, s6, 9
	s_and_b32 s6, s0, s7
	v_cmp_le_u32_e64 s13, v4, v2
	v_cmp_le_i32_e32 vcc_lo, s16, v2
	v_dual_add_nc_u32 v44, 16, v2 :: v_dual_bitop2_b32 v73, v71, v17 bitop3:0x54
	v_writelane_b32 v89, s6, 10
	s_and_b32 s6, s0, s9
	v_lshl_add_u32 v74, v2, 3, 0xa000
	v_add_nc_u32_e32 v42, 32, v2
	v_cmp_le_u32_e64 s17, v4, v44
	v_writelane_b32 v89, s6, 11
	s_or_b32 s6, vcc_lo, s8
	v_add_nc_u32_e32 v79, v74, v53
	s_or_b32 s6, s6, s13
	v_cmp_le_i32_e64 s9, s16, v44
	v_writelane_b32 v89, s13, 12
	v_cmp_le_i32_e64 s11, s16, v42
	v_dual_add_nc_u32 v0, s12, v6 :: v_dual_bitop2_b32 v48, v44, v4 bitop3:0x54
	s_or_b32 s7, s9, s8
	v_writelane_b32 v89, s6, 13
	s_or_b32 s6, s7, s17
	s_or_b32 s9, s11, s8
	v_cmp_le_u32_e64 s11, v4, v42
	v_cmp_le_i32_e64 s12, s16, v40
	v_writelane_b32 v89, s17, 14
                                        ; implicit-def: $vgpr88 : SGPR spill to VGPR lane
	v_dual_mov_b32 v45, v1 :: v_dual_add_nc_u32 v72, 0x8000, v70
	v_mov_b32_e32 v3, v1
	s_or_b32 s8, s12, s8
	v_writelane_b32 v89, s6, 15
	s_or_b32 s6, s9, s11
	v_cmp_le_u32_e64 s12, v4, v40
	v_dual_mov_b32 v43, v1 :: v_dual_bitop2_b32 v49, v42, v4 bitop3:0x54
	v_writelane_b32 v89, s11, 16
	v_mov_b32_e32 v41, v1
	v_mul_u64_e32 v[12:13], s[74:75], v[14:15]
	v_or_b32_e32 v80, 0x4100, v17
	v_lshlrev_b32_e32 v14, 3, v4
	v_writelane_b32 v89, s6, 17
	s_or_b32 s6, s8, s12
	v_mul_u64_e32 v[16:17], s[74:75], v[8:9]
	v_mul_u64_e32 v[18:19], s[74:75], v[0:1]
	;; [unrolled: 1-line block ×3, first 2 shown]
	v_writelane_b32 v89, s12, 18
	v_mul_u64_e32 v[22:23], s[80:81], v[44:45]
	v_mul_u64_e32 v[24:25], s[80:81], v[42:43]
	v_mul_u64_e32 v[26:27], s[80:81], v[40:41]
	v_cmp_lt_u32_e64 s10, 0x3ff, v47
	v_writelane_b32 v89, s6, 19
	v_cmp_gt_u32_e64 s6, 0xf0, v47
	v_dual_mov_b32 v15, v1 :: v_dual_bitop2_b32 v83, v40, v4 bitop3:0x54
	v_mov_b64_e32 v[28:29], 0
	v_mov_b64_e32 v[30:31], 1.0
	s_delay_alu instid0(VALU_DEP_4)
	v_writelane_b32 v89, s6, 20
	v_cmp_gt_u32_e64 s6, 0xe0, v47
	v_lshl_add_u32 v75, v6, 3, 0xa000
	v_lshl_add_u32 v76, v47, 3, 0x8000
	v_add_nc_u32_e32 v77, 0x8000, v53
	v_lshl_add_u32 v78, v2, 9, v53
	v_writelane_b32 v89, s6, 21
	v_cmp_gt_u32_e64 s6, 0xd0, v47
	v_lshl_add_u32 v7, v44, 9, v53
	s_lshl_b64 s[84:85], s[14:15], 3
	s_xor_b32 s7, s10, -1
	v_lshl_add_u32 v81, v42, 9, v53
	v_writelane_b32 v89, s6, 22
	v_cmp_gt_u32_e64 s6, 0xc0, v47
	v_lshl_add_u32 v82, v40, 9, v53
	v_cmp_eq_u32_e64 s10, 0, v46
	v_cmp_gt_u32_e64 s11, 2, v47
	v_cmp_gt_u32_e64 s12, 12, v47
	v_writelane_b32 v89, s6, 23
	v_cmp_gt_u32_e64 s6, 0xb0, v47
	v_cmp_gt_u32_e64 s13, 8, v47
	;; [unrolled: 1-line block ×5, first 2 shown]
	v_writelane_b32 v89, s6, 24
	v_cmp_gt_u32_e64 s6, 0xa0, v47
	v_cmp_gt_u32_e64 s17, 32, v47
	v_cmp_gt_u32_e64 s18, 24, v47
	v_cmp_gt_u32_e64 s30, 0x400, v47
	v_cmp_eq_u32_e64 s55, 0, v6
	v_writelane_b32 v89, s6, 25
	v_cmp_gt_u32_e64 s6, 0x90, v47
	v_cmp_gt_u32_e64 s56, 64, v6
	s_lshl_b64 s[86:87], s[80:81], 7
	s_lshl_b64 s[88:89], s[80:81], 8
	s_mul_u64 s[90:91], s[80:81], 0x180
	v_writelane_b32 v89, s6, 26
	v_cmp_gt_u32_e64 s6, 0x80, v47
	s_lshl_b64 s[78:79], s[78:79], 3
	s_lshl_b64 s[72:73], s[72:73], 3
                                        ; implicit-def: $vgpr32_vgpr33
                                        ; implicit-def: $vgpr34_vgpr35
                                        ; implicit-def: $vgpr36_vgpr37
                                        ; implicit-def: $vgpr38_vgpr39
	v_writelane_b32 v89, s6, 27
	v_cmp_gt_u32_e64 s6, 0x70, v47
	s_delay_alu instid0(VALU_DEP_1) | instskip(SKIP_1) | instid1(VALU_DEP_1)
	v_writelane_b32 v89, s6, 28
	v_cmp_gt_u32_e64 s6, 0x60, v47
	v_writelane_b32 v89, s6, 29
	v_cmp_gt_u32_e64 s6, 0x50, v47
	s_delay_alu instid0(VALU_DEP_1) | instskip(SKIP_1) | instid1(VALU_DEP_1)
	v_writelane_b32 v89, s6, 30
	v_cmp_gt_u32_e64 s6, 0x3e0, v47
	;; [unrolled: 5-line block ×13, first 2 shown]
	v_writelane_b32 v88, s6, 21
	v_cmp_ge_u32_e64 s6, v4, v2
	s_delay_alu instid0(VALU_DEP_1) | instskip(SKIP_1) | instid1(VALU_DEP_1)
	v_writelane_b32 v88, s6, 22
	v_cmp_ge_u32_e64 s6, v4, v44
	v_writelane_b32 v88, s6, 23
	v_cmp_ge_u32_e64 s6, v4, v42
	s_delay_alu instid0(VALU_DEP_1) | instskip(SKIP_1) | instid1(VALU_DEP_1)
	v_writelane_b32 v88, s6, 24
	v_cmp_ge_u32_e64 s6, v4, v40
	v_writelane_b32 v88, s6, 25
	v_cmp_gt_u32_e64 s6, 64, v46
	s_delay_alu instid0(VALU_DEP_1) | instskip(SKIP_1) | instid1(VALU_DEP_1)
	v_writelane_b32 v88, s6, 26
	v_cmp_gt_u32_e64 s6, 64, v48
	v_writelane_b32 v88, s6, 27
	v_cmp_gt_u32_e64 s6, 64, v49
	s_delay_alu instid0(VALU_DEP_1) | instskip(SKIP_1) | instid1(VALU_DEP_1)
	v_writelane_b32 v88, s6, 28
	v_cmp_gt_u32_e64 s6, 64, v83
	v_writelane_b32 v88, s6, 29
	s_branch .LBB139_3
.LBB139_2:                              ;   in Loop: Header=BB139_3 Depth=1
	s_wait_xcnt 0x0
	s_or_b32 exec_lo, exec_lo, s6
	v_readlane_b32 s6, v89, 0
	s_add_co_i32 s66, s66, 0x10000
	global_wb scope:SCOPE_DEV
	s_wait_storecnt 0x0
	global_inv scope:SCOPE_DEV
	s_cmp_lt_u32 s66, s6
	s_cbranch_scc0 .LBB139_1055
.LBB139_3:                              ; =>This Loop Header: Depth=1
                                        ;     Child Loop BB139_518 Depth 2
                                        ;     Child Loop BB139_935 Depth 2
                                        ;       Child Loop BB139_937 Depth 3
                                        ;     Child Loop BB139_975 Depth 2
	v_mov_b32_e32 v0, s66
	v_readlane_b32 s6, v89, 1
	s_clause 0x1
	global_load_b64 v[40:41], v0, s[76:77] scale_offset
	global_load_b64 v[42:43], v0, s[70:71] scale_offset
	s_and_not1_b32 vcc_lo, exec_lo, s6
	s_wait_loadcnt 0x1
	v_add_nc_u64_e32 v[40:41], s[78:79], v[40:41]
	s_cbranch_vccnz .LBB139_13
; %bb.4:                                ;   in Loop: Header=BB139_3 Depth=1
	s_delay_alu instid0(VALU_DEP_1)
	v_lshl_add_u64 v[36:37], v[10:11], 3, v[40:41]
	v_mov_b64_e32 v[34:35], 0
	v_mov_b64_e32 v[32:33], 0
	s_wait_loadcnt 0x0
	s_barrier_signal -1
	v_lshl_add_u64 v[44:45], v[8:9], 3, v[36:37]
	s_barrier_wait -1
	s_wait_xcnt 0x0
	s_mov_b32 s6, exec_lo
	v_readlane_b32 s8, v89, 8
	s_and_b32 s8, s6, s8
	s_delay_alu instid0(SALU_CYCLE_1)
	s_mov_b32 exec_lo, s8
	s_cbranch_execz .LBB139_6
; %bb.5:                                ;   in Loop: Header=BB139_3 Depth=1
	flat_load_b64 v[32:33], v[44:45]
.LBB139_6:                              ;   in Loop: Header=BB139_3 Depth=1
	s_wait_xcnt 0x0
	s_or_b32 exec_lo, exec_lo, s6
	s_wait_loadcnt_dscnt 0x0
	s_barrier_signal -1
	s_barrier_wait -1
	s_mov_b32 s6, exec_lo
	v_readlane_b32 s8, v89, 9
	s_and_b32 s8, s6, s8
	s_delay_alu instid0(SALU_CYCLE_1)
	s_mov_b32 exec_lo, s8
	s_cbranch_execz .LBB139_8
; %bb.7:                                ;   in Loop: Header=BB139_3 Depth=1
	v_add_nc_u64_e32 v[34:35], s[86:87], v[44:45]
	flat_load_b64 v[34:35], v[34:35]
.LBB139_8:                              ;   in Loop: Header=BB139_3 Depth=1
	s_wait_xcnt 0x0
	s_or_b32 exec_lo, exec_lo, s6
	v_mov_b64_e32 v[38:39], 0
	v_mov_b64_e32 v[36:37], 0
	s_wait_loadcnt_dscnt 0x0
	s_barrier_signal -1
	s_barrier_wait -1
	s_mov_b32 s6, exec_lo
	v_readlane_b32 s8, v89, 10
	s_and_b32 s8, s6, s8
	s_delay_alu instid0(SALU_CYCLE_1)
	s_mov_b32 exec_lo, s8
	s_cbranch_execz .LBB139_10
; %bb.9:                                ;   in Loop: Header=BB139_3 Depth=1
	v_add_nc_u64_e32 v[36:37], s[88:89], v[44:45]
	flat_load_b64 v[36:37], v[36:37]
.LBB139_10:                             ;   in Loop: Header=BB139_3 Depth=1
	s_wait_xcnt 0x0
	s_or_b32 exec_lo, exec_lo, s6
	s_wait_loadcnt_dscnt 0x0
	s_barrier_signal -1
	s_barrier_wait -1
	s_mov_b32 s6, exec_lo
	v_readlane_b32 s8, v89, 11
	s_and_b32 s8, s6, s8
	s_delay_alu instid0(SALU_CYCLE_1)
	s_mov_b32 exec_lo, s8
	s_cbranch_execz .LBB139_12
; %bb.11:                               ;   in Loop: Header=BB139_3 Depth=1
	v_add_nc_u64_e32 v[38:39], s[90:91], v[44:45]
	flat_load_b64 v[38:39], v[38:39]
.LBB139_12:                             ;   in Loop: Header=BB139_3 Depth=1
	s_wait_xcnt 0x0
	s_or_b32 exec_lo, exec_lo, s6
.LBB139_13:                             ;   in Loop: Header=BB139_3 Depth=1
	s_delay_alu instid0(VALU_DEP_1) | instskip(SKIP_2) | instid1(VALU_DEP_1)
	v_add_nc_u64_e32 v[44:45], s[84:85], v[40:41]
	s_and_not1_b32 vcc_lo, exec_lo, s98
	s_mov_b32 s6, -1
	v_add_nc_u64_e32 v[44:45], v[44:45], v[14:15]
	s_cbranch_vccnz .LBB139_37
; %bb.14:                               ;   in Loop: Header=BB139_3 Depth=1
	s_mov_b32 s8, 0
	s_wait_xcnt 0x0
	s_mov_b32 s6, exec_lo
	v_readlane_b32 s9, v89, 12
	s_and_b32 s9, s6, s9
	s_delay_alu instid0(SALU_CYCLE_1)
	s_xor_b32 s6, s9, s6
	s_mov_b32 exec_lo, s9
	s_cbranch_execnz .LBB139_996
; %bb.15:                               ;   in Loop: Header=BB139_3 Depth=1
	s_or_saveexec_b32 s9, s6
	v_mov_b64_e32 v[46:47], 0
	s_xor_b32 exec_lo, exec_lo, s9
	s_cbranch_execnz .LBB139_997
.LBB139_16:                             ;   in Loop: Header=BB139_3 Depth=1
	s_or_b32 exec_lo, exec_lo, s9
	s_and_saveexec_b32 s6, s8
.LBB139_17:                             ;   in Loop: Header=BB139_3 Depth=1
	ds_store_b64 v78, v[46:47]
.LBB139_18:                             ;   in Loop: Header=BB139_3 Depth=1
	s_or_b32 exec_lo, exec_lo, s6
	v_readlane_b32 s8, v89, 14
	s_and_saveexec_b32 s6, s8
	s_delay_alu instid0(SALU_CYCLE_1)
	s_xor_b32 s8, exec_lo, s6
	s_cbranch_execz .LBB139_22
; %bb.19:                               ;   in Loop: Header=BB139_3 Depth=1
	s_mov_b32 s6, exec_lo
	v_readlane_b32 s9, v88, 27
	s_and_b32 s9, s6, s9
	s_delay_alu instid0(SALU_CYCLE_1)
	s_mov_b32 exec_lo, s9
; %bb.20:                               ;   in Loop: Header=BB139_3 Depth=1
	ds_store_b64 v7, v[28:29]
; %bb.21:                               ;   in Loop: Header=BB139_3 Depth=1
	s_or_b32 exec_lo, exec_lo, s6
.LBB139_22:                             ;   in Loop: Header=BB139_3 Depth=1
	s_and_not1_saveexec_b32 s8, s8
	s_cbranch_execz .LBB139_24
; %bb.23:                               ;   in Loop: Header=BB139_3 Depth=1
	v_lshl_add_u64 v[46:47], v[22:23], 3, v[44:45]
	flat_load_b64 v[46:47], v[46:47]
	s_wait_loadcnt_dscnt 0x0
	v_xor_b32_e32 v47, 0x80000000, v47
	ds_store_b64 v7, v[46:47]
.LBB139_24:                             ;   in Loop: Header=BB139_3 Depth=1
	s_or_b32 exec_lo, exec_lo, s8
	v_readlane_b32 s8, v89, 16
	s_and_saveexec_b32 s6, s8
	s_delay_alu instid0(SALU_CYCLE_1)
	s_xor_b32 s8, exec_lo, s6
	s_cbranch_execz .LBB139_28
; %bb.25:                               ;   in Loop: Header=BB139_3 Depth=1
	s_mov_b32 s6, exec_lo
	v_readlane_b32 s9, v88, 28
	s_and_b32 s9, s6, s9
	s_delay_alu instid0(SALU_CYCLE_1)
	s_mov_b32 exec_lo, s9
; %bb.26:                               ;   in Loop: Header=BB139_3 Depth=1
	ds_store_b64 v81, v[28:29]
; %bb.27:                               ;   in Loop: Header=BB139_3 Depth=1
	s_or_b32 exec_lo, exec_lo, s6
.LBB139_28:                             ;   in Loop: Header=BB139_3 Depth=1
	s_and_not1_saveexec_b32 s8, s8
	s_cbranch_execz .LBB139_30
; %bb.29:                               ;   in Loop: Header=BB139_3 Depth=1
	v_lshl_add_u64 v[46:47], v[24:25], 3, v[44:45]
	flat_load_b64 v[46:47], v[46:47]
	s_wait_loadcnt_dscnt 0x0
	v_xor_b32_e32 v47, 0x80000000, v47
	ds_store_b64 v81, v[46:47]
.LBB139_30:                             ;   in Loop: Header=BB139_3 Depth=1
	s_or_b32 exec_lo, exec_lo, s8
	v_readlane_b32 s8, v89, 18
	s_and_saveexec_b32 s6, s8
	s_delay_alu instid0(SALU_CYCLE_1)
	s_xor_b32 s8, exec_lo, s6
	s_cbranch_execz .LBB139_34
; %bb.31:                               ;   in Loop: Header=BB139_3 Depth=1
	s_mov_b32 s6, exec_lo
	v_readlane_b32 s9, v88, 29
	s_and_b32 s9, s6, s9
	s_delay_alu instid0(SALU_CYCLE_1)
	s_mov_b32 exec_lo, s9
; %bb.32:                               ;   in Loop: Header=BB139_3 Depth=1
	ds_store_b64 v82, v[28:29]
; %bb.33:                               ;   in Loop: Header=BB139_3 Depth=1
	s_or_b32 exec_lo, exec_lo, s6
.LBB139_34:                             ;   in Loop: Header=BB139_3 Depth=1
	s_and_not1_saveexec_b32 s8, s8
	s_cbranch_execz .LBB139_36
; %bb.35:                               ;   in Loop: Header=BB139_3 Depth=1
	v_lshl_add_u64 v[46:47], v[26:27], 3, v[44:45]
	flat_load_b64 v[46:47], v[46:47]
	s_wait_loadcnt_dscnt 0x0
	v_xor_b32_e32 v47, 0x80000000, v47
	ds_store_b64 v82, v[46:47]
.LBB139_36:                             ;   in Loop: Header=BB139_3 Depth=1
	s_or_b32 exec_lo, exec_lo, s8
	s_mov_b32 s6, 0
.LBB139_37:                             ;   in Loop: Header=BB139_3 Depth=1
	s_delay_alu instid0(SALU_CYCLE_1)
	s_and_b32 vcc_lo, exec_lo, s6
	s_cbranch_vccz .LBB139_61
; %bb.38:                               ;   in Loop: Header=BB139_3 Depth=1
	s_mov_b32 s8, 0
	s_wait_xcnt 0x0
	s_mov_b32 s6, exec_lo
	v_readlane_b32 s9, v89, 13
	s_and_b32 s9, s6, s9
	s_delay_alu instid0(SALU_CYCLE_1)
	s_xor_b32 s6, s9, s6
	s_mov_b32 exec_lo, s9
	s_cbranch_execnz .LBB139_998
; %bb.39:                               ;   in Loop: Header=BB139_3 Depth=1
	s_or_saveexec_b32 s9, s6
	v_mov_b64_e32 v[46:47], 0
	s_xor_b32 exec_lo, exec_lo, s9
	s_cbranch_execnz .LBB139_999
.LBB139_40:                             ;   in Loop: Header=BB139_3 Depth=1
	s_or_b32 exec_lo, exec_lo, s9
	s_and_saveexec_b32 s6, s8
.LBB139_41:                             ;   in Loop: Header=BB139_3 Depth=1
	ds_store_b64 v78, v[46:47]
.LBB139_42:                             ;   in Loop: Header=BB139_3 Depth=1
	s_or_b32 exec_lo, exec_lo, s6
	v_readlane_b32 s8, v89, 15
	s_and_saveexec_b32 s6, s8
	s_delay_alu instid0(SALU_CYCLE_1)
	s_xor_b32 s8, exec_lo, s6
	s_cbranch_execz .LBB139_46
; %bb.43:                               ;   in Loop: Header=BB139_3 Depth=1
	s_mov_b32 s6, exec_lo
	v_readlane_b32 s9, v88, 27
	s_and_b32 s9, s6, s9
	s_delay_alu instid0(SALU_CYCLE_1)
	s_mov_b32 exec_lo, s9
; %bb.44:                               ;   in Loop: Header=BB139_3 Depth=1
	ds_store_b64 v7, v[28:29]
; %bb.45:                               ;   in Loop: Header=BB139_3 Depth=1
	s_or_b32 exec_lo, exec_lo, s6
.LBB139_46:                             ;   in Loop: Header=BB139_3 Depth=1
	s_and_not1_saveexec_b32 s8, s8
	s_cbranch_execz .LBB139_48
; %bb.47:                               ;   in Loop: Header=BB139_3 Depth=1
	v_lshl_add_u64 v[46:47], v[22:23], 3, v[44:45]
	flat_load_b64 v[46:47], v[46:47]
	s_wait_loadcnt_dscnt 0x0
	v_xor_b32_e32 v47, 0x80000000, v47
	ds_store_b64 v7, v[46:47]
.LBB139_48:                             ;   in Loop: Header=BB139_3 Depth=1
	s_or_b32 exec_lo, exec_lo, s8
	v_readlane_b32 s8, v89, 17
	s_and_saveexec_b32 s6, s8
	s_delay_alu instid0(SALU_CYCLE_1)
	s_xor_b32 s8, exec_lo, s6
	s_cbranch_execz .LBB139_52
; %bb.49:                               ;   in Loop: Header=BB139_3 Depth=1
	s_mov_b32 s6, exec_lo
	v_readlane_b32 s9, v88, 28
	s_and_b32 s9, s6, s9
	s_delay_alu instid0(SALU_CYCLE_1)
	s_mov_b32 exec_lo, s9
; %bb.50:                               ;   in Loop: Header=BB139_3 Depth=1
	ds_store_b64 v81, v[28:29]
; %bb.51:                               ;   in Loop: Header=BB139_3 Depth=1
	s_or_b32 exec_lo, exec_lo, s6
.LBB139_52:                             ;   in Loop: Header=BB139_3 Depth=1
	s_and_not1_saveexec_b32 s8, s8
	s_cbranch_execz .LBB139_54
; %bb.53:                               ;   in Loop: Header=BB139_3 Depth=1
	v_lshl_add_u64 v[46:47], v[24:25], 3, v[44:45]
	flat_load_b64 v[46:47], v[46:47]
	s_wait_loadcnt_dscnt 0x0
	v_xor_b32_e32 v47, 0x80000000, v47
	ds_store_b64 v81, v[46:47]
.LBB139_54:                             ;   in Loop: Header=BB139_3 Depth=1
	s_or_b32 exec_lo, exec_lo, s8
	v_readlane_b32 s8, v89, 19
	s_and_saveexec_b32 s6, s8
	s_delay_alu instid0(SALU_CYCLE_1)
	s_xor_b32 s8, exec_lo, s6
	s_cbranch_execz .LBB139_58
; %bb.55:                               ;   in Loop: Header=BB139_3 Depth=1
	s_mov_b32 s6, exec_lo
	v_readlane_b32 s9, v88, 29
	s_and_b32 s9, s6, s9
	s_delay_alu instid0(SALU_CYCLE_1)
	s_mov_b32 exec_lo, s9
; %bb.56:                               ;   in Loop: Header=BB139_3 Depth=1
	ds_store_b64 v82, v[28:29]
; %bb.57:                               ;   in Loop: Header=BB139_3 Depth=1
	s_or_b32 exec_lo, exec_lo, s6
                                        ; implicit-def: $vgpr44_vgpr45
.LBB139_58:                             ;   in Loop: Header=BB139_3 Depth=1
	s_and_not1_saveexec_b32 s8, s8
	s_cbranch_execz .LBB139_60
; %bb.59:                               ;   in Loop: Header=BB139_3 Depth=1
	v_lshl_add_u64 v[44:45], v[26:27], 3, v[44:45]
	flat_load_b64 v[44:45], v[44:45]
	s_wait_loadcnt_dscnt 0x0
	v_xor_b32_e32 v45, 0x80000000, v45
	ds_store_b64 v82, v[44:45]
.LBB139_60:                             ;   in Loop: Header=BB139_3 Depth=1
	s_or_b32 exec_lo, exec_lo, s8
.LBB139_61:                             ;   in Loop: Header=BB139_3 Depth=1
	s_delay_alu instid0(SALU_CYCLE_1)
	s_and_not1_b32 vcc_lo, exec_lo, s99
	s_wait_loadcnt_dscnt 0x0
	s_barrier_signal -1
	s_barrier_wait -1
	s_cbranch_vccnz .LBB139_929
; %bb.62:                               ;   in Loop: Header=BB139_3 Depth=1
	s_wait_xcnt 0x0
	s_and_saveexec_b32 s6, s10
; %bb.63:                               ;   in Loop: Header=BB139_3 Depth=1
	ds_store_2addr_b64 v1, v[30:31], v[30:31] offset1:65
; %bb.64:                               ;   in Loop: Header=BB139_3 Depth=1
	s_or_b32 exec_lo, exec_lo, s6
	v_mov_b64_e32 v[44:45], 0
	s_wait_dscnt 0x0
	s_barrier_signal -1
	s_barrier_wait -1
	s_and_saveexec_b32 s8, s1
	s_cbranch_execz .LBB139_68
; %bb.65:                               ;   in Loop: Header=BB139_3 Depth=1
	ds_load_b64 v[44:45], v51 offset:16
	ds_load_b64 v[46:47], v52
	s_wait_dscnt 0x0
	v_fma_f64 v[44:45], v[44:45], v[46:47], 0
	s_and_saveexec_b32 s6, s11
	s_cbranch_execz .LBB139_67
; %bb.66:                               ;   in Loop: Header=BB139_3 Depth=1
	ds_load_b64 v[46:47], v53 offset:528
	ds_load_b64 v[48:49], v1 offset:8
	s_wait_dscnt 0x0
	v_fmac_f64_e32 v[44:45], v[46:47], v[48:49]
.LBB139_67:                             ;   in Loop: Header=BB139_3 Depth=1
	s_or_b32 exec_lo, exec_lo, s6
	s_delay_alu instid0(VALU_DEP_1)
	v_xor_b32_e32 v45, 0x80000000, v45
.LBB139_68:                             ;   in Loop: Header=BB139_3 Depth=1
	s_or_b32 exec_lo, exec_lo, s8
	s_and_saveexec_b32 s6, s100
; %bb.69:                               ;   in Loop: Header=BB139_3 Depth=1
	ds_store_b64 v50, v[44:45]
; %bb.70:                               ;   in Loop: Header=BB139_3 Depth=1
	s_or_b32 exec_lo, exec_lo, s6
	s_wait_dscnt 0x0
	s_barrier_signal -1
	s_barrier_wait -1
	s_and_saveexec_b32 s6, s101
	s_cbranch_execz .LBB139_72
; %bb.71:                               ;   in Loop: Header=BB139_3 Depth=1
	ds_load_b64 v[46:47], v1 offset:1048
	ds_load_b64 v[48:49], v50
	s_wait_dscnt 0x0
	v_fmac_f64_e32 v[44:45], v[46:47], v[48:49]
.LBB139_72:                             ;   in Loop: Header=BB139_3 Depth=1
	s_or_b32 exec_lo, exec_lo, s6
	s_barrier_signal -1
	s_barrier_wait -1
	s_and_saveexec_b32 s6, s101
; %bb.73:                               ;   in Loop: Header=BB139_3 Depth=1
	ds_store_b64 v50, v[44:45]
; %bb.74:                               ;   in Loop: Header=BB139_3 Depth=1
	s_or_b32 exec_lo, exec_lo, s6
	s_wait_dscnt 0x0
	s_barrier_signal -1
	s_barrier_wait -1
	s_barrier_signal -1
	s_barrier_wait -1
	s_and_saveexec_b32 s6, s1
; %bb.75:                               ;   in Loop: Header=BB139_3 Depth=1
	v_xor_b32_e32 v45, 0x80000000, v45
	ds_store_b64 v51, v[44:45] offset:16
; %bb.76:                               ;   in Loop: Header=BB139_3 Depth=1
	s_or_b32 exec_lo, exec_lo, s6
	s_wait_dscnt 0x0
	s_barrier_signal -1
	s_barrier_wait -1
	s_barrier_signal -1
	s_barrier_wait -1
	s_and_saveexec_b32 s6, s10
; %bb.77:                               ;   in Loop: Header=BB139_3 Depth=1
	ds_store_2addr_b64 v1, v[30:31], v[30:31] offset0:130 offset1:195
; %bb.78:                               ;   in Loop: Header=BB139_3 Depth=1
	s_or_b32 exec_lo, exec_lo, s6
	v_mov_b64_e32 v[44:45], 0
	s_wait_dscnt 0x0
	s_barrier_signal -1
	s_barrier_wait -1
	s_and_saveexec_b32 s8, s2
	s_cbranch_execz .LBB139_84
; %bb.79:                               ;   in Loop: Header=BB139_3 Depth=1
	ds_load_b64 v[44:45], v57 offset:32
	ds_load_b64 v[46:47], v54
	s_wait_dscnt 0x0
	v_fma_f64 v[44:45], v[44:45], v[46:47], 0
	s_and_saveexec_b32 s6, s12
	s_cbranch_execnz .LBB139_1005
; %bb.80:                               ;   in Loop: Header=BB139_3 Depth=1
	s_or_b32 exec_lo, exec_lo, s6
	s_and_saveexec_b32 s6, s13
	s_cbranch_execnz .LBB139_1006
.LBB139_81:                             ;   in Loop: Header=BB139_3 Depth=1
	s_or_b32 exec_lo, exec_lo, s6
	s_and_saveexec_b32 s6, s1
	s_cbranch_execz .LBB139_83
.LBB139_82:                             ;   in Loop: Header=BB139_3 Depth=1
	ds_load_b64 v[46:47], v53 offset:1568
	ds_load_b64 v[48:49], v1 offset:24
	s_wait_dscnt 0x0
	v_fmac_f64_e32 v[44:45], v[46:47], v[48:49]
.LBB139_83:                             ;   in Loop: Header=BB139_3 Depth=1
	s_or_b32 exec_lo, exec_lo, s6
	s_delay_alu instid0(VALU_DEP_1)
	v_xor_b32_e32 v45, 0x80000000, v45
.LBB139_84:                             ;   in Loop: Header=BB139_3 Depth=1
	s_or_b32 exec_lo, exec_lo, s8
	s_and_saveexec_b32 s6, s102
; %bb.85:                               ;   in Loop: Header=BB139_3 Depth=1
	ds_store_b64 v55, v[44:45]
; %bb.86:                               ;   in Loop: Header=BB139_3 Depth=1
	s_or_b32 exec_lo, exec_lo, s6
	s_wait_dscnt 0x0
	s_barrier_signal -1
	s_barrier_wait -1
	s_and_saveexec_b32 s6, s103
	s_cbranch_execz .LBB139_88
; %bb.87:                               ;   in Loop: Header=BB139_3 Depth=1
	ds_load_b64 v[46:47], v56 offset:2080
	ds_load_b64 v[48:49], v55
	s_wait_dscnt 0x0
	v_fmac_f64_e32 v[44:45], v[46:47], v[48:49]
.LBB139_88:                             ;   in Loop: Header=BB139_3 Depth=1
	s_or_b32 exec_lo, exec_lo, s6
	s_barrier_signal -1
	s_barrier_wait -1
	s_and_saveexec_b32 s6, s104
; %bb.89:                               ;   in Loop: Header=BB139_3 Depth=1
	ds_store_b64 v55, v[44:45]
; %bb.90:                               ;   in Loop: Header=BB139_3 Depth=1
	s_or_b32 exec_lo, exec_lo, s6
	s_wait_dscnt 0x0
	s_barrier_signal -1
	s_barrier_wait -1
	s_and_saveexec_b32 s6, vcc_hi
	s_cbranch_execz .LBB139_92
; %bb.91:                               ;   in Loop: Header=BB139_3 Depth=1
	ds_load_b64 v[46:47], v56 offset:2592
	ds_load_b64 v[48:49], v55
	s_wait_dscnt 0x0
	v_fmac_f64_e32 v[44:45], v[46:47], v[48:49]
.LBB139_92:                             ;   in Loop: Header=BB139_3 Depth=1
	s_or_b32 exec_lo, exec_lo, s6
	s_barrier_signal -1
	s_barrier_wait -1
	s_and_saveexec_b32 s6, s31
; %bb.93:                               ;   in Loop: Header=BB139_3 Depth=1
	ds_store_b64 v55, v[44:45]
; %bb.94:                               ;   in Loop: Header=BB139_3 Depth=1
	s_or_b32 exec_lo, exec_lo, s6
	s_wait_dscnt 0x0
	s_barrier_signal -1
	s_barrier_wait -1
	s_and_saveexec_b32 s6, s33
	s_cbranch_execz .LBB139_96
; %bb.95:                               ;   in Loop: Header=BB139_3 Depth=1
	ds_load_b64 v[46:47], v1 offset:3128
	ds_load_b64 v[48:49], v55
	s_wait_dscnt 0x0
	v_fmac_f64_e32 v[44:45], v[46:47], v[48:49]
.LBB139_96:                             ;   in Loop: Header=BB139_3 Depth=1
	s_or_b32 exec_lo, exec_lo, s6
	s_barrier_signal -1
	s_barrier_wait -1
	s_and_saveexec_b32 s6, s33
; %bb.97:                               ;   in Loop: Header=BB139_3 Depth=1
	ds_store_b64 v55, v[44:45]
; %bb.98:                               ;   in Loop: Header=BB139_3 Depth=1
	s_or_b32 exec_lo, exec_lo, s6
	s_wait_dscnt 0x0
	s_barrier_signal -1
	s_barrier_wait -1
	s_barrier_signal -1
	s_barrier_wait -1
	s_and_saveexec_b32 s6, s2
; %bb.99:                               ;   in Loop: Header=BB139_3 Depth=1
	v_xor_b32_e32 v45, 0x80000000, v45
	ds_store_b64 v57, v[44:45] offset:32
; %bb.100:                              ;   in Loop: Header=BB139_3 Depth=1
	s_or_b32 exec_lo, exec_lo, s6
	s_wait_dscnt 0x0
	s_barrier_signal -1
	s_barrier_wait -1
	s_barrier_signal -1
	s_barrier_wait -1
	s_and_saveexec_b32 s6, s10
; %bb.101:                              ;   in Loop: Header=BB139_3 Depth=1
	v_add_nc_u32_e64 v0, 0x800, 0
	ds_store_2addr_b64 v0, v[30:31], v[30:31] offset0:4 offset1:69
; %bb.102:                              ;   in Loop: Header=BB139_3 Depth=1
	s_or_b32 exec_lo, exec_lo, s6
	v_mov_b64_e32 v[44:45], 0
	s_wait_dscnt 0x0
	s_barrier_signal -1
	s_barrier_wait -1
	s_and_saveexec_b32 s8, s1
	s_cbranch_execz .LBB139_106
; %bb.103:                              ;   in Loop: Header=BB139_3 Depth=1
	ds_load_b64 v[44:45], v51 offset:2096
	ds_load_b64 v[46:47], v52 offset:2080
	s_wait_dscnt 0x0
	v_fma_f64 v[44:45], v[44:45], v[46:47], 0
	s_and_saveexec_b32 s6, s11
	s_cbranch_execz .LBB139_105
; %bb.104:                              ;   in Loop: Header=BB139_3 Depth=1
	ds_load_b64 v[46:47], v53 offset:2608
	ds_load_b64 v[48:49], v1 offset:2088
	s_wait_dscnt 0x0
	v_fmac_f64_e32 v[44:45], v[46:47], v[48:49]
.LBB139_105:                            ;   in Loop: Header=BB139_3 Depth=1
	s_or_b32 exec_lo, exec_lo, s6
	s_delay_alu instid0(VALU_DEP_1)
	v_xor_b32_e32 v45, 0x80000000, v45
.LBB139_106:                            ;   in Loop: Header=BB139_3 Depth=1
	s_or_b32 exec_lo, exec_lo, s8
	s_and_saveexec_b32 s6, s100
; %bb.107:                              ;   in Loop: Header=BB139_3 Depth=1
	ds_store_b64 v50, v[44:45]
; %bb.108:                              ;   in Loop: Header=BB139_3 Depth=1
	s_or_b32 exec_lo, exec_lo, s6
	s_wait_dscnt 0x0
	s_barrier_signal -1
	s_barrier_wait -1
	s_and_saveexec_b32 s6, s101
	s_cbranch_execz .LBB139_110
; %bb.109:                              ;   in Loop: Header=BB139_3 Depth=1
	ds_load_b64 v[46:47], v1 offset:3128
	ds_load_b64 v[48:49], v50
	s_wait_dscnt 0x0
	v_fmac_f64_e32 v[44:45], v[46:47], v[48:49]
.LBB139_110:                            ;   in Loop: Header=BB139_3 Depth=1
	s_or_b32 exec_lo, exec_lo, s6
	s_barrier_signal -1
	s_barrier_wait -1
	s_and_saveexec_b32 s6, s101
; %bb.111:                              ;   in Loop: Header=BB139_3 Depth=1
	ds_store_b64 v50, v[44:45]
; %bb.112:                              ;   in Loop: Header=BB139_3 Depth=1
	s_or_b32 exec_lo, exec_lo, s6
	s_wait_dscnt 0x0
	s_barrier_signal -1
	s_barrier_wait -1
	s_barrier_signal -1
	s_barrier_wait -1
	s_and_saveexec_b32 s6, s1
; %bb.113:                              ;   in Loop: Header=BB139_3 Depth=1
	v_xor_b32_e32 v45, 0x80000000, v45
	ds_store_b64 v51, v[44:45] offset:2096
; %bb.114:                              ;   in Loop: Header=BB139_3 Depth=1
	s_or_b32 exec_lo, exec_lo, s6
	s_wait_dscnt 0x0
	s_barrier_signal -1
	s_barrier_wait -1
	s_barrier_signal -1
	s_barrier_wait -1
	s_and_saveexec_b32 s6, s10
; %bb.115:                              ;   in Loop: Header=BB139_3 Depth=1
	v_add_nc_u32_e64 v0, 0x800, 0
	ds_store_2addr_b64 v0, v[30:31], v[30:31] offset0:134 offset1:199
; %bb.116:                              ;   in Loop: Header=BB139_3 Depth=1
	s_or_b32 exec_lo, exec_lo, s6
	v_mov_b64_e32 v[44:45], 0
	s_wait_dscnt 0x0
	s_barrier_signal -1
	s_barrier_wait -1
	s_and_saveexec_b32 s8, s3
	s_cbranch_execz .LBB139_126
; %bb.117:                              ;   in Loop: Header=BB139_3 Depth=1
	ds_load_b64 v[44:45], v62 offset:64
	ds_load_b64 v[46:47], v59
	s_wait_dscnt 0x0
	v_fma_f64 v[44:45], v[44:45], v[46:47], 0
	s_and_saveexec_b32 s6, s14
	s_cbranch_execnz .LBB139_1007
; %bb.118:                              ;   in Loop: Header=BB139_3 Depth=1
	s_or_b32 exec_lo, exec_lo, s6
	s_and_saveexec_b32 s6, s15
	s_cbranch_execnz .LBB139_1008
.LBB139_119:                            ;   in Loop: Header=BB139_3 Depth=1
	s_or_b32 exec_lo, exec_lo, s6
	s_and_saveexec_b32 s6, s16
	s_cbranch_execnz .LBB139_1009
.LBB139_120:                            ;   in Loop: Header=BB139_3 Depth=1
	s_or_b32 exec_lo, exec_lo, s6
	s_and_saveexec_b32 s6, s17
	s_cbranch_execnz .LBB139_1010
.LBB139_121:                            ;   in Loop: Header=BB139_3 Depth=1
	s_or_b32 exec_lo, exec_lo, s6
	s_and_saveexec_b32 s6, s18
	s_cbranch_execnz .LBB139_1011
.LBB139_122:                            ;   in Loop: Header=BB139_3 Depth=1
	s_or_b32 exec_lo, exec_lo, s6
	s_and_saveexec_b32 s6, s2
	s_cbranch_execnz .LBB139_1012
.LBB139_123:                            ;   in Loop: Header=BB139_3 Depth=1
	s_or_b32 exec_lo, exec_lo, s6
	s_and_saveexec_b32 s6, s13
	s_cbranch_execz .LBB139_125
.LBB139_124:                            ;   in Loop: Header=BB139_3 Depth=1
	ds_load_b64 v[46:47], v53 offset:3648
	ds_load_b64 v[48:49], v1 offset:56
	s_wait_dscnt 0x0
	v_fmac_f64_e32 v[44:45], v[46:47], v[48:49]
.LBB139_125:                            ;   in Loop: Header=BB139_3 Depth=1
	s_or_b32 exec_lo, exec_lo, s6
	s_delay_alu instid0(VALU_DEP_1)
	v_xor_b32_e32 v45, 0x80000000, v45
.LBB139_126:                            ;   in Loop: Header=BB139_3 Depth=1
	s_or_b32 exec_lo, exec_lo, s8
	s_and_saveexec_b32 s6, s34
; %bb.127:                              ;   in Loop: Header=BB139_3 Depth=1
	ds_store_b64 v61, v[44:45]
; %bb.128:                              ;   in Loop: Header=BB139_3 Depth=1
	s_or_b32 exec_lo, exec_lo, s6
	s_wait_dscnt 0x0
	s_barrier_signal -1
	s_barrier_wait -1
	s_and_saveexec_b32 s6, s35
	s_cbranch_execz .LBB139_130
; %bb.129:                              ;   in Loop: Header=BB139_3 Depth=1
	ds_load_b64 v[46:47], v60 offset:4160
	ds_load_b64 v[48:49], v61
	s_wait_dscnt 0x0
	v_fmac_f64_e32 v[44:45], v[46:47], v[48:49]
.LBB139_130:                            ;   in Loop: Header=BB139_3 Depth=1
	s_or_b32 exec_lo, exec_lo, s6
	s_barrier_signal -1
	s_barrier_wait -1
	s_and_saveexec_b32 s6, s36
; %bb.131:                              ;   in Loop: Header=BB139_3 Depth=1
	ds_store_b64 v61, v[44:45]
; %bb.132:                              ;   in Loop: Header=BB139_3 Depth=1
	s_or_b32 exec_lo, exec_lo, s6
	s_wait_dscnt 0x0
	s_barrier_signal -1
	s_barrier_wait -1
	s_and_saveexec_b32 s6, s37
	s_cbranch_execz .LBB139_134
; %bb.133:                              ;   in Loop: Header=BB139_3 Depth=1
	ds_load_b64 v[46:47], v60 offset:4672
	ds_load_b64 v[48:49], v61
	s_wait_dscnt 0x0
	v_fmac_f64_e32 v[44:45], v[46:47], v[48:49]
.LBB139_134:                            ;   in Loop: Header=BB139_3 Depth=1
	s_or_b32 exec_lo, exec_lo, s6
	s_barrier_signal -1
	s_barrier_wait -1
	;; [unrolled: 19-line block ×7, first 2 shown]
	s_and_saveexec_b32 s6, s47
; %bb.155:                              ;   in Loop: Header=BB139_3 Depth=1
	ds_store_b64 v61, v[44:45]
; %bb.156:                              ;   in Loop: Header=BB139_3 Depth=1
	s_or_b32 exec_lo, exec_lo, s6
	s_wait_dscnt 0x0
	s_barrier_signal -1
	s_barrier_wait -1
	s_barrier_signal -1
	s_barrier_wait -1
	s_and_saveexec_b32 s6, s3
; %bb.157:                              ;   in Loop: Header=BB139_3 Depth=1
	v_xor_b32_e32 v45, 0x80000000, v45
	ds_store_b64 v62, v[44:45] offset:64
; %bb.158:                              ;   in Loop: Header=BB139_3 Depth=1
	s_or_b32 exec_lo, exec_lo, s6
	s_wait_dscnt 0x0
	s_barrier_signal -1
	s_barrier_wait -1
	s_barrier_signal -1
	s_barrier_wait -1
	s_and_saveexec_b32 s6, s10
; %bb.159:                              ;   in Loop: Header=BB139_3 Depth=1
	v_add_nc_u32_e64 v0, 0x1000, 0
	ds_store_2addr_b64 v0, v[30:31], v[30:31] offset0:8 offset1:73
; %bb.160:                              ;   in Loop: Header=BB139_3 Depth=1
	s_or_b32 exec_lo, exec_lo, s6
	v_mov_b64_e32 v[44:45], 0
	s_wait_dscnt 0x0
	s_barrier_signal -1
	s_barrier_wait -1
	s_and_saveexec_b32 s8, s1
	s_cbranch_execz .LBB139_164
; %bb.161:                              ;   in Loop: Header=BB139_3 Depth=1
	ds_load_b64 v[44:45], v51 offset:4176
	ds_load_b64 v[46:47], v52 offset:4160
	s_wait_dscnt 0x0
	v_fma_f64 v[44:45], v[44:45], v[46:47], 0
	s_and_saveexec_b32 s6, s11
	s_cbranch_execz .LBB139_163
; %bb.162:                              ;   in Loop: Header=BB139_3 Depth=1
	ds_load_b64 v[46:47], v53 offset:4688
	ds_load_b64 v[48:49], v1 offset:4168
	s_wait_dscnt 0x0
	v_fmac_f64_e32 v[44:45], v[46:47], v[48:49]
.LBB139_163:                            ;   in Loop: Header=BB139_3 Depth=1
	s_or_b32 exec_lo, exec_lo, s6
	s_delay_alu instid0(VALU_DEP_1)
	v_xor_b32_e32 v45, 0x80000000, v45
.LBB139_164:                            ;   in Loop: Header=BB139_3 Depth=1
	s_or_b32 exec_lo, exec_lo, s8
	s_and_saveexec_b32 s6, s100
; %bb.165:                              ;   in Loop: Header=BB139_3 Depth=1
	ds_store_b64 v50, v[44:45]
; %bb.166:                              ;   in Loop: Header=BB139_3 Depth=1
	s_or_b32 exec_lo, exec_lo, s6
	s_wait_dscnt 0x0
	s_barrier_signal -1
	s_barrier_wait -1
	s_and_saveexec_b32 s6, s101
	s_cbranch_execz .LBB139_168
; %bb.167:                              ;   in Loop: Header=BB139_3 Depth=1
	ds_load_b64 v[46:47], v1 offset:5208
	ds_load_b64 v[48:49], v50
	s_wait_dscnt 0x0
	v_fmac_f64_e32 v[44:45], v[46:47], v[48:49]
.LBB139_168:                            ;   in Loop: Header=BB139_3 Depth=1
	s_or_b32 exec_lo, exec_lo, s6
	s_barrier_signal -1
	s_barrier_wait -1
	s_and_saveexec_b32 s6, s101
; %bb.169:                              ;   in Loop: Header=BB139_3 Depth=1
	ds_store_b64 v50, v[44:45]
; %bb.170:                              ;   in Loop: Header=BB139_3 Depth=1
	s_or_b32 exec_lo, exec_lo, s6
	s_wait_dscnt 0x0
	s_barrier_signal -1
	s_barrier_wait -1
	s_barrier_signal -1
	s_barrier_wait -1
	s_and_saveexec_b32 s6, s1
; %bb.171:                              ;   in Loop: Header=BB139_3 Depth=1
	v_xor_b32_e32 v45, 0x80000000, v45
	ds_store_b64 v51, v[44:45] offset:4176
; %bb.172:                              ;   in Loop: Header=BB139_3 Depth=1
	s_or_b32 exec_lo, exec_lo, s6
	s_wait_dscnt 0x0
	s_barrier_signal -1
	s_barrier_wait -1
	s_barrier_signal -1
	s_barrier_wait -1
	s_and_saveexec_b32 s6, s10
; %bb.173:                              ;   in Loop: Header=BB139_3 Depth=1
	v_add_nc_u32_e64 v0, 0x1000, 0
	ds_store_2addr_b64 v0, v[30:31], v[30:31] offset0:138 offset1:203
; %bb.174:                              ;   in Loop: Header=BB139_3 Depth=1
	s_or_b32 exec_lo, exec_lo, s6
	v_mov_b64_e32 v[44:45], 0
	s_wait_dscnt 0x0
	s_barrier_signal -1
	s_barrier_wait -1
	s_and_saveexec_b32 s8, s2
	s_cbranch_execz .LBB139_180
; %bb.175:                              ;   in Loop: Header=BB139_3 Depth=1
	ds_load_b64 v[44:45], v57 offset:4192
	ds_load_b64 v[46:47], v54 offset:4160
	s_wait_dscnt 0x0
	v_fma_f64 v[44:45], v[44:45], v[46:47], 0
	s_and_saveexec_b32 s6, s12
	s_cbranch_execnz .LBB139_1013
; %bb.176:                              ;   in Loop: Header=BB139_3 Depth=1
	s_or_b32 exec_lo, exec_lo, s6
	s_and_saveexec_b32 s6, s13
	s_cbranch_execnz .LBB139_1014
.LBB139_177:                            ;   in Loop: Header=BB139_3 Depth=1
	s_or_b32 exec_lo, exec_lo, s6
	s_and_saveexec_b32 s6, s1
	s_cbranch_execz .LBB139_179
.LBB139_178:                            ;   in Loop: Header=BB139_3 Depth=1
	ds_load_b64 v[46:47], v53 offset:5728
	ds_load_b64 v[48:49], v1 offset:4184
	s_wait_dscnt 0x0
	v_fmac_f64_e32 v[44:45], v[46:47], v[48:49]
.LBB139_179:                            ;   in Loop: Header=BB139_3 Depth=1
	s_or_b32 exec_lo, exec_lo, s6
	s_delay_alu instid0(VALU_DEP_1)
	v_xor_b32_e32 v45, 0x80000000, v45
.LBB139_180:                            ;   in Loop: Header=BB139_3 Depth=1
	s_or_b32 exec_lo, exec_lo, s8
	s_and_saveexec_b32 s6, s102
; %bb.181:                              ;   in Loop: Header=BB139_3 Depth=1
	ds_store_b64 v55, v[44:45]
; %bb.182:                              ;   in Loop: Header=BB139_3 Depth=1
	s_or_b32 exec_lo, exec_lo, s6
	s_wait_dscnt 0x0
	s_barrier_signal -1
	s_barrier_wait -1
	s_and_saveexec_b32 s6, s103
	s_cbranch_execz .LBB139_184
; %bb.183:                              ;   in Loop: Header=BB139_3 Depth=1
	ds_load_b64 v[46:47], v56 offset:6240
	ds_load_b64 v[48:49], v55
	s_wait_dscnt 0x0
	v_fmac_f64_e32 v[44:45], v[46:47], v[48:49]
.LBB139_184:                            ;   in Loop: Header=BB139_3 Depth=1
	s_or_b32 exec_lo, exec_lo, s6
	s_barrier_signal -1
	s_barrier_wait -1
	s_and_saveexec_b32 s6, s104
; %bb.185:                              ;   in Loop: Header=BB139_3 Depth=1
	ds_store_b64 v55, v[44:45]
; %bb.186:                              ;   in Loop: Header=BB139_3 Depth=1
	s_or_b32 exec_lo, exec_lo, s6
	s_wait_dscnt 0x0
	s_barrier_signal -1
	s_barrier_wait -1
	s_and_saveexec_b32 s6, vcc_hi
	s_cbranch_execz .LBB139_188
; %bb.187:                              ;   in Loop: Header=BB139_3 Depth=1
	ds_load_b64 v[46:47], v56 offset:6752
	ds_load_b64 v[48:49], v55
	s_wait_dscnt 0x0
	v_fmac_f64_e32 v[44:45], v[46:47], v[48:49]
.LBB139_188:                            ;   in Loop: Header=BB139_3 Depth=1
	s_or_b32 exec_lo, exec_lo, s6
	s_barrier_signal -1
	s_barrier_wait -1
	s_and_saveexec_b32 s6, s31
; %bb.189:                              ;   in Loop: Header=BB139_3 Depth=1
	ds_store_b64 v55, v[44:45]
; %bb.190:                              ;   in Loop: Header=BB139_3 Depth=1
	s_or_b32 exec_lo, exec_lo, s6
	s_wait_dscnt 0x0
	s_barrier_signal -1
	s_barrier_wait -1
	s_and_saveexec_b32 s6, s33
	s_cbranch_execz .LBB139_192
; %bb.191:                              ;   in Loop: Header=BB139_3 Depth=1
	ds_load_b64 v[46:47], v1 offset:7288
	ds_load_b64 v[48:49], v55
	s_wait_dscnt 0x0
	v_fmac_f64_e32 v[44:45], v[46:47], v[48:49]
.LBB139_192:                            ;   in Loop: Header=BB139_3 Depth=1
	s_or_b32 exec_lo, exec_lo, s6
	s_barrier_signal -1
	s_barrier_wait -1
	s_and_saveexec_b32 s6, s33
; %bb.193:                              ;   in Loop: Header=BB139_3 Depth=1
	ds_store_b64 v55, v[44:45]
; %bb.194:                              ;   in Loop: Header=BB139_3 Depth=1
	s_or_b32 exec_lo, exec_lo, s6
	s_wait_dscnt 0x0
	s_barrier_signal -1
	s_barrier_wait -1
	s_barrier_signal -1
	s_barrier_wait -1
	s_and_saveexec_b32 s6, s2
; %bb.195:                              ;   in Loop: Header=BB139_3 Depth=1
	v_xor_b32_e32 v45, 0x80000000, v45
	ds_store_b64 v57, v[44:45] offset:4192
; %bb.196:                              ;   in Loop: Header=BB139_3 Depth=1
	s_or_b32 exec_lo, exec_lo, s6
	s_wait_dscnt 0x0
	s_barrier_signal -1
	s_barrier_wait -1
	s_barrier_signal -1
	s_barrier_wait -1
	s_and_saveexec_b32 s6, s10
; %bb.197:                              ;   in Loop: Header=BB139_3 Depth=1
	v_add_nc_u32_e64 v0, 0x1800, 0
	ds_store_2addr_b64 v0, v[30:31], v[30:31] offset0:12 offset1:77
; %bb.198:                              ;   in Loop: Header=BB139_3 Depth=1
	s_or_b32 exec_lo, exec_lo, s6
	v_mov_b64_e32 v[44:45], 0
	s_wait_dscnt 0x0
	s_barrier_signal -1
	s_barrier_wait -1
	s_and_saveexec_b32 s8, s1
	s_cbranch_execz .LBB139_202
; %bb.199:                              ;   in Loop: Header=BB139_3 Depth=1
	ds_load_b64 v[44:45], v51 offset:6256
	ds_load_b64 v[46:47], v52 offset:6240
	s_wait_dscnt 0x0
	v_fma_f64 v[44:45], v[44:45], v[46:47], 0
	s_and_saveexec_b32 s6, s11
	s_cbranch_execz .LBB139_201
; %bb.200:                              ;   in Loop: Header=BB139_3 Depth=1
	ds_load_b64 v[46:47], v53 offset:6768
	ds_load_b64 v[48:49], v1 offset:6248
	s_wait_dscnt 0x0
	v_fmac_f64_e32 v[44:45], v[46:47], v[48:49]
.LBB139_201:                            ;   in Loop: Header=BB139_3 Depth=1
	s_or_b32 exec_lo, exec_lo, s6
	s_delay_alu instid0(VALU_DEP_1)
	v_xor_b32_e32 v45, 0x80000000, v45
.LBB139_202:                            ;   in Loop: Header=BB139_3 Depth=1
	s_or_b32 exec_lo, exec_lo, s8
	s_and_saveexec_b32 s6, s100
; %bb.203:                              ;   in Loop: Header=BB139_3 Depth=1
	ds_store_b64 v50, v[44:45]
; %bb.204:                              ;   in Loop: Header=BB139_3 Depth=1
	s_or_b32 exec_lo, exec_lo, s6
	s_wait_dscnt 0x0
	s_barrier_signal -1
	s_barrier_wait -1
	s_and_saveexec_b32 s6, s101
	s_cbranch_execz .LBB139_206
; %bb.205:                              ;   in Loop: Header=BB139_3 Depth=1
	ds_load_b64 v[46:47], v1 offset:7288
	ds_load_b64 v[48:49], v50
	s_wait_dscnt 0x0
	v_fmac_f64_e32 v[44:45], v[46:47], v[48:49]
.LBB139_206:                            ;   in Loop: Header=BB139_3 Depth=1
	s_or_b32 exec_lo, exec_lo, s6
	s_barrier_signal -1
	s_barrier_wait -1
	s_and_saveexec_b32 s6, s101
; %bb.207:                              ;   in Loop: Header=BB139_3 Depth=1
	ds_store_b64 v50, v[44:45]
; %bb.208:                              ;   in Loop: Header=BB139_3 Depth=1
	s_or_b32 exec_lo, exec_lo, s6
	s_wait_dscnt 0x0
	s_barrier_signal -1
	s_barrier_wait -1
	s_barrier_signal -1
	s_barrier_wait -1
	s_and_saveexec_b32 s6, s1
; %bb.209:                              ;   in Loop: Header=BB139_3 Depth=1
	v_xor_b32_e32 v45, 0x80000000, v45
	ds_store_b64 v51, v[44:45] offset:6256
; %bb.210:                              ;   in Loop: Header=BB139_3 Depth=1
	s_or_b32 exec_lo, exec_lo, s6
	s_wait_dscnt 0x0
	s_barrier_signal -1
	s_barrier_wait -1
	s_barrier_signal -1
	s_barrier_wait -1
	s_and_saveexec_b32 s6, s10
; %bb.211:                              ;   in Loop: Header=BB139_3 Depth=1
	v_add_nc_u32_e64 v0, 0x1800, 0
	ds_store_2addr_b64 v0, v[30:31], v[30:31] offset0:142 offset1:207
; %bb.212:                              ;   in Loop: Header=BB139_3 Depth=1
	s_or_b32 exec_lo, exec_lo, s6
	v_mov_b64_e32 v[44:45], 0
	s_wait_dscnt 0x0
	s_barrier_signal -1
	s_barrier_wait -1
	s_and_saveexec_b32 s65, s4
	s_cbranch_execz .LBB139_240
; %bb.213:                              ;   in Loop: Header=BB139_3 Depth=1
	ds_load_b64 v[44:45], v67 offset:128
	ds_load_b64 v[46:47], v64
	s_wait_dscnt 0x0
	v_fma_f64 v[44:45], v[44:45], v[46:47], 0
	s_mov_b32 s6, exec_lo
	v_readlane_b32 s8, v89, 20
	s_and_b32 s8, s6, s8
	s_delay_alu instid0(SALU_CYCLE_1)
	s_mov_b32 exec_lo, s8
	s_cbranch_execz .LBB139_215
; %bb.214:                              ;   in Loop: Header=BB139_3 Depth=1
	ds_load_b64 v[46:47], v68 offset:640
	ds_load_b64 v[48:49], v64 offset:8
	s_wait_dscnt 0x0
	v_fmac_f64_e32 v[44:45], v[46:47], v[48:49]
.LBB139_215:                            ;   in Loop: Header=BB139_3 Depth=1
	s_or_b32 exec_lo, exec_lo, s6
	s_delay_alu instid0(SALU_CYCLE_1) | instskip(SKIP_2) | instid1(SALU_CYCLE_1)
	s_mov_b32 s6, exec_lo
	v_readlane_b32 s8, v89, 21
	s_and_b32 s8, s6, s8
	s_mov_b32 exec_lo, s8
	s_cbranch_execz .LBB139_217
; %bb.216:                              ;   in Loop: Header=BB139_3 Depth=1
	ds_load_b64 v[46:47], v68 offset:1152
	ds_load_b64 v[48:49], v64 offset:16
	s_wait_dscnt 0x0
	v_fmac_f64_e32 v[44:45], v[46:47], v[48:49]
.LBB139_217:                            ;   in Loop: Header=BB139_3 Depth=1
	s_or_b32 exec_lo, exec_lo, s6
	s_delay_alu instid0(SALU_CYCLE_1) | instskip(SKIP_2) | instid1(SALU_CYCLE_1)
	s_mov_b32 s6, exec_lo
	v_readlane_b32 s8, v89, 22
	s_and_b32 s8, s6, s8
	;; [unrolled: 13-line block ×10, first 2 shown]
	s_mov_b32 exec_lo, s8
	s_cbranch_execnz .LBB139_1015
; %bb.234:                              ;   in Loop: Header=BB139_3 Depth=1
	s_or_b32 exec_lo, exec_lo, s6
	s_and_saveexec_b32 s6, s3
	s_cbranch_execnz .LBB139_1016
.LBB139_235:                            ;   in Loop: Header=BB139_3 Depth=1
	s_or_b32 exec_lo, exec_lo, s6
	s_and_saveexec_b32 s6, s15
	s_cbranch_execnz .LBB139_1017
.LBB139_236:                            ;   in Loop: Header=BB139_3 Depth=1
	s_or_b32 exec_lo, exec_lo, s6
	s_and_saveexec_b32 s6, s17
	s_cbranch_execnz .LBB139_1018
.LBB139_237:                            ;   in Loop: Header=BB139_3 Depth=1
	s_or_b32 exec_lo, exec_lo, s6
	s_and_saveexec_b32 s6, s2
	s_cbranch_execz .LBB139_239
.LBB139_238:                            ;   in Loop: Header=BB139_3 Depth=1
	ds_load_b64 v[46:47], v53 offset:7808
	ds_load_b64 v[48:49], v1 offset:120
	s_wait_dscnt 0x0
	v_fmac_f64_e32 v[44:45], v[46:47], v[48:49]
.LBB139_239:                            ;   in Loop: Header=BB139_3 Depth=1
	s_or_b32 exec_lo, exec_lo, s6
	s_delay_alu instid0(VALU_DEP_1)
	v_xor_b32_e32 v45, 0x80000000, v45
.LBB139_240:                            ;   in Loop: Header=BB139_3 Depth=1
	s_or_b32 exec_lo, exec_lo, s65
	s_delay_alu instid0(SALU_CYCLE_1) | instskip(SKIP_2) | instid1(SALU_CYCLE_1)
	s_mov_b32 s6, exec_lo
	v_readlane_b32 s8, v89, 2
	s_and_b32 s8, s6, s8
	s_mov_b32 exec_lo, s8
; %bb.241:                              ;   in Loop: Header=BB139_3 Depth=1
	ds_store_b64 v66, v[44:45]
; %bb.242:                              ;   in Loop: Header=BB139_3 Depth=1
	s_or_b32 exec_lo, exec_lo, s6
	s_wait_dscnt 0x0
	s_barrier_signal -1
	s_barrier_wait -1
	s_mov_b32 s6, exec_lo
	v_readlane_b32 s8, v89, 3
	s_and_b32 s8, s6, s8
	s_delay_alu instid0(SALU_CYCLE_1)
	s_mov_b32 exec_lo, s8
	s_cbranch_execz .LBB139_244
; %bb.243:                              ;   in Loop: Header=BB139_3 Depth=1
	ds_load_b64 v[46:47], v65 offset:8320
	ds_load_b64 v[48:49], v66
	s_wait_dscnt 0x0
	v_fmac_f64_e32 v[44:45], v[46:47], v[48:49]
.LBB139_244:                            ;   in Loop: Header=BB139_3 Depth=1
	s_or_b32 exec_lo, exec_lo, s6
	s_barrier_signal -1
	s_barrier_wait -1
	s_mov_b32 s6, exec_lo
	v_readlane_b32 s8, v89, 4
	s_and_b32 s8, s6, s8
	s_delay_alu instid0(SALU_CYCLE_1)
	s_mov_b32 exec_lo, s8
; %bb.245:                              ;   in Loop: Header=BB139_3 Depth=1
	ds_store_b64 v66, v[44:45]
; %bb.246:                              ;   in Loop: Header=BB139_3 Depth=1
	s_or_b32 exec_lo, exec_lo, s6
	s_wait_dscnt 0x0
	s_barrier_signal -1
	s_barrier_wait -1
	s_mov_b32 s6, exec_lo
	v_readlane_b32 s8, v89, 5
	s_and_b32 s8, s6, s8
	s_delay_alu instid0(SALU_CYCLE_1)
	s_mov_b32 exec_lo, s8
	s_cbranch_execz .LBB139_248
; %bb.247:                              ;   in Loop: Header=BB139_3 Depth=1
	ds_load_b64 v[46:47], v65 offset:8832
	ds_load_b64 v[48:49], v66
	s_wait_dscnt 0x0
	v_fmac_f64_e32 v[44:45], v[46:47], v[48:49]
.LBB139_248:                            ;   in Loop: Header=BB139_3 Depth=1
	s_or_b32 exec_lo, exec_lo, s6
	s_barrier_signal -1
	s_barrier_wait -1
	s_mov_b32 s6, exec_lo
	v_readlane_b32 s8, v89, 6
	s_and_b32 s8, s6, s8
	s_delay_alu instid0(SALU_CYCLE_1)
	s_mov_b32 exec_lo, s8
; %bb.249:                              ;   in Loop: Header=BB139_3 Depth=1
	ds_store_b64 v66, v[44:45]
; %bb.250:                              ;   in Loop: Header=BB139_3 Depth=1
	s_or_b32 exec_lo, exec_lo, s6
	s_wait_dscnt 0x0
	s_barrier_signal -1
	s_barrier_wait -1
	s_and_saveexec_b32 s6, s53
	s_cbranch_execz .LBB139_252
; %bb.251:                              ;   in Loop: Header=BB139_3 Depth=1
	ds_load_b64 v[46:47], v65 offset:9344
	ds_load_b64 v[48:49], v66
	s_wait_dscnt 0x0
	v_fmac_f64_e32 v[44:45], v[46:47], v[48:49]
.LBB139_252:                            ;   in Loop: Header=BB139_3 Depth=1
	s_or_b32 exec_lo, exec_lo, s6
	s_barrier_signal -1
	s_barrier_wait -1
	s_and_saveexec_b32 s6, s54
; %bb.253:                              ;   in Loop: Header=BB139_3 Depth=1
	ds_store_b64 v66, v[44:45]
; %bb.254:                              ;   in Loop: Header=BB139_3 Depth=1
	s_or_b32 exec_lo, exec_lo, s6
	s_wait_dscnt 0x0
	s_barrier_signal -1
	s_barrier_wait -1
	s_and_saveexec_b32 s6, s19
	s_cbranch_execz .LBB139_256
; %bb.255:                              ;   in Loop: Header=BB139_3 Depth=1
	ds_load_b64 v[46:47], v65 offset:9856
	ds_load_b64 v[48:49], v66
	s_wait_dscnt 0x0
	v_fmac_f64_e32 v[44:45], v[46:47], v[48:49]
.LBB139_256:                            ;   in Loop: Header=BB139_3 Depth=1
	s_or_b32 exec_lo, exec_lo, s6
	s_barrier_signal -1
	s_barrier_wait -1
	s_and_saveexec_b32 s6, s21
; %bb.257:                              ;   in Loop: Header=BB139_3 Depth=1
	ds_store_b64 v66, v[44:45]
; %bb.258:                              ;   in Loop: Header=BB139_3 Depth=1
	s_or_b32 exec_lo, exec_lo, s6
	s_wait_dscnt 0x0
	s_barrier_signal -1
	s_barrier_wait -1
	s_and_saveexec_b32 s6, s23
	s_cbranch_execz .LBB139_260
; %bb.259:                              ;   in Loop: Header=BB139_3 Depth=1
	ds_load_b64 v[46:47], v65 offset:10368
	ds_load_b64 v[48:49], v66
	s_wait_dscnt 0x0
	v_fmac_f64_e32 v[44:45], v[46:47], v[48:49]
.LBB139_260:                            ;   in Loop: Header=BB139_3 Depth=1
	s_or_b32 exec_lo, exec_lo, s6
	s_barrier_signal -1
	s_barrier_wait -1
	s_and_saveexec_b32 s6, s25
; %bb.261:                              ;   in Loop: Header=BB139_3 Depth=1
	ds_store_b64 v66, v[44:45]
; %bb.262:                              ;   in Loop: Header=BB139_3 Depth=1
	s_or_b32 exec_lo, exec_lo, s6
	s_wait_dscnt 0x0
	s_barrier_signal -1
	s_barrier_wait -1
	s_and_saveexec_b32 s6, s27
	s_cbranch_execz .LBB139_264
; %bb.263:                              ;   in Loop: Header=BB139_3 Depth=1
	ds_load_b64 v[46:47], v65 offset:10880
	ds_load_b64 v[48:49], v66
	s_wait_dscnt 0x0
	v_fmac_f64_e32 v[44:45], v[46:47], v[48:49]
.LBB139_264:                            ;   in Loop: Header=BB139_3 Depth=1
	s_or_b32 exec_lo, exec_lo, s6
	s_barrier_signal -1
	s_barrier_wait -1
	s_and_saveexec_b32 s6, s29
; %bb.265:                              ;   in Loop: Header=BB139_3 Depth=1
	ds_store_b64 v66, v[44:45]
; %bb.266:                              ;   in Loop: Header=BB139_3 Depth=1
	s_or_b32 exec_lo, exec_lo, s6
	s_wait_dscnt 0x0
	s_barrier_signal -1
	s_barrier_wait -1
	s_and_saveexec_b32 s6, s57
	s_cbranch_execz .LBB139_268
; %bb.267:                              ;   in Loop: Header=BB139_3 Depth=1
	ds_load_b64 v[46:47], v65 offset:11392
	ds_load_b64 v[48:49], v66
	s_wait_dscnt 0x0
	v_fmac_f64_e32 v[44:45], v[46:47], v[48:49]
.LBB139_268:                            ;   in Loop: Header=BB139_3 Depth=1
	s_or_b32 exec_lo, exec_lo, s6
	s_barrier_signal -1
	s_barrier_wait -1
	s_and_saveexec_b32 s6, s58
; %bb.269:                              ;   in Loop: Header=BB139_3 Depth=1
	ds_store_b64 v66, v[44:45]
; %bb.270:                              ;   in Loop: Header=BB139_3 Depth=1
	s_or_b32 exec_lo, exec_lo, s6
	s_wait_dscnt 0x0
	s_barrier_signal -1
	s_barrier_wait -1
	s_and_saveexec_b32 s6, s59
	s_cbranch_execz .LBB139_272
; %bb.271:                              ;   in Loop: Header=BB139_3 Depth=1
	ds_load_b64 v[46:47], v65 offset:11904
	ds_load_b64 v[48:49], v66
	s_wait_dscnt 0x0
	v_fmac_f64_e32 v[44:45], v[46:47], v[48:49]
.LBB139_272:                            ;   in Loop: Header=BB139_3 Depth=1
	s_or_b32 exec_lo, exec_lo, s6
	s_barrier_signal -1
	s_barrier_wait -1
	s_and_saveexec_b32 s6, s60
; %bb.273:                              ;   in Loop: Header=BB139_3 Depth=1
	ds_store_b64 v66, v[44:45]
; %bb.274:                              ;   in Loop: Header=BB139_3 Depth=1
	s_or_b32 exec_lo, exec_lo, s6
	s_wait_dscnt 0x0
	s_barrier_signal -1
	s_barrier_wait -1
	s_and_saveexec_b32 s6, s61
	s_cbranch_execz .LBB139_276
; %bb.275:                              ;   in Loop: Header=BB139_3 Depth=1
	ds_load_b64 v[46:47], v65 offset:12416
	ds_load_b64 v[48:49], v66
	s_wait_dscnt 0x0
	v_fmac_f64_e32 v[44:45], v[46:47], v[48:49]
.LBB139_276:                            ;   in Loop: Header=BB139_3 Depth=1
	s_or_b32 exec_lo, exec_lo, s6
	s_barrier_signal -1
	s_barrier_wait -1
	s_and_saveexec_b32 s6, s62
; %bb.277:                              ;   in Loop: Header=BB139_3 Depth=1
	ds_store_b64 v66, v[44:45]
; %bb.278:                              ;   in Loop: Header=BB139_3 Depth=1
	s_or_b32 exec_lo, exec_lo, s6
	s_wait_dscnt 0x0
	s_barrier_signal -1
	s_barrier_wait -1
	s_and_saveexec_b32 s6, s63
	s_cbranch_execz .LBB139_280
; %bb.279:                              ;   in Loop: Header=BB139_3 Depth=1
	ds_load_b64 v[46:47], v65 offset:12928
	ds_load_b64 v[48:49], v66
	s_wait_dscnt 0x0
	v_fmac_f64_e32 v[44:45], v[46:47], v[48:49]
.LBB139_280:                            ;   in Loop: Header=BB139_3 Depth=1
	s_or_b32 exec_lo, exec_lo, s6
	s_barrier_signal -1
	s_barrier_wait -1
	s_and_saveexec_b32 s6, s64
; %bb.281:                              ;   in Loop: Header=BB139_3 Depth=1
	ds_store_b64 v66, v[44:45]
; %bb.282:                              ;   in Loop: Header=BB139_3 Depth=1
	s_or_b32 exec_lo, exec_lo, s6
	s_wait_dscnt 0x0
	s_barrier_signal -1
	s_barrier_wait -1
	s_and_saveexec_b32 s6, s20
	s_cbranch_execz .LBB139_284
; %bb.283:                              ;   in Loop: Header=BB139_3 Depth=1
	ds_load_b64 v[46:47], v65 offset:13440
	ds_load_b64 v[48:49], v66
	s_wait_dscnt 0x0
	v_fmac_f64_e32 v[44:45], v[46:47], v[48:49]
.LBB139_284:                            ;   in Loop: Header=BB139_3 Depth=1
	s_or_b32 exec_lo, exec_lo, s6
	s_barrier_signal -1
	s_barrier_wait -1
	s_and_saveexec_b32 s6, s22
; %bb.285:                              ;   in Loop: Header=BB139_3 Depth=1
	ds_store_b64 v66, v[44:45]
; %bb.286:                              ;   in Loop: Header=BB139_3 Depth=1
	s_or_b32 exec_lo, exec_lo, s6
	s_wait_dscnt 0x0
	s_barrier_signal -1
	s_barrier_wait -1
	s_and_saveexec_b32 s6, s24
	s_cbranch_execz .LBB139_288
; %bb.287:                              ;   in Loop: Header=BB139_3 Depth=1
	ds_load_b64 v[46:47], v65 offset:13952
	ds_load_b64 v[48:49], v66
	s_wait_dscnt 0x0
	v_fmac_f64_e32 v[44:45], v[46:47], v[48:49]
.LBB139_288:                            ;   in Loop: Header=BB139_3 Depth=1
	s_or_b32 exec_lo, exec_lo, s6
	s_barrier_signal -1
	s_barrier_wait -1
	s_and_saveexec_b32 s6, s26
; %bb.289:                              ;   in Loop: Header=BB139_3 Depth=1
	ds_store_b64 v66, v[44:45]
; %bb.290:                              ;   in Loop: Header=BB139_3 Depth=1
	s_or_b32 exec_lo, exec_lo, s6
	s_wait_dscnt 0x0
	s_barrier_signal -1
	s_barrier_wait -1
	s_and_saveexec_b32 s6, s28
	s_cbranch_execz .LBB139_292
; %bb.291:                              ;   in Loop: Header=BB139_3 Depth=1
	ds_load_b64 v[46:47], v65 offset:14464
	ds_load_b64 v[48:49], v66
	s_wait_dscnt 0x0
	v_fmac_f64_e32 v[44:45], v[46:47], v[48:49]
.LBB139_292:                            ;   in Loop: Header=BB139_3 Depth=1
	s_or_b32 exec_lo, exec_lo, s6
	s_barrier_signal -1
	s_barrier_wait -1
	s_and_saveexec_b32 s6, s97
; %bb.293:                              ;   in Loop: Header=BB139_3 Depth=1
	ds_store_b64 v66, v[44:45]
; %bb.294:                              ;   in Loop: Header=BB139_3 Depth=1
	s_or_b32 exec_lo, exec_lo, s6
	s_wait_dscnt 0x0
	s_barrier_signal -1
	s_barrier_wait -1
	s_and_saveexec_b32 s6, s94
	s_cbranch_execz .LBB139_296
; %bb.295:                              ;   in Loop: Header=BB139_3 Depth=1
	ds_load_b64 v[46:47], v65 offset:14976
	ds_load_b64 v[48:49], v66
	s_wait_dscnt 0x0
	v_fmac_f64_e32 v[44:45], v[46:47], v[48:49]
.LBB139_296:                            ;   in Loop: Header=BB139_3 Depth=1
	s_or_b32 exec_lo, exec_lo, s6
	s_barrier_signal -1
	s_barrier_wait -1
	s_and_saveexec_b32 s6, s48
; %bb.297:                              ;   in Loop: Header=BB139_3 Depth=1
	ds_store_b64 v66, v[44:45]
; %bb.298:                              ;   in Loop: Header=BB139_3 Depth=1
	s_or_b32 exec_lo, exec_lo, s6
	s_wait_dscnt 0x0
	s_barrier_signal -1
	s_barrier_wait -1
	s_and_saveexec_b32 s6, s49
	s_cbranch_execz .LBB139_300
; %bb.299:                              ;   in Loop: Header=BB139_3 Depth=1
	ds_load_b64 v[46:47], v1 offset:15608
	ds_load_b64 v[48:49], v66
	s_wait_dscnt 0x0
	v_fmac_f64_e32 v[44:45], v[46:47], v[48:49]
.LBB139_300:                            ;   in Loop: Header=BB139_3 Depth=1
	s_or_b32 exec_lo, exec_lo, s6
	s_barrier_signal -1
	s_barrier_wait -1
	s_and_saveexec_b32 s6, s49
; %bb.301:                              ;   in Loop: Header=BB139_3 Depth=1
	ds_store_b64 v66, v[44:45]
; %bb.302:                              ;   in Loop: Header=BB139_3 Depth=1
	s_or_b32 exec_lo, exec_lo, s6
	s_wait_dscnt 0x0
	s_barrier_signal -1
	s_barrier_wait -1
	s_barrier_signal -1
	s_barrier_wait -1
	s_and_saveexec_b32 s6, s4
; %bb.303:                              ;   in Loop: Header=BB139_3 Depth=1
	v_xor_b32_e32 v45, 0x80000000, v45
	ds_store_b64 v67, v[44:45] offset:128
; %bb.304:                              ;   in Loop: Header=BB139_3 Depth=1
	s_or_b32 exec_lo, exec_lo, s6
	s_wait_dscnt 0x0
	s_barrier_signal -1
	s_barrier_wait -1
	s_barrier_signal -1
	s_barrier_wait -1
	s_and_saveexec_b32 s6, s10
; %bb.305:                              ;   in Loop: Header=BB139_3 Depth=1
	v_add_nc_u32_e64 v0, 0x2000, 0
	ds_store_2addr_b64 v0, v[30:31], v[30:31] offset0:16 offset1:81
; %bb.306:                              ;   in Loop: Header=BB139_3 Depth=1
	s_or_b32 exec_lo, exec_lo, s6
	v_mov_b64_e32 v[44:45], 0
	s_wait_dscnt 0x0
	s_barrier_signal -1
	s_barrier_wait -1
	s_and_saveexec_b32 s8, s1
	s_cbranch_execz .LBB139_310
; %bb.307:                              ;   in Loop: Header=BB139_3 Depth=1
	ds_load_b64 v[44:45], v51 offset:8336
	ds_load_b64 v[46:47], v52 offset:8320
	s_wait_dscnt 0x0
	v_fma_f64 v[44:45], v[44:45], v[46:47], 0
	s_and_saveexec_b32 s6, s11
	s_cbranch_execz .LBB139_309
; %bb.308:                              ;   in Loop: Header=BB139_3 Depth=1
	ds_load_b64 v[46:47], v53 offset:8848
	ds_load_b64 v[48:49], v1 offset:8328
	s_wait_dscnt 0x0
	v_fmac_f64_e32 v[44:45], v[46:47], v[48:49]
.LBB139_309:                            ;   in Loop: Header=BB139_3 Depth=1
	s_or_b32 exec_lo, exec_lo, s6
	s_delay_alu instid0(VALU_DEP_1)
	v_xor_b32_e32 v45, 0x80000000, v45
.LBB139_310:                            ;   in Loop: Header=BB139_3 Depth=1
	s_or_b32 exec_lo, exec_lo, s8
	s_and_saveexec_b32 s6, s100
; %bb.311:                              ;   in Loop: Header=BB139_3 Depth=1
	ds_store_b64 v50, v[44:45]
; %bb.312:                              ;   in Loop: Header=BB139_3 Depth=1
	s_or_b32 exec_lo, exec_lo, s6
	s_wait_dscnt 0x0
	s_barrier_signal -1
	s_barrier_wait -1
	s_and_saveexec_b32 s6, s101
	s_cbranch_execz .LBB139_314
; %bb.313:                              ;   in Loop: Header=BB139_3 Depth=1
	ds_load_b64 v[46:47], v1 offset:9368
	ds_load_b64 v[48:49], v50
	s_wait_dscnt 0x0
	v_fmac_f64_e32 v[44:45], v[46:47], v[48:49]
.LBB139_314:                            ;   in Loop: Header=BB139_3 Depth=1
	s_or_b32 exec_lo, exec_lo, s6
	s_barrier_signal -1
	s_barrier_wait -1
	s_and_saveexec_b32 s6, s101
; %bb.315:                              ;   in Loop: Header=BB139_3 Depth=1
	ds_store_b64 v50, v[44:45]
; %bb.316:                              ;   in Loop: Header=BB139_3 Depth=1
	s_or_b32 exec_lo, exec_lo, s6
	s_wait_dscnt 0x0
	s_barrier_signal -1
	s_barrier_wait -1
	s_barrier_signal -1
	s_barrier_wait -1
	s_and_saveexec_b32 s6, s1
; %bb.317:                              ;   in Loop: Header=BB139_3 Depth=1
	v_xor_b32_e32 v45, 0x80000000, v45
	ds_store_b64 v51, v[44:45] offset:8336
; %bb.318:                              ;   in Loop: Header=BB139_3 Depth=1
	s_or_b32 exec_lo, exec_lo, s6
	s_wait_dscnt 0x0
	s_barrier_signal -1
	s_barrier_wait -1
	s_barrier_signal -1
	s_barrier_wait -1
	s_and_saveexec_b32 s6, s10
; %bb.319:                              ;   in Loop: Header=BB139_3 Depth=1
	v_add_nc_u32_e64 v0, 0x2000, 0
	ds_store_2addr_b64 v0, v[30:31], v[30:31] offset0:146 offset1:211
; %bb.320:                              ;   in Loop: Header=BB139_3 Depth=1
	s_or_b32 exec_lo, exec_lo, s6
	v_mov_b64_e32 v[44:45], 0
	s_wait_dscnt 0x0
	s_barrier_signal -1
	s_barrier_wait -1
	s_and_saveexec_b32 s8, s2
	s_cbranch_execz .LBB139_326
; %bb.321:                              ;   in Loop: Header=BB139_3 Depth=1
	ds_load_b64 v[44:45], v57 offset:8352
	ds_load_b64 v[46:47], v54 offset:8320
	s_wait_dscnt 0x0
	v_fma_f64 v[44:45], v[44:45], v[46:47], 0
	s_and_saveexec_b32 s6, s12
	s_cbranch_execnz .LBB139_1019
; %bb.322:                              ;   in Loop: Header=BB139_3 Depth=1
	s_or_b32 exec_lo, exec_lo, s6
	s_and_saveexec_b32 s6, s13
	s_cbranch_execnz .LBB139_1020
.LBB139_323:                            ;   in Loop: Header=BB139_3 Depth=1
	s_or_b32 exec_lo, exec_lo, s6
	s_and_saveexec_b32 s6, s1
	s_cbranch_execz .LBB139_325
.LBB139_324:                            ;   in Loop: Header=BB139_3 Depth=1
	ds_load_b64 v[46:47], v53 offset:9888
	ds_load_b64 v[48:49], v1 offset:8344
	s_wait_dscnt 0x0
	v_fmac_f64_e32 v[44:45], v[46:47], v[48:49]
.LBB139_325:                            ;   in Loop: Header=BB139_3 Depth=1
	s_or_b32 exec_lo, exec_lo, s6
	s_delay_alu instid0(VALU_DEP_1)
	v_xor_b32_e32 v45, 0x80000000, v45
.LBB139_326:                            ;   in Loop: Header=BB139_3 Depth=1
	s_or_b32 exec_lo, exec_lo, s8
	s_and_saveexec_b32 s6, s102
; %bb.327:                              ;   in Loop: Header=BB139_3 Depth=1
	ds_store_b64 v55, v[44:45]
; %bb.328:                              ;   in Loop: Header=BB139_3 Depth=1
	s_or_b32 exec_lo, exec_lo, s6
	s_wait_dscnt 0x0
	s_barrier_signal -1
	s_barrier_wait -1
	s_and_saveexec_b32 s6, s103
	s_cbranch_execz .LBB139_330
; %bb.329:                              ;   in Loop: Header=BB139_3 Depth=1
	ds_load_b64 v[46:47], v56 offset:10400
	ds_load_b64 v[48:49], v55
	s_wait_dscnt 0x0
	v_fmac_f64_e32 v[44:45], v[46:47], v[48:49]
.LBB139_330:                            ;   in Loop: Header=BB139_3 Depth=1
	s_or_b32 exec_lo, exec_lo, s6
	s_barrier_signal -1
	s_barrier_wait -1
	s_and_saveexec_b32 s6, s104
; %bb.331:                              ;   in Loop: Header=BB139_3 Depth=1
	ds_store_b64 v55, v[44:45]
; %bb.332:                              ;   in Loop: Header=BB139_3 Depth=1
	s_or_b32 exec_lo, exec_lo, s6
	s_wait_dscnt 0x0
	s_barrier_signal -1
	s_barrier_wait -1
	s_and_saveexec_b32 s6, vcc_hi
	s_cbranch_execz .LBB139_334
; %bb.333:                              ;   in Loop: Header=BB139_3 Depth=1
	ds_load_b64 v[46:47], v56 offset:10912
	ds_load_b64 v[48:49], v55
	s_wait_dscnt 0x0
	v_fmac_f64_e32 v[44:45], v[46:47], v[48:49]
.LBB139_334:                            ;   in Loop: Header=BB139_3 Depth=1
	s_or_b32 exec_lo, exec_lo, s6
	s_barrier_signal -1
	s_barrier_wait -1
	s_and_saveexec_b32 s6, s31
; %bb.335:                              ;   in Loop: Header=BB139_3 Depth=1
	ds_store_b64 v55, v[44:45]
; %bb.336:                              ;   in Loop: Header=BB139_3 Depth=1
	s_or_b32 exec_lo, exec_lo, s6
	s_wait_dscnt 0x0
	s_barrier_signal -1
	s_barrier_wait -1
	s_and_saveexec_b32 s6, s33
	s_cbranch_execz .LBB139_338
; %bb.337:                              ;   in Loop: Header=BB139_3 Depth=1
	ds_load_b64 v[46:47], v1 offset:11448
	ds_load_b64 v[48:49], v55
	s_wait_dscnt 0x0
	v_fmac_f64_e32 v[44:45], v[46:47], v[48:49]
.LBB139_338:                            ;   in Loop: Header=BB139_3 Depth=1
	s_or_b32 exec_lo, exec_lo, s6
	s_barrier_signal -1
	s_barrier_wait -1
	s_and_saveexec_b32 s6, s33
; %bb.339:                              ;   in Loop: Header=BB139_3 Depth=1
	ds_store_b64 v55, v[44:45]
; %bb.340:                              ;   in Loop: Header=BB139_3 Depth=1
	s_or_b32 exec_lo, exec_lo, s6
	s_wait_dscnt 0x0
	s_barrier_signal -1
	s_barrier_wait -1
	s_barrier_signal -1
	s_barrier_wait -1
	s_and_saveexec_b32 s6, s2
; %bb.341:                              ;   in Loop: Header=BB139_3 Depth=1
	v_xor_b32_e32 v45, 0x80000000, v45
	ds_store_b64 v57, v[44:45] offset:8352
; %bb.342:                              ;   in Loop: Header=BB139_3 Depth=1
	s_or_b32 exec_lo, exec_lo, s6
	s_wait_dscnt 0x0
	s_barrier_signal -1
	s_barrier_wait -1
	s_barrier_signal -1
	s_barrier_wait -1
	s_and_saveexec_b32 s6, s10
; %bb.343:                              ;   in Loop: Header=BB139_3 Depth=1
	v_add_nc_u32_e64 v0, 0x2800, 0
	ds_store_2addr_b64 v0, v[30:31], v[30:31] offset0:20 offset1:85
; %bb.344:                              ;   in Loop: Header=BB139_3 Depth=1
	s_or_b32 exec_lo, exec_lo, s6
	v_mov_b64_e32 v[44:45], 0
	s_wait_dscnt 0x0
	s_barrier_signal -1
	s_barrier_wait -1
	s_and_saveexec_b32 s8, s1
	s_cbranch_execz .LBB139_348
; %bb.345:                              ;   in Loop: Header=BB139_3 Depth=1
	ds_load_b64 v[44:45], v51 offset:10416
	ds_load_b64 v[46:47], v52 offset:10400
	s_wait_dscnt 0x0
	v_fma_f64 v[44:45], v[44:45], v[46:47], 0
	s_and_saveexec_b32 s6, s11
	s_cbranch_execz .LBB139_347
; %bb.346:                              ;   in Loop: Header=BB139_3 Depth=1
	ds_load_b64 v[46:47], v53 offset:10928
	ds_load_b64 v[48:49], v1 offset:10408
	s_wait_dscnt 0x0
	v_fmac_f64_e32 v[44:45], v[46:47], v[48:49]
.LBB139_347:                            ;   in Loop: Header=BB139_3 Depth=1
	s_or_b32 exec_lo, exec_lo, s6
	s_delay_alu instid0(VALU_DEP_1)
	v_xor_b32_e32 v45, 0x80000000, v45
.LBB139_348:                            ;   in Loop: Header=BB139_3 Depth=1
	s_or_b32 exec_lo, exec_lo, s8
	s_and_saveexec_b32 s6, s100
; %bb.349:                              ;   in Loop: Header=BB139_3 Depth=1
	ds_store_b64 v50, v[44:45]
; %bb.350:                              ;   in Loop: Header=BB139_3 Depth=1
	s_or_b32 exec_lo, exec_lo, s6
	s_wait_dscnt 0x0
	s_barrier_signal -1
	s_barrier_wait -1
	s_and_saveexec_b32 s6, s101
	s_cbranch_execz .LBB139_352
; %bb.351:                              ;   in Loop: Header=BB139_3 Depth=1
	ds_load_b64 v[46:47], v1 offset:11448
	ds_load_b64 v[48:49], v50
	s_wait_dscnt 0x0
	v_fmac_f64_e32 v[44:45], v[46:47], v[48:49]
.LBB139_352:                            ;   in Loop: Header=BB139_3 Depth=1
	s_or_b32 exec_lo, exec_lo, s6
	s_barrier_signal -1
	s_barrier_wait -1
	s_and_saveexec_b32 s6, s101
; %bb.353:                              ;   in Loop: Header=BB139_3 Depth=1
	ds_store_b64 v50, v[44:45]
; %bb.354:                              ;   in Loop: Header=BB139_3 Depth=1
	s_or_b32 exec_lo, exec_lo, s6
	s_wait_dscnt 0x0
	s_barrier_signal -1
	s_barrier_wait -1
	s_barrier_signal -1
	s_barrier_wait -1
	s_and_saveexec_b32 s6, s1
; %bb.355:                              ;   in Loop: Header=BB139_3 Depth=1
	v_xor_b32_e32 v45, 0x80000000, v45
	ds_store_b64 v51, v[44:45] offset:10416
; %bb.356:                              ;   in Loop: Header=BB139_3 Depth=1
	s_or_b32 exec_lo, exec_lo, s6
	s_wait_dscnt 0x0
	s_barrier_signal -1
	s_barrier_wait -1
	s_barrier_signal -1
	s_barrier_wait -1
	s_and_saveexec_b32 s6, s10
; %bb.357:                              ;   in Loop: Header=BB139_3 Depth=1
	v_add_nc_u32_e64 v0, 0x2800, 0
	ds_store_2addr_b64 v0, v[30:31], v[30:31] offset0:150 offset1:215
; %bb.358:                              ;   in Loop: Header=BB139_3 Depth=1
	s_or_b32 exec_lo, exec_lo, s6
	v_mov_b64_e32 v[44:45], 0
	s_wait_dscnt 0x0
	s_barrier_signal -1
	s_barrier_wait -1
	s_and_saveexec_b32 s8, s3
	s_cbranch_execz .LBB139_368
; %bb.359:                              ;   in Loop: Header=BB139_3 Depth=1
	ds_load_b64 v[44:45], v62 offset:8384
	ds_load_b64 v[46:47], v59 offset:8320
	s_wait_dscnt 0x0
	v_fma_f64 v[44:45], v[44:45], v[46:47], 0
	s_and_saveexec_b32 s6, s14
	s_cbranch_execnz .LBB139_1021
; %bb.360:                              ;   in Loop: Header=BB139_3 Depth=1
	s_or_b32 exec_lo, exec_lo, s6
	s_and_saveexec_b32 s6, s15
	s_cbranch_execnz .LBB139_1022
.LBB139_361:                            ;   in Loop: Header=BB139_3 Depth=1
	s_or_b32 exec_lo, exec_lo, s6
	s_and_saveexec_b32 s6, s16
	s_cbranch_execnz .LBB139_1023
.LBB139_362:                            ;   in Loop: Header=BB139_3 Depth=1
	s_or_b32 exec_lo, exec_lo, s6
	s_and_saveexec_b32 s6, s17
	s_cbranch_execnz .LBB139_1024
.LBB139_363:                            ;   in Loop: Header=BB139_3 Depth=1
	s_or_b32 exec_lo, exec_lo, s6
	s_and_saveexec_b32 s6, s18
	s_cbranch_execnz .LBB139_1025
.LBB139_364:                            ;   in Loop: Header=BB139_3 Depth=1
	s_or_b32 exec_lo, exec_lo, s6
	s_and_saveexec_b32 s6, s2
	s_cbranch_execnz .LBB139_1026
.LBB139_365:                            ;   in Loop: Header=BB139_3 Depth=1
	s_or_b32 exec_lo, exec_lo, s6
	s_and_saveexec_b32 s6, s13
	s_cbranch_execz .LBB139_367
.LBB139_366:                            ;   in Loop: Header=BB139_3 Depth=1
	ds_load_b64 v[46:47], v53 offset:11968
	ds_load_b64 v[48:49], v1 offset:8376
	s_wait_dscnt 0x0
	v_fmac_f64_e32 v[44:45], v[46:47], v[48:49]
.LBB139_367:                            ;   in Loop: Header=BB139_3 Depth=1
	s_or_b32 exec_lo, exec_lo, s6
	s_delay_alu instid0(VALU_DEP_1)
	v_xor_b32_e32 v45, 0x80000000, v45
.LBB139_368:                            ;   in Loop: Header=BB139_3 Depth=1
	s_or_b32 exec_lo, exec_lo, s8
	s_and_saveexec_b32 s6, s34
; %bb.369:                              ;   in Loop: Header=BB139_3 Depth=1
	ds_store_b64 v61, v[44:45]
; %bb.370:                              ;   in Loop: Header=BB139_3 Depth=1
	s_or_b32 exec_lo, exec_lo, s6
	s_wait_dscnt 0x0
	s_barrier_signal -1
	s_barrier_wait -1
	s_and_saveexec_b32 s6, s35
	s_cbranch_execz .LBB139_372
; %bb.371:                              ;   in Loop: Header=BB139_3 Depth=1
	ds_load_b64 v[46:47], v60 offset:12480
	ds_load_b64 v[48:49], v61
	s_wait_dscnt 0x0
	v_fmac_f64_e32 v[44:45], v[46:47], v[48:49]
.LBB139_372:                            ;   in Loop: Header=BB139_3 Depth=1
	s_or_b32 exec_lo, exec_lo, s6
	s_barrier_signal -1
	s_barrier_wait -1
	s_and_saveexec_b32 s6, s36
; %bb.373:                              ;   in Loop: Header=BB139_3 Depth=1
	ds_store_b64 v61, v[44:45]
; %bb.374:                              ;   in Loop: Header=BB139_3 Depth=1
	s_or_b32 exec_lo, exec_lo, s6
	s_wait_dscnt 0x0
	s_barrier_signal -1
	s_barrier_wait -1
	s_and_saveexec_b32 s6, s37
	s_cbranch_execz .LBB139_376
; %bb.375:                              ;   in Loop: Header=BB139_3 Depth=1
	ds_load_b64 v[46:47], v60 offset:12992
	ds_load_b64 v[48:49], v61
	s_wait_dscnt 0x0
	v_fmac_f64_e32 v[44:45], v[46:47], v[48:49]
.LBB139_376:                            ;   in Loop: Header=BB139_3 Depth=1
	s_or_b32 exec_lo, exec_lo, s6
	s_barrier_signal -1
	s_barrier_wait -1
	;; [unrolled: 19-line block ×7, first 2 shown]
	s_and_saveexec_b32 s6, s47
; %bb.397:                              ;   in Loop: Header=BB139_3 Depth=1
	ds_store_b64 v61, v[44:45]
; %bb.398:                              ;   in Loop: Header=BB139_3 Depth=1
	s_or_b32 exec_lo, exec_lo, s6
	s_wait_dscnt 0x0
	s_barrier_signal -1
	s_barrier_wait -1
	s_barrier_signal -1
	s_barrier_wait -1
	s_and_saveexec_b32 s6, s3
; %bb.399:                              ;   in Loop: Header=BB139_3 Depth=1
	v_xor_b32_e32 v45, 0x80000000, v45
	ds_store_b64 v62, v[44:45] offset:8384
; %bb.400:                              ;   in Loop: Header=BB139_3 Depth=1
	s_or_b32 exec_lo, exec_lo, s6
	s_wait_dscnt 0x0
	s_barrier_signal -1
	s_barrier_wait -1
	s_barrier_signal -1
	s_barrier_wait -1
	s_and_saveexec_b32 s6, s10
; %bb.401:                              ;   in Loop: Header=BB139_3 Depth=1
	v_add_nc_u32_e64 v0, 0x3000, 0
	ds_store_2addr_b64 v0, v[30:31], v[30:31] offset0:24 offset1:89
; %bb.402:                              ;   in Loop: Header=BB139_3 Depth=1
	s_or_b32 exec_lo, exec_lo, s6
	v_mov_b64_e32 v[44:45], 0
	s_wait_dscnt 0x0
	s_barrier_signal -1
	s_barrier_wait -1
	s_and_saveexec_b32 s8, s1
	s_cbranch_execz .LBB139_406
; %bb.403:                              ;   in Loop: Header=BB139_3 Depth=1
	ds_load_b64 v[44:45], v51 offset:12496
	ds_load_b64 v[46:47], v52 offset:12480
	s_wait_dscnt 0x0
	v_fma_f64 v[44:45], v[44:45], v[46:47], 0
	s_and_saveexec_b32 s6, s11
	s_cbranch_execz .LBB139_405
; %bb.404:                              ;   in Loop: Header=BB139_3 Depth=1
	ds_load_b64 v[46:47], v53 offset:13008
	ds_load_b64 v[48:49], v1 offset:12488
	s_wait_dscnt 0x0
	v_fmac_f64_e32 v[44:45], v[46:47], v[48:49]
.LBB139_405:                            ;   in Loop: Header=BB139_3 Depth=1
	s_or_b32 exec_lo, exec_lo, s6
	s_delay_alu instid0(VALU_DEP_1)
	v_xor_b32_e32 v45, 0x80000000, v45
.LBB139_406:                            ;   in Loop: Header=BB139_3 Depth=1
	s_or_b32 exec_lo, exec_lo, s8
	s_and_saveexec_b32 s6, s100
; %bb.407:                              ;   in Loop: Header=BB139_3 Depth=1
	ds_store_b64 v50, v[44:45]
; %bb.408:                              ;   in Loop: Header=BB139_3 Depth=1
	s_or_b32 exec_lo, exec_lo, s6
	s_wait_dscnt 0x0
	s_barrier_signal -1
	s_barrier_wait -1
	s_and_saveexec_b32 s6, s101
	s_cbranch_execz .LBB139_410
; %bb.409:                              ;   in Loop: Header=BB139_3 Depth=1
	ds_load_b64 v[46:47], v1 offset:13528
	ds_load_b64 v[48:49], v50
	s_wait_dscnt 0x0
	v_fmac_f64_e32 v[44:45], v[46:47], v[48:49]
.LBB139_410:                            ;   in Loop: Header=BB139_3 Depth=1
	s_or_b32 exec_lo, exec_lo, s6
	s_barrier_signal -1
	s_barrier_wait -1
	s_and_saveexec_b32 s6, s101
; %bb.411:                              ;   in Loop: Header=BB139_3 Depth=1
	ds_store_b64 v50, v[44:45]
; %bb.412:                              ;   in Loop: Header=BB139_3 Depth=1
	s_or_b32 exec_lo, exec_lo, s6
	s_wait_dscnt 0x0
	s_barrier_signal -1
	s_barrier_wait -1
	s_barrier_signal -1
	s_barrier_wait -1
	s_and_saveexec_b32 s6, s1
; %bb.413:                              ;   in Loop: Header=BB139_3 Depth=1
	v_xor_b32_e32 v45, 0x80000000, v45
	ds_store_b64 v51, v[44:45] offset:12496
; %bb.414:                              ;   in Loop: Header=BB139_3 Depth=1
	s_or_b32 exec_lo, exec_lo, s6
	s_wait_dscnt 0x0
	s_barrier_signal -1
	s_barrier_wait -1
	s_barrier_signal -1
	s_barrier_wait -1
	s_and_saveexec_b32 s6, s10
; %bb.415:                              ;   in Loop: Header=BB139_3 Depth=1
	v_add_nc_u32_e64 v0, 0x3000, 0
	ds_store_2addr_b64 v0, v[30:31], v[30:31] offset0:154 offset1:219
; %bb.416:                              ;   in Loop: Header=BB139_3 Depth=1
	s_or_b32 exec_lo, exec_lo, s6
	v_mov_b64_e32 v[44:45], 0
	s_wait_dscnt 0x0
	s_barrier_signal -1
	s_barrier_wait -1
	s_and_saveexec_b32 s8, s2
	s_cbranch_execz .LBB139_422
; %bb.417:                              ;   in Loop: Header=BB139_3 Depth=1
	ds_load_b64 v[44:45], v57 offset:12512
	ds_load_b64 v[46:47], v54 offset:12480
	s_wait_dscnt 0x0
	v_fma_f64 v[44:45], v[44:45], v[46:47], 0
	s_and_saveexec_b32 s6, s12
	s_cbranch_execnz .LBB139_1027
; %bb.418:                              ;   in Loop: Header=BB139_3 Depth=1
	s_or_b32 exec_lo, exec_lo, s6
	s_and_saveexec_b32 s6, s13
	s_cbranch_execnz .LBB139_1028
.LBB139_419:                            ;   in Loop: Header=BB139_3 Depth=1
	s_or_b32 exec_lo, exec_lo, s6
	s_and_saveexec_b32 s6, s1
	s_cbranch_execz .LBB139_421
.LBB139_420:                            ;   in Loop: Header=BB139_3 Depth=1
	ds_load_b64 v[46:47], v53 offset:14048
	ds_load_b64 v[48:49], v1 offset:12504
	s_wait_dscnt 0x0
	v_fmac_f64_e32 v[44:45], v[46:47], v[48:49]
.LBB139_421:                            ;   in Loop: Header=BB139_3 Depth=1
	s_or_b32 exec_lo, exec_lo, s6
	s_delay_alu instid0(VALU_DEP_1)
	v_xor_b32_e32 v45, 0x80000000, v45
.LBB139_422:                            ;   in Loop: Header=BB139_3 Depth=1
	s_or_b32 exec_lo, exec_lo, s8
	s_and_saveexec_b32 s6, s102
; %bb.423:                              ;   in Loop: Header=BB139_3 Depth=1
	ds_store_b64 v55, v[44:45]
; %bb.424:                              ;   in Loop: Header=BB139_3 Depth=1
	s_or_b32 exec_lo, exec_lo, s6
	s_wait_dscnt 0x0
	s_barrier_signal -1
	s_barrier_wait -1
	s_and_saveexec_b32 s6, s103
	s_cbranch_execz .LBB139_426
; %bb.425:                              ;   in Loop: Header=BB139_3 Depth=1
	ds_load_b64 v[46:47], v56 offset:14560
	ds_load_b64 v[48:49], v55
	s_wait_dscnt 0x0
	v_fmac_f64_e32 v[44:45], v[46:47], v[48:49]
.LBB139_426:                            ;   in Loop: Header=BB139_3 Depth=1
	s_or_b32 exec_lo, exec_lo, s6
	s_barrier_signal -1
	s_barrier_wait -1
	s_and_saveexec_b32 s6, s104
; %bb.427:                              ;   in Loop: Header=BB139_3 Depth=1
	ds_store_b64 v55, v[44:45]
; %bb.428:                              ;   in Loop: Header=BB139_3 Depth=1
	s_or_b32 exec_lo, exec_lo, s6
	s_wait_dscnt 0x0
	s_barrier_signal -1
	s_barrier_wait -1
	s_and_saveexec_b32 s6, vcc_hi
	s_cbranch_execz .LBB139_430
; %bb.429:                              ;   in Loop: Header=BB139_3 Depth=1
	ds_load_b64 v[46:47], v56 offset:15072
	ds_load_b64 v[48:49], v55
	s_wait_dscnt 0x0
	v_fmac_f64_e32 v[44:45], v[46:47], v[48:49]
.LBB139_430:                            ;   in Loop: Header=BB139_3 Depth=1
	s_or_b32 exec_lo, exec_lo, s6
	s_barrier_signal -1
	s_barrier_wait -1
	s_and_saveexec_b32 s6, s31
; %bb.431:                              ;   in Loop: Header=BB139_3 Depth=1
	ds_store_b64 v55, v[44:45]
; %bb.432:                              ;   in Loop: Header=BB139_3 Depth=1
	s_or_b32 exec_lo, exec_lo, s6
	s_wait_dscnt 0x0
	s_barrier_signal -1
	s_barrier_wait -1
	s_and_saveexec_b32 s6, s33
	s_cbranch_execz .LBB139_434
; %bb.433:                              ;   in Loop: Header=BB139_3 Depth=1
	ds_load_b64 v[46:47], v1 offset:15608
	ds_load_b64 v[48:49], v55
	s_wait_dscnt 0x0
	v_fmac_f64_e32 v[44:45], v[46:47], v[48:49]
.LBB139_434:                            ;   in Loop: Header=BB139_3 Depth=1
	s_or_b32 exec_lo, exec_lo, s6
	s_barrier_signal -1
	s_barrier_wait -1
	s_and_saveexec_b32 s6, s33
; %bb.435:                              ;   in Loop: Header=BB139_3 Depth=1
	ds_store_b64 v55, v[44:45]
; %bb.436:                              ;   in Loop: Header=BB139_3 Depth=1
	s_or_b32 exec_lo, exec_lo, s6
	s_wait_dscnt 0x0
	s_barrier_signal -1
	s_barrier_wait -1
	s_barrier_signal -1
	s_barrier_wait -1
	s_and_saveexec_b32 s6, s2
; %bb.437:                              ;   in Loop: Header=BB139_3 Depth=1
	v_xor_b32_e32 v45, 0x80000000, v45
	ds_store_b64 v57, v[44:45] offset:12512
; %bb.438:                              ;   in Loop: Header=BB139_3 Depth=1
	s_or_b32 exec_lo, exec_lo, s6
	s_wait_dscnt 0x0
	s_barrier_signal -1
	s_barrier_wait -1
	s_barrier_signal -1
	s_barrier_wait -1
	s_and_saveexec_b32 s6, s10
; %bb.439:                              ;   in Loop: Header=BB139_3 Depth=1
	v_add_nc_u32_e64 v0, 0x3800, 0
	ds_store_2addr_b64 v0, v[30:31], v[30:31] offset0:28 offset1:93
; %bb.440:                              ;   in Loop: Header=BB139_3 Depth=1
	s_or_b32 exec_lo, exec_lo, s6
	v_mov_b64_e32 v[44:45], 0
	s_wait_dscnt 0x0
	s_barrier_signal -1
	s_barrier_wait -1
	s_and_saveexec_b32 s8, s1
	s_cbranch_execz .LBB139_444
; %bb.441:                              ;   in Loop: Header=BB139_3 Depth=1
	ds_load_b64 v[44:45], v51 offset:14576
	ds_load_b64 v[46:47], v52 offset:14560
	s_wait_dscnt 0x0
	v_fma_f64 v[44:45], v[44:45], v[46:47], 0
	s_and_saveexec_b32 s6, s11
	s_cbranch_execz .LBB139_443
; %bb.442:                              ;   in Loop: Header=BB139_3 Depth=1
	ds_load_b64 v[46:47], v53 offset:15088
	ds_load_b64 v[48:49], v1 offset:14568
	s_wait_dscnt 0x0
	v_fmac_f64_e32 v[44:45], v[46:47], v[48:49]
.LBB139_443:                            ;   in Loop: Header=BB139_3 Depth=1
	s_or_b32 exec_lo, exec_lo, s6
	s_delay_alu instid0(VALU_DEP_1)
	v_xor_b32_e32 v45, 0x80000000, v45
.LBB139_444:                            ;   in Loop: Header=BB139_3 Depth=1
	s_or_b32 exec_lo, exec_lo, s8
	s_and_saveexec_b32 s6, s100
; %bb.445:                              ;   in Loop: Header=BB139_3 Depth=1
	ds_store_b64 v50, v[44:45]
; %bb.446:                              ;   in Loop: Header=BB139_3 Depth=1
	s_or_b32 exec_lo, exec_lo, s6
	s_wait_dscnt 0x0
	s_barrier_signal -1
	s_barrier_wait -1
	s_and_saveexec_b32 s6, s101
	s_cbranch_execz .LBB139_448
; %bb.447:                              ;   in Loop: Header=BB139_3 Depth=1
	ds_load_b64 v[46:47], v1 offset:15608
	ds_load_b64 v[48:49], v50
	s_wait_dscnt 0x0
	v_fmac_f64_e32 v[44:45], v[46:47], v[48:49]
.LBB139_448:                            ;   in Loop: Header=BB139_3 Depth=1
	s_or_b32 exec_lo, exec_lo, s6
	s_barrier_signal -1
	s_barrier_wait -1
	s_and_saveexec_b32 s6, s101
; %bb.449:                              ;   in Loop: Header=BB139_3 Depth=1
	ds_store_b64 v50, v[44:45]
; %bb.450:                              ;   in Loop: Header=BB139_3 Depth=1
	s_or_b32 exec_lo, exec_lo, s6
	s_wait_dscnt 0x0
	s_barrier_signal -1
	s_barrier_wait -1
	s_barrier_signal -1
	s_barrier_wait -1
	s_and_saveexec_b32 s6, s1
; %bb.451:                              ;   in Loop: Header=BB139_3 Depth=1
	v_xor_b32_e32 v45, 0x80000000, v45
	ds_store_b64 v51, v[44:45] offset:14576
; %bb.452:                              ;   in Loop: Header=BB139_3 Depth=1
	s_or_b32 exec_lo, exec_lo, s6
	s_wait_dscnt 0x0
	s_barrier_signal -1
	s_barrier_wait -1
	s_barrier_signal -1
	s_barrier_wait -1
	s_and_saveexec_b32 s6, s10
; %bb.453:                              ;   in Loop: Header=BB139_3 Depth=1
	v_add_nc_u32_e64 v0, 0x3800, 0
	ds_store_2addr_b64 v0, v[30:31], v[30:31] offset0:158 offset1:223
; %bb.454:                              ;   in Loop: Header=BB139_3 Depth=1
	s_or_b32 exec_lo, exec_lo, s6
	v_mov_b64_e32 v[44:45], 0
	s_wait_dscnt 0x0
	s_barrier_signal -1
	s_barrier_wait -1
	s_and_saveexec_b32 s65, s30
	s_cbranch_execz .LBB139_516
; %bb.455:                              ;   in Loop: Header=BB139_3 Depth=1
	v_add_nc_u32_e32 v0, v71, v70
	ds_load_b64 v[44:45], v73 offset:256
	ds_load_b64 v[46:47], v0
	s_wait_dscnt 0x0
	v_fma_f64 v[44:45], v[44:45], v[46:47], 0
	s_mov_b32 s6, exec_lo
	v_readlane_b32 s8, v89, 31
	s_and_b32 s8, s6, s8
	s_delay_alu instid0(SALU_CYCLE_1)
	s_mov_b32 exec_lo, s8
	s_cbranch_execz .LBB139_457
; %bb.456:                              ;   in Loop: Header=BB139_3 Depth=1
	ds_load_b64 v[46:47], v73 offset:768
	ds_load_b64 v[48:49], v0 offset:8
	s_wait_dscnt 0x0
	v_fmac_f64_e32 v[44:45], v[46:47], v[48:49]
.LBB139_457:                            ;   in Loop: Header=BB139_3 Depth=1
	s_or_b32 exec_lo, exec_lo, s6
	s_delay_alu instid0(SALU_CYCLE_1) | instskip(SKIP_2) | instid1(SALU_CYCLE_1)
	s_mov_b32 s6, exec_lo
	v_readlane_b32 s8, v88, 0
	s_and_b32 s8, s6, s8
	s_mov_b32 exec_lo, s8
	s_cbranch_execz .LBB139_459
; %bb.458:                              ;   in Loop: Header=BB139_3 Depth=1
	ds_load_b64 v[46:47], v73 offset:1280
	ds_load_b64 v[48:49], v0 offset:16
	s_wait_dscnt 0x0
	v_fmac_f64_e32 v[44:45], v[46:47], v[48:49]
.LBB139_459:                            ;   in Loop: Header=BB139_3 Depth=1
	s_or_b32 exec_lo, exec_lo, s6
	s_delay_alu instid0(SALU_CYCLE_1) | instskip(SKIP_2) | instid1(SALU_CYCLE_1)
	s_mov_b32 s6, exec_lo
	v_readlane_b32 s8, v88, 1
	s_and_b32 s8, s6, s8
	;; [unrolled: 13-line block ×22, first 2 shown]
	s_mov_b32 exec_lo, s8
	s_cbranch_execz .LBB139_501
; %bb.500:                              ;   in Loop: Header=BB139_3 Depth=1
	ds_load_b64 v[46:47], v73 offset:12032
	ds_load_b64 v[48:49], v0 offset:184
	s_wait_dscnt 0x0
	v_fmac_f64_e32 v[44:45], v[46:47], v[48:49]
.LBB139_501:                            ;   in Loop: Header=BB139_3 Depth=1
	s_or_b32 exec_lo, exec_lo, s6
	s_and_saveexec_b32 s6, s4
	s_cbranch_execz .LBB139_503
; %bb.502:                              ;   in Loop: Header=BB139_3 Depth=1
	ds_load_b64 v[46:47], v73 offset:12544
	ds_load_b64 v[48:49], v0 offset:192
	s_wait_dscnt 0x0
	v_fmac_f64_e32 v[44:45], v[46:47], v[48:49]
.LBB139_503:                            ;   in Loop: Header=BB139_3 Depth=1
	s_or_b32 exec_lo, exec_lo, s6
	s_delay_alu instid0(SALU_CYCLE_1) | instskip(SKIP_2) | instid1(SALU_CYCLE_1)
	s_mov_b32 s6, exec_lo
	v_readlane_b32 s8, v89, 21
	s_and_b32 s8, s6, s8
	s_mov_b32 exec_lo, s8
	s_cbranch_execz .LBB139_505
; %bb.504:                              ;   in Loop: Header=BB139_3 Depth=1
	ds_load_b64 v[46:47], v73 offset:13056
	ds_load_b64 v[48:49], v0 offset:200
	s_wait_dscnt 0x0
	v_fmac_f64_e32 v[44:45], v[46:47], v[48:49]
.LBB139_505:                            ;   in Loop: Header=BB139_3 Depth=1
	s_or_b32 exec_lo, exec_lo, s6
	s_delay_alu instid0(SALU_CYCLE_1) | instskip(SKIP_2) | instid1(SALU_CYCLE_1)
	s_mov_b32 s6, exec_lo
	v_readlane_b32 s8, v89, 23
	s_and_b32 s8, s6, s8
	s_mov_b32 exec_lo, s8
	;; [unrolled: 13-line block ×5, first 2 shown]
	s_cbranch_execnz .LBB139_1029
; %bb.512:                              ;   in Loop: Header=BB139_3 Depth=1
	s_or_b32 exec_lo, exec_lo, s6
	s_and_saveexec_b32 s6, s3
	s_cbranch_execnz .LBB139_1030
.LBB139_513:                            ;   in Loop: Header=BB139_3 Depth=1
	s_or_b32 exec_lo, exec_lo, s6
	s_and_saveexec_b32 s6, s17
	s_cbranch_execz .LBB139_515
.LBB139_514:                            ;   in Loop: Header=BB139_3 Depth=1
	ds_load_b64 v[46:47], v53 offset:16128
	ds_load_b64 v[48:49], v1 offset:248
	s_wait_dscnt 0x0
	v_fmac_f64_e32 v[44:45], v[46:47], v[48:49]
.LBB139_515:                            ;   in Loop: Header=BB139_3 Depth=1
	s_or_b32 exec_lo, exec_lo, s6
	s_delay_alu instid0(VALU_DEP_1)
	v_xor_b32_e32 v45, 0x80000000, v45
.LBB139_516:                            ;   in Loop: Header=BB139_3 Depth=1
	s_or_b32 exec_lo, exec_lo, s65
	v_dual_mov_b32 v0, v69 :: v_dual_mov_b32 v3, v80
	s_mov_b32 s8, 0
	s_branch .LBB139_518
.LBB139_517:                            ;   in Loop: Header=BB139_518 Depth=2
	s_or_b32 exec_lo, exec_lo, s6
	v_add_nc_u32_e32 v3, 0x800, v3
	v_add_nc_u32_e32 v0, -4, v0
	s_add_co_i32 s8, s8, 4
	s_delay_alu instid0(SALU_CYCLE_1)
	s_cmp_eq_u32 s8, 32
	s_barrier_signal -1
	s_barrier_wait -1
	s_cbranch_scc1 .LBB139_534
.LBB139_518:                            ;   Parent Loop BB139_3 Depth=1
                                        ; =>  This Inner Loop Header: Depth=2
	s_delay_alu instid0(VALU_DEP_1) | instskip(SKIP_1) | instid1(SALU_CYCLE_1)
	v_cmp_eq_u32_e32 vcc_lo, 0, v0
	s_and_b32 s9, s7, vcc_lo
	s_and_saveexec_b32 s6, s9
; %bb.519:                              ;   in Loop: Header=BB139_518 Depth=2
	ds_store_b64 v72, v[44:45]
; %bb.520:                              ;   in Loop: Header=BB139_518 Depth=2
	s_or_b32 exec_lo, exec_lo, s6
	v_cmp_lt_u32_e32 vcc_lo, s8, v69
	s_wait_dscnt 0x0
	s_barrier_signal -1
	s_barrier_wait -1
	s_and_b32 s9, s7, vcc_lo
	s_delay_alu instid0(SALU_CYCLE_1)
	s_and_saveexec_b32 s6, s9
	s_cbranch_execz .LBB139_522
; %bb.521:                              ;   in Loop: Header=BB139_518 Depth=2
	ds_load_b64 v[46:47], v3
	ds_load_b64 v[48:49], v72
	s_wait_dscnt 0x0
	v_fmac_f64_e32 v[44:45], v[46:47], v[48:49]
.LBB139_522:                            ;   in Loop: Header=BB139_518 Depth=2
	s_or_b32 exec_lo, exec_lo, s6
	s_or_b32 s9, s8, 1
	s_delay_alu instid0(SALU_CYCLE_1) | instskip(SKIP_3) | instid1(SALU_CYCLE_1)
	v_cmp_eq_u32_e32 vcc_lo, s9, v69
	s_barrier_signal -1
	s_barrier_wait -1
	s_and_b32 s65, s7, vcc_lo
	s_and_saveexec_b32 s6, s65
; %bb.523:                              ;   in Loop: Header=BB139_518 Depth=2
	ds_store_b64 v72, v[44:45]
; %bb.524:                              ;   in Loop: Header=BB139_518 Depth=2
	s_or_b32 exec_lo, exec_lo, s6
	v_cmp_lt_u32_e32 vcc_lo, s9, v69
	s_wait_dscnt 0x0
	s_barrier_signal -1
	s_barrier_wait -1
	s_and_b32 s9, s7, vcc_lo
	s_delay_alu instid0(SALU_CYCLE_1)
	s_and_saveexec_b32 s6, s9
	s_cbranch_execz .LBB139_526
; %bb.525:                              ;   in Loop: Header=BB139_518 Depth=2
	ds_load_b64 v[46:47], v3 offset:512
	ds_load_b64 v[48:49], v72
	s_wait_dscnt 0x0
	v_fmac_f64_e32 v[44:45], v[46:47], v[48:49]
.LBB139_526:                            ;   in Loop: Header=BB139_518 Depth=2
	s_or_b32 exec_lo, exec_lo, s6
	s_or_b32 s9, s8, 2
	s_delay_alu instid0(SALU_CYCLE_1) | instskip(SKIP_3) | instid1(SALU_CYCLE_1)
	v_cmp_eq_u32_e32 vcc_lo, s9, v69
	s_barrier_signal -1
	s_barrier_wait -1
	s_and_b32 s65, s7, vcc_lo
	s_and_saveexec_b32 s6, s65
; %bb.527:                              ;   in Loop: Header=BB139_518 Depth=2
	ds_store_b64 v72, v[44:45]
; %bb.528:                              ;   in Loop: Header=BB139_518 Depth=2
	s_or_b32 exec_lo, exec_lo, s6
	v_cmp_lt_u32_e32 vcc_lo, s9, v69
	s_wait_dscnt 0x0
	s_barrier_signal -1
	s_barrier_wait -1
	s_and_b32 s9, s7, vcc_lo
	s_delay_alu instid0(SALU_CYCLE_1)
	s_and_saveexec_b32 s6, s9
	s_cbranch_execz .LBB139_530
; %bb.529:                              ;   in Loop: Header=BB139_518 Depth=2
	ds_load_b64 v[46:47], v3 offset:1024
	ds_load_b64 v[48:49], v72
	s_wait_dscnt 0x0
	v_fmac_f64_e32 v[44:45], v[46:47], v[48:49]
.LBB139_530:                            ;   in Loop: Header=BB139_518 Depth=2
	s_or_b32 exec_lo, exec_lo, s6
	s_or_b32 s9, s8, 3
	s_delay_alu instid0(SALU_CYCLE_1) | instskip(SKIP_3) | instid1(SALU_CYCLE_1)
	v_cmp_eq_u32_e32 vcc_lo, s9, v69
	s_barrier_signal -1
	s_barrier_wait -1
	s_and_b32 s65, s7, vcc_lo
	s_and_saveexec_b32 s6, s65
; %bb.531:                              ;   in Loop: Header=BB139_518 Depth=2
	ds_store_b64 v72, v[44:45]
; %bb.532:                              ;   in Loop: Header=BB139_518 Depth=2
	s_or_b32 exec_lo, exec_lo, s6
	v_cmp_lt_u32_e32 vcc_lo, s9, v69
	s_wait_dscnt 0x0
	s_barrier_signal -1
	s_barrier_wait -1
	s_and_b32 s9, s7, vcc_lo
	s_delay_alu instid0(SALU_CYCLE_1)
	s_and_saveexec_b32 s6, s9
	s_cbranch_execz .LBB139_517
; %bb.533:                              ;   in Loop: Header=BB139_518 Depth=2
	ds_load_b64 v[46:47], v3 offset:1536
	ds_load_b64 v[48:49], v72
	s_wait_dscnt 0x0
	v_fmac_f64_e32 v[44:45], v[46:47], v[48:49]
	s_branch .LBB139_517
.LBB139_534:                            ;   in Loop: Header=BB139_3 Depth=1
	s_and_saveexec_b32 s6, s30
; %bb.535:                              ;   in Loop: Header=BB139_3 Depth=1
	s_delay_alu instid0(VALU_DEP_3)
	v_xor_b32_e32 v45, 0x80000000, v45
	ds_store_b64 v73, v[44:45] offset:256
; %bb.536:                              ;   in Loop: Header=BB139_3 Depth=1
	s_or_b32 exec_lo, exec_lo, s6
	s_wait_dscnt 0x0
	s_barrier_signal -1
	s_barrier_wait -1
	s_barrier_signal -1
	s_barrier_wait -1
	s_and_saveexec_b32 s6, s10
; %bb.537:                              ;   in Loop: Header=BB139_3 Depth=1
	v_add_nc_u32_e64 v0, 0x4000, 0
	ds_store_2addr_b64 v0, v[30:31], v[30:31] offset0:32 offset1:97
; %bb.538:                              ;   in Loop: Header=BB139_3 Depth=1
	s_or_b32 exec_lo, exec_lo, s6
	v_mov_b64_e32 v[44:45], 0
	s_wait_dscnt 0x0
	s_barrier_signal -1
	s_barrier_wait -1
	s_and_saveexec_b32 s8, s1
	s_cbranch_execz .LBB139_542
; %bb.539:                              ;   in Loop: Header=BB139_3 Depth=1
	ds_load_b64 v[44:45], v51 offset:16656
	ds_load_b64 v[46:47], v52 offset:16640
	s_wait_dscnt 0x0
	v_fma_f64 v[44:45], v[44:45], v[46:47], 0
	s_and_saveexec_b32 s6, s11
	s_cbranch_execz .LBB139_541
; %bb.540:                              ;   in Loop: Header=BB139_3 Depth=1
	ds_load_b64 v[46:47], v53 offset:17168
	ds_load_b64 v[48:49], v1 offset:16648
	s_wait_dscnt 0x0
	v_fmac_f64_e32 v[44:45], v[46:47], v[48:49]
.LBB139_541:                            ;   in Loop: Header=BB139_3 Depth=1
	s_or_b32 exec_lo, exec_lo, s6
	s_delay_alu instid0(VALU_DEP_1)
	v_xor_b32_e32 v45, 0x80000000, v45
.LBB139_542:                            ;   in Loop: Header=BB139_3 Depth=1
	s_or_b32 exec_lo, exec_lo, s8
	s_and_saveexec_b32 s6, s100
; %bb.543:                              ;   in Loop: Header=BB139_3 Depth=1
	ds_store_b64 v50, v[44:45]
; %bb.544:                              ;   in Loop: Header=BB139_3 Depth=1
	s_or_b32 exec_lo, exec_lo, s6
	s_wait_dscnt 0x0
	s_barrier_signal -1
	s_barrier_wait -1
	s_and_saveexec_b32 s6, s101
	s_cbranch_execz .LBB139_546
; %bb.545:                              ;   in Loop: Header=BB139_3 Depth=1
	ds_load_b64 v[46:47], v1 offset:17688
	ds_load_b64 v[48:49], v50
	s_wait_dscnt 0x0
	v_fmac_f64_e32 v[44:45], v[46:47], v[48:49]
.LBB139_546:                            ;   in Loop: Header=BB139_3 Depth=1
	s_or_b32 exec_lo, exec_lo, s6
	s_barrier_signal -1
	s_barrier_wait -1
	s_and_saveexec_b32 s6, s101
; %bb.547:                              ;   in Loop: Header=BB139_3 Depth=1
	ds_store_b64 v50, v[44:45]
; %bb.548:                              ;   in Loop: Header=BB139_3 Depth=1
	s_or_b32 exec_lo, exec_lo, s6
	s_wait_dscnt 0x0
	s_barrier_signal -1
	s_barrier_wait -1
	s_barrier_signal -1
	s_barrier_wait -1
	s_and_saveexec_b32 s6, s1
; %bb.549:                              ;   in Loop: Header=BB139_3 Depth=1
	v_xor_b32_e32 v45, 0x80000000, v45
	ds_store_b64 v51, v[44:45] offset:16656
; %bb.550:                              ;   in Loop: Header=BB139_3 Depth=1
	s_or_b32 exec_lo, exec_lo, s6
	s_wait_dscnt 0x0
	s_barrier_signal -1
	s_barrier_wait -1
	s_barrier_signal -1
	s_barrier_wait -1
	s_and_saveexec_b32 s6, s10
; %bb.551:                              ;   in Loop: Header=BB139_3 Depth=1
	v_add_nc_u32_e64 v0, 0x4000, 0
	ds_store_2addr_b64 v0, v[30:31], v[30:31] offset0:162 offset1:227
; %bb.552:                              ;   in Loop: Header=BB139_3 Depth=1
	s_or_b32 exec_lo, exec_lo, s6
	v_mov_b64_e32 v[44:45], 0
	s_wait_dscnt 0x0
	s_barrier_signal -1
	s_barrier_wait -1
	s_and_saveexec_b32 s8, s2
	s_cbranch_execz .LBB139_558
; %bb.553:                              ;   in Loop: Header=BB139_3 Depth=1
	ds_load_b64 v[44:45], v57 offset:16672
	ds_load_b64 v[46:47], v54 offset:16640
	s_wait_dscnt 0x0
	v_fma_f64 v[44:45], v[44:45], v[46:47], 0
	s_and_saveexec_b32 s6, s12
	s_cbranch_execnz .LBB139_1031
; %bb.554:                              ;   in Loop: Header=BB139_3 Depth=1
	s_or_b32 exec_lo, exec_lo, s6
	s_and_saveexec_b32 s6, s13
	s_cbranch_execnz .LBB139_1032
.LBB139_555:                            ;   in Loop: Header=BB139_3 Depth=1
	s_or_b32 exec_lo, exec_lo, s6
	s_and_saveexec_b32 s6, s1
	s_cbranch_execz .LBB139_557
.LBB139_556:                            ;   in Loop: Header=BB139_3 Depth=1
	ds_load_b64 v[46:47], v53 offset:18208
	ds_load_b64 v[48:49], v1 offset:16664
	s_wait_dscnt 0x0
	v_fmac_f64_e32 v[44:45], v[46:47], v[48:49]
.LBB139_557:                            ;   in Loop: Header=BB139_3 Depth=1
	s_or_b32 exec_lo, exec_lo, s6
	s_delay_alu instid0(VALU_DEP_1)
	v_xor_b32_e32 v45, 0x80000000, v45
.LBB139_558:                            ;   in Loop: Header=BB139_3 Depth=1
	s_or_b32 exec_lo, exec_lo, s8
	s_and_saveexec_b32 s6, s102
; %bb.559:                              ;   in Loop: Header=BB139_3 Depth=1
	ds_store_b64 v55, v[44:45]
; %bb.560:                              ;   in Loop: Header=BB139_3 Depth=1
	s_or_b32 exec_lo, exec_lo, s6
	s_wait_dscnt 0x0
	s_barrier_signal -1
	s_barrier_wait -1
	s_and_saveexec_b32 s6, s103
	s_cbranch_execz .LBB139_562
; %bb.561:                              ;   in Loop: Header=BB139_3 Depth=1
	ds_load_b64 v[46:47], v56 offset:18720
	ds_load_b64 v[48:49], v55
	s_wait_dscnt 0x0
	v_fmac_f64_e32 v[44:45], v[46:47], v[48:49]
.LBB139_562:                            ;   in Loop: Header=BB139_3 Depth=1
	s_or_b32 exec_lo, exec_lo, s6
	s_barrier_signal -1
	s_barrier_wait -1
	s_and_saveexec_b32 s6, s104
; %bb.563:                              ;   in Loop: Header=BB139_3 Depth=1
	ds_store_b64 v55, v[44:45]
; %bb.564:                              ;   in Loop: Header=BB139_3 Depth=1
	s_or_b32 exec_lo, exec_lo, s6
	s_wait_dscnt 0x0
	s_barrier_signal -1
	s_barrier_wait -1
	s_and_saveexec_b32 s6, vcc_hi
	s_cbranch_execz .LBB139_566
; %bb.565:                              ;   in Loop: Header=BB139_3 Depth=1
	ds_load_b64 v[46:47], v56 offset:19232
	ds_load_b64 v[48:49], v55
	s_wait_dscnt 0x0
	v_fmac_f64_e32 v[44:45], v[46:47], v[48:49]
.LBB139_566:                            ;   in Loop: Header=BB139_3 Depth=1
	s_or_b32 exec_lo, exec_lo, s6
	s_barrier_signal -1
	s_barrier_wait -1
	s_and_saveexec_b32 s6, s31
; %bb.567:                              ;   in Loop: Header=BB139_3 Depth=1
	ds_store_b64 v55, v[44:45]
; %bb.568:                              ;   in Loop: Header=BB139_3 Depth=1
	s_or_b32 exec_lo, exec_lo, s6
	s_wait_dscnt 0x0
	s_barrier_signal -1
	s_barrier_wait -1
	s_and_saveexec_b32 s6, s33
	s_cbranch_execz .LBB139_570
; %bb.569:                              ;   in Loop: Header=BB139_3 Depth=1
	ds_load_b64 v[46:47], v1 offset:19768
	ds_load_b64 v[48:49], v55
	s_wait_dscnt 0x0
	v_fmac_f64_e32 v[44:45], v[46:47], v[48:49]
.LBB139_570:                            ;   in Loop: Header=BB139_3 Depth=1
	s_or_b32 exec_lo, exec_lo, s6
	s_barrier_signal -1
	s_barrier_wait -1
	s_and_saveexec_b32 s6, s33
; %bb.571:                              ;   in Loop: Header=BB139_3 Depth=1
	ds_store_b64 v55, v[44:45]
; %bb.572:                              ;   in Loop: Header=BB139_3 Depth=1
	s_or_b32 exec_lo, exec_lo, s6
	s_wait_dscnt 0x0
	s_barrier_signal -1
	s_barrier_wait -1
	s_barrier_signal -1
	s_barrier_wait -1
	s_and_saveexec_b32 s6, s2
; %bb.573:                              ;   in Loop: Header=BB139_3 Depth=1
	v_xor_b32_e32 v45, 0x80000000, v45
	ds_store_b64 v57, v[44:45] offset:16672
; %bb.574:                              ;   in Loop: Header=BB139_3 Depth=1
	s_or_b32 exec_lo, exec_lo, s6
	s_wait_dscnt 0x0
	s_barrier_signal -1
	s_barrier_wait -1
	s_barrier_signal -1
	s_barrier_wait -1
	s_and_saveexec_b32 s6, s10
; %bb.575:                              ;   in Loop: Header=BB139_3 Depth=1
	v_add_nc_u32_e64 v0, 0x4800, 0
	ds_store_2addr_b64 v0, v[30:31], v[30:31] offset0:36 offset1:101
; %bb.576:                              ;   in Loop: Header=BB139_3 Depth=1
	s_or_b32 exec_lo, exec_lo, s6
	v_mov_b64_e32 v[44:45], 0
	s_wait_dscnt 0x0
	s_barrier_signal -1
	s_barrier_wait -1
	s_and_saveexec_b32 s8, s1
	s_cbranch_execz .LBB139_580
; %bb.577:                              ;   in Loop: Header=BB139_3 Depth=1
	ds_load_b64 v[44:45], v51 offset:18736
	ds_load_b64 v[46:47], v52 offset:18720
	s_wait_dscnt 0x0
	v_fma_f64 v[44:45], v[44:45], v[46:47], 0
	s_and_saveexec_b32 s6, s11
	s_cbranch_execz .LBB139_579
; %bb.578:                              ;   in Loop: Header=BB139_3 Depth=1
	ds_load_b64 v[46:47], v53 offset:19248
	ds_load_b64 v[48:49], v1 offset:18728
	s_wait_dscnt 0x0
	v_fmac_f64_e32 v[44:45], v[46:47], v[48:49]
.LBB139_579:                            ;   in Loop: Header=BB139_3 Depth=1
	s_or_b32 exec_lo, exec_lo, s6
	s_delay_alu instid0(VALU_DEP_1)
	v_xor_b32_e32 v45, 0x80000000, v45
.LBB139_580:                            ;   in Loop: Header=BB139_3 Depth=1
	s_or_b32 exec_lo, exec_lo, s8
	s_and_saveexec_b32 s6, s100
; %bb.581:                              ;   in Loop: Header=BB139_3 Depth=1
	ds_store_b64 v50, v[44:45]
; %bb.582:                              ;   in Loop: Header=BB139_3 Depth=1
	s_or_b32 exec_lo, exec_lo, s6
	s_wait_dscnt 0x0
	s_barrier_signal -1
	s_barrier_wait -1
	s_and_saveexec_b32 s6, s101
	s_cbranch_execz .LBB139_584
; %bb.583:                              ;   in Loop: Header=BB139_3 Depth=1
	ds_load_b64 v[46:47], v1 offset:19768
	ds_load_b64 v[48:49], v50
	s_wait_dscnt 0x0
	v_fmac_f64_e32 v[44:45], v[46:47], v[48:49]
.LBB139_584:                            ;   in Loop: Header=BB139_3 Depth=1
	s_or_b32 exec_lo, exec_lo, s6
	s_barrier_signal -1
	s_barrier_wait -1
	s_and_saveexec_b32 s6, s101
; %bb.585:                              ;   in Loop: Header=BB139_3 Depth=1
	ds_store_b64 v50, v[44:45]
; %bb.586:                              ;   in Loop: Header=BB139_3 Depth=1
	s_or_b32 exec_lo, exec_lo, s6
	s_wait_dscnt 0x0
	s_barrier_signal -1
	s_barrier_wait -1
	s_barrier_signal -1
	s_barrier_wait -1
	s_and_saveexec_b32 s6, s1
; %bb.587:                              ;   in Loop: Header=BB139_3 Depth=1
	v_xor_b32_e32 v45, 0x80000000, v45
	ds_store_b64 v51, v[44:45] offset:18736
; %bb.588:                              ;   in Loop: Header=BB139_3 Depth=1
	s_or_b32 exec_lo, exec_lo, s6
	s_wait_dscnt 0x0
	s_barrier_signal -1
	s_barrier_wait -1
	s_barrier_signal -1
	s_barrier_wait -1
	s_and_saveexec_b32 s6, s10
; %bb.589:                              ;   in Loop: Header=BB139_3 Depth=1
	v_add_nc_u32_e64 v0, 0x4800, 0
	ds_store_2addr_b64 v0, v[30:31], v[30:31] offset0:166 offset1:231
; %bb.590:                              ;   in Loop: Header=BB139_3 Depth=1
	s_or_b32 exec_lo, exec_lo, s6
	v_mov_b64_e32 v[44:45], 0
	s_wait_dscnt 0x0
	s_barrier_signal -1
	s_barrier_wait -1
	s_and_saveexec_b32 s8, s3
	s_cbranch_execz .LBB139_600
; %bb.591:                              ;   in Loop: Header=BB139_3 Depth=1
	ds_load_b64 v[44:45], v62 offset:16704
	ds_load_b64 v[46:47], v59 offset:16640
	s_wait_dscnt 0x0
	v_fma_f64 v[44:45], v[44:45], v[46:47], 0
	s_and_saveexec_b32 s6, s14
	s_cbranch_execnz .LBB139_1033
; %bb.592:                              ;   in Loop: Header=BB139_3 Depth=1
	s_or_b32 exec_lo, exec_lo, s6
	s_and_saveexec_b32 s6, s15
	s_cbranch_execnz .LBB139_1034
.LBB139_593:                            ;   in Loop: Header=BB139_3 Depth=1
	s_or_b32 exec_lo, exec_lo, s6
	s_and_saveexec_b32 s6, s16
	s_cbranch_execnz .LBB139_1035
.LBB139_594:                            ;   in Loop: Header=BB139_3 Depth=1
	s_or_b32 exec_lo, exec_lo, s6
	s_and_saveexec_b32 s6, s17
	s_cbranch_execnz .LBB139_1036
.LBB139_595:                            ;   in Loop: Header=BB139_3 Depth=1
	s_or_b32 exec_lo, exec_lo, s6
	s_and_saveexec_b32 s6, s18
	s_cbranch_execnz .LBB139_1037
.LBB139_596:                            ;   in Loop: Header=BB139_3 Depth=1
	s_or_b32 exec_lo, exec_lo, s6
	s_and_saveexec_b32 s6, s2
	s_cbranch_execnz .LBB139_1038
.LBB139_597:                            ;   in Loop: Header=BB139_3 Depth=1
	s_or_b32 exec_lo, exec_lo, s6
	s_and_saveexec_b32 s6, s13
	s_cbranch_execz .LBB139_599
.LBB139_598:                            ;   in Loop: Header=BB139_3 Depth=1
	ds_load_b64 v[46:47], v53 offset:20288
	ds_load_b64 v[48:49], v1 offset:16696
	s_wait_dscnt 0x0
	v_fmac_f64_e32 v[44:45], v[46:47], v[48:49]
.LBB139_599:                            ;   in Loop: Header=BB139_3 Depth=1
	s_or_b32 exec_lo, exec_lo, s6
	s_delay_alu instid0(VALU_DEP_1)
	v_xor_b32_e32 v45, 0x80000000, v45
.LBB139_600:                            ;   in Loop: Header=BB139_3 Depth=1
	s_or_b32 exec_lo, exec_lo, s8
	s_and_saveexec_b32 s6, s34
; %bb.601:                              ;   in Loop: Header=BB139_3 Depth=1
	ds_store_b64 v61, v[44:45]
; %bb.602:                              ;   in Loop: Header=BB139_3 Depth=1
	s_or_b32 exec_lo, exec_lo, s6
	s_wait_dscnt 0x0
	s_barrier_signal -1
	s_barrier_wait -1
	s_and_saveexec_b32 s6, s35
	s_cbranch_execz .LBB139_604
; %bb.603:                              ;   in Loop: Header=BB139_3 Depth=1
	ds_load_b64 v[46:47], v60 offset:20800
	ds_load_b64 v[48:49], v61
	s_wait_dscnt 0x0
	v_fmac_f64_e32 v[44:45], v[46:47], v[48:49]
.LBB139_604:                            ;   in Loop: Header=BB139_3 Depth=1
	s_or_b32 exec_lo, exec_lo, s6
	s_barrier_signal -1
	s_barrier_wait -1
	s_and_saveexec_b32 s6, s36
; %bb.605:                              ;   in Loop: Header=BB139_3 Depth=1
	ds_store_b64 v61, v[44:45]
; %bb.606:                              ;   in Loop: Header=BB139_3 Depth=1
	s_or_b32 exec_lo, exec_lo, s6
	s_wait_dscnt 0x0
	s_barrier_signal -1
	s_barrier_wait -1
	s_and_saveexec_b32 s6, s37
	s_cbranch_execz .LBB139_608
; %bb.607:                              ;   in Loop: Header=BB139_3 Depth=1
	ds_load_b64 v[46:47], v60 offset:21312
	ds_load_b64 v[48:49], v61
	s_wait_dscnt 0x0
	v_fmac_f64_e32 v[44:45], v[46:47], v[48:49]
.LBB139_608:                            ;   in Loop: Header=BB139_3 Depth=1
	s_or_b32 exec_lo, exec_lo, s6
	s_barrier_signal -1
	s_barrier_wait -1
	;; [unrolled: 19-line block ×7, first 2 shown]
	s_and_saveexec_b32 s6, s47
; %bb.629:                              ;   in Loop: Header=BB139_3 Depth=1
	ds_store_b64 v61, v[44:45]
; %bb.630:                              ;   in Loop: Header=BB139_3 Depth=1
	s_or_b32 exec_lo, exec_lo, s6
	s_wait_dscnt 0x0
	s_barrier_signal -1
	s_barrier_wait -1
	s_barrier_signal -1
	s_barrier_wait -1
	s_and_saveexec_b32 s6, s3
; %bb.631:                              ;   in Loop: Header=BB139_3 Depth=1
	v_xor_b32_e32 v45, 0x80000000, v45
	ds_store_b64 v62, v[44:45] offset:16704
; %bb.632:                              ;   in Loop: Header=BB139_3 Depth=1
	s_or_b32 exec_lo, exec_lo, s6
	s_wait_dscnt 0x0
	s_barrier_signal -1
	s_barrier_wait -1
	s_barrier_signal -1
	s_barrier_wait -1
	s_and_saveexec_b32 s6, s10
; %bb.633:                              ;   in Loop: Header=BB139_3 Depth=1
	v_add_nc_u32_e64 v0, 0x5000, 0
	ds_store_2addr_b64 v0, v[30:31], v[30:31] offset0:40 offset1:105
; %bb.634:                              ;   in Loop: Header=BB139_3 Depth=1
	s_or_b32 exec_lo, exec_lo, s6
	v_mov_b64_e32 v[44:45], 0
	s_wait_dscnt 0x0
	s_barrier_signal -1
	s_barrier_wait -1
	s_and_saveexec_b32 s8, s1
	s_cbranch_execz .LBB139_638
; %bb.635:                              ;   in Loop: Header=BB139_3 Depth=1
	ds_load_b64 v[44:45], v51 offset:20816
	ds_load_b64 v[46:47], v52 offset:20800
	s_wait_dscnt 0x0
	v_fma_f64 v[44:45], v[44:45], v[46:47], 0
	s_and_saveexec_b32 s6, s11
	s_cbranch_execz .LBB139_637
; %bb.636:                              ;   in Loop: Header=BB139_3 Depth=1
	ds_load_b64 v[46:47], v53 offset:21328
	ds_load_b64 v[48:49], v1 offset:20808
	s_wait_dscnt 0x0
	v_fmac_f64_e32 v[44:45], v[46:47], v[48:49]
.LBB139_637:                            ;   in Loop: Header=BB139_3 Depth=1
	s_or_b32 exec_lo, exec_lo, s6
	s_delay_alu instid0(VALU_DEP_1)
	v_xor_b32_e32 v45, 0x80000000, v45
.LBB139_638:                            ;   in Loop: Header=BB139_3 Depth=1
	s_or_b32 exec_lo, exec_lo, s8
	s_and_saveexec_b32 s6, s100
; %bb.639:                              ;   in Loop: Header=BB139_3 Depth=1
	ds_store_b64 v50, v[44:45]
; %bb.640:                              ;   in Loop: Header=BB139_3 Depth=1
	s_or_b32 exec_lo, exec_lo, s6
	s_wait_dscnt 0x0
	s_barrier_signal -1
	s_barrier_wait -1
	s_and_saveexec_b32 s6, s101
	s_cbranch_execz .LBB139_642
; %bb.641:                              ;   in Loop: Header=BB139_3 Depth=1
	ds_load_b64 v[46:47], v1 offset:21848
	ds_load_b64 v[48:49], v50
	s_wait_dscnt 0x0
	v_fmac_f64_e32 v[44:45], v[46:47], v[48:49]
.LBB139_642:                            ;   in Loop: Header=BB139_3 Depth=1
	s_or_b32 exec_lo, exec_lo, s6
	s_barrier_signal -1
	s_barrier_wait -1
	s_and_saveexec_b32 s6, s101
; %bb.643:                              ;   in Loop: Header=BB139_3 Depth=1
	ds_store_b64 v50, v[44:45]
; %bb.644:                              ;   in Loop: Header=BB139_3 Depth=1
	s_or_b32 exec_lo, exec_lo, s6
	s_wait_dscnt 0x0
	s_barrier_signal -1
	s_barrier_wait -1
	s_barrier_signal -1
	s_barrier_wait -1
	s_and_saveexec_b32 s6, s1
; %bb.645:                              ;   in Loop: Header=BB139_3 Depth=1
	v_xor_b32_e32 v45, 0x80000000, v45
	ds_store_b64 v51, v[44:45] offset:20816
; %bb.646:                              ;   in Loop: Header=BB139_3 Depth=1
	s_or_b32 exec_lo, exec_lo, s6
	s_wait_dscnt 0x0
	s_barrier_signal -1
	s_barrier_wait -1
	s_barrier_signal -1
	s_barrier_wait -1
	s_and_saveexec_b32 s6, s10
; %bb.647:                              ;   in Loop: Header=BB139_3 Depth=1
	v_add_nc_u32_e64 v0, 0x5000, 0
	ds_store_2addr_b64 v0, v[30:31], v[30:31] offset0:170 offset1:235
; %bb.648:                              ;   in Loop: Header=BB139_3 Depth=1
	s_or_b32 exec_lo, exec_lo, s6
	v_mov_b64_e32 v[44:45], 0
	s_wait_dscnt 0x0
	s_barrier_signal -1
	s_barrier_wait -1
	s_and_saveexec_b32 s8, s2
	s_cbranch_execz .LBB139_654
; %bb.649:                              ;   in Loop: Header=BB139_3 Depth=1
	ds_load_b64 v[44:45], v57 offset:20832
	ds_load_b64 v[46:47], v54 offset:20800
	s_wait_dscnt 0x0
	v_fma_f64 v[44:45], v[44:45], v[46:47], 0
	s_and_saveexec_b32 s6, s12
	s_cbranch_execnz .LBB139_1039
; %bb.650:                              ;   in Loop: Header=BB139_3 Depth=1
	s_or_b32 exec_lo, exec_lo, s6
	s_and_saveexec_b32 s6, s13
	s_cbranch_execnz .LBB139_1040
.LBB139_651:                            ;   in Loop: Header=BB139_3 Depth=1
	s_or_b32 exec_lo, exec_lo, s6
	s_and_saveexec_b32 s6, s1
	s_cbranch_execz .LBB139_653
.LBB139_652:                            ;   in Loop: Header=BB139_3 Depth=1
	ds_load_b64 v[46:47], v53 offset:22368
	ds_load_b64 v[48:49], v1 offset:20824
	s_wait_dscnt 0x0
	v_fmac_f64_e32 v[44:45], v[46:47], v[48:49]
.LBB139_653:                            ;   in Loop: Header=BB139_3 Depth=1
	s_or_b32 exec_lo, exec_lo, s6
	s_delay_alu instid0(VALU_DEP_1)
	v_xor_b32_e32 v45, 0x80000000, v45
.LBB139_654:                            ;   in Loop: Header=BB139_3 Depth=1
	s_or_b32 exec_lo, exec_lo, s8
	s_and_saveexec_b32 s6, s102
; %bb.655:                              ;   in Loop: Header=BB139_3 Depth=1
	ds_store_b64 v55, v[44:45]
; %bb.656:                              ;   in Loop: Header=BB139_3 Depth=1
	s_or_b32 exec_lo, exec_lo, s6
	s_wait_dscnt 0x0
	s_barrier_signal -1
	s_barrier_wait -1
	s_and_saveexec_b32 s6, s103
	s_cbranch_execz .LBB139_658
; %bb.657:                              ;   in Loop: Header=BB139_3 Depth=1
	ds_load_b64 v[46:47], v56 offset:22880
	ds_load_b64 v[48:49], v55
	s_wait_dscnt 0x0
	v_fmac_f64_e32 v[44:45], v[46:47], v[48:49]
.LBB139_658:                            ;   in Loop: Header=BB139_3 Depth=1
	s_or_b32 exec_lo, exec_lo, s6
	s_barrier_signal -1
	s_barrier_wait -1
	s_and_saveexec_b32 s6, s104
; %bb.659:                              ;   in Loop: Header=BB139_3 Depth=1
	ds_store_b64 v55, v[44:45]
; %bb.660:                              ;   in Loop: Header=BB139_3 Depth=1
	s_or_b32 exec_lo, exec_lo, s6
	s_wait_dscnt 0x0
	s_barrier_signal -1
	s_barrier_wait -1
	s_and_saveexec_b32 s6, vcc_hi
	s_cbranch_execz .LBB139_662
; %bb.661:                              ;   in Loop: Header=BB139_3 Depth=1
	ds_load_b64 v[46:47], v56 offset:23392
	ds_load_b64 v[48:49], v55
	s_wait_dscnt 0x0
	v_fmac_f64_e32 v[44:45], v[46:47], v[48:49]
.LBB139_662:                            ;   in Loop: Header=BB139_3 Depth=1
	s_or_b32 exec_lo, exec_lo, s6
	s_barrier_signal -1
	s_barrier_wait -1
	s_and_saveexec_b32 s6, s31
; %bb.663:                              ;   in Loop: Header=BB139_3 Depth=1
	ds_store_b64 v55, v[44:45]
; %bb.664:                              ;   in Loop: Header=BB139_3 Depth=1
	s_or_b32 exec_lo, exec_lo, s6
	s_wait_dscnt 0x0
	s_barrier_signal -1
	s_barrier_wait -1
	s_and_saveexec_b32 s6, s33
	s_cbranch_execz .LBB139_666
; %bb.665:                              ;   in Loop: Header=BB139_3 Depth=1
	ds_load_b64 v[46:47], v1 offset:23928
	ds_load_b64 v[48:49], v55
	s_wait_dscnt 0x0
	v_fmac_f64_e32 v[44:45], v[46:47], v[48:49]
.LBB139_666:                            ;   in Loop: Header=BB139_3 Depth=1
	s_or_b32 exec_lo, exec_lo, s6
	s_barrier_signal -1
	s_barrier_wait -1
	s_and_saveexec_b32 s6, s33
; %bb.667:                              ;   in Loop: Header=BB139_3 Depth=1
	ds_store_b64 v55, v[44:45]
; %bb.668:                              ;   in Loop: Header=BB139_3 Depth=1
	s_or_b32 exec_lo, exec_lo, s6
	s_wait_dscnt 0x0
	s_barrier_signal -1
	s_barrier_wait -1
	s_barrier_signal -1
	s_barrier_wait -1
	s_and_saveexec_b32 s6, s2
; %bb.669:                              ;   in Loop: Header=BB139_3 Depth=1
	v_xor_b32_e32 v45, 0x80000000, v45
	ds_store_b64 v57, v[44:45] offset:20832
; %bb.670:                              ;   in Loop: Header=BB139_3 Depth=1
	s_or_b32 exec_lo, exec_lo, s6
	s_wait_dscnt 0x0
	s_barrier_signal -1
	s_barrier_wait -1
	s_barrier_signal -1
	s_barrier_wait -1
	s_and_saveexec_b32 s6, s10
; %bb.671:                              ;   in Loop: Header=BB139_3 Depth=1
	v_add_nc_u32_e64 v0, 0x5800, 0
	ds_store_2addr_b64 v0, v[30:31], v[30:31] offset0:44 offset1:109
; %bb.672:                              ;   in Loop: Header=BB139_3 Depth=1
	s_or_b32 exec_lo, exec_lo, s6
	v_mov_b64_e32 v[44:45], 0
	s_wait_dscnt 0x0
	s_barrier_signal -1
	s_barrier_wait -1
	s_and_saveexec_b32 s8, s1
	s_cbranch_execz .LBB139_676
; %bb.673:                              ;   in Loop: Header=BB139_3 Depth=1
	ds_load_b64 v[44:45], v51 offset:22896
	ds_load_b64 v[46:47], v52 offset:22880
	s_wait_dscnt 0x0
	v_fma_f64 v[44:45], v[44:45], v[46:47], 0
	s_and_saveexec_b32 s6, s11
	s_cbranch_execz .LBB139_675
; %bb.674:                              ;   in Loop: Header=BB139_3 Depth=1
	ds_load_b64 v[46:47], v53 offset:23408
	ds_load_b64 v[48:49], v1 offset:22888
	s_wait_dscnt 0x0
	v_fmac_f64_e32 v[44:45], v[46:47], v[48:49]
.LBB139_675:                            ;   in Loop: Header=BB139_3 Depth=1
	s_or_b32 exec_lo, exec_lo, s6
	s_delay_alu instid0(VALU_DEP_1)
	v_xor_b32_e32 v45, 0x80000000, v45
.LBB139_676:                            ;   in Loop: Header=BB139_3 Depth=1
	s_or_b32 exec_lo, exec_lo, s8
	s_and_saveexec_b32 s6, s100
; %bb.677:                              ;   in Loop: Header=BB139_3 Depth=1
	ds_store_b64 v50, v[44:45]
; %bb.678:                              ;   in Loop: Header=BB139_3 Depth=1
	s_or_b32 exec_lo, exec_lo, s6
	s_wait_dscnt 0x0
	s_barrier_signal -1
	s_barrier_wait -1
	s_and_saveexec_b32 s6, s101
	s_cbranch_execz .LBB139_680
; %bb.679:                              ;   in Loop: Header=BB139_3 Depth=1
	ds_load_b64 v[46:47], v1 offset:23928
	ds_load_b64 v[48:49], v50
	s_wait_dscnt 0x0
	v_fmac_f64_e32 v[44:45], v[46:47], v[48:49]
.LBB139_680:                            ;   in Loop: Header=BB139_3 Depth=1
	s_or_b32 exec_lo, exec_lo, s6
	s_barrier_signal -1
	s_barrier_wait -1
	s_and_saveexec_b32 s6, s101
; %bb.681:                              ;   in Loop: Header=BB139_3 Depth=1
	ds_store_b64 v50, v[44:45]
; %bb.682:                              ;   in Loop: Header=BB139_3 Depth=1
	s_or_b32 exec_lo, exec_lo, s6
	s_wait_dscnt 0x0
	s_barrier_signal -1
	s_barrier_wait -1
	s_barrier_signal -1
	s_barrier_wait -1
	s_and_saveexec_b32 s6, s1
; %bb.683:                              ;   in Loop: Header=BB139_3 Depth=1
	v_xor_b32_e32 v45, 0x80000000, v45
	ds_store_b64 v51, v[44:45] offset:22896
; %bb.684:                              ;   in Loop: Header=BB139_3 Depth=1
	s_or_b32 exec_lo, exec_lo, s6
	s_wait_dscnt 0x0
	s_barrier_signal -1
	s_barrier_wait -1
	s_barrier_signal -1
	s_barrier_wait -1
	s_and_saveexec_b32 s6, s10
; %bb.685:                              ;   in Loop: Header=BB139_3 Depth=1
	v_add_nc_u32_e64 v0, 0x5800, 0
	ds_store_2addr_b64 v0, v[30:31], v[30:31] offset0:174 offset1:239
; %bb.686:                              ;   in Loop: Header=BB139_3 Depth=1
	s_or_b32 exec_lo, exec_lo, s6
	v_mov_b64_e32 v[44:45], 0
	s_wait_dscnt 0x0
	s_barrier_signal -1
	s_barrier_wait -1
	s_and_saveexec_b32 s65, s4
	s_cbranch_execz .LBB139_714
; %bb.687:                              ;   in Loop: Header=BB139_3 Depth=1
	ds_load_b64 v[44:45], v67 offset:16768
	ds_load_b64 v[46:47], v64 offset:16640
	s_wait_dscnt 0x0
	v_fma_f64 v[44:45], v[44:45], v[46:47], 0
	s_mov_b32 s6, exec_lo
	v_readlane_b32 s8, v89, 20
	s_and_b32 s8, s6, s8
	s_delay_alu instid0(SALU_CYCLE_1)
	s_mov_b32 exec_lo, s8
	s_cbranch_execz .LBB139_689
; %bb.688:                              ;   in Loop: Header=BB139_3 Depth=1
	ds_load_b64 v[46:47], v68 offset:17280
	ds_load_b64 v[48:49], v64 offset:16648
	s_wait_dscnt 0x0
	v_fmac_f64_e32 v[44:45], v[46:47], v[48:49]
.LBB139_689:                            ;   in Loop: Header=BB139_3 Depth=1
	s_or_b32 exec_lo, exec_lo, s6
	s_delay_alu instid0(SALU_CYCLE_1) | instskip(SKIP_2) | instid1(SALU_CYCLE_1)
	s_mov_b32 s6, exec_lo
	v_readlane_b32 s8, v89, 21
	s_and_b32 s8, s6, s8
	s_mov_b32 exec_lo, s8
	s_cbranch_execz .LBB139_691
; %bb.690:                              ;   in Loop: Header=BB139_3 Depth=1
	ds_load_b64 v[46:47], v68 offset:17792
	ds_load_b64 v[48:49], v64 offset:16656
	s_wait_dscnt 0x0
	v_fmac_f64_e32 v[44:45], v[46:47], v[48:49]
.LBB139_691:                            ;   in Loop: Header=BB139_3 Depth=1
	s_or_b32 exec_lo, exec_lo, s6
	s_delay_alu instid0(SALU_CYCLE_1) | instskip(SKIP_2) | instid1(SALU_CYCLE_1)
	s_mov_b32 s6, exec_lo
	v_readlane_b32 s8, v89, 22
	s_and_b32 s8, s6, s8
	;; [unrolled: 13-line block ×10, first 2 shown]
	s_mov_b32 exec_lo, s8
	s_cbranch_execnz .LBB139_1041
; %bb.708:                              ;   in Loop: Header=BB139_3 Depth=1
	s_or_b32 exec_lo, exec_lo, s6
	s_and_saveexec_b32 s6, s3
	s_cbranch_execnz .LBB139_1042
.LBB139_709:                            ;   in Loop: Header=BB139_3 Depth=1
	s_or_b32 exec_lo, exec_lo, s6
	s_and_saveexec_b32 s6, s15
	s_cbranch_execnz .LBB139_1043
.LBB139_710:                            ;   in Loop: Header=BB139_3 Depth=1
	s_or_b32 exec_lo, exec_lo, s6
	s_and_saveexec_b32 s6, s17
	s_cbranch_execnz .LBB139_1044
.LBB139_711:                            ;   in Loop: Header=BB139_3 Depth=1
	s_or_b32 exec_lo, exec_lo, s6
	s_and_saveexec_b32 s6, s2
	s_cbranch_execz .LBB139_713
.LBB139_712:                            ;   in Loop: Header=BB139_3 Depth=1
	ds_load_b64 v[46:47], v53 offset:24448
	ds_load_b64 v[48:49], v1 offset:16760
	s_wait_dscnt 0x0
	v_fmac_f64_e32 v[44:45], v[46:47], v[48:49]
.LBB139_713:                            ;   in Loop: Header=BB139_3 Depth=1
	s_or_b32 exec_lo, exec_lo, s6
	s_delay_alu instid0(VALU_DEP_1)
	v_xor_b32_e32 v45, 0x80000000, v45
.LBB139_714:                            ;   in Loop: Header=BB139_3 Depth=1
	s_or_b32 exec_lo, exec_lo, s65
	s_delay_alu instid0(SALU_CYCLE_1) | instskip(SKIP_2) | instid1(SALU_CYCLE_1)
	s_mov_b32 s6, exec_lo
	v_readlane_b32 s8, v89, 2
	s_and_b32 s8, s6, s8
	s_mov_b32 exec_lo, s8
; %bb.715:                              ;   in Loop: Header=BB139_3 Depth=1
	ds_store_b64 v66, v[44:45]
; %bb.716:                              ;   in Loop: Header=BB139_3 Depth=1
	s_or_b32 exec_lo, exec_lo, s6
	s_wait_dscnt 0x0
	s_barrier_signal -1
	s_barrier_wait -1
	s_mov_b32 s6, exec_lo
	v_readlane_b32 s8, v89, 3
	s_and_b32 s8, s6, s8
	s_delay_alu instid0(SALU_CYCLE_1)
	s_mov_b32 exec_lo, s8
	s_cbranch_execz .LBB139_718
; %bb.717:                              ;   in Loop: Header=BB139_3 Depth=1
	ds_load_b64 v[46:47], v65 offset:24960
	ds_load_b64 v[48:49], v66
	s_wait_dscnt 0x0
	v_fmac_f64_e32 v[44:45], v[46:47], v[48:49]
.LBB139_718:                            ;   in Loop: Header=BB139_3 Depth=1
	s_or_b32 exec_lo, exec_lo, s6
	s_barrier_signal -1
	s_barrier_wait -1
	s_mov_b32 s6, exec_lo
	v_readlane_b32 s8, v89, 4
	s_and_b32 s8, s6, s8
	s_delay_alu instid0(SALU_CYCLE_1)
	s_mov_b32 exec_lo, s8
; %bb.719:                              ;   in Loop: Header=BB139_3 Depth=1
	ds_store_b64 v66, v[44:45]
; %bb.720:                              ;   in Loop: Header=BB139_3 Depth=1
	s_or_b32 exec_lo, exec_lo, s6
	s_wait_dscnt 0x0
	s_barrier_signal -1
	s_barrier_wait -1
	s_mov_b32 s6, exec_lo
	v_readlane_b32 s8, v89, 5
	s_and_b32 s8, s6, s8
	s_delay_alu instid0(SALU_CYCLE_1)
	s_mov_b32 exec_lo, s8
	s_cbranch_execz .LBB139_722
; %bb.721:                              ;   in Loop: Header=BB139_3 Depth=1
	ds_load_b64 v[46:47], v65 offset:25472
	ds_load_b64 v[48:49], v66
	s_wait_dscnt 0x0
	v_fmac_f64_e32 v[44:45], v[46:47], v[48:49]
.LBB139_722:                            ;   in Loop: Header=BB139_3 Depth=1
	s_or_b32 exec_lo, exec_lo, s6
	s_barrier_signal -1
	s_barrier_wait -1
	s_mov_b32 s6, exec_lo
	v_readlane_b32 s8, v89, 6
	s_and_b32 s8, s6, s8
	s_delay_alu instid0(SALU_CYCLE_1)
	s_mov_b32 exec_lo, s8
; %bb.723:                              ;   in Loop: Header=BB139_3 Depth=1
	ds_store_b64 v66, v[44:45]
; %bb.724:                              ;   in Loop: Header=BB139_3 Depth=1
	s_or_b32 exec_lo, exec_lo, s6
	s_wait_dscnt 0x0
	s_barrier_signal -1
	s_barrier_wait -1
	s_and_saveexec_b32 s6, s53
	s_cbranch_execz .LBB139_726
; %bb.725:                              ;   in Loop: Header=BB139_3 Depth=1
	ds_load_b64 v[46:47], v65 offset:25984
	ds_load_b64 v[48:49], v66
	s_wait_dscnt 0x0
	v_fmac_f64_e32 v[44:45], v[46:47], v[48:49]
.LBB139_726:                            ;   in Loop: Header=BB139_3 Depth=1
	s_or_b32 exec_lo, exec_lo, s6
	s_barrier_signal -1
	s_barrier_wait -1
	s_and_saveexec_b32 s6, s54
; %bb.727:                              ;   in Loop: Header=BB139_3 Depth=1
	ds_store_b64 v66, v[44:45]
; %bb.728:                              ;   in Loop: Header=BB139_3 Depth=1
	s_or_b32 exec_lo, exec_lo, s6
	s_wait_dscnt 0x0
	s_barrier_signal -1
	s_barrier_wait -1
	s_and_saveexec_b32 s6, s19
	s_cbranch_execz .LBB139_730
; %bb.729:                              ;   in Loop: Header=BB139_3 Depth=1
	ds_load_b64 v[46:47], v65 offset:26496
	ds_load_b64 v[48:49], v66
	s_wait_dscnt 0x0
	v_fmac_f64_e32 v[44:45], v[46:47], v[48:49]
.LBB139_730:                            ;   in Loop: Header=BB139_3 Depth=1
	s_or_b32 exec_lo, exec_lo, s6
	s_barrier_signal -1
	s_barrier_wait -1
	s_and_saveexec_b32 s6, s21
; %bb.731:                              ;   in Loop: Header=BB139_3 Depth=1
	ds_store_b64 v66, v[44:45]
; %bb.732:                              ;   in Loop: Header=BB139_3 Depth=1
	s_or_b32 exec_lo, exec_lo, s6
	s_wait_dscnt 0x0
	s_barrier_signal -1
	s_barrier_wait -1
	s_and_saveexec_b32 s6, s23
	s_cbranch_execz .LBB139_734
; %bb.733:                              ;   in Loop: Header=BB139_3 Depth=1
	ds_load_b64 v[46:47], v65 offset:27008
	ds_load_b64 v[48:49], v66
	s_wait_dscnt 0x0
	v_fmac_f64_e32 v[44:45], v[46:47], v[48:49]
.LBB139_734:                            ;   in Loop: Header=BB139_3 Depth=1
	s_or_b32 exec_lo, exec_lo, s6
	s_barrier_signal -1
	s_barrier_wait -1
	s_and_saveexec_b32 s6, s25
; %bb.735:                              ;   in Loop: Header=BB139_3 Depth=1
	ds_store_b64 v66, v[44:45]
; %bb.736:                              ;   in Loop: Header=BB139_3 Depth=1
	s_or_b32 exec_lo, exec_lo, s6
	s_wait_dscnt 0x0
	s_barrier_signal -1
	s_barrier_wait -1
	s_and_saveexec_b32 s6, s27
	s_cbranch_execz .LBB139_738
; %bb.737:                              ;   in Loop: Header=BB139_3 Depth=1
	ds_load_b64 v[46:47], v65 offset:27520
	ds_load_b64 v[48:49], v66
	s_wait_dscnt 0x0
	v_fmac_f64_e32 v[44:45], v[46:47], v[48:49]
.LBB139_738:                            ;   in Loop: Header=BB139_3 Depth=1
	s_or_b32 exec_lo, exec_lo, s6
	s_barrier_signal -1
	s_barrier_wait -1
	s_and_saveexec_b32 s6, s29
; %bb.739:                              ;   in Loop: Header=BB139_3 Depth=1
	ds_store_b64 v66, v[44:45]
; %bb.740:                              ;   in Loop: Header=BB139_3 Depth=1
	s_or_b32 exec_lo, exec_lo, s6
	s_wait_dscnt 0x0
	s_barrier_signal -1
	s_barrier_wait -1
	s_and_saveexec_b32 s6, s57
	s_cbranch_execz .LBB139_742
; %bb.741:                              ;   in Loop: Header=BB139_3 Depth=1
	ds_load_b64 v[46:47], v65 offset:28032
	ds_load_b64 v[48:49], v66
	s_wait_dscnt 0x0
	v_fmac_f64_e32 v[44:45], v[46:47], v[48:49]
.LBB139_742:                            ;   in Loop: Header=BB139_3 Depth=1
	s_or_b32 exec_lo, exec_lo, s6
	s_barrier_signal -1
	s_barrier_wait -1
	s_and_saveexec_b32 s6, s58
; %bb.743:                              ;   in Loop: Header=BB139_3 Depth=1
	ds_store_b64 v66, v[44:45]
; %bb.744:                              ;   in Loop: Header=BB139_3 Depth=1
	s_or_b32 exec_lo, exec_lo, s6
	s_wait_dscnt 0x0
	s_barrier_signal -1
	s_barrier_wait -1
	s_and_saveexec_b32 s6, s59
	s_cbranch_execz .LBB139_746
; %bb.745:                              ;   in Loop: Header=BB139_3 Depth=1
	ds_load_b64 v[46:47], v65 offset:28544
	ds_load_b64 v[48:49], v66
	s_wait_dscnt 0x0
	v_fmac_f64_e32 v[44:45], v[46:47], v[48:49]
.LBB139_746:                            ;   in Loop: Header=BB139_3 Depth=1
	s_or_b32 exec_lo, exec_lo, s6
	s_barrier_signal -1
	s_barrier_wait -1
	s_and_saveexec_b32 s6, s60
; %bb.747:                              ;   in Loop: Header=BB139_3 Depth=1
	ds_store_b64 v66, v[44:45]
; %bb.748:                              ;   in Loop: Header=BB139_3 Depth=1
	s_or_b32 exec_lo, exec_lo, s6
	s_wait_dscnt 0x0
	s_barrier_signal -1
	s_barrier_wait -1
	s_and_saveexec_b32 s6, s61
	s_cbranch_execz .LBB139_750
; %bb.749:                              ;   in Loop: Header=BB139_3 Depth=1
	ds_load_b64 v[46:47], v65 offset:29056
	ds_load_b64 v[48:49], v66
	s_wait_dscnt 0x0
	v_fmac_f64_e32 v[44:45], v[46:47], v[48:49]
.LBB139_750:                            ;   in Loop: Header=BB139_3 Depth=1
	s_or_b32 exec_lo, exec_lo, s6
	s_barrier_signal -1
	s_barrier_wait -1
	s_and_saveexec_b32 s6, s62
; %bb.751:                              ;   in Loop: Header=BB139_3 Depth=1
	ds_store_b64 v66, v[44:45]
; %bb.752:                              ;   in Loop: Header=BB139_3 Depth=1
	s_or_b32 exec_lo, exec_lo, s6
	s_wait_dscnt 0x0
	s_barrier_signal -1
	s_barrier_wait -1
	s_and_saveexec_b32 s6, s63
	s_cbranch_execz .LBB139_754
; %bb.753:                              ;   in Loop: Header=BB139_3 Depth=1
	ds_load_b64 v[46:47], v65 offset:29568
	ds_load_b64 v[48:49], v66
	s_wait_dscnt 0x0
	v_fmac_f64_e32 v[44:45], v[46:47], v[48:49]
.LBB139_754:                            ;   in Loop: Header=BB139_3 Depth=1
	s_or_b32 exec_lo, exec_lo, s6
	s_barrier_signal -1
	s_barrier_wait -1
	s_and_saveexec_b32 s6, s64
; %bb.755:                              ;   in Loop: Header=BB139_3 Depth=1
	ds_store_b64 v66, v[44:45]
; %bb.756:                              ;   in Loop: Header=BB139_3 Depth=1
	s_or_b32 exec_lo, exec_lo, s6
	s_wait_dscnt 0x0
	s_barrier_signal -1
	s_barrier_wait -1
	s_and_saveexec_b32 s6, s20
	s_cbranch_execz .LBB139_758
; %bb.757:                              ;   in Loop: Header=BB139_3 Depth=1
	ds_load_b64 v[46:47], v65 offset:30080
	ds_load_b64 v[48:49], v66
	s_wait_dscnt 0x0
	v_fmac_f64_e32 v[44:45], v[46:47], v[48:49]
.LBB139_758:                            ;   in Loop: Header=BB139_3 Depth=1
	s_or_b32 exec_lo, exec_lo, s6
	s_barrier_signal -1
	s_barrier_wait -1
	s_and_saveexec_b32 s6, s22
; %bb.759:                              ;   in Loop: Header=BB139_3 Depth=1
	ds_store_b64 v66, v[44:45]
; %bb.760:                              ;   in Loop: Header=BB139_3 Depth=1
	s_or_b32 exec_lo, exec_lo, s6
	s_wait_dscnt 0x0
	s_barrier_signal -1
	s_barrier_wait -1
	s_and_saveexec_b32 s6, s24
	s_cbranch_execz .LBB139_762
; %bb.761:                              ;   in Loop: Header=BB139_3 Depth=1
	ds_load_b64 v[46:47], v65 offset:30592
	ds_load_b64 v[48:49], v66
	s_wait_dscnt 0x0
	v_fmac_f64_e32 v[44:45], v[46:47], v[48:49]
.LBB139_762:                            ;   in Loop: Header=BB139_3 Depth=1
	s_or_b32 exec_lo, exec_lo, s6
	s_barrier_signal -1
	s_barrier_wait -1
	s_and_saveexec_b32 s6, s26
; %bb.763:                              ;   in Loop: Header=BB139_3 Depth=1
	ds_store_b64 v66, v[44:45]
; %bb.764:                              ;   in Loop: Header=BB139_3 Depth=1
	s_or_b32 exec_lo, exec_lo, s6
	s_wait_dscnt 0x0
	s_barrier_signal -1
	s_barrier_wait -1
	s_and_saveexec_b32 s6, s28
	s_cbranch_execz .LBB139_766
; %bb.765:                              ;   in Loop: Header=BB139_3 Depth=1
	ds_load_b64 v[46:47], v65 offset:31104
	ds_load_b64 v[48:49], v66
	s_wait_dscnt 0x0
	v_fmac_f64_e32 v[44:45], v[46:47], v[48:49]
.LBB139_766:                            ;   in Loop: Header=BB139_3 Depth=1
	s_or_b32 exec_lo, exec_lo, s6
	s_barrier_signal -1
	s_barrier_wait -1
	s_and_saveexec_b32 s6, s97
; %bb.767:                              ;   in Loop: Header=BB139_3 Depth=1
	ds_store_b64 v66, v[44:45]
; %bb.768:                              ;   in Loop: Header=BB139_3 Depth=1
	s_or_b32 exec_lo, exec_lo, s6
	s_wait_dscnt 0x0
	s_barrier_signal -1
	s_barrier_wait -1
	s_and_saveexec_b32 s6, s94
	s_cbranch_execz .LBB139_770
; %bb.769:                              ;   in Loop: Header=BB139_3 Depth=1
	ds_load_b64 v[46:47], v65 offset:31616
	ds_load_b64 v[48:49], v66
	s_wait_dscnt 0x0
	v_fmac_f64_e32 v[44:45], v[46:47], v[48:49]
.LBB139_770:                            ;   in Loop: Header=BB139_3 Depth=1
	s_or_b32 exec_lo, exec_lo, s6
	s_barrier_signal -1
	s_barrier_wait -1
	s_and_saveexec_b32 s6, s48
; %bb.771:                              ;   in Loop: Header=BB139_3 Depth=1
	ds_store_b64 v66, v[44:45]
; %bb.772:                              ;   in Loop: Header=BB139_3 Depth=1
	s_or_b32 exec_lo, exec_lo, s6
	s_wait_dscnt 0x0
	s_barrier_signal -1
	s_barrier_wait -1
	s_and_saveexec_b32 s6, s49
	s_cbranch_execz .LBB139_774
; %bb.773:                              ;   in Loop: Header=BB139_3 Depth=1
	ds_load_b64 v[46:47], v1 offset:32248
	ds_load_b64 v[48:49], v66
	s_wait_dscnt 0x0
	v_fmac_f64_e32 v[44:45], v[46:47], v[48:49]
.LBB139_774:                            ;   in Loop: Header=BB139_3 Depth=1
	s_or_b32 exec_lo, exec_lo, s6
	s_barrier_signal -1
	s_barrier_wait -1
	s_and_saveexec_b32 s6, s49
; %bb.775:                              ;   in Loop: Header=BB139_3 Depth=1
	ds_store_b64 v66, v[44:45]
; %bb.776:                              ;   in Loop: Header=BB139_3 Depth=1
	s_or_b32 exec_lo, exec_lo, s6
	s_wait_dscnt 0x0
	s_barrier_signal -1
	s_barrier_wait -1
	s_barrier_signal -1
	s_barrier_wait -1
	s_and_saveexec_b32 s6, s4
; %bb.777:                              ;   in Loop: Header=BB139_3 Depth=1
	v_xor_b32_e32 v45, 0x80000000, v45
	ds_store_b64 v67, v[44:45] offset:16768
; %bb.778:                              ;   in Loop: Header=BB139_3 Depth=1
	s_or_b32 exec_lo, exec_lo, s6
	s_wait_dscnt 0x0
	s_barrier_signal -1
	s_barrier_wait -1
	s_barrier_signal -1
	s_barrier_wait -1
	s_and_saveexec_b32 s6, s10
; %bb.779:                              ;   in Loop: Header=BB139_3 Depth=1
	v_add_nc_u32_e64 v0, 0x6000, 0
	ds_store_2addr_b64 v0, v[30:31], v[30:31] offset0:48 offset1:113
; %bb.780:                              ;   in Loop: Header=BB139_3 Depth=1
	s_or_b32 exec_lo, exec_lo, s6
	v_mov_b64_e32 v[44:45], 0
	s_wait_dscnt 0x0
	s_barrier_signal -1
	s_barrier_wait -1
	s_and_saveexec_b32 s8, s1
	s_cbranch_execz .LBB139_784
; %bb.781:                              ;   in Loop: Header=BB139_3 Depth=1
	ds_load_b64 v[44:45], v51 offset:24976
	ds_load_b64 v[46:47], v52 offset:24960
	s_wait_dscnt 0x0
	v_fma_f64 v[44:45], v[44:45], v[46:47], 0
	s_and_saveexec_b32 s6, s11
	s_cbranch_execz .LBB139_783
; %bb.782:                              ;   in Loop: Header=BB139_3 Depth=1
	ds_load_b64 v[46:47], v53 offset:25488
	ds_load_b64 v[48:49], v1 offset:24968
	s_wait_dscnt 0x0
	v_fmac_f64_e32 v[44:45], v[46:47], v[48:49]
.LBB139_783:                            ;   in Loop: Header=BB139_3 Depth=1
	s_or_b32 exec_lo, exec_lo, s6
	s_delay_alu instid0(VALU_DEP_1)
	v_xor_b32_e32 v45, 0x80000000, v45
.LBB139_784:                            ;   in Loop: Header=BB139_3 Depth=1
	s_or_b32 exec_lo, exec_lo, s8
	s_and_saveexec_b32 s6, s100
; %bb.785:                              ;   in Loop: Header=BB139_3 Depth=1
	ds_store_b64 v50, v[44:45]
; %bb.786:                              ;   in Loop: Header=BB139_3 Depth=1
	s_or_b32 exec_lo, exec_lo, s6
	s_wait_dscnt 0x0
	s_barrier_signal -1
	s_barrier_wait -1
	s_and_saveexec_b32 s6, s101
	s_cbranch_execz .LBB139_788
; %bb.787:                              ;   in Loop: Header=BB139_3 Depth=1
	ds_load_b64 v[46:47], v1 offset:26008
	ds_load_b64 v[48:49], v50
	s_wait_dscnt 0x0
	v_fmac_f64_e32 v[44:45], v[46:47], v[48:49]
.LBB139_788:                            ;   in Loop: Header=BB139_3 Depth=1
	s_or_b32 exec_lo, exec_lo, s6
	s_barrier_signal -1
	s_barrier_wait -1
	s_and_saveexec_b32 s6, s101
; %bb.789:                              ;   in Loop: Header=BB139_3 Depth=1
	ds_store_b64 v50, v[44:45]
; %bb.790:                              ;   in Loop: Header=BB139_3 Depth=1
	s_or_b32 exec_lo, exec_lo, s6
	s_wait_dscnt 0x0
	s_barrier_signal -1
	s_barrier_wait -1
	s_barrier_signal -1
	s_barrier_wait -1
	s_and_saveexec_b32 s6, s1
; %bb.791:                              ;   in Loop: Header=BB139_3 Depth=1
	v_xor_b32_e32 v45, 0x80000000, v45
	ds_store_b64 v51, v[44:45] offset:24976
; %bb.792:                              ;   in Loop: Header=BB139_3 Depth=1
	s_or_b32 exec_lo, exec_lo, s6
	s_wait_dscnt 0x0
	s_barrier_signal -1
	s_barrier_wait -1
	s_barrier_signal -1
	s_barrier_wait -1
	s_and_saveexec_b32 s6, s10
; %bb.793:                              ;   in Loop: Header=BB139_3 Depth=1
	v_add_nc_u32_e64 v0, 0x6000, 0
	ds_store_2addr_b64 v0, v[30:31], v[30:31] offset0:178 offset1:243
; %bb.794:                              ;   in Loop: Header=BB139_3 Depth=1
	s_or_b32 exec_lo, exec_lo, s6
	v_mov_b64_e32 v[44:45], 0
	s_wait_dscnt 0x0
	s_barrier_signal -1
	s_barrier_wait -1
	s_and_saveexec_b32 s8, s2
	s_cbranch_execz .LBB139_800
; %bb.795:                              ;   in Loop: Header=BB139_3 Depth=1
	ds_load_b64 v[44:45], v57 offset:24992
	ds_load_b64 v[46:47], v54 offset:24960
	s_wait_dscnt 0x0
	v_fma_f64 v[44:45], v[44:45], v[46:47], 0
	s_and_saveexec_b32 s6, s12
	s_cbranch_execnz .LBB139_1045
; %bb.796:                              ;   in Loop: Header=BB139_3 Depth=1
	s_or_b32 exec_lo, exec_lo, s6
	s_and_saveexec_b32 s6, s13
	s_cbranch_execnz .LBB139_1046
.LBB139_797:                            ;   in Loop: Header=BB139_3 Depth=1
	s_or_b32 exec_lo, exec_lo, s6
	s_and_saveexec_b32 s6, s1
	s_cbranch_execz .LBB139_799
.LBB139_798:                            ;   in Loop: Header=BB139_3 Depth=1
	ds_load_b64 v[46:47], v53 offset:26528
	ds_load_b64 v[48:49], v1 offset:24984
	s_wait_dscnt 0x0
	v_fmac_f64_e32 v[44:45], v[46:47], v[48:49]
.LBB139_799:                            ;   in Loop: Header=BB139_3 Depth=1
	s_or_b32 exec_lo, exec_lo, s6
	s_delay_alu instid0(VALU_DEP_1)
	v_xor_b32_e32 v45, 0x80000000, v45
.LBB139_800:                            ;   in Loop: Header=BB139_3 Depth=1
	s_or_b32 exec_lo, exec_lo, s8
	s_and_saveexec_b32 s6, s102
; %bb.801:                              ;   in Loop: Header=BB139_3 Depth=1
	ds_store_b64 v55, v[44:45]
; %bb.802:                              ;   in Loop: Header=BB139_3 Depth=1
	s_or_b32 exec_lo, exec_lo, s6
	s_wait_dscnt 0x0
	s_barrier_signal -1
	s_barrier_wait -1
	s_and_saveexec_b32 s6, s103
	s_cbranch_execz .LBB139_804
; %bb.803:                              ;   in Loop: Header=BB139_3 Depth=1
	ds_load_b64 v[46:47], v56 offset:27040
	ds_load_b64 v[48:49], v55
	s_wait_dscnt 0x0
	v_fmac_f64_e32 v[44:45], v[46:47], v[48:49]
.LBB139_804:                            ;   in Loop: Header=BB139_3 Depth=1
	s_or_b32 exec_lo, exec_lo, s6
	s_barrier_signal -1
	s_barrier_wait -1
	s_and_saveexec_b32 s6, s104
; %bb.805:                              ;   in Loop: Header=BB139_3 Depth=1
	ds_store_b64 v55, v[44:45]
; %bb.806:                              ;   in Loop: Header=BB139_3 Depth=1
	s_or_b32 exec_lo, exec_lo, s6
	s_wait_dscnt 0x0
	s_barrier_signal -1
	s_barrier_wait -1
	s_and_saveexec_b32 s6, vcc_hi
	s_cbranch_execz .LBB139_808
; %bb.807:                              ;   in Loop: Header=BB139_3 Depth=1
	ds_load_b64 v[46:47], v56 offset:27552
	ds_load_b64 v[48:49], v55
	s_wait_dscnt 0x0
	v_fmac_f64_e32 v[44:45], v[46:47], v[48:49]
.LBB139_808:                            ;   in Loop: Header=BB139_3 Depth=1
	s_or_b32 exec_lo, exec_lo, s6
	s_barrier_signal -1
	s_barrier_wait -1
	s_and_saveexec_b32 s6, s31
; %bb.809:                              ;   in Loop: Header=BB139_3 Depth=1
	ds_store_b64 v55, v[44:45]
; %bb.810:                              ;   in Loop: Header=BB139_3 Depth=1
	s_or_b32 exec_lo, exec_lo, s6
	s_wait_dscnt 0x0
	s_barrier_signal -1
	s_barrier_wait -1
	s_and_saveexec_b32 s6, s33
	s_cbranch_execz .LBB139_812
; %bb.811:                              ;   in Loop: Header=BB139_3 Depth=1
	ds_load_b64 v[46:47], v1 offset:28088
	ds_load_b64 v[48:49], v55
	s_wait_dscnt 0x0
	v_fmac_f64_e32 v[44:45], v[46:47], v[48:49]
.LBB139_812:                            ;   in Loop: Header=BB139_3 Depth=1
	s_or_b32 exec_lo, exec_lo, s6
	s_barrier_signal -1
	s_barrier_wait -1
	s_and_saveexec_b32 s6, s33
; %bb.813:                              ;   in Loop: Header=BB139_3 Depth=1
	ds_store_b64 v55, v[44:45]
; %bb.814:                              ;   in Loop: Header=BB139_3 Depth=1
	s_or_b32 exec_lo, exec_lo, s6
	s_wait_dscnt 0x0
	s_barrier_signal -1
	s_barrier_wait -1
	s_barrier_signal -1
	s_barrier_wait -1
	s_and_saveexec_b32 s6, s2
; %bb.815:                              ;   in Loop: Header=BB139_3 Depth=1
	v_xor_b32_e32 v45, 0x80000000, v45
	ds_store_b64 v57, v[44:45] offset:24992
; %bb.816:                              ;   in Loop: Header=BB139_3 Depth=1
	s_or_b32 exec_lo, exec_lo, s6
	s_wait_dscnt 0x0
	s_barrier_signal -1
	s_barrier_wait -1
	s_barrier_signal -1
	s_barrier_wait -1
	s_and_saveexec_b32 s6, s10
; %bb.817:                              ;   in Loop: Header=BB139_3 Depth=1
	v_add_nc_u32_e64 v0, 0x6800, 0
	ds_store_2addr_b64 v0, v[30:31], v[30:31] offset0:52 offset1:117
; %bb.818:                              ;   in Loop: Header=BB139_3 Depth=1
	s_or_b32 exec_lo, exec_lo, s6
	v_mov_b64_e32 v[44:45], 0
	s_wait_dscnt 0x0
	s_barrier_signal -1
	s_barrier_wait -1
	s_and_saveexec_b32 s8, s1
	s_cbranch_execz .LBB139_822
; %bb.819:                              ;   in Loop: Header=BB139_3 Depth=1
	ds_load_b64 v[44:45], v51 offset:27056
	ds_load_b64 v[46:47], v52 offset:27040
	s_wait_dscnt 0x0
	v_fma_f64 v[44:45], v[44:45], v[46:47], 0
	s_and_saveexec_b32 s6, s11
	s_cbranch_execz .LBB139_821
; %bb.820:                              ;   in Loop: Header=BB139_3 Depth=1
	ds_load_b64 v[46:47], v53 offset:27568
	ds_load_b64 v[48:49], v1 offset:27048
	s_wait_dscnt 0x0
	v_fmac_f64_e32 v[44:45], v[46:47], v[48:49]
.LBB139_821:                            ;   in Loop: Header=BB139_3 Depth=1
	s_or_b32 exec_lo, exec_lo, s6
	s_delay_alu instid0(VALU_DEP_1)
	v_xor_b32_e32 v45, 0x80000000, v45
.LBB139_822:                            ;   in Loop: Header=BB139_3 Depth=1
	s_or_b32 exec_lo, exec_lo, s8
	s_and_saveexec_b32 s6, s100
; %bb.823:                              ;   in Loop: Header=BB139_3 Depth=1
	ds_store_b64 v50, v[44:45]
; %bb.824:                              ;   in Loop: Header=BB139_3 Depth=1
	s_or_b32 exec_lo, exec_lo, s6
	s_wait_dscnt 0x0
	s_barrier_signal -1
	s_barrier_wait -1
	s_and_saveexec_b32 s6, s101
	s_cbranch_execz .LBB139_826
; %bb.825:                              ;   in Loop: Header=BB139_3 Depth=1
	ds_load_b64 v[46:47], v1 offset:28088
	ds_load_b64 v[48:49], v50
	s_wait_dscnt 0x0
	v_fmac_f64_e32 v[44:45], v[46:47], v[48:49]
.LBB139_826:                            ;   in Loop: Header=BB139_3 Depth=1
	s_or_b32 exec_lo, exec_lo, s6
	s_barrier_signal -1
	s_barrier_wait -1
	s_and_saveexec_b32 s6, s101
; %bb.827:                              ;   in Loop: Header=BB139_3 Depth=1
	ds_store_b64 v50, v[44:45]
; %bb.828:                              ;   in Loop: Header=BB139_3 Depth=1
	s_or_b32 exec_lo, exec_lo, s6
	s_wait_dscnt 0x0
	s_barrier_signal -1
	s_barrier_wait -1
	s_barrier_signal -1
	s_barrier_wait -1
	s_and_saveexec_b32 s6, s1
; %bb.829:                              ;   in Loop: Header=BB139_3 Depth=1
	v_xor_b32_e32 v45, 0x80000000, v45
	ds_store_b64 v51, v[44:45] offset:27056
; %bb.830:                              ;   in Loop: Header=BB139_3 Depth=1
	s_or_b32 exec_lo, exec_lo, s6
	s_wait_dscnt 0x0
	s_barrier_signal -1
	s_barrier_wait -1
	s_barrier_signal -1
	s_barrier_wait -1
	s_and_saveexec_b32 s6, s10
; %bb.831:                              ;   in Loop: Header=BB139_3 Depth=1
	v_add_nc_u32_e64 v0, 0x6800, 0
	ds_store_2addr_b64 v0, v[30:31], v[30:31] offset0:182 offset1:247
; %bb.832:                              ;   in Loop: Header=BB139_3 Depth=1
	s_or_b32 exec_lo, exec_lo, s6
	v_mov_b64_e32 v[44:45], 0
	s_wait_dscnt 0x0
	s_barrier_signal -1
	s_barrier_wait -1
	s_and_saveexec_b32 s8, s3
	s_cbranch_execz .LBB139_842
; %bb.833:                              ;   in Loop: Header=BB139_3 Depth=1
	ds_load_b64 v[44:45], v62 offset:25024
	ds_load_b64 v[46:47], v59 offset:24960
	s_wait_dscnt 0x0
	v_fma_f64 v[44:45], v[44:45], v[46:47], 0
	s_and_saveexec_b32 s6, s14
	s_cbranch_execnz .LBB139_1047
; %bb.834:                              ;   in Loop: Header=BB139_3 Depth=1
	s_or_b32 exec_lo, exec_lo, s6
	s_and_saveexec_b32 s6, s15
	s_cbranch_execnz .LBB139_1048
.LBB139_835:                            ;   in Loop: Header=BB139_3 Depth=1
	s_or_b32 exec_lo, exec_lo, s6
	s_and_saveexec_b32 s6, s16
	s_cbranch_execnz .LBB139_1049
.LBB139_836:                            ;   in Loop: Header=BB139_3 Depth=1
	s_or_b32 exec_lo, exec_lo, s6
	s_and_saveexec_b32 s6, s17
	s_cbranch_execnz .LBB139_1050
.LBB139_837:                            ;   in Loop: Header=BB139_3 Depth=1
	s_or_b32 exec_lo, exec_lo, s6
	s_and_saveexec_b32 s6, s18
	s_cbranch_execnz .LBB139_1051
.LBB139_838:                            ;   in Loop: Header=BB139_3 Depth=1
	s_or_b32 exec_lo, exec_lo, s6
	s_and_saveexec_b32 s6, s2
	s_cbranch_execnz .LBB139_1052
.LBB139_839:                            ;   in Loop: Header=BB139_3 Depth=1
	s_or_b32 exec_lo, exec_lo, s6
	s_and_saveexec_b32 s6, s13
	s_cbranch_execz .LBB139_841
.LBB139_840:                            ;   in Loop: Header=BB139_3 Depth=1
	ds_load_b64 v[46:47], v53 offset:28608
	ds_load_b64 v[48:49], v1 offset:25016
	s_wait_dscnt 0x0
	v_fmac_f64_e32 v[44:45], v[46:47], v[48:49]
.LBB139_841:                            ;   in Loop: Header=BB139_3 Depth=1
	s_or_b32 exec_lo, exec_lo, s6
	s_delay_alu instid0(VALU_DEP_1)
	v_xor_b32_e32 v45, 0x80000000, v45
.LBB139_842:                            ;   in Loop: Header=BB139_3 Depth=1
	s_or_b32 exec_lo, exec_lo, s8
	s_and_saveexec_b32 s6, s34
; %bb.843:                              ;   in Loop: Header=BB139_3 Depth=1
	ds_store_b64 v61, v[44:45]
; %bb.844:                              ;   in Loop: Header=BB139_3 Depth=1
	s_or_b32 exec_lo, exec_lo, s6
	s_wait_dscnt 0x0
	s_barrier_signal -1
	s_barrier_wait -1
	s_and_saveexec_b32 s6, s35
	s_cbranch_execz .LBB139_846
; %bb.845:                              ;   in Loop: Header=BB139_3 Depth=1
	ds_load_b64 v[46:47], v60 offset:29120
	ds_load_b64 v[48:49], v61
	s_wait_dscnt 0x0
	v_fmac_f64_e32 v[44:45], v[46:47], v[48:49]
.LBB139_846:                            ;   in Loop: Header=BB139_3 Depth=1
	s_or_b32 exec_lo, exec_lo, s6
	s_barrier_signal -1
	s_barrier_wait -1
	s_and_saveexec_b32 s6, s36
; %bb.847:                              ;   in Loop: Header=BB139_3 Depth=1
	ds_store_b64 v61, v[44:45]
; %bb.848:                              ;   in Loop: Header=BB139_3 Depth=1
	s_or_b32 exec_lo, exec_lo, s6
	s_wait_dscnt 0x0
	s_barrier_signal -1
	s_barrier_wait -1
	s_and_saveexec_b32 s6, s37
	s_cbranch_execz .LBB139_850
; %bb.849:                              ;   in Loop: Header=BB139_3 Depth=1
	ds_load_b64 v[46:47], v60 offset:29632
	ds_load_b64 v[48:49], v61
	s_wait_dscnt 0x0
	v_fmac_f64_e32 v[44:45], v[46:47], v[48:49]
.LBB139_850:                            ;   in Loop: Header=BB139_3 Depth=1
	s_or_b32 exec_lo, exec_lo, s6
	s_barrier_signal -1
	s_barrier_wait -1
	;; [unrolled: 19-line block ×7, first 2 shown]
	s_and_saveexec_b32 s6, s47
; %bb.871:                              ;   in Loop: Header=BB139_3 Depth=1
	ds_store_b64 v61, v[44:45]
; %bb.872:                              ;   in Loop: Header=BB139_3 Depth=1
	s_or_b32 exec_lo, exec_lo, s6
	s_wait_dscnt 0x0
	s_barrier_signal -1
	s_barrier_wait -1
	s_barrier_signal -1
	s_barrier_wait -1
	s_and_saveexec_b32 s6, s3
; %bb.873:                              ;   in Loop: Header=BB139_3 Depth=1
	v_xor_b32_e32 v45, 0x80000000, v45
	ds_store_b64 v62, v[44:45] offset:25024
; %bb.874:                              ;   in Loop: Header=BB139_3 Depth=1
	s_or_b32 exec_lo, exec_lo, s6
	s_wait_dscnt 0x0
	s_barrier_signal -1
	s_barrier_wait -1
	s_barrier_signal -1
	s_barrier_wait -1
	s_and_saveexec_b32 s6, s10
; %bb.875:                              ;   in Loop: Header=BB139_3 Depth=1
	v_add_nc_u32_e64 v0, 0x7000, 0
	ds_store_2addr_b64 v0, v[30:31], v[30:31] offset0:56 offset1:121
; %bb.876:                              ;   in Loop: Header=BB139_3 Depth=1
	s_or_b32 exec_lo, exec_lo, s6
	v_mov_b64_e32 v[44:45], 0
	s_wait_dscnt 0x0
	s_barrier_signal -1
	s_barrier_wait -1
	s_and_saveexec_b32 s8, s1
	s_cbranch_execz .LBB139_880
; %bb.877:                              ;   in Loop: Header=BB139_3 Depth=1
	ds_load_b64 v[44:45], v51 offset:29136
	ds_load_b64 v[46:47], v52 offset:29120
	s_wait_dscnt 0x0
	v_fma_f64 v[44:45], v[44:45], v[46:47], 0
	s_and_saveexec_b32 s6, s11
	s_cbranch_execz .LBB139_879
; %bb.878:                              ;   in Loop: Header=BB139_3 Depth=1
	ds_load_b64 v[46:47], v53 offset:29648
	ds_load_b64 v[48:49], v1 offset:29128
	s_wait_dscnt 0x0
	v_fmac_f64_e32 v[44:45], v[46:47], v[48:49]
.LBB139_879:                            ;   in Loop: Header=BB139_3 Depth=1
	s_or_b32 exec_lo, exec_lo, s6
	s_delay_alu instid0(VALU_DEP_1)
	v_xor_b32_e32 v45, 0x80000000, v45
.LBB139_880:                            ;   in Loop: Header=BB139_3 Depth=1
	s_or_b32 exec_lo, exec_lo, s8
	s_and_saveexec_b32 s6, s100
; %bb.881:                              ;   in Loop: Header=BB139_3 Depth=1
	ds_store_b64 v50, v[44:45]
; %bb.882:                              ;   in Loop: Header=BB139_3 Depth=1
	s_or_b32 exec_lo, exec_lo, s6
	s_wait_dscnt 0x0
	s_barrier_signal -1
	s_barrier_wait -1
	s_and_saveexec_b32 s6, s101
	s_cbranch_execz .LBB139_884
; %bb.883:                              ;   in Loop: Header=BB139_3 Depth=1
	ds_load_b64 v[46:47], v1 offset:30168
	ds_load_b64 v[48:49], v50
	s_wait_dscnt 0x0
	v_fmac_f64_e32 v[44:45], v[46:47], v[48:49]
.LBB139_884:                            ;   in Loop: Header=BB139_3 Depth=1
	s_or_b32 exec_lo, exec_lo, s6
	s_barrier_signal -1
	s_barrier_wait -1
	s_and_saveexec_b32 s6, s101
; %bb.885:                              ;   in Loop: Header=BB139_3 Depth=1
	ds_store_b64 v50, v[44:45]
; %bb.886:                              ;   in Loop: Header=BB139_3 Depth=1
	s_or_b32 exec_lo, exec_lo, s6
	s_wait_dscnt 0x0
	s_barrier_signal -1
	s_barrier_wait -1
	s_barrier_signal -1
	s_barrier_wait -1
	s_and_saveexec_b32 s6, s1
; %bb.887:                              ;   in Loop: Header=BB139_3 Depth=1
	v_xor_b32_e32 v45, 0x80000000, v45
	ds_store_b64 v51, v[44:45] offset:29136
; %bb.888:                              ;   in Loop: Header=BB139_3 Depth=1
	s_or_b32 exec_lo, exec_lo, s6
	s_wait_dscnt 0x0
	s_barrier_signal -1
	s_barrier_wait -1
	s_barrier_signal -1
	s_barrier_wait -1
	s_and_saveexec_b32 s6, s10
; %bb.889:                              ;   in Loop: Header=BB139_3 Depth=1
	v_add_nc_u32_e64 v0, 0x7000, 0
	ds_store_2addr_b64 v0, v[30:31], v[30:31] offset0:186 offset1:251
; %bb.890:                              ;   in Loop: Header=BB139_3 Depth=1
	s_or_b32 exec_lo, exec_lo, s6
	v_mov_b64_e32 v[44:45], 0
	s_wait_dscnt 0x0
	s_barrier_signal -1
	s_barrier_wait -1
	s_and_saveexec_b32 s8, s2
	s_cbranch_execz .LBB139_896
; %bb.891:                              ;   in Loop: Header=BB139_3 Depth=1
	ds_load_b64 v[44:45], v57 offset:29152
	ds_load_b64 v[46:47], v54 offset:29120
	s_wait_dscnt 0x0
	v_fma_f64 v[44:45], v[44:45], v[46:47], 0
	s_and_saveexec_b32 s6, s12
	s_cbranch_execnz .LBB139_1053
; %bb.892:                              ;   in Loop: Header=BB139_3 Depth=1
	s_or_b32 exec_lo, exec_lo, s6
	s_and_saveexec_b32 s6, s13
	s_cbranch_execnz .LBB139_1054
.LBB139_893:                            ;   in Loop: Header=BB139_3 Depth=1
	s_or_b32 exec_lo, exec_lo, s6
	s_and_saveexec_b32 s6, s1
	s_cbranch_execz .LBB139_895
.LBB139_894:                            ;   in Loop: Header=BB139_3 Depth=1
	ds_load_b64 v[46:47], v53 offset:30688
	ds_load_b64 v[48:49], v1 offset:29144
	s_wait_dscnt 0x0
	v_fmac_f64_e32 v[44:45], v[46:47], v[48:49]
.LBB139_895:                            ;   in Loop: Header=BB139_3 Depth=1
	s_or_b32 exec_lo, exec_lo, s6
	s_delay_alu instid0(VALU_DEP_1)
	v_xor_b32_e32 v45, 0x80000000, v45
.LBB139_896:                            ;   in Loop: Header=BB139_3 Depth=1
	s_or_b32 exec_lo, exec_lo, s8
	s_and_saveexec_b32 s6, s102
; %bb.897:                              ;   in Loop: Header=BB139_3 Depth=1
	ds_store_b64 v55, v[44:45]
; %bb.898:                              ;   in Loop: Header=BB139_3 Depth=1
	s_or_b32 exec_lo, exec_lo, s6
	s_wait_dscnt 0x0
	s_barrier_signal -1
	s_barrier_wait -1
	s_and_saveexec_b32 s6, s103
	s_cbranch_execz .LBB139_900
; %bb.899:                              ;   in Loop: Header=BB139_3 Depth=1
	ds_load_b64 v[46:47], v56 offset:31200
	ds_load_b64 v[48:49], v55
	s_wait_dscnt 0x0
	v_fmac_f64_e32 v[44:45], v[46:47], v[48:49]
.LBB139_900:                            ;   in Loop: Header=BB139_3 Depth=1
	s_or_b32 exec_lo, exec_lo, s6
	s_barrier_signal -1
	s_barrier_wait -1
	s_and_saveexec_b32 s6, s104
; %bb.901:                              ;   in Loop: Header=BB139_3 Depth=1
	ds_store_b64 v55, v[44:45]
; %bb.902:                              ;   in Loop: Header=BB139_3 Depth=1
	s_or_b32 exec_lo, exec_lo, s6
	s_wait_dscnt 0x0
	s_barrier_signal -1
	s_barrier_wait -1
	s_and_saveexec_b32 s6, vcc_hi
	s_cbranch_execz .LBB139_904
; %bb.903:                              ;   in Loop: Header=BB139_3 Depth=1
	ds_load_b64 v[46:47], v56 offset:31712
	ds_load_b64 v[48:49], v55
	s_wait_dscnt 0x0
	v_fmac_f64_e32 v[44:45], v[46:47], v[48:49]
.LBB139_904:                            ;   in Loop: Header=BB139_3 Depth=1
	s_or_b32 exec_lo, exec_lo, s6
	s_barrier_signal -1
	s_barrier_wait -1
	s_and_saveexec_b32 s6, s31
; %bb.905:                              ;   in Loop: Header=BB139_3 Depth=1
	ds_store_b64 v55, v[44:45]
; %bb.906:                              ;   in Loop: Header=BB139_3 Depth=1
	s_or_b32 exec_lo, exec_lo, s6
	s_wait_dscnt 0x0
	s_barrier_signal -1
	s_barrier_wait -1
	s_and_saveexec_b32 s6, s33
	s_cbranch_execz .LBB139_908
; %bb.907:                              ;   in Loop: Header=BB139_3 Depth=1
	ds_load_b64 v[46:47], v1 offset:32248
	ds_load_b64 v[48:49], v55
	s_wait_dscnt 0x0
	v_fmac_f64_e32 v[44:45], v[46:47], v[48:49]
.LBB139_908:                            ;   in Loop: Header=BB139_3 Depth=1
	s_or_b32 exec_lo, exec_lo, s6
	s_barrier_signal -1
	s_barrier_wait -1
	s_and_saveexec_b32 s6, s33
; %bb.909:                              ;   in Loop: Header=BB139_3 Depth=1
	ds_store_b64 v55, v[44:45]
; %bb.910:                              ;   in Loop: Header=BB139_3 Depth=1
	s_or_b32 exec_lo, exec_lo, s6
	s_wait_dscnt 0x0
	s_barrier_signal -1
	s_barrier_wait -1
	s_barrier_signal -1
	s_barrier_wait -1
	s_and_saveexec_b32 s6, s2
; %bb.911:                              ;   in Loop: Header=BB139_3 Depth=1
	v_xor_b32_e32 v45, 0x80000000, v45
	ds_store_b64 v57, v[44:45] offset:29152
; %bb.912:                              ;   in Loop: Header=BB139_3 Depth=1
	s_or_b32 exec_lo, exec_lo, s6
	s_wait_dscnt 0x0
	s_barrier_signal -1
	s_barrier_wait -1
	s_barrier_signal -1
	s_barrier_wait -1
	s_and_saveexec_b32 s6, s10
; %bb.913:                              ;   in Loop: Header=BB139_3 Depth=1
	v_add_nc_u32_e64 v0, 0x7800, 0
	ds_store_2addr_b64 v0, v[30:31], v[30:31] offset0:60 offset1:125
; %bb.914:                              ;   in Loop: Header=BB139_3 Depth=1
	s_or_b32 exec_lo, exec_lo, s6
	v_mov_b64_e32 v[44:45], 0
	s_wait_dscnt 0x0
	s_barrier_signal -1
	s_barrier_wait -1
	s_and_saveexec_b32 s8, s1
	s_cbranch_execz .LBB139_918
; %bb.915:                              ;   in Loop: Header=BB139_3 Depth=1
	ds_load_b64 v[44:45], v51 offset:31216
	ds_load_b64 v[46:47], v52 offset:31200
	s_wait_dscnt 0x0
	v_fma_f64 v[44:45], v[44:45], v[46:47], 0
	s_and_saveexec_b32 s6, s11
	s_cbranch_execz .LBB139_917
; %bb.916:                              ;   in Loop: Header=BB139_3 Depth=1
	ds_load_b64 v[46:47], v53 offset:31728
	ds_load_b64 v[48:49], v1 offset:31208
	s_wait_dscnt 0x0
	v_fmac_f64_e32 v[44:45], v[46:47], v[48:49]
.LBB139_917:                            ;   in Loop: Header=BB139_3 Depth=1
	s_or_b32 exec_lo, exec_lo, s6
	s_delay_alu instid0(VALU_DEP_1)
	v_xor_b32_e32 v45, 0x80000000, v45
.LBB139_918:                            ;   in Loop: Header=BB139_3 Depth=1
	s_or_b32 exec_lo, exec_lo, s8
	s_and_saveexec_b32 s6, s100
; %bb.919:                              ;   in Loop: Header=BB139_3 Depth=1
	ds_store_b64 v50, v[44:45]
; %bb.920:                              ;   in Loop: Header=BB139_3 Depth=1
	s_or_b32 exec_lo, exec_lo, s6
	s_wait_dscnt 0x0
	s_barrier_signal -1
	s_barrier_wait -1
	s_and_saveexec_b32 s6, s101
	s_cbranch_execz .LBB139_922
; %bb.921:                              ;   in Loop: Header=BB139_3 Depth=1
	ds_load_b64 v[46:47], v1 offset:32248
	ds_load_b64 v[48:49], v50
	s_wait_dscnt 0x0
	v_fmac_f64_e32 v[44:45], v[46:47], v[48:49]
.LBB139_922:                            ;   in Loop: Header=BB139_3 Depth=1
	s_or_b32 exec_lo, exec_lo, s6
	s_barrier_signal -1
	s_barrier_wait -1
	s_and_saveexec_b32 s6, s101
; %bb.923:                              ;   in Loop: Header=BB139_3 Depth=1
	ds_store_b64 v50, v[44:45]
; %bb.924:                              ;   in Loop: Header=BB139_3 Depth=1
	s_or_b32 exec_lo, exec_lo, s6
	s_wait_dscnt 0x0
	s_barrier_signal -1
	s_barrier_wait -1
	s_barrier_signal -1
	s_barrier_wait -1
	s_and_saveexec_b32 s6, s1
; %bb.925:                              ;   in Loop: Header=BB139_3 Depth=1
	v_xor_b32_e32 v45, 0x80000000, v45
	ds_store_b64 v51, v[44:45] offset:31216
; %bb.926:                              ;   in Loop: Header=BB139_3 Depth=1
	s_or_b32 exec_lo, exec_lo, s6
	s_wait_dscnt 0x0
	s_barrier_signal -1
	s_barrier_wait -1
	s_barrier_signal -1
	s_barrier_wait -1
	s_and_saveexec_b32 s6, s10
; %bb.927:                              ;   in Loop: Header=BB139_3 Depth=1
	v_add_nc_u32_e64 v0, 0x7800, 0
	ds_store_2addr_b64 v0, v[30:31], v[30:31] offset0:190 offset1:255
; %bb.928:                              ;   in Loop: Header=BB139_3 Depth=1
	s_or_b32 exec_lo, exec_lo, s6
.LBB139_929:                            ;   in Loop: Header=BB139_3 Depth=1
	v_add_nc_u64_e32 v[42:43], s[72:73], v[42:43]
	v_mov_b64_e32 v[44:45], 0
	s_wait_dscnt 0x0
	s_barrier_signal -1
	s_barrier_wait -1
	s_wait_xcnt 0x0
	s_and_saveexec_b32 s6, s51
	s_cbranch_execz .LBB139_931
; %bb.930:                              ;   in Loop: Header=BB139_3 Depth=1
	v_lshl_add_u64 v[44:45], v[16:17], 3, v[42:43]
	flat_load_b64 v[44:45], v[44:45]
	s_wait_loadcnt_dscnt 0x0
	v_mul_f64_e64 v[44:45], v[44:45], -s[68:69]
.LBB139_931:                            ;   in Loop: Header=BB139_3 Depth=1
	s_or_b32 exec_lo, exec_lo, s6
	s_delay_alu instid0(SALU_CYCLE_1)
	s_and_not1_b32 vcc_lo, exec_lo, s52
	s_cbranch_vccnz .LBB139_957
; %bb.932:                              ;   in Loop: Header=BB139_3 Depth=1
	v_lshl_add_u64 v[40:41], v[8:9], 3, v[40:41]
	v_mov_b32_e32 v3, -1
	s_lshl_b64 s[8:9], s[66:67], 2
	s_delay_alu instid0(SALU_CYCLE_1)
	s_add_nc_u64 s[92:93], s[82:83], s[8:9]
	s_mov_b32 s8, 0
	s_branch .LBB139_935
.LBB139_933:                            ;   in Loop: Header=BB139_935 Depth=2
	s_wait_xcnt 0x0
	ds_load_b64 v[46:47], v74 offset:384
	s_wait_loadcnt_dscnt 0x0
	v_fmac_f64_e32 v[44:45], v[48:49], v[46:47]
.LBB139_934:                            ;   in Loop: Header=BB139_935 Depth=2
	s_or_b32 exec_lo, exec_lo, s9
	s_add_co_i32 s8, s8, 1
	s_delay_alu instid0(SALU_CYCLE_1)
	s_cmp_eq_u32 s8, s96
	s_cbranch_scc1 .LBB139_957
.LBB139_935:                            ;   Parent Loop BB139_3 Depth=1
                                        ; =>  This Loop Header: Depth=2
                                        ;       Child Loop BB139_937 Depth 3
	v_cmp_gt_i32_e32 vcc_lo, s8, v3
	s_and_b32 s6, s55, vcc_lo
	s_delay_alu instid0(SALU_CYCLE_1)
	s_and_saveexec_b32 s9, s6
	s_cbranch_execz .LBB139_938
; %bb.936:                              ;   in Loop: Header=BB139_935 Depth=2
	global_load_b32 v3, v1, s[92:93]
	s_wait_loadcnt 0x0
	v_cmp_le_i32_e32 vcc_lo, s8, v3
	s_cbranch_vccnz .LBB139_938
.LBB139_937:                            ;   Parent Loop BB139_3 Depth=1
                                        ;     Parent Loop BB139_935 Depth=2
                                        ; =>    This Inner Loop Header: Depth=3
	global_wb scope:SCOPE_DEV
	s_wait_storecnt 0x0
	global_inv scope:SCOPE_DEV
	global_load_b32 v3, v1, s[92:93]
	s_wait_loadcnt 0x0
	v_cmp_gt_i32_e32 vcc_lo, s8, v3
	s_cbranch_vccnz .LBB139_937
.LBB139_938:                            ;   in Loop: Header=BB139_935 Depth=2
	s_or_b32 exec_lo, exec_lo, s9
	s_lshl_b32 s65, s8, 6
	global_wb scope:SCOPE_DEV
	s_wait_storecnt 0x0
	global_inv scope:SCOPE_DEV
	s_wait_loadcnt 0x0
	s_barrier_signal -1
	s_barrier_wait -1
	s_and_saveexec_b32 s9, s56
	s_cbranch_execz .LBB139_942
; %bb.939:                              ;   in Loop: Header=BB139_935 Depth=2
	v_mov_b64_e32 v[46:47], 0
	v_or_b32_e32 v0, s65, v6
	s_mov_b32 s6, exec_lo
	s_delay_alu instid0(VALU_DEP_1)
	v_cmpx_gt_i32_e64 s95, v0
	s_cbranch_execz .LBB139_941
; %bb.940:                              ;   in Loop: Header=BB139_935 Depth=2
	v_mul_u64_e32 v[46:47], s[74:75], v[0:1]
	s_delay_alu instid0(VALU_DEP_1)
	v_lshl_add_u64 v[46:47], v[46:47], 3, v[42:43]
	flat_load_b64 v[46:47], v[46:47]
.LBB139_941:                            ;   in Loop: Header=BB139_935 Depth=2
	s_wait_xcnt 0x0
	s_or_b32 exec_lo, exec_lo, s6
	s_wait_loadcnt_dscnt 0x0
	ds_store_b64 v75, v[46:47]
.LBB139_942:                            ;   in Loop: Header=BB139_935 Depth=2
	s_or_b32 exec_lo, exec_lo, s9
	v_add_nc_u32_e32 v0, s65, v2
	v_cmp_ne_u32_e32 vcc_lo, s8, v5
	s_wait_dscnt 0x0
	s_barrier_signal -1
	s_barrier_wait -1
	v_mul_u64_e32 v[46:47], s[80:81], v[0:1]
	v_cmp_gt_i32_e64 s65, s95, v0
	v_cndmask_b32_e64 v83, 0, 1, vcc_lo
	s_and_b32 s6, s0, s65
	v_lshl_add_u64 v[46:47], v[46:47], 3, v[40:41]
	s_and_saveexec_b32 s9, s6
	s_cbranch_execz .LBB139_946
; %bb.943:                              ;   in Loop: Header=BB139_935 Depth=2
	v_mov_b64_e32 v[48:49], v[32:33]
	s_and_not1_b32 vcc_lo, exec_lo, vcc_lo
	s_cbranch_vccnz .LBB139_945
; %bb.944:                              ;   in Loop: Header=BB139_935 Depth=2
	flat_load_b64 v[48:49], v[46:47]
.LBB139_945:                            ;   in Loop: Header=BB139_935 Depth=2
	ds_load_b64 v[84:85], v74
	s_wait_loadcnt_dscnt 0x0
	v_fmac_f64_e32 v[44:45], v[48:49], v[84:85]
.LBB139_946:                            ;   in Loop: Header=BB139_935 Depth=2
	s_or_b32 exec_lo, exec_lo, s9
	v_add_nc_u32_e32 v48, 16, v0
	s_delay_alu instid0(VALU_DEP_1) | instskip(SKIP_1) | instid1(SALU_CYCLE_1)
	v_cmp_gt_i32_e32 vcc_lo, s95, v48
	s_and_b32 s6, s0, vcc_lo
	s_and_saveexec_b32 s9, s6
	s_cbranch_execz .LBB139_950
; %bb.947:                              ;   in Loop: Header=BB139_935 Depth=2
	v_cmp_ne_u32_e32 vcc_lo, 1, v83
	v_mov_b64_e32 v[48:49], v[34:35]
	s_cbranch_vccnz .LBB139_949
; %bb.948:                              ;   in Loop: Header=BB139_935 Depth=2
	v_add_nc_u64_e32 v[48:49], s[86:87], v[46:47]
	flat_load_b64 v[48:49], v[48:49]
.LBB139_949:                            ;   in Loop: Header=BB139_935 Depth=2
	ds_load_b64 v[84:85], v74 offset:128
	s_wait_loadcnt_dscnt 0x0
	v_fmac_f64_e32 v[44:45], v[48:49], v[84:85]
.LBB139_950:                            ;   in Loop: Header=BB139_935 Depth=2
	s_or_b32 exec_lo, exec_lo, s9
	v_add_nc_u32_e32 v48, 32, v0
	s_delay_alu instid0(VALU_DEP_1) | instskip(SKIP_1) | instid1(SALU_CYCLE_1)
	v_cmp_gt_i32_e32 vcc_lo, s95, v48
	s_and_b32 s6, s0, vcc_lo
	s_and_saveexec_b32 s9, s6
	s_cbranch_execz .LBB139_954
; %bb.951:                              ;   in Loop: Header=BB139_935 Depth=2
	v_cmp_ne_u32_e32 vcc_lo, 1, v83
	v_mov_b64_e32 v[48:49], v[36:37]
	s_cbranch_vccnz .LBB139_953
; %bb.952:                              ;   in Loop: Header=BB139_935 Depth=2
	v_add_nc_u64_e32 v[48:49], s[88:89], v[46:47]
	flat_load_b64 v[48:49], v[48:49]
.LBB139_953:                            ;   in Loop: Header=BB139_935 Depth=2
	ds_load_b64 v[84:85], v74 offset:256
	s_wait_loadcnt_dscnt 0x0
	v_fmac_f64_e32 v[44:45], v[48:49], v[84:85]
.LBB139_954:                            ;   in Loop: Header=BB139_935 Depth=2
	s_or_b32 exec_lo, exec_lo, s9
	v_add_nc_u32_e32 v0, 48, v0
	s_delay_alu instid0(VALU_DEP_1) | instskip(SKIP_1) | instid1(SALU_CYCLE_1)
	v_cmp_gt_i32_e32 vcc_lo, s95, v0
	s_and_b32 s6, s0, vcc_lo
	s_and_saveexec_b32 s9, s6
	s_cbranch_execz .LBB139_934
; %bb.955:                              ;   in Loop: Header=BB139_935 Depth=2
	v_cmp_ne_u32_e32 vcc_lo, 1, v83
	v_mov_b64_e32 v[48:49], v[38:39]
	s_cbranch_vccnz .LBB139_933
; %bb.956:                              ;   in Loop: Header=BB139_935 Depth=2
	v_add_nc_u64_e32 v[46:47], s[90:91], v[46:47]
	flat_load_b64 v[48:49], v[46:47]
	s_branch .LBB139_933
.LBB139_957:                            ;   in Loop: Header=BB139_3 Depth=1
	ds_store_b64 v76, v[44:45]
	s_wait_dscnt 0x0
	s_barrier_signal -1
	s_barrier_wait -1
	s_and_saveexec_b32 s8, s5
	s_cbranch_execz .LBB139_959
; %bb.958:                              ;   in Loop: Header=BB139_3 Depth=1
	ds_load_2addr_stride64_b64 v[46:49], v77 offset0:1 offset1:2
	ds_load_2addr_stride64_b64 v[84:87], v77 offset0:3 offset1:4
	s_wait_dscnt 0x1
	v_add_f64_e32 v[40:41], v[44:45], v[46:47]
	s_delay_alu instid0(VALU_DEP_1) | instskip(SKIP_1) | instid1(VALU_DEP_1)
	v_add_f64_e32 v[40:41], v[40:41], v[48:49]
	s_wait_dscnt 0x0
	v_add_f64_e32 v[40:41], v[40:41], v[84:85]
	s_delay_alu instid0(VALU_DEP_1) | instskip(SKIP_4) | instid1(VALU_DEP_1)
	v_add_f64_e32 v[40:41], v[40:41], v[86:87]
	ds_load_2addr_stride64_b64 v[44:47], v77 offset0:5 offset1:6
	ds_load_2addr_stride64_b64 v[84:87], v77 offset0:7 offset1:8
	s_wait_dscnt 0x1
	v_add_f64_e32 v[40:41], v[40:41], v[44:45]
	v_add_f64_e32 v[40:41], v[40:41], v[46:47]
	s_wait_dscnt 0x0
	s_delay_alu instid0(VALU_DEP_1) | instskip(NEXT) | instid1(VALU_DEP_1)
	v_add_f64_e32 v[40:41], v[40:41], v[84:85]
	v_add_f64_e32 v[40:41], v[40:41], v[86:87]
	ds_load_2addr_stride64_b64 v[44:47], v77 offset0:9 offset1:10
	ds_load_2addr_stride64_b64 v[84:87], v77 offset0:11 offset1:12
	s_wait_dscnt 0x1
	v_add_f64_e32 v[40:41], v[40:41], v[44:45]
	s_delay_alu instid0(VALU_DEP_1) | instskip(SKIP_4) | instid1(VALU_DEP_1)
	v_add_f64_e32 v[40:41], v[40:41], v[46:47]
	ds_load_2addr_stride64_b64 v[44:47], v77 offset0:13 offset1:14
	ds_load_b64 v[48:49], v77 offset:7680
	s_wait_dscnt 0x2
	v_add_f64_e32 v[40:41], v[40:41], v[84:85]
	v_add_f64_e32 v[40:41], v[40:41], v[86:87]
	s_wait_dscnt 0x1
	s_delay_alu instid0(VALU_DEP_1) | instskip(NEXT) | instid1(VALU_DEP_1)
	v_add_f64_e32 v[40:41], v[40:41], v[44:45]
	v_add_f64_e32 v[40:41], v[40:41], v[46:47]
	s_wait_dscnt 0x0
	s_delay_alu instid0(VALU_DEP_1) | instskip(NEXT) | instid1(VALU_DEP_1)
	v_add_f64_e32 v[40:41], v[40:41], v[48:49]
	v_xor_b32_e32 v0, 0x80000000, v41
	s_delay_alu instid0(VALU_DEP_2) | instskip(NEXT) | instid1(VALU_DEP_2)
	v_cndmask_b32_e64 v44, v40, 0, s50
	v_cndmask_b32_e64 v45, v0, 0, s50
.LBB139_959:                            ;   in Loop: Header=BB139_3 Depth=1
	s_or_b32 exec_lo, exec_lo, s8
	s_delay_alu instid0(SALU_CYCLE_1)
	s_and_not1_b32 vcc_lo, exec_lo, s99
	s_cbranch_vccnz .LBB139_972
; %bb.960:                              ;   in Loop: Header=BB139_3 Depth=1
	s_and_saveexec_b32 s6, s5
; %bb.961:                              ;   in Loop: Header=BB139_3 Depth=1
	ds_store_b64 v79, v[44:45]
; %bb.962:                              ;   in Loop: Header=BB139_3 Depth=1
	s_or_b32 exec_lo, exec_lo, s6
	v_mov_b64_e32 v[40:41], 0
	s_wait_dscnt 0x0
	s_barrier_signal -1
	s_barrier_wait -1
	s_mov_b32 s6, exec_lo
	v_readlane_b32 s8, v88, 22
	s_and_b32 s8, s6, s8
	s_delay_alu instid0(SALU_CYCLE_1)
	s_mov_b32 exec_lo, s8
	s_cbranch_execz .LBB139_964
; %bb.963:                              ;   in Loop: Header=BB139_3 Depth=1
	ds_load_b64 v[40:41], v78
	ds_load_b64 v[46:47], v74
	s_wait_dscnt 0x0
	v_fma_f64 v[40:41], v[40:41], v[46:47], 0
.LBB139_964:                            ;   in Loop: Header=BB139_3 Depth=1
	s_or_b32 exec_lo, exec_lo, s6
	s_delay_alu instid0(SALU_CYCLE_1) | instskip(SKIP_2) | instid1(SALU_CYCLE_1)
	s_mov_b32 s6, exec_lo
	v_readlane_b32 s8, v88, 23
	s_and_b32 s8, s6, s8
	s_mov_b32 exec_lo, s8
	s_cbranch_execz .LBB139_966
; %bb.965:                              ;   in Loop: Header=BB139_3 Depth=1
	ds_load_b64 v[46:47], v78 offset:8192
	ds_load_b64 v[48:49], v74 offset:128
	s_wait_dscnt 0x0
	v_fmac_f64_e32 v[40:41], v[46:47], v[48:49]
.LBB139_966:                            ;   in Loop: Header=BB139_3 Depth=1
	s_or_b32 exec_lo, exec_lo, s6
	s_delay_alu instid0(SALU_CYCLE_1) | instskip(SKIP_2) | instid1(SALU_CYCLE_1)
	s_mov_b32 s6, exec_lo
	v_readlane_b32 s8, v88, 24
	s_and_b32 s8, s6, s8
	s_mov_b32 exec_lo, s8
	s_cbranch_execz .LBB139_968
; %bb.967:                              ;   in Loop: Header=BB139_3 Depth=1
	ds_load_b64 v[46:47], v78 offset:16384
	ds_load_b64 v[48:49], v74 offset:256
	s_wait_dscnt 0x0
	v_fmac_f64_e32 v[40:41], v[46:47], v[48:49]
.LBB139_968:                            ;   in Loop: Header=BB139_3 Depth=1
	;; [unrolled: 13-line block ×3, first 2 shown]
	s_or_b32 exec_lo, exec_lo, s6
	s_mov_b32 s8, 0
	s_mov_b32 s65, 0
	ds_store_b64 v76, v[40:41]
	s_wait_dscnt 0x0
	s_barrier_signal -1
	s_barrier_wait -1
                                        ; implicit-def: $vgpr46_vgpr47
	s_and_saveexec_b32 s92, s5
	s_cbranch_execz .LBB139_1000
; %bb.971:                              ;   in Loop: Header=BB139_3 Depth=1
	ds_load_2addr_stride64_b64 v[46:49], v77 offset0:1 offset1:2
	ds_load_2addr_stride64_b64 v[84:87], v77 offset0:3 offset1:4
	s_mov_b32 s65, exec_lo
	s_wait_dscnt 0x1
	v_add_f64_e32 v[40:41], v[40:41], v[46:47]
	s_delay_alu instid0(VALU_DEP_1) | instskip(SKIP_1) | instid1(VALU_DEP_1)
	v_add_f64_e32 v[40:41], v[48:49], v[40:41]
	s_wait_dscnt 0x0
	v_add_f64_e32 v[40:41], v[84:85], v[40:41]
	s_delay_alu instid0(VALU_DEP_1) | instskip(SKIP_4) | instid1(VALU_DEP_1)
	v_add_f64_e32 v[40:41], v[86:87], v[40:41]
	ds_load_2addr_stride64_b64 v[46:49], v77 offset0:5 offset1:6
	ds_load_2addr_stride64_b64 v[84:87], v77 offset0:7 offset1:8
	s_wait_dscnt 0x1
	v_add_f64_e32 v[40:41], v[46:47], v[40:41]
	v_add_f64_e32 v[40:41], v[48:49], v[40:41]
	s_wait_dscnt 0x0
	s_delay_alu instid0(VALU_DEP_1) | instskip(NEXT) | instid1(VALU_DEP_1)
	v_add_f64_e32 v[40:41], v[84:85], v[40:41]
	v_add_f64_e32 v[40:41], v[86:87], v[40:41]
	ds_load_2addr_stride64_b64 v[46:49], v77 offset0:9 offset1:10
	ds_load_2addr_stride64_b64 v[84:87], v77 offset0:11 offset1:12
	s_wait_dscnt 0x1
	v_add_f64_e32 v[40:41], v[46:47], v[40:41]
	s_delay_alu instid0(VALU_DEP_1) | instskip(SKIP_1) | instid1(VALU_DEP_1)
	v_add_f64_e32 v[40:41], v[48:49], v[40:41]
	s_wait_dscnt 0x0
	v_add_f64_e32 v[40:41], v[84:85], v[40:41]
	ds_load_2addr_stride64_b64 v[46:49], v77 offset0:13 offset1:14
	ds_load_b64 v[84:85], v77 offset:7680
	v_add_f64_e32 v[40:41], v[86:87], v[40:41]
	s_wait_dscnt 0x1
	s_delay_alu instid0(VALU_DEP_1) | instskip(NEXT) | instid1(VALU_DEP_1)
	v_add_f64_e32 v[40:41], v[46:47], v[40:41]
	v_add_f64_e32 v[40:41], v[48:49], v[40:41]
	s_wait_dscnt 0x0
	s_delay_alu instid0(VALU_DEP_1) | instskip(SKIP_1) | instid1(SALU_CYCLE_1)
	v_add_f64_e32 v[46:47], v[84:85], v[40:41]
	s_or_b32 exec_lo, exec_lo, s92
	s_and_b32 vcc_lo, exec_lo, s8
	s_cbranch_vccnz .LBB139_973
	s_branch .LBB139_1001
.LBB139_972:                            ;   in Loop: Header=BB139_3 Depth=1
	s_mov_b32 s65, 0
                                        ; implicit-def: $vgpr46_vgpr47
	s_cbranch_execz .LBB139_1001
.LBB139_973:                            ;   in Loop: Header=BB139_3 Depth=1
	v_dual_mov_b32 v0, v4 :: v_dual_mov_b32 v3, v53
	s_mov_b32 s8, 0
	s_branch .LBB139_975
.LBB139_974:                            ;   in Loop: Header=BB139_975 Depth=2
	s_or_b32 exec_lo, exec_lo, s6
	v_add_nc_u32_e32 v3, 0x800, v3
	v_add_nc_u32_e32 v0, -4, v0
	s_add_co_i32 s8, s8, 4
	s_delay_alu instid0(SALU_CYCLE_1)
	s_cmp_lg_u32 s8, 64
	s_barrier_signal -1
	s_barrier_wait -1
	s_cbranch_scc0 .LBB139_991
.LBB139_975:                            ;   Parent Loop BB139_3 Depth=1
                                        ; =>  This Inner Loop Header: Depth=2
	s_delay_alu instid0(VALU_DEP_1) | instskip(SKIP_1) | instid1(SALU_CYCLE_1)
	v_cmp_eq_u32_e32 vcc_lo, 0, v0
	s_and_b32 s9, s5, vcc_lo
	s_and_saveexec_b32 s6, s9
; %bb.976:                              ;   in Loop: Header=BB139_975 Depth=2
	ds_store_b64 v1, v[44:45] offset:41472
; %bb.977:                              ;   in Loop: Header=BB139_975 Depth=2
	s_or_b32 exec_lo, exec_lo, s6
	v_cmp_lt_u32_e32 vcc_lo, s8, v4
	s_wait_dscnt 0x0
	s_barrier_signal -1
	s_barrier_wait -1
	s_and_b32 s9, s5, vcc_lo
	s_delay_alu instid0(SALU_CYCLE_1)
	s_and_saveexec_b32 s6, s9
	s_cbranch_execz .LBB139_979
; %bb.978:                              ;   in Loop: Header=BB139_975 Depth=2
	ds_load_b64 v[40:41], v3
	ds_load_b64 v[46:47], v1 offset:41472
	s_wait_dscnt 0x0
	v_fmac_f64_e32 v[44:45], v[40:41], v[46:47]
.LBB139_979:                            ;   in Loop: Header=BB139_975 Depth=2
	s_or_b32 exec_lo, exec_lo, s6
	s_or_b32 s9, s8, 1
	s_delay_alu instid0(SALU_CYCLE_1) | instskip(SKIP_3) | instid1(SALU_CYCLE_1)
	v_cmp_eq_u32_e32 vcc_lo, s9, v4
	s_barrier_signal -1
	s_barrier_wait -1
	s_and_b32 s92, s5, vcc_lo
	s_and_saveexec_b32 s6, s92
; %bb.980:                              ;   in Loop: Header=BB139_975 Depth=2
	ds_store_b64 v1, v[44:45] offset:41472
; %bb.981:                              ;   in Loop: Header=BB139_975 Depth=2
	s_or_b32 exec_lo, exec_lo, s6
	v_cmp_lt_u32_e32 vcc_lo, s9, v4
	s_wait_dscnt 0x0
	s_barrier_signal -1
	s_barrier_wait -1
	s_and_b32 s9, s5, vcc_lo
	s_delay_alu instid0(SALU_CYCLE_1)
	s_and_saveexec_b32 s6, s9
	s_cbranch_execz .LBB139_983
; %bb.982:                              ;   in Loop: Header=BB139_975 Depth=2
	ds_load_b64 v[40:41], v3 offset:512
	ds_load_b64 v[46:47], v1 offset:41472
	s_wait_dscnt 0x0
	v_fmac_f64_e32 v[44:45], v[40:41], v[46:47]
.LBB139_983:                            ;   in Loop: Header=BB139_975 Depth=2
	s_or_b32 exec_lo, exec_lo, s6
	s_or_b32 s9, s8, 2
	s_delay_alu instid0(SALU_CYCLE_1) | instskip(SKIP_3) | instid1(SALU_CYCLE_1)
	v_cmp_eq_u32_e32 vcc_lo, s9, v4
	s_barrier_signal -1
	s_barrier_wait -1
	s_and_b32 s92, s5, vcc_lo
	s_and_saveexec_b32 s6, s92
; %bb.984:                              ;   in Loop: Header=BB139_975 Depth=2
	ds_store_b64 v1, v[44:45] offset:41472
; %bb.985:                              ;   in Loop: Header=BB139_975 Depth=2
	s_or_b32 exec_lo, exec_lo, s6
	v_cmp_lt_u32_e32 vcc_lo, s9, v4
	s_wait_dscnt 0x0
	s_barrier_signal -1
	s_barrier_wait -1
	s_and_b32 s9, s5, vcc_lo
	s_delay_alu instid0(SALU_CYCLE_1)
	s_and_saveexec_b32 s6, s9
	s_cbranch_execz .LBB139_987
; %bb.986:                              ;   in Loop: Header=BB139_975 Depth=2
	ds_load_b64 v[40:41], v3 offset:1024
	ds_load_b64 v[46:47], v1 offset:41472
	s_wait_dscnt 0x0
	v_fmac_f64_e32 v[44:45], v[40:41], v[46:47]
.LBB139_987:                            ;   in Loop: Header=BB139_975 Depth=2
	s_or_b32 exec_lo, exec_lo, s6
	s_or_b32 s9, s8, 3
	s_delay_alu instid0(SALU_CYCLE_1) | instskip(SKIP_3) | instid1(SALU_CYCLE_1)
	v_cmp_eq_u32_e32 vcc_lo, s9, v4
	s_barrier_signal -1
	s_barrier_wait -1
	s_and_b32 s92, s5, vcc_lo
	s_and_saveexec_b32 s6, s92
; %bb.988:                              ;   in Loop: Header=BB139_975 Depth=2
	ds_store_b64 v1, v[44:45] offset:41472
; %bb.989:                              ;   in Loop: Header=BB139_975 Depth=2
	s_or_b32 exec_lo, exec_lo, s6
	v_cmp_lt_u32_e32 vcc_lo, s9, v4
	s_wait_dscnt 0x0
	s_barrier_signal -1
	s_barrier_wait -1
	s_and_b32 s9, s5, vcc_lo
	s_delay_alu instid0(SALU_CYCLE_1)
	s_and_saveexec_b32 s6, s9
	s_cbranch_execz .LBB139_974
; %bb.990:                              ;   in Loop: Header=BB139_975 Depth=2
	ds_load_b64 v[40:41], v3 offset:1536
	ds_load_b64 v[46:47], v1 offset:41472
	s_wait_dscnt 0x0
	v_fmac_f64_e32 v[44:45], v[40:41], v[46:47]
	s_branch .LBB139_974
.LBB139_991:                            ;   in Loop: Header=BB139_3 Depth=1
	s_and_b32 vcc_lo, exec_lo, s98
	s_mov_b32 s8, -1
	s_cbranch_vccz .LBB139_993
; %bb.992:                              ;   in Loop: Header=BB139_3 Depth=1
	s_and_not1_b32 s6, s65, exec_lo
	s_and_b32 s9, s5, exec_lo
	s_mov_b32 s8, 0
	s_or_b32 s65, s6, s9
.LBB139_993:                            ;   in Loop: Header=BB139_3 Depth=1
	s_and_not1_b32 vcc_lo, exec_lo, s8
	s_cbranch_vccnz .LBB139_995
; %bb.994:                              ;   in Loop: Header=BB139_3 Depth=1
	v_readlane_b32 s8, v89, 7
	s_and_not1_b32 s6, s65, exec_lo
	s_and_b32 s8, s8, exec_lo
	s_delay_alu instid0(SALU_CYCLE_1)
	s_or_b32 s65, s6, s8
.LBB139_995:                            ;   in Loop: Header=BB139_3 Depth=1
	v_mov_b64_e32 v[40:41], v[12:13]
	s_and_saveexec_b32 s6, s65
	s_cbranch_execnz .LBB139_1002
	s_branch .LBB139_1003
.LBB139_996:                            ;   in Loop: Header=BB139_3 Depth=1
	v_readlane_b32 s8, v88, 26
	s_and_b32 s8, s8, exec_lo
	s_or_saveexec_b32 s9, s6
	v_mov_b64_e32 v[46:47], 0
	s_xor_b32 exec_lo, exec_lo, s9
	s_cbranch_execz .LBB139_16
.LBB139_997:                            ;   in Loop: Header=BB139_3 Depth=1
	v_lshl_add_u64 v[46:47], v[20:21], 3, v[44:45]
	s_or_b32 s8, s8, exec_lo
	flat_load_b64 v[46:47], v[46:47]
	s_wait_loadcnt_dscnt 0x0
	v_xor_b32_e32 v47, 0x80000000, v47
	s_or_b32 exec_lo, exec_lo, s9
	s_and_saveexec_b32 s6, s8
	s_cbranch_execnz .LBB139_17
	s_branch .LBB139_18
.LBB139_998:                            ;   in Loop: Header=BB139_3 Depth=1
	v_readlane_b32 s8, v88, 26
	s_and_b32 s8, s8, exec_lo
	s_or_saveexec_b32 s9, s6
	v_mov_b64_e32 v[46:47], 0
	s_xor_b32 exec_lo, exec_lo, s9
	s_cbranch_execz .LBB139_40
.LBB139_999:                            ;   in Loop: Header=BB139_3 Depth=1
	v_lshl_add_u64 v[46:47], v[20:21], 3, v[44:45]
	s_or_b32 s8, s8, exec_lo
	flat_load_b64 v[46:47], v[46:47]
	s_wait_loadcnt_dscnt 0x0
	v_xor_b32_e32 v47, 0x80000000, v47
	s_or_b32 exec_lo, exec_lo, s9
	s_and_saveexec_b32 s6, s8
	s_cbranch_execnz .LBB139_41
	s_branch .LBB139_42
.LBB139_1000:                           ;   in Loop: Header=BB139_3 Depth=1
	s_or_b32 exec_lo, exec_lo, s92
	s_delay_alu instid0(SALU_CYCLE_1)
	s_and_b32 vcc_lo, exec_lo, s8
	s_cbranch_vccnz .LBB139_973
.LBB139_1001:                           ;   in Loop: Header=BB139_3 Depth=1
	s_delay_alu instid0(VALU_DEP_1)
	v_mov_b64_e32 v[44:45], v[46:47]
	v_mov_b64_e32 v[40:41], v[18:19]
	s_and_saveexec_b32 s6, s65
	s_cbranch_execz .LBB139_1003
.LBB139_1002:                           ;   in Loop: Header=BB139_3 Depth=1
	s_delay_alu instid0(VALU_DEP_1)
	v_lshl_add_u64 v[40:41], v[40:41], 3, v[42:43]
	flat_store_b64 v[40:41], v[44:45]
.LBB139_1003:                           ;   in Loop: Header=BB139_3 Depth=1
	s_wait_xcnt 0x0
	s_or_b32 exec_lo, exec_lo, s6
	global_wb scope:SCOPE_DEV
	s_wait_storecnt_dscnt 0x0
	global_inv scope:SCOPE_DEV
	s_wait_loadcnt 0x0
	s_barrier_signal -1
	s_barrier_wait -1
	s_and_saveexec_b32 s6, s55
	s_cbranch_execz .LBB139_2
; %bb.1004:                             ;   in Loop: Header=BB139_3 Depth=1
	s_lshl_b64 s[8:9], s[66:67], 2
	s_delay_alu instid0(SALU_CYCLE_1)
	s_add_nc_u64 s[8:9], s[82:83], s[8:9]
	global_load_b32 v0, v1, s[8:9]
	s_wait_loadcnt 0x0
	v_add_nc_u32_e32 v0, 1, v0
	global_store_b32 v1, v0, s[8:9]
	s_branch .LBB139_2
.LBB139_1005:                           ;   in Loop: Header=BB139_3 Depth=1
	ds_load_b64 v[46:47], v58 offset:544
	ds_load_b64 v[48:49], v54 offset:8
	s_wait_dscnt 0x0
	v_fmac_f64_e32 v[44:45], v[46:47], v[48:49]
	s_or_b32 exec_lo, exec_lo, s6
	s_and_saveexec_b32 s6, s13
	s_cbranch_execz .LBB139_81
.LBB139_1006:                           ;   in Loop: Header=BB139_3 Depth=1
	ds_load_b64 v[46:47], v57 offset:1056
	ds_load_b64 v[48:49], v54 offset:16
	s_wait_dscnt 0x0
	v_fmac_f64_e32 v[44:45], v[46:47], v[48:49]
	s_or_b32 exec_lo, exec_lo, s6
	s_and_saveexec_b32 s6, s1
	s_cbranch_execnz .LBB139_82
	s_branch .LBB139_83
.LBB139_1007:                           ;   in Loop: Header=BB139_3 Depth=1
	ds_load_b64 v[46:47], v63 offset:576
	ds_load_b64 v[48:49], v59 offset:8
	s_wait_dscnt 0x0
	v_fmac_f64_e32 v[44:45], v[46:47], v[48:49]
	s_or_b32 exec_lo, exec_lo, s6
	s_and_saveexec_b32 s6, s15
	s_cbranch_execz .LBB139_119
.LBB139_1008:                           ;   in Loop: Header=BB139_3 Depth=1
	ds_load_b64 v[46:47], v63 offset:1088
	ds_load_b64 v[48:49], v59 offset:16
	s_wait_dscnt 0x0
	v_fmac_f64_e32 v[44:45], v[46:47], v[48:49]
	s_or_b32 exec_lo, exec_lo, s6
	s_and_saveexec_b32 s6, s16
	s_cbranch_execz .LBB139_120
.LBB139_1009:                           ;   in Loop: Header=BB139_3 Depth=1
	ds_load_b64 v[46:47], v63 offset:1600
	ds_load_b64 v[48:49], v59 offset:24
	s_wait_dscnt 0x0
	v_fmac_f64_e32 v[44:45], v[46:47], v[48:49]
	s_or_b32 exec_lo, exec_lo, s6
	s_and_saveexec_b32 s6, s17
	s_cbranch_execz .LBB139_121
.LBB139_1010:                           ;   in Loop: Header=BB139_3 Depth=1
	ds_load_b64 v[46:47], v62 offset:2112
	ds_load_b64 v[48:49], v59 offset:32
	s_wait_dscnt 0x0
	v_fmac_f64_e32 v[44:45], v[46:47], v[48:49]
	s_or_b32 exec_lo, exec_lo, s6
	s_and_saveexec_b32 s6, s18
	s_cbranch_execz .LBB139_122
.LBB139_1011:                           ;   in Loop: Header=BB139_3 Depth=1
	ds_load_b64 v[46:47], v63 offset:2624
	ds_load_b64 v[48:49], v59 offset:40
	s_wait_dscnt 0x0
	v_fmac_f64_e32 v[44:45], v[46:47], v[48:49]
	s_or_b32 exec_lo, exec_lo, s6
	s_and_saveexec_b32 s6, s2
	s_cbranch_execz .LBB139_123
.LBB139_1012:                           ;   in Loop: Header=BB139_3 Depth=1
	ds_load_b64 v[46:47], v62 offset:3136
	ds_load_b64 v[48:49], v59 offset:48
	s_wait_dscnt 0x0
	v_fmac_f64_e32 v[44:45], v[46:47], v[48:49]
	s_or_b32 exec_lo, exec_lo, s6
	s_and_saveexec_b32 s6, s13
	s_cbranch_execnz .LBB139_124
	s_branch .LBB139_125
.LBB139_1013:                           ;   in Loop: Header=BB139_3 Depth=1
	ds_load_b64 v[46:47], v58 offset:4704
	ds_load_b64 v[48:49], v54 offset:4168
	s_wait_dscnt 0x0
	v_fmac_f64_e32 v[44:45], v[46:47], v[48:49]
	s_or_b32 exec_lo, exec_lo, s6
	s_and_saveexec_b32 s6, s13
	s_cbranch_execz .LBB139_177
.LBB139_1014:                           ;   in Loop: Header=BB139_3 Depth=1
	ds_load_b64 v[46:47], v57 offset:5216
	ds_load_b64 v[48:49], v54 offset:4176
	s_wait_dscnt 0x0
	v_fmac_f64_e32 v[44:45], v[46:47], v[48:49]
	s_or_b32 exec_lo, exec_lo, s6
	s_and_saveexec_b32 s6, s1
	s_cbranch_execnz .LBB139_178
	s_branch .LBB139_179
.LBB139_1015:                           ;   in Loop: Header=BB139_3 Depth=1
	ds_load_b64 v[46:47], v68 offset:5760
	ds_load_b64 v[48:49], v64 offset:88
	s_wait_dscnt 0x0
	v_fmac_f64_e32 v[44:45], v[46:47], v[48:49]
	s_or_b32 exec_lo, exec_lo, s6
	s_and_saveexec_b32 s6, s3
	s_cbranch_execz .LBB139_235
.LBB139_1016:                           ;   in Loop: Header=BB139_3 Depth=1
	ds_load_b64 v[46:47], v67 offset:6272
	ds_load_b64 v[48:49], v64 offset:96
	s_wait_dscnt 0x0
	v_fmac_f64_e32 v[44:45], v[46:47], v[48:49]
	s_or_b32 exec_lo, exec_lo, s6
	s_and_saveexec_b32 s6, s15
	s_cbranch_execz .LBB139_236
.LBB139_1017:                           ;   in Loop: Header=BB139_3 Depth=1
	ds_load_b64 v[46:47], v68 offset:6784
	ds_load_b64 v[48:49], v64 offset:104
	s_wait_dscnt 0x0
	v_fmac_f64_e32 v[44:45], v[46:47], v[48:49]
	s_or_b32 exec_lo, exec_lo, s6
	s_and_saveexec_b32 s6, s17
	s_cbranch_execz .LBB139_237
.LBB139_1018:                           ;   in Loop: Header=BB139_3 Depth=1
	ds_load_b64 v[46:47], v67 offset:7296
	ds_load_b64 v[48:49], v64 offset:112
	s_wait_dscnt 0x0
	v_fmac_f64_e32 v[44:45], v[46:47], v[48:49]
	s_or_b32 exec_lo, exec_lo, s6
	s_and_saveexec_b32 s6, s2
	s_cbranch_execnz .LBB139_238
	s_branch .LBB139_239
.LBB139_1019:                           ;   in Loop: Header=BB139_3 Depth=1
	ds_load_b64 v[46:47], v58 offset:8864
	ds_load_b64 v[48:49], v54 offset:8328
	s_wait_dscnt 0x0
	v_fmac_f64_e32 v[44:45], v[46:47], v[48:49]
	s_or_b32 exec_lo, exec_lo, s6
	s_and_saveexec_b32 s6, s13
	s_cbranch_execz .LBB139_323
.LBB139_1020:                           ;   in Loop: Header=BB139_3 Depth=1
	ds_load_b64 v[46:47], v57 offset:9376
	ds_load_b64 v[48:49], v54 offset:8336
	s_wait_dscnt 0x0
	v_fmac_f64_e32 v[44:45], v[46:47], v[48:49]
	s_or_b32 exec_lo, exec_lo, s6
	s_and_saveexec_b32 s6, s1
	s_cbranch_execnz .LBB139_324
	s_branch .LBB139_325
.LBB139_1021:                           ;   in Loop: Header=BB139_3 Depth=1
	ds_load_b64 v[46:47], v63 offset:8896
	ds_load_b64 v[48:49], v59 offset:8328
	s_wait_dscnt 0x0
	v_fmac_f64_e32 v[44:45], v[46:47], v[48:49]
	s_or_b32 exec_lo, exec_lo, s6
	s_and_saveexec_b32 s6, s15
	s_cbranch_execz .LBB139_361
.LBB139_1022:                           ;   in Loop: Header=BB139_3 Depth=1
	ds_load_b64 v[46:47], v63 offset:9408
	ds_load_b64 v[48:49], v59 offset:8336
	s_wait_dscnt 0x0
	v_fmac_f64_e32 v[44:45], v[46:47], v[48:49]
	s_or_b32 exec_lo, exec_lo, s6
	s_and_saveexec_b32 s6, s16
	s_cbranch_execz .LBB139_362
.LBB139_1023:                           ;   in Loop: Header=BB139_3 Depth=1
	ds_load_b64 v[46:47], v63 offset:9920
	ds_load_b64 v[48:49], v59 offset:8344
	s_wait_dscnt 0x0
	v_fmac_f64_e32 v[44:45], v[46:47], v[48:49]
	s_or_b32 exec_lo, exec_lo, s6
	s_and_saveexec_b32 s6, s17
	s_cbranch_execz .LBB139_363
.LBB139_1024:                           ;   in Loop: Header=BB139_3 Depth=1
	ds_load_b64 v[46:47], v62 offset:10432
	ds_load_b64 v[48:49], v59 offset:8352
	s_wait_dscnt 0x0
	v_fmac_f64_e32 v[44:45], v[46:47], v[48:49]
	s_or_b32 exec_lo, exec_lo, s6
	s_and_saveexec_b32 s6, s18
	s_cbranch_execz .LBB139_364
.LBB139_1025:                           ;   in Loop: Header=BB139_3 Depth=1
	ds_load_b64 v[46:47], v63 offset:10944
	ds_load_b64 v[48:49], v59 offset:8360
	s_wait_dscnt 0x0
	v_fmac_f64_e32 v[44:45], v[46:47], v[48:49]
	s_or_b32 exec_lo, exec_lo, s6
	s_and_saveexec_b32 s6, s2
	s_cbranch_execz .LBB139_365
.LBB139_1026:                           ;   in Loop: Header=BB139_3 Depth=1
	ds_load_b64 v[46:47], v62 offset:11456
	ds_load_b64 v[48:49], v59 offset:8368
	s_wait_dscnt 0x0
	v_fmac_f64_e32 v[44:45], v[46:47], v[48:49]
	s_or_b32 exec_lo, exec_lo, s6
	s_and_saveexec_b32 s6, s13
	s_cbranch_execnz .LBB139_366
	s_branch .LBB139_367
.LBB139_1027:                           ;   in Loop: Header=BB139_3 Depth=1
	ds_load_b64 v[46:47], v58 offset:13024
	ds_load_b64 v[48:49], v54 offset:12488
	s_wait_dscnt 0x0
	v_fmac_f64_e32 v[44:45], v[46:47], v[48:49]
	s_or_b32 exec_lo, exec_lo, s6
	s_and_saveexec_b32 s6, s13
	s_cbranch_execz .LBB139_419
.LBB139_1028:                           ;   in Loop: Header=BB139_3 Depth=1
	ds_load_b64 v[46:47], v57 offset:13536
	ds_load_b64 v[48:49], v54 offset:12496
	s_wait_dscnt 0x0
	v_fmac_f64_e32 v[44:45], v[46:47], v[48:49]
	s_or_b32 exec_lo, exec_lo, s6
	s_and_saveexec_b32 s6, s1
	s_cbranch_execnz .LBB139_420
	s_branch .LBB139_421
.LBB139_1029:                           ;   in Loop: Header=BB139_3 Depth=1
	ds_load_b64 v[46:47], v73 offset:15104
	ds_load_b64 v[48:49], v0 offset:232
	s_wait_dscnt 0x0
	v_fmac_f64_e32 v[44:45], v[46:47], v[48:49]
	s_or_b32 exec_lo, exec_lo, s6
	s_and_saveexec_b32 s6, s3
	s_cbranch_execz .LBB139_513
.LBB139_1030:                           ;   in Loop: Header=BB139_3 Depth=1
	ds_load_b64 v[46:47], v73 offset:15616
	ds_load_b64 v[48:49], v0 offset:240
	s_wait_dscnt 0x0
	v_fmac_f64_e32 v[44:45], v[46:47], v[48:49]
	s_or_b32 exec_lo, exec_lo, s6
	s_and_saveexec_b32 s6, s17
	s_cbranch_execnz .LBB139_514
	s_branch .LBB139_515
.LBB139_1031:                           ;   in Loop: Header=BB139_3 Depth=1
	ds_load_b64 v[46:47], v58 offset:17184
	ds_load_b64 v[48:49], v54 offset:16648
	s_wait_dscnt 0x0
	v_fmac_f64_e32 v[44:45], v[46:47], v[48:49]
	s_or_b32 exec_lo, exec_lo, s6
	s_and_saveexec_b32 s6, s13
	s_cbranch_execz .LBB139_555
.LBB139_1032:                           ;   in Loop: Header=BB139_3 Depth=1
	ds_load_b64 v[46:47], v57 offset:17696
	ds_load_b64 v[48:49], v54 offset:16656
	s_wait_dscnt 0x0
	v_fmac_f64_e32 v[44:45], v[46:47], v[48:49]
	s_or_b32 exec_lo, exec_lo, s6
	s_and_saveexec_b32 s6, s1
	s_cbranch_execnz .LBB139_556
	s_branch .LBB139_557
.LBB139_1033:                           ;   in Loop: Header=BB139_3 Depth=1
	ds_load_b64 v[46:47], v63 offset:17216
	ds_load_b64 v[48:49], v59 offset:16648
	s_wait_dscnt 0x0
	v_fmac_f64_e32 v[44:45], v[46:47], v[48:49]
	s_or_b32 exec_lo, exec_lo, s6
	s_and_saveexec_b32 s6, s15
	s_cbranch_execz .LBB139_593
.LBB139_1034:                           ;   in Loop: Header=BB139_3 Depth=1
	ds_load_b64 v[46:47], v63 offset:17728
	ds_load_b64 v[48:49], v59 offset:16656
	s_wait_dscnt 0x0
	v_fmac_f64_e32 v[44:45], v[46:47], v[48:49]
	s_or_b32 exec_lo, exec_lo, s6
	s_and_saveexec_b32 s6, s16
	s_cbranch_execz .LBB139_594
.LBB139_1035:                           ;   in Loop: Header=BB139_3 Depth=1
	ds_load_b64 v[46:47], v63 offset:18240
	ds_load_b64 v[48:49], v59 offset:16664
	s_wait_dscnt 0x0
	v_fmac_f64_e32 v[44:45], v[46:47], v[48:49]
	s_or_b32 exec_lo, exec_lo, s6
	s_and_saveexec_b32 s6, s17
	s_cbranch_execz .LBB139_595
.LBB139_1036:                           ;   in Loop: Header=BB139_3 Depth=1
	ds_load_b64 v[46:47], v62 offset:18752
	ds_load_b64 v[48:49], v59 offset:16672
	s_wait_dscnt 0x0
	v_fmac_f64_e32 v[44:45], v[46:47], v[48:49]
	s_or_b32 exec_lo, exec_lo, s6
	s_and_saveexec_b32 s6, s18
	s_cbranch_execz .LBB139_596
.LBB139_1037:                           ;   in Loop: Header=BB139_3 Depth=1
	ds_load_b64 v[46:47], v63 offset:19264
	ds_load_b64 v[48:49], v59 offset:16680
	s_wait_dscnt 0x0
	v_fmac_f64_e32 v[44:45], v[46:47], v[48:49]
	s_or_b32 exec_lo, exec_lo, s6
	s_and_saveexec_b32 s6, s2
	s_cbranch_execz .LBB139_597
.LBB139_1038:                           ;   in Loop: Header=BB139_3 Depth=1
	ds_load_b64 v[46:47], v62 offset:19776
	ds_load_b64 v[48:49], v59 offset:16688
	s_wait_dscnt 0x0
	v_fmac_f64_e32 v[44:45], v[46:47], v[48:49]
	s_or_b32 exec_lo, exec_lo, s6
	s_and_saveexec_b32 s6, s13
	s_cbranch_execnz .LBB139_598
	s_branch .LBB139_599
.LBB139_1039:                           ;   in Loop: Header=BB139_3 Depth=1
	ds_load_b64 v[46:47], v58 offset:21344
	ds_load_b64 v[48:49], v54 offset:20808
	s_wait_dscnt 0x0
	v_fmac_f64_e32 v[44:45], v[46:47], v[48:49]
	s_or_b32 exec_lo, exec_lo, s6
	s_and_saveexec_b32 s6, s13
	s_cbranch_execz .LBB139_651
.LBB139_1040:                           ;   in Loop: Header=BB139_3 Depth=1
	ds_load_b64 v[46:47], v57 offset:21856
	ds_load_b64 v[48:49], v54 offset:20816
	s_wait_dscnt 0x0
	v_fmac_f64_e32 v[44:45], v[46:47], v[48:49]
	s_or_b32 exec_lo, exec_lo, s6
	s_and_saveexec_b32 s6, s1
	s_cbranch_execnz .LBB139_652
	s_branch .LBB139_653
.LBB139_1041:                           ;   in Loop: Header=BB139_3 Depth=1
	ds_load_b64 v[46:47], v68 offset:22400
	ds_load_b64 v[48:49], v64 offset:16728
	s_wait_dscnt 0x0
	v_fmac_f64_e32 v[44:45], v[46:47], v[48:49]
	s_or_b32 exec_lo, exec_lo, s6
	s_and_saveexec_b32 s6, s3
	s_cbranch_execz .LBB139_709
.LBB139_1042:                           ;   in Loop: Header=BB139_3 Depth=1
	ds_load_b64 v[46:47], v67 offset:22912
	ds_load_b64 v[48:49], v64 offset:16736
	s_wait_dscnt 0x0
	v_fmac_f64_e32 v[44:45], v[46:47], v[48:49]
	s_or_b32 exec_lo, exec_lo, s6
	s_and_saveexec_b32 s6, s15
	s_cbranch_execz .LBB139_710
.LBB139_1043:                           ;   in Loop: Header=BB139_3 Depth=1
	ds_load_b64 v[46:47], v68 offset:23424
	ds_load_b64 v[48:49], v64 offset:16744
	s_wait_dscnt 0x0
	v_fmac_f64_e32 v[44:45], v[46:47], v[48:49]
	s_or_b32 exec_lo, exec_lo, s6
	s_and_saveexec_b32 s6, s17
	s_cbranch_execz .LBB139_711
.LBB139_1044:                           ;   in Loop: Header=BB139_3 Depth=1
	ds_load_b64 v[46:47], v67 offset:23936
	ds_load_b64 v[48:49], v64 offset:16752
	s_wait_dscnt 0x0
	v_fmac_f64_e32 v[44:45], v[46:47], v[48:49]
	s_or_b32 exec_lo, exec_lo, s6
	s_and_saveexec_b32 s6, s2
	s_cbranch_execnz .LBB139_712
	s_branch .LBB139_713
.LBB139_1045:                           ;   in Loop: Header=BB139_3 Depth=1
	ds_load_b64 v[46:47], v58 offset:25504
	ds_load_b64 v[48:49], v54 offset:24968
	s_wait_dscnt 0x0
	v_fmac_f64_e32 v[44:45], v[46:47], v[48:49]
	s_or_b32 exec_lo, exec_lo, s6
	s_and_saveexec_b32 s6, s13
	s_cbranch_execz .LBB139_797
.LBB139_1046:                           ;   in Loop: Header=BB139_3 Depth=1
	ds_load_b64 v[46:47], v57 offset:26016
	ds_load_b64 v[48:49], v54 offset:24976
	s_wait_dscnt 0x0
	v_fmac_f64_e32 v[44:45], v[46:47], v[48:49]
	s_or_b32 exec_lo, exec_lo, s6
	s_and_saveexec_b32 s6, s1
	s_cbranch_execnz .LBB139_798
	s_branch .LBB139_799
.LBB139_1047:                           ;   in Loop: Header=BB139_3 Depth=1
	ds_load_b64 v[46:47], v63 offset:25536
	ds_load_b64 v[48:49], v59 offset:24968
	s_wait_dscnt 0x0
	v_fmac_f64_e32 v[44:45], v[46:47], v[48:49]
	s_or_b32 exec_lo, exec_lo, s6
	s_and_saveexec_b32 s6, s15
	s_cbranch_execz .LBB139_835
.LBB139_1048:                           ;   in Loop: Header=BB139_3 Depth=1
	ds_load_b64 v[46:47], v63 offset:26048
	ds_load_b64 v[48:49], v59 offset:24976
	s_wait_dscnt 0x0
	v_fmac_f64_e32 v[44:45], v[46:47], v[48:49]
	s_or_b32 exec_lo, exec_lo, s6
	s_and_saveexec_b32 s6, s16
	s_cbranch_execz .LBB139_836
.LBB139_1049:                           ;   in Loop: Header=BB139_3 Depth=1
	ds_load_b64 v[46:47], v63 offset:26560
	ds_load_b64 v[48:49], v59 offset:24984
	s_wait_dscnt 0x0
	v_fmac_f64_e32 v[44:45], v[46:47], v[48:49]
	s_or_b32 exec_lo, exec_lo, s6
	s_and_saveexec_b32 s6, s17
	s_cbranch_execz .LBB139_837
.LBB139_1050:                           ;   in Loop: Header=BB139_3 Depth=1
	ds_load_b64 v[46:47], v62 offset:27072
	ds_load_b64 v[48:49], v59 offset:24992
	s_wait_dscnt 0x0
	v_fmac_f64_e32 v[44:45], v[46:47], v[48:49]
	s_or_b32 exec_lo, exec_lo, s6
	s_and_saveexec_b32 s6, s18
	s_cbranch_execz .LBB139_838
.LBB139_1051:                           ;   in Loop: Header=BB139_3 Depth=1
	ds_load_b64 v[46:47], v63 offset:27584
	ds_load_b64 v[48:49], v59 offset:25000
	s_wait_dscnt 0x0
	v_fmac_f64_e32 v[44:45], v[46:47], v[48:49]
	s_or_b32 exec_lo, exec_lo, s6
	s_and_saveexec_b32 s6, s2
	s_cbranch_execz .LBB139_839
.LBB139_1052:                           ;   in Loop: Header=BB139_3 Depth=1
	ds_load_b64 v[46:47], v62 offset:28096
	ds_load_b64 v[48:49], v59 offset:25008
	s_wait_dscnt 0x0
	v_fmac_f64_e32 v[44:45], v[46:47], v[48:49]
	s_or_b32 exec_lo, exec_lo, s6
	s_and_saveexec_b32 s6, s13
	s_cbranch_execnz .LBB139_840
	s_branch .LBB139_841
.LBB139_1053:                           ;   in Loop: Header=BB139_3 Depth=1
	ds_load_b64 v[46:47], v58 offset:29664
	ds_load_b64 v[48:49], v54 offset:29128
	s_wait_dscnt 0x0
	v_fmac_f64_e32 v[44:45], v[46:47], v[48:49]
	s_or_b32 exec_lo, exec_lo, s6
	s_and_saveexec_b32 s6, s13
	s_cbranch_execz .LBB139_893
.LBB139_1054:                           ;   in Loop: Header=BB139_3 Depth=1
	ds_load_b64 v[46:47], v57 offset:30176
	ds_load_b64 v[48:49], v54 offset:29136
	s_wait_dscnt 0x0
	v_fmac_f64_e32 v[44:45], v[46:47], v[48:49]
	s_or_b32 exec_lo, exec_lo, s6
	s_and_saveexec_b32 s6, s1
	s_cbranch_execnz .LBB139_894
	s_branch .LBB139_895
.LBB139_1055:
	s_endpgm
	.section	.rodata,"a",@progbits
	.p2align	6, 0x0
	.amdhsa_kernel _ZL19rocblas_trsv_deviceILi64ELi16ELb1ELb0ELb0ELb1EddPKPKdPKPdEviT7_lllT6_T8_lllPii
		.amdhsa_group_segment_fixed_size 41480
		.amdhsa_private_segment_fixed_size 0
		.amdhsa_kernarg_size 352
		.amdhsa_user_sgpr_count 2
		.amdhsa_user_sgpr_dispatch_ptr 0
		.amdhsa_user_sgpr_queue_ptr 0
		.amdhsa_user_sgpr_kernarg_segment_ptr 1
		.amdhsa_user_sgpr_dispatch_id 0
		.amdhsa_user_sgpr_kernarg_preload_length 0
		.amdhsa_user_sgpr_kernarg_preload_offset 0
		.amdhsa_user_sgpr_private_segment_size 0
		.amdhsa_wavefront_size32 1
		.amdhsa_uses_dynamic_stack 0
		.amdhsa_enable_private_segment 0
		.amdhsa_system_sgpr_workgroup_id_x 1
		.amdhsa_system_sgpr_workgroup_id_y 0
		.amdhsa_system_sgpr_workgroup_id_z 1
		.amdhsa_system_sgpr_workgroup_info 0
		.amdhsa_system_vgpr_workitem_id 1
		.amdhsa_next_free_vgpr 90
		.amdhsa_next_free_sgpr 105
		.amdhsa_named_barrier_count 0
		.amdhsa_reserve_vcc 1
		.amdhsa_float_round_mode_32 0
		.amdhsa_float_round_mode_16_64 0
		.amdhsa_float_denorm_mode_32 3
		.amdhsa_float_denorm_mode_16_64 3
		.amdhsa_fp16_overflow 0
		.amdhsa_memory_ordered 1
		.amdhsa_forward_progress 1
		.amdhsa_inst_pref_size 203
		.amdhsa_round_robin_scheduling 0
		.amdhsa_exception_fp_ieee_invalid_op 0
		.amdhsa_exception_fp_denorm_src 0
		.amdhsa_exception_fp_ieee_div_zero 0
		.amdhsa_exception_fp_ieee_overflow 0
		.amdhsa_exception_fp_ieee_underflow 0
		.amdhsa_exception_fp_ieee_inexact 0
		.amdhsa_exception_int_div_zero 0
	.end_amdhsa_kernel
	.section	.text._ZL19rocblas_trsv_deviceILi64ELi16ELb1ELb0ELb0ELb1EddPKPKdPKPdEviT7_lllT6_T8_lllPii,"axG",@progbits,_ZL19rocblas_trsv_deviceILi64ELi16ELb1ELb0ELb0ELb1EddPKPKdPKPdEviT7_lllT6_T8_lllPii,comdat
.Lfunc_end139:
	.size	_ZL19rocblas_trsv_deviceILi64ELi16ELb1ELb0ELb0ELb1EddPKPKdPKPdEviT7_lllT6_T8_lllPii, .Lfunc_end139-_ZL19rocblas_trsv_deviceILi64ELi16ELb1ELb0ELb0ELb1EddPKPKdPKPdEviT7_lllT6_T8_lllPii
                                        ; -- End function
	.set _ZL19rocblas_trsv_deviceILi64ELi16ELb1ELb0ELb0ELb1EddPKPKdPKPdEviT7_lllT6_T8_lllPii.num_vgpr, 90
	.set _ZL19rocblas_trsv_deviceILi64ELi16ELb1ELb0ELb0ELb1EddPKPKdPKPdEviT7_lllT6_T8_lllPii.num_agpr, 0
	.set _ZL19rocblas_trsv_deviceILi64ELi16ELb1ELb0ELb0ELb1EddPKPKdPKPdEviT7_lllT6_T8_lllPii.numbered_sgpr, 105
	.set _ZL19rocblas_trsv_deviceILi64ELi16ELb1ELb0ELb0ELb1EddPKPKdPKPdEviT7_lllT6_T8_lllPii.num_named_barrier, 0
	.set _ZL19rocblas_trsv_deviceILi64ELi16ELb1ELb0ELb0ELb1EddPKPKdPKPdEviT7_lllT6_T8_lllPii.private_seg_size, 0
	.set _ZL19rocblas_trsv_deviceILi64ELi16ELb1ELb0ELb0ELb1EddPKPKdPKPdEviT7_lllT6_T8_lllPii.uses_vcc, 1
	.set _ZL19rocblas_trsv_deviceILi64ELi16ELb1ELb0ELb0ELb1EddPKPKdPKPdEviT7_lllT6_T8_lllPii.uses_flat_scratch, 0
	.set _ZL19rocblas_trsv_deviceILi64ELi16ELb1ELb0ELb0ELb1EddPKPKdPKPdEviT7_lllT6_T8_lllPii.has_dyn_sized_stack, 0
	.set _ZL19rocblas_trsv_deviceILi64ELi16ELb1ELb0ELb0ELb1EddPKPKdPKPdEviT7_lllT6_T8_lllPii.has_recursion, 0
	.set _ZL19rocblas_trsv_deviceILi64ELi16ELb1ELb0ELb0ELb1EddPKPKdPKPdEviT7_lllT6_T8_lllPii.has_indirect_call, 0
	.section	.AMDGPU.csdata,"",@progbits
; Kernel info:
; codeLenInByte = 25924
; TotalNumSgprs: 107
; NumVgprs: 90
; ScratchSize: 0
; MemoryBound: 0
; FloatMode: 240
; IeeeMode: 1
; LDSByteSize: 41480 bytes/workgroup (compile time only)
; SGPRBlocks: 0
; VGPRBlocks: 5
; NumSGPRsForWavesPerEU: 107
; NumVGPRsForWavesPerEU: 90
; NamedBarCnt: 0
; Occupancy: 10
; WaveLimiterHint : 1
; COMPUTE_PGM_RSRC2:SCRATCH_EN: 0
; COMPUTE_PGM_RSRC2:USER_SGPR: 2
; COMPUTE_PGM_RSRC2:TRAP_HANDLER: 0
; COMPUTE_PGM_RSRC2:TGID_X_EN: 1
; COMPUTE_PGM_RSRC2:TGID_Y_EN: 0
; COMPUTE_PGM_RSRC2:TGID_Z_EN: 1
; COMPUTE_PGM_RSRC2:TIDIG_COMP_CNT: 1
	.section	.text._ZL19rocblas_trsv_deviceILi64ELi16ELb1ELb1ELb0ELb1EddPKPKdPKPdEviT7_lllT6_T8_lllPii,"axG",@progbits,_ZL19rocblas_trsv_deviceILi64ELi16ELb1ELb1ELb0ELb1EddPKPKdPKPdEviT7_lllT6_T8_lllPii,comdat
	.globl	_ZL19rocblas_trsv_deviceILi64ELi16ELb1ELb1ELb0ELb1EddPKPKdPKPdEviT7_lllT6_T8_lllPii ; -- Begin function _ZL19rocblas_trsv_deviceILi64ELi16ELb1ELb1ELb0ELb1EddPKPKdPKPdEviT7_lllT6_T8_lllPii
	.p2align	8
	.type	_ZL19rocblas_trsv_deviceILi64ELi16ELb1ELb1ELb0ELb1EddPKPKdPKPdEviT7_lllT6_T8_lllPii,@function
_ZL19rocblas_trsv_deviceILi64ELi16ELb1ELb1ELb0ELb1EddPKPKdPKPdEviT7_lllT6_T8_lllPii: ; @_ZL19rocblas_trsv_deviceILi64ELi16ELb1ELb1ELb0ELb1EddPKPKdPKPdEviT7_lllT6_T8_lllPii
; %bb.0:
	s_load_b32 s6, s[0:1], 0x58
	s_bfe_u32 s2, ttmp6, 0x40014
	s_lshr_b32 s3, ttmp7, 16
	s_add_co_i32 s2, s2, 1
	s_bfe_u32 s5, ttmp6, 0x40008
	s_mul_i32 s4, s3, s2
	s_getreg_b32 s2, hwreg(HW_REG_IB_STS2, 6, 4)
	s_add_co_i32 s5, s5, s4
	s_cmp_eq_u32 s2, 0
	s_mov_b32 s63, 0
	s_cselect_b32 s62, s3, s5
                                        ; implicit-def: $vgpr103 : SGPR spill to VGPR lane
	s_wait_kmcnt 0x0
	s_cmp_ge_u32 s62, s6
	v_writelane_b32 v103, s6, 0
	s_cbranch_scc1 .LBB140_1117
; %bb.1:
	s_clause 0x2
	s_load_b32 s3, s[0:1], 0x6c
	s_load_b32 s85, s[0:1], 0x60
	;; [unrolled: 1-line block ×3, first 2 shown]
	s_bfe_u32 s5, ttmp6, 0x4000c
	s_and_b32 s4, ttmp6, 15
	s_add_co_i32 s5, s5, 1
	s_clause 0x1
	s_load_b64 s[12:13], s[0:1], 0x18
	s_load_b256 s[64:71], s[0:1], 0x28
	s_mul_i32 s5, ttmp9, s5
	s_clause 0x1
	s_load_b64 s[78:79], s[0:1], 0x50
	s_load_b128 s[72:75], s[0:1], 0x8
	s_add_co_i32 s4, s4, s5
	s_cmp_eq_u32 s2, 0
	v_and_b32_e32 v6, 0x3ff, v0
	s_cselect_b32 s84, ttmp9, s4
	v_bfe_u32 v8, v0, 10, 10
	v_mov_b32_e32 v5, 0
                                        ; implicit-def: $vgpr102 : SGPR spill to VGPR lane
	v_mov_b64_e32 v[30:31], 1.0
	v_lshlrev_b32_e32 v9, 6, v6
	v_cmp_gt_u32_e64 s4, 2, v6
	s_delay_alu instid0(VALU_DEP_4)
	v_dual_mov_b32 v11, v5 :: v_dual_add_nc_u32 v4, 16, v8
	s_wait_kmcnt 0x0
	s_and_b32 s0, s3, 0xffff
	s_add_co_i32 s1, s76, -1
	s_ashr_i32 s77, s76, 31
	s_ashr_i32 s2, s1, 31
	s_lshr_b32 s3, s77, 26
	s_lshr_b32 s2, s2, 26
	s_add_co_i32 s3, s76, s3
	s_add_co_i32 s85, s85, -1
	s_add_co_i32 s1, s1, s2
	s_and_not1_b32 s3, s3, 63
	s_sub_co_i32 s42, s85, s84
	s_ashr_i32 s1, s1, 6
	s_sub_co_i32 s11, s76, s3
	s_cmp_eq_u32 s1, s42
	v_lshl_add_u32 v1, v8, 6, v6
	s_cselect_b32 s1, -1, 0
	s_cmp_lg_u32 s11, 0
	v_lshl_add_u32 v17, v4, 6, v6
	s_cselect_b32 s2, -1, 0
	v_cmp_gt_u32_e64 s44, 0x3e0, v1
	s_and_b32 s18, s2, s1
	s_add_nc_u64 s[2:3], s[12:13], 1
	s_xor_b32 s86, s18, -1
	s_cmp_lg_u32 s84, 0
	v_dual_add_nc_u32 v36, 32, v8 :: v_dual_add_nc_u32 v38, 48, v8
	s_cselect_b32 s1, -1, 0
	s_lshl_b32 s16, s42, 6
	s_cmp_lt_i32 s84, 5
	v_dual_add_nc_u32 v24, s16, v8 :: v_dual_add_nc_u32 v2, s16, v6
	v_add_nc_u32_e32 v7, v8, v9
	v_add_nc_u32_e32 v16, v4, v9
	s_cselect_b32 vcc_lo, -1, 0
	s_delay_alu instid0(VALU_DEP_3) | instskip(NEXT) | instid1(VALU_DEP_3)
	v_dual_add_nc_u32 v12, 64, v24 :: v_dual_ashrrev_i32 v3, 31, v2
	v_cndmask_b32_e32 v34, v1, v7, vcc_lo
	s_or_b32 vcc_lo, vcc_lo, s18
	s_ashr_i32 s17, s16, 31
	s_delay_alu instid0(VALU_DEP_2)
	v_ashrrev_i32_e32 v13, 31, v12
	v_dual_cndmask_b32 v35, v17, v16, vcc_lo :: v_dual_lshrrev_b32 v17, 1, v1
	v_dual_lshrrev_b32 v7, 10, v0 :: v_dual_bitop2_b32 v16, 1, v0 bitop3:0x40
	s_mul_u64 s[14:15], s[2:3], s[16:17]
	v_writelane_b32 v103, s1, 1
	v_cmp_gt_u32_e64 s1, 4, v1
	s_delay_alu instid0(VALU_DEP_3)
	v_dual_lshlrev_b32 v18, 3, v16 :: v_dual_lshlrev_b32 v52, 3, v6
	v_cmp_eq_u32_e64 s3, 1, v16
	v_lshrrev_b32_e32 v16, 2, v1
	v_bitop3_b32 v40, v0, v7, 0x3ff bitop3:0xa8
	v_lshl_add_u32 v7, v17, 3, 0x8000
	v_lshl_or_b32 v50, v17, 9, v18
	v_mul_u32_u24_e32 v51, 0x208, v17
	v_cmp_eq_u32_e64 s2, 0, v8
	v_and_b32_e32 v17, 3, v0
	v_lshlrev_b32_e32 v18, 3, v16
	v_mul_u32_u24_e32 v53, 0x208, v16
	s_xor_b32 s5, s3, -1
	s_and_b32 s90, s3, s1
	s_and_b32 s89, s5, s1
	;; [unrolled: 1-line block ×3, first 2 shown]
	v_dual_lshlrev_b32 v54, 3, v17 :: v_dual_sub_nc_u32 v19, v53, v18
	v_cmp_gt_u32_e64 s3, 16, v1
	v_cmp_eq_u32_e64 s4, 0, v17
	v_cmp_ne_u32_e64 s5, 0, v17
	s_delay_alu instid0(VALU_DEP_4)
	v_lshl_or_b32 v57, v16, 9, v54
	v_cmp_eq_u32_e64 s7, 1, v17
	v_cmp_lt_u32_e64 s8, 1, v17
	v_cmp_eq_u32_e64 s9, 2, v17
	s_and_b32 s92, s4, s3
	s_and_b32 s93, s5, s3
	v_cmp_eq_u32_e64 s4, 3, v17
	v_dual_lshrrev_b32 v16, 3, v1 :: v_dual_add_nc_u32 v58, v19, v54
	v_and_b32_e32 v17, 7, v0
	v_cmp_gt_u32_e64 s5, 4, v6
	s_and_b32 s97, s4, s3
	v_cmp_gt_u32_e64 s4, 64, v1
	s_and_b32 s94, s7, s3
	v_cmp_ne_u32_e64 s7, 0, v17
	s_and_b32 s98, s2, s5
	v_cmp_eq_u32_e64 s5, 0, v17
	s_and_b32 s95, s8, s3
	s_and_b32 s96, s9, s3
	v_cmp_eq_u32_e64 s8, 1, v17
	v_cmp_lt_u32_e64 s9, 1, v17
	s_and_b32 s99, s5, s4
	v_cmp_eq_u32_e64 s5, 2, v17
	s_and_b32 s100, s7, s4
	v_cmp_lt_u32_e64 s7, 2, v17
	s_and_b32 s101, s8, s4
	s_and_b32 s102, s9, s4
	;; [unrolled: 1-line block ×3, first 2 shown]
	v_cmp_eq_u32_e64 s5, 4, v17
	v_cmp_eq_u32_e64 s8, 3, v17
	v_cmp_lt_u32_e64 s9, 3, v17
	s_and_b32 s104, s7, s4
	v_cmp_eq_u32_e64 s7, 5, v17
	s_and_b32 s33, s5, s4
	v_cmp_lt_u32_e64 s5, 4, v17
	v_mul_u32_u24_e32 v61, 0x208, v16
	v_lshlrev_b32_e32 v63, 3, v17
	s_and_b32 vcc_hi, s8, s4
	s_and_b32 s31, s9, s4
	v_cmp_lt_u32_e64 s8, 5, v17
	v_cmp_eq_u32_e64 s9, 6, v17
	s_and_b32 s34, s5, s4
	s_and_b32 s35, s7, s4
	v_cmp_eq_u32_e64 s5, 7, v17
	v_cmp_gt_u32_e64 s7, 8, v6
	v_and_b32_e32 v17, 15, v0
	s_and_b32 s36, s8, s4
	s_and_b32 s37, s9, s4
	;; [unrolled: 1-line block ×4, first 2 shown]
	v_cmp_gt_u32_e64 s5, 0x100, v1
	v_cmp_eq_u32_e64 s7, 0, v17
	v_cmp_ne_u32_e64 s8, 0, v17
	v_cmp_eq_u32_e64 s9, 1, v17
	v_cmp_lt_u32_e64 s10, 1, v17
	v_writelane_b32 v102, s44, 0
	s_and_b32 s7, s7, s5
	s_and_b32 s8, s8, s5
	v_writelane_b32 v103, s7, 2
	v_cmp_eq_u32_e64 s7, 2, v17
	v_cmp_gt_u32_e64 s44, 0x3c0, v1
	v_dual_lshlrev_b32 v74, 3, v17 :: v_dual_bitop2_b32 v79, 31, v0 bitop3:0x40
	v_writelane_b32 v103, s8, 3
	s_and_b32 s8, s9, s5
	s_and_b32 s7, s7, s5
	v_cmp_lt_u32_e64 s9, 3, v17
	v_dual_add_nc_u32 v0, v36, v9 :: v_dual_add_nc_u32 v9, v38, v9
	v_writelane_b32 v103, s8, 4
	s_and_b32 s8, s10, s5
	v_cmp_eq_u32_e64 s10, 4, v17
	v_writelane_b32 v102, s44, 1
	v_cmp_gt_u32_e64 s44, 0x3a0, v1
	v_writelane_b32 v103, s8, 5
	v_cmp_lt_u32_e64 s8, 2, v17
	v_cmp_gt_i32_e64 s6, s11, v6
	s_xor_b32 s88, vcc_lo, -1
	v_writelane_b32 v102, s44, 2
	v_writelane_b32 v103, s7, 6
	v_cmp_eq_u32_e64 s7, 3, v17
	s_and_b32 s8, s8, s5
	v_cmp_gt_u32_e64 s44, 0x380, v1
	v_mad_u32_u24 v10, v8, s0, v6
	v_writelane_b32 v103, s8, 7
	s_and_b32 s7, s7, s5
	v_cmp_lt_u32_e64 s8, 4, v17
	v_writelane_b32 v102, s44, 3
	v_cmp_gt_u32_e64 s44, 0x360, v1
	v_writelane_b32 v103, s7, 8
	s_and_b32 s7, s9, s5
	s_and_b32 s49, s8, s5
	v_cmp_lt_u32_e64 s8, 5, v17
	v_cmp_eq_u32_e64 s9, 6, v17
	v_writelane_b32 v103, s7, 9
	s_and_b32 s7, s10, s5
	v_cmp_lt_u32_e64 s10, 6, v17
	s_and_b32 s51, s8, s5
	v_cmp_lt_u32_e64 s8, 7, v17
	v_writelane_b32 v103, s7, 10
	v_cmp_eq_u32_e64 s7, 5, v17
	s_and_b32 s52, s9, s5
	s_and_b32 s53, s10, s5
	;; [unrolled: 1-line block ×3, first 2 shown]
	v_cmp_lt_u32_e64 s8, 9, v17
	s_and_b32 s50, s7, s5
	v_cmp_eq_u32_e64 s7, 7, v17
	v_cmp_lt_u32_e64 s9, 8, v17
	v_cmp_eq_u32_e64 s10, 9, v17
	s_and_b32 s27, s8, s5
	v_cmp_lt_u32_e64 s8, 10, v17
	s_and_b32 s54, s7, s5
	v_cmp_eq_u32_e64 s7, 8, v17
	s_and_b32 s23, s9, s5
	s_and_b32 s25, s10, s5
	v_cmp_eq_u32_e64 s9, 11, v17
	v_cmp_lt_u32_e64 s10, 11, v17
	s_and_b32 s21, s7, s5
	v_cmp_eq_u32_e64 s7, 10, v17
	s_and_b32 s57, s8, s5
	v_cmp_lt_u32_e64 s8, 12, v17
	s_and_b32 s58, s9, s5
	s_and_b32 s59, s10, s5
	;; [unrolled: 1-line block ×3, first 2 shown]
	v_cmp_eq_u32_e64 s7, 12, v17
	v_cmp_lt_u32_e64 s9, 13, v17
	v_cmp_eq_u32_e64 s10, 14, v17
	s_and_b32 s20, s8, s5
	v_cmp_eq_u32_e64 s8, 15, v17
	s_and_b32 s60, s7, s5
	v_cmp_eq_u32_e64 s7, 13, v17
	v_lshl_add_u32 v17, v38, 6, v6
	v_add_nc_u32_e32 v56, 0x8000, v18
	v_and_b32_e32 v18, -8, v1
	s_and_b32 s24, s9, s5
	s_and_b32 s22, s7, s5
	v_cmp_gt_u32_e64 s7, 16, v6
	s_and_b32 s28, s8, s5
	v_sub_nc_u32_e32 v19, v61, v18
	v_lshl_or_b32 v66, v16, 9, v63
	v_lshrrev_b32_e32 v16, 4, v1
	v_cmp_le_i32_e64 s8, s11, v6
	v_cmp_gt_u32_e64 s9, 32, v6
	v_add_nc_u32_e32 v67, v19, v63
	v_add_nc_u32_e32 v65, 0x8000, v18
	v_dual_lshlrev_b32 v18, 3, v16 :: v_dual_lshrrev_b32 v25, 5, v1
	v_mul_u32_u24_e32 v73, 0x208, v16
	s_and_b32 s87, s2, s7
	s_and_b32 s61, s8, s18
	s_and_b32 s7, s2, s9
	v_add_nc_u32_e32 v76, 0x8000, v18
	v_writelane_b32 v103, s7, 11
	s_xor_b32 s7, s61, -1
	v_sub_nc_u32_e32 v19, v73, v18
	v_lshl_or_b32 v77, v16, 9, v74
	s_and_b32 s26, s10, s5
	v_dual_mov_b32 v37, v5 :: v_dual_lshlrev_b32 v80, 3, v25
	v_lshl_add_u32 v16, v36, 6, v6
	v_dual_mov_b32 v39, v5 :: v_dual_add_nc_u32 v18, 0x50, v24
	s_and_b32 s40, s2, s7
	v_cndmask_b32_e32 v41, v17, v9, vcc_lo
	v_mov_b32_e32 v9, v5
	v_cmp_le_i32_e64 s7, s11, v8
	v_cmp_le_i32_e64 s9, s11, v4
	;; [unrolled: 1-line block ×4, first 2 shown]
	s_cmp_gt_i32 s84, 0
	v_writelane_b32 v102, s44, 4
	v_cmp_gt_u32_e64 s44, 0x340, v1
	v_cmp_gt_i32_e64 s0, s76, v2
	v_mul_u64_e32 v[14:15], s[12:13], v[2:3]
	v_dual_add_nc_u32 v78, v19, v74 :: v_dual_cndmask_b32 v0, v16, v0, vcc_lo
	v_cmp_gt_i32_e32 vcc_lo, s76, v18
	v_mul_u64_e32 v[16:17], s[12:13], v[8:9]
	v_mul_u64_e32 v[18:19], s[12:13], v[4:5]
	;; [unrolled: 1-line block ×4, first 2 shown]
	s_cselect_b32 s41, -1, 0
	s_or_b32 s12, s7, s8
	s_or_b32 s9, s9, s8
	;; [unrolled: 1-line block ×4, first 2 shown]
	v_cmp_gt_i32_e64 s8, s76, v12
	s_and_b32 s6, s2, s6
	v_writelane_b32 v102, s44, 5
	v_writelane_b32 v103, s6, 12
	v_cmp_gt_u32_e64 s44, 0x320, v1
	v_add_nc_u32_e32 v28, 0x60, v24
	s_and_b32 s6, s8, s0
	v_mad_u32_u24 v55, 0x1f8, v6, v52
	v_writelane_b32 v103, s6, 13
	v_writelane_b32 v102, s44, 6
	v_cmp_gt_u32_e64 s44, 0x300, v1
	v_cmp_gt_i32_e64 s7, s76, v28
	v_add_nc_u32_e32 v28, 0x70, v24
	s_and_b32 s6, vcc_lo, s0
	v_mad_i32_i24 v59, 0xfffffe08, v6, v55
	v_writelane_b32 v103, s6, 14
	v_writelane_b32 v102, s44, 7
	v_cmp_gt_u32_e64 s44, 0x2e0, v1
	s_and_b32 s6, s7, s0
	v_cmp_gt_i32_e32 vcc_lo, s76, v28
	v_writelane_b32 v103, s6, 15
	v_cmp_le_u32_e64 s7, v6, v4
	v_writelane_b32 v102, s44, 8
	v_cmp_gt_u32_e64 s44, 0x2c0, v1
	s_and_b32 s6, vcc_lo, s0
	v_mad_u32_u24 v60, 0x1f8, v6, v59
	v_writelane_b32 v103, s6, 16
	v_cmp_le_u32_e64 s6, v6, v8
	v_writelane_b32 v102, s44, 9
	v_cmp_gt_u32_e64 s44, 0x2a0, v1
	v_cmp_gt_u32_e64 s30, 0xf0, v1
	v_mad_i32_i24 v62, 0xfffffe08, v6, v60
	s_or_b32 s8, s12, s6
	v_add_nc_u64_e32 v[26:27], s[16:17], v[10:11]
	v_writelane_b32 v102, s44, 10
	v_cmp_gt_u32_e64 s44, 0x280, v1
	v_writelane_b32 v103, s8, 17
	s_or_b32 s8, s9, s7
	v_mad_u32_u24 v64, 0x1f8, v6, v62
	v_lshlrev_b32_e32 v9, 9, v25
	v_writelane_b32 v102, s44, 11
	v_cmp_gt_u32_e64 s44, 0x260, v1
	v_writelane_b32 v103, s8, 18
	v_cmp_le_u32_e64 s8, v6, v36
	v_mad_i32_i24 v68, 0xfffffe08, v6, v64
	v_mul_u64_e32 v[24:25], s[70:71], v[2:3]
	v_writelane_b32 v102, s44, 12
	v_cmp_gt_u32_e64 s44, 0x240, v1
	s_or_b32 s9, s10, s8
	v_mad_u32_u24 v69, 0x1f8, v6, v68
	v_writelane_b32 v103, s9, 19
	v_cmp_le_u32_e64 s9, v6, v38
	v_writelane_b32 v102, s44, 13
	v_cmp_gt_u32_e64 s44, 0x220, v1
	v_mad_i32_i24 v70, 0xfffffe08, v6, v69
	v_mul_u64_e32 v[26:27], s[70:71], v[26:27]
	s_or_b32 s10, s11, s9
	v_mul_i32_i24_e32 v37, 0xfffffe08, v6
	v_writelane_b32 v103, s10, 20
	v_writelane_b32 v102, s44, 14
	v_cmp_gt_u32_e64 s44, 0x200, v1
	v_mad_u32_u24 v71, 0x1f8, v6, v70
	v_dual_lshlrev_b32 v88, 3, v0 :: v_dual_bitop2_b32 v44, v4, v6 bitop3:0x54
	v_writelane_b32 v103, s30, 21
	v_cmp_gt_u32_e64 s30, 0xe0, v1
	v_writelane_b32 v102, s44, 15
	v_cmp_gt_u32_e64 s44, 0x1e0, v1
	v_mad_i32_i24 v72, 0xfffffe08, v6, v71
	v_mad_u32_u24 v0, 0x1f8, v6, v37
	v_writelane_b32 v103, s30, 22
	v_cmp_gt_u32_e64 s30, 0xd0, v1
	v_writelane_b32 v102, s44, 16
	v_cmp_gt_u32_e64 s44, 0x1c0, v1
	v_mad_u32_u24 v75, 0x1f8, v6, v72
	v_mul_lo_u32 v0, v0, 7
	v_writelane_b32 v103, s30, 23
	v_cmp_gt_u32_e64 s30, 0xc0, v1
	v_writelane_b32 v102, s44, 17
	v_cmp_gt_u32_e64 s44, 0x1a0, v1
	v_mad_i32_i24 v11, 0xfffffe08, v6, v75
	v_lshlrev_b32_e32 v2, 3, v8
	v_writelane_b32 v103, s30, 24
	v_cmp_gt_u32_e64 s30, 0xb0, v1
	v_writelane_b32 v102, s44, 18
	v_cmp_gt_u32_e64 s44, 0x180, v1
	v_dual_lshlrev_b32 v3, 3, v79 :: v_dual_bitop2_b32 v42, v36, v6 bitop3:0x54
	s_delay_alu instid0(VALU_DEP_4) | instskip(SKIP_1) | instid1(VALU_DEP_4)
	v_writelane_b32 v103, s30, 25
	v_cmp_gt_u32_e64 s30, 0xa0, v1
	v_writelane_b32 v102, s44, 19
	v_cmp_gt_u32_e64 s44, 0x160, v1
	v_mad_u32_u24 v81, 0x1f8, v6, v11
	v_or_b32_e32 v82, 0xa000, v2
	v_writelane_b32 v103, s30, 26
	v_cmp_gt_u32_e64 s30, 0x90, v1
	v_writelane_b32 v102, s44, 20
	v_cmp_gt_u32_e64 s44, 0x140, v1
	v_dual_lshlrev_b32 v87, 3, v35 :: v_dual_bitop2_b32 v43, v38, v6 bitop3:0x54
	s_delay_alu instid0(VALU_DEP_4) | instskip(SKIP_1) | instid1(VALU_DEP_4)
	v_writelane_b32 v103, s30, 27
	v_cmp_gt_u32_e64 s30, 0x80, v1
	v_writelane_b32 v102, s44, 21
	v_cmp_gt_u32_e64 s44, 0x120, v1
	v_mov_b64_e32 v[28:29], 0
	v_cmp_lt_u32_e32 vcc_lo, 0x3ff, v1
	v_writelane_b32 v103, s30, 28
	v_cmp_gt_u32_e64 s30, 0x70, v1
	v_writelane_b32 v102, s44, 22
	v_cmp_gt_u32_e64 s44, 64, v40
	v_dual_lshlrev_b32 v86, 3, v34 :: v_dual_bitop2_b32 v83, v9, v3 bitop3:0x54
	s_delay_alu instid0(VALU_DEP_4) | instskip(SKIP_1) | instid1(VALU_DEP_4)
	v_writelane_b32 v103, s30, 29
	v_cmp_gt_u32_e64 s30, 0x60, v1
	v_writelane_b32 v102, s44, 23
	v_cmp_gt_u32_e64 s44, 64, v44
	v_add_nc_u32_e32 v84, 0x8000, v80
	v_lshl_add_u32 v85, v10, 3, 0xa000
	v_writelane_b32 v103, s30, 30
	v_cmp_gt_u32_e64 s30, 0x50, v1
	v_writelane_b32 v102, s44, 24
	v_cmp_gt_u32_e64 s44, 64, v42
	v_dual_lshlrev_b32 v89, 3, v41 :: v_dual_add_nc_u32 v91, v81, v2
	v_lshl_add_u32 v90, v1, 3, 0x8000
	v_add_nc_u32_e32 v92, 0x8000, v52
	v_lshl_add_u32 v93, v8, 9, v72
	v_dual_add_nc_u32 v94, v82, v52 :: v_dual_lshlrev_b32 v4, 3, v6
	v_or_b32_e32 v95, 0x4100, v3
	v_add3_u32 v96, v52, v0, 0x7800
	s_lshl_b64 s[80:81], s[14:15], 3
	v_subrev_nc_u32_e32 v97, 63, v6
	v_mov_b32_e32 v3, 0x3ff00000
	v_cmp_eq_u32_e64 s10, 0, v40
	v_cmp_gt_u32_e64 s11, 2, v1
	v_cmp_gt_u32_e64 s12, 12, v1
	;; [unrolled: 1-line block ×8, first 2 shown]
	v_writelane_b32 v103, s30, 31
	v_cmp_gt_u32_e64 s30, 0x400, v1
	v_cmp_eq_u32_e64 s55, 0, v10
	v_cmp_gt_u32_e64 s56, 64, v10
	v_writelane_b32 v102, s44, 25
	v_cmp_gt_u32_e64 s44, 64, v43
	s_add_co_i32 s42, s42, 1
	s_xor_b32 s43, vcc_lo, -1
	s_lshl_b64 s[74:75], s[74:75], 3
	s_lshl_b64 s[68:69], s[68:69], 3
                                        ; implicit-def: $vgpr32_vgpr33
                                        ; implicit-def: $vgpr34_vgpr35
                                        ; implicit-def: $vgpr36_vgpr37
                                        ; implicit-def: $vgpr38_vgpr39
	v_writelane_b32 v102, s44, 26
	s_branch .LBB140_3
.LBB140_2:                              ;   in Loop: Header=BB140_3 Depth=1
	s_wait_xcnt 0x0
	s_or_b32 exec_lo, exec_lo, s44
	v_readlane_b32 s44, v103, 0
	s_add_co_i32 s62, s62, 0x10000
	global_wb scope:SCOPE_DEV
	s_wait_storecnt 0x0
	global_inv scope:SCOPE_DEV
	s_cmp_lt_u32 s62, s44
	s_cbranch_scc0 .LBB140_1117
.LBB140_3:                              ; =>This Loop Header: Depth=1
                                        ;     Child Loop BB140_537 Depth 2
                                        ;     Child Loop BB140_986 Depth 2
                                        ;       Child Loop BB140_988 Depth 3
                                        ;     Child Loop BB140_1023 Depth 2
	v_mov_b32_e32 v2, s62
	v_readlane_b32 s44, v103, 1
	s_clause 0x1
	global_load_b64 v[0:1], v2, s[72:73] scale_offset
	global_load_b64 v[42:43], v2, s[66:67] scale_offset
	s_and_not1_b32 vcc_lo, exec_lo, s44
	s_wait_loadcnt 0x1
	v_add_nc_u64_e32 v[0:1], s[74:75], v[0:1]
	s_delay_alu instid0(VALU_DEP_1)
	v_lshl_add_u64 v[40:41], v[14:15], 3, v[0:1]
	s_cbranch_vccnz .LBB140_13
; %bb.4:                                ;   in Loop: Header=BB140_3 Depth=1
	v_mov_b64_e32 v[34:35], 0
	v_mov_b64_e32 v[32:33], 0
	s_delay_alu instid0(VALU_DEP_3)
	v_lshl_add_u64 v[44:45], v[12:13], 3, v[40:41]
	s_wait_loadcnt 0x0
	s_barrier_signal -1
	s_barrier_wait -1
	s_wait_xcnt 0x0
	s_mov_b32 s44, exec_lo
	v_readlane_b32 s45, v103, 13
	s_and_b32 s45, s44, s45
	s_delay_alu instid0(SALU_CYCLE_1)
	s_mov_b32 exec_lo, s45
	s_cbranch_execz .LBB140_6
; %bb.5:                                ;   in Loop: Header=BB140_3 Depth=1
	flat_load_b64 v[32:33], v[44:45]
.LBB140_6:                              ;   in Loop: Header=BB140_3 Depth=1
	s_wait_xcnt 0x0
	s_or_b32 exec_lo, exec_lo, s44
	s_wait_loadcnt_dscnt 0x0
	s_barrier_signal -1
	s_barrier_wait -1
	s_mov_b32 s44, exec_lo
	v_readlane_b32 s45, v103, 14
	s_and_b32 s45, s44, s45
	s_delay_alu instid0(SALU_CYCLE_1)
	s_mov_b32 exec_lo, s45
	s_cbranch_execz .LBB140_8
; %bb.7:                                ;   in Loop: Header=BB140_3 Depth=1
	flat_load_b64 v[34:35], v[44:45] offset:128
.LBB140_8:                              ;   in Loop: Header=BB140_3 Depth=1
	s_wait_xcnt 0x0
	s_or_b32 exec_lo, exec_lo, s44
	v_mov_b64_e32 v[38:39], 0
	v_mov_b64_e32 v[36:37], 0
	s_wait_loadcnt_dscnt 0x0
	s_barrier_signal -1
	s_barrier_wait -1
	s_mov_b32 s44, exec_lo
	v_readlane_b32 s45, v103, 15
	s_and_b32 s45, s44, s45
	s_delay_alu instid0(SALU_CYCLE_1)
	s_mov_b32 exec_lo, s45
	s_cbranch_execz .LBB140_10
; %bb.9:                                ;   in Loop: Header=BB140_3 Depth=1
	flat_load_b64 v[36:37], v[44:45] offset:256
.LBB140_10:                             ;   in Loop: Header=BB140_3 Depth=1
	s_wait_xcnt 0x0
	s_or_b32 exec_lo, exec_lo, s44
	s_wait_loadcnt_dscnt 0x0
	s_barrier_signal -1
	s_barrier_wait -1
	s_mov_b32 s44, exec_lo
	v_readlane_b32 s45, v103, 16
	s_and_b32 s45, s44, s45
	s_delay_alu instid0(SALU_CYCLE_1)
	s_mov_b32 exec_lo, s45
	s_cbranch_execz .LBB140_12
; %bb.11:                               ;   in Loop: Header=BB140_3 Depth=1
	flat_load_b64 v[38:39], v[44:45] offset:384
.LBB140_12:                             ;   in Loop: Header=BB140_3 Depth=1
	s_wait_xcnt 0x0
	s_or_b32 exec_lo, exec_lo, s44
.LBB140_13:                             ;   in Loop: Header=BB140_3 Depth=1
	v_add_nc_u64_e32 v[0:1], s[80:81], v[0:1]
	s_and_not1_b32 vcc_lo, exec_lo, s86
	s_mov_b32 s44, -1
	s_delay_alu instid0(VALU_DEP_1)
	v_add_nc_u64_e32 v[0:1], v[0:1], v[4:5]
	s_cbranch_vccnz .LBB140_24
; %bb.14:                               ;   in Loop: Header=BB140_3 Depth=1
	s_wait_xcnt 0x0
	s_and_saveexec_b32 s44, s6
	s_delay_alu instid0(SALU_CYCLE_1)
	s_xor_b32 s44, exec_lo, s44
	s_cbranch_execnz .LBB140_1045
; %bb.15:                               ;   in Loop: Header=BB140_3 Depth=1
	s_and_not1_saveexec_b32 s44, s44
	s_cbranch_execnz .LBB140_1048
.LBB140_16:                             ;   in Loop: Header=BB140_3 Depth=1
	s_or_b32 exec_lo, exec_lo, s44
	s_and_saveexec_b32 s44, s7
	s_delay_alu instid0(SALU_CYCLE_1)
	s_xor_b32 s44, exec_lo, s44
	s_cbranch_execnz .LBB140_1049
.LBB140_17:                             ;   in Loop: Header=BB140_3 Depth=1
	s_and_not1_saveexec_b32 s44, s44
	s_cbranch_execnz .LBB140_1052
.LBB140_18:                             ;   in Loop: Header=BB140_3 Depth=1
	s_or_b32 exec_lo, exec_lo, s44
	s_and_saveexec_b32 s44, s8
	s_delay_alu instid0(SALU_CYCLE_1)
	s_xor_b32 s44, exec_lo, s44
	s_cbranch_execnz .LBB140_1053
.LBB140_19:                             ;   in Loop: Header=BB140_3 Depth=1
	s_and_not1_saveexec_b32 s44, s44
	s_cbranch_execnz .LBB140_1056
.LBB140_20:                             ;   in Loop: Header=BB140_3 Depth=1
	s_or_b32 exec_lo, exec_lo, s44
	s_and_saveexec_b32 s44, s9
	s_delay_alu instid0(SALU_CYCLE_1)
	s_xor_b32 s44, exec_lo, s44
	s_cbranch_execnz .LBB140_1057
.LBB140_21:                             ;   in Loop: Header=BB140_3 Depth=1
	s_and_not1_saveexec_b32 s44, s44
	s_cbranch_execz .LBB140_23
.LBB140_22:                             ;   in Loop: Header=BB140_3 Depth=1
	v_lshl_add_u64 v[44:45], v[22:23], 3, v[0:1]
	flat_load_b64 v[44:45], v[44:45]
	s_wait_loadcnt_dscnt 0x0
	v_xor_b32_e32 v45, 0x80000000, v45
	ds_store_b64 v89, v[44:45]
.LBB140_23:                             ;   in Loop: Header=BB140_3 Depth=1
	s_or_b32 exec_lo, exec_lo, s44
	s_mov_b32 s44, 0
.LBB140_24:                             ;   in Loop: Header=BB140_3 Depth=1
	s_delay_alu instid0(SALU_CYCLE_1)
	s_and_b32 vcc_lo, exec_lo, s44
	s_cbranch_vccz .LBB140_50
; %bb.25:                               ;   in Loop: Header=BB140_3 Depth=1
	s_wait_xcnt 0x0
	s_mov_b32 s44, exec_lo
	v_readlane_b32 s45, v103, 17
	s_and_b32 s45, s44, s45
	s_delay_alu instid0(SALU_CYCLE_1)
	s_xor_b32 s44, s45, s44
	s_mov_b32 exec_lo, s45
	s_cbranch_execz .LBB140_29
; %bb.26:                               ;   in Loop: Header=BB140_3 Depth=1
	s_mov_b32 s45, exec_lo
	v_readlane_b32 s46, v102, 23
	s_and_b32 s46, s45, s46
	s_delay_alu instid0(SALU_CYCLE_1)
	s_mov_b32 exec_lo, s46
; %bb.27:                               ;   in Loop: Header=BB140_3 Depth=1
	ds_store_b64 v91, v[28:29]
; %bb.28:                               ;   in Loop: Header=BB140_3 Depth=1
	s_or_b32 exec_lo, exec_lo, s45
.LBB140_29:                             ;   in Loop: Header=BB140_3 Depth=1
	s_and_not1_saveexec_b32 s44, s44
	s_cbranch_execz .LBB140_31
; %bb.30:                               ;   in Loop: Header=BB140_3 Depth=1
	v_lshl_add_u64 v[44:45], v[16:17], 3, v[0:1]
	flat_load_b64 v[44:45], v[44:45]
	s_wait_loadcnt_dscnt 0x0
	v_xor_b32_e32 v45, 0x80000000, v45
	ds_store_b64 v91, v[44:45]
.LBB140_31:                             ;   in Loop: Header=BB140_3 Depth=1
	s_or_b32 exec_lo, exec_lo, s44
	s_delay_alu instid0(SALU_CYCLE_1) | instskip(SKIP_2) | instid1(SALU_CYCLE_1)
	s_mov_b32 s44, exec_lo
	v_readlane_b32 s45, v103, 18
	s_and_b32 s45, s44, s45
	s_xor_b32 s44, s45, s44
	s_mov_b32 exec_lo, s45
	s_cbranch_execz .LBB140_35
; %bb.32:                               ;   in Loop: Header=BB140_3 Depth=1
	s_mov_b32 s45, exec_lo
	v_readlane_b32 s46, v102, 24
	s_and_b32 s46, s45, s46
	s_delay_alu instid0(SALU_CYCLE_1)
	s_mov_b32 exec_lo, s46
; %bb.33:                               ;   in Loop: Header=BB140_3 Depth=1
	ds_store_b64 v87, v[28:29]
; %bb.34:                               ;   in Loop: Header=BB140_3 Depth=1
	s_or_b32 exec_lo, exec_lo, s45
.LBB140_35:                             ;   in Loop: Header=BB140_3 Depth=1
	s_and_not1_saveexec_b32 s44, s44
	s_cbranch_execz .LBB140_37
; %bb.36:                               ;   in Loop: Header=BB140_3 Depth=1
	v_lshl_add_u64 v[44:45], v[18:19], 3, v[0:1]
	flat_load_b64 v[44:45], v[44:45]
	s_wait_loadcnt_dscnt 0x0
	v_xor_b32_e32 v45, 0x80000000, v45
	ds_store_b64 v87, v[44:45]
.LBB140_37:                             ;   in Loop: Header=BB140_3 Depth=1
	s_or_b32 exec_lo, exec_lo, s44
	s_delay_alu instid0(SALU_CYCLE_1) | instskip(SKIP_2) | instid1(SALU_CYCLE_1)
	s_mov_b32 s44, exec_lo
	v_readlane_b32 s45, v103, 19
	s_and_b32 s45, s44, s45
	;; [unrolled: 28-line block ×3, first 2 shown]
	s_xor_b32 s44, s45, s44
	s_mov_b32 exec_lo, s45
	s_cbranch_execz .LBB140_47
; %bb.44:                               ;   in Loop: Header=BB140_3 Depth=1
	s_mov_b32 s45, exec_lo
	v_readlane_b32 s46, v102, 26
	s_and_b32 s46, s45, s46
	s_delay_alu instid0(SALU_CYCLE_1)
	s_mov_b32 exec_lo, s46
; %bb.45:                               ;   in Loop: Header=BB140_3 Depth=1
	ds_store_b64 v89, v[28:29]
; %bb.46:                               ;   in Loop: Header=BB140_3 Depth=1
	s_or_b32 exec_lo, exec_lo, s45
                                        ; implicit-def: $vgpr0_vgpr1
.LBB140_47:                             ;   in Loop: Header=BB140_3 Depth=1
	s_and_not1_saveexec_b32 s44, s44
	s_cbranch_execz .LBB140_49
; %bb.48:                               ;   in Loop: Header=BB140_3 Depth=1
	v_lshl_add_u64 v[0:1], v[22:23], 3, v[0:1]
	flat_load_b64 v[0:1], v[0:1]
	s_wait_loadcnt_dscnt 0x0
	v_xor_b32_e32 v1, 0x80000000, v1
	ds_store_b64 v89, v[0:1]
.LBB140_49:                             ;   in Loop: Header=BB140_3 Depth=1
	s_or_b32 exec_lo, exec_lo, s44
.LBB140_50:                             ;   in Loop: Header=BB140_3 Depth=1
	s_delay_alu instid0(SALU_CYCLE_1)
	s_and_not1_b32 vcc_lo, exec_lo, s88
	s_wait_loadcnt_dscnt 0x0
	s_barrier_signal -1
	s_barrier_wait -1
	s_cbranch_vccnz .LBB140_980
; %bb.51:                               ;   in Loop: Header=BB140_3 Depth=1
	s_wait_xcnt 0x0
	s_and_saveexec_b32 s44, s10
	s_cbranch_execz .LBB140_53
; %bb.52:                               ;   in Loop: Header=BB140_3 Depth=1
	ds_load_b64 v[0:1], v5 offset:8
	v_mov_b32_e32 v2, v5
	ds_store_b64 v5, v[30:31]
	s_wait_dscnt 0x1
	ds_store_b128 v5, v[0:3] offset:512
.LBB140_53:                             ;   in Loop: Header=BB140_3 Depth=1
	s_or_b32 exec_lo, exec_lo, s44
	v_mov_b64_e32 v[0:1], 0
	s_wait_dscnt 0x0
	s_barrier_signal -1
	s_barrier_wait -1
	s_and_saveexec_b32 s44, s1
	s_cbranch_execz .LBB140_57
; %bb.54:                               ;   in Loop: Header=BB140_3 Depth=1
	ds_load_b64 v[0:1], v50 offset:16
	ds_load_b64 v[44:45], v51
	s_wait_dscnt 0x0
	v_fma_f64 v[0:1], v[0:1], v[44:45], 0
	s_and_saveexec_b32 s45, s11
	s_cbranch_execz .LBB140_56
; %bb.55:                               ;   in Loop: Header=BB140_3 Depth=1
	ds_load_b64 v[44:45], v52 offset:528
	ds_load_b64 v[46:47], v5 offset:8
	s_wait_dscnt 0x0
	v_fmac_f64_e32 v[0:1], v[44:45], v[46:47]
.LBB140_56:                             ;   in Loop: Header=BB140_3 Depth=1
	s_or_b32 exec_lo, exec_lo, s45
	s_delay_alu instid0(VALU_DEP_1)
	v_xor_b32_e32 v1, 0x80000000, v1
.LBB140_57:                             ;   in Loop: Header=BB140_3 Depth=1
	s_or_b32 exec_lo, exec_lo, s44
	s_and_saveexec_b32 s44, s89
; %bb.58:                               ;   in Loop: Header=BB140_3 Depth=1
	ds_store_b64 v7, v[0:1]
; %bb.59:                               ;   in Loop: Header=BB140_3 Depth=1
	s_or_b32 exec_lo, exec_lo, s44
	s_wait_dscnt 0x0
	s_barrier_signal -1
	s_barrier_wait -1
	s_and_saveexec_b32 s44, s90
	s_cbranch_execz .LBB140_61
; %bb.60:                               ;   in Loop: Header=BB140_3 Depth=1
	ds_load_b64 v[44:45], v5 offset:1048
	ds_load_b64 v[46:47], v7
	s_wait_dscnt 0x0
	v_fmac_f64_e32 v[0:1], v[44:45], v[46:47]
.LBB140_61:                             ;   in Loop: Header=BB140_3 Depth=1
	s_or_b32 exec_lo, exec_lo, s44
	s_barrier_signal -1
	s_barrier_wait -1
	s_and_saveexec_b32 s44, s90
; %bb.62:                               ;   in Loop: Header=BB140_3 Depth=1
	ds_store_b64 v7, v[0:1]
; %bb.63:                               ;   in Loop: Header=BB140_3 Depth=1
	s_or_b32 exec_lo, exec_lo, s44
	s_wait_dscnt 0x0
	s_barrier_signal -1
	s_barrier_wait -1
	s_barrier_signal -1
	s_barrier_wait -1
	s_and_saveexec_b32 s44, s1
; %bb.64:                               ;   in Loop: Header=BB140_3 Depth=1
	v_xor_b32_e32 v1, 0x80000000, v1
	ds_store_b64 v50, v[0:1] offset:16
; %bb.65:                               ;   in Loop: Header=BB140_3 Depth=1
	s_or_b32 exec_lo, exec_lo, s44
	s_wait_dscnt 0x0
	s_barrier_signal -1
	s_barrier_wait -1
	s_barrier_signal -1
	s_barrier_wait -1
	s_and_saveexec_b32 s44, s91
	s_cbranch_execz .LBB140_67
; %bb.66:                               ;   in Loop: Header=BB140_3 Depth=1
	ds_load_b64 v[0:1], v55 offset:16
	s_wait_dscnt 0x0
	ds_store_b64 v52, v[0:1] offset:1024
	ds_load_b64 v[0:1], v55 offset:24
	s_wait_dscnt 0x0
	ds_store_b64 v52, v[0:1] offset:1536
.LBB140_67:                             ;   in Loop: Header=BB140_3 Depth=1
	s_or_b32 exec_lo, exec_lo, s44
	s_wait_dscnt 0x0
	s_barrier_signal -1
	s_barrier_wait -1
	s_and_saveexec_b32 s44, s10
	s_cbranch_execz .LBB140_69
; %bb.68:                               ;   in Loop: Header=BB140_3 Depth=1
	ds_load_b64 v[0:1], v5 offset:1048
	v_mov_b32_e32 v2, v5
	ds_store_b64 v5, v[30:31] offset:1040
	s_wait_dscnt 0x1
	ds_store_b128 v5, v[0:3] offset:1552
.LBB140_69:                             ;   in Loop: Header=BB140_3 Depth=1
	s_or_b32 exec_lo, exec_lo, s44
	v_mov_b64_e32 v[0:1], 0
	s_wait_dscnt 0x0
	s_barrier_signal -1
	s_barrier_wait -1
	s_and_saveexec_b32 s44, s3
	s_cbranch_execz .LBB140_75
; %bb.70:                               ;   in Loop: Header=BB140_3 Depth=1
	ds_load_b64 v[0:1], v57 offset:32
	ds_load_b64 v[44:45], v53
	s_wait_dscnt 0x0
	v_fma_f64 v[0:1], v[0:1], v[44:45], 0
	s_and_saveexec_b32 s45, s12
	s_cbranch_execnz .LBB140_1067
; %bb.71:                               ;   in Loop: Header=BB140_3 Depth=1
	s_or_b32 exec_lo, exec_lo, s45
	s_and_saveexec_b32 s45, s13
	s_cbranch_execnz .LBB140_1068
.LBB140_72:                             ;   in Loop: Header=BB140_3 Depth=1
	s_or_b32 exec_lo, exec_lo, s45
	s_and_saveexec_b32 s45, s1
	s_cbranch_execz .LBB140_74
.LBB140_73:                             ;   in Loop: Header=BB140_3 Depth=1
	ds_load_b64 v[44:45], v59 offset:1568
	ds_load_b64 v[46:47], v5 offset:24
	s_wait_dscnt 0x0
	v_fmac_f64_e32 v[0:1], v[44:45], v[46:47]
.LBB140_74:                             ;   in Loop: Header=BB140_3 Depth=1
	s_or_b32 exec_lo, exec_lo, s45
	s_delay_alu instid0(VALU_DEP_1)
	v_xor_b32_e32 v1, 0x80000000, v1
.LBB140_75:                             ;   in Loop: Header=BB140_3 Depth=1
	s_or_b32 exec_lo, exec_lo, s44
	s_and_saveexec_b32 s44, s92
; %bb.76:                               ;   in Loop: Header=BB140_3 Depth=1
	ds_store_b64 v56, v[0:1]
; %bb.77:                               ;   in Loop: Header=BB140_3 Depth=1
	s_or_b32 exec_lo, exec_lo, s44
	s_wait_dscnt 0x0
	s_barrier_signal -1
	s_barrier_wait -1
	s_and_saveexec_b32 s44, s93
	s_cbranch_execz .LBB140_79
; %bb.78:                               ;   in Loop: Header=BB140_3 Depth=1
	ds_load_b64 v[44:45], v54 offset:2080
	ds_load_b64 v[46:47], v56
	s_wait_dscnt 0x0
	v_fmac_f64_e32 v[0:1], v[44:45], v[46:47]
.LBB140_79:                             ;   in Loop: Header=BB140_3 Depth=1
	s_or_b32 exec_lo, exec_lo, s44
	s_barrier_signal -1
	s_barrier_wait -1
	s_and_saveexec_b32 s44, s94
; %bb.80:                               ;   in Loop: Header=BB140_3 Depth=1
	ds_store_b64 v56, v[0:1]
; %bb.81:                               ;   in Loop: Header=BB140_3 Depth=1
	s_or_b32 exec_lo, exec_lo, s44
	s_wait_dscnt 0x0
	s_barrier_signal -1
	s_barrier_wait -1
	s_and_saveexec_b32 s44, s95
	s_cbranch_execz .LBB140_83
; %bb.82:                               ;   in Loop: Header=BB140_3 Depth=1
	ds_load_b64 v[44:45], v54 offset:2592
	ds_load_b64 v[46:47], v56
	s_wait_dscnt 0x0
	v_fmac_f64_e32 v[0:1], v[44:45], v[46:47]
.LBB140_83:                             ;   in Loop: Header=BB140_3 Depth=1
	s_or_b32 exec_lo, exec_lo, s44
	s_barrier_signal -1
	s_barrier_wait -1
	;; [unrolled: 19-line block ×3, first 2 shown]
	s_and_saveexec_b32 s44, s97
; %bb.88:                               ;   in Loop: Header=BB140_3 Depth=1
	ds_store_b64 v56, v[0:1]
; %bb.89:                               ;   in Loop: Header=BB140_3 Depth=1
	s_or_b32 exec_lo, exec_lo, s44
	s_wait_dscnt 0x0
	s_barrier_signal -1
	s_barrier_wait -1
	s_barrier_signal -1
	s_barrier_wait -1
	s_and_saveexec_b32 s44, s3
; %bb.90:                               ;   in Loop: Header=BB140_3 Depth=1
	v_xor_b32_e32 v1, 0x80000000, v1
	ds_store_b64 v57, v[0:1] offset:32
; %bb.91:                               ;   in Loop: Header=BB140_3 Depth=1
	s_or_b32 exec_lo, exec_lo, s44
	s_wait_dscnt 0x0
	s_barrier_signal -1
	s_barrier_wait -1
	s_barrier_signal -1
	s_barrier_wait -1
	s_and_saveexec_b32 s44, s98
	s_cbranch_execz .LBB140_93
; %bb.92:                               ;   in Loop: Header=BB140_3 Depth=1
	ds_load_b64 v[0:1], v60 offset:32
	s_wait_dscnt 0x0
	ds_store_b64 v62, v[0:1] offset:2048
	ds_load_b64 v[0:1], v60 offset:40
	s_wait_dscnt 0x0
	ds_store_b64 v62, v[0:1] offset:2560
	;; [unrolled: 3-line block ×4, first 2 shown]
.LBB140_93:                             ;   in Loop: Header=BB140_3 Depth=1
	s_or_b32 exec_lo, exec_lo, s44
	s_wait_dscnt 0x0
	s_barrier_signal -1
	s_barrier_wait -1
	s_and_saveexec_b32 s44, s10
	s_cbranch_execz .LBB140_95
; %bb.94:                               ;   in Loop: Header=BB140_3 Depth=1
	ds_load_b64 v[0:1], v5 offset:2088
	v_mov_b32_e32 v2, v5
	ds_store_b64 v5, v[30:31] offset:2080
	s_wait_dscnt 0x1
	ds_store_b128 v5, v[0:3] offset:2592
.LBB140_95:                             ;   in Loop: Header=BB140_3 Depth=1
	s_or_b32 exec_lo, exec_lo, s44
	v_mov_b64_e32 v[0:1], 0
	s_wait_dscnt 0x0
	s_barrier_signal -1
	s_barrier_wait -1
	s_and_saveexec_b32 s44, s1
	s_cbranch_execz .LBB140_99
; %bb.96:                               ;   in Loop: Header=BB140_3 Depth=1
	ds_load_b64 v[0:1], v50 offset:2096
	ds_load_b64 v[44:45], v51 offset:2080
	s_wait_dscnt 0x0
	v_fma_f64 v[0:1], v[0:1], v[44:45], 0
	s_and_saveexec_b32 s45, s11
	s_cbranch_execz .LBB140_98
; %bb.97:                               ;   in Loop: Header=BB140_3 Depth=1
	ds_load_b64 v[44:45], v62 offset:2608
	ds_load_b64 v[46:47], v5 offset:2088
	s_wait_dscnt 0x0
	v_fmac_f64_e32 v[0:1], v[44:45], v[46:47]
.LBB140_98:                             ;   in Loop: Header=BB140_3 Depth=1
	s_or_b32 exec_lo, exec_lo, s45
	s_delay_alu instid0(VALU_DEP_1)
	v_xor_b32_e32 v1, 0x80000000, v1
.LBB140_99:                             ;   in Loop: Header=BB140_3 Depth=1
	s_or_b32 exec_lo, exec_lo, s44
	s_and_saveexec_b32 s44, s89
; %bb.100:                              ;   in Loop: Header=BB140_3 Depth=1
	ds_store_b64 v7, v[0:1]
; %bb.101:                              ;   in Loop: Header=BB140_3 Depth=1
	s_or_b32 exec_lo, exec_lo, s44
	s_wait_dscnt 0x0
	s_barrier_signal -1
	s_barrier_wait -1
	s_and_saveexec_b32 s44, s90
	s_cbranch_execz .LBB140_103
; %bb.102:                              ;   in Loop: Header=BB140_3 Depth=1
	ds_load_b64 v[44:45], v5 offset:3128
	ds_load_b64 v[46:47], v7
	s_wait_dscnt 0x0
	v_fmac_f64_e32 v[0:1], v[44:45], v[46:47]
.LBB140_103:                            ;   in Loop: Header=BB140_3 Depth=1
	s_or_b32 exec_lo, exec_lo, s44
	s_barrier_signal -1
	s_barrier_wait -1
	s_and_saveexec_b32 s44, s90
; %bb.104:                              ;   in Loop: Header=BB140_3 Depth=1
	ds_store_b64 v7, v[0:1]
; %bb.105:                              ;   in Loop: Header=BB140_3 Depth=1
	s_or_b32 exec_lo, exec_lo, s44
	s_wait_dscnt 0x0
	s_barrier_signal -1
	s_barrier_wait -1
	s_barrier_signal -1
	s_barrier_wait -1
	s_and_saveexec_b32 s44, s1
; %bb.106:                              ;   in Loop: Header=BB140_3 Depth=1
	v_xor_b32_e32 v1, 0x80000000, v1
	ds_store_b64 v50, v[0:1] offset:2096
; %bb.107:                              ;   in Loop: Header=BB140_3 Depth=1
	s_or_b32 exec_lo, exec_lo, s44
	s_wait_dscnt 0x0
	s_barrier_signal -1
	s_barrier_wait -1
	s_barrier_signal -1
	s_barrier_wait -1
	s_and_saveexec_b32 s44, s91
	s_cbranch_execz .LBB140_109
; %bb.108:                              ;   in Loop: Header=BB140_3 Depth=1
	ds_load_b64 v[0:1], v64 offset:2096
	s_wait_dscnt 0x0
	ds_store_b64 v62, v[0:1] offset:3104
	ds_load_b64 v[0:1], v64 offset:2104
	s_wait_dscnt 0x0
	ds_store_b64 v62, v[0:1] offset:3616
.LBB140_109:                            ;   in Loop: Header=BB140_3 Depth=1
	s_or_b32 exec_lo, exec_lo, s44
	s_wait_dscnt 0x0
	s_barrier_signal -1
	s_barrier_wait -1
	s_and_saveexec_b32 s44, s10
	s_cbranch_execz .LBB140_111
; %bb.110:                              ;   in Loop: Header=BB140_3 Depth=1
	ds_load_b64 v[0:1], v5 offset:3128
	v_mov_b32_e32 v2, v5
	ds_store_b64 v5, v[30:31] offset:3120
	s_wait_dscnt 0x1
	ds_store_b128 v5, v[0:3] offset:3632
.LBB140_111:                            ;   in Loop: Header=BB140_3 Depth=1
	s_or_b32 exec_lo, exec_lo, s44
	v_mov_b64_e32 v[0:1], 0
	s_wait_dscnt 0x0
	s_barrier_signal -1
	s_barrier_wait -1
	s_and_saveexec_b32 s44, s4
	s_cbranch_execz .LBB140_121
; %bb.112:                              ;   in Loop: Header=BB140_3 Depth=1
	ds_load_b64 v[0:1], v66 offset:64
	ds_load_b64 v[44:45], v61
	s_wait_dscnt 0x0
	v_fma_f64 v[0:1], v[0:1], v[44:45], 0
	s_and_saveexec_b32 s45, s14
	s_cbranch_execnz .LBB140_1069
; %bb.113:                              ;   in Loop: Header=BB140_3 Depth=1
	s_or_b32 exec_lo, exec_lo, s45
	s_and_saveexec_b32 s45, s15
	s_cbranch_execnz .LBB140_1070
.LBB140_114:                            ;   in Loop: Header=BB140_3 Depth=1
	s_or_b32 exec_lo, exec_lo, s45
	s_and_saveexec_b32 s45, s16
	s_cbranch_execnz .LBB140_1071
.LBB140_115:                            ;   in Loop: Header=BB140_3 Depth=1
	s_or_b32 exec_lo, exec_lo, s45
	s_and_saveexec_b32 s45, s17
	s_cbranch_execnz .LBB140_1072
.LBB140_116:                            ;   in Loop: Header=BB140_3 Depth=1
	s_or_b32 exec_lo, exec_lo, s45
	s_and_saveexec_b32 s45, s18
	s_cbranch_execnz .LBB140_1073
.LBB140_117:                            ;   in Loop: Header=BB140_3 Depth=1
	s_or_b32 exec_lo, exec_lo, s45
	s_and_saveexec_b32 s45, s3
	s_cbranch_execnz .LBB140_1074
.LBB140_118:                            ;   in Loop: Header=BB140_3 Depth=1
	s_or_b32 exec_lo, exec_lo, s45
	s_and_saveexec_b32 s45, s13
	s_cbranch_execz .LBB140_120
.LBB140_119:                            ;   in Loop: Header=BB140_3 Depth=1
	ds_load_b64 v[44:45], v68 offset:3648
	ds_load_b64 v[46:47], v5 offset:56
	s_wait_dscnt 0x0
	v_fmac_f64_e32 v[0:1], v[44:45], v[46:47]
.LBB140_120:                            ;   in Loop: Header=BB140_3 Depth=1
	s_or_b32 exec_lo, exec_lo, s45
	s_delay_alu instid0(VALU_DEP_1)
	v_xor_b32_e32 v1, 0x80000000, v1
.LBB140_121:                            ;   in Loop: Header=BB140_3 Depth=1
	s_or_b32 exec_lo, exec_lo, s44
	s_and_saveexec_b32 s44, s99
; %bb.122:                              ;   in Loop: Header=BB140_3 Depth=1
	ds_store_b64 v65, v[0:1]
; %bb.123:                              ;   in Loop: Header=BB140_3 Depth=1
	s_or_b32 exec_lo, exec_lo, s44
	s_wait_dscnt 0x0
	s_barrier_signal -1
	s_barrier_wait -1
	s_and_saveexec_b32 s44, s100
	s_cbranch_execz .LBB140_125
; %bb.124:                              ;   in Loop: Header=BB140_3 Depth=1
	ds_load_b64 v[44:45], v63 offset:4160
	ds_load_b64 v[46:47], v65
	s_wait_dscnt 0x0
	v_fmac_f64_e32 v[0:1], v[44:45], v[46:47]
.LBB140_125:                            ;   in Loop: Header=BB140_3 Depth=1
	s_or_b32 exec_lo, exec_lo, s44
	s_barrier_signal -1
	s_barrier_wait -1
	s_and_saveexec_b32 s44, s101
; %bb.126:                              ;   in Loop: Header=BB140_3 Depth=1
	ds_store_b64 v65, v[0:1]
; %bb.127:                              ;   in Loop: Header=BB140_3 Depth=1
	s_or_b32 exec_lo, exec_lo, s44
	s_wait_dscnt 0x0
	s_barrier_signal -1
	s_barrier_wait -1
	s_and_saveexec_b32 s44, s102
	s_cbranch_execz .LBB140_129
; %bb.128:                              ;   in Loop: Header=BB140_3 Depth=1
	ds_load_b64 v[44:45], v63 offset:4672
	ds_load_b64 v[46:47], v65
	s_wait_dscnt 0x0
	v_fmac_f64_e32 v[0:1], v[44:45], v[46:47]
.LBB140_129:                            ;   in Loop: Header=BB140_3 Depth=1
	s_or_b32 exec_lo, exec_lo, s44
	s_barrier_signal -1
	s_barrier_wait -1
	;; [unrolled: 19-line block ×3, first 2 shown]
	s_and_saveexec_b32 s44, vcc_hi
; %bb.134:                              ;   in Loop: Header=BB140_3 Depth=1
	ds_store_b64 v65, v[0:1]
; %bb.135:                              ;   in Loop: Header=BB140_3 Depth=1
	s_or_b32 exec_lo, exec_lo, s44
	s_wait_dscnt 0x0
	s_barrier_signal -1
	s_barrier_wait -1
	s_and_saveexec_b32 s44, s31
	s_cbranch_execz .LBB140_137
; %bb.136:                              ;   in Loop: Header=BB140_3 Depth=1
	ds_load_b64 v[44:45], v63 offset:5696
	ds_load_b64 v[46:47], v65
	s_wait_dscnt 0x0
	v_fmac_f64_e32 v[0:1], v[44:45], v[46:47]
.LBB140_137:                            ;   in Loop: Header=BB140_3 Depth=1
	s_or_b32 exec_lo, exec_lo, s44
	s_barrier_signal -1
	s_barrier_wait -1
	s_and_saveexec_b32 s44, s33
; %bb.138:                              ;   in Loop: Header=BB140_3 Depth=1
	ds_store_b64 v65, v[0:1]
; %bb.139:                              ;   in Loop: Header=BB140_3 Depth=1
	s_or_b32 exec_lo, exec_lo, s44
	s_wait_dscnt 0x0
	s_barrier_signal -1
	s_barrier_wait -1
	s_and_saveexec_b32 s44, s34
	s_cbranch_execz .LBB140_141
; %bb.140:                              ;   in Loop: Header=BB140_3 Depth=1
	ds_load_b64 v[44:45], v63 offset:6208
	ds_load_b64 v[46:47], v65
	s_wait_dscnt 0x0
	v_fmac_f64_e32 v[0:1], v[44:45], v[46:47]
.LBB140_141:                            ;   in Loop: Header=BB140_3 Depth=1
	s_or_b32 exec_lo, exec_lo, s44
	s_barrier_signal -1
	s_barrier_wait -1
	s_and_saveexec_b32 s44, s35
	;; [unrolled: 19-line block ×4, first 2 shown]
; %bb.150:                              ;   in Loop: Header=BB140_3 Depth=1
	ds_store_b64 v65, v[0:1]
; %bb.151:                              ;   in Loop: Header=BB140_3 Depth=1
	s_or_b32 exec_lo, exec_lo, s44
	s_wait_dscnt 0x0
	s_barrier_signal -1
	s_barrier_wait -1
	s_barrier_signal -1
	s_barrier_wait -1
	s_and_saveexec_b32 s44, s4
; %bb.152:                              ;   in Loop: Header=BB140_3 Depth=1
	v_xor_b32_e32 v1, 0x80000000, v1
	ds_store_b64 v66, v[0:1] offset:64
; %bb.153:                              ;   in Loop: Header=BB140_3 Depth=1
	s_or_b32 exec_lo, exec_lo, s44
	s_wait_dscnt 0x0
	s_barrier_signal -1
	s_barrier_wait -1
	s_barrier_signal -1
	s_barrier_wait -1
	s_and_saveexec_b32 s44, s39
	s_cbranch_execz .LBB140_155
; %bb.154:                              ;   in Loop: Header=BB140_3 Depth=1
	ds_load_b64 v[0:1], v69 offset:64
	s_wait_dscnt 0x0
	ds_store_b64 v70, v[0:1] offset:4096
	ds_load_b64 v[0:1], v69 offset:72
	s_wait_dscnt 0x0
	ds_store_b64 v70, v[0:1] offset:4608
	;; [unrolled: 3-line block ×8, first 2 shown]
.LBB140_155:                            ;   in Loop: Header=BB140_3 Depth=1
	s_or_b32 exec_lo, exec_lo, s44
	s_wait_dscnt 0x0
	s_barrier_signal -1
	s_barrier_wait -1
	s_and_saveexec_b32 s44, s10
	s_cbranch_execz .LBB140_157
; %bb.156:                              ;   in Loop: Header=BB140_3 Depth=1
	ds_load_b64 v[0:1], v5 offset:4168
	v_mov_b32_e32 v2, v5
	ds_store_b64 v5, v[30:31] offset:4160
	s_wait_dscnt 0x1
	ds_store_b128 v5, v[0:3] offset:4672
.LBB140_157:                            ;   in Loop: Header=BB140_3 Depth=1
	s_or_b32 exec_lo, exec_lo, s44
	v_mov_b64_e32 v[0:1], 0
	s_wait_dscnt 0x0
	s_barrier_signal -1
	s_barrier_wait -1
	s_and_saveexec_b32 s44, s1
	s_cbranch_execz .LBB140_161
; %bb.158:                              ;   in Loop: Header=BB140_3 Depth=1
	ds_load_b64 v[0:1], v50 offset:4176
	ds_load_b64 v[44:45], v51 offset:4160
	s_wait_dscnt 0x0
	v_fma_f64 v[0:1], v[0:1], v[44:45], 0
	s_and_saveexec_b32 s45, s11
	s_cbranch_execz .LBB140_160
; %bb.159:                              ;   in Loop: Header=BB140_3 Depth=1
	ds_load_b64 v[44:45], v70 offset:4688
	ds_load_b64 v[46:47], v5 offset:4168
	s_wait_dscnt 0x0
	v_fmac_f64_e32 v[0:1], v[44:45], v[46:47]
.LBB140_160:                            ;   in Loop: Header=BB140_3 Depth=1
	s_or_b32 exec_lo, exec_lo, s45
	s_delay_alu instid0(VALU_DEP_1)
	v_xor_b32_e32 v1, 0x80000000, v1
.LBB140_161:                            ;   in Loop: Header=BB140_3 Depth=1
	s_or_b32 exec_lo, exec_lo, s44
	s_and_saveexec_b32 s44, s89
; %bb.162:                              ;   in Loop: Header=BB140_3 Depth=1
	ds_store_b64 v7, v[0:1]
; %bb.163:                              ;   in Loop: Header=BB140_3 Depth=1
	s_or_b32 exec_lo, exec_lo, s44
	s_wait_dscnt 0x0
	s_barrier_signal -1
	s_barrier_wait -1
	s_and_saveexec_b32 s44, s90
	s_cbranch_execz .LBB140_165
; %bb.164:                              ;   in Loop: Header=BB140_3 Depth=1
	ds_load_b64 v[44:45], v5 offset:5208
	ds_load_b64 v[46:47], v7
	s_wait_dscnt 0x0
	v_fmac_f64_e32 v[0:1], v[44:45], v[46:47]
.LBB140_165:                            ;   in Loop: Header=BB140_3 Depth=1
	s_or_b32 exec_lo, exec_lo, s44
	s_barrier_signal -1
	s_barrier_wait -1
	s_and_saveexec_b32 s44, s90
; %bb.166:                              ;   in Loop: Header=BB140_3 Depth=1
	ds_store_b64 v7, v[0:1]
; %bb.167:                              ;   in Loop: Header=BB140_3 Depth=1
	s_or_b32 exec_lo, exec_lo, s44
	s_wait_dscnt 0x0
	s_barrier_signal -1
	s_barrier_wait -1
	s_barrier_signal -1
	s_barrier_wait -1
	s_and_saveexec_b32 s44, s1
; %bb.168:                              ;   in Loop: Header=BB140_3 Depth=1
	v_xor_b32_e32 v1, 0x80000000, v1
	ds_store_b64 v50, v[0:1] offset:4176
; %bb.169:                              ;   in Loop: Header=BB140_3 Depth=1
	s_or_b32 exec_lo, exec_lo, s44
	s_wait_dscnt 0x0
	s_barrier_signal -1
	s_barrier_wait -1
	s_barrier_signal -1
	s_barrier_wait -1
	s_and_saveexec_b32 s44, s91
	s_cbranch_execz .LBB140_171
; %bb.170:                              ;   in Loop: Header=BB140_3 Depth=1
	ds_load_b64 v[0:1], v71 offset:4176
	s_wait_dscnt 0x0
	ds_store_b64 v70, v[0:1] offset:5184
	ds_load_b64 v[0:1], v71 offset:4184
	s_wait_dscnt 0x0
	ds_store_b64 v70, v[0:1] offset:5696
.LBB140_171:                            ;   in Loop: Header=BB140_3 Depth=1
	s_or_b32 exec_lo, exec_lo, s44
	s_wait_dscnt 0x0
	s_barrier_signal -1
	s_barrier_wait -1
	s_and_saveexec_b32 s44, s10
	s_cbranch_execz .LBB140_173
; %bb.172:                              ;   in Loop: Header=BB140_3 Depth=1
	ds_load_b64 v[0:1], v5 offset:5208
	v_mov_b32_e32 v2, v5
	ds_store_b64 v5, v[30:31] offset:5200
	s_wait_dscnt 0x1
	ds_store_b128 v5, v[0:3] offset:5712
.LBB140_173:                            ;   in Loop: Header=BB140_3 Depth=1
	s_or_b32 exec_lo, exec_lo, s44
	v_mov_b64_e32 v[0:1], 0
	s_wait_dscnt 0x0
	s_barrier_signal -1
	s_barrier_wait -1
	s_and_saveexec_b32 s44, s3
	s_cbranch_execz .LBB140_179
; %bb.174:                              ;   in Loop: Header=BB140_3 Depth=1
	ds_load_b64 v[0:1], v57 offset:4192
	ds_load_b64 v[44:45], v53 offset:4160
	s_wait_dscnt 0x0
	v_fma_f64 v[0:1], v[0:1], v[44:45], 0
	s_and_saveexec_b32 s45, s12
	s_cbranch_execnz .LBB140_1075
; %bb.175:                              ;   in Loop: Header=BB140_3 Depth=1
	s_or_b32 exec_lo, exec_lo, s45
	s_and_saveexec_b32 s45, s13
	s_cbranch_execnz .LBB140_1076
.LBB140_176:                            ;   in Loop: Header=BB140_3 Depth=1
	s_or_b32 exec_lo, exec_lo, s45
	s_and_saveexec_b32 s45, s1
	s_cbranch_execz .LBB140_178
.LBB140_177:                            ;   in Loop: Header=BB140_3 Depth=1
	ds_load_b64 v[44:45], v72 offset:5728
	ds_load_b64 v[46:47], v5 offset:4184
	s_wait_dscnt 0x0
	v_fmac_f64_e32 v[0:1], v[44:45], v[46:47]
.LBB140_178:                            ;   in Loop: Header=BB140_3 Depth=1
	s_or_b32 exec_lo, exec_lo, s45
	s_delay_alu instid0(VALU_DEP_1)
	v_xor_b32_e32 v1, 0x80000000, v1
.LBB140_179:                            ;   in Loop: Header=BB140_3 Depth=1
	s_or_b32 exec_lo, exec_lo, s44
	s_and_saveexec_b32 s44, s92
; %bb.180:                              ;   in Loop: Header=BB140_3 Depth=1
	ds_store_b64 v56, v[0:1]
; %bb.181:                              ;   in Loop: Header=BB140_3 Depth=1
	s_or_b32 exec_lo, exec_lo, s44
	s_wait_dscnt 0x0
	s_barrier_signal -1
	s_barrier_wait -1
	s_and_saveexec_b32 s44, s93
	s_cbranch_execz .LBB140_183
; %bb.182:                              ;   in Loop: Header=BB140_3 Depth=1
	ds_load_b64 v[44:45], v54 offset:6240
	ds_load_b64 v[46:47], v56
	s_wait_dscnt 0x0
	v_fmac_f64_e32 v[0:1], v[44:45], v[46:47]
.LBB140_183:                            ;   in Loop: Header=BB140_3 Depth=1
	s_or_b32 exec_lo, exec_lo, s44
	s_barrier_signal -1
	s_barrier_wait -1
	s_and_saveexec_b32 s44, s94
; %bb.184:                              ;   in Loop: Header=BB140_3 Depth=1
	ds_store_b64 v56, v[0:1]
; %bb.185:                              ;   in Loop: Header=BB140_3 Depth=1
	s_or_b32 exec_lo, exec_lo, s44
	s_wait_dscnt 0x0
	s_barrier_signal -1
	s_barrier_wait -1
	s_and_saveexec_b32 s44, s95
	s_cbranch_execz .LBB140_187
; %bb.186:                              ;   in Loop: Header=BB140_3 Depth=1
	ds_load_b64 v[44:45], v54 offset:6752
	ds_load_b64 v[46:47], v56
	s_wait_dscnt 0x0
	v_fmac_f64_e32 v[0:1], v[44:45], v[46:47]
.LBB140_187:                            ;   in Loop: Header=BB140_3 Depth=1
	s_or_b32 exec_lo, exec_lo, s44
	s_barrier_signal -1
	s_barrier_wait -1
	;; [unrolled: 19-line block ×3, first 2 shown]
	s_and_saveexec_b32 s44, s97
; %bb.192:                              ;   in Loop: Header=BB140_3 Depth=1
	ds_store_b64 v56, v[0:1]
; %bb.193:                              ;   in Loop: Header=BB140_3 Depth=1
	s_or_b32 exec_lo, exec_lo, s44
	s_wait_dscnt 0x0
	s_barrier_signal -1
	s_barrier_wait -1
	s_barrier_signal -1
	s_barrier_wait -1
	s_and_saveexec_b32 s44, s3
; %bb.194:                              ;   in Loop: Header=BB140_3 Depth=1
	v_xor_b32_e32 v1, 0x80000000, v1
	ds_store_b64 v57, v[0:1] offset:4192
; %bb.195:                              ;   in Loop: Header=BB140_3 Depth=1
	s_or_b32 exec_lo, exec_lo, s44
	s_wait_dscnt 0x0
	s_barrier_signal -1
	s_barrier_wait -1
	s_barrier_signal -1
	s_barrier_wait -1
	s_and_saveexec_b32 s44, s98
	s_cbranch_execz .LBB140_197
; %bb.196:                              ;   in Loop: Header=BB140_3 Depth=1
	ds_load_b64 v[0:1], v75 offset:4192
	s_wait_dscnt 0x0
	ds_store_b64 v11, v[0:1] offset:6208
	ds_load_b64 v[0:1], v75 offset:4200
	s_wait_dscnt 0x0
	ds_store_b64 v11, v[0:1] offset:6720
	;; [unrolled: 3-line block ×4, first 2 shown]
.LBB140_197:                            ;   in Loop: Header=BB140_3 Depth=1
	s_or_b32 exec_lo, exec_lo, s44
	s_wait_dscnt 0x0
	s_barrier_signal -1
	s_barrier_wait -1
	s_and_saveexec_b32 s44, s10
	s_cbranch_execz .LBB140_199
; %bb.198:                              ;   in Loop: Header=BB140_3 Depth=1
	ds_load_b64 v[0:1], v5 offset:6248
	v_mov_b32_e32 v2, v5
	ds_store_b64 v5, v[30:31] offset:6240
	s_wait_dscnt 0x1
	ds_store_b128 v5, v[0:3] offset:6752
.LBB140_199:                            ;   in Loop: Header=BB140_3 Depth=1
	s_or_b32 exec_lo, exec_lo, s44
	v_mov_b64_e32 v[0:1], 0
	s_wait_dscnt 0x0
	s_barrier_signal -1
	s_barrier_wait -1
	s_and_saveexec_b32 s44, s1
	s_cbranch_execz .LBB140_203
; %bb.200:                              ;   in Loop: Header=BB140_3 Depth=1
	ds_load_b64 v[0:1], v50 offset:6256
	ds_load_b64 v[44:45], v51 offset:6240
	s_wait_dscnt 0x0
	v_fma_f64 v[0:1], v[0:1], v[44:45], 0
	s_and_saveexec_b32 s45, s11
	s_cbranch_execz .LBB140_202
; %bb.201:                              ;   in Loop: Header=BB140_3 Depth=1
	ds_load_b64 v[44:45], v11 offset:6768
	ds_load_b64 v[46:47], v5 offset:6248
	s_wait_dscnt 0x0
	v_fmac_f64_e32 v[0:1], v[44:45], v[46:47]
.LBB140_202:                            ;   in Loop: Header=BB140_3 Depth=1
	s_or_b32 exec_lo, exec_lo, s45
	s_delay_alu instid0(VALU_DEP_1)
	v_xor_b32_e32 v1, 0x80000000, v1
.LBB140_203:                            ;   in Loop: Header=BB140_3 Depth=1
	s_or_b32 exec_lo, exec_lo, s44
	s_and_saveexec_b32 s44, s89
; %bb.204:                              ;   in Loop: Header=BB140_3 Depth=1
	ds_store_b64 v7, v[0:1]
; %bb.205:                              ;   in Loop: Header=BB140_3 Depth=1
	s_or_b32 exec_lo, exec_lo, s44
	s_wait_dscnt 0x0
	s_barrier_signal -1
	s_barrier_wait -1
	s_and_saveexec_b32 s44, s90
	s_cbranch_execz .LBB140_207
; %bb.206:                              ;   in Loop: Header=BB140_3 Depth=1
	ds_load_b64 v[44:45], v5 offset:7288
	ds_load_b64 v[46:47], v7
	s_wait_dscnt 0x0
	v_fmac_f64_e32 v[0:1], v[44:45], v[46:47]
.LBB140_207:                            ;   in Loop: Header=BB140_3 Depth=1
	s_or_b32 exec_lo, exec_lo, s44
	s_barrier_signal -1
	s_barrier_wait -1
	s_and_saveexec_b32 s44, s90
; %bb.208:                              ;   in Loop: Header=BB140_3 Depth=1
	ds_store_b64 v7, v[0:1]
; %bb.209:                              ;   in Loop: Header=BB140_3 Depth=1
	s_or_b32 exec_lo, exec_lo, s44
	s_wait_dscnt 0x0
	s_barrier_signal -1
	s_barrier_wait -1
	s_barrier_signal -1
	s_barrier_wait -1
	s_and_saveexec_b32 s44, s1
; %bb.210:                              ;   in Loop: Header=BB140_3 Depth=1
	v_xor_b32_e32 v1, 0x80000000, v1
	ds_store_b64 v50, v[0:1] offset:6256
; %bb.211:                              ;   in Loop: Header=BB140_3 Depth=1
	s_or_b32 exec_lo, exec_lo, s44
	s_wait_dscnt 0x0
	s_barrier_signal -1
	s_barrier_wait -1
	s_barrier_signal -1
	s_barrier_wait -1
	s_and_saveexec_b32 s44, s91
	s_cbranch_execz .LBB140_213
; %bb.212:                              ;   in Loop: Header=BB140_3 Depth=1
	ds_load_b64 v[0:1], v81 offset:6256
	s_wait_dscnt 0x0
	ds_store_b64 v11, v[0:1] offset:7264
	ds_load_b64 v[0:1], v81 offset:6264
	s_wait_dscnt 0x0
	ds_store_b64 v11, v[0:1] offset:7776
.LBB140_213:                            ;   in Loop: Header=BB140_3 Depth=1
	s_or_b32 exec_lo, exec_lo, s44
	s_wait_dscnt 0x0
	s_barrier_signal -1
	s_barrier_wait -1
	s_and_saveexec_b32 s44, s10
	s_cbranch_execz .LBB140_215
; %bb.214:                              ;   in Loop: Header=BB140_3 Depth=1
	ds_load_b64 v[0:1], v5 offset:7288
	v_mov_b32_e32 v2, v5
	ds_store_b64 v5, v[30:31] offset:7280
	s_wait_dscnt 0x1
	ds_store_b128 v5, v[0:3] offset:7792
.LBB140_215:                            ;   in Loop: Header=BB140_3 Depth=1
	s_or_b32 exec_lo, exec_lo, s44
	v_mov_b64_e32 v[0:1], 0
	s_wait_dscnt 0x0
	s_barrier_signal -1
	s_barrier_wait -1
	s_and_saveexec_b32 s82, s5
	s_cbranch_execz .LBB140_243
; %bb.216:                              ;   in Loop: Header=BB140_3 Depth=1
	ds_load_b64 v[0:1], v77 offset:128
	ds_load_b64 v[44:45], v73
	s_wait_dscnt 0x0
	v_fma_f64 v[0:1], v[0:1], v[44:45], 0
	s_mov_b32 s44, exec_lo
	v_readlane_b32 s45, v103, 21
	s_and_b32 s45, s44, s45
	s_delay_alu instid0(SALU_CYCLE_1)
	s_mov_b32 exec_lo, s45
	s_cbranch_execz .LBB140_218
; %bb.217:                              ;   in Loop: Header=BB140_3 Depth=1
	ds_load_b64 v[44:45], v78 offset:640
	ds_load_b64 v[46:47], v73 offset:8
	s_wait_dscnt 0x0
	v_fmac_f64_e32 v[0:1], v[44:45], v[46:47]
.LBB140_218:                            ;   in Loop: Header=BB140_3 Depth=1
	s_or_b32 exec_lo, exec_lo, s44
	s_delay_alu instid0(SALU_CYCLE_1) | instskip(SKIP_2) | instid1(SALU_CYCLE_1)
	s_mov_b32 s44, exec_lo
	v_readlane_b32 s45, v103, 22
	s_and_b32 s45, s44, s45
	s_mov_b32 exec_lo, s45
	s_cbranch_execz .LBB140_220
; %bb.219:                              ;   in Loop: Header=BB140_3 Depth=1
	ds_load_b64 v[44:45], v78 offset:1152
	ds_load_b64 v[46:47], v73 offset:16
	s_wait_dscnt 0x0
	v_fmac_f64_e32 v[0:1], v[44:45], v[46:47]
.LBB140_220:                            ;   in Loop: Header=BB140_3 Depth=1
	s_or_b32 exec_lo, exec_lo, s44
	s_delay_alu instid0(SALU_CYCLE_1) | instskip(SKIP_2) | instid1(SALU_CYCLE_1)
	s_mov_b32 s44, exec_lo
	v_readlane_b32 s45, v103, 23
	s_and_b32 s45, s44, s45
	;; [unrolled: 13-line block ×10, first 2 shown]
	s_mov_b32 exec_lo, s45
	s_cbranch_execnz .LBB140_1077
; %bb.237:                              ;   in Loop: Header=BB140_3 Depth=1
	s_or_b32 exec_lo, exec_lo, s44
	s_and_saveexec_b32 s44, s4
	s_cbranch_execnz .LBB140_1078
.LBB140_238:                            ;   in Loop: Header=BB140_3 Depth=1
	s_or_b32 exec_lo, exec_lo, s44
	s_and_saveexec_b32 s44, s15
	s_cbranch_execnz .LBB140_1079
.LBB140_239:                            ;   in Loop: Header=BB140_3 Depth=1
	s_or_b32 exec_lo, exec_lo, s44
	s_and_saveexec_b32 s44, s17
	s_cbranch_execnz .LBB140_1080
.LBB140_240:                            ;   in Loop: Header=BB140_3 Depth=1
	s_or_b32 exec_lo, exec_lo, s44
	s_and_saveexec_b32 s44, s3
	s_cbranch_execz .LBB140_242
.LBB140_241:                            ;   in Loop: Header=BB140_3 Depth=1
	ds_load_b64 v[44:45], v52 offset:7808
	ds_load_b64 v[46:47], v5 offset:120
	s_wait_dscnt 0x0
	v_fmac_f64_e32 v[0:1], v[44:45], v[46:47]
.LBB140_242:                            ;   in Loop: Header=BB140_3 Depth=1
	s_or_b32 exec_lo, exec_lo, s44
	s_delay_alu instid0(VALU_DEP_1)
	v_xor_b32_e32 v1, 0x80000000, v1
.LBB140_243:                            ;   in Loop: Header=BB140_3 Depth=1
	s_or_b32 exec_lo, exec_lo, s82
	s_delay_alu instid0(SALU_CYCLE_1) | instskip(SKIP_2) | instid1(SALU_CYCLE_1)
	s_mov_b32 s44, exec_lo
	v_readlane_b32 s45, v103, 2
	s_and_b32 s45, s44, s45
	s_mov_b32 exec_lo, s45
; %bb.244:                              ;   in Loop: Header=BB140_3 Depth=1
	ds_store_b64 v76, v[0:1]
; %bb.245:                              ;   in Loop: Header=BB140_3 Depth=1
	s_or_b32 exec_lo, exec_lo, s44
	s_wait_dscnt 0x0
	s_barrier_signal -1
	s_barrier_wait -1
	s_mov_b32 s44, exec_lo
	v_readlane_b32 s45, v103, 3
	s_and_b32 s45, s44, s45
	s_delay_alu instid0(SALU_CYCLE_1)
	s_mov_b32 exec_lo, s45
	s_cbranch_execz .LBB140_247
; %bb.246:                              ;   in Loop: Header=BB140_3 Depth=1
	ds_load_b64 v[44:45], v74 offset:8320
	ds_load_b64 v[46:47], v76
	s_wait_dscnt 0x0
	v_fmac_f64_e32 v[0:1], v[44:45], v[46:47]
.LBB140_247:                            ;   in Loop: Header=BB140_3 Depth=1
	s_or_b32 exec_lo, exec_lo, s44
	s_barrier_signal -1
	s_barrier_wait -1
	s_mov_b32 s44, exec_lo
	v_readlane_b32 s45, v103, 4
	s_and_b32 s45, s44, s45
	s_delay_alu instid0(SALU_CYCLE_1)
	s_mov_b32 exec_lo, s45
; %bb.248:                              ;   in Loop: Header=BB140_3 Depth=1
	ds_store_b64 v76, v[0:1]
; %bb.249:                              ;   in Loop: Header=BB140_3 Depth=1
	s_or_b32 exec_lo, exec_lo, s44
	s_wait_dscnt 0x0
	s_barrier_signal -1
	s_barrier_wait -1
	s_mov_b32 s44, exec_lo
	v_readlane_b32 s45, v103, 5
	s_and_b32 s45, s44, s45
	s_delay_alu instid0(SALU_CYCLE_1)
	s_mov_b32 exec_lo, s45
	s_cbranch_execz .LBB140_251
; %bb.250:                              ;   in Loop: Header=BB140_3 Depth=1
	ds_load_b64 v[44:45], v74 offset:8832
	ds_load_b64 v[46:47], v76
	s_wait_dscnt 0x0
	v_fmac_f64_e32 v[0:1], v[44:45], v[46:47]
.LBB140_251:                            ;   in Loop: Header=BB140_3 Depth=1
	s_or_b32 exec_lo, exec_lo, s44
	s_barrier_signal -1
	s_barrier_wait -1
	s_mov_b32 s44, exec_lo
	v_readlane_b32 s45, v103, 6
	s_and_b32 s45, s44, s45
	s_delay_alu instid0(SALU_CYCLE_1)
	;; [unrolled: 27-line block ×4, first 2 shown]
	s_mov_b32 exec_lo, s45
; %bb.260:                              ;   in Loop: Header=BB140_3 Depth=1
	ds_store_b64 v76, v[0:1]
; %bb.261:                              ;   in Loop: Header=BB140_3 Depth=1
	s_or_b32 exec_lo, exec_lo, s44
	s_wait_dscnt 0x0
	s_barrier_signal -1
	s_barrier_wait -1
	s_and_saveexec_b32 s44, s49
	s_cbranch_execz .LBB140_263
; %bb.262:                              ;   in Loop: Header=BB140_3 Depth=1
	ds_load_b64 v[44:45], v74 offset:10368
	ds_load_b64 v[46:47], v76
	s_wait_dscnt 0x0
	v_fmac_f64_e32 v[0:1], v[44:45], v[46:47]
.LBB140_263:                            ;   in Loop: Header=BB140_3 Depth=1
	s_or_b32 exec_lo, exec_lo, s44
	s_barrier_signal -1
	s_barrier_wait -1
	s_and_saveexec_b32 s44, s50
; %bb.264:                              ;   in Loop: Header=BB140_3 Depth=1
	ds_store_b64 v76, v[0:1]
; %bb.265:                              ;   in Loop: Header=BB140_3 Depth=1
	s_or_b32 exec_lo, exec_lo, s44
	s_wait_dscnt 0x0
	s_barrier_signal -1
	s_barrier_wait -1
	s_and_saveexec_b32 s44, s51
	s_cbranch_execz .LBB140_267
; %bb.266:                              ;   in Loop: Header=BB140_3 Depth=1
	ds_load_b64 v[44:45], v74 offset:10880
	ds_load_b64 v[46:47], v76
	s_wait_dscnt 0x0
	v_fmac_f64_e32 v[0:1], v[44:45], v[46:47]
.LBB140_267:                            ;   in Loop: Header=BB140_3 Depth=1
	s_or_b32 exec_lo, exec_lo, s44
	s_barrier_signal -1
	s_barrier_wait -1
	s_and_saveexec_b32 s44, s52
; %bb.268:                              ;   in Loop: Header=BB140_3 Depth=1
	ds_store_b64 v76, v[0:1]
; %bb.269:                              ;   in Loop: Header=BB140_3 Depth=1
	s_or_b32 exec_lo, exec_lo, s44
	s_wait_dscnt 0x0
	s_barrier_signal -1
	s_barrier_wait -1
	s_and_saveexec_b32 s44, s53
	s_cbranch_execz .LBB140_271
; %bb.270:                              ;   in Loop: Header=BB140_3 Depth=1
	ds_load_b64 v[44:45], v74 offset:11392
	ds_load_b64 v[46:47], v76
	s_wait_dscnt 0x0
	v_fmac_f64_e32 v[0:1], v[44:45], v[46:47]
.LBB140_271:                            ;   in Loop: Header=BB140_3 Depth=1
	s_or_b32 exec_lo, exec_lo, s44
	s_barrier_signal -1
	s_barrier_wait -1
	s_and_saveexec_b32 s44, s54
; %bb.272:                              ;   in Loop: Header=BB140_3 Depth=1
	ds_store_b64 v76, v[0:1]
; %bb.273:                              ;   in Loop: Header=BB140_3 Depth=1
	s_or_b32 exec_lo, exec_lo, s44
	s_wait_dscnt 0x0
	s_barrier_signal -1
	s_barrier_wait -1
	s_and_saveexec_b32 s44, s19
	s_cbranch_execz .LBB140_275
; %bb.274:                              ;   in Loop: Header=BB140_3 Depth=1
	ds_load_b64 v[44:45], v74 offset:11904
	ds_load_b64 v[46:47], v76
	s_wait_dscnt 0x0
	v_fmac_f64_e32 v[0:1], v[44:45], v[46:47]
.LBB140_275:                            ;   in Loop: Header=BB140_3 Depth=1
	s_or_b32 exec_lo, exec_lo, s44
	s_barrier_signal -1
	s_barrier_wait -1
	s_and_saveexec_b32 s44, s21
; %bb.276:                              ;   in Loop: Header=BB140_3 Depth=1
	ds_store_b64 v76, v[0:1]
; %bb.277:                              ;   in Loop: Header=BB140_3 Depth=1
	s_or_b32 exec_lo, exec_lo, s44
	s_wait_dscnt 0x0
	s_barrier_signal -1
	s_barrier_wait -1
	s_and_saveexec_b32 s44, s23
	s_cbranch_execz .LBB140_279
; %bb.278:                              ;   in Loop: Header=BB140_3 Depth=1
	ds_load_b64 v[44:45], v74 offset:12416
	ds_load_b64 v[46:47], v76
	s_wait_dscnt 0x0
	v_fmac_f64_e32 v[0:1], v[44:45], v[46:47]
.LBB140_279:                            ;   in Loop: Header=BB140_3 Depth=1
	s_or_b32 exec_lo, exec_lo, s44
	s_barrier_signal -1
	s_barrier_wait -1
	s_and_saveexec_b32 s44, s25
; %bb.280:                              ;   in Loop: Header=BB140_3 Depth=1
	ds_store_b64 v76, v[0:1]
; %bb.281:                              ;   in Loop: Header=BB140_3 Depth=1
	s_or_b32 exec_lo, exec_lo, s44
	s_wait_dscnt 0x0
	s_barrier_signal -1
	s_barrier_wait -1
	s_and_saveexec_b32 s44, s27
	s_cbranch_execz .LBB140_283
; %bb.282:                              ;   in Loop: Header=BB140_3 Depth=1
	ds_load_b64 v[44:45], v74 offset:12928
	ds_load_b64 v[46:47], v76
	s_wait_dscnt 0x0
	v_fmac_f64_e32 v[0:1], v[44:45], v[46:47]
.LBB140_283:                            ;   in Loop: Header=BB140_3 Depth=1
	s_or_b32 exec_lo, exec_lo, s44
	s_barrier_signal -1
	s_barrier_wait -1
	s_and_saveexec_b32 s44, s29
; %bb.284:                              ;   in Loop: Header=BB140_3 Depth=1
	ds_store_b64 v76, v[0:1]
; %bb.285:                              ;   in Loop: Header=BB140_3 Depth=1
	s_or_b32 exec_lo, exec_lo, s44
	s_wait_dscnt 0x0
	s_barrier_signal -1
	s_barrier_wait -1
	s_and_saveexec_b32 s44, s57
	s_cbranch_execz .LBB140_287
; %bb.286:                              ;   in Loop: Header=BB140_3 Depth=1
	ds_load_b64 v[44:45], v74 offset:13440
	ds_load_b64 v[46:47], v76
	s_wait_dscnt 0x0
	v_fmac_f64_e32 v[0:1], v[44:45], v[46:47]
.LBB140_287:                            ;   in Loop: Header=BB140_3 Depth=1
	s_or_b32 exec_lo, exec_lo, s44
	s_barrier_signal -1
	s_barrier_wait -1
	s_and_saveexec_b32 s44, s58
; %bb.288:                              ;   in Loop: Header=BB140_3 Depth=1
	ds_store_b64 v76, v[0:1]
; %bb.289:                              ;   in Loop: Header=BB140_3 Depth=1
	s_or_b32 exec_lo, exec_lo, s44
	s_wait_dscnt 0x0
	s_barrier_signal -1
	s_barrier_wait -1
	s_and_saveexec_b32 s44, s59
	s_cbranch_execz .LBB140_291
; %bb.290:                              ;   in Loop: Header=BB140_3 Depth=1
	ds_load_b64 v[44:45], v74 offset:13952
	ds_load_b64 v[46:47], v76
	s_wait_dscnt 0x0
	v_fmac_f64_e32 v[0:1], v[44:45], v[46:47]
.LBB140_291:                            ;   in Loop: Header=BB140_3 Depth=1
	s_or_b32 exec_lo, exec_lo, s44
	s_barrier_signal -1
	s_barrier_wait -1
	s_and_saveexec_b32 s44, s60
; %bb.292:                              ;   in Loop: Header=BB140_3 Depth=1
	ds_store_b64 v76, v[0:1]
; %bb.293:                              ;   in Loop: Header=BB140_3 Depth=1
	s_or_b32 exec_lo, exec_lo, s44
	s_wait_dscnt 0x0
	s_barrier_signal -1
	s_barrier_wait -1
	s_and_saveexec_b32 s44, s20
	s_cbranch_execz .LBB140_295
; %bb.294:                              ;   in Loop: Header=BB140_3 Depth=1
	ds_load_b64 v[44:45], v74 offset:14464
	ds_load_b64 v[46:47], v76
	s_wait_dscnt 0x0
	v_fmac_f64_e32 v[0:1], v[44:45], v[46:47]
.LBB140_295:                            ;   in Loop: Header=BB140_3 Depth=1
	s_or_b32 exec_lo, exec_lo, s44
	s_barrier_signal -1
	s_barrier_wait -1
	s_and_saveexec_b32 s44, s22
; %bb.296:                              ;   in Loop: Header=BB140_3 Depth=1
	ds_store_b64 v76, v[0:1]
; %bb.297:                              ;   in Loop: Header=BB140_3 Depth=1
	s_or_b32 exec_lo, exec_lo, s44
	s_wait_dscnt 0x0
	s_barrier_signal -1
	s_barrier_wait -1
	s_and_saveexec_b32 s44, s24
	s_cbranch_execz .LBB140_299
; %bb.298:                              ;   in Loop: Header=BB140_3 Depth=1
	ds_load_b64 v[44:45], v74 offset:14976
	ds_load_b64 v[46:47], v76
	s_wait_dscnt 0x0
	v_fmac_f64_e32 v[0:1], v[44:45], v[46:47]
.LBB140_299:                            ;   in Loop: Header=BB140_3 Depth=1
	s_or_b32 exec_lo, exec_lo, s44
	s_barrier_signal -1
	s_barrier_wait -1
	s_and_saveexec_b32 s44, s26
; %bb.300:                              ;   in Loop: Header=BB140_3 Depth=1
	ds_store_b64 v76, v[0:1]
; %bb.301:                              ;   in Loop: Header=BB140_3 Depth=1
	s_or_b32 exec_lo, exec_lo, s44
	s_wait_dscnt 0x0
	s_barrier_signal -1
	s_barrier_wait -1
	s_and_saveexec_b32 s44, s28
	s_cbranch_execz .LBB140_303
; %bb.302:                              ;   in Loop: Header=BB140_3 Depth=1
	ds_load_b64 v[44:45], v5 offset:15608
	ds_load_b64 v[46:47], v76
	s_wait_dscnt 0x0
	v_fmac_f64_e32 v[0:1], v[44:45], v[46:47]
.LBB140_303:                            ;   in Loop: Header=BB140_3 Depth=1
	s_or_b32 exec_lo, exec_lo, s44
	s_barrier_signal -1
	s_barrier_wait -1
	s_and_saveexec_b32 s44, s28
; %bb.304:                              ;   in Loop: Header=BB140_3 Depth=1
	ds_store_b64 v76, v[0:1]
; %bb.305:                              ;   in Loop: Header=BB140_3 Depth=1
	s_or_b32 exec_lo, exec_lo, s44
	s_wait_dscnt 0x0
	s_barrier_signal -1
	s_barrier_wait -1
	s_barrier_signal -1
	s_barrier_wait -1
	s_and_saveexec_b32 s44, s5
; %bb.306:                              ;   in Loop: Header=BB140_3 Depth=1
	v_xor_b32_e32 v1, 0x80000000, v1
	ds_store_b64 v77, v[0:1] offset:128
; %bb.307:                              ;   in Loop: Header=BB140_3 Depth=1
	s_or_b32 exec_lo, exec_lo, s44
	s_wait_dscnt 0x0
	s_barrier_signal -1
	s_barrier_wait -1
	s_barrier_signal -1
	s_barrier_wait -1
	s_and_saveexec_b32 s44, s87
	s_cbranch_execz .LBB140_309
; %bb.308:                              ;   in Loop: Header=BB140_3 Depth=1
	ds_load_b64 v[0:1], v55 offset:128
	s_wait_dscnt 0x0
	ds_store_b64 v59, v[0:1] offset:8192
	ds_load_b64 v[0:1], v55 offset:136
	s_wait_dscnt 0x0
	ds_store_b64 v59, v[0:1] offset:8704
	;; [unrolled: 3-line block ×16, first 2 shown]
.LBB140_309:                            ;   in Loop: Header=BB140_3 Depth=1
	s_or_b32 exec_lo, exec_lo, s44
	s_wait_dscnt 0x0
	s_barrier_signal -1
	s_barrier_wait -1
	s_and_saveexec_b32 s44, s10
	s_cbranch_execz .LBB140_311
; %bb.310:                              ;   in Loop: Header=BB140_3 Depth=1
	ds_load_b64 v[0:1], v5 offset:8328
	v_mov_b32_e32 v2, v5
	ds_store_b64 v5, v[30:31] offset:8320
	s_wait_dscnt 0x1
	ds_store_b128 v5, v[0:3] offset:8832
.LBB140_311:                            ;   in Loop: Header=BB140_3 Depth=1
	s_or_b32 exec_lo, exec_lo, s44
	v_mov_b64_e32 v[0:1], 0
	s_wait_dscnt 0x0
	s_barrier_signal -1
	s_barrier_wait -1
	s_and_saveexec_b32 s44, s1
	s_cbranch_execz .LBB140_315
; %bb.312:                              ;   in Loop: Header=BB140_3 Depth=1
	ds_load_b64 v[0:1], v50 offset:8336
	ds_load_b64 v[44:45], v51 offset:8320
	s_wait_dscnt 0x0
	v_fma_f64 v[0:1], v[0:1], v[44:45], 0
	s_and_saveexec_b32 s45, s11
	s_cbranch_execz .LBB140_314
; %bb.313:                              ;   in Loop: Header=BB140_3 Depth=1
	ds_load_b64 v[44:45], v52 offset:8848
	ds_load_b64 v[46:47], v5 offset:8328
	s_wait_dscnt 0x0
	v_fmac_f64_e32 v[0:1], v[44:45], v[46:47]
.LBB140_314:                            ;   in Loop: Header=BB140_3 Depth=1
	s_or_b32 exec_lo, exec_lo, s45
	s_delay_alu instid0(VALU_DEP_1)
	v_xor_b32_e32 v1, 0x80000000, v1
.LBB140_315:                            ;   in Loop: Header=BB140_3 Depth=1
	s_or_b32 exec_lo, exec_lo, s44
	s_and_saveexec_b32 s44, s89
; %bb.316:                              ;   in Loop: Header=BB140_3 Depth=1
	ds_store_b64 v7, v[0:1]
; %bb.317:                              ;   in Loop: Header=BB140_3 Depth=1
	s_or_b32 exec_lo, exec_lo, s44
	s_wait_dscnt 0x0
	s_barrier_signal -1
	s_barrier_wait -1
	s_and_saveexec_b32 s44, s90
	s_cbranch_execz .LBB140_319
; %bb.318:                              ;   in Loop: Header=BB140_3 Depth=1
	ds_load_b64 v[44:45], v5 offset:9368
	ds_load_b64 v[46:47], v7
	s_wait_dscnt 0x0
	v_fmac_f64_e32 v[0:1], v[44:45], v[46:47]
.LBB140_319:                            ;   in Loop: Header=BB140_3 Depth=1
	s_or_b32 exec_lo, exec_lo, s44
	s_barrier_signal -1
	s_barrier_wait -1
	s_and_saveexec_b32 s44, s90
; %bb.320:                              ;   in Loop: Header=BB140_3 Depth=1
	ds_store_b64 v7, v[0:1]
; %bb.321:                              ;   in Loop: Header=BB140_3 Depth=1
	s_or_b32 exec_lo, exec_lo, s44
	s_wait_dscnt 0x0
	s_barrier_signal -1
	s_barrier_wait -1
	s_barrier_signal -1
	s_barrier_wait -1
	s_and_saveexec_b32 s44, s1
; %bb.322:                              ;   in Loop: Header=BB140_3 Depth=1
	v_xor_b32_e32 v1, 0x80000000, v1
	ds_store_b64 v50, v[0:1] offset:8336
; %bb.323:                              ;   in Loop: Header=BB140_3 Depth=1
	s_or_b32 exec_lo, exec_lo, s44
	s_wait_dscnt 0x0
	s_barrier_signal -1
	s_barrier_wait -1
	s_barrier_signal -1
	s_barrier_wait -1
	s_and_saveexec_b32 s44, s91
	s_cbranch_execz .LBB140_325
; %bb.324:                              ;   in Loop: Header=BB140_3 Depth=1
	ds_load_b64 v[0:1], v55 offset:8336
	s_wait_dscnt 0x0
	ds_store_b64 v52, v[0:1] offset:9344
	ds_load_b64 v[0:1], v55 offset:8344
	s_wait_dscnt 0x0
	ds_store_b64 v52, v[0:1] offset:9856
.LBB140_325:                            ;   in Loop: Header=BB140_3 Depth=1
	s_or_b32 exec_lo, exec_lo, s44
	s_wait_dscnt 0x0
	s_barrier_signal -1
	s_barrier_wait -1
	s_and_saveexec_b32 s44, s10
	s_cbranch_execz .LBB140_327
; %bb.326:                              ;   in Loop: Header=BB140_3 Depth=1
	ds_load_b64 v[0:1], v5 offset:9368
	v_mov_b32_e32 v2, v5
	ds_store_b64 v5, v[30:31] offset:9360
	s_wait_dscnt 0x1
	ds_store_b128 v5, v[0:3] offset:9872
.LBB140_327:                            ;   in Loop: Header=BB140_3 Depth=1
	s_or_b32 exec_lo, exec_lo, s44
	v_mov_b64_e32 v[0:1], 0
	s_wait_dscnt 0x0
	s_barrier_signal -1
	s_barrier_wait -1
	s_and_saveexec_b32 s44, s3
	s_cbranch_execz .LBB140_333
; %bb.328:                              ;   in Loop: Header=BB140_3 Depth=1
	ds_load_b64 v[0:1], v57 offset:8352
	ds_load_b64 v[44:45], v53 offset:8320
	s_wait_dscnt 0x0
	v_fma_f64 v[0:1], v[0:1], v[44:45], 0
	s_and_saveexec_b32 s45, s12
	s_cbranch_execnz .LBB140_1081
; %bb.329:                              ;   in Loop: Header=BB140_3 Depth=1
	s_or_b32 exec_lo, exec_lo, s45
	s_and_saveexec_b32 s45, s13
	s_cbranch_execnz .LBB140_1082
.LBB140_330:                            ;   in Loop: Header=BB140_3 Depth=1
	s_or_b32 exec_lo, exec_lo, s45
	s_and_saveexec_b32 s45, s1
	s_cbranch_execz .LBB140_332
.LBB140_331:                            ;   in Loop: Header=BB140_3 Depth=1
	ds_load_b64 v[44:45], v59 offset:9888
	ds_load_b64 v[46:47], v5 offset:8344
	s_wait_dscnt 0x0
	v_fmac_f64_e32 v[0:1], v[44:45], v[46:47]
.LBB140_332:                            ;   in Loop: Header=BB140_3 Depth=1
	s_or_b32 exec_lo, exec_lo, s45
	s_delay_alu instid0(VALU_DEP_1)
	v_xor_b32_e32 v1, 0x80000000, v1
.LBB140_333:                            ;   in Loop: Header=BB140_3 Depth=1
	s_or_b32 exec_lo, exec_lo, s44
	s_and_saveexec_b32 s44, s92
; %bb.334:                              ;   in Loop: Header=BB140_3 Depth=1
	ds_store_b64 v56, v[0:1]
; %bb.335:                              ;   in Loop: Header=BB140_3 Depth=1
	s_or_b32 exec_lo, exec_lo, s44
	s_wait_dscnt 0x0
	s_barrier_signal -1
	s_barrier_wait -1
	s_and_saveexec_b32 s44, s93
	s_cbranch_execz .LBB140_337
; %bb.336:                              ;   in Loop: Header=BB140_3 Depth=1
	ds_load_b64 v[44:45], v54 offset:10400
	ds_load_b64 v[46:47], v56
	s_wait_dscnt 0x0
	v_fmac_f64_e32 v[0:1], v[44:45], v[46:47]
.LBB140_337:                            ;   in Loop: Header=BB140_3 Depth=1
	s_or_b32 exec_lo, exec_lo, s44
	s_barrier_signal -1
	s_barrier_wait -1
	s_and_saveexec_b32 s44, s94
; %bb.338:                              ;   in Loop: Header=BB140_3 Depth=1
	ds_store_b64 v56, v[0:1]
; %bb.339:                              ;   in Loop: Header=BB140_3 Depth=1
	s_or_b32 exec_lo, exec_lo, s44
	s_wait_dscnt 0x0
	s_barrier_signal -1
	s_barrier_wait -1
	s_and_saveexec_b32 s44, s95
	s_cbranch_execz .LBB140_341
; %bb.340:                              ;   in Loop: Header=BB140_3 Depth=1
	ds_load_b64 v[44:45], v54 offset:10912
	ds_load_b64 v[46:47], v56
	s_wait_dscnt 0x0
	v_fmac_f64_e32 v[0:1], v[44:45], v[46:47]
.LBB140_341:                            ;   in Loop: Header=BB140_3 Depth=1
	s_or_b32 exec_lo, exec_lo, s44
	s_barrier_signal -1
	s_barrier_wait -1
	;; [unrolled: 19-line block ×3, first 2 shown]
	s_and_saveexec_b32 s44, s97
; %bb.346:                              ;   in Loop: Header=BB140_3 Depth=1
	ds_store_b64 v56, v[0:1]
; %bb.347:                              ;   in Loop: Header=BB140_3 Depth=1
	s_or_b32 exec_lo, exec_lo, s44
	s_wait_dscnt 0x0
	s_barrier_signal -1
	s_barrier_wait -1
	s_barrier_signal -1
	s_barrier_wait -1
	s_and_saveexec_b32 s44, s3
; %bb.348:                              ;   in Loop: Header=BB140_3 Depth=1
	v_xor_b32_e32 v1, 0x80000000, v1
	ds_store_b64 v57, v[0:1] offset:8352
; %bb.349:                              ;   in Loop: Header=BB140_3 Depth=1
	s_or_b32 exec_lo, exec_lo, s44
	s_wait_dscnt 0x0
	s_barrier_signal -1
	s_barrier_wait -1
	s_barrier_signal -1
	s_barrier_wait -1
	s_and_saveexec_b32 s44, s98
	s_cbranch_execz .LBB140_351
; %bb.350:                              ;   in Loop: Header=BB140_3 Depth=1
	ds_load_b64 v[0:1], v60 offset:8352
	s_wait_dscnt 0x0
	ds_store_b64 v62, v[0:1] offset:10368
	ds_load_b64 v[0:1], v60 offset:8360
	s_wait_dscnt 0x0
	ds_store_b64 v62, v[0:1] offset:10880
	;; [unrolled: 3-line block ×4, first 2 shown]
.LBB140_351:                            ;   in Loop: Header=BB140_3 Depth=1
	s_or_b32 exec_lo, exec_lo, s44
	s_wait_dscnt 0x0
	s_barrier_signal -1
	s_barrier_wait -1
	s_and_saveexec_b32 s44, s10
	s_cbranch_execz .LBB140_353
; %bb.352:                              ;   in Loop: Header=BB140_3 Depth=1
	ds_load_b64 v[0:1], v5 offset:10408
	v_mov_b32_e32 v2, v5
	ds_store_b64 v5, v[30:31] offset:10400
	s_wait_dscnt 0x1
	ds_store_b128 v5, v[0:3] offset:10912
.LBB140_353:                            ;   in Loop: Header=BB140_3 Depth=1
	s_or_b32 exec_lo, exec_lo, s44
	v_mov_b64_e32 v[0:1], 0
	s_wait_dscnt 0x0
	s_barrier_signal -1
	s_barrier_wait -1
	s_and_saveexec_b32 s44, s1
	s_cbranch_execz .LBB140_357
; %bb.354:                              ;   in Loop: Header=BB140_3 Depth=1
	ds_load_b64 v[0:1], v50 offset:10416
	ds_load_b64 v[44:45], v51 offset:10400
	s_wait_dscnt 0x0
	v_fma_f64 v[0:1], v[0:1], v[44:45], 0
	s_and_saveexec_b32 s45, s11
	s_cbranch_execz .LBB140_356
; %bb.355:                              ;   in Loop: Header=BB140_3 Depth=1
	ds_load_b64 v[44:45], v62 offset:10928
	ds_load_b64 v[46:47], v5 offset:10408
	s_wait_dscnt 0x0
	v_fmac_f64_e32 v[0:1], v[44:45], v[46:47]
.LBB140_356:                            ;   in Loop: Header=BB140_3 Depth=1
	s_or_b32 exec_lo, exec_lo, s45
	s_delay_alu instid0(VALU_DEP_1)
	v_xor_b32_e32 v1, 0x80000000, v1
.LBB140_357:                            ;   in Loop: Header=BB140_3 Depth=1
	s_or_b32 exec_lo, exec_lo, s44
	s_and_saveexec_b32 s44, s89
; %bb.358:                              ;   in Loop: Header=BB140_3 Depth=1
	ds_store_b64 v7, v[0:1]
; %bb.359:                              ;   in Loop: Header=BB140_3 Depth=1
	s_or_b32 exec_lo, exec_lo, s44
	s_wait_dscnt 0x0
	s_barrier_signal -1
	s_barrier_wait -1
	s_and_saveexec_b32 s44, s90
	s_cbranch_execz .LBB140_361
; %bb.360:                              ;   in Loop: Header=BB140_3 Depth=1
	ds_load_b64 v[44:45], v5 offset:11448
	ds_load_b64 v[46:47], v7
	s_wait_dscnt 0x0
	v_fmac_f64_e32 v[0:1], v[44:45], v[46:47]
.LBB140_361:                            ;   in Loop: Header=BB140_3 Depth=1
	s_or_b32 exec_lo, exec_lo, s44
	s_barrier_signal -1
	s_barrier_wait -1
	s_and_saveexec_b32 s44, s90
; %bb.362:                              ;   in Loop: Header=BB140_3 Depth=1
	ds_store_b64 v7, v[0:1]
; %bb.363:                              ;   in Loop: Header=BB140_3 Depth=1
	s_or_b32 exec_lo, exec_lo, s44
	s_wait_dscnt 0x0
	s_barrier_signal -1
	s_barrier_wait -1
	s_barrier_signal -1
	s_barrier_wait -1
	s_and_saveexec_b32 s44, s1
; %bb.364:                              ;   in Loop: Header=BB140_3 Depth=1
	v_xor_b32_e32 v1, 0x80000000, v1
	ds_store_b64 v50, v[0:1] offset:10416
; %bb.365:                              ;   in Loop: Header=BB140_3 Depth=1
	s_or_b32 exec_lo, exec_lo, s44
	s_wait_dscnt 0x0
	s_barrier_signal -1
	s_barrier_wait -1
	s_barrier_signal -1
	s_barrier_wait -1
	s_and_saveexec_b32 s44, s91
	s_cbranch_execz .LBB140_367
; %bb.366:                              ;   in Loop: Header=BB140_3 Depth=1
	ds_load_b64 v[0:1], v64 offset:10416
	s_wait_dscnt 0x0
	ds_store_b64 v62, v[0:1] offset:11424
	ds_load_b64 v[0:1], v64 offset:10424
	s_wait_dscnt 0x0
	ds_store_b64 v62, v[0:1] offset:11936
.LBB140_367:                            ;   in Loop: Header=BB140_3 Depth=1
	s_or_b32 exec_lo, exec_lo, s44
	s_wait_dscnt 0x0
	s_barrier_signal -1
	s_barrier_wait -1
	s_and_saveexec_b32 s44, s10
	s_cbranch_execz .LBB140_369
; %bb.368:                              ;   in Loop: Header=BB140_3 Depth=1
	ds_load_b64 v[0:1], v5 offset:11448
	v_mov_b32_e32 v2, v5
	ds_store_b64 v5, v[30:31] offset:11440
	s_wait_dscnt 0x1
	ds_store_b128 v5, v[0:3] offset:11952
.LBB140_369:                            ;   in Loop: Header=BB140_3 Depth=1
	s_or_b32 exec_lo, exec_lo, s44
	v_mov_b64_e32 v[0:1], 0
	s_wait_dscnt 0x0
	s_barrier_signal -1
	s_barrier_wait -1
	s_and_saveexec_b32 s44, s4
	s_cbranch_execz .LBB140_379
; %bb.370:                              ;   in Loop: Header=BB140_3 Depth=1
	ds_load_b64 v[0:1], v66 offset:8384
	ds_load_b64 v[44:45], v61 offset:8320
	s_wait_dscnt 0x0
	v_fma_f64 v[0:1], v[0:1], v[44:45], 0
	s_and_saveexec_b32 s45, s14
	s_cbranch_execnz .LBB140_1083
; %bb.371:                              ;   in Loop: Header=BB140_3 Depth=1
	s_or_b32 exec_lo, exec_lo, s45
	s_and_saveexec_b32 s45, s15
	s_cbranch_execnz .LBB140_1084
.LBB140_372:                            ;   in Loop: Header=BB140_3 Depth=1
	s_or_b32 exec_lo, exec_lo, s45
	s_and_saveexec_b32 s45, s16
	s_cbranch_execnz .LBB140_1085
.LBB140_373:                            ;   in Loop: Header=BB140_3 Depth=1
	s_or_b32 exec_lo, exec_lo, s45
	s_and_saveexec_b32 s45, s17
	s_cbranch_execnz .LBB140_1086
.LBB140_374:                            ;   in Loop: Header=BB140_3 Depth=1
	s_or_b32 exec_lo, exec_lo, s45
	s_and_saveexec_b32 s45, s18
	s_cbranch_execnz .LBB140_1087
.LBB140_375:                            ;   in Loop: Header=BB140_3 Depth=1
	s_or_b32 exec_lo, exec_lo, s45
	s_and_saveexec_b32 s45, s3
	s_cbranch_execnz .LBB140_1088
.LBB140_376:                            ;   in Loop: Header=BB140_3 Depth=1
	s_or_b32 exec_lo, exec_lo, s45
	s_and_saveexec_b32 s45, s13
	s_cbranch_execz .LBB140_378
.LBB140_377:                            ;   in Loop: Header=BB140_3 Depth=1
	ds_load_b64 v[44:45], v68 offset:11968
	ds_load_b64 v[46:47], v5 offset:8376
	s_wait_dscnt 0x0
	v_fmac_f64_e32 v[0:1], v[44:45], v[46:47]
.LBB140_378:                            ;   in Loop: Header=BB140_3 Depth=1
	s_or_b32 exec_lo, exec_lo, s45
	s_delay_alu instid0(VALU_DEP_1)
	v_xor_b32_e32 v1, 0x80000000, v1
.LBB140_379:                            ;   in Loop: Header=BB140_3 Depth=1
	s_or_b32 exec_lo, exec_lo, s44
	s_and_saveexec_b32 s44, s99
; %bb.380:                              ;   in Loop: Header=BB140_3 Depth=1
	ds_store_b64 v65, v[0:1]
; %bb.381:                              ;   in Loop: Header=BB140_3 Depth=1
	s_or_b32 exec_lo, exec_lo, s44
	s_wait_dscnt 0x0
	s_barrier_signal -1
	s_barrier_wait -1
	s_and_saveexec_b32 s44, s100
	s_cbranch_execz .LBB140_383
; %bb.382:                              ;   in Loop: Header=BB140_3 Depth=1
	ds_load_b64 v[44:45], v63 offset:12480
	ds_load_b64 v[46:47], v65
	s_wait_dscnt 0x0
	v_fmac_f64_e32 v[0:1], v[44:45], v[46:47]
.LBB140_383:                            ;   in Loop: Header=BB140_3 Depth=1
	s_or_b32 exec_lo, exec_lo, s44
	s_barrier_signal -1
	s_barrier_wait -1
	s_and_saveexec_b32 s44, s101
; %bb.384:                              ;   in Loop: Header=BB140_3 Depth=1
	ds_store_b64 v65, v[0:1]
; %bb.385:                              ;   in Loop: Header=BB140_3 Depth=1
	s_or_b32 exec_lo, exec_lo, s44
	s_wait_dscnt 0x0
	s_barrier_signal -1
	s_barrier_wait -1
	s_and_saveexec_b32 s44, s102
	s_cbranch_execz .LBB140_387
; %bb.386:                              ;   in Loop: Header=BB140_3 Depth=1
	ds_load_b64 v[44:45], v63 offset:12992
	ds_load_b64 v[46:47], v65
	s_wait_dscnt 0x0
	v_fmac_f64_e32 v[0:1], v[44:45], v[46:47]
.LBB140_387:                            ;   in Loop: Header=BB140_3 Depth=1
	s_or_b32 exec_lo, exec_lo, s44
	s_barrier_signal -1
	s_barrier_wait -1
	;; [unrolled: 19-line block ×3, first 2 shown]
	s_and_saveexec_b32 s44, vcc_hi
; %bb.392:                              ;   in Loop: Header=BB140_3 Depth=1
	ds_store_b64 v65, v[0:1]
; %bb.393:                              ;   in Loop: Header=BB140_3 Depth=1
	s_or_b32 exec_lo, exec_lo, s44
	s_wait_dscnt 0x0
	s_barrier_signal -1
	s_barrier_wait -1
	s_and_saveexec_b32 s44, s31
	s_cbranch_execz .LBB140_395
; %bb.394:                              ;   in Loop: Header=BB140_3 Depth=1
	ds_load_b64 v[44:45], v63 offset:14016
	ds_load_b64 v[46:47], v65
	s_wait_dscnt 0x0
	v_fmac_f64_e32 v[0:1], v[44:45], v[46:47]
.LBB140_395:                            ;   in Loop: Header=BB140_3 Depth=1
	s_or_b32 exec_lo, exec_lo, s44
	s_barrier_signal -1
	s_barrier_wait -1
	s_and_saveexec_b32 s44, s33
; %bb.396:                              ;   in Loop: Header=BB140_3 Depth=1
	ds_store_b64 v65, v[0:1]
; %bb.397:                              ;   in Loop: Header=BB140_3 Depth=1
	s_or_b32 exec_lo, exec_lo, s44
	s_wait_dscnt 0x0
	s_barrier_signal -1
	s_barrier_wait -1
	s_and_saveexec_b32 s44, s34
	s_cbranch_execz .LBB140_399
; %bb.398:                              ;   in Loop: Header=BB140_3 Depth=1
	ds_load_b64 v[44:45], v63 offset:14528
	ds_load_b64 v[46:47], v65
	s_wait_dscnt 0x0
	v_fmac_f64_e32 v[0:1], v[44:45], v[46:47]
.LBB140_399:                            ;   in Loop: Header=BB140_3 Depth=1
	s_or_b32 exec_lo, exec_lo, s44
	s_barrier_signal -1
	s_barrier_wait -1
	s_and_saveexec_b32 s44, s35
	;; [unrolled: 19-line block ×4, first 2 shown]
; %bb.408:                              ;   in Loop: Header=BB140_3 Depth=1
	ds_store_b64 v65, v[0:1]
; %bb.409:                              ;   in Loop: Header=BB140_3 Depth=1
	s_or_b32 exec_lo, exec_lo, s44
	s_wait_dscnt 0x0
	s_barrier_signal -1
	s_barrier_wait -1
	s_barrier_signal -1
	s_barrier_wait -1
	s_and_saveexec_b32 s44, s4
; %bb.410:                              ;   in Loop: Header=BB140_3 Depth=1
	v_xor_b32_e32 v1, 0x80000000, v1
	ds_store_b64 v66, v[0:1] offset:8384
; %bb.411:                              ;   in Loop: Header=BB140_3 Depth=1
	s_or_b32 exec_lo, exec_lo, s44
	s_wait_dscnt 0x0
	s_barrier_signal -1
	s_barrier_wait -1
	s_barrier_signal -1
	s_barrier_wait -1
	s_and_saveexec_b32 s44, s39
	s_cbranch_execz .LBB140_413
; %bb.412:                              ;   in Loop: Header=BB140_3 Depth=1
	ds_load_b64 v[0:1], v69 offset:8384
	s_wait_dscnt 0x0
	ds_store_b64 v70, v[0:1] offset:12416
	ds_load_b64 v[0:1], v69 offset:8392
	s_wait_dscnt 0x0
	ds_store_b64 v70, v[0:1] offset:12928
	;; [unrolled: 3-line block ×8, first 2 shown]
.LBB140_413:                            ;   in Loop: Header=BB140_3 Depth=1
	s_or_b32 exec_lo, exec_lo, s44
	s_wait_dscnt 0x0
	s_barrier_signal -1
	s_barrier_wait -1
	s_and_saveexec_b32 s44, s10
	s_cbranch_execz .LBB140_415
; %bb.414:                              ;   in Loop: Header=BB140_3 Depth=1
	ds_load_b64 v[0:1], v5 offset:12488
	v_mov_b32_e32 v2, v5
	ds_store_b64 v5, v[30:31] offset:12480
	s_wait_dscnt 0x1
	ds_store_b128 v5, v[0:3] offset:12992
.LBB140_415:                            ;   in Loop: Header=BB140_3 Depth=1
	s_or_b32 exec_lo, exec_lo, s44
	v_mov_b64_e32 v[0:1], 0
	s_wait_dscnt 0x0
	s_barrier_signal -1
	s_barrier_wait -1
	s_and_saveexec_b32 s44, s1
	s_cbranch_execz .LBB140_419
; %bb.416:                              ;   in Loop: Header=BB140_3 Depth=1
	ds_load_b64 v[0:1], v50 offset:12496
	ds_load_b64 v[44:45], v51 offset:12480
	s_wait_dscnt 0x0
	v_fma_f64 v[0:1], v[0:1], v[44:45], 0
	s_and_saveexec_b32 s45, s11
	s_cbranch_execz .LBB140_418
; %bb.417:                              ;   in Loop: Header=BB140_3 Depth=1
	ds_load_b64 v[44:45], v70 offset:13008
	ds_load_b64 v[46:47], v5 offset:12488
	s_wait_dscnt 0x0
	v_fmac_f64_e32 v[0:1], v[44:45], v[46:47]
.LBB140_418:                            ;   in Loop: Header=BB140_3 Depth=1
	s_or_b32 exec_lo, exec_lo, s45
	s_delay_alu instid0(VALU_DEP_1)
	v_xor_b32_e32 v1, 0x80000000, v1
.LBB140_419:                            ;   in Loop: Header=BB140_3 Depth=1
	s_or_b32 exec_lo, exec_lo, s44
	s_and_saveexec_b32 s44, s89
; %bb.420:                              ;   in Loop: Header=BB140_3 Depth=1
	ds_store_b64 v7, v[0:1]
; %bb.421:                              ;   in Loop: Header=BB140_3 Depth=1
	s_or_b32 exec_lo, exec_lo, s44
	s_wait_dscnt 0x0
	s_barrier_signal -1
	s_barrier_wait -1
	s_and_saveexec_b32 s44, s90
	s_cbranch_execz .LBB140_423
; %bb.422:                              ;   in Loop: Header=BB140_3 Depth=1
	ds_load_b64 v[44:45], v5 offset:13528
	ds_load_b64 v[46:47], v7
	s_wait_dscnt 0x0
	v_fmac_f64_e32 v[0:1], v[44:45], v[46:47]
.LBB140_423:                            ;   in Loop: Header=BB140_3 Depth=1
	s_or_b32 exec_lo, exec_lo, s44
	s_barrier_signal -1
	s_barrier_wait -1
	s_and_saveexec_b32 s44, s90
; %bb.424:                              ;   in Loop: Header=BB140_3 Depth=1
	ds_store_b64 v7, v[0:1]
; %bb.425:                              ;   in Loop: Header=BB140_3 Depth=1
	s_or_b32 exec_lo, exec_lo, s44
	s_wait_dscnt 0x0
	s_barrier_signal -1
	s_barrier_wait -1
	s_barrier_signal -1
	s_barrier_wait -1
	s_and_saveexec_b32 s44, s1
; %bb.426:                              ;   in Loop: Header=BB140_3 Depth=1
	v_xor_b32_e32 v1, 0x80000000, v1
	ds_store_b64 v50, v[0:1] offset:12496
; %bb.427:                              ;   in Loop: Header=BB140_3 Depth=1
	s_or_b32 exec_lo, exec_lo, s44
	s_wait_dscnt 0x0
	s_barrier_signal -1
	s_barrier_wait -1
	s_barrier_signal -1
	s_barrier_wait -1
	s_and_saveexec_b32 s44, s91
	s_cbranch_execz .LBB140_429
; %bb.428:                              ;   in Loop: Header=BB140_3 Depth=1
	ds_load_b64 v[0:1], v71 offset:12496
	s_wait_dscnt 0x0
	ds_store_b64 v70, v[0:1] offset:13504
	ds_load_b64 v[0:1], v71 offset:12504
	s_wait_dscnt 0x0
	ds_store_b64 v70, v[0:1] offset:14016
.LBB140_429:                            ;   in Loop: Header=BB140_3 Depth=1
	s_or_b32 exec_lo, exec_lo, s44
	s_wait_dscnt 0x0
	s_barrier_signal -1
	s_barrier_wait -1
	s_and_saveexec_b32 s44, s10
	s_cbranch_execz .LBB140_431
; %bb.430:                              ;   in Loop: Header=BB140_3 Depth=1
	ds_load_b64 v[0:1], v5 offset:13528
	v_mov_b32_e32 v2, v5
	ds_store_b64 v5, v[30:31] offset:13520
	s_wait_dscnt 0x1
	ds_store_b128 v5, v[0:3] offset:14032
.LBB140_431:                            ;   in Loop: Header=BB140_3 Depth=1
	s_or_b32 exec_lo, exec_lo, s44
	v_mov_b64_e32 v[0:1], 0
	s_wait_dscnt 0x0
	s_barrier_signal -1
	s_barrier_wait -1
	s_and_saveexec_b32 s44, s3
	s_cbranch_execz .LBB140_437
; %bb.432:                              ;   in Loop: Header=BB140_3 Depth=1
	ds_load_b64 v[0:1], v57 offset:12512
	ds_load_b64 v[44:45], v53 offset:12480
	s_wait_dscnt 0x0
	v_fma_f64 v[0:1], v[0:1], v[44:45], 0
	s_and_saveexec_b32 s45, s12
	s_cbranch_execnz .LBB140_1089
; %bb.433:                              ;   in Loop: Header=BB140_3 Depth=1
	s_or_b32 exec_lo, exec_lo, s45
	s_and_saveexec_b32 s45, s13
	s_cbranch_execnz .LBB140_1090
.LBB140_434:                            ;   in Loop: Header=BB140_3 Depth=1
	s_or_b32 exec_lo, exec_lo, s45
	s_and_saveexec_b32 s45, s1
	s_cbranch_execz .LBB140_436
.LBB140_435:                            ;   in Loop: Header=BB140_3 Depth=1
	ds_load_b64 v[44:45], v72 offset:14048
	ds_load_b64 v[46:47], v5 offset:12504
	s_wait_dscnt 0x0
	v_fmac_f64_e32 v[0:1], v[44:45], v[46:47]
.LBB140_436:                            ;   in Loop: Header=BB140_3 Depth=1
	s_or_b32 exec_lo, exec_lo, s45
	s_delay_alu instid0(VALU_DEP_1)
	v_xor_b32_e32 v1, 0x80000000, v1
.LBB140_437:                            ;   in Loop: Header=BB140_3 Depth=1
	s_or_b32 exec_lo, exec_lo, s44
	s_and_saveexec_b32 s44, s92
; %bb.438:                              ;   in Loop: Header=BB140_3 Depth=1
	ds_store_b64 v56, v[0:1]
; %bb.439:                              ;   in Loop: Header=BB140_3 Depth=1
	s_or_b32 exec_lo, exec_lo, s44
	s_wait_dscnt 0x0
	s_barrier_signal -1
	s_barrier_wait -1
	s_and_saveexec_b32 s44, s93
	s_cbranch_execz .LBB140_441
; %bb.440:                              ;   in Loop: Header=BB140_3 Depth=1
	ds_load_b64 v[44:45], v54 offset:14560
	ds_load_b64 v[46:47], v56
	s_wait_dscnt 0x0
	v_fmac_f64_e32 v[0:1], v[44:45], v[46:47]
.LBB140_441:                            ;   in Loop: Header=BB140_3 Depth=1
	s_or_b32 exec_lo, exec_lo, s44
	s_barrier_signal -1
	s_barrier_wait -1
	s_and_saveexec_b32 s44, s94
; %bb.442:                              ;   in Loop: Header=BB140_3 Depth=1
	ds_store_b64 v56, v[0:1]
; %bb.443:                              ;   in Loop: Header=BB140_3 Depth=1
	s_or_b32 exec_lo, exec_lo, s44
	s_wait_dscnt 0x0
	s_barrier_signal -1
	s_barrier_wait -1
	s_and_saveexec_b32 s44, s95
	s_cbranch_execz .LBB140_445
; %bb.444:                              ;   in Loop: Header=BB140_3 Depth=1
	ds_load_b64 v[44:45], v54 offset:15072
	ds_load_b64 v[46:47], v56
	s_wait_dscnt 0x0
	v_fmac_f64_e32 v[0:1], v[44:45], v[46:47]
.LBB140_445:                            ;   in Loop: Header=BB140_3 Depth=1
	s_or_b32 exec_lo, exec_lo, s44
	s_barrier_signal -1
	s_barrier_wait -1
	;; [unrolled: 19-line block ×3, first 2 shown]
	s_and_saveexec_b32 s44, s97
; %bb.450:                              ;   in Loop: Header=BB140_3 Depth=1
	ds_store_b64 v56, v[0:1]
; %bb.451:                              ;   in Loop: Header=BB140_3 Depth=1
	s_or_b32 exec_lo, exec_lo, s44
	s_wait_dscnt 0x0
	s_barrier_signal -1
	s_barrier_wait -1
	s_barrier_signal -1
	s_barrier_wait -1
	s_and_saveexec_b32 s44, s3
; %bb.452:                              ;   in Loop: Header=BB140_3 Depth=1
	v_xor_b32_e32 v1, 0x80000000, v1
	ds_store_b64 v57, v[0:1] offset:12512
; %bb.453:                              ;   in Loop: Header=BB140_3 Depth=1
	s_or_b32 exec_lo, exec_lo, s44
	s_wait_dscnt 0x0
	s_barrier_signal -1
	s_barrier_wait -1
	s_barrier_signal -1
	s_barrier_wait -1
	s_and_saveexec_b32 s44, s98
	s_cbranch_execz .LBB140_455
; %bb.454:                              ;   in Loop: Header=BB140_3 Depth=1
	ds_load_b64 v[0:1], v75 offset:12512
	s_wait_dscnt 0x0
	ds_store_b64 v11, v[0:1] offset:14528
	ds_load_b64 v[0:1], v75 offset:12520
	s_wait_dscnt 0x0
	ds_store_b64 v11, v[0:1] offset:15040
	;; [unrolled: 3-line block ×4, first 2 shown]
.LBB140_455:                            ;   in Loop: Header=BB140_3 Depth=1
	s_or_b32 exec_lo, exec_lo, s44
	s_wait_dscnt 0x0
	s_barrier_signal -1
	s_barrier_wait -1
	s_and_saveexec_b32 s44, s10
	s_cbranch_execz .LBB140_457
; %bb.456:                              ;   in Loop: Header=BB140_3 Depth=1
	ds_load_b64 v[0:1], v5 offset:14568
	v_mov_b32_e32 v2, v5
	ds_store_b64 v5, v[30:31] offset:14560
	s_wait_dscnt 0x1
	ds_store_b128 v5, v[0:3] offset:15072
.LBB140_457:                            ;   in Loop: Header=BB140_3 Depth=1
	s_or_b32 exec_lo, exec_lo, s44
	v_mov_b64_e32 v[0:1], 0
	s_wait_dscnt 0x0
	s_barrier_signal -1
	s_barrier_wait -1
	s_and_saveexec_b32 s44, s1
	s_cbranch_execz .LBB140_461
; %bb.458:                              ;   in Loop: Header=BB140_3 Depth=1
	ds_load_b64 v[0:1], v50 offset:14576
	ds_load_b64 v[44:45], v51 offset:14560
	s_wait_dscnt 0x0
	v_fma_f64 v[0:1], v[0:1], v[44:45], 0
	s_and_saveexec_b32 s45, s11
	s_cbranch_execz .LBB140_460
; %bb.459:                              ;   in Loop: Header=BB140_3 Depth=1
	ds_load_b64 v[44:45], v11 offset:15088
	ds_load_b64 v[46:47], v5 offset:14568
	s_wait_dscnt 0x0
	v_fmac_f64_e32 v[0:1], v[44:45], v[46:47]
.LBB140_460:                            ;   in Loop: Header=BB140_3 Depth=1
	s_or_b32 exec_lo, exec_lo, s45
	s_delay_alu instid0(VALU_DEP_1)
	v_xor_b32_e32 v1, 0x80000000, v1
.LBB140_461:                            ;   in Loop: Header=BB140_3 Depth=1
	s_or_b32 exec_lo, exec_lo, s44
	s_and_saveexec_b32 s44, s89
; %bb.462:                              ;   in Loop: Header=BB140_3 Depth=1
	ds_store_b64 v7, v[0:1]
; %bb.463:                              ;   in Loop: Header=BB140_3 Depth=1
	s_or_b32 exec_lo, exec_lo, s44
	s_wait_dscnt 0x0
	s_barrier_signal -1
	s_barrier_wait -1
	s_and_saveexec_b32 s44, s90
	s_cbranch_execz .LBB140_465
; %bb.464:                              ;   in Loop: Header=BB140_3 Depth=1
	ds_load_b64 v[44:45], v5 offset:15608
	ds_load_b64 v[46:47], v7
	s_wait_dscnt 0x0
	v_fmac_f64_e32 v[0:1], v[44:45], v[46:47]
.LBB140_465:                            ;   in Loop: Header=BB140_3 Depth=1
	s_or_b32 exec_lo, exec_lo, s44
	s_barrier_signal -1
	s_barrier_wait -1
	s_and_saveexec_b32 s44, s90
; %bb.466:                              ;   in Loop: Header=BB140_3 Depth=1
	ds_store_b64 v7, v[0:1]
; %bb.467:                              ;   in Loop: Header=BB140_3 Depth=1
	s_or_b32 exec_lo, exec_lo, s44
	s_wait_dscnt 0x0
	s_barrier_signal -1
	s_barrier_wait -1
	s_barrier_signal -1
	s_barrier_wait -1
	s_and_saveexec_b32 s44, s1
; %bb.468:                              ;   in Loop: Header=BB140_3 Depth=1
	v_xor_b32_e32 v1, 0x80000000, v1
	ds_store_b64 v50, v[0:1] offset:14576
; %bb.469:                              ;   in Loop: Header=BB140_3 Depth=1
	s_or_b32 exec_lo, exec_lo, s44
	s_wait_dscnt 0x0
	s_barrier_signal -1
	s_barrier_wait -1
	s_barrier_signal -1
	s_barrier_wait -1
	s_and_saveexec_b32 s44, s91
	s_cbranch_execz .LBB140_471
; %bb.470:                              ;   in Loop: Header=BB140_3 Depth=1
	ds_load_b64 v[0:1], v81 offset:14576
	s_wait_dscnt 0x0
	ds_store_b64 v11, v[0:1] offset:15584
	ds_load_b64 v[0:1], v81 offset:14584
	s_wait_dscnt 0x0
	ds_store_b64 v11, v[0:1] offset:16096
.LBB140_471:                            ;   in Loop: Header=BB140_3 Depth=1
	s_or_b32 exec_lo, exec_lo, s44
	s_wait_dscnt 0x0
	s_barrier_signal -1
	s_barrier_wait -1
	s_and_saveexec_b32 s44, s10
	s_cbranch_execz .LBB140_473
; %bb.472:                              ;   in Loop: Header=BB140_3 Depth=1
	ds_load_b64 v[0:1], v5 offset:15608
	v_mov_b32_e32 v2, v5
	ds_store_b64 v5, v[30:31] offset:15600
	s_wait_dscnt 0x1
	ds_store_b128 v5, v[0:3] offset:16112
.LBB140_473:                            ;   in Loop: Header=BB140_3 Depth=1
	s_or_b32 exec_lo, exec_lo, s44
	v_mov_b64_e32 v[0:1], 0
	s_wait_dscnt 0x0
	s_barrier_signal -1
	s_barrier_wait -1
	s_and_saveexec_b32 s82, s30
	s_cbranch_execz .LBB140_535
; %bb.474:                              ;   in Loop: Header=BB140_3 Depth=1
	v_add_nc_u32_e32 v2, v9, v80
	ds_load_b64 v[0:1], v83 offset:256
	ds_load_b64 v[44:45], v2
	s_wait_dscnt 0x0
	v_fma_f64 v[0:1], v[0:1], v[44:45], 0
	s_mov_b32 s44, exec_lo
	v_readlane_b32 s45, v102, 0
	s_and_b32 s45, s44, s45
	s_delay_alu instid0(SALU_CYCLE_1)
	s_mov_b32 exec_lo, s45
	s_cbranch_execz .LBB140_476
; %bb.475:                              ;   in Loop: Header=BB140_3 Depth=1
	ds_load_b64 v[44:45], v83 offset:768
	ds_load_b64 v[46:47], v2 offset:8
	s_wait_dscnt 0x0
	v_fmac_f64_e32 v[0:1], v[44:45], v[46:47]
.LBB140_476:                            ;   in Loop: Header=BB140_3 Depth=1
	s_or_b32 exec_lo, exec_lo, s44
	s_delay_alu instid0(SALU_CYCLE_1) | instskip(SKIP_2) | instid1(SALU_CYCLE_1)
	s_mov_b32 s44, exec_lo
	v_readlane_b32 s45, v102, 1
	s_and_b32 s45, s44, s45
	s_mov_b32 exec_lo, s45
	s_cbranch_execz .LBB140_478
; %bb.477:                              ;   in Loop: Header=BB140_3 Depth=1
	ds_load_b64 v[44:45], v83 offset:1280
	ds_load_b64 v[46:47], v2 offset:16
	s_wait_dscnt 0x0
	v_fmac_f64_e32 v[0:1], v[44:45], v[46:47]
.LBB140_478:                            ;   in Loop: Header=BB140_3 Depth=1
	s_or_b32 exec_lo, exec_lo, s44
	s_delay_alu instid0(SALU_CYCLE_1) | instskip(SKIP_2) | instid1(SALU_CYCLE_1)
	s_mov_b32 s44, exec_lo
	v_readlane_b32 s45, v102, 2
	s_and_b32 s45, s44, s45
	;; [unrolled: 13-line block ×22, first 2 shown]
	s_mov_b32 exec_lo, s45
	s_cbranch_execz .LBB140_520
; %bb.519:                              ;   in Loop: Header=BB140_3 Depth=1
	ds_load_b64 v[44:45], v83 offset:12032
	ds_load_b64 v[46:47], v2 offset:184
	s_wait_dscnt 0x0
	v_fmac_f64_e32 v[0:1], v[44:45], v[46:47]
.LBB140_520:                            ;   in Loop: Header=BB140_3 Depth=1
	s_or_b32 exec_lo, exec_lo, s44
	s_and_saveexec_b32 s44, s5
	s_cbranch_execz .LBB140_522
; %bb.521:                              ;   in Loop: Header=BB140_3 Depth=1
	ds_load_b64 v[44:45], v83 offset:12544
	ds_load_b64 v[46:47], v2 offset:192
	s_wait_dscnt 0x0
	v_fmac_f64_e32 v[0:1], v[44:45], v[46:47]
.LBB140_522:                            ;   in Loop: Header=BB140_3 Depth=1
	s_or_b32 exec_lo, exec_lo, s44
	s_delay_alu instid0(SALU_CYCLE_1) | instskip(SKIP_2) | instid1(SALU_CYCLE_1)
	s_mov_b32 s44, exec_lo
	v_readlane_b32 s45, v103, 22
	s_and_b32 s45, s44, s45
	s_mov_b32 exec_lo, s45
	s_cbranch_execz .LBB140_524
; %bb.523:                              ;   in Loop: Header=BB140_3 Depth=1
	ds_load_b64 v[44:45], v83 offset:13056
	ds_load_b64 v[46:47], v2 offset:200
	s_wait_dscnt 0x0
	v_fmac_f64_e32 v[0:1], v[44:45], v[46:47]
.LBB140_524:                            ;   in Loop: Header=BB140_3 Depth=1
	s_or_b32 exec_lo, exec_lo, s44
	s_delay_alu instid0(SALU_CYCLE_1) | instskip(SKIP_2) | instid1(SALU_CYCLE_1)
	s_mov_b32 s44, exec_lo
	v_readlane_b32 s45, v103, 24
	s_and_b32 s45, s44, s45
	s_mov_b32 exec_lo, s45
	;; [unrolled: 13-line block ×5, first 2 shown]
	s_cbranch_execnz .LBB140_1091
; %bb.531:                              ;   in Loop: Header=BB140_3 Depth=1
	s_or_b32 exec_lo, exec_lo, s44
	s_and_saveexec_b32 s44, s4
	s_cbranch_execnz .LBB140_1092
.LBB140_532:                            ;   in Loop: Header=BB140_3 Depth=1
	s_or_b32 exec_lo, exec_lo, s44
	s_and_saveexec_b32 s44, s17
	s_cbranch_execz .LBB140_534
.LBB140_533:                            ;   in Loop: Header=BB140_3 Depth=1
	ds_load_b64 v[44:45], v52 offset:16128
	ds_load_b64 v[46:47], v5 offset:248
	s_wait_dscnt 0x0
	v_fmac_f64_e32 v[0:1], v[44:45], v[46:47]
.LBB140_534:                            ;   in Loop: Header=BB140_3 Depth=1
	s_or_b32 exec_lo, exec_lo, s44
	s_delay_alu instid0(VALU_DEP_1)
	v_xor_b32_e32 v1, 0x80000000, v1
.LBB140_535:                            ;   in Loop: Header=BB140_3 Depth=1
	s_or_b32 exec_lo, exec_lo, s82
	v_dual_mov_b32 v2, v79 :: v_dual_mov_b32 v44, v95
	s_mov_b32 s44, 0
	s_branch .LBB140_537
.LBB140_536:                            ;   in Loop: Header=BB140_537 Depth=2
	s_or_b32 exec_lo, exec_lo, s45
	v_add_nc_u32_e32 v44, 0x800, v44
	v_add_nc_u32_e32 v2, -4, v2
	s_add_co_i32 s44, s44, 4
	s_delay_alu instid0(SALU_CYCLE_1)
	s_cmp_eq_u32 s44, 32
	s_barrier_signal -1
	s_barrier_wait -1
	s_cbranch_scc1 .LBB140_553
.LBB140_537:                            ;   Parent Loop BB140_3 Depth=1
                                        ; =>  This Inner Loop Header: Depth=2
	s_delay_alu instid0(VALU_DEP_1) | instskip(SKIP_1) | instid1(SALU_CYCLE_1)
	v_cmp_eq_u32_e32 vcc_lo, 0, v2
	s_and_b32 s46, s43, vcc_lo
	s_and_saveexec_b32 s45, s46
; %bb.538:                              ;   in Loop: Header=BB140_537 Depth=2
	ds_store_b64 v84, v[0:1]
; %bb.539:                              ;   in Loop: Header=BB140_537 Depth=2
	s_or_b32 exec_lo, exec_lo, s45
	v_cmp_lt_u32_e32 vcc_lo, s44, v79
	s_wait_dscnt 0x0
	s_barrier_signal -1
	s_barrier_wait -1
	s_and_b32 s46, s43, vcc_lo
	s_delay_alu instid0(SALU_CYCLE_1)
	s_and_saveexec_b32 s45, s46
	s_cbranch_execz .LBB140_541
; %bb.540:                              ;   in Loop: Header=BB140_537 Depth=2
	ds_load_b64 v[46:47], v44
	ds_load_b64 v[48:49], v84
	s_wait_dscnt 0x0
	v_fmac_f64_e32 v[0:1], v[46:47], v[48:49]
.LBB140_541:                            ;   in Loop: Header=BB140_537 Depth=2
	s_or_b32 exec_lo, exec_lo, s45
	s_or_b32 s45, s44, 1
	s_delay_alu instid0(SALU_CYCLE_1) | instskip(SKIP_3) | instid1(SALU_CYCLE_1)
	v_cmp_eq_u32_e32 vcc_lo, s45, v79
	s_barrier_signal -1
	s_barrier_wait -1
	s_and_b32 s47, s43, vcc_lo
	s_and_saveexec_b32 s46, s47
; %bb.542:                              ;   in Loop: Header=BB140_537 Depth=2
	ds_store_b64 v84, v[0:1]
; %bb.543:                              ;   in Loop: Header=BB140_537 Depth=2
	s_or_b32 exec_lo, exec_lo, s46
	v_cmp_lt_u32_e32 vcc_lo, s45, v79
	s_wait_dscnt 0x0
	s_barrier_signal -1
	s_barrier_wait -1
	s_and_b32 s46, s43, vcc_lo
	s_delay_alu instid0(SALU_CYCLE_1)
	s_and_saveexec_b32 s45, s46
	s_cbranch_execz .LBB140_545
; %bb.544:                              ;   in Loop: Header=BB140_537 Depth=2
	ds_load_b64 v[46:47], v44 offset:512
	ds_load_b64 v[48:49], v84
	s_wait_dscnt 0x0
	v_fmac_f64_e32 v[0:1], v[46:47], v[48:49]
.LBB140_545:                            ;   in Loop: Header=BB140_537 Depth=2
	s_or_b32 exec_lo, exec_lo, s45
	s_or_b32 s45, s44, 2
	s_delay_alu instid0(SALU_CYCLE_1) | instskip(SKIP_3) | instid1(SALU_CYCLE_1)
	v_cmp_eq_u32_e32 vcc_lo, s45, v79
	s_barrier_signal -1
	s_barrier_wait -1
	s_and_b32 s47, s43, vcc_lo
	s_and_saveexec_b32 s46, s47
; %bb.546:                              ;   in Loop: Header=BB140_537 Depth=2
	ds_store_b64 v84, v[0:1]
; %bb.547:                              ;   in Loop: Header=BB140_537 Depth=2
	s_or_b32 exec_lo, exec_lo, s46
	v_cmp_lt_u32_e32 vcc_lo, s45, v79
	s_wait_dscnt 0x0
	s_barrier_signal -1
	s_barrier_wait -1
	s_and_b32 s46, s43, vcc_lo
	s_delay_alu instid0(SALU_CYCLE_1)
	s_and_saveexec_b32 s45, s46
	s_cbranch_execz .LBB140_549
; %bb.548:                              ;   in Loop: Header=BB140_537 Depth=2
	ds_load_b64 v[46:47], v44 offset:1024
	ds_load_b64 v[48:49], v84
	s_wait_dscnt 0x0
	v_fmac_f64_e32 v[0:1], v[46:47], v[48:49]
.LBB140_549:                            ;   in Loop: Header=BB140_537 Depth=2
	s_or_b32 exec_lo, exec_lo, s45
	s_or_b32 s45, s44, 3
	s_delay_alu instid0(SALU_CYCLE_1) | instskip(SKIP_3) | instid1(SALU_CYCLE_1)
	v_cmp_eq_u32_e32 vcc_lo, s45, v79
	s_barrier_signal -1
	s_barrier_wait -1
	s_and_b32 s47, s43, vcc_lo
	s_and_saveexec_b32 s46, s47
; %bb.550:                              ;   in Loop: Header=BB140_537 Depth=2
	ds_store_b64 v84, v[0:1]
; %bb.551:                              ;   in Loop: Header=BB140_537 Depth=2
	s_or_b32 exec_lo, exec_lo, s46
	v_cmp_lt_u32_e32 vcc_lo, s45, v79
	s_wait_dscnt 0x0
	s_barrier_signal -1
	s_barrier_wait -1
	s_and_b32 s46, s43, vcc_lo
	s_delay_alu instid0(SALU_CYCLE_1)
	s_and_saveexec_b32 s45, s46
	s_cbranch_execz .LBB140_536
; %bb.552:                              ;   in Loop: Header=BB140_537 Depth=2
	ds_load_b64 v[46:47], v44 offset:1536
	ds_load_b64 v[48:49], v84
	s_wait_dscnt 0x0
	v_fmac_f64_e32 v[0:1], v[46:47], v[48:49]
	s_branch .LBB140_536
.LBB140_553:                            ;   in Loop: Header=BB140_3 Depth=1
	s_and_saveexec_b32 s44, s30
; %bb.554:                              ;   in Loop: Header=BB140_3 Depth=1
	s_delay_alu instid0(VALU_DEP_3)
	v_xor_b32_e32 v1, 0x80000000, v1
	ds_store_b64 v83, v[0:1] offset:256
; %bb.555:                              ;   in Loop: Header=BB140_3 Depth=1
	s_or_b32 exec_lo, exec_lo, s44
	s_wait_dscnt 0x0
	s_barrier_signal -1
	s_barrier_wait -1
	s_barrier_signal -1
	s_barrier_wait -1
	s_mov_b32 s44, exec_lo
	v_readlane_b32 s45, v103, 11
	s_and_b32 s45, s44, s45
	s_delay_alu instid0(SALU_CYCLE_1)
	s_mov_b32 exec_lo, s45
	s_cbranch_execz .LBB140_557
; %bb.556:                              ;   in Loop: Header=BB140_3 Depth=1
	ds_load_b64 v[0:1], v55 offset:256
	s_wait_dscnt 0x0
	ds_store_b64 v59, v[0:1] offset:16384
	ds_load_b64 v[0:1], v55 offset:264
	s_wait_dscnt 0x0
	ds_store_b64 v59, v[0:1] offset:16896
	ds_load_b64 v[0:1], v55 offset:272
	s_wait_dscnt 0x0
	ds_store_b64 v59, v[0:1] offset:17408
	ds_load_b64 v[0:1], v55 offset:280
	s_wait_dscnt 0x0
	ds_store_b64 v59, v[0:1] offset:17920
	ds_load_b64 v[0:1], v55 offset:288
	s_wait_dscnt 0x0
	ds_store_b64 v59, v[0:1] offset:18432
	ds_load_b64 v[0:1], v55 offset:296
	s_wait_dscnt 0x0
	ds_store_b64 v59, v[0:1] offset:18944
	ds_load_b64 v[0:1], v55 offset:304
	s_wait_dscnt 0x0
	ds_store_b64 v59, v[0:1] offset:19456
	ds_load_b64 v[0:1], v55 offset:312
	s_wait_dscnt 0x0
	ds_store_b64 v59, v[0:1] offset:19968
	ds_load_b64 v[0:1], v55 offset:320
	s_wait_dscnt 0x0
	ds_store_b64 v59, v[0:1] offset:20480
	ds_load_b64 v[0:1], v55 offset:328
	s_wait_dscnt 0x0
	ds_store_b64 v59, v[0:1] offset:20992
	ds_load_b64 v[0:1], v55 offset:336
	s_wait_dscnt 0x0
	ds_store_b64 v59, v[0:1] offset:21504
	ds_load_b64 v[0:1], v55 offset:344
	s_wait_dscnt 0x0
	ds_store_b64 v59, v[0:1] offset:22016
	ds_load_b64 v[0:1], v55 offset:352
	s_wait_dscnt 0x0
	ds_store_b64 v59, v[0:1] offset:22528
	ds_load_b64 v[0:1], v55 offset:360
	s_wait_dscnt 0x0
	ds_store_b64 v59, v[0:1] offset:23040
	ds_load_b64 v[0:1], v55 offset:368
	s_wait_dscnt 0x0
	ds_store_b64 v59, v[0:1] offset:23552
	ds_load_b64 v[0:1], v55 offset:376
	s_wait_dscnt 0x0
	ds_store_b64 v59, v[0:1] offset:24064
	ds_load_b64 v[0:1], v55 offset:384
	s_wait_dscnt 0x0
	ds_store_b64 v59, v[0:1] offset:24576
	ds_load_b64 v[0:1], v55 offset:392
	s_wait_dscnt 0x0
	ds_store_b64 v59, v[0:1] offset:25088
	ds_load_b64 v[0:1], v55 offset:400
	s_wait_dscnt 0x0
	ds_store_b64 v59, v[0:1] offset:25600
	ds_load_b64 v[0:1], v55 offset:408
	s_wait_dscnt 0x0
	ds_store_b64 v59, v[0:1] offset:26112
	ds_load_b64 v[0:1], v55 offset:416
	s_wait_dscnt 0x0
	ds_store_b64 v59, v[0:1] offset:26624
	ds_load_b64 v[0:1], v55 offset:424
	s_wait_dscnt 0x0
	ds_store_b64 v59, v[0:1] offset:27136
	ds_load_b64 v[0:1], v55 offset:432
	s_wait_dscnt 0x0
	ds_store_b64 v59, v[0:1] offset:27648
	ds_load_b64 v[0:1], v55 offset:440
	s_wait_dscnt 0x0
	ds_store_b64 v59, v[0:1] offset:28160
	ds_load_b64 v[0:1], v55 offset:448
	s_wait_dscnt 0x0
	ds_store_b64 v59, v[0:1] offset:28672
	ds_load_b64 v[0:1], v55 offset:456
	s_wait_dscnt 0x0
	ds_store_b64 v59, v[0:1] offset:29184
	ds_load_b64 v[0:1], v55 offset:464
	s_wait_dscnt 0x0
	ds_store_b64 v59, v[0:1] offset:29696
	ds_load_b64 v[0:1], v55 offset:472
	s_wait_dscnt 0x0
	ds_store_b64 v59, v[0:1] offset:30208
	ds_load_b64 v[0:1], v55 offset:480
	s_wait_dscnt 0x0
	ds_store_b64 v59, v[0:1] offset:30720
	ds_load_b64 v[0:1], v55 offset:488
	s_wait_dscnt 0x0
	ds_store_b64 v59, v[0:1] offset:31232
	ds_load_b64 v[0:1], v55 offset:496
	s_wait_dscnt 0x0
	ds_store_b64 v59, v[0:1] offset:31744
	ds_load_b64 v[0:1], v55 offset:504
	s_wait_dscnt 0x0
	ds_store_b64 v59, v[0:1] offset:32256
.LBB140_557:                            ;   in Loop: Header=BB140_3 Depth=1
	s_or_b32 exec_lo, exec_lo, s44
	s_wait_dscnt 0x0
	s_barrier_signal -1
	s_barrier_wait -1
	s_and_saveexec_b32 s44, s10
	s_cbranch_execz .LBB140_559
; %bb.558:                              ;   in Loop: Header=BB140_3 Depth=1
	ds_load_b64 v[0:1], v5 offset:16648
	v_mov_b32_e32 v2, v5
	ds_store_b64 v5, v[30:31] offset:16640
	s_wait_dscnt 0x1
	ds_store_b128 v5, v[0:3] offset:17152
.LBB140_559:                            ;   in Loop: Header=BB140_3 Depth=1
	s_or_b32 exec_lo, exec_lo, s44
	v_mov_b64_e32 v[0:1], 0
	s_wait_dscnt 0x0
	s_barrier_signal -1
	s_barrier_wait -1
	s_and_saveexec_b32 s44, s1
	s_cbranch_execz .LBB140_563
; %bb.560:                              ;   in Loop: Header=BB140_3 Depth=1
	ds_load_b64 v[0:1], v50 offset:16656
	ds_load_b64 v[44:45], v51 offset:16640
	s_wait_dscnt 0x0
	v_fma_f64 v[0:1], v[0:1], v[44:45], 0
	s_and_saveexec_b32 s45, s11
	s_cbranch_execz .LBB140_562
; %bb.561:                              ;   in Loop: Header=BB140_3 Depth=1
	ds_load_b64 v[44:45], v52 offset:17168
	ds_load_b64 v[46:47], v5 offset:16648
	s_wait_dscnt 0x0
	v_fmac_f64_e32 v[0:1], v[44:45], v[46:47]
.LBB140_562:                            ;   in Loop: Header=BB140_3 Depth=1
	s_or_b32 exec_lo, exec_lo, s45
	s_delay_alu instid0(VALU_DEP_1)
	v_xor_b32_e32 v1, 0x80000000, v1
.LBB140_563:                            ;   in Loop: Header=BB140_3 Depth=1
	s_or_b32 exec_lo, exec_lo, s44
	s_and_saveexec_b32 s44, s89
; %bb.564:                              ;   in Loop: Header=BB140_3 Depth=1
	ds_store_b64 v7, v[0:1]
; %bb.565:                              ;   in Loop: Header=BB140_3 Depth=1
	s_or_b32 exec_lo, exec_lo, s44
	s_wait_dscnt 0x0
	s_barrier_signal -1
	s_barrier_wait -1
	s_and_saveexec_b32 s44, s90
	s_cbranch_execz .LBB140_567
; %bb.566:                              ;   in Loop: Header=BB140_3 Depth=1
	ds_load_b64 v[44:45], v5 offset:17688
	ds_load_b64 v[46:47], v7
	s_wait_dscnt 0x0
	v_fmac_f64_e32 v[0:1], v[44:45], v[46:47]
.LBB140_567:                            ;   in Loop: Header=BB140_3 Depth=1
	s_or_b32 exec_lo, exec_lo, s44
	s_barrier_signal -1
	s_barrier_wait -1
	s_and_saveexec_b32 s44, s90
; %bb.568:                              ;   in Loop: Header=BB140_3 Depth=1
	ds_store_b64 v7, v[0:1]
; %bb.569:                              ;   in Loop: Header=BB140_3 Depth=1
	s_or_b32 exec_lo, exec_lo, s44
	s_wait_dscnt 0x0
	s_barrier_signal -1
	s_barrier_wait -1
	s_barrier_signal -1
	s_barrier_wait -1
	s_and_saveexec_b32 s44, s1
; %bb.570:                              ;   in Loop: Header=BB140_3 Depth=1
	v_xor_b32_e32 v1, 0x80000000, v1
	ds_store_b64 v50, v[0:1] offset:16656
; %bb.571:                              ;   in Loop: Header=BB140_3 Depth=1
	s_or_b32 exec_lo, exec_lo, s44
	s_wait_dscnt 0x0
	s_barrier_signal -1
	s_barrier_wait -1
	s_barrier_signal -1
	s_barrier_wait -1
	s_and_saveexec_b32 s44, s91
	s_cbranch_execz .LBB140_573
; %bb.572:                              ;   in Loop: Header=BB140_3 Depth=1
	ds_load_b64 v[0:1], v55 offset:16656
	s_wait_dscnt 0x0
	ds_store_b64 v52, v[0:1] offset:17664
	ds_load_b64 v[0:1], v55 offset:16664
	s_wait_dscnt 0x0
	ds_store_b64 v52, v[0:1] offset:18176
.LBB140_573:                            ;   in Loop: Header=BB140_3 Depth=1
	s_or_b32 exec_lo, exec_lo, s44
	s_wait_dscnt 0x0
	s_barrier_signal -1
	s_barrier_wait -1
	s_and_saveexec_b32 s44, s10
	s_cbranch_execz .LBB140_575
; %bb.574:                              ;   in Loop: Header=BB140_3 Depth=1
	ds_load_b64 v[0:1], v5 offset:17688
	v_mov_b32_e32 v2, v5
	ds_store_b64 v5, v[30:31] offset:17680
	s_wait_dscnt 0x1
	ds_store_b128 v5, v[0:3] offset:18192
.LBB140_575:                            ;   in Loop: Header=BB140_3 Depth=1
	s_or_b32 exec_lo, exec_lo, s44
	v_mov_b64_e32 v[0:1], 0
	s_wait_dscnt 0x0
	s_barrier_signal -1
	s_barrier_wait -1
	s_and_saveexec_b32 s44, s3
	s_cbranch_execz .LBB140_581
; %bb.576:                              ;   in Loop: Header=BB140_3 Depth=1
	ds_load_b64 v[0:1], v57 offset:16672
	ds_load_b64 v[44:45], v53 offset:16640
	s_wait_dscnt 0x0
	v_fma_f64 v[0:1], v[0:1], v[44:45], 0
	s_and_saveexec_b32 s45, s12
	s_cbranch_execnz .LBB140_1093
; %bb.577:                              ;   in Loop: Header=BB140_3 Depth=1
	s_or_b32 exec_lo, exec_lo, s45
	s_and_saveexec_b32 s45, s13
	s_cbranch_execnz .LBB140_1094
.LBB140_578:                            ;   in Loop: Header=BB140_3 Depth=1
	s_or_b32 exec_lo, exec_lo, s45
	s_and_saveexec_b32 s45, s1
	s_cbranch_execz .LBB140_580
.LBB140_579:                            ;   in Loop: Header=BB140_3 Depth=1
	ds_load_b64 v[44:45], v59 offset:18208
	ds_load_b64 v[46:47], v5 offset:16664
	s_wait_dscnt 0x0
	v_fmac_f64_e32 v[0:1], v[44:45], v[46:47]
.LBB140_580:                            ;   in Loop: Header=BB140_3 Depth=1
	s_or_b32 exec_lo, exec_lo, s45
	s_delay_alu instid0(VALU_DEP_1)
	v_xor_b32_e32 v1, 0x80000000, v1
.LBB140_581:                            ;   in Loop: Header=BB140_3 Depth=1
	s_or_b32 exec_lo, exec_lo, s44
	s_and_saveexec_b32 s44, s92
; %bb.582:                              ;   in Loop: Header=BB140_3 Depth=1
	ds_store_b64 v56, v[0:1]
; %bb.583:                              ;   in Loop: Header=BB140_3 Depth=1
	s_or_b32 exec_lo, exec_lo, s44
	s_wait_dscnt 0x0
	s_barrier_signal -1
	s_barrier_wait -1
	s_and_saveexec_b32 s44, s93
	s_cbranch_execz .LBB140_585
; %bb.584:                              ;   in Loop: Header=BB140_3 Depth=1
	ds_load_b64 v[44:45], v54 offset:18720
	ds_load_b64 v[46:47], v56
	s_wait_dscnt 0x0
	v_fmac_f64_e32 v[0:1], v[44:45], v[46:47]
.LBB140_585:                            ;   in Loop: Header=BB140_3 Depth=1
	s_or_b32 exec_lo, exec_lo, s44
	s_barrier_signal -1
	s_barrier_wait -1
	s_and_saveexec_b32 s44, s94
; %bb.586:                              ;   in Loop: Header=BB140_3 Depth=1
	ds_store_b64 v56, v[0:1]
; %bb.587:                              ;   in Loop: Header=BB140_3 Depth=1
	s_or_b32 exec_lo, exec_lo, s44
	s_wait_dscnt 0x0
	s_barrier_signal -1
	s_barrier_wait -1
	s_and_saveexec_b32 s44, s95
	s_cbranch_execz .LBB140_589
; %bb.588:                              ;   in Loop: Header=BB140_3 Depth=1
	ds_load_b64 v[44:45], v54 offset:19232
	ds_load_b64 v[46:47], v56
	s_wait_dscnt 0x0
	v_fmac_f64_e32 v[0:1], v[44:45], v[46:47]
.LBB140_589:                            ;   in Loop: Header=BB140_3 Depth=1
	s_or_b32 exec_lo, exec_lo, s44
	s_barrier_signal -1
	s_barrier_wait -1
	;; [unrolled: 19-line block ×3, first 2 shown]
	s_and_saveexec_b32 s44, s97
; %bb.594:                              ;   in Loop: Header=BB140_3 Depth=1
	ds_store_b64 v56, v[0:1]
; %bb.595:                              ;   in Loop: Header=BB140_3 Depth=1
	s_or_b32 exec_lo, exec_lo, s44
	s_wait_dscnt 0x0
	s_barrier_signal -1
	s_barrier_wait -1
	s_barrier_signal -1
	s_barrier_wait -1
	s_and_saveexec_b32 s44, s3
; %bb.596:                              ;   in Loop: Header=BB140_3 Depth=1
	v_xor_b32_e32 v1, 0x80000000, v1
	ds_store_b64 v57, v[0:1] offset:16672
; %bb.597:                              ;   in Loop: Header=BB140_3 Depth=1
	s_or_b32 exec_lo, exec_lo, s44
	s_wait_dscnt 0x0
	s_barrier_signal -1
	s_barrier_wait -1
	s_barrier_signal -1
	s_barrier_wait -1
	s_and_saveexec_b32 s44, s98
	s_cbranch_execz .LBB140_599
; %bb.598:                              ;   in Loop: Header=BB140_3 Depth=1
	ds_load_b64 v[0:1], v60 offset:16672
	s_wait_dscnt 0x0
	ds_store_b64 v62, v[0:1] offset:18688
	ds_load_b64 v[0:1], v60 offset:16680
	s_wait_dscnt 0x0
	ds_store_b64 v62, v[0:1] offset:19200
	ds_load_b64 v[0:1], v60 offset:16688
	s_wait_dscnt 0x0
	ds_store_b64 v62, v[0:1] offset:19712
	ds_load_b64 v[0:1], v60 offset:16696
	s_wait_dscnt 0x0
	ds_store_b64 v62, v[0:1] offset:20224
.LBB140_599:                            ;   in Loop: Header=BB140_3 Depth=1
	s_or_b32 exec_lo, exec_lo, s44
	s_wait_dscnt 0x0
	s_barrier_signal -1
	s_barrier_wait -1
	s_and_saveexec_b32 s44, s10
	s_cbranch_execz .LBB140_601
; %bb.600:                              ;   in Loop: Header=BB140_3 Depth=1
	ds_load_b64 v[0:1], v5 offset:18728
	v_mov_b32_e32 v2, v5
	ds_store_b64 v5, v[30:31] offset:18720
	s_wait_dscnt 0x1
	ds_store_b128 v5, v[0:3] offset:19232
.LBB140_601:                            ;   in Loop: Header=BB140_3 Depth=1
	s_or_b32 exec_lo, exec_lo, s44
	v_mov_b64_e32 v[0:1], 0
	s_wait_dscnt 0x0
	s_barrier_signal -1
	s_barrier_wait -1
	s_and_saveexec_b32 s44, s1
	s_cbranch_execz .LBB140_605
; %bb.602:                              ;   in Loop: Header=BB140_3 Depth=1
	ds_load_b64 v[0:1], v50 offset:18736
	ds_load_b64 v[44:45], v51 offset:18720
	s_wait_dscnt 0x0
	v_fma_f64 v[0:1], v[0:1], v[44:45], 0
	s_and_saveexec_b32 s45, s11
	s_cbranch_execz .LBB140_604
; %bb.603:                              ;   in Loop: Header=BB140_3 Depth=1
	ds_load_b64 v[44:45], v62 offset:19248
	ds_load_b64 v[46:47], v5 offset:18728
	s_wait_dscnt 0x0
	v_fmac_f64_e32 v[0:1], v[44:45], v[46:47]
.LBB140_604:                            ;   in Loop: Header=BB140_3 Depth=1
	s_or_b32 exec_lo, exec_lo, s45
	s_delay_alu instid0(VALU_DEP_1)
	v_xor_b32_e32 v1, 0x80000000, v1
.LBB140_605:                            ;   in Loop: Header=BB140_3 Depth=1
	s_or_b32 exec_lo, exec_lo, s44
	s_and_saveexec_b32 s44, s89
; %bb.606:                              ;   in Loop: Header=BB140_3 Depth=1
	ds_store_b64 v7, v[0:1]
; %bb.607:                              ;   in Loop: Header=BB140_3 Depth=1
	s_or_b32 exec_lo, exec_lo, s44
	s_wait_dscnt 0x0
	s_barrier_signal -1
	s_barrier_wait -1
	s_and_saveexec_b32 s44, s90
	s_cbranch_execz .LBB140_609
; %bb.608:                              ;   in Loop: Header=BB140_3 Depth=1
	ds_load_b64 v[44:45], v5 offset:19768
	ds_load_b64 v[46:47], v7
	s_wait_dscnt 0x0
	v_fmac_f64_e32 v[0:1], v[44:45], v[46:47]
.LBB140_609:                            ;   in Loop: Header=BB140_3 Depth=1
	s_or_b32 exec_lo, exec_lo, s44
	s_barrier_signal -1
	s_barrier_wait -1
	s_and_saveexec_b32 s44, s90
; %bb.610:                              ;   in Loop: Header=BB140_3 Depth=1
	ds_store_b64 v7, v[0:1]
; %bb.611:                              ;   in Loop: Header=BB140_3 Depth=1
	s_or_b32 exec_lo, exec_lo, s44
	s_wait_dscnt 0x0
	s_barrier_signal -1
	s_barrier_wait -1
	s_barrier_signal -1
	s_barrier_wait -1
	s_and_saveexec_b32 s44, s1
; %bb.612:                              ;   in Loop: Header=BB140_3 Depth=1
	v_xor_b32_e32 v1, 0x80000000, v1
	ds_store_b64 v50, v[0:1] offset:18736
; %bb.613:                              ;   in Loop: Header=BB140_3 Depth=1
	s_or_b32 exec_lo, exec_lo, s44
	s_wait_dscnt 0x0
	s_barrier_signal -1
	s_barrier_wait -1
	s_barrier_signal -1
	s_barrier_wait -1
	s_and_saveexec_b32 s44, s91
	s_cbranch_execz .LBB140_615
; %bb.614:                              ;   in Loop: Header=BB140_3 Depth=1
	ds_load_b64 v[0:1], v64 offset:18736
	s_wait_dscnt 0x0
	ds_store_b64 v62, v[0:1] offset:19744
	ds_load_b64 v[0:1], v64 offset:18744
	s_wait_dscnt 0x0
	ds_store_b64 v62, v[0:1] offset:20256
.LBB140_615:                            ;   in Loop: Header=BB140_3 Depth=1
	s_or_b32 exec_lo, exec_lo, s44
	s_wait_dscnt 0x0
	s_barrier_signal -1
	s_barrier_wait -1
	s_and_saveexec_b32 s44, s10
	s_cbranch_execz .LBB140_617
; %bb.616:                              ;   in Loop: Header=BB140_3 Depth=1
	ds_load_b64 v[0:1], v5 offset:19768
	v_mov_b32_e32 v2, v5
	ds_store_b64 v5, v[30:31] offset:19760
	s_wait_dscnt 0x1
	ds_store_b128 v5, v[0:3] offset:20272
.LBB140_617:                            ;   in Loop: Header=BB140_3 Depth=1
	s_or_b32 exec_lo, exec_lo, s44
	v_mov_b64_e32 v[0:1], 0
	s_wait_dscnt 0x0
	s_barrier_signal -1
	s_barrier_wait -1
	s_and_saveexec_b32 s44, s4
	s_cbranch_execz .LBB140_627
; %bb.618:                              ;   in Loop: Header=BB140_3 Depth=1
	ds_load_b64 v[0:1], v66 offset:16704
	ds_load_b64 v[44:45], v61 offset:16640
	s_wait_dscnt 0x0
	v_fma_f64 v[0:1], v[0:1], v[44:45], 0
	s_and_saveexec_b32 s45, s14
	s_cbranch_execnz .LBB140_1095
; %bb.619:                              ;   in Loop: Header=BB140_3 Depth=1
	s_or_b32 exec_lo, exec_lo, s45
	s_and_saveexec_b32 s45, s15
	s_cbranch_execnz .LBB140_1096
.LBB140_620:                            ;   in Loop: Header=BB140_3 Depth=1
	s_or_b32 exec_lo, exec_lo, s45
	s_and_saveexec_b32 s45, s16
	s_cbranch_execnz .LBB140_1097
.LBB140_621:                            ;   in Loop: Header=BB140_3 Depth=1
	s_or_b32 exec_lo, exec_lo, s45
	s_and_saveexec_b32 s45, s17
	s_cbranch_execnz .LBB140_1098
.LBB140_622:                            ;   in Loop: Header=BB140_3 Depth=1
	s_or_b32 exec_lo, exec_lo, s45
	s_and_saveexec_b32 s45, s18
	s_cbranch_execnz .LBB140_1099
.LBB140_623:                            ;   in Loop: Header=BB140_3 Depth=1
	s_or_b32 exec_lo, exec_lo, s45
	s_and_saveexec_b32 s45, s3
	s_cbranch_execnz .LBB140_1100
.LBB140_624:                            ;   in Loop: Header=BB140_3 Depth=1
	s_or_b32 exec_lo, exec_lo, s45
	s_and_saveexec_b32 s45, s13
	s_cbranch_execz .LBB140_626
.LBB140_625:                            ;   in Loop: Header=BB140_3 Depth=1
	ds_load_b64 v[44:45], v68 offset:20288
	ds_load_b64 v[46:47], v5 offset:16696
	s_wait_dscnt 0x0
	v_fmac_f64_e32 v[0:1], v[44:45], v[46:47]
.LBB140_626:                            ;   in Loop: Header=BB140_3 Depth=1
	s_or_b32 exec_lo, exec_lo, s45
	s_delay_alu instid0(VALU_DEP_1)
	v_xor_b32_e32 v1, 0x80000000, v1
.LBB140_627:                            ;   in Loop: Header=BB140_3 Depth=1
	s_or_b32 exec_lo, exec_lo, s44
	s_and_saveexec_b32 s44, s99
; %bb.628:                              ;   in Loop: Header=BB140_3 Depth=1
	ds_store_b64 v65, v[0:1]
; %bb.629:                              ;   in Loop: Header=BB140_3 Depth=1
	s_or_b32 exec_lo, exec_lo, s44
	s_wait_dscnt 0x0
	s_barrier_signal -1
	s_barrier_wait -1
	s_and_saveexec_b32 s44, s100
	s_cbranch_execz .LBB140_631
; %bb.630:                              ;   in Loop: Header=BB140_3 Depth=1
	ds_load_b64 v[44:45], v63 offset:20800
	ds_load_b64 v[46:47], v65
	s_wait_dscnt 0x0
	v_fmac_f64_e32 v[0:1], v[44:45], v[46:47]
.LBB140_631:                            ;   in Loop: Header=BB140_3 Depth=1
	s_or_b32 exec_lo, exec_lo, s44
	s_barrier_signal -1
	s_barrier_wait -1
	s_and_saveexec_b32 s44, s101
; %bb.632:                              ;   in Loop: Header=BB140_3 Depth=1
	ds_store_b64 v65, v[0:1]
; %bb.633:                              ;   in Loop: Header=BB140_3 Depth=1
	s_or_b32 exec_lo, exec_lo, s44
	s_wait_dscnt 0x0
	s_barrier_signal -1
	s_barrier_wait -1
	s_and_saveexec_b32 s44, s102
	s_cbranch_execz .LBB140_635
; %bb.634:                              ;   in Loop: Header=BB140_3 Depth=1
	ds_load_b64 v[44:45], v63 offset:21312
	ds_load_b64 v[46:47], v65
	s_wait_dscnt 0x0
	v_fmac_f64_e32 v[0:1], v[44:45], v[46:47]
.LBB140_635:                            ;   in Loop: Header=BB140_3 Depth=1
	s_or_b32 exec_lo, exec_lo, s44
	s_barrier_signal -1
	s_barrier_wait -1
	;; [unrolled: 19-line block ×3, first 2 shown]
	s_and_saveexec_b32 s44, vcc_hi
; %bb.640:                              ;   in Loop: Header=BB140_3 Depth=1
	ds_store_b64 v65, v[0:1]
; %bb.641:                              ;   in Loop: Header=BB140_3 Depth=1
	s_or_b32 exec_lo, exec_lo, s44
	s_wait_dscnt 0x0
	s_barrier_signal -1
	s_barrier_wait -1
	s_and_saveexec_b32 s44, s31
	s_cbranch_execz .LBB140_643
; %bb.642:                              ;   in Loop: Header=BB140_3 Depth=1
	ds_load_b64 v[44:45], v63 offset:22336
	ds_load_b64 v[46:47], v65
	s_wait_dscnt 0x0
	v_fmac_f64_e32 v[0:1], v[44:45], v[46:47]
.LBB140_643:                            ;   in Loop: Header=BB140_3 Depth=1
	s_or_b32 exec_lo, exec_lo, s44
	s_barrier_signal -1
	s_barrier_wait -1
	s_and_saveexec_b32 s44, s33
; %bb.644:                              ;   in Loop: Header=BB140_3 Depth=1
	ds_store_b64 v65, v[0:1]
; %bb.645:                              ;   in Loop: Header=BB140_3 Depth=1
	s_or_b32 exec_lo, exec_lo, s44
	s_wait_dscnt 0x0
	s_barrier_signal -1
	s_barrier_wait -1
	s_and_saveexec_b32 s44, s34
	s_cbranch_execz .LBB140_647
; %bb.646:                              ;   in Loop: Header=BB140_3 Depth=1
	ds_load_b64 v[44:45], v63 offset:22848
	ds_load_b64 v[46:47], v65
	s_wait_dscnt 0x0
	v_fmac_f64_e32 v[0:1], v[44:45], v[46:47]
.LBB140_647:                            ;   in Loop: Header=BB140_3 Depth=1
	s_or_b32 exec_lo, exec_lo, s44
	s_barrier_signal -1
	s_barrier_wait -1
	s_and_saveexec_b32 s44, s35
	;; [unrolled: 19-line block ×4, first 2 shown]
; %bb.656:                              ;   in Loop: Header=BB140_3 Depth=1
	ds_store_b64 v65, v[0:1]
; %bb.657:                              ;   in Loop: Header=BB140_3 Depth=1
	s_or_b32 exec_lo, exec_lo, s44
	s_wait_dscnt 0x0
	s_barrier_signal -1
	s_barrier_wait -1
	s_barrier_signal -1
	s_barrier_wait -1
	s_and_saveexec_b32 s44, s4
; %bb.658:                              ;   in Loop: Header=BB140_3 Depth=1
	v_xor_b32_e32 v1, 0x80000000, v1
	ds_store_b64 v66, v[0:1] offset:16704
; %bb.659:                              ;   in Loop: Header=BB140_3 Depth=1
	s_or_b32 exec_lo, exec_lo, s44
	s_wait_dscnt 0x0
	s_barrier_signal -1
	s_barrier_wait -1
	s_barrier_signal -1
	s_barrier_wait -1
	s_and_saveexec_b32 s44, s39
	s_cbranch_execz .LBB140_661
; %bb.660:                              ;   in Loop: Header=BB140_3 Depth=1
	ds_load_b64 v[0:1], v69 offset:16704
	s_wait_dscnt 0x0
	ds_store_b64 v70, v[0:1] offset:20736
	ds_load_b64 v[0:1], v69 offset:16712
	s_wait_dscnt 0x0
	ds_store_b64 v70, v[0:1] offset:21248
	ds_load_b64 v[0:1], v69 offset:16720
	s_wait_dscnt 0x0
	ds_store_b64 v70, v[0:1] offset:21760
	ds_load_b64 v[0:1], v69 offset:16728
	s_wait_dscnt 0x0
	ds_store_b64 v70, v[0:1] offset:22272
	ds_load_b64 v[0:1], v69 offset:16736
	s_wait_dscnt 0x0
	ds_store_b64 v70, v[0:1] offset:22784
	ds_load_b64 v[0:1], v69 offset:16744
	s_wait_dscnt 0x0
	ds_store_b64 v70, v[0:1] offset:23296
	ds_load_b64 v[0:1], v69 offset:16752
	s_wait_dscnt 0x0
	ds_store_b64 v70, v[0:1] offset:23808
	ds_load_b64 v[0:1], v69 offset:16760
	s_wait_dscnt 0x0
	ds_store_b64 v70, v[0:1] offset:24320
.LBB140_661:                            ;   in Loop: Header=BB140_3 Depth=1
	s_or_b32 exec_lo, exec_lo, s44
	s_wait_dscnt 0x0
	s_barrier_signal -1
	s_barrier_wait -1
	s_and_saveexec_b32 s44, s10
	s_cbranch_execz .LBB140_663
; %bb.662:                              ;   in Loop: Header=BB140_3 Depth=1
	ds_load_b64 v[0:1], v5 offset:20808
	v_mov_b32_e32 v2, v5
	ds_store_b64 v5, v[30:31] offset:20800
	s_wait_dscnt 0x1
	ds_store_b128 v5, v[0:3] offset:21312
.LBB140_663:                            ;   in Loop: Header=BB140_3 Depth=1
	s_or_b32 exec_lo, exec_lo, s44
	v_mov_b64_e32 v[0:1], 0
	s_wait_dscnt 0x0
	s_barrier_signal -1
	s_barrier_wait -1
	s_and_saveexec_b32 s44, s1
	s_cbranch_execz .LBB140_667
; %bb.664:                              ;   in Loop: Header=BB140_3 Depth=1
	ds_load_b64 v[0:1], v50 offset:20816
	ds_load_b64 v[44:45], v51 offset:20800
	s_wait_dscnt 0x0
	v_fma_f64 v[0:1], v[0:1], v[44:45], 0
	s_and_saveexec_b32 s45, s11
	s_cbranch_execz .LBB140_666
; %bb.665:                              ;   in Loop: Header=BB140_3 Depth=1
	ds_load_b64 v[44:45], v70 offset:21328
	ds_load_b64 v[46:47], v5 offset:20808
	s_wait_dscnt 0x0
	v_fmac_f64_e32 v[0:1], v[44:45], v[46:47]
.LBB140_666:                            ;   in Loop: Header=BB140_3 Depth=1
	s_or_b32 exec_lo, exec_lo, s45
	s_delay_alu instid0(VALU_DEP_1)
	v_xor_b32_e32 v1, 0x80000000, v1
.LBB140_667:                            ;   in Loop: Header=BB140_3 Depth=1
	s_or_b32 exec_lo, exec_lo, s44
	s_and_saveexec_b32 s44, s89
; %bb.668:                              ;   in Loop: Header=BB140_3 Depth=1
	ds_store_b64 v7, v[0:1]
; %bb.669:                              ;   in Loop: Header=BB140_3 Depth=1
	s_or_b32 exec_lo, exec_lo, s44
	s_wait_dscnt 0x0
	s_barrier_signal -1
	s_barrier_wait -1
	s_and_saveexec_b32 s44, s90
	s_cbranch_execz .LBB140_671
; %bb.670:                              ;   in Loop: Header=BB140_3 Depth=1
	ds_load_b64 v[44:45], v5 offset:21848
	ds_load_b64 v[46:47], v7
	s_wait_dscnt 0x0
	v_fmac_f64_e32 v[0:1], v[44:45], v[46:47]
.LBB140_671:                            ;   in Loop: Header=BB140_3 Depth=1
	s_or_b32 exec_lo, exec_lo, s44
	s_barrier_signal -1
	s_barrier_wait -1
	s_and_saveexec_b32 s44, s90
; %bb.672:                              ;   in Loop: Header=BB140_3 Depth=1
	ds_store_b64 v7, v[0:1]
; %bb.673:                              ;   in Loop: Header=BB140_3 Depth=1
	s_or_b32 exec_lo, exec_lo, s44
	s_wait_dscnt 0x0
	s_barrier_signal -1
	s_barrier_wait -1
	s_barrier_signal -1
	s_barrier_wait -1
	s_and_saveexec_b32 s44, s1
; %bb.674:                              ;   in Loop: Header=BB140_3 Depth=1
	v_xor_b32_e32 v1, 0x80000000, v1
	ds_store_b64 v50, v[0:1] offset:20816
; %bb.675:                              ;   in Loop: Header=BB140_3 Depth=1
	s_or_b32 exec_lo, exec_lo, s44
	s_wait_dscnt 0x0
	s_barrier_signal -1
	s_barrier_wait -1
	s_barrier_signal -1
	s_barrier_wait -1
	s_and_saveexec_b32 s44, s91
	s_cbranch_execz .LBB140_677
; %bb.676:                              ;   in Loop: Header=BB140_3 Depth=1
	ds_load_b64 v[0:1], v71 offset:20816
	s_wait_dscnt 0x0
	ds_store_b64 v70, v[0:1] offset:21824
	ds_load_b64 v[0:1], v71 offset:20824
	s_wait_dscnt 0x0
	ds_store_b64 v70, v[0:1] offset:22336
.LBB140_677:                            ;   in Loop: Header=BB140_3 Depth=1
	s_or_b32 exec_lo, exec_lo, s44
	s_wait_dscnt 0x0
	s_barrier_signal -1
	s_barrier_wait -1
	s_and_saveexec_b32 s44, s10
	s_cbranch_execz .LBB140_679
; %bb.678:                              ;   in Loop: Header=BB140_3 Depth=1
	ds_load_b64 v[0:1], v5 offset:21848
	v_mov_b32_e32 v2, v5
	ds_store_b64 v5, v[30:31] offset:21840
	s_wait_dscnt 0x1
	ds_store_b128 v5, v[0:3] offset:22352
.LBB140_679:                            ;   in Loop: Header=BB140_3 Depth=1
	s_or_b32 exec_lo, exec_lo, s44
	v_mov_b64_e32 v[0:1], 0
	s_wait_dscnt 0x0
	s_barrier_signal -1
	s_barrier_wait -1
	s_and_saveexec_b32 s44, s3
	s_cbranch_execz .LBB140_685
; %bb.680:                              ;   in Loop: Header=BB140_3 Depth=1
	ds_load_b64 v[0:1], v57 offset:20832
	ds_load_b64 v[44:45], v53 offset:20800
	s_wait_dscnt 0x0
	v_fma_f64 v[0:1], v[0:1], v[44:45], 0
	s_and_saveexec_b32 s45, s12
	s_cbranch_execnz .LBB140_1101
; %bb.681:                              ;   in Loop: Header=BB140_3 Depth=1
	s_or_b32 exec_lo, exec_lo, s45
	s_and_saveexec_b32 s45, s13
	s_cbranch_execnz .LBB140_1102
.LBB140_682:                            ;   in Loop: Header=BB140_3 Depth=1
	s_or_b32 exec_lo, exec_lo, s45
	s_and_saveexec_b32 s45, s1
	s_cbranch_execz .LBB140_684
.LBB140_683:                            ;   in Loop: Header=BB140_3 Depth=1
	ds_load_b64 v[44:45], v72 offset:22368
	ds_load_b64 v[46:47], v5 offset:20824
	s_wait_dscnt 0x0
	v_fmac_f64_e32 v[0:1], v[44:45], v[46:47]
.LBB140_684:                            ;   in Loop: Header=BB140_3 Depth=1
	s_or_b32 exec_lo, exec_lo, s45
	s_delay_alu instid0(VALU_DEP_1)
	v_xor_b32_e32 v1, 0x80000000, v1
.LBB140_685:                            ;   in Loop: Header=BB140_3 Depth=1
	s_or_b32 exec_lo, exec_lo, s44
	s_and_saveexec_b32 s44, s92
; %bb.686:                              ;   in Loop: Header=BB140_3 Depth=1
	ds_store_b64 v56, v[0:1]
; %bb.687:                              ;   in Loop: Header=BB140_3 Depth=1
	s_or_b32 exec_lo, exec_lo, s44
	s_wait_dscnt 0x0
	s_barrier_signal -1
	s_barrier_wait -1
	s_and_saveexec_b32 s44, s93
	s_cbranch_execz .LBB140_689
; %bb.688:                              ;   in Loop: Header=BB140_3 Depth=1
	ds_load_b64 v[44:45], v54 offset:22880
	ds_load_b64 v[46:47], v56
	s_wait_dscnt 0x0
	v_fmac_f64_e32 v[0:1], v[44:45], v[46:47]
.LBB140_689:                            ;   in Loop: Header=BB140_3 Depth=1
	s_or_b32 exec_lo, exec_lo, s44
	s_barrier_signal -1
	s_barrier_wait -1
	s_and_saveexec_b32 s44, s94
; %bb.690:                              ;   in Loop: Header=BB140_3 Depth=1
	ds_store_b64 v56, v[0:1]
; %bb.691:                              ;   in Loop: Header=BB140_3 Depth=1
	s_or_b32 exec_lo, exec_lo, s44
	s_wait_dscnt 0x0
	s_barrier_signal -1
	s_barrier_wait -1
	s_and_saveexec_b32 s44, s95
	s_cbranch_execz .LBB140_693
; %bb.692:                              ;   in Loop: Header=BB140_3 Depth=1
	ds_load_b64 v[44:45], v54 offset:23392
	ds_load_b64 v[46:47], v56
	s_wait_dscnt 0x0
	v_fmac_f64_e32 v[0:1], v[44:45], v[46:47]
.LBB140_693:                            ;   in Loop: Header=BB140_3 Depth=1
	s_or_b32 exec_lo, exec_lo, s44
	s_barrier_signal -1
	s_barrier_wait -1
	;; [unrolled: 19-line block ×3, first 2 shown]
	s_and_saveexec_b32 s44, s97
; %bb.698:                              ;   in Loop: Header=BB140_3 Depth=1
	ds_store_b64 v56, v[0:1]
; %bb.699:                              ;   in Loop: Header=BB140_3 Depth=1
	s_or_b32 exec_lo, exec_lo, s44
	s_wait_dscnt 0x0
	s_barrier_signal -1
	s_barrier_wait -1
	s_barrier_signal -1
	s_barrier_wait -1
	s_and_saveexec_b32 s44, s3
; %bb.700:                              ;   in Loop: Header=BB140_3 Depth=1
	v_xor_b32_e32 v1, 0x80000000, v1
	ds_store_b64 v57, v[0:1] offset:20832
; %bb.701:                              ;   in Loop: Header=BB140_3 Depth=1
	s_or_b32 exec_lo, exec_lo, s44
	s_wait_dscnt 0x0
	s_barrier_signal -1
	s_barrier_wait -1
	s_barrier_signal -1
	s_barrier_wait -1
	s_and_saveexec_b32 s44, s98
	s_cbranch_execz .LBB140_703
; %bb.702:                              ;   in Loop: Header=BB140_3 Depth=1
	ds_load_b64 v[0:1], v75 offset:20832
	s_wait_dscnt 0x0
	ds_store_b64 v11, v[0:1] offset:22848
	ds_load_b64 v[0:1], v75 offset:20840
	s_wait_dscnt 0x0
	ds_store_b64 v11, v[0:1] offset:23360
	;; [unrolled: 3-line block ×4, first 2 shown]
.LBB140_703:                            ;   in Loop: Header=BB140_3 Depth=1
	s_or_b32 exec_lo, exec_lo, s44
	s_wait_dscnt 0x0
	s_barrier_signal -1
	s_barrier_wait -1
	s_and_saveexec_b32 s44, s10
	s_cbranch_execz .LBB140_705
; %bb.704:                              ;   in Loop: Header=BB140_3 Depth=1
	ds_load_b64 v[0:1], v5 offset:22888
	v_mov_b32_e32 v2, v5
	ds_store_b64 v5, v[30:31] offset:22880
	s_wait_dscnt 0x1
	ds_store_b128 v5, v[0:3] offset:23392
.LBB140_705:                            ;   in Loop: Header=BB140_3 Depth=1
	s_or_b32 exec_lo, exec_lo, s44
	v_mov_b64_e32 v[0:1], 0
	s_wait_dscnt 0x0
	s_barrier_signal -1
	s_barrier_wait -1
	s_and_saveexec_b32 s44, s1
	s_cbranch_execz .LBB140_709
; %bb.706:                              ;   in Loop: Header=BB140_3 Depth=1
	ds_load_b64 v[0:1], v50 offset:22896
	ds_load_b64 v[44:45], v51 offset:22880
	s_wait_dscnt 0x0
	v_fma_f64 v[0:1], v[0:1], v[44:45], 0
	s_and_saveexec_b32 s45, s11
	s_cbranch_execz .LBB140_708
; %bb.707:                              ;   in Loop: Header=BB140_3 Depth=1
	ds_load_b64 v[44:45], v11 offset:23408
	ds_load_b64 v[46:47], v5 offset:22888
	s_wait_dscnt 0x0
	v_fmac_f64_e32 v[0:1], v[44:45], v[46:47]
.LBB140_708:                            ;   in Loop: Header=BB140_3 Depth=1
	s_or_b32 exec_lo, exec_lo, s45
	s_delay_alu instid0(VALU_DEP_1)
	v_xor_b32_e32 v1, 0x80000000, v1
.LBB140_709:                            ;   in Loop: Header=BB140_3 Depth=1
	s_or_b32 exec_lo, exec_lo, s44
	s_and_saveexec_b32 s44, s89
; %bb.710:                              ;   in Loop: Header=BB140_3 Depth=1
	ds_store_b64 v7, v[0:1]
; %bb.711:                              ;   in Loop: Header=BB140_3 Depth=1
	s_or_b32 exec_lo, exec_lo, s44
	s_wait_dscnt 0x0
	s_barrier_signal -1
	s_barrier_wait -1
	s_and_saveexec_b32 s44, s90
	s_cbranch_execz .LBB140_713
; %bb.712:                              ;   in Loop: Header=BB140_3 Depth=1
	ds_load_b64 v[44:45], v5 offset:23928
	ds_load_b64 v[46:47], v7
	s_wait_dscnt 0x0
	v_fmac_f64_e32 v[0:1], v[44:45], v[46:47]
.LBB140_713:                            ;   in Loop: Header=BB140_3 Depth=1
	s_or_b32 exec_lo, exec_lo, s44
	s_barrier_signal -1
	s_barrier_wait -1
	s_and_saveexec_b32 s44, s90
; %bb.714:                              ;   in Loop: Header=BB140_3 Depth=1
	ds_store_b64 v7, v[0:1]
; %bb.715:                              ;   in Loop: Header=BB140_3 Depth=1
	s_or_b32 exec_lo, exec_lo, s44
	s_wait_dscnt 0x0
	s_barrier_signal -1
	s_barrier_wait -1
	s_barrier_signal -1
	s_barrier_wait -1
	s_and_saveexec_b32 s44, s1
; %bb.716:                              ;   in Loop: Header=BB140_3 Depth=1
	v_xor_b32_e32 v1, 0x80000000, v1
	ds_store_b64 v50, v[0:1] offset:22896
; %bb.717:                              ;   in Loop: Header=BB140_3 Depth=1
	s_or_b32 exec_lo, exec_lo, s44
	s_wait_dscnt 0x0
	s_barrier_signal -1
	s_barrier_wait -1
	s_barrier_signal -1
	s_barrier_wait -1
	s_and_saveexec_b32 s44, s91
	s_cbranch_execz .LBB140_719
; %bb.718:                              ;   in Loop: Header=BB140_3 Depth=1
	ds_load_b64 v[0:1], v81 offset:22896
	s_wait_dscnt 0x0
	ds_store_b64 v11, v[0:1] offset:23904
	ds_load_b64 v[0:1], v81 offset:22904
	s_wait_dscnt 0x0
	ds_store_b64 v11, v[0:1] offset:24416
.LBB140_719:                            ;   in Loop: Header=BB140_3 Depth=1
	s_or_b32 exec_lo, exec_lo, s44
	s_wait_dscnt 0x0
	s_barrier_signal -1
	s_barrier_wait -1
	s_and_saveexec_b32 s44, s10
	s_cbranch_execz .LBB140_721
; %bb.720:                              ;   in Loop: Header=BB140_3 Depth=1
	ds_load_b64 v[0:1], v5 offset:23928
	v_mov_b32_e32 v2, v5
	ds_store_b64 v5, v[30:31] offset:23920
	s_wait_dscnt 0x1
	ds_store_b128 v5, v[0:3] offset:24432
.LBB140_721:                            ;   in Loop: Header=BB140_3 Depth=1
	s_or_b32 exec_lo, exec_lo, s44
	v_mov_b64_e32 v[0:1], 0
	s_wait_dscnt 0x0
	s_barrier_signal -1
	s_barrier_wait -1
	s_and_saveexec_b32 s82, s5
	s_cbranch_execz .LBB140_749
; %bb.722:                              ;   in Loop: Header=BB140_3 Depth=1
	ds_load_b64 v[0:1], v77 offset:16768
	ds_load_b64 v[44:45], v73 offset:16640
	s_wait_dscnt 0x0
	v_fma_f64 v[0:1], v[0:1], v[44:45], 0
	s_mov_b32 s44, exec_lo
	v_readlane_b32 s45, v103, 21
	s_and_b32 s45, s44, s45
	s_delay_alu instid0(SALU_CYCLE_1)
	s_mov_b32 exec_lo, s45
	s_cbranch_execz .LBB140_724
; %bb.723:                              ;   in Loop: Header=BB140_3 Depth=1
	ds_load_b64 v[44:45], v78 offset:17280
	ds_load_b64 v[46:47], v73 offset:16648
	s_wait_dscnt 0x0
	v_fmac_f64_e32 v[0:1], v[44:45], v[46:47]
.LBB140_724:                            ;   in Loop: Header=BB140_3 Depth=1
	s_or_b32 exec_lo, exec_lo, s44
	s_delay_alu instid0(SALU_CYCLE_1) | instskip(SKIP_2) | instid1(SALU_CYCLE_1)
	s_mov_b32 s44, exec_lo
	v_readlane_b32 s45, v103, 22
	s_and_b32 s45, s44, s45
	s_mov_b32 exec_lo, s45
	s_cbranch_execz .LBB140_726
; %bb.725:                              ;   in Loop: Header=BB140_3 Depth=1
	ds_load_b64 v[44:45], v78 offset:17792
	ds_load_b64 v[46:47], v73 offset:16656
	s_wait_dscnt 0x0
	v_fmac_f64_e32 v[0:1], v[44:45], v[46:47]
.LBB140_726:                            ;   in Loop: Header=BB140_3 Depth=1
	s_or_b32 exec_lo, exec_lo, s44
	s_delay_alu instid0(SALU_CYCLE_1) | instskip(SKIP_2) | instid1(SALU_CYCLE_1)
	s_mov_b32 s44, exec_lo
	v_readlane_b32 s45, v103, 23
	s_and_b32 s45, s44, s45
	;; [unrolled: 13-line block ×10, first 2 shown]
	s_mov_b32 exec_lo, s45
	s_cbranch_execnz .LBB140_1103
; %bb.743:                              ;   in Loop: Header=BB140_3 Depth=1
	s_or_b32 exec_lo, exec_lo, s44
	s_and_saveexec_b32 s44, s4
	s_cbranch_execnz .LBB140_1104
.LBB140_744:                            ;   in Loop: Header=BB140_3 Depth=1
	s_or_b32 exec_lo, exec_lo, s44
	s_and_saveexec_b32 s44, s15
	s_cbranch_execnz .LBB140_1105
.LBB140_745:                            ;   in Loop: Header=BB140_3 Depth=1
	s_or_b32 exec_lo, exec_lo, s44
	s_and_saveexec_b32 s44, s17
	s_cbranch_execnz .LBB140_1106
.LBB140_746:                            ;   in Loop: Header=BB140_3 Depth=1
	s_or_b32 exec_lo, exec_lo, s44
	s_and_saveexec_b32 s44, s3
	s_cbranch_execz .LBB140_748
.LBB140_747:                            ;   in Loop: Header=BB140_3 Depth=1
	ds_load_b64 v[44:45], v52 offset:24448
	ds_load_b64 v[46:47], v5 offset:16760
	s_wait_dscnt 0x0
	v_fmac_f64_e32 v[0:1], v[44:45], v[46:47]
.LBB140_748:                            ;   in Loop: Header=BB140_3 Depth=1
	s_or_b32 exec_lo, exec_lo, s44
	s_delay_alu instid0(VALU_DEP_1)
	v_xor_b32_e32 v1, 0x80000000, v1
.LBB140_749:                            ;   in Loop: Header=BB140_3 Depth=1
	s_or_b32 exec_lo, exec_lo, s82
	s_delay_alu instid0(SALU_CYCLE_1) | instskip(SKIP_2) | instid1(SALU_CYCLE_1)
	s_mov_b32 s44, exec_lo
	v_readlane_b32 s45, v103, 2
	s_and_b32 s45, s44, s45
	s_mov_b32 exec_lo, s45
; %bb.750:                              ;   in Loop: Header=BB140_3 Depth=1
	ds_store_b64 v76, v[0:1]
; %bb.751:                              ;   in Loop: Header=BB140_3 Depth=1
	s_or_b32 exec_lo, exec_lo, s44
	s_wait_dscnt 0x0
	s_barrier_signal -1
	s_barrier_wait -1
	s_mov_b32 s44, exec_lo
	v_readlane_b32 s45, v103, 3
	s_and_b32 s45, s44, s45
	s_delay_alu instid0(SALU_CYCLE_1)
	s_mov_b32 exec_lo, s45
	s_cbranch_execz .LBB140_753
; %bb.752:                              ;   in Loop: Header=BB140_3 Depth=1
	ds_load_b64 v[44:45], v74 offset:24960
	ds_load_b64 v[46:47], v76
	s_wait_dscnt 0x0
	v_fmac_f64_e32 v[0:1], v[44:45], v[46:47]
.LBB140_753:                            ;   in Loop: Header=BB140_3 Depth=1
	s_or_b32 exec_lo, exec_lo, s44
	s_barrier_signal -1
	s_barrier_wait -1
	s_mov_b32 s44, exec_lo
	v_readlane_b32 s45, v103, 4
	s_and_b32 s45, s44, s45
	s_delay_alu instid0(SALU_CYCLE_1)
	s_mov_b32 exec_lo, s45
; %bb.754:                              ;   in Loop: Header=BB140_3 Depth=1
	ds_store_b64 v76, v[0:1]
; %bb.755:                              ;   in Loop: Header=BB140_3 Depth=1
	s_or_b32 exec_lo, exec_lo, s44
	s_wait_dscnt 0x0
	s_barrier_signal -1
	s_barrier_wait -1
	s_mov_b32 s44, exec_lo
	v_readlane_b32 s45, v103, 5
	s_and_b32 s45, s44, s45
	s_delay_alu instid0(SALU_CYCLE_1)
	s_mov_b32 exec_lo, s45
	s_cbranch_execz .LBB140_757
; %bb.756:                              ;   in Loop: Header=BB140_3 Depth=1
	ds_load_b64 v[44:45], v74 offset:25472
	ds_load_b64 v[46:47], v76
	s_wait_dscnt 0x0
	v_fmac_f64_e32 v[0:1], v[44:45], v[46:47]
.LBB140_757:                            ;   in Loop: Header=BB140_3 Depth=1
	s_or_b32 exec_lo, exec_lo, s44
	s_barrier_signal -1
	s_barrier_wait -1
	s_mov_b32 s44, exec_lo
	v_readlane_b32 s45, v103, 6
	s_and_b32 s45, s44, s45
	s_delay_alu instid0(SALU_CYCLE_1)
	;; [unrolled: 27-line block ×4, first 2 shown]
	s_mov_b32 exec_lo, s45
; %bb.766:                              ;   in Loop: Header=BB140_3 Depth=1
	ds_store_b64 v76, v[0:1]
; %bb.767:                              ;   in Loop: Header=BB140_3 Depth=1
	s_or_b32 exec_lo, exec_lo, s44
	s_wait_dscnt 0x0
	s_barrier_signal -1
	s_barrier_wait -1
	s_and_saveexec_b32 s44, s49
	s_cbranch_execz .LBB140_769
; %bb.768:                              ;   in Loop: Header=BB140_3 Depth=1
	ds_load_b64 v[44:45], v74 offset:27008
	ds_load_b64 v[46:47], v76
	s_wait_dscnt 0x0
	v_fmac_f64_e32 v[0:1], v[44:45], v[46:47]
.LBB140_769:                            ;   in Loop: Header=BB140_3 Depth=1
	s_or_b32 exec_lo, exec_lo, s44
	s_barrier_signal -1
	s_barrier_wait -1
	s_and_saveexec_b32 s44, s50
; %bb.770:                              ;   in Loop: Header=BB140_3 Depth=1
	ds_store_b64 v76, v[0:1]
; %bb.771:                              ;   in Loop: Header=BB140_3 Depth=1
	s_or_b32 exec_lo, exec_lo, s44
	s_wait_dscnt 0x0
	s_barrier_signal -1
	s_barrier_wait -1
	s_and_saveexec_b32 s44, s51
	s_cbranch_execz .LBB140_773
; %bb.772:                              ;   in Loop: Header=BB140_3 Depth=1
	ds_load_b64 v[44:45], v74 offset:27520
	ds_load_b64 v[46:47], v76
	s_wait_dscnt 0x0
	v_fmac_f64_e32 v[0:1], v[44:45], v[46:47]
.LBB140_773:                            ;   in Loop: Header=BB140_3 Depth=1
	s_or_b32 exec_lo, exec_lo, s44
	s_barrier_signal -1
	s_barrier_wait -1
	s_and_saveexec_b32 s44, s52
	;; [unrolled: 19-line block ×11, first 2 shown]
; %bb.810:                              ;   in Loop: Header=BB140_3 Depth=1
	ds_store_b64 v76, v[0:1]
; %bb.811:                              ;   in Loop: Header=BB140_3 Depth=1
	s_or_b32 exec_lo, exec_lo, s44
	s_wait_dscnt 0x0
	s_barrier_signal -1
	s_barrier_wait -1
	s_barrier_signal -1
	s_barrier_wait -1
	s_and_saveexec_b32 s44, s5
; %bb.812:                              ;   in Loop: Header=BB140_3 Depth=1
	v_xor_b32_e32 v1, 0x80000000, v1
	ds_store_b64 v77, v[0:1] offset:16768
; %bb.813:                              ;   in Loop: Header=BB140_3 Depth=1
	s_or_b32 exec_lo, exec_lo, s44
	s_wait_dscnt 0x0
	s_barrier_signal -1
	s_barrier_wait -1
	s_barrier_signal -1
	s_barrier_wait -1
	s_and_saveexec_b32 s44, s87
	s_cbranch_execz .LBB140_815
; %bb.814:                              ;   in Loop: Header=BB140_3 Depth=1
	ds_load_b64 v[0:1], v55 offset:16768
	s_wait_dscnt 0x0
	ds_store_b64 v59, v[0:1] offset:24832
	ds_load_b64 v[0:1], v55 offset:16776
	s_wait_dscnt 0x0
	ds_store_b64 v59, v[0:1] offset:25344
	;; [unrolled: 3-line block ×16, first 2 shown]
.LBB140_815:                            ;   in Loop: Header=BB140_3 Depth=1
	s_or_b32 exec_lo, exec_lo, s44
	s_wait_dscnt 0x0
	s_barrier_signal -1
	s_barrier_wait -1
	s_and_saveexec_b32 s44, s10
	s_cbranch_execz .LBB140_817
; %bb.816:                              ;   in Loop: Header=BB140_3 Depth=1
	ds_load_b64 v[0:1], v5 offset:24968
	v_mov_b32_e32 v2, v5
	ds_store_b64 v5, v[30:31] offset:24960
	s_wait_dscnt 0x1
	ds_store_b128 v5, v[0:3] offset:25472
.LBB140_817:                            ;   in Loop: Header=BB140_3 Depth=1
	s_or_b32 exec_lo, exec_lo, s44
	v_mov_b64_e32 v[0:1], 0
	s_wait_dscnt 0x0
	s_barrier_signal -1
	s_barrier_wait -1
	s_and_saveexec_b32 s44, s1
	s_cbranch_execz .LBB140_821
; %bb.818:                              ;   in Loop: Header=BB140_3 Depth=1
	ds_load_b64 v[0:1], v50 offset:24976
	ds_load_b64 v[44:45], v51 offset:24960
	s_wait_dscnt 0x0
	v_fma_f64 v[0:1], v[0:1], v[44:45], 0
	s_and_saveexec_b32 s45, s11
	s_cbranch_execz .LBB140_820
; %bb.819:                              ;   in Loop: Header=BB140_3 Depth=1
	ds_load_b64 v[44:45], v52 offset:25488
	ds_load_b64 v[46:47], v5 offset:24968
	s_wait_dscnt 0x0
	v_fmac_f64_e32 v[0:1], v[44:45], v[46:47]
.LBB140_820:                            ;   in Loop: Header=BB140_3 Depth=1
	s_or_b32 exec_lo, exec_lo, s45
	s_delay_alu instid0(VALU_DEP_1)
	v_xor_b32_e32 v1, 0x80000000, v1
.LBB140_821:                            ;   in Loop: Header=BB140_3 Depth=1
	s_or_b32 exec_lo, exec_lo, s44
	s_and_saveexec_b32 s44, s89
; %bb.822:                              ;   in Loop: Header=BB140_3 Depth=1
	ds_store_b64 v7, v[0:1]
; %bb.823:                              ;   in Loop: Header=BB140_3 Depth=1
	s_or_b32 exec_lo, exec_lo, s44
	s_wait_dscnt 0x0
	s_barrier_signal -1
	s_barrier_wait -1
	s_and_saveexec_b32 s44, s90
	s_cbranch_execz .LBB140_825
; %bb.824:                              ;   in Loop: Header=BB140_3 Depth=1
	ds_load_b64 v[44:45], v5 offset:26008
	ds_load_b64 v[46:47], v7
	s_wait_dscnt 0x0
	v_fmac_f64_e32 v[0:1], v[44:45], v[46:47]
.LBB140_825:                            ;   in Loop: Header=BB140_3 Depth=1
	s_or_b32 exec_lo, exec_lo, s44
	s_barrier_signal -1
	s_barrier_wait -1
	s_and_saveexec_b32 s44, s90
; %bb.826:                              ;   in Loop: Header=BB140_3 Depth=1
	ds_store_b64 v7, v[0:1]
; %bb.827:                              ;   in Loop: Header=BB140_3 Depth=1
	s_or_b32 exec_lo, exec_lo, s44
	s_wait_dscnt 0x0
	s_barrier_signal -1
	s_barrier_wait -1
	s_barrier_signal -1
	s_barrier_wait -1
	s_and_saveexec_b32 s44, s1
; %bb.828:                              ;   in Loop: Header=BB140_3 Depth=1
	v_xor_b32_e32 v1, 0x80000000, v1
	ds_store_b64 v50, v[0:1] offset:24976
; %bb.829:                              ;   in Loop: Header=BB140_3 Depth=1
	s_or_b32 exec_lo, exec_lo, s44
	s_wait_dscnt 0x0
	s_barrier_signal -1
	s_barrier_wait -1
	s_barrier_signal -1
	s_barrier_wait -1
	s_and_saveexec_b32 s44, s91
	s_cbranch_execz .LBB140_831
; %bb.830:                              ;   in Loop: Header=BB140_3 Depth=1
	ds_load_b64 v[0:1], v55 offset:24976
	s_wait_dscnt 0x0
	ds_store_b64 v52, v[0:1] offset:25984
	ds_load_b64 v[0:1], v55 offset:24984
	s_wait_dscnt 0x0
	ds_store_b64 v52, v[0:1] offset:26496
.LBB140_831:                            ;   in Loop: Header=BB140_3 Depth=1
	s_or_b32 exec_lo, exec_lo, s44
	s_wait_dscnt 0x0
	s_barrier_signal -1
	s_barrier_wait -1
	s_and_saveexec_b32 s44, s10
	s_cbranch_execz .LBB140_833
; %bb.832:                              ;   in Loop: Header=BB140_3 Depth=1
	ds_load_b64 v[0:1], v5 offset:26008
	v_mov_b32_e32 v2, v5
	ds_store_b64 v5, v[30:31] offset:26000
	s_wait_dscnt 0x1
	ds_store_b128 v5, v[0:3] offset:26512
.LBB140_833:                            ;   in Loop: Header=BB140_3 Depth=1
	s_or_b32 exec_lo, exec_lo, s44
	v_mov_b64_e32 v[0:1], 0
	s_wait_dscnt 0x0
	s_barrier_signal -1
	s_barrier_wait -1
	s_and_saveexec_b32 s44, s3
	s_cbranch_execz .LBB140_839
; %bb.834:                              ;   in Loop: Header=BB140_3 Depth=1
	ds_load_b64 v[0:1], v57 offset:24992
	ds_load_b64 v[44:45], v53 offset:24960
	s_wait_dscnt 0x0
	v_fma_f64 v[0:1], v[0:1], v[44:45], 0
	s_and_saveexec_b32 s45, s12
	s_cbranch_execnz .LBB140_1107
; %bb.835:                              ;   in Loop: Header=BB140_3 Depth=1
	s_or_b32 exec_lo, exec_lo, s45
	s_and_saveexec_b32 s45, s13
	s_cbranch_execnz .LBB140_1108
.LBB140_836:                            ;   in Loop: Header=BB140_3 Depth=1
	s_or_b32 exec_lo, exec_lo, s45
	s_and_saveexec_b32 s45, s1
	s_cbranch_execz .LBB140_838
.LBB140_837:                            ;   in Loop: Header=BB140_3 Depth=1
	ds_load_b64 v[44:45], v59 offset:26528
	ds_load_b64 v[46:47], v5 offset:24984
	s_wait_dscnt 0x0
	v_fmac_f64_e32 v[0:1], v[44:45], v[46:47]
.LBB140_838:                            ;   in Loop: Header=BB140_3 Depth=1
	s_or_b32 exec_lo, exec_lo, s45
	s_delay_alu instid0(VALU_DEP_1)
	v_xor_b32_e32 v1, 0x80000000, v1
.LBB140_839:                            ;   in Loop: Header=BB140_3 Depth=1
	s_or_b32 exec_lo, exec_lo, s44
	s_and_saveexec_b32 s44, s92
; %bb.840:                              ;   in Loop: Header=BB140_3 Depth=1
	ds_store_b64 v56, v[0:1]
; %bb.841:                              ;   in Loop: Header=BB140_3 Depth=1
	s_or_b32 exec_lo, exec_lo, s44
	s_wait_dscnt 0x0
	s_barrier_signal -1
	s_barrier_wait -1
	s_and_saveexec_b32 s44, s93
	s_cbranch_execz .LBB140_843
; %bb.842:                              ;   in Loop: Header=BB140_3 Depth=1
	ds_load_b64 v[44:45], v54 offset:27040
	ds_load_b64 v[46:47], v56
	s_wait_dscnt 0x0
	v_fmac_f64_e32 v[0:1], v[44:45], v[46:47]
.LBB140_843:                            ;   in Loop: Header=BB140_3 Depth=1
	s_or_b32 exec_lo, exec_lo, s44
	s_barrier_signal -1
	s_barrier_wait -1
	s_and_saveexec_b32 s44, s94
; %bb.844:                              ;   in Loop: Header=BB140_3 Depth=1
	ds_store_b64 v56, v[0:1]
; %bb.845:                              ;   in Loop: Header=BB140_3 Depth=1
	s_or_b32 exec_lo, exec_lo, s44
	s_wait_dscnt 0x0
	s_barrier_signal -1
	s_barrier_wait -1
	s_and_saveexec_b32 s44, s95
	s_cbranch_execz .LBB140_847
; %bb.846:                              ;   in Loop: Header=BB140_3 Depth=1
	ds_load_b64 v[44:45], v54 offset:27552
	ds_load_b64 v[46:47], v56
	s_wait_dscnt 0x0
	v_fmac_f64_e32 v[0:1], v[44:45], v[46:47]
.LBB140_847:                            ;   in Loop: Header=BB140_3 Depth=1
	s_or_b32 exec_lo, exec_lo, s44
	s_barrier_signal -1
	s_barrier_wait -1
	;; [unrolled: 19-line block ×3, first 2 shown]
	s_and_saveexec_b32 s44, s97
; %bb.852:                              ;   in Loop: Header=BB140_3 Depth=1
	ds_store_b64 v56, v[0:1]
; %bb.853:                              ;   in Loop: Header=BB140_3 Depth=1
	s_or_b32 exec_lo, exec_lo, s44
	s_wait_dscnt 0x0
	s_barrier_signal -1
	s_barrier_wait -1
	s_barrier_signal -1
	s_barrier_wait -1
	s_and_saveexec_b32 s44, s3
; %bb.854:                              ;   in Loop: Header=BB140_3 Depth=1
	v_xor_b32_e32 v1, 0x80000000, v1
	ds_store_b64 v57, v[0:1] offset:24992
; %bb.855:                              ;   in Loop: Header=BB140_3 Depth=1
	s_or_b32 exec_lo, exec_lo, s44
	s_wait_dscnt 0x0
	s_barrier_signal -1
	s_barrier_wait -1
	s_barrier_signal -1
	s_barrier_wait -1
	s_and_saveexec_b32 s44, s98
	s_cbranch_execz .LBB140_857
; %bb.856:                              ;   in Loop: Header=BB140_3 Depth=1
	ds_load_b64 v[0:1], v60 offset:24992
	s_wait_dscnt 0x0
	ds_store_b64 v62, v[0:1] offset:27008
	ds_load_b64 v[0:1], v60 offset:25000
	s_wait_dscnt 0x0
	ds_store_b64 v62, v[0:1] offset:27520
	;; [unrolled: 3-line block ×4, first 2 shown]
.LBB140_857:                            ;   in Loop: Header=BB140_3 Depth=1
	s_or_b32 exec_lo, exec_lo, s44
	s_wait_dscnt 0x0
	s_barrier_signal -1
	s_barrier_wait -1
	s_and_saveexec_b32 s44, s10
	s_cbranch_execz .LBB140_859
; %bb.858:                              ;   in Loop: Header=BB140_3 Depth=1
	ds_load_b64 v[0:1], v5 offset:27048
	v_mov_b32_e32 v2, v5
	ds_store_b64 v5, v[30:31] offset:27040
	s_wait_dscnt 0x1
	ds_store_b128 v5, v[0:3] offset:27552
.LBB140_859:                            ;   in Loop: Header=BB140_3 Depth=1
	s_or_b32 exec_lo, exec_lo, s44
	v_mov_b64_e32 v[0:1], 0
	s_wait_dscnt 0x0
	s_barrier_signal -1
	s_barrier_wait -1
	s_and_saveexec_b32 s44, s1
	s_cbranch_execz .LBB140_863
; %bb.860:                              ;   in Loop: Header=BB140_3 Depth=1
	ds_load_b64 v[0:1], v50 offset:27056
	ds_load_b64 v[44:45], v51 offset:27040
	s_wait_dscnt 0x0
	v_fma_f64 v[0:1], v[0:1], v[44:45], 0
	s_and_saveexec_b32 s45, s11
	s_cbranch_execz .LBB140_862
; %bb.861:                              ;   in Loop: Header=BB140_3 Depth=1
	ds_load_b64 v[44:45], v62 offset:27568
	ds_load_b64 v[46:47], v5 offset:27048
	s_wait_dscnt 0x0
	v_fmac_f64_e32 v[0:1], v[44:45], v[46:47]
.LBB140_862:                            ;   in Loop: Header=BB140_3 Depth=1
	s_or_b32 exec_lo, exec_lo, s45
	s_delay_alu instid0(VALU_DEP_1)
	v_xor_b32_e32 v1, 0x80000000, v1
.LBB140_863:                            ;   in Loop: Header=BB140_3 Depth=1
	s_or_b32 exec_lo, exec_lo, s44
	s_and_saveexec_b32 s44, s89
; %bb.864:                              ;   in Loop: Header=BB140_3 Depth=1
	ds_store_b64 v7, v[0:1]
; %bb.865:                              ;   in Loop: Header=BB140_3 Depth=1
	s_or_b32 exec_lo, exec_lo, s44
	s_wait_dscnt 0x0
	s_barrier_signal -1
	s_barrier_wait -1
	s_and_saveexec_b32 s44, s90
	s_cbranch_execz .LBB140_867
; %bb.866:                              ;   in Loop: Header=BB140_3 Depth=1
	ds_load_b64 v[44:45], v5 offset:28088
	ds_load_b64 v[46:47], v7
	s_wait_dscnt 0x0
	v_fmac_f64_e32 v[0:1], v[44:45], v[46:47]
.LBB140_867:                            ;   in Loop: Header=BB140_3 Depth=1
	s_or_b32 exec_lo, exec_lo, s44
	s_barrier_signal -1
	s_barrier_wait -1
	s_and_saveexec_b32 s44, s90
; %bb.868:                              ;   in Loop: Header=BB140_3 Depth=1
	ds_store_b64 v7, v[0:1]
; %bb.869:                              ;   in Loop: Header=BB140_3 Depth=1
	s_or_b32 exec_lo, exec_lo, s44
	s_wait_dscnt 0x0
	s_barrier_signal -1
	s_barrier_wait -1
	s_barrier_signal -1
	s_barrier_wait -1
	s_and_saveexec_b32 s44, s1
; %bb.870:                              ;   in Loop: Header=BB140_3 Depth=1
	v_xor_b32_e32 v1, 0x80000000, v1
	ds_store_b64 v50, v[0:1] offset:27056
; %bb.871:                              ;   in Loop: Header=BB140_3 Depth=1
	s_or_b32 exec_lo, exec_lo, s44
	s_wait_dscnt 0x0
	s_barrier_signal -1
	s_barrier_wait -1
	s_barrier_signal -1
	s_barrier_wait -1
	s_and_saveexec_b32 s44, s91
	s_cbranch_execz .LBB140_873
; %bb.872:                              ;   in Loop: Header=BB140_3 Depth=1
	ds_load_b64 v[0:1], v64 offset:27056
	s_wait_dscnt 0x0
	ds_store_b64 v62, v[0:1] offset:28064
	ds_load_b64 v[0:1], v64 offset:27064
	s_wait_dscnt 0x0
	ds_store_b64 v62, v[0:1] offset:28576
.LBB140_873:                            ;   in Loop: Header=BB140_3 Depth=1
	s_or_b32 exec_lo, exec_lo, s44
	s_wait_dscnt 0x0
	s_barrier_signal -1
	s_barrier_wait -1
	s_and_saveexec_b32 s44, s10
	s_cbranch_execz .LBB140_875
; %bb.874:                              ;   in Loop: Header=BB140_3 Depth=1
	ds_load_b64 v[0:1], v5 offset:28088
	v_mov_b32_e32 v2, v5
	ds_store_b64 v5, v[30:31] offset:28080
	s_wait_dscnt 0x1
	ds_store_b128 v5, v[0:3] offset:28592
.LBB140_875:                            ;   in Loop: Header=BB140_3 Depth=1
	s_or_b32 exec_lo, exec_lo, s44
	v_mov_b64_e32 v[0:1], 0
	s_wait_dscnt 0x0
	s_barrier_signal -1
	s_barrier_wait -1
	s_and_saveexec_b32 s44, s4
	s_cbranch_execz .LBB140_885
; %bb.876:                              ;   in Loop: Header=BB140_3 Depth=1
	ds_load_b64 v[0:1], v66 offset:25024
	ds_load_b64 v[44:45], v61 offset:24960
	s_wait_dscnt 0x0
	v_fma_f64 v[0:1], v[0:1], v[44:45], 0
	s_and_saveexec_b32 s45, s14
	s_cbranch_execnz .LBB140_1109
; %bb.877:                              ;   in Loop: Header=BB140_3 Depth=1
	s_or_b32 exec_lo, exec_lo, s45
	s_and_saveexec_b32 s45, s15
	s_cbranch_execnz .LBB140_1110
.LBB140_878:                            ;   in Loop: Header=BB140_3 Depth=1
	s_or_b32 exec_lo, exec_lo, s45
	s_and_saveexec_b32 s45, s16
	s_cbranch_execnz .LBB140_1111
.LBB140_879:                            ;   in Loop: Header=BB140_3 Depth=1
	s_or_b32 exec_lo, exec_lo, s45
	s_and_saveexec_b32 s45, s17
	s_cbranch_execnz .LBB140_1112
.LBB140_880:                            ;   in Loop: Header=BB140_3 Depth=1
	s_or_b32 exec_lo, exec_lo, s45
	s_and_saveexec_b32 s45, s18
	s_cbranch_execnz .LBB140_1113
.LBB140_881:                            ;   in Loop: Header=BB140_3 Depth=1
	s_or_b32 exec_lo, exec_lo, s45
	s_and_saveexec_b32 s45, s3
	s_cbranch_execnz .LBB140_1114
.LBB140_882:                            ;   in Loop: Header=BB140_3 Depth=1
	s_or_b32 exec_lo, exec_lo, s45
	s_and_saveexec_b32 s45, s13
	s_cbranch_execz .LBB140_884
.LBB140_883:                            ;   in Loop: Header=BB140_3 Depth=1
	ds_load_b64 v[44:45], v68 offset:28608
	ds_load_b64 v[46:47], v5 offset:25016
	s_wait_dscnt 0x0
	v_fmac_f64_e32 v[0:1], v[44:45], v[46:47]
.LBB140_884:                            ;   in Loop: Header=BB140_3 Depth=1
	s_or_b32 exec_lo, exec_lo, s45
	s_delay_alu instid0(VALU_DEP_1)
	v_xor_b32_e32 v1, 0x80000000, v1
.LBB140_885:                            ;   in Loop: Header=BB140_3 Depth=1
	s_or_b32 exec_lo, exec_lo, s44
	s_and_saveexec_b32 s44, s99
; %bb.886:                              ;   in Loop: Header=BB140_3 Depth=1
	ds_store_b64 v65, v[0:1]
; %bb.887:                              ;   in Loop: Header=BB140_3 Depth=1
	s_or_b32 exec_lo, exec_lo, s44
	s_wait_dscnt 0x0
	s_barrier_signal -1
	s_barrier_wait -1
	s_and_saveexec_b32 s44, s100
	s_cbranch_execz .LBB140_889
; %bb.888:                              ;   in Loop: Header=BB140_3 Depth=1
	ds_load_b64 v[44:45], v63 offset:29120
	ds_load_b64 v[46:47], v65
	s_wait_dscnt 0x0
	v_fmac_f64_e32 v[0:1], v[44:45], v[46:47]
.LBB140_889:                            ;   in Loop: Header=BB140_3 Depth=1
	s_or_b32 exec_lo, exec_lo, s44
	s_barrier_signal -1
	s_barrier_wait -1
	s_and_saveexec_b32 s44, s101
; %bb.890:                              ;   in Loop: Header=BB140_3 Depth=1
	ds_store_b64 v65, v[0:1]
; %bb.891:                              ;   in Loop: Header=BB140_3 Depth=1
	s_or_b32 exec_lo, exec_lo, s44
	s_wait_dscnt 0x0
	s_barrier_signal -1
	s_barrier_wait -1
	s_and_saveexec_b32 s44, s102
	s_cbranch_execz .LBB140_893
; %bb.892:                              ;   in Loop: Header=BB140_3 Depth=1
	ds_load_b64 v[44:45], v63 offset:29632
	ds_load_b64 v[46:47], v65
	s_wait_dscnt 0x0
	v_fmac_f64_e32 v[0:1], v[44:45], v[46:47]
.LBB140_893:                            ;   in Loop: Header=BB140_3 Depth=1
	s_or_b32 exec_lo, exec_lo, s44
	s_barrier_signal -1
	s_barrier_wait -1
	;; [unrolled: 19-line block ×3, first 2 shown]
	s_and_saveexec_b32 s44, vcc_hi
; %bb.898:                              ;   in Loop: Header=BB140_3 Depth=1
	ds_store_b64 v65, v[0:1]
; %bb.899:                              ;   in Loop: Header=BB140_3 Depth=1
	s_or_b32 exec_lo, exec_lo, s44
	s_wait_dscnt 0x0
	s_barrier_signal -1
	s_barrier_wait -1
	s_and_saveexec_b32 s44, s31
	s_cbranch_execz .LBB140_901
; %bb.900:                              ;   in Loop: Header=BB140_3 Depth=1
	ds_load_b64 v[44:45], v63 offset:30656
	ds_load_b64 v[46:47], v65
	s_wait_dscnt 0x0
	v_fmac_f64_e32 v[0:1], v[44:45], v[46:47]
.LBB140_901:                            ;   in Loop: Header=BB140_3 Depth=1
	s_or_b32 exec_lo, exec_lo, s44
	s_barrier_signal -1
	s_barrier_wait -1
	s_and_saveexec_b32 s44, s33
; %bb.902:                              ;   in Loop: Header=BB140_3 Depth=1
	ds_store_b64 v65, v[0:1]
; %bb.903:                              ;   in Loop: Header=BB140_3 Depth=1
	s_or_b32 exec_lo, exec_lo, s44
	s_wait_dscnt 0x0
	s_barrier_signal -1
	s_barrier_wait -1
	s_and_saveexec_b32 s44, s34
	s_cbranch_execz .LBB140_905
; %bb.904:                              ;   in Loop: Header=BB140_3 Depth=1
	ds_load_b64 v[44:45], v63 offset:31168
	ds_load_b64 v[46:47], v65
	s_wait_dscnt 0x0
	v_fmac_f64_e32 v[0:1], v[44:45], v[46:47]
.LBB140_905:                            ;   in Loop: Header=BB140_3 Depth=1
	s_or_b32 exec_lo, exec_lo, s44
	s_barrier_signal -1
	s_barrier_wait -1
	s_and_saveexec_b32 s44, s35
	;; [unrolled: 19-line block ×4, first 2 shown]
; %bb.914:                              ;   in Loop: Header=BB140_3 Depth=1
	ds_store_b64 v65, v[0:1]
; %bb.915:                              ;   in Loop: Header=BB140_3 Depth=1
	s_or_b32 exec_lo, exec_lo, s44
	s_wait_dscnt 0x0
	s_barrier_signal -1
	s_barrier_wait -1
	s_barrier_signal -1
	s_barrier_wait -1
	s_and_saveexec_b32 s44, s4
; %bb.916:                              ;   in Loop: Header=BB140_3 Depth=1
	v_xor_b32_e32 v1, 0x80000000, v1
	ds_store_b64 v66, v[0:1] offset:25024
; %bb.917:                              ;   in Loop: Header=BB140_3 Depth=1
	s_or_b32 exec_lo, exec_lo, s44
	s_wait_dscnt 0x0
	s_barrier_signal -1
	s_barrier_wait -1
	s_barrier_signal -1
	s_barrier_wait -1
	s_and_saveexec_b32 s44, s39
	s_cbranch_execz .LBB140_919
; %bb.918:                              ;   in Loop: Header=BB140_3 Depth=1
	ds_load_b64 v[0:1], v69 offset:25024
	s_wait_dscnt 0x0
	ds_store_b64 v70, v[0:1] offset:29056
	ds_load_b64 v[0:1], v69 offset:25032
	s_wait_dscnt 0x0
	ds_store_b64 v70, v[0:1] offset:29568
	;; [unrolled: 3-line block ×8, first 2 shown]
.LBB140_919:                            ;   in Loop: Header=BB140_3 Depth=1
	s_or_b32 exec_lo, exec_lo, s44
	s_wait_dscnt 0x0
	s_barrier_signal -1
	s_barrier_wait -1
	s_and_saveexec_b32 s44, s10
	s_cbranch_execz .LBB140_921
; %bb.920:                              ;   in Loop: Header=BB140_3 Depth=1
	ds_load_b64 v[0:1], v5 offset:29128
	v_mov_b32_e32 v2, v5
	ds_store_b64 v5, v[30:31] offset:29120
	s_wait_dscnt 0x1
	ds_store_b128 v5, v[0:3] offset:29632
.LBB140_921:                            ;   in Loop: Header=BB140_3 Depth=1
	s_or_b32 exec_lo, exec_lo, s44
	v_mov_b64_e32 v[0:1], 0
	s_wait_dscnt 0x0
	s_barrier_signal -1
	s_barrier_wait -1
	s_and_saveexec_b32 s44, s1
	s_cbranch_execz .LBB140_925
; %bb.922:                              ;   in Loop: Header=BB140_3 Depth=1
	ds_load_b64 v[0:1], v50 offset:29136
	ds_load_b64 v[44:45], v51 offset:29120
	s_wait_dscnt 0x0
	v_fma_f64 v[0:1], v[0:1], v[44:45], 0
	s_and_saveexec_b32 s45, s11
	s_cbranch_execz .LBB140_924
; %bb.923:                              ;   in Loop: Header=BB140_3 Depth=1
	ds_load_b64 v[44:45], v70 offset:29648
	ds_load_b64 v[46:47], v5 offset:29128
	s_wait_dscnt 0x0
	v_fmac_f64_e32 v[0:1], v[44:45], v[46:47]
.LBB140_924:                            ;   in Loop: Header=BB140_3 Depth=1
	s_or_b32 exec_lo, exec_lo, s45
	s_delay_alu instid0(VALU_DEP_1)
	v_xor_b32_e32 v1, 0x80000000, v1
.LBB140_925:                            ;   in Loop: Header=BB140_3 Depth=1
	s_or_b32 exec_lo, exec_lo, s44
	s_and_saveexec_b32 s44, s89
; %bb.926:                              ;   in Loop: Header=BB140_3 Depth=1
	ds_store_b64 v7, v[0:1]
; %bb.927:                              ;   in Loop: Header=BB140_3 Depth=1
	s_or_b32 exec_lo, exec_lo, s44
	s_wait_dscnt 0x0
	s_barrier_signal -1
	s_barrier_wait -1
	s_and_saveexec_b32 s44, s90
	s_cbranch_execz .LBB140_929
; %bb.928:                              ;   in Loop: Header=BB140_3 Depth=1
	ds_load_b64 v[44:45], v5 offset:30168
	ds_load_b64 v[46:47], v7
	s_wait_dscnt 0x0
	v_fmac_f64_e32 v[0:1], v[44:45], v[46:47]
.LBB140_929:                            ;   in Loop: Header=BB140_3 Depth=1
	s_or_b32 exec_lo, exec_lo, s44
	s_barrier_signal -1
	s_barrier_wait -1
	s_and_saveexec_b32 s44, s90
; %bb.930:                              ;   in Loop: Header=BB140_3 Depth=1
	ds_store_b64 v7, v[0:1]
; %bb.931:                              ;   in Loop: Header=BB140_3 Depth=1
	s_or_b32 exec_lo, exec_lo, s44
	s_wait_dscnt 0x0
	s_barrier_signal -1
	s_barrier_wait -1
	s_barrier_signal -1
	s_barrier_wait -1
	s_and_saveexec_b32 s44, s1
; %bb.932:                              ;   in Loop: Header=BB140_3 Depth=1
	v_xor_b32_e32 v1, 0x80000000, v1
	ds_store_b64 v50, v[0:1] offset:29136
; %bb.933:                              ;   in Loop: Header=BB140_3 Depth=1
	s_or_b32 exec_lo, exec_lo, s44
	s_wait_dscnt 0x0
	s_barrier_signal -1
	s_barrier_wait -1
	s_barrier_signal -1
	s_barrier_wait -1
	s_and_saveexec_b32 s44, s91
	s_cbranch_execz .LBB140_935
; %bb.934:                              ;   in Loop: Header=BB140_3 Depth=1
	ds_load_b64 v[0:1], v71 offset:29136
	s_wait_dscnt 0x0
	ds_store_b64 v70, v[0:1] offset:30144
	ds_load_b64 v[0:1], v71 offset:29144
	s_wait_dscnt 0x0
	ds_store_b64 v70, v[0:1] offset:30656
.LBB140_935:                            ;   in Loop: Header=BB140_3 Depth=1
	s_or_b32 exec_lo, exec_lo, s44
	s_wait_dscnt 0x0
	s_barrier_signal -1
	s_barrier_wait -1
	s_and_saveexec_b32 s44, s10
	s_cbranch_execz .LBB140_937
; %bb.936:                              ;   in Loop: Header=BB140_3 Depth=1
	ds_load_b64 v[0:1], v5 offset:30168
	v_mov_b32_e32 v2, v5
	ds_store_b64 v5, v[30:31] offset:30160
	s_wait_dscnt 0x1
	ds_store_b128 v5, v[0:3] offset:30672
.LBB140_937:                            ;   in Loop: Header=BB140_3 Depth=1
	s_or_b32 exec_lo, exec_lo, s44
	v_mov_b64_e32 v[0:1], 0
	s_wait_dscnt 0x0
	s_barrier_signal -1
	s_barrier_wait -1
	s_and_saveexec_b32 s44, s3
	s_cbranch_execz .LBB140_943
; %bb.938:                              ;   in Loop: Header=BB140_3 Depth=1
	ds_load_b64 v[0:1], v57 offset:29152
	ds_load_b64 v[44:45], v53 offset:29120
	s_wait_dscnt 0x0
	v_fma_f64 v[0:1], v[0:1], v[44:45], 0
	s_and_saveexec_b32 s45, s12
	s_cbranch_execnz .LBB140_1115
; %bb.939:                              ;   in Loop: Header=BB140_3 Depth=1
	s_or_b32 exec_lo, exec_lo, s45
	s_and_saveexec_b32 s45, s13
	s_cbranch_execnz .LBB140_1116
.LBB140_940:                            ;   in Loop: Header=BB140_3 Depth=1
	s_or_b32 exec_lo, exec_lo, s45
	s_and_saveexec_b32 s45, s1
	s_cbranch_execz .LBB140_942
.LBB140_941:                            ;   in Loop: Header=BB140_3 Depth=1
	ds_load_b64 v[44:45], v72 offset:30688
	ds_load_b64 v[46:47], v5 offset:29144
	s_wait_dscnt 0x0
	v_fmac_f64_e32 v[0:1], v[44:45], v[46:47]
.LBB140_942:                            ;   in Loop: Header=BB140_3 Depth=1
	s_or_b32 exec_lo, exec_lo, s45
	s_delay_alu instid0(VALU_DEP_1)
	v_xor_b32_e32 v1, 0x80000000, v1
.LBB140_943:                            ;   in Loop: Header=BB140_3 Depth=1
	s_or_b32 exec_lo, exec_lo, s44
	s_and_saveexec_b32 s44, s92
; %bb.944:                              ;   in Loop: Header=BB140_3 Depth=1
	ds_store_b64 v56, v[0:1]
; %bb.945:                              ;   in Loop: Header=BB140_3 Depth=1
	s_or_b32 exec_lo, exec_lo, s44
	s_wait_dscnt 0x0
	s_barrier_signal -1
	s_barrier_wait -1
	s_and_saveexec_b32 s44, s93
	s_cbranch_execz .LBB140_947
; %bb.946:                              ;   in Loop: Header=BB140_3 Depth=1
	ds_load_b64 v[44:45], v54 offset:31200
	ds_load_b64 v[46:47], v56
	s_wait_dscnt 0x0
	v_fmac_f64_e32 v[0:1], v[44:45], v[46:47]
.LBB140_947:                            ;   in Loop: Header=BB140_3 Depth=1
	s_or_b32 exec_lo, exec_lo, s44
	s_barrier_signal -1
	s_barrier_wait -1
	s_and_saveexec_b32 s44, s94
; %bb.948:                              ;   in Loop: Header=BB140_3 Depth=1
	ds_store_b64 v56, v[0:1]
; %bb.949:                              ;   in Loop: Header=BB140_3 Depth=1
	s_or_b32 exec_lo, exec_lo, s44
	s_wait_dscnt 0x0
	s_barrier_signal -1
	s_barrier_wait -1
	s_and_saveexec_b32 s44, s95
	s_cbranch_execz .LBB140_951
; %bb.950:                              ;   in Loop: Header=BB140_3 Depth=1
	ds_load_b64 v[44:45], v54 offset:31712
	ds_load_b64 v[46:47], v56
	s_wait_dscnt 0x0
	v_fmac_f64_e32 v[0:1], v[44:45], v[46:47]
.LBB140_951:                            ;   in Loop: Header=BB140_3 Depth=1
	s_or_b32 exec_lo, exec_lo, s44
	s_barrier_signal -1
	s_barrier_wait -1
	;; [unrolled: 19-line block ×3, first 2 shown]
	s_and_saveexec_b32 s44, s97
; %bb.956:                              ;   in Loop: Header=BB140_3 Depth=1
	ds_store_b64 v56, v[0:1]
; %bb.957:                              ;   in Loop: Header=BB140_3 Depth=1
	s_or_b32 exec_lo, exec_lo, s44
	s_wait_dscnt 0x0
	s_barrier_signal -1
	s_barrier_wait -1
	s_barrier_signal -1
	s_barrier_wait -1
	s_and_saveexec_b32 s44, s3
; %bb.958:                              ;   in Loop: Header=BB140_3 Depth=1
	v_xor_b32_e32 v1, 0x80000000, v1
	ds_store_b64 v57, v[0:1] offset:29152
; %bb.959:                              ;   in Loop: Header=BB140_3 Depth=1
	s_or_b32 exec_lo, exec_lo, s44
	s_wait_dscnt 0x0
	s_barrier_signal -1
	s_barrier_wait -1
	s_barrier_signal -1
	s_barrier_wait -1
	s_and_saveexec_b32 s44, s98
	s_cbranch_execz .LBB140_961
; %bb.960:                              ;   in Loop: Header=BB140_3 Depth=1
	ds_load_b64 v[0:1], v75 offset:29152
	s_wait_dscnt 0x0
	ds_store_b64 v11, v[0:1] offset:31168
	ds_load_b64 v[0:1], v75 offset:29160
	s_wait_dscnt 0x0
	ds_store_b64 v11, v[0:1] offset:31680
	ds_load_b64 v[0:1], v75 offset:29168
	s_wait_dscnt 0x0
	ds_store_b64 v11, v[0:1] offset:32192
	ds_load_b64 v[0:1], v75 offset:29176
	s_wait_dscnt 0x0
	ds_store_b64 v11, v[0:1] offset:32704
.LBB140_961:                            ;   in Loop: Header=BB140_3 Depth=1
	s_or_b32 exec_lo, exec_lo, s44
	s_wait_dscnt 0x0
	s_barrier_signal -1
	s_barrier_wait -1
	s_and_saveexec_b32 s44, s10
	s_cbranch_execz .LBB140_963
; %bb.962:                              ;   in Loop: Header=BB140_3 Depth=1
	ds_load_b64 v[0:1], v5 offset:31208
	v_mov_b32_e32 v2, v5
	ds_store_b64 v5, v[30:31] offset:31200
	s_wait_dscnt 0x1
	ds_store_b128 v5, v[0:3] offset:31712
.LBB140_963:                            ;   in Loop: Header=BB140_3 Depth=1
	s_or_b32 exec_lo, exec_lo, s44
	v_mov_b64_e32 v[0:1], 0
	s_wait_dscnt 0x0
	s_barrier_signal -1
	s_barrier_wait -1
	s_and_saveexec_b32 s44, s1
	s_cbranch_execz .LBB140_967
; %bb.964:                              ;   in Loop: Header=BB140_3 Depth=1
	ds_load_b64 v[0:1], v50 offset:31216
	ds_load_b64 v[44:45], v51 offset:31200
	s_wait_dscnt 0x0
	v_fma_f64 v[0:1], v[0:1], v[44:45], 0
	s_and_saveexec_b32 s45, s11
	s_cbranch_execz .LBB140_966
; %bb.965:                              ;   in Loop: Header=BB140_3 Depth=1
	ds_load_b64 v[44:45], v11 offset:31728
	ds_load_b64 v[46:47], v5 offset:31208
	s_wait_dscnt 0x0
	v_fmac_f64_e32 v[0:1], v[44:45], v[46:47]
.LBB140_966:                            ;   in Loop: Header=BB140_3 Depth=1
	s_or_b32 exec_lo, exec_lo, s45
	s_delay_alu instid0(VALU_DEP_1)
	v_xor_b32_e32 v1, 0x80000000, v1
.LBB140_967:                            ;   in Loop: Header=BB140_3 Depth=1
	s_or_b32 exec_lo, exec_lo, s44
	s_and_saveexec_b32 s44, s89
; %bb.968:                              ;   in Loop: Header=BB140_3 Depth=1
	ds_store_b64 v7, v[0:1]
; %bb.969:                              ;   in Loop: Header=BB140_3 Depth=1
	s_or_b32 exec_lo, exec_lo, s44
	s_wait_dscnt 0x0
	s_barrier_signal -1
	s_barrier_wait -1
	s_and_saveexec_b32 s44, s90
	s_cbranch_execz .LBB140_971
; %bb.970:                              ;   in Loop: Header=BB140_3 Depth=1
	ds_load_b64 v[44:45], v5 offset:32248
	ds_load_b64 v[46:47], v7
	s_wait_dscnt 0x0
	v_fmac_f64_e32 v[0:1], v[44:45], v[46:47]
.LBB140_971:                            ;   in Loop: Header=BB140_3 Depth=1
	s_or_b32 exec_lo, exec_lo, s44
	s_barrier_signal -1
	s_barrier_wait -1
	s_and_saveexec_b32 s44, s90
; %bb.972:                              ;   in Loop: Header=BB140_3 Depth=1
	ds_store_b64 v7, v[0:1]
; %bb.973:                              ;   in Loop: Header=BB140_3 Depth=1
	s_or_b32 exec_lo, exec_lo, s44
	s_wait_dscnt 0x0
	s_barrier_signal -1
	s_barrier_wait -1
	s_barrier_signal -1
	s_barrier_wait -1
	s_and_saveexec_b32 s44, s1
; %bb.974:                              ;   in Loop: Header=BB140_3 Depth=1
	v_xor_b32_e32 v1, 0x80000000, v1
	ds_store_b64 v50, v[0:1] offset:31216
; %bb.975:                              ;   in Loop: Header=BB140_3 Depth=1
	s_or_b32 exec_lo, exec_lo, s44
	s_wait_dscnt 0x0
	s_barrier_signal -1
	s_barrier_wait -1
	s_barrier_signal -1
	s_barrier_wait -1
	s_and_saveexec_b32 s44, s91
	s_cbranch_execz .LBB140_977
; %bb.976:                              ;   in Loop: Header=BB140_3 Depth=1
	ds_load_b64 v[0:1], v81 offset:31216
	s_wait_dscnt 0x0
	ds_store_b64 v11, v[0:1] offset:32224
	ds_load_b64 v[0:1], v81 offset:31224
	s_wait_dscnt 0x0
	ds_store_b64 v11, v[0:1] offset:32736
.LBB140_977:                            ;   in Loop: Header=BB140_3 Depth=1
	s_or_b32 exec_lo, exec_lo, s44
	s_wait_dscnt 0x0
	s_barrier_signal -1
	s_barrier_wait -1
	s_and_saveexec_b32 s44, s10
	s_cbranch_execz .LBB140_979
; %bb.978:                              ;   in Loop: Header=BB140_3 Depth=1
	ds_load_b64 v[0:1], v5 offset:32248
	v_mov_b32_e32 v2, v5
	ds_store_b64 v5, v[30:31] offset:32240
	s_wait_dscnt 0x1
	ds_store_b128 v5, v[0:3] offset:32752
.LBB140_979:                            ;   in Loop: Header=BB140_3 Depth=1
	s_or_b32 exec_lo, exec_lo, s44
.LBB140_980:                            ;   in Loop: Header=BB140_3 Depth=1
	v_add_nc_u64_e32 v[0:1], s[68:69], v[42:43]
	v_mov_b64_e32 v[42:43], 0
	s_wait_dscnt 0x0
	s_barrier_signal -1
	s_barrier_wait -1
	s_wait_xcnt 0x0
	s_and_saveexec_b32 s44, s40
	s_cbranch_execz .LBB140_982
; %bb.981:                              ;   in Loop: Header=BB140_3 Depth=1
	v_lshl_add_u64 v[42:43], v[24:25], 3, v[0:1]
	flat_load_b64 v[42:43], v[42:43]
	s_wait_loadcnt_dscnt 0x0
	v_mul_f64_e64 v[42:43], v[42:43], -s[64:65]
.LBB140_982:                            ;   in Loop: Header=BB140_3 Depth=1
	s_or_b32 exec_lo, exec_lo, s44
	s_delay_alu instid0(SALU_CYCLE_1)
	s_and_not1_b32 vcc_lo, exec_lo, s41
	s_cbranch_vccnz .LBB140_1008
; %bb.983:                              ;   in Loop: Header=BB140_3 Depth=1
	v_mov_b32_e32 v2, -1
	s_lshl_b64 s[44:45], s[62:63], 2
	s_delay_alu instid0(SALU_CYCLE_1)
	s_add_nc_u64 s[82:83], s[78:79], s[44:45]
	s_mov_b32 s44, 0
	s_branch .LBB140_986
.LBB140_984:                            ;   in Loop: Header=BB140_986 Depth=2
	s_wait_xcnt 0x0
	ds_load_b64 v[44:45], v82 offset:384
	s_wait_loadcnt_dscnt 0x0
	v_fmac_f64_e32 v[42:43], v[46:47], v[44:45]
.LBB140_985:                            ;   in Loop: Header=BB140_986 Depth=2
	s_or_b32 exec_lo, exec_lo, s45
	s_add_co_i32 s44, s44, 1
	s_delay_alu instid0(SALU_CYCLE_1)
	s_cmp_eq_u32 s44, s84
	s_cbranch_scc1 .LBB140_1008
.LBB140_986:                            ;   Parent Loop BB140_3 Depth=1
                                        ; =>  This Loop Header: Depth=2
                                        ;       Child Loop BB140_988 Depth 3
	v_cmp_gt_i32_e32 vcc_lo, s44, v2
	s_and_b32 s46, s55, vcc_lo
	s_delay_alu instid0(SALU_CYCLE_1)
	s_and_saveexec_b32 s45, s46
	s_cbranch_execz .LBB140_989
; %bb.987:                              ;   in Loop: Header=BB140_986 Depth=2
	global_load_b32 v2, v5, s[82:83]
	s_wait_loadcnt 0x0
	v_cmp_le_i32_e32 vcc_lo, s44, v2
	s_cbranch_vccnz .LBB140_989
.LBB140_988:                            ;   Parent Loop BB140_3 Depth=1
                                        ;     Parent Loop BB140_986 Depth=2
                                        ; =>    This Inner Loop Header: Depth=3
	global_wb scope:SCOPE_DEV
	s_wait_storecnt 0x0
	global_inv scope:SCOPE_DEV
	global_load_b32 v2, v5, s[82:83]
	s_wait_loadcnt 0x0
	v_cmp_gt_i32_e32 vcc_lo, s44, v2
	s_cbranch_vccnz .LBB140_988
.LBB140_989:                            ;   in Loop: Header=BB140_986 Depth=2
	s_or_b32 exec_lo, exec_lo, s45
	s_sub_co_i32 s45, s85, s44
	global_wb scope:SCOPE_DEV
	s_wait_storecnt 0x0
	global_inv scope:SCOPE_DEV
	s_lshl_b32 s46, s45, 6
	s_wait_loadcnt 0x0
	s_barrier_signal -1
	s_barrier_wait -1
	s_and_saveexec_b32 s47, s56
	s_cbranch_execz .LBB140_993
; %bb.990:                              ;   in Loop: Header=BB140_986 Depth=2
	s_ashr_i32 s48, s46, 31
	v_mov_b64_e32 v[46:47], 0
	v_dual_mov_b32 v45, s48 :: v_dual_bitop2_b32 v44, s46, v10 bitop3:0x54
	s_mov_b32 s48, exec_lo
	s_delay_alu instid0(VALU_DEP_1)
	v_cmpx_gt_i64_e64 s[76:77], v[44:45]
	s_cbranch_execz .LBB140_992
; %bb.991:                              ;   in Loop: Header=BB140_986 Depth=2
	v_mul_u64_e32 v[44:45], s[70:71], v[44:45]
	s_delay_alu instid0(VALU_DEP_1)
	v_lshl_add_u64 v[44:45], v[44:45], 3, v[0:1]
	flat_load_b64 v[46:47], v[44:45]
.LBB140_992:                            ;   in Loop: Header=BB140_986 Depth=2
	s_wait_xcnt 0x0
	s_or_b32 exec_lo, exec_lo, s48
	s_wait_loadcnt_dscnt 0x0
	ds_store_b64 v85, v[46:47]
.LBB140_993:                            ;   in Loop: Header=BB140_986 Depth=2
	s_or_b32 exec_lo, exec_lo, s47
	v_add_nc_u32_e32 v46, s46, v8
	s_cmp_lg_u32 s45, s42
	s_wait_dscnt 0x0
	s_cselect_b32 s46, -1, 0
	s_barrier_signal -1
	v_ashrrev_i32_e32 v47, 31, v46
	v_cmp_gt_i32_e32 vcc_lo, s76, v46
	s_barrier_wait -1
	s_delay_alu instid0(VALU_DEP_2) | instskip(SKIP_2) | instid1(SALU_CYCLE_1)
	v_lshl_add_u64 v[44:45], v[46:47], 3, v[40:41]
	v_cndmask_b32_e64 v47, 0, 1, s46
	s_and_b32 s47, vcc_lo, s0
	s_and_saveexec_b32 s45, s47
	s_cbranch_execz .LBB140_997
; %bb.994:                              ;   in Loop: Header=BB140_986 Depth=2
	v_mov_b64_e32 v[48:49], v[32:33]
	s_and_not1_b32 vcc_lo, exec_lo, s46
	s_cbranch_vccnz .LBB140_996
; %bb.995:                              ;   in Loop: Header=BB140_986 Depth=2
	flat_load_b64 v[48:49], v[44:45]
.LBB140_996:                            ;   in Loop: Header=BB140_986 Depth=2
	ds_load_b64 v[98:99], v82
	s_wait_loadcnt_dscnt 0x0
	v_fmac_f64_e32 v[42:43], v[48:49], v[98:99]
.LBB140_997:                            ;   in Loop: Header=BB140_986 Depth=2
	s_or_b32 exec_lo, exec_lo, s45
	v_add_nc_u32_e32 v48, 16, v46
	s_delay_alu instid0(VALU_DEP_1) | instskip(SKIP_1) | instid1(SALU_CYCLE_1)
	v_cmp_gt_i32_e32 vcc_lo, s76, v48
	s_and_b32 s46, vcc_lo, s0
	s_and_saveexec_b32 s45, s46
	s_cbranch_execz .LBB140_1001
; %bb.998:                              ;   in Loop: Header=BB140_986 Depth=2
	v_cmp_ne_u32_e32 vcc_lo, 1, v47
	v_mov_b64_e32 v[48:49], v[34:35]
	s_cbranch_vccnz .LBB140_1000
; %bb.999:                              ;   in Loop: Header=BB140_986 Depth=2
	flat_load_b64 v[48:49], v[44:45] offset:128
.LBB140_1000:                           ;   in Loop: Header=BB140_986 Depth=2
	ds_load_b64 v[98:99], v82 offset:128
	s_wait_loadcnt_dscnt 0x0
	v_fmac_f64_e32 v[42:43], v[48:49], v[98:99]
.LBB140_1001:                           ;   in Loop: Header=BB140_986 Depth=2
	s_or_b32 exec_lo, exec_lo, s45
	v_add_nc_u32_e32 v48, 32, v46
	s_delay_alu instid0(VALU_DEP_1) | instskip(SKIP_1) | instid1(SALU_CYCLE_1)
	v_cmp_gt_i32_e32 vcc_lo, s76, v48
	s_and_b32 s46, vcc_lo, s0
	s_and_saveexec_b32 s45, s46
	s_cbranch_execz .LBB140_1005
; %bb.1002:                             ;   in Loop: Header=BB140_986 Depth=2
	v_cmp_ne_u32_e32 vcc_lo, 1, v47
	v_mov_b64_e32 v[48:49], v[36:37]
	s_cbranch_vccnz .LBB140_1004
; %bb.1003:                             ;   in Loop: Header=BB140_986 Depth=2
	flat_load_b64 v[48:49], v[44:45] offset:256
.LBB140_1004:                           ;   in Loop: Header=BB140_986 Depth=2
	ds_load_b64 v[98:99], v82 offset:256
	s_wait_loadcnt_dscnt 0x0
	v_fmac_f64_e32 v[42:43], v[48:49], v[98:99]
.LBB140_1005:                           ;   in Loop: Header=BB140_986 Depth=2
	s_or_b32 exec_lo, exec_lo, s45
	v_add_nc_u32_e32 v46, 48, v46
	s_delay_alu instid0(VALU_DEP_1) | instskip(SKIP_1) | instid1(SALU_CYCLE_1)
	v_cmp_gt_i32_e32 vcc_lo, s76, v46
	s_and_b32 s46, vcc_lo, s0
	s_and_saveexec_b32 s45, s46
	s_cbranch_execz .LBB140_985
; %bb.1006:                             ;   in Loop: Header=BB140_986 Depth=2
	v_cmp_ne_u32_e32 vcc_lo, 1, v47
	v_mov_b64_e32 v[46:47], v[38:39]
	s_cbranch_vccnz .LBB140_984
; %bb.1007:                             ;   in Loop: Header=BB140_986 Depth=2
	flat_load_b64 v[46:47], v[44:45] offset:384
	s_branch .LBB140_984
.LBB140_1008:                           ;   in Loop: Header=BB140_3 Depth=1
	ds_store_b64 v90, v[42:43]
	s_wait_dscnt 0x0
	s_barrier_signal -1
	s_barrier_wait -1
	s_and_saveexec_b32 s44, s2
	s_cbranch_execz .LBB140_1010
; %bb.1009:                             ;   in Loop: Header=BB140_3 Depth=1
	ds_load_2addr_stride64_b64 v[44:47], v92 offset0:1 offset1:2
	ds_load_2addr_stride64_b64 v[98:101], v92 offset0:3 offset1:4
	s_wait_dscnt 0x1
	v_add_f64_e32 v[40:41], v[42:43], v[44:45]
	s_delay_alu instid0(VALU_DEP_1) | instskip(SKIP_1) | instid1(VALU_DEP_1)
	v_add_f64_e32 v[40:41], v[40:41], v[46:47]
	s_wait_dscnt 0x0
	v_add_f64_e32 v[40:41], v[40:41], v[98:99]
	s_delay_alu instid0(VALU_DEP_1) | instskip(SKIP_4) | instid1(VALU_DEP_1)
	v_add_f64_e32 v[48:49], v[40:41], v[100:101]
	ds_load_2addr_stride64_b64 v[40:43], v92 offset0:5 offset1:6
	ds_load_2addr_stride64_b64 v[44:47], v92 offset0:7 offset1:8
	s_wait_dscnt 0x1
	v_add_f64_e32 v[40:41], v[48:49], v[40:41]
	v_add_f64_e32 v[40:41], v[40:41], v[42:43]
	s_wait_dscnt 0x0
	s_delay_alu instid0(VALU_DEP_1) | instskip(NEXT) | instid1(VALU_DEP_1)
	v_add_f64_e32 v[40:41], v[40:41], v[44:45]
	v_add_f64_e32 v[48:49], v[40:41], v[46:47]
	ds_load_2addr_stride64_b64 v[40:43], v92 offset0:9 offset1:10
	ds_load_2addr_stride64_b64 v[44:47], v92 offset0:11 offset1:12
	s_wait_dscnt 0x1
	v_add_f64_e32 v[40:41], v[48:49], v[40:41]
	s_delay_alu instid0(VALU_DEP_1) | instskip(SKIP_1) | instid1(VALU_DEP_1)
	v_add_f64_e32 v[40:41], v[40:41], v[42:43]
	s_wait_dscnt 0x0
	v_add_f64_e32 v[40:41], v[40:41], v[44:45]
	s_delay_alu instid0(VALU_DEP_1) | instskip(SKIP_4) | instid1(VALU_DEP_1)
	v_add_f64_e32 v[44:45], v[40:41], v[46:47]
	ds_load_2addr_stride64_b64 v[40:43], v92 offset0:13 offset1:14
	ds_load_b64 v[46:47], v92 offset:7680
	s_wait_dscnt 0x1
	v_add_f64_e32 v[40:41], v[44:45], v[40:41]
	v_add_f64_e32 v[40:41], v[40:41], v[42:43]
	s_wait_dscnt 0x0
	s_delay_alu instid0(VALU_DEP_1) | instskip(NEXT) | instid1(VALU_DEP_1)
	v_add_f64_e32 v[40:41], v[40:41], v[46:47]
	v_xor_b32_e32 v2, 0x80000000, v41
	s_delay_alu instid0(VALU_DEP_2) | instskip(NEXT) | instid1(VALU_DEP_2)
	v_cndmask_b32_e64 v42, v40, 0, s61
	v_cndmask_b32_e64 v43, v2, 0, s61
.LBB140_1010:                           ;   in Loop: Header=BB140_3 Depth=1
	s_or_b32 exec_lo, exec_lo, s44
	s_delay_alu instid0(SALU_CYCLE_1)
	s_and_not1_b32 vcc_lo, exec_lo, s88
	s_cbranch_vccnz .LBB140_1020
; %bb.1011:                             ;   in Loop: Header=BB140_3 Depth=1
	s_and_saveexec_b32 s44, s2
; %bb.1012:                             ;   in Loop: Header=BB140_3 Depth=1
	ds_store_b64 v94, v[42:43]
; %bb.1013:                             ;   in Loop: Header=BB140_3 Depth=1
	s_or_b32 exec_lo, exec_lo, s44
	v_mov_b64_e32 v[40:41], 0
	s_wait_dscnt 0x0
	s_barrier_signal -1
	s_barrier_wait -1
	s_and_saveexec_b32 s44, s6
	s_cbranch_execnz .LBB140_1060
; %bb.1014:                             ;   in Loop: Header=BB140_3 Depth=1
	s_or_b32 exec_lo, exec_lo, s44
	s_and_saveexec_b32 s44, s7
	s_cbranch_execnz .LBB140_1061
.LBB140_1015:                           ;   in Loop: Header=BB140_3 Depth=1
	s_or_b32 exec_lo, exec_lo, s44
	s_and_saveexec_b32 s44, s8
	s_cbranch_execnz .LBB140_1062
.LBB140_1016:                           ;   in Loop: Header=BB140_3 Depth=1
	s_or_b32 exec_lo, exec_lo, s44
	s_and_saveexec_b32 s44, s9
	s_cbranch_execz .LBB140_1018
.LBB140_1017:                           ;   in Loop: Header=BB140_3 Depth=1
	ds_load_b64 v[44:45], v93 offset:24576
	ds_load_b64 v[46:47], v82 offset:384
	s_wait_dscnt 0x0
	v_fmac_f64_e32 v[40:41], v[44:45], v[46:47]
.LBB140_1018:                           ;   in Loop: Header=BB140_3 Depth=1
	s_or_b32 exec_lo, exec_lo, s44
	s_mov_b32 s44, 0
	s_mov_b32 s82, 0
	ds_store_b64 v90, v[40:41]
	s_wait_dscnt 0x0
	s_barrier_signal -1
	s_barrier_wait -1
                                        ; implicit-def: $vgpr44_vgpr45
	s_and_saveexec_b32 s83, s2
	s_cbranch_execz .LBB140_1063
; %bb.1019:                             ;   in Loop: Header=BB140_3 Depth=1
	ds_load_2addr_stride64_b64 v[44:47], v92 offset0:1 offset1:2
	ds_load_2addr_stride64_b64 v[98:101], v92 offset0:3 offset1:4
	s_mov_b32 s82, exec_lo
	s_wait_dscnt 0x1
	v_add_f64_e32 v[40:41], v[40:41], v[44:45]
	s_delay_alu instid0(VALU_DEP_1) | instskip(SKIP_1) | instid1(VALU_DEP_1)
	v_add_f64_e32 v[40:41], v[46:47], v[40:41]
	s_wait_dscnt 0x0
	v_add_f64_e32 v[40:41], v[98:99], v[40:41]
	s_delay_alu instid0(VALU_DEP_1) | instskip(SKIP_4) | instid1(VALU_DEP_1)
	v_add_f64_e32 v[40:41], v[100:101], v[40:41]
	ds_load_2addr_stride64_b64 v[44:47], v92 offset0:5 offset1:6
	ds_load_2addr_stride64_b64 v[98:101], v92 offset0:7 offset1:8
	s_wait_dscnt 0x1
	v_add_f64_e32 v[40:41], v[44:45], v[40:41]
	v_add_f64_e32 v[40:41], v[46:47], v[40:41]
	s_wait_dscnt 0x0
	s_delay_alu instid0(VALU_DEP_1) | instskip(NEXT) | instid1(VALU_DEP_1)
	v_add_f64_e32 v[40:41], v[98:99], v[40:41]
	v_add_f64_e32 v[40:41], v[100:101], v[40:41]
	ds_load_2addr_stride64_b64 v[44:47], v92 offset0:9 offset1:10
	ds_load_2addr_stride64_b64 v[98:101], v92 offset0:11 offset1:12
	s_wait_dscnt 0x1
	v_add_f64_e32 v[40:41], v[44:45], v[40:41]
	s_delay_alu instid0(VALU_DEP_1) | instskip(SKIP_4) | instid1(VALU_DEP_1)
	v_add_f64_e32 v[40:41], v[46:47], v[40:41]
	ds_load_2addr_stride64_b64 v[44:47], v92 offset0:13 offset1:14
	ds_load_b64 v[48:49], v92 offset:7680
	s_wait_dscnt 0x2
	v_add_f64_e32 v[40:41], v[98:99], v[40:41]
	v_add_f64_e32 v[40:41], v[100:101], v[40:41]
	s_wait_dscnt 0x1
	s_delay_alu instid0(VALU_DEP_1) | instskip(NEXT) | instid1(VALU_DEP_1)
	v_add_f64_e32 v[40:41], v[44:45], v[40:41]
	v_add_f64_e32 v[40:41], v[46:47], v[40:41]
	s_wait_dscnt 0x0
	s_delay_alu instid0(VALU_DEP_1) | instskip(SKIP_1) | instid1(SALU_CYCLE_1)
	v_add_f64_e32 v[44:45], v[48:49], v[40:41]
	s_or_b32 exec_lo, exec_lo, s83
	s_and_b32 vcc_lo, exec_lo, s44
	s_cbranch_vccnz .LBB140_1021
	s_branch .LBB140_1064
.LBB140_1020:                           ;   in Loop: Header=BB140_3 Depth=1
	s_mov_b32 s82, 0
                                        ; implicit-def: $vgpr44_vgpr45
	s_cbranch_execz .LBB140_1064
.LBB140_1021:                           ;   in Loop: Header=BB140_3 Depth=1
	v_dual_mov_b32 v2, v97 :: v_dual_mov_b32 v40, v96
	s_mov_b32 s44, 63
	s_branch .LBB140_1023
.LBB140_1022:                           ;   in Loop: Header=BB140_1023 Depth=2
	s_or_b32 exec_lo, exec_lo, s46
	v_add_nc_u32_e32 v40, 0xfffff800, v40
	v_add_nc_u32_e32 v2, 4, v2
	s_add_co_i32 s44, s44, -4
	s_cmp_lg_u32 s45, 0
	s_barrier_signal -1
	s_barrier_wait -1
	s_cbranch_scc0 .LBB140_1039
.LBB140_1023:                           ;   Parent Loop BB140_3 Depth=1
                                        ; =>  This Inner Loop Header: Depth=2
	s_delay_alu instid0(VALU_DEP_1) | instskip(SKIP_1) | instid1(SALU_CYCLE_1)
	v_cmp_eq_u32_e32 vcc_lo, 0, v2
	s_and_b32 s46, s2, vcc_lo
	s_and_saveexec_b32 s45, s46
; %bb.1024:                             ;   in Loop: Header=BB140_1023 Depth=2
	ds_store_b64 v5, v[42:43] offset:41472
; %bb.1025:                             ;   in Loop: Header=BB140_1023 Depth=2
	s_or_b32 exec_lo, exec_lo, s45
	v_cmp_gt_u32_e32 vcc_lo, s44, v6
	s_wait_dscnt 0x0
	s_barrier_signal -1
	s_barrier_wait -1
	s_and_b32 s46, s2, vcc_lo
	s_delay_alu instid0(SALU_CYCLE_1)
	s_and_saveexec_b32 s45, s46
	s_cbranch_execz .LBB140_1027
; %bb.1026:                             ;   in Loop: Header=BB140_1023 Depth=2
	ds_load_b64 v[44:45], v40 offset:1536
	ds_load_b64 v[46:47], v5 offset:41472
	s_wait_dscnt 0x0
	v_fmac_f64_e32 v[42:43], v[44:45], v[46:47]
.LBB140_1027:                           ;   in Loop: Header=BB140_1023 Depth=2
	s_or_b32 exec_lo, exec_lo, s45
	s_add_co_i32 s45, s44, -1
	s_delay_alu instid0(SALU_CYCLE_1) | instskip(SKIP_3) | instid1(SALU_CYCLE_1)
	v_cmp_eq_u32_e32 vcc_lo, s45, v6
	s_barrier_signal -1
	s_barrier_wait -1
	s_and_b32 s47, s2, vcc_lo
	s_and_saveexec_b32 s46, s47
; %bb.1028:                             ;   in Loop: Header=BB140_1023 Depth=2
	ds_store_b64 v5, v[42:43] offset:41472
; %bb.1029:                             ;   in Loop: Header=BB140_1023 Depth=2
	s_or_b32 exec_lo, exec_lo, s46
	v_cmp_gt_u32_e32 vcc_lo, s45, v6
	s_wait_dscnt 0x0
	s_barrier_signal -1
	s_barrier_wait -1
	s_and_b32 s46, s2, vcc_lo
	s_delay_alu instid0(SALU_CYCLE_1)
	s_and_saveexec_b32 s45, s46
	s_cbranch_execz .LBB140_1031
; %bb.1030:                             ;   in Loop: Header=BB140_1023 Depth=2
	ds_load_b64 v[44:45], v40 offset:1024
	ds_load_b64 v[46:47], v5 offset:41472
	s_wait_dscnt 0x0
	v_fmac_f64_e32 v[42:43], v[44:45], v[46:47]
.LBB140_1031:                           ;   in Loop: Header=BB140_1023 Depth=2
	s_or_b32 exec_lo, exec_lo, s45
	s_add_co_i32 s45, s44, -2
	s_delay_alu instid0(SALU_CYCLE_1) | instskip(SKIP_3) | instid1(SALU_CYCLE_1)
	v_cmp_eq_u32_e32 vcc_lo, s45, v6
	s_barrier_signal -1
	s_barrier_wait -1
	;; [unrolled: 26-line block ×3, first 2 shown]
	s_and_b32 s47, s2, vcc_lo
	s_and_saveexec_b32 s46, s47
; %bb.1036:                             ;   in Loop: Header=BB140_1023 Depth=2
	ds_store_b64 v5, v[42:43] offset:41472
; %bb.1037:                             ;   in Loop: Header=BB140_1023 Depth=2
	s_or_b32 exec_lo, exec_lo, s46
	v_cmp_gt_u32_e32 vcc_lo, s45, v6
	s_wait_dscnt 0x0
	s_barrier_signal -1
	s_barrier_wait -1
	s_and_b32 s47, s2, vcc_lo
	s_delay_alu instid0(SALU_CYCLE_1)
	s_and_saveexec_b32 s46, s47
	s_cbranch_execz .LBB140_1022
; %bb.1038:                             ;   in Loop: Header=BB140_1023 Depth=2
	ds_load_b64 v[44:45], v40
	ds_load_b64 v[46:47], v5 offset:41472
	s_wait_dscnt 0x0
	v_fmac_f64_e32 v[42:43], v[44:45], v[46:47]
	s_branch .LBB140_1022
.LBB140_1039:                           ;   in Loop: Header=BB140_3 Depth=1
	s_and_b32 vcc_lo, exec_lo, s86
	s_mov_b32 s44, -1
	s_cbranch_vccnz .LBB140_1065
; %bb.1040:                             ;   in Loop: Header=BB140_3 Depth=1
	s_and_not1_b32 vcc_lo, exec_lo, s44
	s_cbranch_vccz .LBB140_1066
.LBB140_1041:                           ;   in Loop: Header=BB140_3 Depth=1
	s_and_saveexec_b32 s44, s82
	s_cbranch_execz .LBB140_1043
.LBB140_1042:                           ;   in Loop: Header=BB140_3 Depth=1
	v_lshl_add_u64 v[0:1], v[26:27], 3, v[0:1]
	flat_store_b64 v[0:1], v[42:43]
.LBB140_1043:                           ;   in Loop: Header=BB140_3 Depth=1
	s_wait_xcnt 0x0
	s_or_b32 exec_lo, exec_lo, s44
	global_wb scope:SCOPE_DEV
	s_wait_storecnt_dscnt 0x0
	global_inv scope:SCOPE_DEV
	s_wait_loadcnt 0x0
	s_barrier_signal -1
	s_barrier_wait -1
	s_and_saveexec_b32 s44, s55
	s_cbranch_execz .LBB140_2
; %bb.1044:                             ;   in Loop: Header=BB140_3 Depth=1
	s_lshl_b64 s[46:47], s[62:63], 2
	s_delay_alu instid0(SALU_CYCLE_1)
	s_add_nc_u64 s[46:47], s[78:79], s[46:47]
	global_load_b32 v0, v5, s[46:47]
	s_wait_loadcnt 0x0
	v_add_nc_u32_e32 v0, 1, v0
	global_store_b32 v5, v0, s[46:47]
	s_branch .LBB140_2
.LBB140_1045:                           ;   in Loop: Header=BB140_3 Depth=1
	s_mov_b32 s45, exec_lo
	v_readlane_b32 s46, v102, 23
	s_and_b32 s46, s45, s46
	s_delay_alu instid0(SALU_CYCLE_1)
	s_mov_b32 exec_lo, s46
; %bb.1046:                             ;   in Loop: Header=BB140_3 Depth=1
	ds_store_b64 v86, v[28:29]
; %bb.1047:                             ;   in Loop: Header=BB140_3 Depth=1
	s_or_b32 exec_lo, exec_lo, s45
	s_and_not1_saveexec_b32 s44, s44
	s_cbranch_execz .LBB140_16
.LBB140_1048:                           ;   in Loop: Header=BB140_3 Depth=1
	v_lshl_add_u64 v[44:45], v[16:17], 3, v[0:1]
	flat_load_b64 v[44:45], v[44:45]
	s_wait_loadcnt_dscnt 0x0
	v_xor_b32_e32 v45, 0x80000000, v45
	ds_store_b64 v86, v[44:45]
	s_or_b32 exec_lo, exec_lo, s44
	s_and_saveexec_b32 s44, s7
	s_delay_alu instid0(SALU_CYCLE_1)
	s_xor_b32 s44, exec_lo, s44
	s_cbranch_execz .LBB140_17
.LBB140_1049:                           ;   in Loop: Header=BB140_3 Depth=1
	s_mov_b32 s45, exec_lo
	v_readlane_b32 s46, v102, 24
	s_and_b32 s46, s45, s46
	s_delay_alu instid0(SALU_CYCLE_1)
	s_mov_b32 exec_lo, s46
; %bb.1050:                             ;   in Loop: Header=BB140_3 Depth=1
	ds_store_b64 v87, v[28:29]
; %bb.1051:                             ;   in Loop: Header=BB140_3 Depth=1
	s_or_b32 exec_lo, exec_lo, s45
	s_and_not1_saveexec_b32 s44, s44
	s_cbranch_execz .LBB140_18
.LBB140_1052:                           ;   in Loop: Header=BB140_3 Depth=1
	v_lshl_add_u64 v[44:45], v[18:19], 3, v[0:1]
	flat_load_b64 v[44:45], v[44:45]
	s_wait_loadcnt_dscnt 0x0
	v_xor_b32_e32 v45, 0x80000000, v45
	ds_store_b64 v87, v[44:45]
	s_or_b32 exec_lo, exec_lo, s44
	s_and_saveexec_b32 s44, s8
	s_delay_alu instid0(SALU_CYCLE_1)
	s_xor_b32 s44, exec_lo, s44
	s_cbranch_execz .LBB140_19
.LBB140_1053:                           ;   in Loop: Header=BB140_3 Depth=1
	s_mov_b32 s45, exec_lo
	v_readlane_b32 s46, v102, 25
	s_and_b32 s46, s45, s46
	s_delay_alu instid0(SALU_CYCLE_1)
	s_mov_b32 exec_lo, s46
; %bb.1054:                             ;   in Loop: Header=BB140_3 Depth=1
	ds_store_b64 v88, v[28:29]
; %bb.1055:                             ;   in Loop: Header=BB140_3 Depth=1
	s_or_b32 exec_lo, exec_lo, s45
	s_and_not1_saveexec_b32 s44, s44
	s_cbranch_execz .LBB140_20
.LBB140_1056:                           ;   in Loop: Header=BB140_3 Depth=1
	v_lshl_add_u64 v[44:45], v[20:21], 3, v[0:1]
	flat_load_b64 v[44:45], v[44:45]
	s_wait_loadcnt_dscnt 0x0
	v_xor_b32_e32 v45, 0x80000000, v45
	ds_store_b64 v88, v[44:45]
	s_or_b32 exec_lo, exec_lo, s44
	s_and_saveexec_b32 s44, s9
	s_delay_alu instid0(SALU_CYCLE_1)
	s_xor_b32 s44, exec_lo, s44
	s_cbranch_execz .LBB140_21
.LBB140_1057:                           ;   in Loop: Header=BB140_3 Depth=1
	s_mov_b32 s45, exec_lo
	v_readlane_b32 s46, v102, 26
	s_and_b32 s46, s45, s46
	s_delay_alu instid0(SALU_CYCLE_1)
	s_mov_b32 exec_lo, s46
; %bb.1058:                             ;   in Loop: Header=BB140_3 Depth=1
	ds_store_b64 v89, v[28:29]
; %bb.1059:                             ;   in Loop: Header=BB140_3 Depth=1
	s_or_b32 exec_lo, exec_lo, s45
	s_and_not1_saveexec_b32 s44, s44
	s_cbranch_execnz .LBB140_22
	s_branch .LBB140_23
.LBB140_1060:                           ;   in Loop: Header=BB140_3 Depth=1
	ds_load_b64 v[40:41], v93
	ds_load_b64 v[44:45], v82
	s_wait_dscnt 0x0
	v_fma_f64 v[40:41], v[40:41], v[44:45], 0
	s_or_b32 exec_lo, exec_lo, s44
	s_and_saveexec_b32 s44, s7
	s_cbranch_execz .LBB140_1015
.LBB140_1061:                           ;   in Loop: Header=BB140_3 Depth=1
	ds_load_b64 v[44:45], v93 offset:8192
	ds_load_b64 v[46:47], v82 offset:128
	s_wait_dscnt 0x0
	v_fmac_f64_e32 v[40:41], v[44:45], v[46:47]
	s_or_b32 exec_lo, exec_lo, s44
	s_and_saveexec_b32 s44, s8
	s_cbranch_execz .LBB140_1016
.LBB140_1062:                           ;   in Loop: Header=BB140_3 Depth=1
	ds_load_b64 v[44:45], v93 offset:16384
	ds_load_b64 v[46:47], v82 offset:256
	s_wait_dscnt 0x0
	v_fmac_f64_e32 v[40:41], v[44:45], v[46:47]
	s_or_b32 exec_lo, exec_lo, s44
	s_and_saveexec_b32 s44, s9
	s_cbranch_execnz .LBB140_1017
	s_branch .LBB140_1018
.LBB140_1063:                           ;   in Loop: Header=BB140_3 Depth=1
	s_or_b32 exec_lo, exec_lo, s83
	s_delay_alu instid0(SALU_CYCLE_1)
	s_and_b32 vcc_lo, exec_lo, s44
	s_cbranch_vccnz .LBB140_1021
.LBB140_1064:                           ;   in Loop: Header=BB140_3 Depth=1
	s_delay_alu instid0(VALU_DEP_1)
	v_mov_b64_e32 v[42:43], v[44:45]
	s_and_saveexec_b32 s44, s82
	s_cbranch_execnz .LBB140_1042
	s_branch .LBB140_1043
.LBB140_1065:                           ;   in Loop: Header=BB140_3 Depth=1
	s_and_not1_b32 s45, s82, exec_lo
	s_and_b32 s46, s2, exec_lo
	s_delay_alu instid0(SALU_CYCLE_1)
	s_or_b32 s82, s45, s46
	s_cbranch_execnz .LBB140_1041
.LBB140_1066:                           ;   in Loop: Header=BB140_3 Depth=1
	v_readlane_b32 s45, v103, 12
	s_and_not1_b32 s44, s82, exec_lo
	s_and_b32 s45, s45, exec_lo
	s_delay_alu instid0(SALU_CYCLE_1) | instskip(NEXT) | instid1(SALU_CYCLE_1)
	s_or_b32 s82, s44, s45
	s_and_saveexec_b32 s44, s82
	s_cbranch_execnz .LBB140_1042
	s_branch .LBB140_1043
.LBB140_1067:                           ;   in Loop: Header=BB140_3 Depth=1
	ds_load_b64 v[44:45], v58 offset:544
	ds_load_b64 v[46:47], v53 offset:8
	s_wait_dscnt 0x0
	v_fmac_f64_e32 v[0:1], v[44:45], v[46:47]
	s_or_b32 exec_lo, exec_lo, s45
	s_and_saveexec_b32 s45, s13
	s_cbranch_execz .LBB140_72
.LBB140_1068:                           ;   in Loop: Header=BB140_3 Depth=1
	ds_load_b64 v[44:45], v57 offset:1056
	ds_load_b64 v[46:47], v53 offset:16
	s_wait_dscnt 0x0
	v_fmac_f64_e32 v[0:1], v[44:45], v[46:47]
	s_or_b32 exec_lo, exec_lo, s45
	s_and_saveexec_b32 s45, s1
	s_cbranch_execnz .LBB140_73
	s_branch .LBB140_74
.LBB140_1069:                           ;   in Loop: Header=BB140_3 Depth=1
	ds_load_b64 v[44:45], v67 offset:576
	ds_load_b64 v[46:47], v61 offset:8
	s_wait_dscnt 0x0
	v_fmac_f64_e32 v[0:1], v[44:45], v[46:47]
	s_or_b32 exec_lo, exec_lo, s45
	s_and_saveexec_b32 s45, s15
	s_cbranch_execz .LBB140_114
.LBB140_1070:                           ;   in Loop: Header=BB140_3 Depth=1
	ds_load_b64 v[44:45], v67 offset:1088
	ds_load_b64 v[46:47], v61 offset:16
	s_wait_dscnt 0x0
	v_fmac_f64_e32 v[0:1], v[44:45], v[46:47]
	s_or_b32 exec_lo, exec_lo, s45
	s_and_saveexec_b32 s45, s16
	s_cbranch_execz .LBB140_115
.LBB140_1071:                           ;   in Loop: Header=BB140_3 Depth=1
	ds_load_b64 v[44:45], v67 offset:1600
	ds_load_b64 v[46:47], v61 offset:24
	s_wait_dscnt 0x0
	v_fmac_f64_e32 v[0:1], v[44:45], v[46:47]
	s_or_b32 exec_lo, exec_lo, s45
	s_and_saveexec_b32 s45, s17
	s_cbranch_execz .LBB140_116
.LBB140_1072:                           ;   in Loop: Header=BB140_3 Depth=1
	ds_load_b64 v[44:45], v66 offset:2112
	ds_load_b64 v[46:47], v61 offset:32
	s_wait_dscnt 0x0
	v_fmac_f64_e32 v[0:1], v[44:45], v[46:47]
	s_or_b32 exec_lo, exec_lo, s45
	s_and_saveexec_b32 s45, s18
	s_cbranch_execz .LBB140_117
.LBB140_1073:                           ;   in Loop: Header=BB140_3 Depth=1
	ds_load_b64 v[44:45], v67 offset:2624
	ds_load_b64 v[46:47], v61 offset:40
	s_wait_dscnt 0x0
	v_fmac_f64_e32 v[0:1], v[44:45], v[46:47]
	s_or_b32 exec_lo, exec_lo, s45
	s_and_saveexec_b32 s45, s3
	s_cbranch_execz .LBB140_118
.LBB140_1074:                           ;   in Loop: Header=BB140_3 Depth=1
	ds_load_b64 v[44:45], v66 offset:3136
	ds_load_b64 v[46:47], v61 offset:48
	s_wait_dscnt 0x0
	v_fmac_f64_e32 v[0:1], v[44:45], v[46:47]
	s_or_b32 exec_lo, exec_lo, s45
	s_and_saveexec_b32 s45, s13
	s_cbranch_execnz .LBB140_119
	s_branch .LBB140_120
.LBB140_1075:                           ;   in Loop: Header=BB140_3 Depth=1
	ds_load_b64 v[44:45], v58 offset:4704
	ds_load_b64 v[46:47], v53 offset:4168
	s_wait_dscnt 0x0
	v_fmac_f64_e32 v[0:1], v[44:45], v[46:47]
	s_or_b32 exec_lo, exec_lo, s45
	s_and_saveexec_b32 s45, s13
	s_cbranch_execz .LBB140_176
.LBB140_1076:                           ;   in Loop: Header=BB140_3 Depth=1
	ds_load_b64 v[44:45], v57 offset:5216
	ds_load_b64 v[46:47], v53 offset:4176
	s_wait_dscnt 0x0
	v_fmac_f64_e32 v[0:1], v[44:45], v[46:47]
	s_or_b32 exec_lo, exec_lo, s45
	s_and_saveexec_b32 s45, s1
	s_cbranch_execnz .LBB140_177
	s_branch .LBB140_178
.LBB140_1077:                           ;   in Loop: Header=BB140_3 Depth=1
	ds_load_b64 v[44:45], v78 offset:5760
	ds_load_b64 v[46:47], v73 offset:88
	s_wait_dscnt 0x0
	v_fmac_f64_e32 v[0:1], v[44:45], v[46:47]
	s_or_b32 exec_lo, exec_lo, s44
	s_and_saveexec_b32 s44, s4
	s_cbranch_execz .LBB140_238
.LBB140_1078:                           ;   in Loop: Header=BB140_3 Depth=1
	ds_load_b64 v[44:45], v77 offset:6272
	ds_load_b64 v[46:47], v73 offset:96
	s_wait_dscnt 0x0
	v_fmac_f64_e32 v[0:1], v[44:45], v[46:47]
	s_or_b32 exec_lo, exec_lo, s44
	s_and_saveexec_b32 s44, s15
	s_cbranch_execz .LBB140_239
.LBB140_1079:                           ;   in Loop: Header=BB140_3 Depth=1
	ds_load_b64 v[44:45], v78 offset:6784
	ds_load_b64 v[46:47], v73 offset:104
	s_wait_dscnt 0x0
	v_fmac_f64_e32 v[0:1], v[44:45], v[46:47]
	s_or_b32 exec_lo, exec_lo, s44
	s_and_saveexec_b32 s44, s17
	s_cbranch_execz .LBB140_240
.LBB140_1080:                           ;   in Loop: Header=BB140_3 Depth=1
	ds_load_b64 v[44:45], v77 offset:7296
	ds_load_b64 v[46:47], v73 offset:112
	s_wait_dscnt 0x0
	v_fmac_f64_e32 v[0:1], v[44:45], v[46:47]
	s_or_b32 exec_lo, exec_lo, s44
	s_and_saveexec_b32 s44, s3
	s_cbranch_execnz .LBB140_241
	s_branch .LBB140_242
.LBB140_1081:                           ;   in Loop: Header=BB140_3 Depth=1
	ds_load_b64 v[44:45], v58 offset:8864
	ds_load_b64 v[46:47], v53 offset:8328
	s_wait_dscnt 0x0
	v_fmac_f64_e32 v[0:1], v[44:45], v[46:47]
	s_or_b32 exec_lo, exec_lo, s45
	s_and_saveexec_b32 s45, s13
	s_cbranch_execz .LBB140_330
.LBB140_1082:                           ;   in Loop: Header=BB140_3 Depth=1
	ds_load_b64 v[44:45], v57 offset:9376
	ds_load_b64 v[46:47], v53 offset:8336
	s_wait_dscnt 0x0
	v_fmac_f64_e32 v[0:1], v[44:45], v[46:47]
	s_or_b32 exec_lo, exec_lo, s45
	s_and_saveexec_b32 s45, s1
	s_cbranch_execnz .LBB140_331
	s_branch .LBB140_332
.LBB140_1083:                           ;   in Loop: Header=BB140_3 Depth=1
	ds_load_b64 v[44:45], v67 offset:8896
	ds_load_b64 v[46:47], v61 offset:8328
	s_wait_dscnt 0x0
	v_fmac_f64_e32 v[0:1], v[44:45], v[46:47]
	s_or_b32 exec_lo, exec_lo, s45
	s_and_saveexec_b32 s45, s15
	s_cbranch_execz .LBB140_372
.LBB140_1084:                           ;   in Loop: Header=BB140_3 Depth=1
	ds_load_b64 v[44:45], v67 offset:9408
	ds_load_b64 v[46:47], v61 offset:8336
	s_wait_dscnt 0x0
	v_fmac_f64_e32 v[0:1], v[44:45], v[46:47]
	s_or_b32 exec_lo, exec_lo, s45
	s_and_saveexec_b32 s45, s16
	s_cbranch_execz .LBB140_373
.LBB140_1085:                           ;   in Loop: Header=BB140_3 Depth=1
	ds_load_b64 v[44:45], v67 offset:9920
	ds_load_b64 v[46:47], v61 offset:8344
	s_wait_dscnt 0x0
	v_fmac_f64_e32 v[0:1], v[44:45], v[46:47]
	s_or_b32 exec_lo, exec_lo, s45
	s_and_saveexec_b32 s45, s17
	s_cbranch_execz .LBB140_374
.LBB140_1086:                           ;   in Loop: Header=BB140_3 Depth=1
	ds_load_b64 v[44:45], v66 offset:10432
	ds_load_b64 v[46:47], v61 offset:8352
	s_wait_dscnt 0x0
	v_fmac_f64_e32 v[0:1], v[44:45], v[46:47]
	s_or_b32 exec_lo, exec_lo, s45
	s_and_saveexec_b32 s45, s18
	s_cbranch_execz .LBB140_375
.LBB140_1087:                           ;   in Loop: Header=BB140_3 Depth=1
	ds_load_b64 v[44:45], v67 offset:10944
	ds_load_b64 v[46:47], v61 offset:8360
	s_wait_dscnt 0x0
	v_fmac_f64_e32 v[0:1], v[44:45], v[46:47]
	s_or_b32 exec_lo, exec_lo, s45
	s_and_saveexec_b32 s45, s3
	s_cbranch_execz .LBB140_376
.LBB140_1088:                           ;   in Loop: Header=BB140_3 Depth=1
	ds_load_b64 v[44:45], v66 offset:11456
	ds_load_b64 v[46:47], v61 offset:8368
	s_wait_dscnt 0x0
	v_fmac_f64_e32 v[0:1], v[44:45], v[46:47]
	s_or_b32 exec_lo, exec_lo, s45
	s_and_saveexec_b32 s45, s13
	s_cbranch_execnz .LBB140_377
	s_branch .LBB140_378
.LBB140_1089:                           ;   in Loop: Header=BB140_3 Depth=1
	ds_load_b64 v[44:45], v58 offset:13024
	ds_load_b64 v[46:47], v53 offset:12488
	s_wait_dscnt 0x0
	v_fmac_f64_e32 v[0:1], v[44:45], v[46:47]
	s_or_b32 exec_lo, exec_lo, s45
	s_and_saveexec_b32 s45, s13
	s_cbranch_execz .LBB140_434
.LBB140_1090:                           ;   in Loop: Header=BB140_3 Depth=1
	ds_load_b64 v[44:45], v57 offset:13536
	ds_load_b64 v[46:47], v53 offset:12496
	s_wait_dscnt 0x0
	v_fmac_f64_e32 v[0:1], v[44:45], v[46:47]
	s_or_b32 exec_lo, exec_lo, s45
	s_and_saveexec_b32 s45, s1
	s_cbranch_execnz .LBB140_435
	s_branch .LBB140_436
.LBB140_1091:                           ;   in Loop: Header=BB140_3 Depth=1
	ds_load_b64 v[44:45], v83 offset:15104
	ds_load_b64 v[46:47], v2 offset:232
	s_wait_dscnt 0x0
	v_fmac_f64_e32 v[0:1], v[44:45], v[46:47]
	s_or_b32 exec_lo, exec_lo, s44
	s_and_saveexec_b32 s44, s4
	s_cbranch_execz .LBB140_532
.LBB140_1092:                           ;   in Loop: Header=BB140_3 Depth=1
	ds_load_b64 v[44:45], v83 offset:15616
	ds_load_b64 v[46:47], v2 offset:240
	s_wait_dscnt 0x0
	v_fmac_f64_e32 v[0:1], v[44:45], v[46:47]
	s_or_b32 exec_lo, exec_lo, s44
	s_and_saveexec_b32 s44, s17
	s_cbranch_execnz .LBB140_533
	s_branch .LBB140_534
.LBB140_1093:                           ;   in Loop: Header=BB140_3 Depth=1
	ds_load_b64 v[44:45], v58 offset:17184
	ds_load_b64 v[46:47], v53 offset:16648
	s_wait_dscnt 0x0
	v_fmac_f64_e32 v[0:1], v[44:45], v[46:47]
	s_or_b32 exec_lo, exec_lo, s45
	s_and_saveexec_b32 s45, s13
	s_cbranch_execz .LBB140_578
.LBB140_1094:                           ;   in Loop: Header=BB140_3 Depth=1
	ds_load_b64 v[44:45], v57 offset:17696
	ds_load_b64 v[46:47], v53 offset:16656
	s_wait_dscnt 0x0
	v_fmac_f64_e32 v[0:1], v[44:45], v[46:47]
	s_or_b32 exec_lo, exec_lo, s45
	s_and_saveexec_b32 s45, s1
	s_cbranch_execnz .LBB140_579
	s_branch .LBB140_580
.LBB140_1095:                           ;   in Loop: Header=BB140_3 Depth=1
	ds_load_b64 v[44:45], v67 offset:17216
	ds_load_b64 v[46:47], v61 offset:16648
	s_wait_dscnt 0x0
	v_fmac_f64_e32 v[0:1], v[44:45], v[46:47]
	s_or_b32 exec_lo, exec_lo, s45
	s_and_saveexec_b32 s45, s15
	s_cbranch_execz .LBB140_620
.LBB140_1096:                           ;   in Loop: Header=BB140_3 Depth=1
	ds_load_b64 v[44:45], v67 offset:17728
	ds_load_b64 v[46:47], v61 offset:16656
	s_wait_dscnt 0x0
	v_fmac_f64_e32 v[0:1], v[44:45], v[46:47]
	s_or_b32 exec_lo, exec_lo, s45
	s_and_saveexec_b32 s45, s16
	s_cbranch_execz .LBB140_621
.LBB140_1097:                           ;   in Loop: Header=BB140_3 Depth=1
	ds_load_b64 v[44:45], v67 offset:18240
	ds_load_b64 v[46:47], v61 offset:16664
	s_wait_dscnt 0x0
	v_fmac_f64_e32 v[0:1], v[44:45], v[46:47]
	s_or_b32 exec_lo, exec_lo, s45
	s_and_saveexec_b32 s45, s17
	s_cbranch_execz .LBB140_622
.LBB140_1098:                           ;   in Loop: Header=BB140_3 Depth=1
	ds_load_b64 v[44:45], v66 offset:18752
	ds_load_b64 v[46:47], v61 offset:16672
	s_wait_dscnt 0x0
	v_fmac_f64_e32 v[0:1], v[44:45], v[46:47]
	s_or_b32 exec_lo, exec_lo, s45
	s_and_saveexec_b32 s45, s18
	s_cbranch_execz .LBB140_623
.LBB140_1099:                           ;   in Loop: Header=BB140_3 Depth=1
	ds_load_b64 v[44:45], v67 offset:19264
	ds_load_b64 v[46:47], v61 offset:16680
	s_wait_dscnt 0x0
	v_fmac_f64_e32 v[0:1], v[44:45], v[46:47]
	s_or_b32 exec_lo, exec_lo, s45
	s_and_saveexec_b32 s45, s3
	s_cbranch_execz .LBB140_624
.LBB140_1100:                           ;   in Loop: Header=BB140_3 Depth=1
	ds_load_b64 v[44:45], v66 offset:19776
	ds_load_b64 v[46:47], v61 offset:16688
	s_wait_dscnt 0x0
	v_fmac_f64_e32 v[0:1], v[44:45], v[46:47]
	s_or_b32 exec_lo, exec_lo, s45
	s_and_saveexec_b32 s45, s13
	s_cbranch_execnz .LBB140_625
	s_branch .LBB140_626
.LBB140_1101:                           ;   in Loop: Header=BB140_3 Depth=1
	ds_load_b64 v[44:45], v58 offset:21344
	ds_load_b64 v[46:47], v53 offset:20808
	s_wait_dscnt 0x0
	v_fmac_f64_e32 v[0:1], v[44:45], v[46:47]
	s_or_b32 exec_lo, exec_lo, s45
	s_and_saveexec_b32 s45, s13
	s_cbranch_execz .LBB140_682
.LBB140_1102:                           ;   in Loop: Header=BB140_3 Depth=1
	ds_load_b64 v[44:45], v57 offset:21856
	ds_load_b64 v[46:47], v53 offset:20816
	s_wait_dscnt 0x0
	v_fmac_f64_e32 v[0:1], v[44:45], v[46:47]
	s_or_b32 exec_lo, exec_lo, s45
	s_and_saveexec_b32 s45, s1
	s_cbranch_execnz .LBB140_683
	s_branch .LBB140_684
.LBB140_1103:                           ;   in Loop: Header=BB140_3 Depth=1
	ds_load_b64 v[44:45], v78 offset:22400
	ds_load_b64 v[46:47], v73 offset:16728
	s_wait_dscnt 0x0
	v_fmac_f64_e32 v[0:1], v[44:45], v[46:47]
	s_or_b32 exec_lo, exec_lo, s44
	s_and_saveexec_b32 s44, s4
	s_cbranch_execz .LBB140_744
.LBB140_1104:                           ;   in Loop: Header=BB140_3 Depth=1
	ds_load_b64 v[44:45], v77 offset:22912
	ds_load_b64 v[46:47], v73 offset:16736
	s_wait_dscnt 0x0
	v_fmac_f64_e32 v[0:1], v[44:45], v[46:47]
	s_or_b32 exec_lo, exec_lo, s44
	s_and_saveexec_b32 s44, s15
	s_cbranch_execz .LBB140_745
.LBB140_1105:                           ;   in Loop: Header=BB140_3 Depth=1
	ds_load_b64 v[44:45], v78 offset:23424
	ds_load_b64 v[46:47], v73 offset:16744
	s_wait_dscnt 0x0
	v_fmac_f64_e32 v[0:1], v[44:45], v[46:47]
	s_or_b32 exec_lo, exec_lo, s44
	s_and_saveexec_b32 s44, s17
	s_cbranch_execz .LBB140_746
.LBB140_1106:                           ;   in Loop: Header=BB140_3 Depth=1
	ds_load_b64 v[44:45], v77 offset:23936
	ds_load_b64 v[46:47], v73 offset:16752
	s_wait_dscnt 0x0
	v_fmac_f64_e32 v[0:1], v[44:45], v[46:47]
	s_or_b32 exec_lo, exec_lo, s44
	s_and_saveexec_b32 s44, s3
	s_cbranch_execnz .LBB140_747
	s_branch .LBB140_748
.LBB140_1107:                           ;   in Loop: Header=BB140_3 Depth=1
	ds_load_b64 v[44:45], v58 offset:25504
	ds_load_b64 v[46:47], v53 offset:24968
	s_wait_dscnt 0x0
	v_fmac_f64_e32 v[0:1], v[44:45], v[46:47]
	s_or_b32 exec_lo, exec_lo, s45
	s_and_saveexec_b32 s45, s13
	s_cbranch_execz .LBB140_836
.LBB140_1108:                           ;   in Loop: Header=BB140_3 Depth=1
	ds_load_b64 v[44:45], v57 offset:26016
	ds_load_b64 v[46:47], v53 offset:24976
	s_wait_dscnt 0x0
	v_fmac_f64_e32 v[0:1], v[44:45], v[46:47]
	s_or_b32 exec_lo, exec_lo, s45
	s_and_saveexec_b32 s45, s1
	s_cbranch_execnz .LBB140_837
	s_branch .LBB140_838
.LBB140_1109:                           ;   in Loop: Header=BB140_3 Depth=1
	ds_load_b64 v[44:45], v67 offset:25536
	ds_load_b64 v[46:47], v61 offset:24968
	s_wait_dscnt 0x0
	v_fmac_f64_e32 v[0:1], v[44:45], v[46:47]
	s_or_b32 exec_lo, exec_lo, s45
	s_and_saveexec_b32 s45, s15
	s_cbranch_execz .LBB140_878
.LBB140_1110:                           ;   in Loop: Header=BB140_3 Depth=1
	ds_load_b64 v[44:45], v67 offset:26048
	ds_load_b64 v[46:47], v61 offset:24976
	s_wait_dscnt 0x0
	v_fmac_f64_e32 v[0:1], v[44:45], v[46:47]
	s_or_b32 exec_lo, exec_lo, s45
	s_and_saveexec_b32 s45, s16
	s_cbranch_execz .LBB140_879
.LBB140_1111:                           ;   in Loop: Header=BB140_3 Depth=1
	ds_load_b64 v[44:45], v67 offset:26560
	ds_load_b64 v[46:47], v61 offset:24984
	s_wait_dscnt 0x0
	v_fmac_f64_e32 v[0:1], v[44:45], v[46:47]
	s_or_b32 exec_lo, exec_lo, s45
	s_and_saveexec_b32 s45, s17
	s_cbranch_execz .LBB140_880
.LBB140_1112:                           ;   in Loop: Header=BB140_3 Depth=1
	ds_load_b64 v[44:45], v66 offset:27072
	ds_load_b64 v[46:47], v61 offset:24992
	s_wait_dscnt 0x0
	v_fmac_f64_e32 v[0:1], v[44:45], v[46:47]
	s_or_b32 exec_lo, exec_lo, s45
	s_and_saveexec_b32 s45, s18
	s_cbranch_execz .LBB140_881
.LBB140_1113:                           ;   in Loop: Header=BB140_3 Depth=1
	ds_load_b64 v[44:45], v67 offset:27584
	ds_load_b64 v[46:47], v61 offset:25000
	s_wait_dscnt 0x0
	v_fmac_f64_e32 v[0:1], v[44:45], v[46:47]
	s_or_b32 exec_lo, exec_lo, s45
	s_and_saveexec_b32 s45, s3
	s_cbranch_execz .LBB140_882
.LBB140_1114:                           ;   in Loop: Header=BB140_3 Depth=1
	ds_load_b64 v[44:45], v66 offset:28096
	ds_load_b64 v[46:47], v61 offset:25008
	s_wait_dscnt 0x0
	v_fmac_f64_e32 v[0:1], v[44:45], v[46:47]
	s_or_b32 exec_lo, exec_lo, s45
	s_and_saveexec_b32 s45, s13
	s_cbranch_execnz .LBB140_883
	s_branch .LBB140_884
.LBB140_1115:                           ;   in Loop: Header=BB140_3 Depth=1
	ds_load_b64 v[44:45], v58 offset:29664
	ds_load_b64 v[46:47], v53 offset:29128
	s_wait_dscnt 0x0
	v_fmac_f64_e32 v[0:1], v[44:45], v[46:47]
	s_or_b32 exec_lo, exec_lo, s45
	s_and_saveexec_b32 s45, s13
	s_cbranch_execz .LBB140_940
.LBB140_1116:                           ;   in Loop: Header=BB140_3 Depth=1
	ds_load_b64 v[44:45], v57 offset:30176
	ds_load_b64 v[46:47], v53 offset:29136
	s_wait_dscnt 0x0
	v_fmac_f64_e32 v[0:1], v[44:45], v[46:47]
	s_or_b32 exec_lo, exec_lo, s45
	s_and_saveexec_b32 s45, s1
	s_cbranch_execnz .LBB140_941
	s_branch .LBB140_942
.LBB140_1117:
	s_endpgm
	.section	.rodata,"a",@progbits
	.p2align	6, 0x0
	.amdhsa_kernel _ZL19rocblas_trsv_deviceILi64ELi16ELb1ELb1ELb0ELb1EddPKPKdPKPdEviT7_lllT6_T8_lllPii
		.amdhsa_group_segment_fixed_size 41480
		.amdhsa_private_segment_fixed_size 0
		.amdhsa_kernarg_size 352
		.amdhsa_user_sgpr_count 2
		.amdhsa_user_sgpr_dispatch_ptr 0
		.amdhsa_user_sgpr_queue_ptr 0
		.amdhsa_user_sgpr_kernarg_segment_ptr 1
		.amdhsa_user_sgpr_dispatch_id 0
		.amdhsa_user_sgpr_kernarg_preload_length 0
		.amdhsa_user_sgpr_kernarg_preload_offset 0
		.amdhsa_user_sgpr_private_segment_size 0
		.amdhsa_wavefront_size32 1
		.amdhsa_uses_dynamic_stack 0
		.amdhsa_enable_private_segment 0
		.amdhsa_system_sgpr_workgroup_id_x 1
		.amdhsa_system_sgpr_workgroup_id_y 0
		.amdhsa_system_sgpr_workgroup_id_z 1
		.amdhsa_system_sgpr_workgroup_info 0
		.amdhsa_system_vgpr_workitem_id 1
		.amdhsa_next_free_vgpr 104
		.amdhsa_next_free_sgpr 105
		.amdhsa_named_barrier_count 0
		.amdhsa_reserve_vcc 1
		.amdhsa_float_round_mode_32 0
		.amdhsa_float_round_mode_16_64 0
		.amdhsa_float_denorm_mode_32 3
		.amdhsa_float_denorm_mode_16_64 3
		.amdhsa_fp16_overflow 0
		.amdhsa_memory_ordered 1
		.amdhsa_forward_progress 1
		.amdhsa_inst_pref_size 241
		.amdhsa_round_robin_scheduling 0
		.amdhsa_exception_fp_ieee_invalid_op 0
		.amdhsa_exception_fp_denorm_src 0
		.amdhsa_exception_fp_ieee_div_zero 0
		.amdhsa_exception_fp_ieee_overflow 0
		.amdhsa_exception_fp_ieee_underflow 0
		.amdhsa_exception_fp_ieee_inexact 0
		.amdhsa_exception_int_div_zero 0
	.end_amdhsa_kernel
	.section	.text._ZL19rocblas_trsv_deviceILi64ELi16ELb1ELb1ELb0ELb1EddPKPKdPKPdEviT7_lllT6_T8_lllPii,"axG",@progbits,_ZL19rocblas_trsv_deviceILi64ELi16ELb1ELb1ELb0ELb1EddPKPKdPKPdEviT7_lllT6_T8_lllPii,comdat
.Lfunc_end140:
	.size	_ZL19rocblas_trsv_deviceILi64ELi16ELb1ELb1ELb0ELb1EddPKPKdPKPdEviT7_lllT6_T8_lllPii, .Lfunc_end140-_ZL19rocblas_trsv_deviceILi64ELi16ELb1ELb1ELb0ELb1EddPKPKdPKPdEviT7_lllT6_T8_lllPii
                                        ; -- End function
	.set _ZL19rocblas_trsv_deviceILi64ELi16ELb1ELb1ELb0ELb1EddPKPKdPKPdEviT7_lllT6_T8_lllPii.num_vgpr, 104
	.set _ZL19rocblas_trsv_deviceILi64ELi16ELb1ELb1ELb0ELb1EddPKPKdPKPdEviT7_lllT6_T8_lllPii.num_agpr, 0
	.set _ZL19rocblas_trsv_deviceILi64ELi16ELb1ELb1ELb0ELb1EddPKPKdPKPdEviT7_lllT6_T8_lllPii.numbered_sgpr, 105
	.set _ZL19rocblas_trsv_deviceILi64ELi16ELb1ELb1ELb0ELb1EddPKPKdPKPdEviT7_lllT6_T8_lllPii.num_named_barrier, 0
	.set _ZL19rocblas_trsv_deviceILi64ELi16ELb1ELb1ELb0ELb1EddPKPKdPKPdEviT7_lllT6_T8_lllPii.private_seg_size, 0
	.set _ZL19rocblas_trsv_deviceILi64ELi16ELb1ELb1ELb0ELb1EddPKPKdPKPdEviT7_lllT6_T8_lllPii.uses_vcc, 1
	.set _ZL19rocblas_trsv_deviceILi64ELi16ELb1ELb1ELb0ELb1EddPKPKdPKPdEviT7_lllT6_T8_lllPii.uses_flat_scratch, 0
	.set _ZL19rocblas_trsv_deviceILi64ELi16ELb1ELb1ELb0ELb1EddPKPKdPKPdEviT7_lllT6_T8_lllPii.has_dyn_sized_stack, 0
	.set _ZL19rocblas_trsv_deviceILi64ELi16ELb1ELb1ELb0ELb1EddPKPKdPKPdEviT7_lllT6_T8_lllPii.has_recursion, 0
	.set _ZL19rocblas_trsv_deviceILi64ELi16ELb1ELb1ELb0ELb1EddPKPKdPKPdEviT7_lllT6_T8_lllPii.has_indirect_call, 0
	.section	.AMDGPU.csdata,"",@progbits
; Kernel info:
; codeLenInByte = 30764
; TotalNumSgprs: 107
; NumVgprs: 104
; ScratchSize: 0
; MemoryBound: 0
; FloatMode: 240
; IeeeMode: 1
; LDSByteSize: 41480 bytes/workgroup (compile time only)
; SGPRBlocks: 0
; VGPRBlocks: 6
; NumSGPRsForWavesPerEU: 107
; NumVGPRsForWavesPerEU: 104
; NamedBarCnt: 0
; Occupancy: 9
; WaveLimiterHint : 1
; COMPUTE_PGM_RSRC2:SCRATCH_EN: 0
; COMPUTE_PGM_RSRC2:USER_SGPR: 2
; COMPUTE_PGM_RSRC2:TRAP_HANDLER: 0
; COMPUTE_PGM_RSRC2:TGID_X_EN: 1
; COMPUTE_PGM_RSRC2:TGID_Y_EN: 0
; COMPUTE_PGM_RSRC2:TGID_Z_EN: 1
; COMPUTE_PGM_RSRC2:TIDIG_COMP_CNT: 1
	.section	.text._ZL19rocblas_trsv_deviceILi64ELi16ELb1ELb1ELb1ELb1EddPKPKdPKPdEviT7_lllT6_T8_lllPii,"axG",@progbits,_ZL19rocblas_trsv_deviceILi64ELi16ELb1ELb1ELb1ELb1EddPKPKdPKPdEviT7_lllT6_T8_lllPii,comdat
	.globl	_ZL19rocblas_trsv_deviceILi64ELi16ELb1ELb1ELb1ELb1EddPKPKdPKPdEviT7_lllT6_T8_lllPii ; -- Begin function _ZL19rocblas_trsv_deviceILi64ELi16ELb1ELb1ELb1ELb1EddPKPKdPKPdEviT7_lllT6_T8_lllPii
	.p2align	8
	.type	_ZL19rocblas_trsv_deviceILi64ELi16ELb1ELb1ELb1ELb1EddPKPKdPKPdEviT7_lllT6_T8_lllPii,@function
_ZL19rocblas_trsv_deviceILi64ELi16ELb1ELb1ELb1ELb1EddPKPKdPKPdEviT7_lllT6_T8_lllPii: ; @_ZL19rocblas_trsv_deviceILi64ELi16ELb1ELb1ELb1ELb1EddPKPKdPKPdEviT7_lllT6_T8_lllPii
; %bb.0:
	s_load_b32 s6, s[0:1], 0x58
	s_bfe_u32 s2, ttmp6, 0x40014
	s_lshr_b32 s3, ttmp7, 16
	s_add_co_i32 s2, s2, 1
	s_bfe_u32 s5, ttmp6, 0x40008
	s_mul_i32 s4, s3, s2
	s_getreg_b32 s2, hwreg(HW_REG_IB_STS2, 6, 4)
	s_add_co_i32 s5, s5, s4
	s_cmp_eq_u32 s2, 0
	s_mov_b32 s63, 0
	s_cselect_b32 s62, s3, s5
                                        ; implicit-def: $vgpr103 : SGPR spill to VGPR lane
	s_wait_kmcnt 0x0
	s_cmp_ge_u32 s62, s6
	v_writelane_b32 v103, s6, 0
	s_cbranch_scc1 .LBB141_1117
; %bb.1:
	s_clause 0x2
	s_load_b32 s3, s[0:1], 0x6c
	s_load_b32 s85, s[0:1], 0x60
	;; [unrolled: 1-line block ×3, first 2 shown]
	s_bfe_u32 s5, ttmp6, 0x4000c
	s_and_b32 s4, ttmp6, 15
	s_add_co_i32 s5, s5, 1
	s_clause 0x1
	s_load_b64 s[12:13], s[0:1], 0x18
	s_load_b256 s[64:71], s[0:1], 0x28
	s_mul_i32 s5, ttmp9, s5
	s_clause 0x1
	s_load_b64 s[78:79], s[0:1], 0x50
	s_load_b128 s[72:75], s[0:1], 0x8
	s_add_co_i32 s4, s4, s5
	s_cmp_eq_u32 s2, 0
	v_and_b32_e32 v6, 0x3ff, v0
	s_cselect_b32 s84, ttmp9, s4
	v_bfe_u32 v8, v0, 10, 10
	v_mov_b32_e32 v5, 0
                                        ; implicit-def: $vgpr102 : SGPR spill to VGPR lane
	v_mov_b64_e32 v[30:31], 1.0
	v_lshlrev_b32_e32 v9, 6, v6
	v_cmp_gt_u32_e64 s4, 2, v6
	s_delay_alu instid0(VALU_DEP_4)
	v_dual_mov_b32 v11, v5 :: v_dual_add_nc_u32 v4, 16, v8
	s_wait_kmcnt 0x0
	s_and_b32 s0, s3, 0xffff
	s_add_co_i32 s1, s76, -1
	s_ashr_i32 s77, s76, 31
	s_ashr_i32 s2, s1, 31
	s_lshr_b32 s3, s77, 26
	s_lshr_b32 s2, s2, 26
	s_add_co_i32 s3, s76, s3
	s_add_co_i32 s85, s85, -1
	s_add_co_i32 s1, s1, s2
	s_and_not1_b32 s3, s3, 63
	s_sub_co_i32 s42, s85, s84
	s_ashr_i32 s1, s1, 6
	s_sub_co_i32 s11, s76, s3
	s_cmp_eq_u32 s1, s42
	v_lshl_add_u32 v1, v8, 6, v6
	s_cselect_b32 s1, -1, 0
	s_cmp_lg_u32 s11, 0
	v_lshl_add_u32 v17, v4, 6, v6
	s_cselect_b32 s2, -1, 0
	v_cmp_gt_u32_e64 s44, 0x3e0, v1
	s_and_b32 s18, s2, s1
	s_add_nc_u64 s[2:3], s[12:13], 1
	s_xor_b32 s86, s18, -1
	s_cmp_lg_u32 s84, 0
	v_dual_add_nc_u32 v36, 32, v8 :: v_dual_add_nc_u32 v38, 48, v8
	s_cselect_b32 s1, -1, 0
	s_lshl_b32 s16, s42, 6
	s_cmp_lt_i32 s84, 5
	v_dual_add_nc_u32 v24, s16, v8 :: v_dual_add_nc_u32 v2, s16, v6
	v_add_nc_u32_e32 v7, v8, v9
	v_add_nc_u32_e32 v16, v4, v9
	s_cselect_b32 vcc_lo, -1, 0
	s_delay_alu instid0(VALU_DEP_3) | instskip(NEXT) | instid1(VALU_DEP_3)
	v_dual_add_nc_u32 v12, 64, v24 :: v_dual_ashrrev_i32 v3, 31, v2
	v_cndmask_b32_e32 v34, v1, v7, vcc_lo
	s_or_b32 vcc_lo, vcc_lo, s18
	s_ashr_i32 s17, s16, 31
	s_delay_alu instid0(VALU_DEP_2)
	v_ashrrev_i32_e32 v13, 31, v12
	v_dual_cndmask_b32 v35, v17, v16, vcc_lo :: v_dual_lshrrev_b32 v17, 1, v1
	v_dual_lshrrev_b32 v7, 10, v0 :: v_dual_bitop2_b32 v16, 1, v0 bitop3:0x40
	s_mul_u64 s[14:15], s[2:3], s[16:17]
	v_writelane_b32 v103, s1, 1
	v_cmp_gt_u32_e64 s1, 4, v1
	s_delay_alu instid0(VALU_DEP_3)
	v_dual_lshlrev_b32 v18, 3, v16 :: v_dual_lshlrev_b32 v52, 3, v6
	v_cmp_eq_u32_e64 s3, 1, v16
	v_lshrrev_b32_e32 v16, 2, v1
	v_bitop3_b32 v40, v0, v7, 0x3ff bitop3:0xa8
	v_lshl_add_u32 v7, v17, 3, 0x8000
	v_lshl_or_b32 v50, v17, 9, v18
	v_mul_u32_u24_e32 v51, 0x208, v17
	v_cmp_eq_u32_e64 s2, 0, v8
	v_and_b32_e32 v17, 3, v0
	v_lshlrev_b32_e32 v18, 3, v16
	v_mul_u32_u24_e32 v53, 0x208, v16
	s_xor_b32 s5, s3, -1
	s_and_b32 s90, s3, s1
	s_and_b32 s89, s5, s1
	;; [unrolled: 1-line block ×3, first 2 shown]
	v_dual_lshlrev_b32 v54, 3, v17 :: v_dual_sub_nc_u32 v19, v53, v18
	v_cmp_gt_u32_e64 s3, 16, v1
	v_cmp_eq_u32_e64 s4, 0, v17
	v_cmp_ne_u32_e64 s5, 0, v17
	s_delay_alu instid0(VALU_DEP_4)
	v_lshl_or_b32 v57, v16, 9, v54
	v_cmp_eq_u32_e64 s7, 1, v17
	v_cmp_lt_u32_e64 s8, 1, v17
	v_cmp_eq_u32_e64 s9, 2, v17
	s_and_b32 s92, s4, s3
	s_and_b32 s93, s5, s3
	v_cmp_eq_u32_e64 s4, 3, v17
	v_dual_lshrrev_b32 v16, 3, v1 :: v_dual_add_nc_u32 v58, v19, v54
	v_and_b32_e32 v17, 7, v0
	v_cmp_gt_u32_e64 s5, 4, v6
	s_and_b32 s97, s4, s3
	v_cmp_gt_u32_e64 s4, 64, v1
	s_and_b32 s94, s7, s3
	v_cmp_ne_u32_e64 s7, 0, v17
	s_and_b32 s98, s2, s5
	v_cmp_eq_u32_e64 s5, 0, v17
	s_and_b32 s95, s8, s3
	s_and_b32 s96, s9, s3
	v_cmp_eq_u32_e64 s8, 1, v17
	v_cmp_lt_u32_e64 s9, 1, v17
	s_and_b32 s99, s5, s4
	v_cmp_eq_u32_e64 s5, 2, v17
	s_and_b32 s100, s7, s4
	v_cmp_lt_u32_e64 s7, 2, v17
	s_and_b32 s101, s8, s4
	s_and_b32 s102, s9, s4
	;; [unrolled: 1-line block ×3, first 2 shown]
	v_cmp_eq_u32_e64 s5, 4, v17
	v_cmp_eq_u32_e64 s8, 3, v17
	v_cmp_lt_u32_e64 s9, 3, v17
	s_and_b32 s104, s7, s4
	v_cmp_eq_u32_e64 s7, 5, v17
	s_and_b32 s33, s5, s4
	v_cmp_lt_u32_e64 s5, 4, v17
	v_mul_u32_u24_e32 v61, 0x208, v16
	v_lshlrev_b32_e32 v63, 3, v17
	s_and_b32 vcc_hi, s8, s4
	s_and_b32 s31, s9, s4
	v_cmp_lt_u32_e64 s8, 5, v17
	v_cmp_eq_u32_e64 s9, 6, v17
	s_and_b32 s34, s5, s4
	s_and_b32 s35, s7, s4
	v_cmp_eq_u32_e64 s5, 7, v17
	v_cmp_gt_u32_e64 s7, 8, v6
	v_and_b32_e32 v17, 15, v0
	s_and_b32 s36, s8, s4
	s_and_b32 s37, s9, s4
	s_and_b32 s38, s5, s4
	s_and_b32 s39, s2, s7
	v_cmp_gt_u32_e64 s5, 0x100, v1
	v_cmp_eq_u32_e64 s7, 0, v17
	v_cmp_ne_u32_e64 s8, 0, v17
	v_cmp_eq_u32_e64 s9, 1, v17
	v_cmp_lt_u32_e64 s10, 1, v17
	v_writelane_b32 v102, s44, 0
	s_and_b32 s7, s7, s5
	s_and_b32 s8, s8, s5
	v_writelane_b32 v103, s7, 2
	v_cmp_eq_u32_e64 s7, 2, v17
	v_cmp_gt_u32_e64 s44, 0x3c0, v1
	v_dual_lshlrev_b32 v74, 3, v17 :: v_dual_bitop2_b32 v79, 31, v0 bitop3:0x40
	v_writelane_b32 v103, s8, 3
	s_and_b32 s8, s9, s5
	s_and_b32 s7, s7, s5
	v_cmp_lt_u32_e64 s9, 3, v17
	v_dual_add_nc_u32 v0, v36, v9 :: v_dual_add_nc_u32 v9, v38, v9
	v_writelane_b32 v103, s8, 4
	s_and_b32 s8, s10, s5
	v_cmp_eq_u32_e64 s10, 4, v17
	v_writelane_b32 v102, s44, 1
	v_cmp_gt_u32_e64 s44, 0x3a0, v1
	v_writelane_b32 v103, s8, 5
	v_cmp_lt_u32_e64 s8, 2, v17
	v_cmp_gt_i32_e64 s6, s11, v6
	s_xor_b32 s88, vcc_lo, -1
	v_writelane_b32 v102, s44, 2
	v_writelane_b32 v103, s7, 6
	v_cmp_eq_u32_e64 s7, 3, v17
	s_and_b32 s8, s8, s5
	v_cmp_gt_u32_e64 s44, 0x380, v1
	v_mad_u32_u24 v10, v8, s0, v6
	v_writelane_b32 v103, s8, 7
	s_and_b32 s7, s7, s5
	v_cmp_lt_u32_e64 s8, 4, v17
	v_writelane_b32 v102, s44, 3
	v_cmp_gt_u32_e64 s44, 0x360, v1
	v_writelane_b32 v103, s7, 8
	s_and_b32 s7, s9, s5
	s_and_b32 s49, s8, s5
	v_cmp_lt_u32_e64 s8, 5, v17
	v_cmp_eq_u32_e64 s9, 6, v17
	v_writelane_b32 v103, s7, 9
	s_and_b32 s7, s10, s5
	v_cmp_lt_u32_e64 s10, 6, v17
	s_and_b32 s51, s8, s5
	v_cmp_lt_u32_e64 s8, 7, v17
	v_writelane_b32 v103, s7, 10
	v_cmp_eq_u32_e64 s7, 5, v17
	s_and_b32 s52, s9, s5
	s_and_b32 s53, s10, s5
	;; [unrolled: 1-line block ×3, first 2 shown]
	v_cmp_lt_u32_e64 s8, 9, v17
	s_and_b32 s50, s7, s5
	v_cmp_eq_u32_e64 s7, 7, v17
	v_cmp_lt_u32_e64 s9, 8, v17
	v_cmp_eq_u32_e64 s10, 9, v17
	s_and_b32 s27, s8, s5
	v_cmp_lt_u32_e64 s8, 10, v17
	s_and_b32 s54, s7, s5
	v_cmp_eq_u32_e64 s7, 8, v17
	s_and_b32 s23, s9, s5
	s_and_b32 s25, s10, s5
	v_cmp_eq_u32_e64 s9, 11, v17
	v_cmp_lt_u32_e64 s10, 11, v17
	s_and_b32 s21, s7, s5
	v_cmp_eq_u32_e64 s7, 10, v17
	s_and_b32 s57, s8, s5
	v_cmp_lt_u32_e64 s8, 12, v17
	s_and_b32 s58, s9, s5
	s_and_b32 s59, s10, s5
	;; [unrolled: 1-line block ×3, first 2 shown]
	v_cmp_eq_u32_e64 s7, 12, v17
	v_cmp_lt_u32_e64 s9, 13, v17
	v_cmp_eq_u32_e64 s10, 14, v17
	s_and_b32 s20, s8, s5
	v_cmp_eq_u32_e64 s8, 15, v17
	s_and_b32 s60, s7, s5
	v_cmp_eq_u32_e64 s7, 13, v17
	v_lshl_add_u32 v17, v38, 6, v6
	v_add_nc_u32_e32 v56, 0x8000, v18
	v_and_b32_e32 v18, -8, v1
	s_and_b32 s24, s9, s5
	s_and_b32 s22, s7, s5
	v_cmp_gt_u32_e64 s7, 16, v6
	s_and_b32 s28, s8, s5
	v_sub_nc_u32_e32 v19, v61, v18
	v_lshl_or_b32 v66, v16, 9, v63
	v_lshrrev_b32_e32 v16, 4, v1
	v_cmp_le_i32_e64 s8, s11, v6
	v_cmp_gt_u32_e64 s9, 32, v6
	v_add_nc_u32_e32 v67, v19, v63
	v_add_nc_u32_e32 v65, 0x8000, v18
	v_dual_lshlrev_b32 v18, 3, v16 :: v_dual_lshrrev_b32 v25, 5, v1
	v_mul_u32_u24_e32 v73, 0x208, v16
	s_and_b32 s87, s2, s7
	s_and_b32 s61, s8, s18
	;; [unrolled: 1-line block ×3, first 2 shown]
	v_add_nc_u32_e32 v76, 0x8000, v18
	v_writelane_b32 v103, s7, 11
	s_xor_b32 s7, s61, -1
	v_sub_nc_u32_e32 v19, v73, v18
	v_lshl_or_b32 v77, v16, 9, v74
	s_and_b32 s26, s10, s5
	v_dual_mov_b32 v37, v5 :: v_dual_lshlrev_b32 v80, 3, v25
	v_lshl_add_u32 v16, v36, 6, v6
	v_dual_mov_b32 v39, v5 :: v_dual_add_nc_u32 v18, 0x50, v24
	s_and_b32 s40, s2, s7
	v_cndmask_b32_e32 v41, v17, v9, vcc_lo
	v_mov_b32_e32 v9, v5
	v_cmp_le_i32_e64 s7, s11, v8
	v_cmp_le_i32_e64 s9, s11, v4
	;; [unrolled: 1-line block ×4, first 2 shown]
	s_cmp_gt_i32 s84, 0
	v_writelane_b32 v102, s44, 4
	v_cmp_gt_u32_e64 s44, 0x340, v1
	v_cmp_gt_i32_e64 s0, s76, v2
	v_mul_u64_e32 v[14:15], s[12:13], v[2:3]
	v_dual_add_nc_u32 v78, v19, v74 :: v_dual_cndmask_b32 v0, v16, v0, vcc_lo
	v_cmp_gt_i32_e32 vcc_lo, s76, v18
	v_mul_u64_e32 v[16:17], s[12:13], v[8:9]
	v_mul_u64_e32 v[18:19], s[12:13], v[4:5]
	;; [unrolled: 1-line block ×4, first 2 shown]
	s_cselect_b32 s41, -1, 0
	s_or_b32 s12, s7, s8
	s_or_b32 s9, s9, s8
	;; [unrolled: 1-line block ×4, first 2 shown]
	v_cmp_gt_i32_e64 s8, s76, v12
	s_and_b32 s6, s2, s6
	v_writelane_b32 v102, s44, 5
	v_writelane_b32 v103, s6, 12
	v_cmp_gt_u32_e64 s44, 0x320, v1
	v_add_nc_u32_e32 v28, 0x60, v24
	s_and_b32 s6, s8, s0
	v_mad_u32_u24 v55, 0x1f8, v6, v52
	v_writelane_b32 v103, s6, 13
	v_writelane_b32 v102, s44, 6
	v_cmp_gt_u32_e64 s44, 0x300, v1
	v_cmp_gt_i32_e64 s7, s76, v28
	v_add_nc_u32_e32 v28, 0x70, v24
	s_and_b32 s6, vcc_lo, s0
	v_mad_i32_i24 v59, 0xfffffe08, v6, v55
	v_writelane_b32 v103, s6, 14
	v_writelane_b32 v102, s44, 7
	v_cmp_gt_u32_e64 s44, 0x2e0, v1
	s_and_b32 s6, s7, s0
	v_cmp_gt_i32_e32 vcc_lo, s76, v28
	v_writelane_b32 v103, s6, 15
	v_cmp_le_u32_e64 s7, v6, v4
	v_writelane_b32 v102, s44, 8
	v_cmp_gt_u32_e64 s44, 0x2c0, v1
	s_and_b32 s6, vcc_lo, s0
	v_mad_u32_u24 v60, 0x1f8, v6, v59
	v_writelane_b32 v103, s6, 16
	v_cmp_le_u32_e64 s6, v6, v8
	v_writelane_b32 v102, s44, 9
	v_cmp_gt_u32_e64 s44, 0x2a0, v1
	v_cmp_gt_u32_e64 s30, 0xf0, v1
	v_mad_i32_i24 v62, 0xfffffe08, v6, v60
	s_or_b32 s8, s12, s6
	v_add_nc_u64_e32 v[26:27], s[16:17], v[10:11]
	v_writelane_b32 v102, s44, 10
	v_cmp_gt_u32_e64 s44, 0x280, v1
	v_writelane_b32 v103, s8, 17
	s_or_b32 s8, s9, s7
	v_mad_u32_u24 v64, 0x1f8, v6, v62
	v_lshlrev_b32_e32 v9, 9, v25
	v_writelane_b32 v102, s44, 11
	v_cmp_gt_u32_e64 s44, 0x260, v1
	v_writelane_b32 v103, s8, 18
	v_cmp_le_u32_e64 s8, v6, v36
	v_mad_i32_i24 v68, 0xfffffe08, v6, v64
	v_mul_u64_e32 v[24:25], s[70:71], v[2:3]
	v_writelane_b32 v102, s44, 12
	v_cmp_gt_u32_e64 s44, 0x240, v1
	s_or_b32 s9, s10, s8
	v_mad_u32_u24 v69, 0x1f8, v6, v68
	v_writelane_b32 v103, s9, 19
	v_cmp_le_u32_e64 s9, v6, v38
	v_writelane_b32 v102, s44, 13
	v_cmp_gt_u32_e64 s44, 0x220, v1
	v_mad_i32_i24 v70, 0xfffffe08, v6, v69
	v_mul_u64_e32 v[26:27], s[70:71], v[26:27]
	s_or_b32 s10, s11, s9
	v_mul_i32_i24_e32 v37, 0xfffffe08, v6
	v_writelane_b32 v103, s10, 20
	v_writelane_b32 v102, s44, 14
	v_cmp_gt_u32_e64 s44, 0x200, v1
	v_mad_u32_u24 v71, 0x1f8, v6, v70
	v_dual_lshlrev_b32 v88, 3, v0 :: v_dual_bitop2_b32 v44, v4, v6 bitop3:0x54
	v_writelane_b32 v103, s30, 21
	v_cmp_gt_u32_e64 s30, 0xe0, v1
	v_writelane_b32 v102, s44, 15
	v_cmp_gt_u32_e64 s44, 0x1e0, v1
	v_mad_i32_i24 v72, 0xfffffe08, v6, v71
	v_mad_u32_u24 v0, 0x1f8, v6, v37
	v_writelane_b32 v103, s30, 22
	v_cmp_gt_u32_e64 s30, 0xd0, v1
	v_writelane_b32 v102, s44, 16
	v_cmp_gt_u32_e64 s44, 0x1c0, v1
	v_mad_u32_u24 v75, 0x1f8, v6, v72
	v_mul_lo_u32 v0, v0, 7
	v_writelane_b32 v103, s30, 23
	v_cmp_gt_u32_e64 s30, 0xc0, v1
	v_writelane_b32 v102, s44, 17
	v_cmp_gt_u32_e64 s44, 0x1a0, v1
	v_mad_i32_i24 v11, 0xfffffe08, v6, v75
	v_lshlrev_b32_e32 v2, 3, v8
	v_writelane_b32 v103, s30, 24
	v_cmp_gt_u32_e64 s30, 0xb0, v1
	v_writelane_b32 v102, s44, 18
	v_cmp_gt_u32_e64 s44, 0x180, v1
	v_dual_lshlrev_b32 v3, 3, v79 :: v_dual_bitop2_b32 v42, v36, v6 bitop3:0x54
	s_delay_alu instid0(VALU_DEP_4) | instskip(SKIP_1) | instid1(VALU_DEP_4)
	v_writelane_b32 v103, s30, 25
	v_cmp_gt_u32_e64 s30, 0xa0, v1
	v_writelane_b32 v102, s44, 19
	v_cmp_gt_u32_e64 s44, 0x160, v1
	v_mad_u32_u24 v81, 0x1f8, v6, v11
	v_or_b32_e32 v82, 0xa000, v2
	v_writelane_b32 v103, s30, 26
	v_cmp_gt_u32_e64 s30, 0x90, v1
	v_writelane_b32 v102, s44, 20
	v_cmp_gt_u32_e64 s44, 0x140, v1
	v_dual_lshlrev_b32 v87, 3, v35 :: v_dual_bitop2_b32 v43, v38, v6 bitop3:0x54
	s_delay_alu instid0(VALU_DEP_4) | instskip(SKIP_1) | instid1(VALU_DEP_4)
	v_writelane_b32 v103, s30, 27
	v_cmp_gt_u32_e64 s30, 0x80, v1
	v_writelane_b32 v102, s44, 21
	v_cmp_gt_u32_e64 s44, 0x120, v1
	v_mov_b64_e32 v[28:29], 0
	v_cmp_lt_u32_e32 vcc_lo, 0x3ff, v1
	v_writelane_b32 v103, s30, 28
	v_cmp_gt_u32_e64 s30, 0x70, v1
	v_writelane_b32 v102, s44, 22
	v_cmp_gt_u32_e64 s44, 64, v40
	v_dual_lshlrev_b32 v86, 3, v34 :: v_dual_bitop2_b32 v83, v9, v3 bitop3:0x54
	s_delay_alu instid0(VALU_DEP_4) | instskip(SKIP_1) | instid1(VALU_DEP_4)
	v_writelane_b32 v103, s30, 29
	v_cmp_gt_u32_e64 s30, 0x60, v1
	v_writelane_b32 v102, s44, 23
	v_cmp_gt_u32_e64 s44, 64, v44
	v_add_nc_u32_e32 v84, 0x8000, v80
	v_lshl_add_u32 v85, v10, 3, 0xa000
	v_writelane_b32 v103, s30, 30
	v_cmp_gt_u32_e64 s30, 0x50, v1
	v_writelane_b32 v102, s44, 24
	v_cmp_gt_u32_e64 s44, 64, v42
	v_dual_lshlrev_b32 v89, 3, v41 :: v_dual_add_nc_u32 v91, v81, v2
	v_lshl_add_u32 v90, v1, 3, 0x8000
	v_add_nc_u32_e32 v92, 0x8000, v52
	v_lshl_add_u32 v93, v8, 9, v72
	v_dual_add_nc_u32 v94, v82, v52 :: v_dual_lshlrev_b32 v4, 3, v6
	v_or_b32_e32 v95, 0x4100, v3
	v_add3_u32 v96, v52, v0, 0x7800
	s_lshl_b64 s[80:81], s[14:15], 3
	v_subrev_nc_u32_e32 v97, 63, v6
	v_mov_b32_e32 v3, 0x3ff00000
	v_cmp_eq_u32_e64 s10, 0, v40
	v_cmp_gt_u32_e64 s11, 2, v1
	v_cmp_gt_u32_e64 s12, 12, v1
	;; [unrolled: 1-line block ×8, first 2 shown]
	v_writelane_b32 v103, s30, 31
	v_cmp_gt_u32_e64 s30, 0x400, v1
	v_cmp_eq_u32_e64 s55, 0, v10
	v_cmp_gt_u32_e64 s56, 64, v10
	v_writelane_b32 v102, s44, 25
	v_cmp_gt_u32_e64 s44, 64, v43
	s_add_co_i32 s42, s42, 1
	s_xor_b32 s43, vcc_lo, -1
	s_lshl_b64 s[74:75], s[74:75], 3
	s_lshl_b64 s[68:69], s[68:69], 3
                                        ; implicit-def: $vgpr32_vgpr33
                                        ; implicit-def: $vgpr34_vgpr35
                                        ; implicit-def: $vgpr36_vgpr37
                                        ; implicit-def: $vgpr38_vgpr39
	v_writelane_b32 v102, s44, 26
	s_branch .LBB141_3
.LBB141_2:                              ;   in Loop: Header=BB141_3 Depth=1
	s_wait_xcnt 0x0
	s_or_b32 exec_lo, exec_lo, s44
	v_readlane_b32 s44, v103, 0
	s_add_co_i32 s62, s62, 0x10000
	global_wb scope:SCOPE_DEV
	s_wait_storecnt 0x0
	global_inv scope:SCOPE_DEV
	s_cmp_lt_u32 s62, s44
	s_cbranch_scc0 .LBB141_1117
.LBB141_3:                              ; =>This Loop Header: Depth=1
                                        ;     Child Loop BB141_537 Depth 2
                                        ;     Child Loop BB141_986 Depth 2
                                        ;       Child Loop BB141_988 Depth 3
                                        ;     Child Loop BB141_1023 Depth 2
	v_mov_b32_e32 v2, s62
	v_readlane_b32 s44, v103, 1
	s_clause 0x1
	global_load_b64 v[0:1], v2, s[72:73] scale_offset
	global_load_b64 v[42:43], v2, s[66:67] scale_offset
	s_and_not1_b32 vcc_lo, exec_lo, s44
	s_wait_loadcnt 0x1
	v_add_nc_u64_e32 v[0:1], s[74:75], v[0:1]
	s_delay_alu instid0(VALU_DEP_1)
	v_lshl_add_u64 v[40:41], v[14:15], 3, v[0:1]
	s_cbranch_vccnz .LBB141_13
; %bb.4:                                ;   in Loop: Header=BB141_3 Depth=1
	v_mov_b64_e32 v[34:35], 0
	v_mov_b64_e32 v[32:33], 0
	s_delay_alu instid0(VALU_DEP_3)
	v_lshl_add_u64 v[44:45], v[12:13], 3, v[40:41]
	s_wait_loadcnt 0x0
	s_barrier_signal -1
	s_barrier_wait -1
	s_wait_xcnt 0x0
	s_mov_b32 s44, exec_lo
	v_readlane_b32 s45, v103, 13
	s_and_b32 s45, s44, s45
	s_delay_alu instid0(SALU_CYCLE_1)
	s_mov_b32 exec_lo, s45
	s_cbranch_execz .LBB141_6
; %bb.5:                                ;   in Loop: Header=BB141_3 Depth=1
	flat_load_b64 v[32:33], v[44:45]
.LBB141_6:                              ;   in Loop: Header=BB141_3 Depth=1
	s_wait_xcnt 0x0
	s_or_b32 exec_lo, exec_lo, s44
	s_wait_loadcnt_dscnt 0x0
	s_barrier_signal -1
	s_barrier_wait -1
	s_mov_b32 s44, exec_lo
	v_readlane_b32 s45, v103, 14
	s_and_b32 s45, s44, s45
	s_delay_alu instid0(SALU_CYCLE_1)
	s_mov_b32 exec_lo, s45
	s_cbranch_execz .LBB141_8
; %bb.7:                                ;   in Loop: Header=BB141_3 Depth=1
	flat_load_b64 v[34:35], v[44:45] offset:128
.LBB141_8:                              ;   in Loop: Header=BB141_3 Depth=1
	s_wait_xcnt 0x0
	s_or_b32 exec_lo, exec_lo, s44
	v_mov_b64_e32 v[38:39], 0
	v_mov_b64_e32 v[36:37], 0
	s_wait_loadcnt_dscnt 0x0
	s_barrier_signal -1
	s_barrier_wait -1
	s_mov_b32 s44, exec_lo
	v_readlane_b32 s45, v103, 15
	s_and_b32 s45, s44, s45
	s_delay_alu instid0(SALU_CYCLE_1)
	s_mov_b32 exec_lo, s45
	s_cbranch_execz .LBB141_10
; %bb.9:                                ;   in Loop: Header=BB141_3 Depth=1
	flat_load_b64 v[36:37], v[44:45] offset:256
.LBB141_10:                             ;   in Loop: Header=BB141_3 Depth=1
	s_wait_xcnt 0x0
	s_or_b32 exec_lo, exec_lo, s44
	s_wait_loadcnt_dscnt 0x0
	s_barrier_signal -1
	s_barrier_wait -1
	s_mov_b32 s44, exec_lo
	v_readlane_b32 s45, v103, 16
	s_and_b32 s45, s44, s45
	s_delay_alu instid0(SALU_CYCLE_1)
	s_mov_b32 exec_lo, s45
	s_cbranch_execz .LBB141_12
; %bb.11:                               ;   in Loop: Header=BB141_3 Depth=1
	flat_load_b64 v[38:39], v[44:45] offset:384
.LBB141_12:                             ;   in Loop: Header=BB141_3 Depth=1
	s_wait_xcnt 0x0
	s_or_b32 exec_lo, exec_lo, s44
.LBB141_13:                             ;   in Loop: Header=BB141_3 Depth=1
	v_add_nc_u64_e32 v[0:1], s[80:81], v[0:1]
	s_and_not1_b32 vcc_lo, exec_lo, s86
	s_mov_b32 s44, -1
	s_delay_alu instid0(VALU_DEP_1)
	v_add_nc_u64_e32 v[0:1], v[0:1], v[4:5]
	s_cbranch_vccnz .LBB141_24
; %bb.14:                               ;   in Loop: Header=BB141_3 Depth=1
	s_wait_xcnt 0x0
	s_and_saveexec_b32 s44, s6
	s_delay_alu instid0(SALU_CYCLE_1)
	s_xor_b32 s44, exec_lo, s44
	s_cbranch_execnz .LBB141_1045
; %bb.15:                               ;   in Loop: Header=BB141_3 Depth=1
	s_and_not1_saveexec_b32 s44, s44
	s_cbranch_execnz .LBB141_1048
.LBB141_16:                             ;   in Loop: Header=BB141_3 Depth=1
	s_or_b32 exec_lo, exec_lo, s44
	s_and_saveexec_b32 s44, s7
	s_delay_alu instid0(SALU_CYCLE_1)
	s_xor_b32 s44, exec_lo, s44
	s_cbranch_execnz .LBB141_1049
.LBB141_17:                             ;   in Loop: Header=BB141_3 Depth=1
	s_and_not1_saveexec_b32 s44, s44
	s_cbranch_execnz .LBB141_1052
.LBB141_18:                             ;   in Loop: Header=BB141_3 Depth=1
	s_or_b32 exec_lo, exec_lo, s44
	s_and_saveexec_b32 s44, s8
	s_delay_alu instid0(SALU_CYCLE_1)
	s_xor_b32 s44, exec_lo, s44
	s_cbranch_execnz .LBB141_1053
.LBB141_19:                             ;   in Loop: Header=BB141_3 Depth=1
	s_and_not1_saveexec_b32 s44, s44
	s_cbranch_execnz .LBB141_1056
.LBB141_20:                             ;   in Loop: Header=BB141_3 Depth=1
	s_or_b32 exec_lo, exec_lo, s44
	s_and_saveexec_b32 s44, s9
	s_delay_alu instid0(SALU_CYCLE_1)
	s_xor_b32 s44, exec_lo, s44
	s_cbranch_execnz .LBB141_1057
.LBB141_21:                             ;   in Loop: Header=BB141_3 Depth=1
	s_and_not1_saveexec_b32 s44, s44
	s_cbranch_execz .LBB141_23
.LBB141_22:                             ;   in Loop: Header=BB141_3 Depth=1
	v_lshl_add_u64 v[44:45], v[22:23], 3, v[0:1]
	flat_load_b64 v[44:45], v[44:45]
	s_wait_loadcnt_dscnt 0x0
	v_xor_b32_e32 v45, 0x80000000, v45
	ds_store_b64 v89, v[44:45]
.LBB141_23:                             ;   in Loop: Header=BB141_3 Depth=1
	s_or_b32 exec_lo, exec_lo, s44
	s_mov_b32 s44, 0
.LBB141_24:                             ;   in Loop: Header=BB141_3 Depth=1
	s_delay_alu instid0(SALU_CYCLE_1)
	s_and_b32 vcc_lo, exec_lo, s44
	s_cbranch_vccz .LBB141_50
; %bb.25:                               ;   in Loop: Header=BB141_3 Depth=1
	s_wait_xcnt 0x0
	s_mov_b32 s44, exec_lo
	v_readlane_b32 s45, v103, 17
	s_and_b32 s45, s44, s45
	s_delay_alu instid0(SALU_CYCLE_1)
	s_xor_b32 s44, s45, s44
	s_mov_b32 exec_lo, s45
	s_cbranch_execz .LBB141_29
; %bb.26:                               ;   in Loop: Header=BB141_3 Depth=1
	s_mov_b32 s45, exec_lo
	v_readlane_b32 s46, v102, 23
	s_and_b32 s46, s45, s46
	s_delay_alu instid0(SALU_CYCLE_1)
	s_mov_b32 exec_lo, s46
; %bb.27:                               ;   in Loop: Header=BB141_3 Depth=1
	ds_store_b64 v91, v[28:29]
; %bb.28:                               ;   in Loop: Header=BB141_3 Depth=1
	s_or_b32 exec_lo, exec_lo, s45
.LBB141_29:                             ;   in Loop: Header=BB141_3 Depth=1
	s_and_not1_saveexec_b32 s44, s44
	s_cbranch_execz .LBB141_31
; %bb.30:                               ;   in Loop: Header=BB141_3 Depth=1
	v_lshl_add_u64 v[44:45], v[16:17], 3, v[0:1]
	flat_load_b64 v[44:45], v[44:45]
	s_wait_loadcnt_dscnt 0x0
	v_xor_b32_e32 v45, 0x80000000, v45
	ds_store_b64 v91, v[44:45]
.LBB141_31:                             ;   in Loop: Header=BB141_3 Depth=1
	s_or_b32 exec_lo, exec_lo, s44
	s_delay_alu instid0(SALU_CYCLE_1) | instskip(SKIP_2) | instid1(SALU_CYCLE_1)
	s_mov_b32 s44, exec_lo
	v_readlane_b32 s45, v103, 18
	s_and_b32 s45, s44, s45
	s_xor_b32 s44, s45, s44
	s_mov_b32 exec_lo, s45
	s_cbranch_execz .LBB141_35
; %bb.32:                               ;   in Loop: Header=BB141_3 Depth=1
	s_mov_b32 s45, exec_lo
	v_readlane_b32 s46, v102, 24
	s_and_b32 s46, s45, s46
	s_delay_alu instid0(SALU_CYCLE_1)
	s_mov_b32 exec_lo, s46
; %bb.33:                               ;   in Loop: Header=BB141_3 Depth=1
	ds_store_b64 v87, v[28:29]
; %bb.34:                               ;   in Loop: Header=BB141_3 Depth=1
	s_or_b32 exec_lo, exec_lo, s45
.LBB141_35:                             ;   in Loop: Header=BB141_3 Depth=1
	s_and_not1_saveexec_b32 s44, s44
	s_cbranch_execz .LBB141_37
; %bb.36:                               ;   in Loop: Header=BB141_3 Depth=1
	v_lshl_add_u64 v[44:45], v[18:19], 3, v[0:1]
	flat_load_b64 v[44:45], v[44:45]
	s_wait_loadcnt_dscnt 0x0
	v_xor_b32_e32 v45, 0x80000000, v45
	ds_store_b64 v87, v[44:45]
.LBB141_37:                             ;   in Loop: Header=BB141_3 Depth=1
	s_or_b32 exec_lo, exec_lo, s44
	s_delay_alu instid0(SALU_CYCLE_1) | instskip(SKIP_2) | instid1(SALU_CYCLE_1)
	s_mov_b32 s44, exec_lo
	v_readlane_b32 s45, v103, 19
	s_and_b32 s45, s44, s45
	;; [unrolled: 28-line block ×3, first 2 shown]
	s_xor_b32 s44, s45, s44
	s_mov_b32 exec_lo, s45
	s_cbranch_execz .LBB141_47
; %bb.44:                               ;   in Loop: Header=BB141_3 Depth=1
	s_mov_b32 s45, exec_lo
	v_readlane_b32 s46, v102, 26
	s_and_b32 s46, s45, s46
	s_delay_alu instid0(SALU_CYCLE_1)
	s_mov_b32 exec_lo, s46
; %bb.45:                               ;   in Loop: Header=BB141_3 Depth=1
	ds_store_b64 v89, v[28:29]
; %bb.46:                               ;   in Loop: Header=BB141_3 Depth=1
	s_or_b32 exec_lo, exec_lo, s45
                                        ; implicit-def: $vgpr0_vgpr1
.LBB141_47:                             ;   in Loop: Header=BB141_3 Depth=1
	s_and_not1_saveexec_b32 s44, s44
	s_cbranch_execz .LBB141_49
; %bb.48:                               ;   in Loop: Header=BB141_3 Depth=1
	v_lshl_add_u64 v[0:1], v[22:23], 3, v[0:1]
	flat_load_b64 v[0:1], v[0:1]
	s_wait_loadcnt_dscnt 0x0
	v_xor_b32_e32 v1, 0x80000000, v1
	ds_store_b64 v89, v[0:1]
.LBB141_49:                             ;   in Loop: Header=BB141_3 Depth=1
	s_or_b32 exec_lo, exec_lo, s44
.LBB141_50:                             ;   in Loop: Header=BB141_3 Depth=1
	s_delay_alu instid0(SALU_CYCLE_1)
	s_and_not1_b32 vcc_lo, exec_lo, s88
	s_wait_loadcnt_dscnt 0x0
	s_barrier_signal -1
	s_barrier_wait -1
	s_cbranch_vccnz .LBB141_980
; %bb.51:                               ;   in Loop: Header=BB141_3 Depth=1
	s_wait_xcnt 0x0
	s_and_saveexec_b32 s44, s10
	s_cbranch_execz .LBB141_53
; %bb.52:                               ;   in Loop: Header=BB141_3 Depth=1
	ds_load_b64 v[0:1], v5 offset:8
	v_mov_b32_e32 v2, v5
	ds_store_b64 v5, v[30:31]
	s_wait_dscnt 0x1
	ds_store_b128 v5, v[0:3] offset:512
.LBB141_53:                             ;   in Loop: Header=BB141_3 Depth=1
	s_or_b32 exec_lo, exec_lo, s44
	v_mov_b64_e32 v[0:1], 0
	s_wait_dscnt 0x0
	s_barrier_signal -1
	s_barrier_wait -1
	s_and_saveexec_b32 s44, s1
	s_cbranch_execz .LBB141_57
; %bb.54:                               ;   in Loop: Header=BB141_3 Depth=1
	ds_load_b64 v[0:1], v50 offset:16
	ds_load_b64 v[44:45], v51
	s_wait_dscnt 0x0
	v_fma_f64 v[0:1], v[0:1], v[44:45], 0
	s_and_saveexec_b32 s45, s11
	s_cbranch_execz .LBB141_56
; %bb.55:                               ;   in Loop: Header=BB141_3 Depth=1
	ds_load_b64 v[44:45], v52 offset:528
	ds_load_b64 v[46:47], v5 offset:8
	s_wait_dscnt 0x0
	v_fmac_f64_e32 v[0:1], v[44:45], v[46:47]
.LBB141_56:                             ;   in Loop: Header=BB141_3 Depth=1
	s_or_b32 exec_lo, exec_lo, s45
	s_delay_alu instid0(VALU_DEP_1)
	v_xor_b32_e32 v1, 0x80000000, v1
.LBB141_57:                             ;   in Loop: Header=BB141_3 Depth=1
	s_or_b32 exec_lo, exec_lo, s44
	s_and_saveexec_b32 s44, s89
; %bb.58:                               ;   in Loop: Header=BB141_3 Depth=1
	ds_store_b64 v7, v[0:1]
; %bb.59:                               ;   in Loop: Header=BB141_3 Depth=1
	s_or_b32 exec_lo, exec_lo, s44
	s_wait_dscnt 0x0
	s_barrier_signal -1
	s_barrier_wait -1
	s_and_saveexec_b32 s44, s90
	s_cbranch_execz .LBB141_61
; %bb.60:                               ;   in Loop: Header=BB141_3 Depth=1
	ds_load_b64 v[44:45], v5 offset:1048
	ds_load_b64 v[46:47], v7
	s_wait_dscnt 0x0
	v_fmac_f64_e32 v[0:1], v[44:45], v[46:47]
.LBB141_61:                             ;   in Loop: Header=BB141_3 Depth=1
	s_or_b32 exec_lo, exec_lo, s44
	s_barrier_signal -1
	s_barrier_wait -1
	s_and_saveexec_b32 s44, s90
; %bb.62:                               ;   in Loop: Header=BB141_3 Depth=1
	ds_store_b64 v7, v[0:1]
; %bb.63:                               ;   in Loop: Header=BB141_3 Depth=1
	s_or_b32 exec_lo, exec_lo, s44
	s_wait_dscnt 0x0
	s_barrier_signal -1
	s_barrier_wait -1
	s_barrier_signal -1
	s_barrier_wait -1
	s_and_saveexec_b32 s44, s1
; %bb.64:                               ;   in Loop: Header=BB141_3 Depth=1
	v_xor_b32_e32 v1, 0x80000000, v1
	ds_store_b64 v50, v[0:1] offset:16
; %bb.65:                               ;   in Loop: Header=BB141_3 Depth=1
	s_or_b32 exec_lo, exec_lo, s44
	s_wait_dscnt 0x0
	s_barrier_signal -1
	s_barrier_wait -1
	s_barrier_signal -1
	s_barrier_wait -1
	s_and_saveexec_b32 s44, s91
	s_cbranch_execz .LBB141_67
; %bb.66:                               ;   in Loop: Header=BB141_3 Depth=1
	ds_load_b64 v[0:1], v55 offset:16
	s_wait_dscnt 0x0
	ds_store_b64 v52, v[0:1] offset:1024
	ds_load_b64 v[0:1], v55 offset:24
	s_wait_dscnt 0x0
	ds_store_b64 v52, v[0:1] offset:1536
.LBB141_67:                             ;   in Loop: Header=BB141_3 Depth=1
	s_or_b32 exec_lo, exec_lo, s44
	s_wait_dscnt 0x0
	s_barrier_signal -1
	s_barrier_wait -1
	s_and_saveexec_b32 s44, s10
	s_cbranch_execz .LBB141_69
; %bb.68:                               ;   in Loop: Header=BB141_3 Depth=1
	ds_load_b64 v[0:1], v5 offset:1048
	v_mov_b32_e32 v2, v5
	ds_store_b64 v5, v[30:31] offset:1040
	s_wait_dscnt 0x1
	ds_store_b128 v5, v[0:3] offset:1552
.LBB141_69:                             ;   in Loop: Header=BB141_3 Depth=1
	s_or_b32 exec_lo, exec_lo, s44
	v_mov_b64_e32 v[0:1], 0
	s_wait_dscnt 0x0
	s_barrier_signal -1
	s_barrier_wait -1
	s_and_saveexec_b32 s44, s3
	s_cbranch_execz .LBB141_75
; %bb.70:                               ;   in Loop: Header=BB141_3 Depth=1
	ds_load_b64 v[0:1], v57 offset:32
	ds_load_b64 v[44:45], v53
	s_wait_dscnt 0x0
	v_fma_f64 v[0:1], v[0:1], v[44:45], 0
	s_and_saveexec_b32 s45, s12
	s_cbranch_execnz .LBB141_1067
; %bb.71:                               ;   in Loop: Header=BB141_3 Depth=1
	s_or_b32 exec_lo, exec_lo, s45
	s_and_saveexec_b32 s45, s13
	s_cbranch_execnz .LBB141_1068
.LBB141_72:                             ;   in Loop: Header=BB141_3 Depth=1
	s_or_b32 exec_lo, exec_lo, s45
	s_and_saveexec_b32 s45, s1
	s_cbranch_execz .LBB141_74
.LBB141_73:                             ;   in Loop: Header=BB141_3 Depth=1
	ds_load_b64 v[44:45], v59 offset:1568
	ds_load_b64 v[46:47], v5 offset:24
	s_wait_dscnt 0x0
	v_fmac_f64_e32 v[0:1], v[44:45], v[46:47]
.LBB141_74:                             ;   in Loop: Header=BB141_3 Depth=1
	s_or_b32 exec_lo, exec_lo, s45
	s_delay_alu instid0(VALU_DEP_1)
	v_xor_b32_e32 v1, 0x80000000, v1
.LBB141_75:                             ;   in Loop: Header=BB141_3 Depth=1
	s_or_b32 exec_lo, exec_lo, s44
	s_and_saveexec_b32 s44, s92
; %bb.76:                               ;   in Loop: Header=BB141_3 Depth=1
	ds_store_b64 v56, v[0:1]
; %bb.77:                               ;   in Loop: Header=BB141_3 Depth=1
	s_or_b32 exec_lo, exec_lo, s44
	s_wait_dscnt 0x0
	s_barrier_signal -1
	s_barrier_wait -1
	s_and_saveexec_b32 s44, s93
	s_cbranch_execz .LBB141_79
; %bb.78:                               ;   in Loop: Header=BB141_3 Depth=1
	ds_load_b64 v[44:45], v54 offset:2080
	ds_load_b64 v[46:47], v56
	s_wait_dscnt 0x0
	v_fmac_f64_e32 v[0:1], v[44:45], v[46:47]
.LBB141_79:                             ;   in Loop: Header=BB141_3 Depth=1
	s_or_b32 exec_lo, exec_lo, s44
	s_barrier_signal -1
	s_barrier_wait -1
	s_and_saveexec_b32 s44, s94
; %bb.80:                               ;   in Loop: Header=BB141_3 Depth=1
	ds_store_b64 v56, v[0:1]
; %bb.81:                               ;   in Loop: Header=BB141_3 Depth=1
	s_or_b32 exec_lo, exec_lo, s44
	s_wait_dscnt 0x0
	s_barrier_signal -1
	s_barrier_wait -1
	s_and_saveexec_b32 s44, s95
	s_cbranch_execz .LBB141_83
; %bb.82:                               ;   in Loop: Header=BB141_3 Depth=1
	ds_load_b64 v[44:45], v54 offset:2592
	ds_load_b64 v[46:47], v56
	s_wait_dscnt 0x0
	v_fmac_f64_e32 v[0:1], v[44:45], v[46:47]
.LBB141_83:                             ;   in Loop: Header=BB141_3 Depth=1
	s_or_b32 exec_lo, exec_lo, s44
	s_barrier_signal -1
	s_barrier_wait -1
	;; [unrolled: 19-line block ×3, first 2 shown]
	s_and_saveexec_b32 s44, s97
; %bb.88:                               ;   in Loop: Header=BB141_3 Depth=1
	ds_store_b64 v56, v[0:1]
; %bb.89:                               ;   in Loop: Header=BB141_3 Depth=1
	s_or_b32 exec_lo, exec_lo, s44
	s_wait_dscnt 0x0
	s_barrier_signal -1
	s_barrier_wait -1
	s_barrier_signal -1
	s_barrier_wait -1
	s_and_saveexec_b32 s44, s3
; %bb.90:                               ;   in Loop: Header=BB141_3 Depth=1
	v_xor_b32_e32 v1, 0x80000000, v1
	ds_store_b64 v57, v[0:1] offset:32
; %bb.91:                               ;   in Loop: Header=BB141_3 Depth=1
	s_or_b32 exec_lo, exec_lo, s44
	s_wait_dscnt 0x0
	s_barrier_signal -1
	s_barrier_wait -1
	s_barrier_signal -1
	s_barrier_wait -1
	s_and_saveexec_b32 s44, s98
	s_cbranch_execz .LBB141_93
; %bb.92:                               ;   in Loop: Header=BB141_3 Depth=1
	ds_load_b64 v[0:1], v60 offset:32
	s_wait_dscnt 0x0
	ds_store_b64 v62, v[0:1] offset:2048
	ds_load_b64 v[0:1], v60 offset:40
	s_wait_dscnt 0x0
	ds_store_b64 v62, v[0:1] offset:2560
	;; [unrolled: 3-line block ×4, first 2 shown]
.LBB141_93:                             ;   in Loop: Header=BB141_3 Depth=1
	s_or_b32 exec_lo, exec_lo, s44
	s_wait_dscnt 0x0
	s_barrier_signal -1
	s_barrier_wait -1
	s_and_saveexec_b32 s44, s10
	s_cbranch_execz .LBB141_95
; %bb.94:                               ;   in Loop: Header=BB141_3 Depth=1
	ds_load_b64 v[0:1], v5 offset:2088
	v_mov_b32_e32 v2, v5
	ds_store_b64 v5, v[30:31] offset:2080
	s_wait_dscnt 0x1
	ds_store_b128 v5, v[0:3] offset:2592
.LBB141_95:                             ;   in Loop: Header=BB141_3 Depth=1
	s_or_b32 exec_lo, exec_lo, s44
	v_mov_b64_e32 v[0:1], 0
	s_wait_dscnt 0x0
	s_barrier_signal -1
	s_barrier_wait -1
	s_and_saveexec_b32 s44, s1
	s_cbranch_execz .LBB141_99
; %bb.96:                               ;   in Loop: Header=BB141_3 Depth=1
	ds_load_b64 v[0:1], v50 offset:2096
	ds_load_b64 v[44:45], v51 offset:2080
	s_wait_dscnt 0x0
	v_fma_f64 v[0:1], v[0:1], v[44:45], 0
	s_and_saveexec_b32 s45, s11
	s_cbranch_execz .LBB141_98
; %bb.97:                               ;   in Loop: Header=BB141_3 Depth=1
	ds_load_b64 v[44:45], v62 offset:2608
	ds_load_b64 v[46:47], v5 offset:2088
	s_wait_dscnt 0x0
	v_fmac_f64_e32 v[0:1], v[44:45], v[46:47]
.LBB141_98:                             ;   in Loop: Header=BB141_3 Depth=1
	s_or_b32 exec_lo, exec_lo, s45
	s_delay_alu instid0(VALU_DEP_1)
	v_xor_b32_e32 v1, 0x80000000, v1
.LBB141_99:                             ;   in Loop: Header=BB141_3 Depth=1
	s_or_b32 exec_lo, exec_lo, s44
	s_and_saveexec_b32 s44, s89
; %bb.100:                              ;   in Loop: Header=BB141_3 Depth=1
	ds_store_b64 v7, v[0:1]
; %bb.101:                              ;   in Loop: Header=BB141_3 Depth=1
	s_or_b32 exec_lo, exec_lo, s44
	s_wait_dscnt 0x0
	s_barrier_signal -1
	s_barrier_wait -1
	s_and_saveexec_b32 s44, s90
	s_cbranch_execz .LBB141_103
; %bb.102:                              ;   in Loop: Header=BB141_3 Depth=1
	ds_load_b64 v[44:45], v5 offset:3128
	ds_load_b64 v[46:47], v7
	s_wait_dscnt 0x0
	v_fmac_f64_e32 v[0:1], v[44:45], v[46:47]
.LBB141_103:                            ;   in Loop: Header=BB141_3 Depth=1
	s_or_b32 exec_lo, exec_lo, s44
	s_barrier_signal -1
	s_barrier_wait -1
	s_and_saveexec_b32 s44, s90
; %bb.104:                              ;   in Loop: Header=BB141_3 Depth=1
	ds_store_b64 v7, v[0:1]
; %bb.105:                              ;   in Loop: Header=BB141_3 Depth=1
	s_or_b32 exec_lo, exec_lo, s44
	s_wait_dscnt 0x0
	s_barrier_signal -1
	s_barrier_wait -1
	s_barrier_signal -1
	s_barrier_wait -1
	s_and_saveexec_b32 s44, s1
; %bb.106:                              ;   in Loop: Header=BB141_3 Depth=1
	v_xor_b32_e32 v1, 0x80000000, v1
	ds_store_b64 v50, v[0:1] offset:2096
; %bb.107:                              ;   in Loop: Header=BB141_3 Depth=1
	s_or_b32 exec_lo, exec_lo, s44
	s_wait_dscnt 0x0
	s_barrier_signal -1
	s_barrier_wait -1
	s_barrier_signal -1
	s_barrier_wait -1
	s_and_saveexec_b32 s44, s91
	s_cbranch_execz .LBB141_109
; %bb.108:                              ;   in Loop: Header=BB141_3 Depth=1
	ds_load_b64 v[0:1], v64 offset:2096
	s_wait_dscnt 0x0
	ds_store_b64 v62, v[0:1] offset:3104
	ds_load_b64 v[0:1], v64 offset:2104
	s_wait_dscnt 0x0
	ds_store_b64 v62, v[0:1] offset:3616
.LBB141_109:                            ;   in Loop: Header=BB141_3 Depth=1
	s_or_b32 exec_lo, exec_lo, s44
	s_wait_dscnt 0x0
	s_barrier_signal -1
	s_barrier_wait -1
	s_and_saveexec_b32 s44, s10
	s_cbranch_execz .LBB141_111
; %bb.110:                              ;   in Loop: Header=BB141_3 Depth=1
	ds_load_b64 v[0:1], v5 offset:3128
	v_mov_b32_e32 v2, v5
	ds_store_b64 v5, v[30:31] offset:3120
	s_wait_dscnt 0x1
	ds_store_b128 v5, v[0:3] offset:3632
.LBB141_111:                            ;   in Loop: Header=BB141_3 Depth=1
	s_or_b32 exec_lo, exec_lo, s44
	v_mov_b64_e32 v[0:1], 0
	s_wait_dscnt 0x0
	s_barrier_signal -1
	s_barrier_wait -1
	s_and_saveexec_b32 s44, s4
	s_cbranch_execz .LBB141_121
; %bb.112:                              ;   in Loop: Header=BB141_3 Depth=1
	ds_load_b64 v[0:1], v66 offset:64
	ds_load_b64 v[44:45], v61
	s_wait_dscnt 0x0
	v_fma_f64 v[0:1], v[0:1], v[44:45], 0
	s_and_saveexec_b32 s45, s14
	s_cbranch_execnz .LBB141_1069
; %bb.113:                              ;   in Loop: Header=BB141_3 Depth=1
	s_or_b32 exec_lo, exec_lo, s45
	s_and_saveexec_b32 s45, s15
	s_cbranch_execnz .LBB141_1070
.LBB141_114:                            ;   in Loop: Header=BB141_3 Depth=1
	s_or_b32 exec_lo, exec_lo, s45
	s_and_saveexec_b32 s45, s16
	s_cbranch_execnz .LBB141_1071
.LBB141_115:                            ;   in Loop: Header=BB141_3 Depth=1
	s_or_b32 exec_lo, exec_lo, s45
	s_and_saveexec_b32 s45, s17
	s_cbranch_execnz .LBB141_1072
.LBB141_116:                            ;   in Loop: Header=BB141_3 Depth=1
	s_or_b32 exec_lo, exec_lo, s45
	s_and_saveexec_b32 s45, s18
	s_cbranch_execnz .LBB141_1073
.LBB141_117:                            ;   in Loop: Header=BB141_3 Depth=1
	s_or_b32 exec_lo, exec_lo, s45
	s_and_saveexec_b32 s45, s3
	s_cbranch_execnz .LBB141_1074
.LBB141_118:                            ;   in Loop: Header=BB141_3 Depth=1
	s_or_b32 exec_lo, exec_lo, s45
	s_and_saveexec_b32 s45, s13
	s_cbranch_execz .LBB141_120
.LBB141_119:                            ;   in Loop: Header=BB141_3 Depth=1
	ds_load_b64 v[44:45], v68 offset:3648
	ds_load_b64 v[46:47], v5 offset:56
	s_wait_dscnt 0x0
	v_fmac_f64_e32 v[0:1], v[44:45], v[46:47]
.LBB141_120:                            ;   in Loop: Header=BB141_3 Depth=1
	s_or_b32 exec_lo, exec_lo, s45
	s_delay_alu instid0(VALU_DEP_1)
	v_xor_b32_e32 v1, 0x80000000, v1
.LBB141_121:                            ;   in Loop: Header=BB141_3 Depth=1
	s_or_b32 exec_lo, exec_lo, s44
	s_and_saveexec_b32 s44, s99
; %bb.122:                              ;   in Loop: Header=BB141_3 Depth=1
	ds_store_b64 v65, v[0:1]
; %bb.123:                              ;   in Loop: Header=BB141_3 Depth=1
	s_or_b32 exec_lo, exec_lo, s44
	s_wait_dscnt 0x0
	s_barrier_signal -1
	s_barrier_wait -1
	s_and_saveexec_b32 s44, s100
	s_cbranch_execz .LBB141_125
; %bb.124:                              ;   in Loop: Header=BB141_3 Depth=1
	ds_load_b64 v[44:45], v63 offset:4160
	ds_load_b64 v[46:47], v65
	s_wait_dscnt 0x0
	v_fmac_f64_e32 v[0:1], v[44:45], v[46:47]
.LBB141_125:                            ;   in Loop: Header=BB141_3 Depth=1
	s_or_b32 exec_lo, exec_lo, s44
	s_barrier_signal -1
	s_barrier_wait -1
	s_and_saveexec_b32 s44, s101
; %bb.126:                              ;   in Loop: Header=BB141_3 Depth=1
	ds_store_b64 v65, v[0:1]
; %bb.127:                              ;   in Loop: Header=BB141_3 Depth=1
	s_or_b32 exec_lo, exec_lo, s44
	s_wait_dscnt 0x0
	s_barrier_signal -1
	s_barrier_wait -1
	s_and_saveexec_b32 s44, s102
	s_cbranch_execz .LBB141_129
; %bb.128:                              ;   in Loop: Header=BB141_3 Depth=1
	ds_load_b64 v[44:45], v63 offset:4672
	ds_load_b64 v[46:47], v65
	s_wait_dscnt 0x0
	v_fmac_f64_e32 v[0:1], v[44:45], v[46:47]
.LBB141_129:                            ;   in Loop: Header=BB141_3 Depth=1
	s_or_b32 exec_lo, exec_lo, s44
	s_barrier_signal -1
	s_barrier_wait -1
	;; [unrolled: 19-line block ×3, first 2 shown]
	s_and_saveexec_b32 s44, vcc_hi
; %bb.134:                              ;   in Loop: Header=BB141_3 Depth=1
	ds_store_b64 v65, v[0:1]
; %bb.135:                              ;   in Loop: Header=BB141_3 Depth=1
	s_or_b32 exec_lo, exec_lo, s44
	s_wait_dscnt 0x0
	s_barrier_signal -1
	s_barrier_wait -1
	s_and_saveexec_b32 s44, s31
	s_cbranch_execz .LBB141_137
; %bb.136:                              ;   in Loop: Header=BB141_3 Depth=1
	ds_load_b64 v[44:45], v63 offset:5696
	ds_load_b64 v[46:47], v65
	s_wait_dscnt 0x0
	v_fmac_f64_e32 v[0:1], v[44:45], v[46:47]
.LBB141_137:                            ;   in Loop: Header=BB141_3 Depth=1
	s_or_b32 exec_lo, exec_lo, s44
	s_barrier_signal -1
	s_barrier_wait -1
	s_and_saveexec_b32 s44, s33
; %bb.138:                              ;   in Loop: Header=BB141_3 Depth=1
	ds_store_b64 v65, v[0:1]
; %bb.139:                              ;   in Loop: Header=BB141_3 Depth=1
	s_or_b32 exec_lo, exec_lo, s44
	s_wait_dscnt 0x0
	s_barrier_signal -1
	s_barrier_wait -1
	s_and_saveexec_b32 s44, s34
	s_cbranch_execz .LBB141_141
; %bb.140:                              ;   in Loop: Header=BB141_3 Depth=1
	ds_load_b64 v[44:45], v63 offset:6208
	ds_load_b64 v[46:47], v65
	s_wait_dscnt 0x0
	v_fmac_f64_e32 v[0:1], v[44:45], v[46:47]
.LBB141_141:                            ;   in Loop: Header=BB141_3 Depth=1
	s_or_b32 exec_lo, exec_lo, s44
	s_barrier_signal -1
	s_barrier_wait -1
	s_and_saveexec_b32 s44, s35
; %bb.142:                              ;   in Loop: Header=BB141_3 Depth=1
	ds_store_b64 v65, v[0:1]
; %bb.143:                              ;   in Loop: Header=BB141_3 Depth=1
	s_or_b32 exec_lo, exec_lo, s44
	s_wait_dscnt 0x0
	s_barrier_signal -1
	s_barrier_wait -1
	s_and_saveexec_b32 s44, s36
	s_cbranch_execz .LBB141_145
; %bb.144:                              ;   in Loop: Header=BB141_3 Depth=1
	ds_load_b64 v[44:45], v63 offset:6720
	ds_load_b64 v[46:47], v65
	s_wait_dscnt 0x0
	v_fmac_f64_e32 v[0:1], v[44:45], v[46:47]
.LBB141_145:                            ;   in Loop: Header=BB141_3 Depth=1
	s_or_b32 exec_lo, exec_lo, s44
	s_barrier_signal -1
	s_barrier_wait -1
	s_and_saveexec_b32 s44, s37
; %bb.146:                              ;   in Loop: Header=BB141_3 Depth=1
	ds_store_b64 v65, v[0:1]
; %bb.147:                              ;   in Loop: Header=BB141_3 Depth=1
	s_or_b32 exec_lo, exec_lo, s44
	s_wait_dscnt 0x0
	s_barrier_signal -1
	s_barrier_wait -1
	s_and_saveexec_b32 s44, s38
	s_cbranch_execz .LBB141_149
; %bb.148:                              ;   in Loop: Header=BB141_3 Depth=1
	ds_load_b64 v[44:45], v5 offset:7288
	ds_load_b64 v[46:47], v65
	s_wait_dscnt 0x0
	v_fmac_f64_e32 v[0:1], v[44:45], v[46:47]
.LBB141_149:                            ;   in Loop: Header=BB141_3 Depth=1
	s_or_b32 exec_lo, exec_lo, s44
	s_barrier_signal -1
	s_barrier_wait -1
	s_and_saveexec_b32 s44, s38
; %bb.150:                              ;   in Loop: Header=BB141_3 Depth=1
	ds_store_b64 v65, v[0:1]
; %bb.151:                              ;   in Loop: Header=BB141_3 Depth=1
	s_or_b32 exec_lo, exec_lo, s44
	s_wait_dscnt 0x0
	s_barrier_signal -1
	s_barrier_wait -1
	s_barrier_signal -1
	s_barrier_wait -1
	s_and_saveexec_b32 s44, s4
; %bb.152:                              ;   in Loop: Header=BB141_3 Depth=1
	v_xor_b32_e32 v1, 0x80000000, v1
	ds_store_b64 v66, v[0:1] offset:64
; %bb.153:                              ;   in Loop: Header=BB141_3 Depth=1
	s_or_b32 exec_lo, exec_lo, s44
	s_wait_dscnt 0x0
	s_barrier_signal -1
	s_barrier_wait -1
	s_barrier_signal -1
	s_barrier_wait -1
	s_and_saveexec_b32 s44, s39
	s_cbranch_execz .LBB141_155
; %bb.154:                              ;   in Loop: Header=BB141_3 Depth=1
	ds_load_b64 v[0:1], v69 offset:64
	s_wait_dscnt 0x0
	ds_store_b64 v70, v[0:1] offset:4096
	ds_load_b64 v[0:1], v69 offset:72
	s_wait_dscnt 0x0
	ds_store_b64 v70, v[0:1] offset:4608
	;; [unrolled: 3-line block ×8, first 2 shown]
.LBB141_155:                            ;   in Loop: Header=BB141_3 Depth=1
	s_or_b32 exec_lo, exec_lo, s44
	s_wait_dscnt 0x0
	s_barrier_signal -1
	s_barrier_wait -1
	s_and_saveexec_b32 s44, s10
	s_cbranch_execz .LBB141_157
; %bb.156:                              ;   in Loop: Header=BB141_3 Depth=1
	ds_load_b64 v[0:1], v5 offset:4168
	v_mov_b32_e32 v2, v5
	ds_store_b64 v5, v[30:31] offset:4160
	s_wait_dscnt 0x1
	ds_store_b128 v5, v[0:3] offset:4672
.LBB141_157:                            ;   in Loop: Header=BB141_3 Depth=1
	s_or_b32 exec_lo, exec_lo, s44
	v_mov_b64_e32 v[0:1], 0
	s_wait_dscnt 0x0
	s_barrier_signal -1
	s_barrier_wait -1
	s_and_saveexec_b32 s44, s1
	s_cbranch_execz .LBB141_161
; %bb.158:                              ;   in Loop: Header=BB141_3 Depth=1
	ds_load_b64 v[0:1], v50 offset:4176
	ds_load_b64 v[44:45], v51 offset:4160
	s_wait_dscnt 0x0
	v_fma_f64 v[0:1], v[0:1], v[44:45], 0
	s_and_saveexec_b32 s45, s11
	s_cbranch_execz .LBB141_160
; %bb.159:                              ;   in Loop: Header=BB141_3 Depth=1
	ds_load_b64 v[44:45], v70 offset:4688
	ds_load_b64 v[46:47], v5 offset:4168
	s_wait_dscnt 0x0
	v_fmac_f64_e32 v[0:1], v[44:45], v[46:47]
.LBB141_160:                            ;   in Loop: Header=BB141_3 Depth=1
	s_or_b32 exec_lo, exec_lo, s45
	s_delay_alu instid0(VALU_DEP_1)
	v_xor_b32_e32 v1, 0x80000000, v1
.LBB141_161:                            ;   in Loop: Header=BB141_3 Depth=1
	s_or_b32 exec_lo, exec_lo, s44
	s_and_saveexec_b32 s44, s89
; %bb.162:                              ;   in Loop: Header=BB141_3 Depth=1
	ds_store_b64 v7, v[0:1]
; %bb.163:                              ;   in Loop: Header=BB141_3 Depth=1
	s_or_b32 exec_lo, exec_lo, s44
	s_wait_dscnt 0x0
	s_barrier_signal -1
	s_barrier_wait -1
	s_and_saveexec_b32 s44, s90
	s_cbranch_execz .LBB141_165
; %bb.164:                              ;   in Loop: Header=BB141_3 Depth=1
	ds_load_b64 v[44:45], v5 offset:5208
	ds_load_b64 v[46:47], v7
	s_wait_dscnt 0x0
	v_fmac_f64_e32 v[0:1], v[44:45], v[46:47]
.LBB141_165:                            ;   in Loop: Header=BB141_3 Depth=1
	s_or_b32 exec_lo, exec_lo, s44
	s_barrier_signal -1
	s_barrier_wait -1
	s_and_saveexec_b32 s44, s90
; %bb.166:                              ;   in Loop: Header=BB141_3 Depth=1
	ds_store_b64 v7, v[0:1]
; %bb.167:                              ;   in Loop: Header=BB141_3 Depth=1
	s_or_b32 exec_lo, exec_lo, s44
	s_wait_dscnt 0x0
	s_barrier_signal -1
	s_barrier_wait -1
	s_barrier_signal -1
	s_barrier_wait -1
	s_and_saveexec_b32 s44, s1
; %bb.168:                              ;   in Loop: Header=BB141_3 Depth=1
	v_xor_b32_e32 v1, 0x80000000, v1
	ds_store_b64 v50, v[0:1] offset:4176
; %bb.169:                              ;   in Loop: Header=BB141_3 Depth=1
	s_or_b32 exec_lo, exec_lo, s44
	s_wait_dscnt 0x0
	s_barrier_signal -1
	s_barrier_wait -1
	s_barrier_signal -1
	s_barrier_wait -1
	s_and_saveexec_b32 s44, s91
	s_cbranch_execz .LBB141_171
; %bb.170:                              ;   in Loop: Header=BB141_3 Depth=1
	ds_load_b64 v[0:1], v71 offset:4176
	s_wait_dscnt 0x0
	ds_store_b64 v70, v[0:1] offset:5184
	ds_load_b64 v[0:1], v71 offset:4184
	s_wait_dscnt 0x0
	ds_store_b64 v70, v[0:1] offset:5696
.LBB141_171:                            ;   in Loop: Header=BB141_3 Depth=1
	s_or_b32 exec_lo, exec_lo, s44
	s_wait_dscnt 0x0
	s_barrier_signal -1
	s_barrier_wait -1
	s_and_saveexec_b32 s44, s10
	s_cbranch_execz .LBB141_173
; %bb.172:                              ;   in Loop: Header=BB141_3 Depth=1
	ds_load_b64 v[0:1], v5 offset:5208
	v_mov_b32_e32 v2, v5
	ds_store_b64 v5, v[30:31] offset:5200
	s_wait_dscnt 0x1
	ds_store_b128 v5, v[0:3] offset:5712
.LBB141_173:                            ;   in Loop: Header=BB141_3 Depth=1
	s_or_b32 exec_lo, exec_lo, s44
	v_mov_b64_e32 v[0:1], 0
	s_wait_dscnt 0x0
	s_barrier_signal -1
	s_barrier_wait -1
	s_and_saveexec_b32 s44, s3
	s_cbranch_execz .LBB141_179
; %bb.174:                              ;   in Loop: Header=BB141_3 Depth=1
	ds_load_b64 v[0:1], v57 offset:4192
	ds_load_b64 v[44:45], v53 offset:4160
	s_wait_dscnt 0x0
	v_fma_f64 v[0:1], v[0:1], v[44:45], 0
	s_and_saveexec_b32 s45, s12
	s_cbranch_execnz .LBB141_1075
; %bb.175:                              ;   in Loop: Header=BB141_3 Depth=1
	s_or_b32 exec_lo, exec_lo, s45
	s_and_saveexec_b32 s45, s13
	s_cbranch_execnz .LBB141_1076
.LBB141_176:                            ;   in Loop: Header=BB141_3 Depth=1
	s_or_b32 exec_lo, exec_lo, s45
	s_and_saveexec_b32 s45, s1
	s_cbranch_execz .LBB141_178
.LBB141_177:                            ;   in Loop: Header=BB141_3 Depth=1
	ds_load_b64 v[44:45], v72 offset:5728
	ds_load_b64 v[46:47], v5 offset:4184
	s_wait_dscnt 0x0
	v_fmac_f64_e32 v[0:1], v[44:45], v[46:47]
.LBB141_178:                            ;   in Loop: Header=BB141_3 Depth=1
	s_or_b32 exec_lo, exec_lo, s45
	s_delay_alu instid0(VALU_DEP_1)
	v_xor_b32_e32 v1, 0x80000000, v1
.LBB141_179:                            ;   in Loop: Header=BB141_3 Depth=1
	s_or_b32 exec_lo, exec_lo, s44
	s_and_saveexec_b32 s44, s92
; %bb.180:                              ;   in Loop: Header=BB141_3 Depth=1
	ds_store_b64 v56, v[0:1]
; %bb.181:                              ;   in Loop: Header=BB141_3 Depth=1
	s_or_b32 exec_lo, exec_lo, s44
	s_wait_dscnt 0x0
	s_barrier_signal -1
	s_barrier_wait -1
	s_and_saveexec_b32 s44, s93
	s_cbranch_execz .LBB141_183
; %bb.182:                              ;   in Loop: Header=BB141_3 Depth=1
	ds_load_b64 v[44:45], v54 offset:6240
	ds_load_b64 v[46:47], v56
	s_wait_dscnt 0x0
	v_fmac_f64_e32 v[0:1], v[44:45], v[46:47]
.LBB141_183:                            ;   in Loop: Header=BB141_3 Depth=1
	s_or_b32 exec_lo, exec_lo, s44
	s_barrier_signal -1
	s_barrier_wait -1
	s_and_saveexec_b32 s44, s94
; %bb.184:                              ;   in Loop: Header=BB141_3 Depth=1
	ds_store_b64 v56, v[0:1]
; %bb.185:                              ;   in Loop: Header=BB141_3 Depth=1
	s_or_b32 exec_lo, exec_lo, s44
	s_wait_dscnt 0x0
	s_barrier_signal -1
	s_barrier_wait -1
	s_and_saveexec_b32 s44, s95
	s_cbranch_execz .LBB141_187
; %bb.186:                              ;   in Loop: Header=BB141_3 Depth=1
	ds_load_b64 v[44:45], v54 offset:6752
	ds_load_b64 v[46:47], v56
	s_wait_dscnt 0x0
	v_fmac_f64_e32 v[0:1], v[44:45], v[46:47]
.LBB141_187:                            ;   in Loop: Header=BB141_3 Depth=1
	s_or_b32 exec_lo, exec_lo, s44
	s_barrier_signal -1
	s_barrier_wait -1
	;; [unrolled: 19-line block ×3, first 2 shown]
	s_and_saveexec_b32 s44, s97
; %bb.192:                              ;   in Loop: Header=BB141_3 Depth=1
	ds_store_b64 v56, v[0:1]
; %bb.193:                              ;   in Loop: Header=BB141_3 Depth=1
	s_or_b32 exec_lo, exec_lo, s44
	s_wait_dscnt 0x0
	s_barrier_signal -1
	s_barrier_wait -1
	s_barrier_signal -1
	s_barrier_wait -1
	s_and_saveexec_b32 s44, s3
; %bb.194:                              ;   in Loop: Header=BB141_3 Depth=1
	v_xor_b32_e32 v1, 0x80000000, v1
	ds_store_b64 v57, v[0:1] offset:4192
; %bb.195:                              ;   in Loop: Header=BB141_3 Depth=1
	s_or_b32 exec_lo, exec_lo, s44
	s_wait_dscnt 0x0
	s_barrier_signal -1
	s_barrier_wait -1
	s_barrier_signal -1
	s_barrier_wait -1
	s_and_saveexec_b32 s44, s98
	s_cbranch_execz .LBB141_197
; %bb.196:                              ;   in Loop: Header=BB141_3 Depth=1
	ds_load_b64 v[0:1], v75 offset:4192
	s_wait_dscnt 0x0
	ds_store_b64 v11, v[0:1] offset:6208
	ds_load_b64 v[0:1], v75 offset:4200
	s_wait_dscnt 0x0
	ds_store_b64 v11, v[0:1] offset:6720
	;; [unrolled: 3-line block ×4, first 2 shown]
.LBB141_197:                            ;   in Loop: Header=BB141_3 Depth=1
	s_or_b32 exec_lo, exec_lo, s44
	s_wait_dscnt 0x0
	s_barrier_signal -1
	s_barrier_wait -1
	s_and_saveexec_b32 s44, s10
	s_cbranch_execz .LBB141_199
; %bb.198:                              ;   in Loop: Header=BB141_3 Depth=1
	ds_load_b64 v[0:1], v5 offset:6248
	v_mov_b32_e32 v2, v5
	ds_store_b64 v5, v[30:31] offset:6240
	s_wait_dscnt 0x1
	ds_store_b128 v5, v[0:3] offset:6752
.LBB141_199:                            ;   in Loop: Header=BB141_3 Depth=1
	s_or_b32 exec_lo, exec_lo, s44
	v_mov_b64_e32 v[0:1], 0
	s_wait_dscnt 0x0
	s_barrier_signal -1
	s_barrier_wait -1
	s_and_saveexec_b32 s44, s1
	s_cbranch_execz .LBB141_203
; %bb.200:                              ;   in Loop: Header=BB141_3 Depth=1
	ds_load_b64 v[0:1], v50 offset:6256
	ds_load_b64 v[44:45], v51 offset:6240
	s_wait_dscnt 0x0
	v_fma_f64 v[0:1], v[0:1], v[44:45], 0
	s_and_saveexec_b32 s45, s11
	s_cbranch_execz .LBB141_202
; %bb.201:                              ;   in Loop: Header=BB141_3 Depth=1
	ds_load_b64 v[44:45], v11 offset:6768
	ds_load_b64 v[46:47], v5 offset:6248
	s_wait_dscnt 0x0
	v_fmac_f64_e32 v[0:1], v[44:45], v[46:47]
.LBB141_202:                            ;   in Loop: Header=BB141_3 Depth=1
	s_or_b32 exec_lo, exec_lo, s45
	s_delay_alu instid0(VALU_DEP_1)
	v_xor_b32_e32 v1, 0x80000000, v1
.LBB141_203:                            ;   in Loop: Header=BB141_3 Depth=1
	s_or_b32 exec_lo, exec_lo, s44
	s_and_saveexec_b32 s44, s89
; %bb.204:                              ;   in Loop: Header=BB141_3 Depth=1
	ds_store_b64 v7, v[0:1]
; %bb.205:                              ;   in Loop: Header=BB141_3 Depth=1
	s_or_b32 exec_lo, exec_lo, s44
	s_wait_dscnt 0x0
	s_barrier_signal -1
	s_barrier_wait -1
	s_and_saveexec_b32 s44, s90
	s_cbranch_execz .LBB141_207
; %bb.206:                              ;   in Loop: Header=BB141_3 Depth=1
	ds_load_b64 v[44:45], v5 offset:7288
	ds_load_b64 v[46:47], v7
	s_wait_dscnt 0x0
	v_fmac_f64_e32 v[0:1], v[44:45], v[46:47]
.LBB141_207:                            ;   in Loop: Header=BB141_3 Depth=1
	s_or_b32 exec_lo, exec_lo, s44
	s_barrier_signal -1
	s_barrier_wait -1
	s_and_saveexec_b32 s44, s90
; %bb.208:                              ;   in Loop: Header=BB141_3 Depth=1
	ds_store_b64 v7, v[0:1]
; %bb.209:                              ;   in Loop: Header=BB141_3 Depth=1
	s_or_b32 exec_lo, exec_lo, s44
	s_wait_dscnt 0x0
	s_barrier_signal -1
	s_barrier_wait -1
	s_barrier_signal -1
	s_barrier_wait -1
	s_and_saveexec_b32 s44, s1
; %bb.210:                              ;   in Loop: Header=BB141_3 Depth=1
	v_xor_b32_e32 v1, 0x80000000, v1
	ds_store_b64 v50, v[0:1] offset:6256
; %bb.211:                              ;   in Loop: Header=BB141_3 Depth=1
	s_or_b32 exec_lo, exec_lo, s44
	s_wait_dscnt 0x0
	s_barrier_signal -1
	s_barrier_wait -1
	s_barrier_signal -1
	s_barrier_wait -1
	s_and_saveexec_b32 s44, s91
	s_cbranch_execz .LBB141_213
; %bb.212:                              ;   in Loop: Header=BB141_3 Depth=1
	ds_load_b64 v[0:1], v81 offset:6256
	s_wait_dscnt 0x0
	ds_store_b64 v11, v[0:1] offset:7264
	ds_load_b64 v[0:1], v81 offset:6264
	s_wait_dscnt 0x0
	ds_store_b64 v11, v[0:1] offset:7776
.LBB141_213:                            ;   in Loop: Header=BB141_3 Depth=1
	s_or_b32 exec_lo, exec_lo, s44
	s_wait_dscnt 0x0
	s_barrier_signal -1
	s_barrier_wait -1
	s_and_saveexec_b32 s44, s10
	s_cbranch_execz .LBB141_215
; %bb.214:                              ;   in Loop: Header=BB141_3 Depth=1
	ds_load_b64 v[0:1], v5 offset:7288
	v_mov_b32_e32 v2, v5
	ds_store_b64 v5, v[30:31] offset:7280
	s_wait_dscnt 0x1
	ds_store_b128 v5, v[0:3] offset:7792
.LBB141_215:                            ;   in Loop: Header=BB141_3 Depth=1
	s_or_b32 exec_lo, exec_lo, s44
	v_mov_b64_e32 v[0:1], 0
	s_wait_dscnt 0x0
	s_barrier_signal -1
	s_barrier_wait -1
	s_and_saveexec_b32 s82, s5
	s_cbranch_execz .LBB141_243
; %bb.216:                              ;   in Loop: Header=BB141_3 Depth=1
	ds_load_b64 v[0:1], v77 offset:128
	ds_load_b64 v[44:45], v73
	s_wait_dscnt 0x0
	v_fma_f64 v[0:1], v[0:1], v[44:45], 0
	s_mov_b32 s44, exec_lo
	v_readlane_b32 s45, v103, 21
	s_and_b32 s45, s44, s45
	s_delay_alu instid0(SALU_CYCLE_1)
	s_mov_b32 exec_lo, s45
	s_cbranch_execz .LBB141_218
; %bb.217:                              ;   in Loop: Header=BB141_3 Depth=1
	ds_load_b64 v[44:45], v78 offset:640
	ds_load_b64 v[46:47], v73 offset:8
	s_wait_dscnt 0x0
	v_fmac_f64_e32 v[0:1], v[44:45], v[46:47]
.LBB141_218:                            ;   in Loop: Header=BB141_3 Depth=1
	s_or_b32 exec_lo, exec_lo, s44
	s_delay_alu instid0(SALU_CYCLE_1) | instskip(SKIP_2) | instid1(SALU_CYCLE_1)
	s_mov_b32 s44, exec_lo
	v_readlane_b32 s45, v103, 22
	s_and_b32 s45, s44, s45
	s_mov_b32 exec_lo, s45
	s_cbranch_execz .LBB141_220
; %bb.219:                              ;   in Loop: Header=BB141_3 Depth=1
	ds_load_b64 v[44:45], v78 offset:1152
	ds_load_b64 v[46:47], v73 offset:16
	s_wait_dscnt 0x0
	v_fmac_f64_e32 v[0:1], v[44:45], v[46:47]
.LBB141_220:                            ;   in Loop: Header=BB141_3 Depth=1
	s_or_b32 exec_lo, exec_lo, s44
	s_delay_alu instid0(SALU_CYCLE_1) | instskip(SKIP_2) | instid1(SALU_CYCLE_1)
	s_mov_b32 s44, exec_lo
	v_readlane_b32 s45, v103, 23
	s_and_b32 s45, s44, s45
	;; [unrolled: 13-line block ×10, first 2 shown]
	s_mov_b32 exec_lo, s45
	s_cbranch_execnz .LBB141_1077
; %bb.237:                              ;   in Loop: Header=BB141_3 Depth=1
	s_or_b32 exec_lo, exec_lo, s44
	s_and_saveexec_b32 s44, s4
	s_cbranch_execnz .LBB141_1078
.LBB141_238:                            ;   in Loop: Header=BB141_3 Depth=1
	s_or_b32 exec_lo, exec_lo, s44
	s_and_saveexec_b32 s44, s15
	s_cbranch_execnz .LBB141_1079
.LBB141_239:                            ;   in Loop: Header=BB141_3 Depth=1
	s_or_b32 exec_lo, exec_lo, s44
	s_and_saveexec_b32 s44, s17
	s_cbranch_execnz .LBB141_1080
.LBB141_240:                            ;   in Loop: Header=BB141_3 Depth=1
	s_or_b32 exec_lo, exec_lo, s44
	s_and_saveexec_b32 s44, s3
	s_cbranch_execz .LBB141_242
.LBB141_241:                            ;   in Loop: Header=BB141_3 Depth=1
	ds_load_b64 v[44:45], v52 offset:7808
	ds_load_b64 v[46:47], v5 offset:120
	s_wait_dscnt 0x0
	v_fmac_f64_e32 v[0:1], v[44:45], v[46:47]
.LBB141_242:                            ;   in Loop: Header=BB141_3 Depth=1
	s_or_b32 exec_lo, exec_lo, s44
	s_delay_alu instid0(VALU_DEP_1)
	v_xor_b32_e32 v1, 0x80000000, v1
.LBB141_243:                            ;   in Loop: Header=BB141_3 Depth=1
	s_or_b32 exec_lo, exec_lo, s82
	s_delay_alu instid0(SALU_CYCLE_1) | instskip(SKIP_2) | instid1(SALU_CYCLE_1)
	s_mov_b32 s44, exec_lo
	v_readlane_b32 s45, v103, 2
	s_and_b32 s45, s44, s45
	s_mov_b32 exec_lo, s45
; %bb.244:                              ;   in Loop: Header=BB141_3 Depth=1
	ds_store_b64 v76, v[0:1]
; %bb.245:                              ;   in Loop: Header=BB141_3 Depth=1
	s_or_b32 exec_lo, exec_lo, s44
	s_wait_dscnt 0x0
	s_barrier_signal -1
	s_barrier_wait -1
	s_mov_b32 s44, exec_lo
	v_readlane_b32 s45, v103, 3
	s_and_b32 s45, s44, s45
	s_delay_alu instid0(SALU_CYCLE_1)
	s_mov_b32 exec_lo, s45
	s_cbranch_execz .LBB141_247
; %bb.246:                              ;   in Loop: Header=BB141_3 Depth=1
	ds_load_b64 v[44:45], v74 offset:8320
	ds_load_b64 v[46:47], v76
	s_wait_dscnt 0x0
	v_fmac_f64_e32 v[0:1], v[44:45], v[46:47]
.LBB141_247:                            ;   in Loop: Header=BB141_3 Depth=1
	s_or_b32 exec_lo, exec_lo, s44
	s_barrier_signal -1
	s_barrier_wait -1
	s_mov_b32 s44, exec_lo
	v_readlane_b32 s45, v103, 4
	s_and_b32 s45, s44, s45
	s_delay_alu instid0(SALU_CYCLE_1)
	s_mov_b32 exec_lo, s45
; %bb.248:                              ;   in Loop: Header=BB141_3 Depth=1
	ds_store_b64 v76, v[0:1]
; %bb.249:                              ;   in Loop: Header=BB141_3 Depth=1
	s_or_b32 exec_lo, exec_lo, s44
	s_wait_dscnt 0x0
	s_barrier_signal -1
	s_barrier_wait -1
	s_mov_b32 s44, exec_lo
	v_readlane_b32 s45, v103, 5
	s_and_b32 s45, s44, s45
	s_delay_alu instid0(SALU_CYCLE_1)
	s_mov_b32 exec_lo, s45
	s_cbranch_execz .LBB141_251
; %bb.250:                              ;   in Loop: Header=BB141_3 Depth=1
	ds_load_b64 v[44:45], v74 offset:8832
	ds_load_b64 v[46:47], v76
	s_wait_dscnt 0x0
	v_fmac_f64_e32 v[0:1], v[44:45], v[46:47]
.LBB141_251:                            ;   in Loop: Header=BB141_3 Depth=1
	s_or_b32 exec_lo, exec_lo, s44
	s_barrier_signal -1
	s_barrier_wait -1
	s_mov_b32 s44, exec_lo
	v_readlane_b32 s45, v103, 6
	s_and_b32 s45, s44, s45
	s_delay_alu instid0(SALU_CYCLE_1)
	;; [unrolled: 27-line block ×4, first 2 shown]
	s_mov_b32 exec_lo, s45
; %bb.260:                              ;   in Loop: Header=BB141_3 Depth=1
	ds_store_b64 v76, v[0:1]
; %bb.261:                              ;   in Loop: Header=BB141_3 Depth=1
	s_or_b32 exec_lo, exec_lo, s44
	s_wait_dscnt 0x0
	s_barrier_signal -1
	s_barrier_wait -1
	s_and_saveexec_b32 s44, s49
	s_cbranch_execz .LBB141_263
; %bb.262:                              ;   in Loop: Header=BB141_3 Depth=1
	ds_load_b64 v[44:45], v74 offset:10368
	ds_load_b64 v[46:47], v76
	s_wait_dscnt 0x0
	v_fmac_f64_e32 v[0:1], v[44:45], v[46:47]
.LBB141_263:                            ;   in Loop: Header=BB141_3 Depth=1
	s_or_b32 exec_lo, exec_lo, s44
	s_barrier_signal -1
	s_barrier_wait -1
	s_and_saveexec_b32 s44, s50
; %bb.264:                              ;   in Loop: Header=BB141_3 Depth=1
	ds_store_b64 v76, v[0:1]
; %bb.265:                              ;   in Loop: Header=BB141_3 Depth=1
	s_or_b32 exec_lo, exec_lo, s44
	s_wait_dscnt 0x0
	s_barrier_signal -1
	s_barrier_wait -1
	s_and_saveexec_b32 s44, s51
	s_cbranch_execz .LBB141_267
; %bb.266:                              ;   in Loop: Header=BB141_3 Depth=1
	ds_load_b64 v[44:45], v74 offset:10880
	ds_load_b64 v[46:47], v76
	s_wait_dscnt 0x0
	v_fmac_f64_e32 v[0:1], v[44:45], v[46:47]
.LBB141_267:                            ;   in Loop: Header=BB141_3 Depth=1
	s_or_b32 exec_lo, exec_lo, s44
	s_barrier_signal -1
	s_barrier_wait -1
	s_and_saveexec_b32 s44, s52
	;; [unrolled: 19-line block ×11, first 2 shown]
; %bb.304:                              ;   in Loop: Header=BB141_3 Depth=1
	ds_store_b64 v76, v[0:1]
; %bb.305:                              ;   in Loop: Header=BB141_3 Depth=1
	s_or_b32 exec_lo, exec_lo, s44
	s_wait_dscnt 0x0
	s_barrier_signal -1
	s_barrier_wait -1
	s_barrier_signal -1
	s_barrier_wait -1
	s_and_saveexec_b32 s44, s5
; %bb.306:                              ;   in Loop: Header=BB141_3 Depth=1
	v_xor_b32_e32 v1, 0x80000000, v1
	ds_store_b64 v77, v[0:1] offset:128
; %bb.307:                              ;   in Loop: Header=BB141_3 Depth=1
	s_or_b32 exec_lo, exec_lo, s44
	s_wait_dscnt 0x0
	s_barrier_signal -1
	s_barrier_wait -1
	s_barrier_signal -1
	s_barrier_wait -1
	s_and_saveexec_b32 s44, s87
	s_cbranch_execz .LBB141_309
; %bb.308:                              ;   in Loop: Header=BB141_3 Depth=1
	ds_load_b64 v[0:1], v55 offset:128
	s_wait_dscnt 0x0
	ds_store_b64 v59, v[0:1] offset:8192
	ds_load_b64 v[0:1], v55 offset:136
	s_wait_dscnt 0x0
	ds_store_b64 v59, v[0:1] offset:8704
	;; [unrolled: 3-line block ×16, first 2 shown]
.LBB141_309:                            ;   in Loop: Header=BB141_3 Depth=1
	s_or_b32 exec_lo, exec_lo, s44
	s_wait_dscnt 0x0
	s_barrier_signal -1
	s_barrier_wait -1
	s_and_saveexec_b32 s44, s10
	s_cbranch_execz .LBB141_311
; %bb.310:                              ;   in Loop: Header=BB141_3 Depth=1
	ds_load_b64 v[0:1], v5 offset:8328
	v_mov_b32_e32 v2, v5
	ds_store_b64 v5, v[30:31] offset:8320
	s_wait_dscnt 0x1
	ds_store_b128 v5, v[0:3] offset:8832
.LBB141_311:                            ;   in Loop: Header=BB141_3 Depth=1
	s_or_b32 exec_lo, exec_lo, s44
	v_mov_b64_e32 v[0:1], 0
	s_wait_dscnt 0x0
	s_barrier_signal -1
	s_barrier_wait -1
	s_and_saveexec_b32 s44, s1
	s_cbranch_execz .LBB141_315
; %bb.312:                              ;   in Loop: Header=BB141_3 Depth=1
	ds_load_b64 v[0:1], v50 offset:8336
	ds_load_b64 v[44:45], v51 offset:8320
	s_wait_dscnt 0x0
	v_fma_f64 v[0:1], v[0:1], v[44:45], 0
	s_and_saveexec_b32 s45, s11
	s_cbranch_execz .LBB141_314
; %bb.313:                              ;   in Loop: Header=BB141_3 Depth=1
	ds_load_b64 v[44:45], v52 offset:8848
	ds_load_b64 v[46:47], v5 offset:8328
	s_wait_dscnt 0x0
	v_fmac_f64_e32 v[0:1], v[44:45], v[46:47]
.LBB141_314:                            ;   in Loop: Header=BB141_3 Depth=1
	s_or_b32 exec_lo, exec_lo, s45
	s_delay_alu instid0(VALU_DEP_1)
	v_xor_b32_e32 v1, 0x80000000, v1
.LBB141_315:                            ;   in Loop: Header=BB141_3 Depth=1
	s_or_b32 exec_lo, exec_lo, s44
	s_and_saveexec_b32 s44, s89
; %bb.316:                              ;   in Loop: Header=BB141_3 Depth=1
	ds_store_b64 v7, v[0:1]
; %bb.317:                              ;   in Loop: Header=BB141_3 Depth=1
	s_or_b32 exec_lo, exec_lo, s44
	s_wait_dscnt 0x0
	s_barrier_signal -1
	s_barrier_wait -1
	s_and_saveexec_b32 s44, s90
	s_cbranch_execz .LBB141_319
; %bb.318:                              ;   in Loop: Header=BB141_3 Depth=1
	ds_load_b64 v[44:45], v5 offset:9368
	ds_load_b64 v[46:47], v7
	s_wait_dscnt 0x0
	v_fmac_f64_e32 v[0:1], v[44:45], v[46:47]
.LBB141_319:                            ;   in Loop: Header=BB141_3 Depth=1
	s_or_b32 exec_lo, exec_lo, s44
	s_barrier_signal -1
	s_barrier_wait -1
	s_and_saveexec_b32 s44, s90
; %bb.320:                              ;   in Loop: Header=BB141_3 Depth=1
	ds_store_b64 v7, v[0:1]
; %bb.321:                              ;   in Loop: Header=BB141_3 Depth=1
	s_or_b32 exec_lo, exec_lo, s44
	s_wait_dscnt 0x0
	s_barrier_signal -1
	s_barrier_wait -1
	s_barrier_signal -1
	s_barrier_wait -1
	s_and_saveexec_b32 s44, s1
; %bb.322:                              ;   in Loop: Header=BB141_3 Depth=1
	v_xor_b32_e32 v1, 0x80000000, v1
	ds_store_b64 v50, v[0:1] offset:8336
; %bb.323:                              ;   in Loop: Header=BB141_3 Depth=1
	s_or_b32 exec_lo, exec_lo, s44
	s_wait_dscnt 0x0
	s_barrier_signal -1
	s_barrier_wait -1
	s_barrier_signal -1
	s_barrier_wait -1
	s_and_saveexec_b32 s44, s91
	s_cbranch_execz .LBB141_325
; %bb.324:                              ;   in Loop: Header=BB141_3 Depth=1
	ds_load_b64 v[0:1], v55 offset:8336
	s_wait_dscnt 0x0
	ds_store_b64 v52, v[0:1] offset:9344
	ds_load_b64 v[0:1], v55 offset:8344
	s_wait_dscnt 0x0
	ds_store_b64 v52, v[0:1] offset:9856
.LBB141_325:                            ;   in Loop: Header=BB141_3 Depth=1
	s_or_b32 exec_lo, exec_lo, s44
	s_wait_dscnt 0x0
	s_barrier_signal -1
	s_barrier_wait -1
	s_and_saveexec_b32 s44, s10
	s_cbranch_execz .LBB141_327
; %bb.326:                              ;   in Loop: Header=BB141_3 Depth=1
	ds_load_b64 v[0:1], v5 offset:9368
	v_mov_b32_e32 v2, v5
	ds_store_b64 v5, v[30:31] offset:9360
	s_wait_dscnt 0x1
	ds_store_b128 v5, v[0:3] offset:9872
.LBB141_327:                            ;   in Loop: Header=BB141_3 Depth=1
	s_or_b32 exec_lo, exec_lo, s44
	v_mov_b64_e32 v[0:1], 0
	s_wait_dscnt 0x0
	s_barrier_signal -1
	s_barrier_wait -1
	s_and_saveexec_b32 s44, s3
	s_cbranch_execz .LBB141_333
; %bb.328:                              ;   in Loop: Header=BB141_3 Depth=1
	ds_load_b64 v[0:1], v57 offset:8352
	ds_load_b64 v[44:45], v53 offset:8320
	s_wait_dscnt 0x0
	v_fma_f64 v[0:1], v[0:1], v[44:45], 0
	s_and_saveexec_b32 s45, s12
	s_cbranch_execnz .LBB141_1081
; %bb.329:                              ;   in Loop: Header=BB141_3 Depth=1
	s_or_b32 exec_lo, exec_lo, s45
	s_and_saveexec_b32 s45, s13
	s_cbranch_execnz .LBB141_1082
.LBB141_330:                            ;   in Loop: Header=BB141_3 Depth=1
	s_or_b32 exec_lo, exec_lo, s45
	s_and_saveexec_b32 s45, s1
	s_cbranch_execz .LBB141_332
.LBB141_331:                            ;   in Loop: Header=BB141_3 Depth=1
	ds_load_b64 v[44:45], v59 offset:9888
	ds_load_b64 v[46:47], v5 offset:8344
	s_wait_dscnt 0x0
	v_fmac_f64_e32 v[0:1], v[44:45], v[46:47]
.LBB141_332:                            ;   in Loop: Header=BB141_3 Depth=1
	s_or_b32 exec_lo, exec_lo, s45
	s_delay_alu instid0(VALU_DEP_1)
	v_xor_b32_e32 v1, 0x80000000, v1
.LBB141_333:                            ;   in Loop: Header=BB141_3 Depth=1
	s_or_b32 exec_lo, exec_lo, s44
	s_and_saveexec_b32 s44, s92
; %bb.334:                              ;   in Loop: Header=BB141_3 Depth=1
	ds_store_b64 v56, v[0:1]
; %bb.335:                              ;   in Loop: Header=BB141_3 Depth=1
	s_or_b32 exec_lo, exec_lo, s44
	s_wait_dscnt 0x0
	s_barrier_signal -1
	s_barrier_wait -1
	s_and_saveexec_b32 s44, s93
	s_cbranch_execz .LBB141_337
; %bb.336:                              ;   in Loop: Header=BB141_3 Depth=1
	ds_load_b64 v[44:45], v54 offset:10400
	ds_load_b64 v[46:47], v56
	s_wait_dscnt 0x0
	v_fmac_f64_e32 v[0:1], v[44:45], v[46:47]
.LBB141_337:                            ;   in Loop: Header=BB141_3 Depth=1
	s_or_b32 exec_lo, exec_lo, s44
	s_barrier_signal -1
	s_barrier_wait -1
	s_and_saveexec_b32 s44, s94
; %bb.338:                              ;   in Loop: Header=BB141_3 Depth=1
	ds_store_b64 v56, v[0:1]
; %bb.339:                              ;   in Loop: Header=BB141_3 Depth=1
	s_or_b32 exec_lo, exec_lo, s44
	s_wait_dscnt 0x0
	s_barrier_signal -1
	s_barrier_wait -1
	s_and_saveexec_b32 s44, s95
	s_cbranch_execz .LBB141_341
; %bb.340:                              ;   in Loop: Header=BB141_3 Depth=1
	ds_load_b64 v[44:45], v54 offset:10912
	ds_load_b64 v[46:47], v56
	s_wait_dscnt 0x0
	v_fmac_f64_e32 v[0:1], v[44:45], v[46:47]
.LBB141_341:                            ;   in Loop: Header=BB141_3 Depth=1
	s_or_b32 exec_lo, exec_lo, s44
	s_barrier_signal -1
	s_barrier_wait -1
	;; [unrolled: 19-line block ×3, first 2 shown]
	s_and_saveexec_b32 s44, s97
; %bb.346:                              ;   in Loop: Header=BB141_3 Depth=1
	ds_store_b64 v56, v[0:1]
; %bb.347:                              ;   in Loop: Header=BB141_3 Depth=1
	s_or_b32 exec_lo, exec_lo, s44
	s_wait_dscnt 0x0
	s_barrier_signal -1
	s_barrier_wait -1
	s_barrier_signal -1
	s_barrier_wait -1
	s_and_saveexec_b32 s44, s3
; %bb.348:                              ;   in Loop: Header=BB141_3 Depth=1
	v_xor_b32_e32 v1, 0x80000000, v1
	ds_store_b64 v57, v[0:1] offset:8352
; %bb.349:                              ;   in Loop: Header=BB141_3 Depth=1
	s_or_b32 exec_lo, exec_lo, s44
	s_wait_dscnt 0x0
	s_barrier_signal -1
	s_barrier_wait -1
	s_barrier_signal -1
	s_barrier_wait -1
	s_and_saveexec_b32 s44, s98
	s_cbranch_execz .LBB141_351
; %bb.350:                              ;   in Loop: Header=BB141_3 Depth=1
	ds_load_b64 v[0:1], v60 offset:8352
	s_wait_dscnt 0x0
	ds_store_b64 v62, v[0:1] offset:10368
	ds_load_b64 v[0:1], v60 offset:8360
	s_wait_dscnt 0x0
	ds_store_b64 v62, v[0:1] offset:10880
	;; [unrolled: 3-line block ×4, first 2 shown]
.LBB141_351:                            ;   in Loop: Header=BB141_3 Depth=1
	s_or_b32 exec_lo, exec_lo, s44
	s_wait_dscnt 0x0
	s_barrier_signal -1
	s_barrier_wait -1
	s_and_saveexec_b32 s44, s10
	s_cbranch_execz .LBB141_353
; %bb.352:                              ;   in Loop: Header=BB141_3 Depth=1
	ds_load_b64 v[0:1], v5 offset:10408
	v_mov_b32_e32 v2, v5
	ds_store_b64 v5, v[30:31] offset:10400
	s_wait_dscnt 0x1
	ds_store_b128 v5, v[0:3] offset:10912
.LBB141_353:                            ;   in Loop: Header=BB141_3 Depth=1
	s_or_b32 exec_lo, exec_lo, s44
	v_mov_b64_e32 v[0:1], 0
	s_wait_dscnt 0x0
	s_barrier_signal -1
	s_barrier_wait -1
	s_and_saveexec_b32 s44, s1
	s_cbranch_execz .LBB141_357
; %bb.354:                              ;   in Loop: Header=BB141_3 Depth=1
	ds_load_b64 v[0:1], v50 offset:10416
	ds_load_b64 v[44:45], v51 offset:10400
	s_wait_dscnt 0x0
	v_fma_f64 v[0:1], v[0:1], v[44:45], 0
	s_and_saveexec_b32 s45, s11
	s_cbranch_execz .LBB141_356
; %bb.355:                              ;   in Loop: Header=BB141_3 Depth=1
	ds_load_b64 v[44:45], v62 offset:10928
	ds_load_b64 v[46:47], v5 offset:10408
	s_wait_dscnt 0x0
	v_fmac_f64_e32 v[0:1], v[44:45], v[46:47]
.LBB141_356:                            ;   in Loop: Header=BB141_3 Depth=1
	s_or_b32 exec_lo, exec_lo, s45
	s_delay_alu instid0(VALU_DEP_1)
	v_xor_b32_e32 v1, 0x80000000, v1
.LBB141_357:                            ;   in Loop: Header=BB141_3 Depth=1
	s_or_b32 exec_lo, exec_lo, s44
	s_and_saveexec_b32 s44, s89
; %bb.358:                              ;   in Loop: Header=BB141_3 Depth=1
	ds_store_b64 v7, v[0:1]
; %bb.359:                              ;   in Loop: Header=BB141_3 Depth=1
	s_or_b32 exec_lo, exec_lo, s44
	s_wait_dscnt 0x0
	s_barrier_signal -1
	s_barrier_wait -1
	s_and_saveexec_b32 s44, s90
	s_cbranch_execz .LBB141_361
; %bb.360:                              ;   in Loop: Header=BB141_3 Depth=1
	ds_load_b64 v[44:45], v5 offset:11448
	ds_load_b64 v[46:47], v7
	s_wait_dscnt 0x0
	v_fmac_f64_e32 v[0:1], v[44:45], v[46:47]
.LBB141_361:                            ;   in Loop: Header=BB141_3 Depth=1
	s_or_b32 exec_lo, exec_lo, s44
	s_barrier_signal -1
	s_barrier_wait -1
	s_and_saveexec_b32 s44, s90
; %bb.362:                              ;   in Loop: Header=BB141_3 Depth=1
	ds_store_b64 v7, v[0:1]
; %bb.363:                              ;   in Loop: Header=BB141_3 Depth=1
	s_or_b32 exec_lo, exec_lo, s44
	s_wait_dscnt 0x0
	s_barrier_signal -1
	s_barrier_wait -1
	s_barrier_signal -1
	s_barrier_wait -1
	s_and_saveexec_b32 s44, s1
; %bb.364:                              ;   in Loop: Header=BB141_3 Depth=1
	v_xor_b32_e32 v1, 0x80000000, v1
	ds_store_b64 v50, v[0:1] offset:10416
; %bb.365:                              ;   in Loop: Header=BB141_3 Depth=1
	s_or_b32 exec_lo, exec_lo, s44
	s_wait_dscnt 0x0
	s_barrier_signal -1
	s_barrier_wait -1
	s_barrier_signal -1
	s_barrier_wait -1
	s_and_saveexec_b32 s44, s91
	s_cbranch_execz .LBB141_367
; %bb.366:                              ;   in Loop: Header=BB141_3 Depth=1
	ds_load_b64 v[0:1], v64 offset:10416
	s_wait_dscnt 0x0
	ds_store_b64 v62, v[0:1] offset:11424
	ds_load_b64 v[0:1], v64 offset:10424
	s_wait_dscnt 0x0
	ds_store_b64 v62, v[0:1] offset:11936
.LBB141_367:                            ;   in Loop: Header=BB141_3 Depth=1
	s_or_b32 exec_lo, exec_lo, s44
	s_wait_dscnt 0x0
	s_barrier_signal -1
	s_barrier_wait -1
	s_and_saveexec_b32 s44, s10
	s_cbranch_execz .LBB141_369
; %bb.368:                              ;   in Loop: Header=BB141_3 Depth=1
	ds_load_b64 v[0:1], v5 offset:11448
	v_mov_b32_e32 v2, v5
	ds_store_b64 v5, v[30:31] offset:11440
	s_wait_dscnt 0x1
	ds_store_b128 v5, v[0:3] offset:11952
.LBB141_369:                            ;   in Loop: Header=BB141_3 Depth=1
	s_or_b32 exec_lo, exec_lo, s44
	v_mov_b64_e32 v[0:1], 0
	s_wait_dscnt 0x0
	s_barrier_signal -1
	s_barrier_wait -1
	s_and_saveexec_b32 s44, s4
	s_cbranch_execz .LBB141_379
; %bb.370:                              ;   in Loop: Header=BB141_3 Depth=1
	ds_load_b64 v[0:1], v66 offset:8384
	ds_load_b64 v[44:45], v61 offset:8320
	s_wait_dscnt 0x0
	v_fma_f64 v[0:1], v[0:1], v[44:45], 0
	s_and_saveexec_b32 s45, s14
	s_cbranch_execnz .LBB141_1083
; %bb.371:                              ;   in Loop: Header=BB141_3 Depth=1
	s_or_b32 exec_lo, exec_lo, s45
	s_and_saveexec_b32 s45, s15
	s_cbranch_execnz .LBB141_1084
.LBB141_372:                            ;   in Loop: Header=BB141_3 Depth=1
	s_or_b32 exec_lo, exec_lo, s45
	s_and_saveexec_b32 s45, s16
	s_cbranch_execnz .LBB141_1085
.LBB141_373:                            ;   in Loop: Header=BB141_3 Depth=1
	s_or_b32 exec_lo, exec_lo, s45
	s_and_saveexec_b32 s45, s17
	s_cbranch_execnz .LBB141_1086
.LBB141_374:                            ;   in Loop: Header=BB141_3 Depth=1
	s_or_b32 exec_lo, exec_lo, s45
	s_and_saveexec_b32 s45, s18
	s_cbranch_execnz .LBB141_1087
.LBB141_375:                            ;   in Loop: Header=BB141_3 Depth=1
	s_or_b32 exec_lo, exec_lo, s45
	s_and_saveexec_b32 s45, s3
	s_cbranch_execnz .LBB141_1088
.LBB141_376:                            ;   in Loop: Header=BB141_3 Depth=1
	s_or_b32 exec_lo, exec_lo, s45
	s_and_saveexec_b32 s45, s13
	s_cbranch_execz .LBB141_378
.LBB141_377:                            ;   in Loop: Header=BB141_3 Depth=1
	ds_load_b64 v[44:45], v68 offset:11968
	ds_load_b64 v[46:47], v5 offset:8376
	s_wait_dscnt 0x0
	v_fmac_f64_e32 v[0:1], v[44:45], v[46:47]
.LBB141_378:                            ;   in Loop: Header=BB141_3 Depth=1
	s_or_b32 exec_lo, exec_lo, s45
	s_delay_alu instid0(VALU_DEP_1)
	v_xor_b32_e32 v1, 0x80000000, v1
.LBB141_379:                            ;   in Loop: Header=BB141_3 Depth=1
	s_or_b32 exec_lo, exec_lo, s44
	s_and_saveexec_b32 s44, s99
; %bb.380:                              ;   in Loop: Header=BB141_3 Depth=1
	ds_store_b64 v65, v[0:1]
; %bb.381:                              ;   in Loop: Header=BB141_3 Depth=1
	s_or_b32 exec_lo, exec_lo, s44
	s_wait_dscnt 0x0
	s_barrier_signal -1
	s_barrier_wait -1
	s_and_saveexec_b32 s44, s100
	s_cbranch_execz .LBB141_383
; %bb.382:                              ;   in Loop: Header=BB141_3 Depth=1
	ds_load_b64 v[44:45], v63 offset:12480
	ds_load_b64 v[46:47], v65
	s_wait_dscnt 0x0
	v_fmac_f64_e32 v[0:1], v[44:45], v[46:47]
.LBB141_383:                            ;   in Loop: Header=BB141_3 Depth=1
	s_or_b32 exec_lo, exec_lo, s44
	s_barrier_signal -1
	s_barrier_wait -1
	s_and_saveexec_b32 s44, s101
; %bb.384:                              ;   in Loop: Header=BB141_3 Depth=1
	ds_store_b64 v65, v[0:1]
; %bb.385:                              ;   in Loop: Header=BB141_3 Depth=1
	s_or_b32 exec_lo, exec_lo, s44
	s_wait_dscnt 0x0
	s_barrier_signal -1
	s_barrier_wait -1
	s_and_saveexec_b32 s44, s102
	s_cbranch_execz .LBB141_387
; %bb.386:                              ;   in Loop: Header=BB141_3 Depth=1
	ds_load_b64 v[44:45], v63 offset:12992
	ds_load_b64 v[46:47], v65
	s_wait_dscnt 0x0
	v_fmac_f64_e32 v[0:1], v[44:45], v[46:47]
.LBB141_387:                            ;   in Loop: Header=BB141_3 Depth=1
	s_or_b32 exec_lo, exec_lo, s44
	s_barrier_signal -1
	s_barrier_wait -1
	;; [unrolled: 19-line block ×3, first 2 shown]
	s_and_saveexec_b32 s44, vcc_hi
; %bb.392:                              ;   in Loop: Header=BB141_3 Depth=1
	ds_store_b64 v65, v[0:1]
; %bb.393:                              ;   in Loop: Header=BB141_3 Depth=1
	s_or_b32 exec_lo, exec_lo, s44
	s_wait_dscnt 0x0
	s_barrier_signal -1
	s_barrier_wait -1
	s_and_saveexec_b32 s44, s31
	s_cbranch_execz .LBB141_395
; %bb.394:                              ;   in Loop: Header=BB141_3 Depth=1
	ds_load_b64 v[44:45], v63 offset:14016
	ds_load_b64 v[46:47], v65
	s_wait_dscnt 0x0
	v_fmac_f64_e32 v[0:1], v[44:45], v[46:47]
.LBB141_395:                            ;   in Loop: Header=BB141_3 Depth=1
	s_or_b32 exec_lo, exec_lo, s44
	s_barrier_signal -1
	s_barrier_wait -1
	s_and_saveexec_b32 s44, s33
; %bb.396:                              ;   in Loop: Header=BB141_3 Depth=1
	ds_store_b64 v65, v[0:1]
; %bb.397:                              ;   in Loop: Header=BB141_3 Depth=1
	s_or_b32 exec_lo, exec_lo, s44
	s_wait_dscnt 0x0
	s_barrier_signal -1
	s_barrier_wait -1
	s_and_saveexec_b32 s44, s34
	s_cbranch_execz .LBB141_399
; %bb.398:                              ;   in Loop: Header=BB141_3 Depth=1
	ds_load_b64 v[44:45], v63 offset:14528
	ds_load_b64 v[46:47], v65
	s_wait_dscnt 0x0
	v_fmac_f64_e32 v[0:1], v[44:45], v[46:47]
.LBB141_399:                            ;   in Loop: Header=BB141_3 Depth=1
	s_or_b32 exec_lo, exec_lo, s44
	s_barrier_signal -1
	s_barrier_wait -1
	s_and_saveexec_b32 s44, s35
	;; [unrolled: 19-line block ×4, first 2 shown]
; %bb.408:                              ;   in Loop: Header=BB141_3 Depth=1
	ds_store_b64 v65, v[0:1]
; %bb.409:                              ;   in Loop: Header=BB141_3 Depth=1
	s_or_b32 exec_lo, exec_lo, s44
	s_wait_dscnt 0x0
	s_barrier_signal -1
	s_barrier_wait -1
	s_barrier_signal -1
	s_barrier_wait -1
	s_and_saveexec_b32 s44, s4
; %bb.410:                              ;   in Loop: Header=BB141_3 Depth=1
	v_xor_b32_e32 v1, 0x80000000, v1
	ds_store_b64 v66, v[0:1] offset:8384
; %bb.411:                              ;   in Loop: Header=BB141_3 Depth=1
	s_or_b32 exec_lo, exec_lo, s44
	s_wait_dscnt 0x0
	s_barrier_signal -1
	s_barrier_wait -1
	s_barrier_signal -1
	s_barrier_wait -1
	s_and_saveexec_b32 s44, s39
	s_cbranch_execz .LBB141_413
; %bb.412:                              ;   in Loop: Header=BB141_3 Depth=1
	ds_load_b64 v[0:1], v69 offset:8384
	s_wait_dscnt 0x0
	ds_store_b64 v70, v[0:1] offset:12416
	ds_load_b64 v[0:1], v69 offset:8392
	s_wait_dscnt 0x0
	ds_store_b64 v70, v[0:1] offset:12928
	ds_load_b64 v[0:1], v69 offset:8400
	s_wait_dscnt 0x0
	ds_store_b64 v70, v[0:1] offset:13440
	ds_load_b64 v[0:1], v69 offset:8408
	s_wait_dscnt 0x0
	ds_store_b64 v70, v[0:1] offset:13952
	ds_load_b64 v[0:1], v69 offset:8416
	s_wait_dscnt 0x0
	ds_store_b64 v70, v[0:1] offset:14464
	ds_load_b64 v[0:1], v69 offset:8424
	s_wait_dscnt 0x0
	ds_store_b64 v70, v[0:1] offset:14976
	ds_load_b64 v[0:1], v69 offset:8432
	s_wait_dscnt 0x0
	ds_store_b64 v70, v[0:1] offset:15488
	ds_load_b64 v[0:1], v69 offset:8440
	s_wait_dscnt 0x0
	ds_store_b64 v70, v[0:1] offset:16000
.LBB141_413:                            ;   in Loop: Header=BB141_3 Depth=1
	s_or_b32 exec_lo, exec_lo, s44
	s_wait_dscnt 0x0
	s_barrier_signal -1
	s_barrier_wait -1
	s_and_saveexec_b32 s44, s10
	s_cbranch_execz .LBB141_415
; %bb.414:                              ;   in Loop: Header=BB141_3 Depth=1
	ds_load_b64 v[0:1], v5 offset:12488
	v_mov_b32_e32 v2, v5
	ds_store_b64 v5, v[30:31] offset:12480
	s_wait_dscnt 0x1
	ds_store_b128 v5, v[0:3] offset:12992
.LBB141_415:                            ;   in Loop: Header=BB141_3 Depth=1
	s_or_b32 exec_lo, exec_lo, s44
	v_mov_b64_e32 v[0:1], 0
	s_wait_dscnt 0x0
	s_barrier_signal -1
	s_barrier_wait -1
	s_and_saveexec_b32 s44, s1
	s_cbranch_execz .LBB141_419
; %bb.416:                              ;   in Loop: Header=BB141_3 Depth=1
	ds_load_b64 v[0:1], v50 offset:12496
	ds_load_b64 v[44:45], v51 offset:12480
	s_wait_dscnt 0x0
	v_fma_f64 v[0:1], v[0:1], v[44:45], 0
	s_and_saveexec_b32 s45, s11
	s_cbranch_execz .LBB141_418
; %bb.417:                              ;   in Loop: Header=BB141_3 Depth=1
	ds_load_b64 v[44:45], v70 offset:13008
	ds_load_b64 v[46:47], v5 offset:12488
	s_wait_dscnt 0x0
	v_fmac_f64_e32 v[0:1], v[44:45], v[46:47]
.LBB141_418:                            ;   in Loop: Header=BB141_3 Depth=1
	s_or_b32 exec_lo, exec_lo, s45
	s_delay_alu instid0(VALU_DEP_1)
	v_xor_b32_e32 v1, 0x80000000, v1
.LBB141_419:                            ;   in Loop: Header=BB141_3 Depth=1
	s_or_b32 exec_lo, exec_lo, s44
	s_and_saveexec_b32 s44, s89
; %bb.420:                              ;   in Loop: Header=BB141_3 Depth=1
	ds_store_b64 v7, v[0:1]
; %bb.421:                              ;   in Loop: Header=BB141_3 Depth=1
	s_or_b32 exec_lo, exec_lo, s44
	s_wait_dscnt 0x0
	s_barrier_signal -1
	s_barrier_wait -1
	s_and_saveexec_b32 s44, s90
	s_cbranch_execz .LBB141_423
; %bb.422:                              ;   in Loop: Header=BB141_3 Depth=1
	ds_load_b64 v[44:45], v5 offset:13528
	ds_load_b64 v[46:47], v7
	s_wait_dscnt 0x0
	v_fmac_f64_e32 v[0:1], v[44:45], v[46:47]
.LBB141_423:                            ;   in Loop: Header=BB141_3 Depth=1
	s_or_b32 exec_lo, exec_lo, s44
	s_barrier_signal -1
	s_barrier_wait -1
	s_and_saveexec_b32 s44, s90
; %bb.424:                              ;   in Loop: Header=BB141_3 Depth=1
	ds_store_b64 v7, v[0:1]
; %bb.425:                              ;   in Loop: Header=BB141_3 Depth=1
	s_or_b32 exec_lo, exec_lo, s44
	s_wait_dscnt 0x0
	s_barrier_signal -1
	s_barrier_wait -1
	s_barrier_signal -1
	s_barrier_wait -1
	s_and_saveexec_b32 s44, s1
; %bb.426:                              ;   in Loop: Header=BB141_3 Depth=1
	v_xor_b32_e32 v1, 0x80000000, v1
	ds_store_b64 v50, v[0:1] offset:12496
; %bb.427:                              ;   in Loop: Header=BB141_3 Depth=1
	s_or_b32 exec_lo, exec_lo, s44
	s_wait_dscnt 0x0
	s_barrier_signal -1
	s_barrier_wait -1
	s_barrier_signal -1
	s_barrier_wait -1
	s_and_saveexec_b32 s44, s91
	s_cbranch_execz .LBB141_429
; %bb.428:                              ;   in Loop: Header=BB141_3 Depth=1
	ds_load_b64 v[0:1], v71 offset:12496
	s_wait_dscnt 0x0
	ds_store_b64 v70, v[0:1] offset:13504
	ds_load_b64 v[0:1], v71 offset:12504
	s_wait_dscnt 0x0
	ds_store_b64 v70, v[0:1] offset:14016
.LBB141_429:                            ;   in Loop: Header=BB141_3 Depth=1
	s_or_b32 exec_lo, exec_lo, s44
	s_wait_dscnt 0x0
	s_barrier_signal -1
	s_barrier_wait -1
	s_and_saveexec_b32 s44, s10
	s_cbranch_execz .LBB141_431
; %bb.430:                              ;   in Loop: Header=BB141_3 Depth=1
	ds_load_b64 v[0:1], v5 offset:13528
	v_mov_b32_e32 v2, v5
	ds_store_b64 v5, v[30:31] offset:13520
	s_wait_dscnt 0x1
	ds_store_b128 v5, v[0:3] offset:14032
.LBB141_431:                            ;   in Loop: Header=BB141_3 Depth=1
	s_or_b32 exec_lo, exec_lo, s44
	v_mov_b64_e32 v[0:1], 0
	s_wait_dscnt 0x0
	s_barrier_signal -1
	s_barrier_wait -1
	s_and_saveexec_b32 s44, s3
	s_cbranch_execz .LBB141_437
; %bb.432:                              ;   in Loop: Header=BB141_3 Depth=1
	ds_load_b64 v[0:1], v57 offset:12512
	ds_load_b64 v[44:45], v53 offset:12480
	s_wait_dscnt 0x0
	v_fma_f64 v[0:1], v[0:1], v[44:45], 0
	s_and_saveexec_b32 s45, s12
	s_cbranch_execnz .LBB141_1089
; %bb.433:                              ;   in Loop: Header=BB141_3 Depth=1
	s_or_b32 exec_lo, exec_lo, s45
	s_and_saveexec_b32 s45, s13
	s_cbranch_execnz .LBB141_1090
.LBB141_434:                            ;   in Loop: Header=BB141_3 Depth=1
	s_or_b32 exec_lo, exec_lo, s45
	s_and_saveexec_b32 s45, s1
	s_cbranch_execz .LBB141_436
.LBB141_435:                            ;   in Loop: Header=BB141_3 Depth=1
	ds_load_b64 v[44:45], v72 offset:14048
	ds_load_b64 v[46:47], v5 offset:12504
	s_wait_dscnt 0x0
	v_fmac_f64_e32 v[0:1], v[44:45], v[46:47]
.LBB141_436:                            ;   in Loop: Header=BB141_3 Depth=1
	s_or_b32 exec_lo, exec_lo, s45
	s_delay_alu instid0(VALU_DEP_1)
	v_xor_b32_e32 v1, 0x80000000, v1
.LBB141_437:                            ;   in Loop: Header=BB141_3 Depth=1
	s_or_b32 exec_lo, exec_lo, s44
	s_and_saveexec_b32 s44, s92
; %bb.438:                              ;   in Loop: Header=BB141_3 Depth=1
	ds_store_b64 v56, v[0:1]
; %bb.439:                              ;   in Loop: Header=BB141_3 Depth=1
	s_or_b32 exec_lo, exec_lo, s44
	s_wait_dscnt 0x0
	s_barrier_signal -1
	s_barrier_wait -1
	s_and_saveexec_b32 s44, s93
	s_cbranch_execz .LBB141_441
; %bb.440:                              ;   in Loop: Header=BB141_3 Depth=1
	ds_load_b64 v[44:45], v54 offset:14560
	ds_load_b64 v[46:47], v56
	s_wait_dscnt 0x0
	v_fmac_f64_e32 v[0:1], v[44:45], v[46:47]
.LBB141_441:                            ;   in Loop: Header=BB141_3 Depth=1
	s_or_b32 exec_lo, exec_lo, s44
	s_barrier_signal -1
	s_barrier_wait -1
	s_and_saveexec_b32 s44, s94
; %bb.442:                              ;   in Loop: Header=BB141_3 Depth=1
	ds_store_b64 v56, v[0:1]
; %bb.443:                              ;   in Loop: Header=BB141_3 Depth=1
	s_or_b32 exec_lo, exec_lo, s44
	s_wait_dscnt 0x0
	s_barrier_signal -1
	s_barrier_wait -1
	s_and_saveexec_b32 s44, s95
	s_cbranch_execz .LBB141_445
; %bb.444:                              ;   in Loop: Header=BB141_3 Depth=1
	ds_load_b64 v[44:45], v54 offset:15072
	ds_load_b64 v[46:47], v56
	s_wait_dscnt 0x0
	v_fmac_f64_e32 v[0:1], v[44:45], v[46:47]
.LBB141_445:                            ;   in Loop: Header=BB141_3 Depth=1
	s_or_b32 exec_lo, exec_lo, s44
	s_barrier_signal -1
	s_barrier_wait -1
	;; [unrolled: 19-line block ×3, first 2 shown]
	s_and_saveexec_b32 s44, s97
; %bb.450:                              ;   in Loop: Header=BB141_3 Depth=1
	ds_store_b64 v56, v[0:1]
; %bb.451:                              ;   in Loop: Header=BB141_3 Depth=1
	s_or_b32 exec_lo, exec_lo, s44
	s_wait_dscnt 0x0
	s_barrier_signal -1
	s_barrier_wait -1
	s_barrier_signal -1
	s_barrier_wait -1
	s_and_saveexec_b32 s44, s3
; %bb.452:                              ;   in Loop: Header=BB141_3 Depth=1
	v_xor_b32_e32 v1, 0x80000000, v1
	ds_store_b64 v57, v[0:1] offset:12512
; %bb.453:                              ;   in Loop: Header=BB141_3 Depth=1
	s_or_b32 exec_lo, exec_lo, s44
	s_wait_dscnt 0x0
	s_barrier_signal -1
	s_barrier_wait -1
	s_barrier_signal -1
	s_barrier_wait -1
	s_and_saveexec_b32 s44, s98
	s_cbranch_execz .LBB141_455
; %bb.454:                              ;   in Loop: Header=BB141_3 Depth=1
	ds_load_b64 v[0:1], v75 offset:12512
	s_wait_dscnt 0x0
	ds_store_b64 v11, v[0:1] offset:14528
	ds_load_b64 v[0:1], v75 offset:12520
	s_wait_dscnt 0x0
	ds_store_b64 v11, v[0:1] offset:15040
	;; [unrolled: 3-line block ×4, first 2 shown]
.LBB141_455:                            ;   in Loop: Header=BB141_3 Depth=1
	s_or_b32 exec_lo, exec_lo, s44
	s_wait_dscnt 0x0
	s_barrier_signal -1
	s_barrier_wait -1
	s_and_saveexec_b32 s44, s10
	s_cbranch_execz .LBB141_457
; %bb.456:                              ;   in Loop: Header=BB141_3 Depth=1
	ds_load_b64 v[0:1], v5 offset:14568
	v_mov_b32_e32 v2, v5
	ds_store_b64 v5, v[30:31] offset:14560
	s_wait_dscnt 0x1
	ds_store_b128 v5, v[0:3] offset:15072
.LBB141_457:                            ;   in Loop: Header=BB141_3 Depth=1
	s_or_b32 exec_lo, exec_lo, s44
	v_mov_b64_e32 v[0:1], 0
	s_wait_dscnt 0x0
	s_barrier_signal -1
	s_barrier_wait -1
	s_and_saveexec_b32 s44, s1
	s_cbranch_execz .LBB141_461
; %bb.458:                              ;   in Loop: Header=BB141_3 Depth=1
	ds_load_b64 v[0:1], v50 offset:14576
	ds_load_b64 v[44:45], v51 offset:14560
	s_wait_dscnt 0x0
	v_fma_f64 v[0:1], v[0:1], v[44:45], 0
	s_and_saveexec_b32 s45, s11
	s_cbranch_execz .LBB141_460
; %bb.459:                              ;   in Loop: Header=BB141_3 Depth=1
	ds_load_b64 v[44:45], v11 offset:15088
	ds_load_b64 v[46:47], v5 offset:14568
	s_wait_dscnt 0x0
	v_fmac_f64_e32 v[0:1], v[44:45], v[46:47]
.LBB141_460:                            ;   in Loop: Header=BB141_3 Depth=1
	s_or_b32 exec_lo, exec_lo, s45
	s_delay_alu instid0(VALU_DEP_1)
	v_xor_b32_e32 v1, 0x80000000, v1
.LBB141_461:                            ;   in Loop: Header=BB141_3 Depth=1
	s_or_b32 exec_lo, exec_lo, s44
	s_and_saveexec_b32 s44, s89
; %bb.462:                              ;   in Loop: Header=BB141_3 Depth=1
	ds_store_b64 v7, v[0:1]
; %bb.463:                              ;   in Loop: Header=BB141_3 Depth=1
	s_or_b32 exec_lo, exec_lo, s44
	s_wait_dscnt 0x0
	s_barrier_signal -1
	s_barrier_wait -1
	s_and_saveexec_b32 s44, s90
	s_cbranch_execz .LBB141_465
; %bb.464:                              ;   in Loop: Header=BB141_3 Depth=1
	ds_load_b64 v[44:45], v5 offset:15608
	ds_load_b64 v[46:47], v7
	s_wait_dscnt 0x0
	v_fmac_f64_e32 v[0:1], v[44:45], v[46:47]
.LBB141_465:                            ;   in Loop: Header=BB141_3 Depth=1
	s_or_b32 exec_lo, exec_lo, s44
	s_barrier_signal -1
	s_barrier_wait -1
	s_and_saveexec_b32 s44, s90
; %bb.466:                              ;   in Loop: Header=BB141_3 Depth=1
	ds_store_b64 v7, v[0:1]
; %bb.467:                              ;   in Loop: Header=BB141_3 Depth=1
	s_or_b32 exec_lo, exec_lo, s44
	s_wait_dscnt 0x0
	s_barrier_signal -1
	s_barrier_wait -1
	s_barrier_signal -1
	s_barrier_wait -1
	s_and_saveexec_b32 s44, s1
; %bb.468:                              ;   in Loop: Header=BB141_3 Depth=1
	v_xor_b32_e32 v1, 0x80000000, v1
	ds_store_b64 v50, v[0:1] offset:14576
; %bb.469:                              ;   in Loop: Header=BB141_3 Depth=1
	s_or_b32 exec_lo, exec_lo, s44
	s_wait_dscnt 0x0
	s_barrier_signal -1
	s_barrier_wait -1
	s_barrier_signal -1
	s_barrier_wait -1
	s_and_saveexec_b32 s44, s91
	s_cbranch_execz .LBB141_471
; %bb.470:                              ;   in Loop: Header=BB141_3 Depth=1
	ds_load_b64 v[0:1], v81 offset:14576
	s_wait_dscnt 0x0
	ds_store_b64 v11, v[0:1] offset:15584
	ds_load_b64 v[0:1], v81 offset:14584
	s_wait_dscnt 0x0
	ds_store_b64 v11, v[0:1] offset:16096
.LBB141_471:                            ;   in Loop: Header=BB141_3 Depth=1
	s_or_b32 exec_lo, exec_lo, s44
	s_wait_dscnt 0x0
	s_barrier_signal -1
	s_barrier_wait -1
	s_and_saveexec_b32 s44, s10
	s_cbranch_execz .LBB141_473
; %bb.472:                              ;   in Loop: Header=BB141_3 Depth=1
	ds_load_b64 v[0:1], v5 offset:15608
	v_mov_b32_e32 v2, v5
	ds_store_b64 v5, v[30:31] offset:15600
	s_wait_dscnt 0x1
	ds_store_b128 v5, v[0:3] offset:16112
.LBB141_473:                            ;   in Loop: Header=BB141_3 Depth=1
	s_or_b32 exec_lo, exec_lo, s44
	v_mov_b64_e32 v[0:1], 0
	s_wait_dscnt 0x0
	s_barrier_signal -1
	s_barrier_wait -1
	s_and_saveexec_b32 s82, s30
	s_cbranch_execz .LBB141_535
; %bb.474:                              ;   in Loop: Header=BB141_3 Depth=1
	v_add_nc_u32_e32 v2, v9, v80
	ds_load_b64 v[0:1], v83 offset:256
	ds_load_b64 v[44:45], v2
	s_wait_dscnt 0x0
	v_fma_f64 v[0:1], v[0:1], v[44:45], 0
	s_mov_b32 s44, exec_lo
	v_readlane_b32 s45, v102, 0
	s_and_b32 s45, s44, s45
	s_delay_alu instid0(SALU_CYCLE_1)
	s_mov_b32 exec_lo, s45
	s_cbranch_execz .LBB141_476
; %bb.475:                              ;   in Loop: Header=BB141_3 Depth=1
	ds_load_b64 v[44:45], v83 offset:768
	ds_load_b64 v[46:47], v2 offset:8
	s_wait_dscnt 0x0
	v_fmac_f64_e32 v[0:1], v[44:45], v[46:47]
.LBB141_476:                            ;   in Loop: Header=BB141_3 Depth=1
	s_or_b32 exec_lo, exec_lo, s44
	s_delay_alu instid0(SALU_CYCLE_1) | instskip(SKIP_2) | instid1(SALU_CYCLE_1)
	s_mov_b32 s44, exec_lo
	v_readlane_b32 s45, v102, 1
	s_and_b32 s45, s44, s45
	s_mov_b32 exec_lo, s45
	s_cbranch_execz .LBB141_478
; %bb.477:                              ;   in Loop: Header=BB141_3 Depth=1
	ds_load_b64 v[44:45], v83 offset:1280
	ds_load_b64 v[46:47], v2 offset:16
	s_wait_dscnt 0x0
	v_fmac_f64_e32 v[0:1], v[44:45], v[46:47]
.LBB141_478:                            ;   in Loop: Header=BB141_3 Depth=1
	s_or_b32 exec_lo, exec_lo, s44
	s_delay_alu instid0(SALU_CYCLE_1) | instskip(SKIP_2) | instid1(SALU_CYCLE_1)
	s_mov_b32 s44, exec_lo
	v_readlane_b32 s45, v102, 2
	s_and_b32 s45, s44, s45
	;; [unrolled: 13-line block ×22, first 2 shown]
	s_mov_b32 exec_lo, s45
	s_cbranch_execz .LBB141_520
; %bb.519:                              ;   in Loop: Header=BB141_3 Depth=1
	ds_load_b64 v[44:45], v83 offset:12032
	ds_load_b64 v[46:47], v2 offset:184
	s_wait_dscnt 0x0
	v_fmac_f64_e32 v[0:1], v[44:45], v[46:47]
.LBB141_520:                            ;   in Loop: Header=BB141_3 Depth=1
	s_or_b32 exec_lo, exec_lo, s44
	s_and_saveexec_b32 s44, s5
	s_cbranch_execz .LBB141_522
; %bb.521:                              ;   in Loop: Header=BB141_3 Depth=1
	ds_load_b64 v[44:45], v83 offset:12544
	ds_load_b64 v[46:47], v2 offset:192
	s_wait_dscnt 0x0
	v_fmac_f64_e32 v[0:1], v[44:45], v[46:47]
.LBB141_522:                            ;   in Loop: Header=BB141_3 Depth=1
	s_or_b32 exec_lo, exec_lo, s44
	s_delay_alu instid0(SALU_CYCLE_1) | instskip(SKIP_2) | instid1(SALU_CYCLE_1)
	s_mov_b32 s44, exec_lo
	v_readlane_b32 s45, v103, 22
	s_and_b32 s45, s44, s45
	s_mov_b32 exec_lo, s45
	s_cbranch_execz .LBB141_524
; %bb.523:                              ;   in Loop: Header=BB141_3 Depth=1
	ds_load_b64 v[44:45], v83 offset:13056
	ds_load_b64 v[46:47], v2 offset:200
	s_wait_dscnt 0x0
	v_fmac_f64_e32 v[0:1], v[44:45], v[46:47]
.LBB141_524:                            ;   in Loop: Header=BB141_3 Depth=1
	s_or_b32 exec_lo, exec_lo, s44
	s_delay_alu instid0(SALU_CYCLE_1) | instskip(SKIP_2) | instid1(SALU_CYCLE_1)
	s_mov_b32 s44, exec_lo
	v_readlane_b32 s45, v103, 24
	s_and_b32 s45, s44, s45
	s_mov_b32 exec_lo, s45
	;; [unrolled: 13-line block ×5, first 2 shown]
	s_cbranch_execnz .LBB141_1091
; %bb.531:                              ;   in Loop: Header=BB141_3 Depth=1
	s_or_b32 exec_lo, exec_lo, s44
	s_and_saveexec_b32 s44, s4
	s_cbranch_execnz .LBB141_1092
.LBB141_532:                            ;   in Loop: Header=BB141_3 Depth=1
	s_or_b32 exec_lo, exec_lo, s44
	s_and_saveexec_b32 s44, s17
	s_cbranch_execz .LBB141_534
.LBB141_533:                            ;   in Loop: Header=BB141_3 Depth=1
	ds_load_b64 v[44:45], v52 offset:16128
	ds_load_b64 v[46:47], v5 offset:248
	s_wait_dscnt 0x0
	v_fmac_f64_e32 v[0:1], v[44:45], v[46:47]
.LBB141_534:                            ;   in Loop: Header=BB141_3 Depth=1
	s_or_b32 exec_lo, exec_lo, s44
	s_delay_alu instid0(VALU_DEP_1)
	v_xor_b32_e32 v1, 0x80000000, v1
.LBB141_535:                            ;   in Loop: Header=BB141_3 Depth=1
	s_or_b32 exec_lo, exec_lo, s82
	v_dual_mov_b32 v2, v79 :: v_dual_mov_b32 v44, v95
	s_mov_b32 s44, 0
	s_branch .LBB141_537
.LBB141_536:                            ;   in Loop: Header=BB141_537 Depth=2
	s_or_b32 exec_lo, exec_lo, s45
	v_add_nc_u32_e32 v44, 0x800, v44
	v_add_nc_u32_e32 v2, -4, v2
	s_add_co_i32 s44, s44, 4
	s_delay_alu instid0(SALU_CYCLE_1)
	s_cmp_eq_u32 s44, 32
	s_barrier_signal -1
	s_barrier_wait -1
	s_cbranch_scc1 .LBB141_553
.LBB141_537:                            ;   Parent Loop BB141_3 Depth=1
                                        ; =>  This Inner Loop Header: Depth=2
	s_delay_alu instid0(VALU_DEP_1) | instskip(SKIP_1) | instid1(SALU_CYCLE_1)
	v_cmp_eq_u32_e32 vcc_lo, 0, v2
	s_and_b32 s46, s43, vcc_lo
	s_and_saveexec_b32 s45, s46
; %bb.538:                              ;   in Loop: Header=BB141_537 Depth=2
	ds_store_b64 v84, v[0:1]
; %bb.539:                              ;   in Loop: Header=BB141_537 Depth=2
	s_or_b32 exec_lo, exec_lo, s45
	v_cmp_lt_u32_e32 vcc_lo, s44, v79
	s_wait_dscnt 0x0
	s_barrier_signal -1
	s_barrier_wait -1
	s_and_b32 s46, s43, vcc_lo
	s_delay_alu instid0(SALU_CYCLE_1)
	s_and_saveexec_b32 s45, s46
	s_cbranch_execz .LBB141_541
; %bb.540:                              ;   in Loop: Header=BB141_537 Depth=2
	ds_load_b64 v[46:47], v44
	ds_load_b64 v[48:49], v84
	s_wait_dscnt 0x0
	v_fmac_f64_e32 v[0:1], v[46:47], v[48:49]
.LBB141_541:                            ;   in Loop: Header=BB141_537 Depth=2
	s_or_b32 exec_lo, exec_lo, s45
	s_or_b32 s45, s44, 1
	s_delay_alu instid0(SALU_CYCLE_1) | instskip(SKIP_3) | instid1(SALU_CYCLE_1)
	v_cmp_eq_u32_e32 vcc_lo, s45, v79
	s_barrier_signal -1
	s_barrier_wait -1
	s_and_b32 s47, s43, vcc_lo
	s_and_saveexec_b32 s46, s47
; %bb.542:                              ;   in Loop: Header=BB141_537 Depth=2
	ds_store_b64 v84, v[0:1]
; %bb.543:                              ;   in Loop: Header=BB141_537 Depth=2
	s_or_b32 exec_lo, exec_lo, s46
	v_cmp_lt_u32_e32 vcc_lo, s45, v79
	s_wait_dscnt 0x0
	s_barrier_signal -1
	s_barrier_wait -1
	s_and_b32 s46, s43, vcc_lo
	s_delay_alu instid0(SALU_CYCLE_1)
	s_and_saveexec_b32 s45, s46
	s_cbranch_execz .LBB141_545
; %bb.544:                              ;   in Loop: Header=BB141_537 Depth=2
	ds_load_b64 v[46:47], v44 offset:512
	ds_load_b64 v[48:49], v84
	s_wait_dscnt 0x0
	v_fmac_f64_e32 v[0:1], v[46:47], v[48:49]
.LBB141_545:                            ;   in Loop: Header=BB141_537 Depth=2
	s_or_b32 exec_lo, exec_lo, s45
	s_or_b32 s45, s44, 2
	s_delay_alu instid0(SALU_CYCLE_1) | instskip(SKIP_3) | instid1(SALU_CYCLE_1)
	v_cmp_eq_u32_e32 vcc_lo, s45, v79
	s_barrier_signal -1
	s_barrier_wait -1
	s_and_b32 s47, s43, vcc_lo
	s_and_saveexec_b32 s46, s47
; %bb.546:                              ;   in Loop: Header=BB141_537 Depth=2
	ds_store_b64 v84, v[0:1]
; %bb.547:                              ;   in Loop: Header=BB141_537 Depth=2
	s_or_b32 exec_lo, exec_lo, s46
	v_cmp_lt_u32_e32 vcc_lo, s45, v79
	s_wait_dscnt 0x0
	s_barrier_signal -1
	s_barrier_wait -1
	s_and_b32 s46, s43, vcc_lo
	s_delay_alu instid0(SALU_CYCLE_1)
	s_and_saveexec_b32 s45, s46
	s_cbranch_execz .LBB141_549
; %bb.548:                              ;   in Loop: Header=BB141_537 Depth=2
	ds_load_b64 v[46:47], v44 offset:1024
	ds_load_b64 v[48:49], v84
	s_wait_dscnt 0x0
	v_fmac_f64_e32 v[0:1], v[46:47], v[48:49]
.LBB141_549:                            ;   in Loop: Header=BB141_537 Depth=2
	s_or_b32 exec_lo, exec_lo, s45
	s_or_b32 s45, s44, 3
	s_delay_alu instid0(SALU_CYCLE_1) | instskip(SKIP_3) | instid1(SALU_CYCLE_1)
	v_cmp_eq_u32_e32 vcc_lo, s45, v79
	s_barrier_signal -1
	s_barrier_wait -1
	s_and_b32 s47, s43, vcc_lo
	s_and_saveexec_b32 s46, s47
; %bb.550:                              ;   in Loop: Header=BB141_537 Depth=2
	ds_store_b64 v84, v[0:1]
; %bb.551:                              ;   in Loop: Header=BB141_537 Depth=2
	s_or_b32 exec_lo, exec_lo, s46
	v_cmp_lt_u32_e32 vcc_lo, s45, v79
	s_wait_dscnt 0x0
	s_barrier_signal -1
	s_barrier_wait -1
	s_and_b32 s46, s43, vcc_lo
	s_delay_alu instid0(SALU_CYCLE_1)
	s_and_saveexec_b32 s45, s46
	s_cbranch_execz .LBB141_536
; %bb.552:                              ;   in Loop: Header=BB141_537 Depth=2
	ds_load_b64 v[46:47], v44 offset:1536
	ds_load_b64 v[48:49], v84
	s_wait_dscnt 0x0
	v_fmac_f64_e32 v[0:1], v[46:47], v[48:49]
	s_branch .LBB141_536
.LBB141_553:                            ;   in Loop: Header=BB141_3 Depth=1
	s_and_saveexec_b32 s44, s30
; %bb.554:                              ;   in Loop: Header=BB141_3 Depth=1
	s_delay_alu instid0(VALU_DEP_3)
	v_xor_b32_e32 v1, 0x80000000, v1
	ds_store_b64 v83, v[0:1] offset:256
; %bb.555:                              ;   in Loop: Header=BB141_3 Depth=1
	s_or_b32 exec_lo, exec_lo, s44
	s_wait_dscnt 0x0
	s_barrier_signal -1
	s_barrier_wait -1
	s_barrier_signal -1
	s_barrier_wait -1
	s_mov_b32 s44, exec_lo
	v_readlane_b32 s45, v103, 11
	s_and_b32 s45, s44, s45
	s_delay_alu instid0(SALU_CYCLE_1)
	s_mov_b32 exec_lo, s45
	s_cbranch_execz .LBB141_557
; %bb.556:                              ;   in Loop: Header=BB141_3 Depth=1
	ds_load_b64 v[0:1], v55 offset:256
	s_wait_dscnt 0x0
	ds_store_b64 v59, v[0:1] offset:16384
	ds_load_b64 v[0:1], v55 offset:264
	s_wait_dscnt 0x0
	ds_store_b64 v59, v[0:1] offset:16896
	;; [unrolled: 3-line block ×32, first 2 shown]
.LBB141_557:                            ;   in Loop: Header=BB141_3 Depth=1
	s_or_b32 exec_lo, exec_lo, s44
	s_wait_dscnt 0x0
	s_barrier_signal -1
	s_barrier_wait -1
	s_and_saveexec_b32 s44, s10
	s_cbranch_execz .LBB141_559
; %bb.558:                              ;   in Loop: Header=BB141_3 Depth=1
	ds_load_b64 v[0:1], v5 offset:16648
	v_mov_b32_e32 v2, v5
	ds_store_b64 v5, v[30:31] offset:16640
	s_wait_dscnt 0x1
	ds_store_b128 v5, v[0:3] offset:17152
.LBB141_559:                            ;   in Loop: Header=BB141_3 Depth=1
	s_or_b32 exec_lo, exec_lo, s44
	v_mov_b64_e32 v[0:1], 0
	s_wait_dscnt 0x0
	s_barrier_signal -1
	s_barrier_wait -1
	s_and_saveexec_b32 s44, s1
	s_cbranch_execz .LBB141_563
; %bb.560:                              ;   in Loop: Header=BB141_3 Depth=1
	ds_load_b64 v[0:1], v50 offset:16656
	ds_load_b64 v[44:45], v51 offset:16640
	s_wait_dscnt 0x0
	v_fma_f64 v[0:1], v[0:1], v[44:45], 0
	s_and_saveexec_b32 s45, s11
	s_cbranch_execz .LBB141_562
; %bb.561:                              ;   in Loop: Header=BB141_3 Depth=1
	ds_load_b64 v[44:45], v52 offset:17168
	ds_load_b64 v[46:47], v5 offset:16648
	s_wait_dscnt 0x0
	v_fmac_f64_e32 v[0:1], v[44:45], v[46:47]
.LBB141_562:                            ;   in Loop: Header=BB141_3 Depth=1
	s_or_b32 exec_lo, exec_lo, s45
	s_delay_alu instid0(VALU_DEP_1)
	v_xor_b32_e32 v1, 0x80000000, v1
.LBB141_563:                            ;   in Loop: Header=BB141_3 Depth=1
	s_or_b32 exec_lo, exec_lo, s44
	s_and_saveexec_b32 s44, s89
; %bb.564:                              ;   in Loop: Header=BB141_3 Depth=1
	ds_store_b64 v7, v[0:1]
; %bb.565:                              ;   in Loop: Header=BB141_3 Depth=1
	s_or_b32 exec_lo, exec_lo, s44
	s_wait_dscnt 0x0
	s_barrier_signal -1
	s_barrier_wait -1
	s_and_saveexec_b32 s44, s90
	s_cbranch_execz .LBB141_567
; %bb.566:                              ;   in Loop: Header=BB141_3 Depth=1
	ds_load_b64 v[44:45], v5 offset:17688
	ds_load_b64 v[46:47], v7
	s_wait_dscnt 0x0
	v_fmac_f64_e32 v[0:1], v[44:45], v[46:47]
.LBB141_567:                            ;   in Loop: Header=BB141_3 Depth=1
	s_or_b32 exec_lo, exec_lo, s44
	s_barrier_signal -1
	s_barrier_wait -1
	s_and_saveexec_b32 s44, s90
; %bb.568:                              ;   in Loop: Header=BB141_3 Depth=1
	ds_store_b64 v7, v[0:1]
; %bb.569:                              ;   in Loop: Header=BB141_3 Depth=1
	s_or_b32 exec_lo, exec_lo, s44
	s_wait_dscnt 0x0
	s_barrier_signal -1
	s_barrier_wait -1
	s_barrier_signal -1
	s_barrier_wait -1
	s_and_saveexec_b32 s44, s1
; %bb.570:                              ;   in Loop: Header=BB141_3 Depth=1
	v_xor_b32_e32 v1, 0x80000000, v1
	ds_store_b64 v50, v[0:1] offset:16656
; %bb.571:                              ;   in Loop: Header=BB141_3 Depth=1
	s_or_b32 exec_lo, exec_lo, s44
	s_wait_dscnt 0x0
	s_barrier_signal -1
	s_barrier_wait -1
	s_barrier_signal -1
	s_barrier_wait -1
	s_and_saveexec_b32 s44, s91
	s_cbranch_execz .LBB141_573
; %bb.572:                              ;   in Loop: Header=BB141_3 Depth=1
	ds_load_b64 v[0:1], v55 offset:16656
	s_wait_dscnt 0x0
	ds_store_b64 v52, v[0:1] offset:17664
	ds_load_b64 v[0:1], v55 offset:16664
	s_wait_dscnt 0x0
	ds_store_b64 v52, v[0:1] offset:18176
.LBB141_573:                            ;   in Loop: Header=BB141_3 Depth=1
	s_or_b32 exec_lo, exec_lo, s44
	s_wait_dscnt 0x0
	s_barrier_signal -1
	s_barrier_wait -1
	s_and_saveexec_b32 s44, s10
	s_cbranch_execz .LBB141_575
; %bb.574:                              ;   in Loop: Header=BB141_3 Depth=1
	ds_load_b64 v[0:1], v5 offset:17688
	v_mov_b32_e32 v2, v5
	ds_store_b64 v5, v[30:31] offset:17680
	s_wait_dscnt 0x1
	ds_store_b128 v5, v[0:3] offset:18192
.LBB141_575:                            ;   in Loop: Header=BB141_3 Depth=1
	s_or_b32 exec_lo, exec_lo, s44
	v_mov_b64_e32 v[0:1], 0
	s_wait_dscnt 0x0
	s_barrier_signal -1
	s_barrier_wait -1
	s_and_saveexec_b32 s44, s3
	s_cbranch_execz .LBB141_581
; %bb.576:                              ;   in Loop: Header=BB141_3 Depth=1
	ds_load_b64 v[0:1], v57 offset:16672
	ds_load_b64 v[44:45], v53 offset:16640
	s_wait_dscnt 0x0
	v_fma_f64 v[0:1], v[0:1], v[44:45], 0
	s_and_saveexec_b32 s45, s12
	s_cbranch_execnz .LBB141_1093
; %bb.577:                              ;   in Loop: Header=BB141_3 Depth=1
	s_or_b32 exec_lo, exec_lo, s45
	s_and_saveexec_b32 s45, s13
	s_cbranch_execnz .LBB141_1094
.LBB141_578:                            ;   in Loop: Header=BB141_3 Depth=1
	s_or_b32 exec_lo, exec_lo, s45
	s_and_saveexec_b32 s45, s1
	s_cbranch_execz .LBB141_580
.LBB141_579:                            ;   in Loop: Header=BB141_3 Depth=1
	ds_load_b64 v[44:45], v59 offset:18208
	ds_load_b64 v[46:47], v5 offset:16664
	s_wait_dscnt 0x0
	v_fmac_f64_e32 v[0:1], v[44:45], v[46:47]
.LBB141_580:                            ;   in Loop: Header=BB141_3 Depth=1
	s_or_b32 exec_lo, exec_lo, s45
	s_delay_alu instid0(VALU_DEP_1)
	v_xor_b32_e32 v1, 0x80000000, v1
.LBB141_581:                            ;   in Loop: Header=BB141_3 Depth=1
	s_or_b32 exec_lo, exec_lo, s44
	s_and_saveexec_b32 s44, s92
; %bb.582:                              ;   in Loop: Header=BB141_3 Depth=1
	ds_store_b64 v56, v[0:1]
; %bb.583:                              ;   in Loop: Header=BB141_3 Depth=1
	s_or_b32 exec_lo, exec_lo, s44
	s_wait_dscnt 0x0
	s_barrier_signal -1
	s_barrier_wait -1
	s_and_saveexec_b32 s44, s93
	s_cbranch_execz .LBB141_585
; %bb.584:                              ;   in Loop: Header=BB141_3 Depth=1
	ds_load_b64 v[44:45], v54 offset:18720
	ds_load_b64 v[46:47], v56
	s_wait_dscnt 0x0
	v_fmac_f64_e32 v[0:1], v[44:45], v[46:47]
.LBB141_585:                            ;   in Loop: Header=BB141_3 Depth=1
	s_or_b32 exec_lo, exec_lo, s44
	s_barrier_signal -1
	s_barrier_wait -1
	s_and_saveexec_b32 s44, s94
; %bb.586:                              ;   in Loop: Header=BB141_3 Depth=1
	ds_store_b64 v56, v[0:1]
; %bb.587:                              ;   in Loop: Header=BB141_3 Depth=1
	s_or_b32 exec_lo, exec_lo, s44
	s_wait_dscnt 0x0
	s_barrier_signal -1
	s_barrier_wait -1
	s_and_saveexec_b32 s44, s95
	s_cbranch_execz .LBB141_589
; %bb.588:                              ;   in Loop: Header=BB141_3 Depth=1
	ds_load_b64 v[44:45], v54 offset:19232
	ds_load_b64 v[46:47], v56
	s_wait_dscnt 0x0
	v_fmac_f64_e32 v[0:1], v[44:45], v[46:47]
.LBB141_589:                            ;   in Loop: Header=BB141_3 Depth=1
	s_or_b32 exec_lo, exec_lo, s44
	s_barrier_signal -1
	s_barrier_wait -1
	;; [unrolled: 19-line block ×3, first 2 shown]
	s_and_saveexec_b32 s44, s97
; %bb.594:                              ;   in Loop: Header=BB141_3 Depth=1
	ds_store_b64 v56, v[0:1]
; %bb.595:                              ;   in Loop: Header=BB141_3 Depth=1
	s_or_b32 exec_lo, exec_lo, s44
	s_wait_dscnt 0x0
	s_barrier_signal -1
	s_barrier_wait -1
	s_barrier_signal -1
	s_barrier_wait -1
	s_and_saveexec_b32 s44, s3
; %bb.596:                              ;   in Loop: Header=BB141_3 Depth=1
	v_xor_b32_e32 v1, 0x80000000, v1
	ds_store_b64 v57, v[0:1] offset:16672
; %bb.597:                              ;   in Loop: Header=BB141_3 Depth=1
	s_or_b32 exec_lo, exec_lo, s44
	s_wait_dscnt 0x0
	s_barrier_signal -1
	s_barrier_wait -1
	s_barrier_signal -1
	s_barrier_wait -1
	s_and_saveexec_b32 s44, s98
	s_cbranch_execz .LBB141_599
; %bb.598:                              ;   in Loop: Header=BB141_3 Depth=1
	ds_load_b64 v[0:1], v60 offset:16672
	s_wait_dscnt 0x0
	ds_store_b64 v62, v[0:1] offset:18688
	ds_load_b64 v[0:1], v60 offset:16680
	s_wait_dscnt 0x0
	ds_store_b64 v62, v[0:1] offset:19200
	;; [unrolled: 3-line block ×4, first 2 shown]
.LBB141_599:                            ;   in Loop: Header=BB141_3 Depth=1
	s_or_b32 exec_lo, exec_lo, s44
	s_wait_dscnt 0x0
	s_barrier_signal -1
	s_barrier_wait -1
	s_and_saveexec_b32 s44, s10
	s_cbranch_execz .LBB141_601
; %bb.600:                              ;   in Loop: Header=BB141_3 Depth=1
	ds_load_b64 v[0:1], v5 offset:18728
	v_mov_b32_e32 v2, v5
	ds_store_b64 v5, v[30:31] offset:18720
	s_wait_dscnt 0x1
	ds_store_b128 v5, v[0:3] offset:19232
.LBB141_601:                            ;   in Loop: Header=BB141_3 Depth=1
	s_or_b32 exec_lo, exec_lo, s44
	v_mov_b64_e32 v[0:1], 0
	s_wait_dscnt 0x0
	s_barrier_signal -1
	s_barrier_wait -1
	s_and_saveexec_b32 s44, s1
	s_cbranch_execz .LBB141_605
; %bb.602:                              ;   in Loop: Header=BB141_3 Depth=1
	ds_load_b64 v[0:1], v50 offset:18736
	ds_load_b64 v[44:45], v51 offset:18720
	s_wait_dscnt 0x0
	v_fma_f64 v[0:1], v[0:1], v[44:45], 0
	s_and_saveexec_b32 s45, s11
	s_cbranch_execz .LBB141_604
; %bb.603:                              ;   in Loop: Header=BB141_3 Depth=1
	ds_load_b64 v[44:45], v62 offset:19248
	ds_load_b64 v[46:47], v5 offset:18728
	s_wait_dscnt 0x0
	v_fmac_f64_e32 v[0:1], v[44:45], v[46:47]
.LBB141_604:                            ;   in Loop: Header=BB141_3 Depth=1
	s_or_b32 exec_lo, exec_lo, s45
	s_delay_alu instid0(VALU_DEP_1)
	v_xor_b32_e32 v1, 0x80000000, v1
.LBB141_605:                            ;   in Loop: Header=BB141_3 Depth=1
	s_or_b32 exec_lo, exec_lo, s44
	s_and_saveexec_b32 s44, s89
; %bb.606:                              ;   in Loop: Header=BB141_3 Depth=1
	ds_store_b64 v7, v[0:1]
; %bb.607:                              ;   in Loop: Header=BB141_3 Depth=1
	s_or_b32 exec_lo, exec_lo, s44
	s_wait_dscnt 0x0
	s_barrier_signal -1
	s_barrier_wait -1
	s_and_saveexec_b32 s44, s90
	s_cbranch_execz .LBB141_609
; %bb.608:                              ;   in Loop: Header=BB141_3 Depth=1
	ds_load_b64 v[44:45], v5 offset:19768
	ds_load_b64 v[46:47], v7
	s_wait_dscnt 0x0
	v_fmac_f64_e32 v[0:1], v[44:45], v[46:47]
.LBB141_609:                            ;   in Loop: Header=BB141_3 Depth=1
	s_or_b32 exec_lo, exec_lo, s44
	s_barrier_signal -1
	s_barrier_wait -1
	s_and_saveexec_b32 s44, s90
; %bb.610:                              ;   in Loop: Header=BB141_3 Depth=1
	ds_store_b64 v7, v[0:1]
; %bb.611:                              ;   in Loop: Header=BB141_3 Depth=1
	s_or_b32 exec_lo, exec_lo, s44
	s_wait_dscnt 0x0
	s_barrier_signal -1
	s_barrier_wait -1
	s_barrier_signal -1
	s_barrier_wait -1
	s_and_saveexec_b32 s44, s1
; %bb.612:                              ;   in Loop: Header=BB141_3 Depth=1
	v_xor_b32_e32 v1, 0x80000000, v1
	ds_store_b64 v50, v[0:1] offset:18736
; %bb.613:                              ;   in Loop: Header=BB141_3 Depth=1
	s_or_b32 exec_lo, exec_lo, s44
	s_wait_dscnt 0x0
	s_barrier_signal -1
	s_barrier_wait -1
	s_barrier_signal -1
	s_barrier_wait -1
	s_and_saveexec_b32 s44, s91
	s_cbranch_execz .LBB141_615
; %bb.614:                              ;   in Loop: Header=BB141_3 Depth=1
	ds_load_b64 v[0:1], v64 offset:18736
	s_wait_dscnt 0x0
	ds_store_b64 v62, v[0:1] offset:19744
	ds_load_b64 v[0:1], v64 offset:18744
	s_wait_dscnt 0x0
	ds_store_b64 v62, v[0:1] offset:20256
.LBB141_615:                            ;   in Loop: Header=BB141_3 Depth=1
	s_or_b32 exec_lo, exec_lo, s44
	s_wait_dscnt 0x0
	s_barrier_signal -1
	s_barrier_wait -1
	s_and_saveexec_b32 s44, s10
	s_cbranch_execz .LBB141_617
; %bb.616:                              ;   in Loop: Header=BB141_3 Depth=1
	ds_load_b64 v[0:1], v5 offset:19768
	v_mov_b32_e32 v2, v5
	ds_store_b64 v5, v[30:31] offset:19760
	s_wait_dscnt 0x1
	ds_store_b128 v5, v[0:3] offset:20272
.LBB141_617:                            ;   in Loop: Header=BB141_3 Depth=1
	s_or_b32 exec_lo, exec_lo, s44
	v_mov_b64_e32 v[0:1], 0
	s_wait_dscnt 0x0
	s_barrier_signal -1
	s_barrier_wait -1
	s_and_saveexec_b32 s44, s4
	s_cbranch_execz .LBB141_627
; %bb.618:                              ;   in Loop: Header=BB141_3 Depth=1
	ds_load_b64 v[0:1], v66 offset:16704
	ds_load_b64 v[44:45], v61 offset:16640
	s_wait_dscnt 0x0
	v_fma_f64 v[0:1], v[0:1], v[44:45], 0
	s_and_saveexec_b32 s45, s14
	s_cbranch_execnz .LBB141_1095
; %bb.619:                              ;   in Loop: Header=BB141_3 Depth=1
	s_or_b32 exec_lo, exec_lo, s45
	s_and_saveexec_b32 s45, s15
	s_cbranch_execnz .LBB141_1096
.LBB141_620:                            ;   in Loop: Header=BB141_3 Depth=1
	s_or_b32 exec_lo, exec_lo, s45
	s_and_saveexec_b32 s45, s16
	s_cbranch_execnz .LBB141_1097
.LBB141_621:                            ;   in Loop: Header=BB141_3 Depth=1
	s_or_b32 exec_lo, exec_lo, s45
	s_and_saveexec_b32 s45, s17
	s_cbranch_execnz .LBB141_1098
.LBB141_622:                            ;   in Loop: Header=BB141_3 Depth=1
	s_or_b32 exec_lo, exec_lo, s45
	s_and_saveexec_b32 s45, s18
	s_cbranch_execnz .LBB141_1099
.LBB141_623:                            ;   in Loop: Header=BB141_3 Depth=1
	s_or_b32 exec_lo, exec_lo, s45
	s_and_saveexec_b32 s45, s3
	s_cbranch_execnz .LBB141_1100
.LBB141_624:                            ;   in Loop: Header=BB141_3 Depth=1
	s_or_b32 exec_lo, exec_lo, s45
	s_and_saveexec_b32 s45, s13
	s_cbranch_execz .LBB141_626
.LBB141_625:                            ;   in Loop: Header=BB141_3 Depth=1
	ds_load_b64 v[44:45], v68 offset:20288
	ds_load_b64 v[46:47], v5 offset:16696
	s_wait_dscnt 0x0
	v_fmac_f64_e32 v[0:1], v[44:45], v[46:47]
.LBB141_626:                            ;   in Loop: Header=BB141_3 Depth=1
	s_or_b32 exec_lo, exec_lo, s45
	s_delay_alu instid0(VALU_DEP_1)
	v_xor_b32_e32 v1, 0x80000000, v1
.LBB141_627:                            ;   in Loop: Header=BB141_3 Depth=1
	s_or_b32 exec_lo, exec_lo, s44
	s_and_saveexec_b32 s44, s99
; %bb.628:                              ;   in Loop: Header=BB141_3 Depth=1
	ds_store_b64 v65, v[0:1]
; %bb.629:                              ;   in Loop: Header=BB141_3 Depth=1
	s_or_b32 exec_lo, exec_lo, s44
	s_wait_dscnt 0x0
	s_barrier_signal -1
	s_barrier_wait -1
	s_and_saveexec_b32 s44, s100
	s_cbranch_execz .LBB141_631
; %bb.630:                              ;   in Loop: Header=BB141_3 Depth=1
	ds_load_b64 v[44:45], v63 offset:20800
	ds_load_b64 v[46:47], v65
	s_wait_dscnt 0x0
	v_fmac_f64_e32 v[0:1], v[44:45], v[46:47]
.LBB141_631:                            ;   in Loop: Header=BB141_3 Depth=1
	s_or_b32 exec_lo, exec_lo, s44
	s_barrier_signal -1
	s_barrier_wait -1
	s_and_saveexec_b32 s44, s101
; %bb.632:                              ;   in Loop: Header=BB141_3 Depth=1
	ds_store_b64 v65, v[0:1]
; %bb.633:                              ;   in Loop: Header=BB141_3 Depth=1
	s_or_b32 exec_lo, exec_lo, s44
	s_wait_dscnt 0x0
	s_barrier_signal -1
	s_barrier_wait -1
	s_and_saveexec_b32 s44, s102
	s_cbranch_execz .LBB141_635
; %bb.634:                              ;   in Loop: Header=BB141_3 Depth=1
	ds_load_b64 v[44:45], v63 offset:21312
	ds_load_b64 v[46:47], v65
	s_wait_dscnt 0x0
	v_fmac_f64_e32 v[0:1], v[44:45], v[46:47]
.LBB141_635:                            ;   in Loop: Header=BB141_3 Depth=1
	s_or_b32 exec_lo, exec_lo, s44
	s_barrier_signal -1
	s_barrier_wait -1
	;; [unrolled: 19-line block ×3, first 2 shown]
	s_and_saveexec_b32 s44, vcc_hi
; %bb.640:                              ;   in Loop: Header=BB141_3 Depth=1
	ds_store_b64 v65, v[0:1]
; %bb.641:                              ;   in Loop: Header=BB141_3 Depth=1
	s_or_b32 exec_lo, exec_lo, s44
	s_wait_dscnt 0x0
	s_barrier_signal -1
	s_barrier_wait -1
	s_and_saveexec_b32 s44, s31
	s_cbranch_execz .LBB141_643
; %bb.642:                              ;   in Loop: Header=BB141_3 Depth=1
	ds_load_b64 v[44:45], v63 offset:22336
	ds_load_b64 v[46:47], v65
	s_wait_dscnt 0x0
	v_fmac_f64_e32 v[0:1], v[44:45], v[46:47]
.LBB141_643:                            ;   in Loop: Header=BB141_3 Depth=1
	s_or_b32 exec_lo, exec_lo, s44
	s_barrier_signal -1
	s_barrier_wait -1
	s_and_saveexec_b32 s44, s33
; %bb.644:                              ;   in Loop: Header=BB141_3 Depth=1
	ds_store_b64 v65, v[0:1]
; %bb.645:                              ;   in Loop: Header=BB141_3 Depth=1
	s_or_b32 exec_lo, exec_lo, s44
	s_wait_dscnt 0x0
	s_barrier_signal -1
	s_barrier_wait -1
	s_and_saveexec_b32 s44, s34
	s_cbranch_execz .LBB141_647
; %bb.646:                              ;   in Loop: Header=BB141_3 Depth=1
	ds_load_b64 v[44:45], v63 offset:22848
	ds_load_b64 v[46:47], v65
	s_wait_dscnt 0x0
	v_fmac_f64_e32 v[0:1], v[44:45], v[46:47]
.LBB141_647:                            ;   in Loop: Header=BB141_3 Depth=1
	s_or_b32 exec_lo, exec_lo, s44
	s_barrier_signal -1
	s_barrier_wait -1
	s_and_saveexec_b32 s44, s35
	;; [unrolled: 19-line block ×4, first 2 shown]
; %bb.656:                              ;   in Loop: Header=BB141_3 Depth=1
	ds_store_b64 v65, v[0:1]
; %bb.657:                              ;   in Loop: Header=BB141_3 Depth=1
	s_or_b32 exec_lo, exec_lo, s44
	s_wait_dscnt 0x0
	s_barrier_signal -1
	s_barrier_wait -1
	s_barrier_signal -1
	s_barrier_wait -1
	s_and_saveexec_b32 s44, s4
; %bb.658:                              ;   in Loop: Header=BB141_3 Depth=1
	v_xor_b32_e32 v1, 0x80000000, v1
	ds_store_b64 v66, v[0:1] offset:16704
; %bb.659:                              ;   in Loop: Header=BB141_3 Depth=1
	s_or_b32 exec_lo, exec_lo, s44
	s_wait_dscnt 0x0
	s_barrier_signal -1
	s_barrier_wait -1
	s_barrier_signal -1
	s_barrier_wait -1
	s_and_saveexec_b32 s44, s39
	s_cbranch_execz .LBB141_661
; %bb.660:                              ;   in Loop: Header=BB141_3 Depth=1
	ds_load_b64 v[0:1], v69 offset:16704
	s_wait_dscnt 0x0
	ds_store_b64 v70, v[0:1] offset:20736
	ds_load_b64 v[0:1], v69 offset:16712
	s_wait_dscnt 0x0
	ds_store_b64 v70, v[0:1] offset:21248
	;; [unrolled: 3-line block ×8, first 2 shown]
.LBB141_661:                            ;   in Loop: Header=BB141_3 Depth=1
	s_or_b32 exec_lo, exec_lo, s44
	s_wait_dscnt 0x0
	s_barrier_signal -1
	s_barrier_wait -1
	s_and_saveexec_b32 s44, s10
	s_cbranch_execz .LBB141_663
; %bb.662:                              ;   in Loop: Header=BB141_3 Depth=1
	ds_load_b64 v[0:1], v5 offset:20808
	v_mov_b32_e32 v2, v5
	ds_store_b64 v5, v[30:31] offset:20800
	s_wait_dscnt 0x1
	ds_store_b128 v5, v[0:3] offset:21312
.LBB141_663:                            ;   in Loop: Header=BB141_3 Depth=1
	s_or_b32 exec_lo, exec_lo, s44
	v_mov_b64_e32 v[0:1], 0
	s_wait_dscnt 0x0
	s_barrier_signal -1
	s_barrier_wait -1
	s_and_saveexec_b32 s44, s1
	s_cbranch_execz .LBB141_667
; %bb.664:                              ;   in Loop: Header=BB141_3 Depth=1
	ds_load_b64 v[0:1], v50 offset:20816
	ds_load_b64 v[44:45], v51 offset:20800
	s_wait_dscnt 0x0
	v_fma_f64 v[0:1], v[0:1], v[44:45], 0
	s_and_saveexec_b32 s45, s11
	s_cbranch_execz .LBB141_666
; %bb.665:                              ;   in Loop: Header=BB141_3 Depth=1
	ds_load_b64 v[44:45], v70 offset:21328
	ds_load_b64 v[46:47], v5 offset:20808
	s_wait_dscnt 0x0
	v_fmac_f64_e32 v[0:1], v[44:45], v[46:47]
.LBB141_666:                            ;   in Loop: Header=BB141_3 Depth=1
	s_or_b32 exec_lo, exec_lo, s45
	s_delay_alu instid0(VALU_DEP_1)
	v_xor_b32_e32 v1, 0x80000000, v1
.LBB141_667:                            ;   in Loop: Header=BB141_3 Depth=1
	s_or_b32 exec_lo, exec_lo, s44
	s_and_saveexec_b32 s44, s89
; %bb.668:                              ;   in Loop: Header=BB141_3 Depth=1
	ds_store_b64 v7, v[0:1]
; %bb.669:                              ;   in Loop: Header=BB141_3 Depth=1
	s_or_b32 exec_lo, exec_lo, s44
	s_wait_dscnt 0x0
	s_barrier_signal -1
	s_barrier_wait -1
	s_and_saveexec_b32 s44, s90
	s_cbranch_execz .LBB141_671
; %bb.670:                              ;   in Loop: Header=BB141_3 Depth=1
	ds_load_b64 v[44:45], v5 offset:21848
	ds_load_b64 v[46:47], v7
	s_wait_dscnt 0x0
	v_fmac_f64_e32 v[0:1], v[44:45], v[46:47]
.LBB141_671:                            ;   in Loop: Header=BB141_3 Depth=1
	s_or_b32 exec_lo, exec_lo, s44
	s_barrier_signal -1
	s_barrier_wait -1
	s_and_saveexec_b32 s44, s90
; %bb.672:                              ;   in Loop: Header=BB141_3 Depth=1
	ds_store_b64 v7, v[0:1]
; %bb.673:                              ;   in Loop: Header=BB141_3 Depth=1
	s_or_b32 exec_lo, exec_lo, s44
	s_wait_dscnt 0x0
	s_barrier_signal -1
	s_barrier_wait -1
	s_barrier_signal -1
	s_barrier_wait -1
	s_and_saveexec_b32 s44, s1
; %bb.674:                              ;   in Loop: Header=BB141_3 Depth=1
	v_xor_b32_e32 v1, 0x80000000, v1
	ds_store_b64 v50, v[0:1] offset:20816
; %bb.675:                              ;   in Loop: Header=BB141_3 Depth=1
	s_or_b32 exec_lo, exec_lo, s44
	s_wait_dscnt 0x0
	s_barrier_signal -1
	s_barrier_wait -1
	s_barrier_signal -1
	s_barrier_wait -1
	s_and_saveexec_b32 s44, s91
	s_cbranch_execz .LBB141_677
; %bb.676:                              ;   in Loop: Header=BB141_3 Depth=1
	ds_load_b64 v[0:1], v71 offset:20816
	s_wait_dscnt 0x0
	ds_store_b64 v70, v[0:1] offset:21824
	ds_load_b64 v[0:1], v71 offset:20824
	s_wait_dscnt 0x0
	ds_store_b64 v70, v[0:1] offset:22336
.LBB141_677:                            ;   in Loop: Header=BB141_3 Depth=1
	s_or_b32 exec_lo, exec_lo, s44
	s_wait_dscnt 0x0
	s_barrier_signal -1
	s_barrier_wait -1
	s_and_saveexec_b32 s44, s10
	s_cbranch_execz .LBB141_679
; %bb.678:                              ;   in Loop: Header=BB141_3 Depth=1
	ds_load_b64 v[0:1], v5 offset:21848
	v_mov_b32_e32 v2, v5
	ds_store_b64 v5, v[30:31] offset:21840
	s_wait_dscnt 0x1
	ds_store_b128 v5, v[0:3] offset:22352
.LBB141_679:                            ;   in Loop: Header=BB141_3 Depth=1
	s_or_b32 exec_lo, exec_lo, s44
	v_mov_b64_e32 v[0:1], 0
	s_wait_dscnt 0x0
	s_barrier_signal -1
	s_barrier_wait -1
	s_and_saveexec_b32 s44, s3
	s_cbranch_execz .LBB141_685
; %bb.680:                              ;   in Loop: Header=BB141_3 Depth=1
	ds_load_b64 v[0:1], v57 offset:20832
	ds_load_b64 v[44:45], v53 offset:20800
	s_wait_dscnt 0x0
	v_fma_f64 v[0:1], v[0:1], v[44:45], 0
	s_and_saveexec_b32 s45, s12
	s_cbranch_execnz .LBB141_1101
; %bb.681:                              ;   in Loop: Header=BB141_3 Depth=1
	s_or_b32 exec_lo, exec_lo, s45
	s_and_saveexec_b32 s45, s13
	s_cbranch_execnz .LBB141_1102
.LBB141_682:                            ;   in Loop: Header=BB141_3 Depth=1
	s_or_b32 exec_lo, exec_lo, s45
	s_and_saveexec_b32 s45, s1
	s_cbranch_execz .LBB141_684
.LBB141_683:                            ;   in Loop: Header=BB141_3 Depth=1
	ds_load_b64 v[44:45], v72 offset:22368
	ds_load_b64 v[46:47], v5 offset:20824
	s_wait_dscnt 0x0
	v_fmac_f64_e32 v[0:1], v[44:45], v[46:47]
.LBB141_684:                            ;   in Loop: Header=BB141_3 Depth=1
	s_or_b32 exec_lo, exec_lo, s45
	s_delay_alu instid0(VALU_DEP_1)
	v_xor_b32_e32 v1, 0x80000000, v1
.LBB141_685:                            ;   in Loop: Header=BB141_3 Depth=1
	s_or_b32 exec_lo, exec_lo, s44
	s_and_saveexec_b32 s44, s92
; %bb.686:                              ;   in Loop: Header=BB141_3 Depth=1
	ds_store_b64 v56, v[0:1]
; %bb.687:                              ;   in Loop: Header=BB141_3 Depth=1
	s_or_b32 exec_lo, exec_lo, s44
	s_wait_dscnt 0x0
	s_barrier_signal -1
	s_barrier_wait -1
	s_and_saveexec_b32 s44, s93
	s_cbranch_execz .LBB141_689
; %bb.688:                              ;   in Loop: Header=BB141_3 Depth=1
	ds_load_b64 v[44:45], v54 offset:22880
	ds_load_b64 v[46:47], v56
	s_wait_dscnt 0x0
	v_fmac_f64_e32 v[0:1], v[44:45], v[46:47]
.LBB141_689:                            ;   in Loop: Header=BB141_3 Depth=1
	s_or_b32 exec_lo, exec_lo, s44
	s_barrier_signal -1
	s_barrier_wait -1
	s_and_saveexec_b32 s44, s94
; %bb.690:                              ;   in Loop: Header=BB141_3 Depth=1
	ds_store_b64 v56, v[0:1]
; %bb.691:                              ;   in Loop: Header=BB141_3 Depth=1
	s_or_b32 exec_lo, exec_lo, s44
	s_wait_dscnt 0x0
	s_barrier_signal -1
	s_barrier_wait -1
	s_and_saveexec_b32 s44, s95
	s_cbranch_execz .LBB141_693
; %bb.692:                              ;   in Loop: Header=BB141_3 Depth=1
	ds_load_b64 v[44:45], v54 offset:23392
	ds_load_b64 v[46:47], v56
	s_wait_dscnt 0x0
	v_fmac_f64_e32 v[0:1], v[44:45], v[46:47]
.LBB141_693:                            ;   in Loop: Header=BB141_3 Depth=1
	s_or_b32 exec_lo, exec_lo, s44
	s_barrier_signal -1
	s_barrier_wait -1
	;; [unrolled: 19-line block ×3, first 2 shown]
	s_and_saveexec_b32 s44, s97
; %bb.698:                              ;   in Loop: Header=BB141_3 Depth=1
	ds_store_b64 v56, v[0:1]
; %bb.699:                              ;   in Loop: Header=BB141_3 Depth=1
	s_or_b32 exec_lo, exec_lo, s44
	s_wait_dscnt 0x0
	s_barrier_signal -1
	s_barrier_wait -1
	s_barrier_signal -1
	s_barrier_wait -1
	s_and_saveexec_b32 s44, s3
; %bb.700:                              ;   in Loop: Header=BB141_3 Depth=1
	v_xor_b32_e32 v1, 0x80000000, v1
	ds_store_b64 v57, v[0:1] offset:20832
; %bb.701:                              ;   in Loop: Header=BB141_3 Depth=1
	s_or_b32 exec_lo, exec_lo, s44
	s_wait_dscnt 0x0
	s_barrier_signal -1
	s_barrier_wait -1
	s_barrier_signal -1
	s_barrier_wait -1
	s_and_saveexec_b32 s44, s98
	s_cbranch_execz .LBB141_703
; %bb.702:                              ;   in Loop: Header=BB141_3 Depth=1
	ds_load_b64 v[0:1], v75 offset:20832
	s_wait_dscnt 0x0
	ds_store_b64 v11, v[0:1] offset:22848
	ds_load_b64 v[0:1], v75 offset:20840
	s_wait_dscnt 0x0
	ds_store_b64 v11, v[0:1] offset:23360
	;; [unrolled: 3-line block ×4, first 2 shown]
.LBB141_703:                            ;   in Loop: Header=BB141_3 Depth=1
	s_or_b32 exec_lo, exec_lo, s44
	s_wait_dscnt 0x0
	s_barrier_signal -1
	s_barrier_wait -1
	s_and_saveexec_b32 s44, s10
	s_cbranch_execz .LBB141_705
; %bb.704:                              ;   in Loop: Header=BB141_3 Depth=1
	ds_load_b64 v[0:1], v5 offset:22888
	v_mov_b32_e32 v2, v5
	ds_store_b64 v5, v[30:31] offset:22880
	s_wait_dscnt 0x1
	ds_store_b128 v5, v[0:3] offset:23392
.LBB141_705:                            ;   in Loop: Header=BB141_3 Depth=1
	s_or_b32 exec_lo, exec_lo, s44
	v_mov_b64_e32 v[0:1], 0
	s_wait_dscnt 0x0
	s_barrier_signal -1
	s_barrier_wait -1
	s_and_saveexec_b32 s44, s1
	s_cbranch_execz .LBB141_709
; %bb.706:                              ;   in Loop: Header=BB141_3 Depth=1
	ds_load_b64 v[0:1], v50 offset:22896
	ds_load_b64 v[44:45], v51 offset:22880
	s_wait_dscnt 0x0
	v_fma_f64 v[0:1], v[0:1], v[44:45], 0
	s_and_saveexec_b32 s45, s11
	s_cbranch_execz .LBB141_708
; %bb.707:                              ;   in Loop: Header=BB141_3 Depth=1
	ds_load_b64 v[44:45], v11 offset:23408
	ds_load_b64 v[46:47], v5 offset:22888
	s_wait_dscnt 0x0
	v_fmac_f64_e32 v[0:1], v[44:45], v[46:47]
.LBB141_708:                            ;   in Loop: Header=BB141_3 Depth=1
	s_or_b32 exec_lo, exec_lo, s45
	s_delay_alu instid0(VALU_DEP_1)
	v_xor_b32_e32 v1, 0x80000000, v1
.LBB141_709:                            ;   in Loop: Header=BB141_3 Depth=1
	s_or_b32 exec_lo, exec_lo, s44
	s_and_saveexec_b32 s44, s89
; %bb.710:                              ;   in Loop: Header=BB141_3 Depth=1
	ds_store_b64 v7, v[0:1]
; %bb.711:                              ;   in Loop: Header=BB141_3 Depth=1
	s_or_b32 exec_lo, exec_lo, s44
	s_wait_dscnt 0x0
	s_barrier_signal -1
	s_barrier_wait -1
	s_and_saveexec_b32 s44, s90
	s_cbranch_execz .LBB141_713
; %bb.712:                              ;   in Loop: Header=BB141_3 Depth=1
	ds_load_b64 v[44:45], v5 offset:23928
	ds_load_b64 v[46:47], v7
	s_wait_dscnt 0x0
	v_fmac_f64_e32 v[0:1], v[44:45], v[46:47]
.LBB141_713:                            ;   in Loop: Header=BB141_3 Depth=1
	s_or_b32 exec_lo, exec_lo, s44
	s_barrier_signal -1
	s_barrier_wait -1
	s_and_saveexec_b32 s44, s90
; %bb.714:                              ;   in Loop: Header=BB141_3 Depth=1
	ds_store_b64 v7, v[0:1]
; %bb.715:                              ;   in Loop: Header=BB141_3 Depth=1
	s_or_b32 exec_lo, exec_lo, s44
	s_wait_dscnt 0x0
	s_barrier_signal -1
	s_barrier_wait -1
	s_barrier_signal -1
	s_barrier_wait -1
	s_and_saveexec_b32 s44, s1
; %bb.716:                              ;   in Loop: Header=BB141_3 Depth=1
	v_xor_b32_e32 v1, 0x80000000, v1
	ds_store_b64 v50, v[0:1] offset:22896
; %bb.717:                              ;   in Loop: Header=BB141_3 Depth=1
	s_or_b32 exec_lo, exec_lo, s44
	s_wait_dscnt 0x0
	s_barrier_signal -1
	s_barrier_wait -1
	s_barrier_signal -1
	s_barrier_wait -1
	s_and_saveexec_b32 s44, s91
	s_cbranch_execz .LBB141_719
; %bb.718:                              ;   in Loop: Header=BB141_3 Depth=1
	ds_load_b64 v[0:1], v81 offset:22896
	s_wait_dscnt 0x0
	ds_store_b64 v11, v[0:1] offset:23904
	ds_load_b64 v[0:1], v81 offset:22904
	s_wait_dscnt 0x0
	ds_store_b64 v11, v[0:1] offset:24416
.LBB141_719:                            ;   in Loop: Header=BB141_3 Depth=1
	s_or_b32 exec_lo, exec_lo, s44
	s_wait_dscnt 0x0
	s_barrier_signal -1
	s_barrier_wait -1
	s_and_saveexec_b32 s44, s10
	s_cbranch_execz .LBB141_721
; %bb.720:                              ;   in Loop: Header=BB141_3 Depth=1
	ds_load_b64 v[0:1], v5 offset:23928
	v_mov_b32_e32 v2, v5
	ds_store_b64 v5, v[30:31] offset:23920
	s_wait_dscnt 0x1
	ds_store_b128 v5, v[0:3] offset:24432
.LBB141_721:                            ;   in Loop: Header=BB141_3 Depth=1
	s_or_b32 exec_lo, exec_lo, s44
	v_mov_b64_e32 v[0:1], 0
	s_wait_dscnt 0x0
	s_barrier_signal -1
	s_barrier_wait -1
	s_and_saveexec_b32 s82, s5
	s_cbranch_execz .LBB141_749
; %bb.722:                              ;   in Loop: Header=BB141_3 Depth=1
	ds_load_b64 v[0:1], v77 offset:16768
	ds_load_b64 v[44:45], v73 offset:16640
	s_wait_dscnt 0x0
	v_fma_f64 v[0:1], v[0:1], v[44:45], 0
	s_mov_b32 s44, exec_lo
	v_readlane_b32 s45, v103, 21
	s_and_b32 s45, s44, s45
	s_delay_alu instid0(SALU_CYCLE_1)
	s_mov_b32 exec_lo, s45
	s_cbranch_execz .LBB141_724
; %bb.723:                              ;   in Loop: Header=BB141_3 Depth=1
	ds_load_b64 v[44:45], v78 offset:17280
	ds_load_b64 v[46:47], v73 offset:16648
	s_wait_dscnt 0x0
	v_fmac_f64_e32 v[0:1], v[44:45], v[46:47]
.LBB141_724:                            ;   in Loop: Header=BB141_3 Depth=1
	s_or_b32 exec_lo, exec_lo, s44
	s_delay_alu instid0(SALU_CYCLE_1) | instskip(SKIP_2) | instid1(SALU_CYCLE_1)
	s_mov_b32 s44, exec_lo
	v_readlane_b32 s45, v103, 22
	s_and_b32 s45, s44, s45
	s_mov_b32 exec_lo, s45
	s_cbranch_execz .LBB141_726
; %bb.725:                              ;   in Loop: Header=BB141_3 Depth=1
	ds_load_b64 v[44:45], v78 offset:17792
	ds_load_b64 v[46:47], v73 offset:16656
	s_wait_dscnt 0x0
	v_fmac_f64_e32 v[0:1], v[44:45], v[46:47]
.LBB141_726:                            ;   in Loop: Header=BB141_3 Depth=1
	s_or_b32 exec_lo, exec_lo, s44
	s_delay_alu instid0(SALU_CYCLE_1) | instskip(SKIP_2) | instid1(SALU_CYCLE_1)
	s_mov_b32 s44, exec_lo
	v_readlane_b32 s45, v103, 23
	s_and_b32 s45, s44, s45
	;; [unrolled: 13-line block ×10, first 2 shown]
	s_mov_b32 exec_lo, s45
	s_cbranch_execnz .LBB141_1103
; %bb.743:                              ;   in Loop: Header=BB141_3 Depth=1
	s_or_b32 exec_lo, exec_lo, s44
	s_and_saveexec_b32 s44, s4
	s_cbranch_execnz .LBB141_1104
.LBB141_744:                            ;   in Loop: Header=BB141_3 Depth=1
	s_or_b32 exec_lo, exec_lo, s44
	s_and_saveexec_b32 s44, s15
	s_cbranch_execnz .LBB141_1105
.LBB141_745:                            ;   in Loop: Header=BB141_3 Depth=1
	s_or_b32 exec_lo, exec_lo, s44
	s_and_saveexec_b32 s44, s17
	s_cbranch_execnz .LBB141_1106
.LBB141_746:                            ;   in Loop: Header=BB141_3 Depth=1
	s_or_b32 exec_lo, exec_lo, s44
	s_and_saveexec_b32 s44, s3
	s_cbranch_execz .LBB141_748
.LBB141_747:                            ;   in Loop: Header=BB141_3 Depth=1
	ds_load_b64 v[44:45], v52 offset:24448
	ds_load_b64 v[46:47], v5 offset:16760
	s_wait_dscnt 0x0
	v_fmac_f64_e32 v[0:1], v[44:45], v[46:47]
.LBB141_748:                            ;   in Loop: Header=BB141_3 Depth=1
	s_or_b32 exec_lo, exec_lo, s44
	s_delay_alu instid0(VALU_DEP_1)
	v_xor_b32_e32 v1, 0x80000000, v1
.LBB141_749:                            ;   in Loop: Header=BB141_3 Depth=1
	s_or_b32 exec_lo, exec_lo, s82
	s_delay_alu instid0(SALU_CYCLE_1) | instskip(SKIP_2) | instid1(SALU_CYCLE_1)
	s_mov_b32 s44, exec_lo
	v_readlane_b32 s45, v103, 2
	s_and_b32 s45, s44, s45
	s_mov_b32 exec_lo, s45
; %bb.750:                              ;   in Loop: Header=BB141_3 Depth=1
	ds_store_b64 v76, v[0:1]
; %bb.751:                              ;   in Loop: Header=BB141_3 Depth=1
	s_or_b32 exec_lo, exec_lo, s44
	s_wait_dscnt 0x0
	s_barrier_signal -1
	s_barrier_wait -1
	s_mov_b32 s44, exec_lo
	v_readlane_b32 s45, v103, 3
	s_and_b32 s45, s44, s45
	s_delay_alu instid0(SALU_CYCLE_1)
	s_mov_b32 exec_lo, s45
	s_cbranch_execz .LBB141_753
; %bb.752:                              ;   in Loop: Header=BB141_3 Depth=1
	ds_load_b64 v[44:45], v74 offset:24960
	ds_load_b64 v[46:47], v76
	s_wait_dscnt 0x0
	v_fmac_f64_e32 v[0:1], v[44:45], v[46:47]
.LBB141_753:                            ;   in Loop: Header=BB141_3 Depth=1
	s_or_b32 exec_lo, exec_lo, s44
	s_barrier_signal -1
	s_barrier_wait -1
	s_mov_b32 s44, exec_lo
	v_readlane_b32 s45, v103, 4
	s_and_b32 s45, s44, s45
	s_delay_alu instid0(SALU_CYCLE_1)
	s_mov_b32 exec_lo, s45
; %bb.754:                              ;   in Loop: Header=BB141_3 Depth=1
	ds_store_b64 v76, v[0:1]
; %bb.755:                              ;   in Loop: Header=BB141_3 Depth=1
	s_or_b32 exec_lo, exec_lo, s44
	s_wait_dscnt 0x0
	s_barrier_signal -1
	s_barrier_wait -1
	s_mov_b32 s44, exec_lo
	v_readlane_b32 s45, v103, 5
	s_and_b32 s45, s44, s45
	s_delay_alu instid0(SALU_CYCLE_1)
	s_mov_b32 exec_lo, s45
	s_cbranch_execz .LBB141_757
; %bb.756:                              ;   in Loop: Header=BB141_3 Depth=1
	ds_load_b64 v[44:45], v74 offset:25472
	ds_load_b64 v[46:47], v76
	s_wait_dscnt 0x0
	v_fmac_f64_e32 v[0:1], v[44:45], v[46:47]
.LBB141_757:                            ;   in Loop: Header=BB141_3 Depth=1
	s_or_b32 exec_lo, exec_lo, s44
	s_barrier_signal -1
	s_barrier_wait -1
	s_mov_b32 s44, exec_lo
	v_readlane_b32 s45, v103, 6
	s_and_b32 s45, s44, s45
	s_delay_alu instid0(SALU_CYCLE_1)
	;; [unrolled: 27-line block ×4, first 2 shown]
	s_mov_b32 exec_lo, s45
; %bb.766:                              ;   in Loop: Header=BB141_3 Depth=1
	ds_store_b64 v76, v[0:1]
; %bb.767:                              ;   in Loop: Header=BB141_3 Depth=1
	s_or_b32 exec_lo, exec_lo, s44
	s_wait_dscnt 0x0
	s_barrier_signal -1
	s_barrier_wait -1
	s_and_saveexec_b32 s44, s49
	s_cbranch_execz .LBB141_769
; %bb.768:                              ;   in Loop: Header=BB141_3 Depth=1
	ds_load_b64 v[44:45], v74 offset:27008
	ds_load_b64 v[46:47], v76
	s_wait_dscnt 0x0
	v_fmac_f64_e32 v[0:1], v[44:45], v[46:47]
.LBB141_769:                            ;   in Loop: Header=BB141_3 Depth=1
	s_or_b32 exec_lo, exec_lo, s44
	s_barrier_signal -1
	s_barrier_wait -1
	s_and_saveexec_b32 s44, s50
; %bb.770:                              ;   in Loop: Header=BB141_3 Depth=1
	ds_store_b64 v76, v[0:1]
; %bb.771:                              ;   in Loop: Header=BB141_3 Depth=1
	s_or_b32 exec_lo, exec_lo, s44
	s_wait_dscnt 0x0
	s_barrier_signal -1
	s_barrier_wait -1
	s_and_saveexec_b32 s44, s51
	s_cbranch_execz .LBB141_773
; %bb.772:                              ;   in Loop: Header=BB141_3 Depth=1
	ds_load_b64 v[44:45], v74 offset:27520
	ds_load_b64 v[46:47], v76
	s_wait_dscnt 0x0
	v_fmac_f64_e32 v[0:1], v[44:45], v[46:47]
.LBB141_773:                            ;   in Loop: Header=BB141_3 Depth=1
	s_or_b32 exec_lo, exec_lo, s44
	s_barrier_signal -1
	s_barrier_wait -1
	s_and_saveexec_b32 s44, s52
	;; [unrolled: 19-line block ×11, first 2 shown]
; %bb.810:                              ;   in Loop: Header=BB141_3 Depth=1
	ds_store_b64 v76, v[0:1]
; %bb.811:                              ;   in Loop: Header=BB141_3 Depth=1
	s_or_b32 exec_lo, exec_lo, s44
	s_wait_dscnt 0x0
	s_barrier_signal -1
	s_barrier_wait -1
	s_barrier_signal -1
	s_barrier_wait -1
	s_and_saveexec_b32 s44, s5
; %bb.812:                              ;   in Loop: Header=BB141_3 Depth=1
	v_xor_b32_e32 v1, 0x80000000, v1
	ds_store_b64 v77, v[0:1] offset:16768
; %bb.813:                              ;   in Loop: Header=BB141_3 Depth=1
	s_or_b32 exec_lo, exec_lo, s44
	s_wait_dscnt 0x0
	s_barrier_signal -1
	s_barrier_wait -1
	s_barrier_signal -1
	s_barrier_wait -1
	s_and_saveexec_b32 s44, s87
	s_cbranch_execz .LBB141_815
; %bb.814:                              ;   in Loop: Header=BB141_3 Depth=1
	ds_load_b64 v[0:1], v55 offset:16768
	s_wait_dscnt 0x0
	ds_store_b64 v59, v[0:1] offset:24832
	ds_load_b64 v[0:1], v55 offset:16776
	s_wait_dscnt 0x0
	ds_store_b64 v59, v[0:1] offset:25344
	;; [unrolled: 3-line block ×16, first 2 shown]
.LBB141_815:                            ;   in Loop: Header=BB141_3 Depth=1
	s_or_b32 exec_lo, exec_lo, s44
	s_wait_dscnt 0x0
	s_barrier_signal -1
	s_barrier_wait -1
	s_and_saveexec_b32 s44, s10
	s_cbranch_execz .LBB141_817
; %bb.816:                              ;   in Loop: Header=BB141_3 Depth=1
	ds_load_b64 v[0:1], v5 offset:24968
	v_mov_b32_e32 v2, v5
	ds_store_b64 v5, v[30:31] offset:24960
	s_wait_dscnt 0x1
	ds_store_b128 v5, v[0:3] offset:25472
.LBB141_817:                            ;   in Loop: Header=BB141_3 Depth=1
	s_or_b32 exec_lo, exec_lo, s44
	v_mov_b64_e32 v[0:1], 0
	s_wait_dscnt 0x0
	s_barrier_signal -1
	s_barrier_wait -1
	s_and_saveexec_b32 s44, s1
	s_cbranch_execz .LBB141_821
; %bb.818:                              ;   in Loop: Header=BB141_3 Depth=1
	ds_load_b64 v[0:1], v50 offset:24976
	ds_load_b64 v[44:45], v51 offset:24960
	s_wait_dscnt 0x0
	v_fma_f64 v[0:1], v[0:1], v[44:45], 0
	s_and_saveexec_b32 s45, s11
	s_cbranch_execz .LBB141_820
; %bb.819:                              ;   in Loop: Header=BB141_3 Depth=1
	ds_load_b64 v[44:45], v52 offset:25488
	ds_load_b64 v[46:47], v5 offset:24968
	s_wait_dscnt 0x0
	v_fmac_f64_e32 v[0:1], v[44:45], v[46:47]
.LBB141_820:                            ;   in Loop: Header=BB141_3 Depth=1
	s_or_b32 exec_lo, exec_lo, s45
	s_delay_alu instid0(VALU_DEP_1)
	v_xor_b32_e32 v1, 0x80000000, v1
.LBB141_821:                            ;   in Loop: Header=BB141_3 Depth=1
	s_or_b32 exec_lo, exec_lo, s44
	s_and_saveexec_b32 s44, s89
; %bb.822:                              ;   in Loop: Header=BB141_3 Depth=1
	ds_store_b64 v7, v[0:1]
; %bb.823:                              ;   in Loop: Header=BB141_3 Depth=1
	s_or_b32 exec_lo, exec_lo, s44
	s_wait_dscnt 0x0
	s_barrier_signal -1
	s_barrier_wait -1
	s_and_saveexec_b32 s44, s90
	s_cbranch_execz .LBB141_825
; %bb.824:                              ;   in Loop: Header=BB141_3 Depth=1
	ds_load_b64 v[44:45], v5 offset:26008
	ds_load_b64 v[46:47], v7
	s_wait_dscnt 0x0
	v_fmac_f64_e32 v[0:1], v[44:45], v[46:47]
.LBB141_825:                            ;   in Loop: Header=BB141_3 Depth=1
	s_or_b32 exec_lo, exec_lo, s44
	s_barrier_signal -1
	s_barrier_wait -1
	s_and_saveexec_b32 s44, s90
; %bb.826:                              ;   in Loop: Header=BB141_3 Depth=1
	ds_store_b64 v7, v[0:1]
; %bb.827:                              ;   in Loop: Header=BB141_3 Depth=1
	s_or_b32 exec_lo, exec_lo, s44
	s_wait_dscnt 0x0
	s_barrier_signal -1
	s_barrier_wait -1
	s_barrier_signal -1
	s_barrier_wait -1
	s_and_saveexec_b32 s44, s1
; %bb.828:                              ;   in Loop: Header=BB141_3 Depth=1
	v_xor_b32_e32 v1, 0x80000000, v1
	ds_store_b64 v50, v[0:1] offset:24976
; %bb.829:                              ;   in Loop: Header=BB141_3 Depth=1
	s_or_b32 exec_lo, exec_lo, s44
	s_wait_dscnt 0x0
	s_barrier_signal -1
	s_barrier_wait -1
	s_barrier_signal -1
	s_barrier_wait -1
	s_and_saveexec_b32 s44, s91
	s_cbranch_execz .LBB141_831
; %bb.830:                              ;   in Loop: Header=BB141_3 Depth=1
	ds_load_b64 v[0:1], v55 offset:24976
	s_wait_dscnt 0x0
	ds_store_b64 v52, v[0:1] offset:25984
	ds_load_b64 v[0:1], v55 offset:24984
	s_wait_dscnt 0x0
	ds_store_b64 v52, v[0:1] offset:26496
.LBB141_831:                            ;   in Loop: Header=BB141_3 Depth=1
	s_or_b32 exec_lo, exec_lo, s44
	s_wait_dscnt 0x0
	s_barrier_signal -1
	s_barrier_wait -1
	s_and_saveexec_b32 s44, s10
	s_cbranch_execz .LBB141_833
; %bb.832:                              ;   in Loop: Header=BB141_3 Depth=1
	ds_load_b64 v[0:1], v5 offset:26008
	v_mov_b32_e32 v2, v5
	ds_store_b64 v5, v[30:31] offset:26000
	s_wait_dscnt 0x1
	ds_store_b128 v5, v[0:3] offset:26512
.LBB141_833:                            ;   in Loop: Header=BB141_3 Depth=1
	s_or_b32 exec_lo, exec_lo, s44
	v_mov_b64_e32 v[0:1], 0
	s_wait_dscnt 0x0
	s_barrier_signal -1
	s_barrier_wait -1
	s_and_saveexec_b32 s44, s3
	s_cbranch_execz .LBB141_839
; %bb.834:                              ;   in Loop: Header=BB141_3 Depth=1
	ds_load_b64 v[0:1], v57 offset:24992
	ds_load_b64 v[44:45], v53 offset:24960
	s_wait_dscnt 0x0
	v_fma_f64 v[0:1], v[0:1], v[44:45], 0
	s_and_saveexec_b32 s45, s12
	s_cbranch_execnz .LBB141_1107
; %bb.835:                              ;   in Loop: Header=BB141_3 Depth=1
	s_or_b32 exec_lo, exec_lo, s45
	s_and_saveexec_b32 s45, s13
	s_cbranch_execnz .LBB141_1108
.LBB141_836:                            ;   in Loop: Header=BB141_3 Depth=1
	s_or_b32 exec_lo, exec_lo, s45
	s_and_saveexec_b32 s45, s1
	s_cbranch_execz .LBB141_838
.LBB141_837:                            ;   in Loop: Header=BB141_3 Depth=1
	ds_load_b64 v[44:45], v59 offset:26528
	ds_load_b64 v[46:47], v5 offset:24984
	s_wait_dscnt 0x0
	v_fmac_f64_e32 v[0:1], v[44:45], v[46:47]
.LBB141_838:                            ;   in Loop: Header=BB141_3 Depth=1
	s_or_b32 exec_lo, exec_lo, s45
	s_delay_alu instid0(VALU_DEP_1)
	v_xor_b32_e32 v1, 0x80000000, v1
.LBB141_839:                            ;   in Loop: Header=BB141_3 Depth=1
	s_or_b32 exec_lo, exec_lo, s44
	s_and_saveexec_b32 s44, s92
; %bb.840:                              ;   in Loop: Header=BB141_3 Depth=1
	ds_store_b64 v56, v[0:1]
; %bb.841:                              ;   in Loop: Header=BB141_3 Depth=1
	s_or_b32 exec_lo, exec_lo, s44
	s_wait_dscnt 0x0
	s_barrier_signal -1
	s_barrier_wait -1
	s_and_saveexec_b32 s44, s93
	s_cbranch_execz .LBB141_843
; %bb.842:                              ;   in Loop: Header=BB141_3 Depth=1
	ds_load_b64 v[44:45], v54 offset:27040
	ds_load_b64 v[46:47], v56
	s_wait_dscnt 0x0
	v_fmac_f64_e32 v[0:1], v[44:45], v[46:47]
.LBB141_843:                            ;   in Loop: Header=BB141_3 Depth=1
	s_or_b32 exec_lo, exec_lo, s44
	s_barrier_signal -1
	s_barrier_wait -1
	s_and_saveexec_b32 s44, s94
; %bb.844:                              ;   in Loop: Header=BB141_3 Depth=1
	ds_store_b64 v56, v[0:1]
; %bb.845:                              ;   in Loop: Header=BB141_3 Depth=1
	s_or_b32 exec_lo, exec_lo, s44
	s_wait_dscnt 0x0
	s_barrier_signal -1
	s_barrier_wait -1
	s_and_saveexec_b32 s44, s95
	s_cbranch_execz .LBB141_847
; %bb.846:                              ;   in Loop: Header=BB141_3 Depth=1
	ds_load_b64 v[44:45], v54 offset:27552
	ds_load_b64 v[46:47], v56
	s_wait_dscnt 0x0
	v_fmac_f64_e32 v[0:1], v[44:45], v[46:47]
.LBB141_847:                            ;   in Loop: Header=BB141_3 Depth=1
	s_or_b32 exec_lo, exec_lo, s44
	s_barrier_signal -1
	s_barrier_wait -1
	;; [unrolled: 19-line block ×3, first 2 shown]
	s_and_saveexec_b32 s44, s97
; %bb.852:                              ;   in Loop: Header=BB141_3 Depth=1
	ds_store_b64 v56, v[0:1]
; %bb.853:                              ;   in Loop: Header=BB141_3 Depth=1
	s_or_b32 exec_lo, exec_lo, s44
	s_wait_dscnt 0x0
	s_barrier_signal -1
	s_barrier_wait -1
	s_barrier_signal -1
	s_barrier_wait -1
	s_and_saveexec_b32 s44, s3
; %bb.854:                              ;   in Loop: Header=BB141_3 Depth=1
	v_xor_b32_e32 v1, 0x80000000, v1
	ds_store_b64 v57, v[0:1] offset:24992
; %bb.855:                              ;   in Loop: Header=BB141_3 Depth=1
	s_or_b32 exec_lo, exec_lo, s44
	s_wait_dscnt 0x0
	s_barrier_signal -1
	s_barrier_wait -1
	s_barrier_signal -1
	s_barrier_wait -1
	s_and_saveexec_b32 s44, s98
	s_cbranch_execz .LBB141_857
; %bb.856:                              ;   in Loop: Header=BB141_3 Depth=1
	ds_load_b64 v[0:1], v60 offset:24992
	s_wait_dscnt 0x0
	ds_store_b64 v62, v[0:1] offset:27008
	ds_load_b64 v[0:1], v60 offset:25000
	s_wait_dscnt 0x0
	ds_store_b64 v62, v[0:1] offset:27520
	;; [unrolled: 3-line block ×4, first 2 shown]
.LBB141_857:                            ;   in Loop: Header=BB141_3 Depth=1
	s_or_b32 exec_lo, exec_lo, s44
	s_wait_dscnt 0x0
	s_barrier_signal -1
	s_barrier_wait -1
	s_and_saveexec_b32 s44, s10
	s_cbranch_execz .LBB141_859
; %bb.858:                              ;   in Loop: Header=BB141_3 Depth=1
	ds_load_b64 v[0:1], v5 offset:27048
	v_mov_b32_e32 v2, v5
	ds_store_b64 v5, v[30:31] offset:27040
	s_wait_dscnt 0x1
	ds_store_b128 v5, v[0:3] offset:27552
.LBB141_859:                            ;   in Loop: Header=BB141_3 Depth=1
	s_or_b32 exec_lo, exec_lo, s44
	v_mov_b64_e32 v[0:1], 0
	s_wait_dscnt 0x0
	s_barrier_signal -1
	s_barrier_wait -1
	s_and_saveexec_b32 s44, s1
	s_cbranch_execz .LBB141_863
; %bb.860:                              ;   in Loop: Header=BB141_3 Depth=1
	ds_load_b64 v[0:1], v50 offset:27056
	ds_load_b64 v[44:45], v51 offset:27040
	s_wait_dscnt 0x0
	v_fma_f64 v[0:1], v[0:1], v[44:45], 0
	s_and_saveexec_b32 s45, s11
	s_cbranch_execz .LBB141_862
; %bb.861:                              ;   in Loop: Header=BB141_3 Depth=1
	ds_load_b64 v[44:45], v62 offset:27568
	ds_load_b64 v[46:47], v5 offset:27048
	s_wait_dscnt 0x0
	v_fmac_f64_e32 v[0:1], v[44:45], v[46:47]
.LBB141_862:                            ;   in Loop: Header=BB141_3 Depth=1
	s_or_b32 exec_lo, exec_lo, s45
	s_delay_alu instid0(VALU_DEP_1)
	v_xor_b32_e32 v1, 0x80000000, v1
.LBB141_863:                            ;   in Loop: Header=BB141_3 Depth=1
	s_or_b32 exec_lo, exec_lo, s44
	s_and_saveexec_b32 s44, s89
; %bb.864:                              ;   in Loop: Header=BB141_3 Depth=1
	ds_store_b64 v7, v[0:1]
; %bb.865:                              ;   in Loop: Header=BB141_3 Depth=1
	s_or_b32 exec_lo, exec_lo, s44
	s_wait_dscnt 0x0
	s_barrier_signal -1
	s_barrier_wait -1
	s_and_saveexec_b32 s44, s90
	s_cbranch_execz .LBB141_867
; %bb.866:                              ;   in Loop: Header=BB141_3 Depth=1
	ds_load_b64 v[44:45], v5 offset:28088
	ds_load_b64 v[46:47], v7
	s_wait_dscnt 0x0
	v_fmac_f64_e32 v[0:1], v[44:45], v[46:47]
.LBB141_867:                            ;   in Loop: Header=BB141_3 Depth=1
	s_or_b32 exec_lo, exec_lo, s44
	s_barrier_signal -1
	s_barrier_wait -1
	s_and_saveexec_b32 s44, s90
; %bb.868:                              ;   in Loop: Header=BB141_3 Depth=1
	ds_store_b64 v7, v[0:1]
; %bb.869:                              ;   in Loop: Header=BB141_3 Depth=1
	s_or_b32 exec_lo, exec_lo, s44
	s_wait_dscnt 0x0
	s_barrier_signal -1
	s_barrier_wait -1
	s_barrier_signal -1
	s_barrier_wait -1
	s_and_saveexec_b32 s44, s1
; %bb.870:                              ;   in Loop: Header=BB141_3 Depth=1
	v_xor_b32_e32 v1, 0x80000000, v1
	ds_store_b64 v50, v[0:1] offset:27056
; %bb.871:                              ;   in Loop: Header=BB141_3 Depth=1
	s_or_b32 exec_lo, exec_lo, s44
	s_wait_dscnt 0x0
	s_barrier_signal -1
	s_barrier_wait -1
	s_barrier_signal -1
	s_barrier_wait -1
	s_and_saveexec_b32 s44, s91
	s_cbranch_execz .LBB141_873
; %bb.872:                              ;   in Loop: Header=BB141_3 Depth=1
	ds_load_b64 v[0:1], v64 offset:27056
	s_wait_dscnt 0x0
	ds_store_b64 v62, v[0:1] offset:28064
	ds_load_b64 v[0:1], v64 offset:27064
	s_wait_dscnt 0x0
	ds_store_b64 v62, v[0:1] offset:28576
.LBB141_873:                            ;   in Loop: Header=BB141_3 Depth=1
	s_or_b32 exec_lo, exec_lo, s44
	s_wait_dscnt 0x0
	s_barrier_signal -1
	s_barrier_wait -1
	s_and_saveexec_b32 s44, s10
	s_cbranch_execz .LBB141_875
; %bb.874:                              ;   in Loop: Header=BB141_3 Depth=1
	ds_load_b64 v[0:1], v5 offset:28088
	v_mov_b32_e32 v2, v5
	ds_store_b64 v5, v[30:31] offset:28080
	s_wait_dscnt 0x1
	ds_store_b128 v5, v[0:3] offset:28592
.LBB141_875:                            ;   in Loop: Header=BB141_3 Depth=1
	s_or_b32 exec_lo, exec_lo, s44
	v_mov_b64_e32 v[0:1], 0
	s_wait_dscnt 0x0
	s_barrier_signal -1
	s_barrier_wait -1
	s_and_saveexec_b32 s44, s4
	s_cbranch_execz .LBB141_885
; %bb.876:                              ;   in Loop: Header=BB141_3 Depth=1
	ds_load_b64 v[0:1], v66 offset:25024
	ds_load_b64 v[44:45], v61 offset:24960
	s_wait_dscnt 0x0
	v_fma_f64 v[0:1], v[0:1], v[44:45], 0
	s_and_saveexec_b32 s45, s14
	s_cbranch_execnz .LBB141_1109
; %bb.877:                              ;   in Loop: Header=BB141_3 Depth=1
	s_or_b32 exec_lo, exec_lo, s45
	s_and_saveexec_b32 s45, s15
	s_cbranch_execnz .LBB141_1110
.LBB141_878:                            ;   in Loop: Header=BB141_3 Depth=1
	s_or_b32 exec_lo, exec_lo, s45
	s_and_saveexec_b32 s45, s16
	s_cbranch_execnz .LBB141_1111
.LBB141_879:                            ;   in Loop: Header=BB141_3 Depth=1
	s_or_b32 exec_lo, exec_lo, s45
	s_and_saveexec_b32 s45, s17
	s_cbranch_execnz .LBB141_1112
.LBB141_880:                            ;   in Loop: Header=BB141_3 Depth=1
	s_or_b32 exec_lo, exec_lo, s45
	s_and_saveexec_b32 s45, s18
	s_cbranch_execnz .LBB141_1113
.LBB141_881:                            ;   in Loop: Header=BB141_3 Depth=1
	s_or_b32 exec_lo, exec_lo, s45
	s_and_saveexec_b32 s45, s3
	s_cbranch_execnz .LBB141_1114
.LBB141_882:                            ;   in Loop: Header=BB141_3 Depth=1
	s_or_b32 exec_lo, exec_lo, s45
	s_and_saveexec_b32 s45, s13
	s_cbranch_execz .LBB141_884
.LBB141_883:                            ;   in Loop: Header=BB141_3 Depth=1
	ds_load_b64 v[44:45], v68 offset:28608
	ds_load_b64 v[46:47], v5 offset:25016
	s_wait_dscnt 0x0
	v_fmac_f64_e32 v[0:1], v[44:45], v[46:47]
.LBB141_884:                            ;   in Loop: Header=BB141_3 Depth=1
	s_or_b32 exec_lo, exec_lo, s45
	s_delay_alu instid0(VALU_DEP_1)
	v_xor_b32_e32 v1, 0x80000000, v1
.LBB141_885:                            ;   in Loop: Header=BB141_3 Depth=1
	s_or_b32 exec_lo, exec_lo, s44
	s_and_saveexec_b32 s44, s99
; %bb.886:                              ;   in Loop: Header=BB141_3 Depth=1
	ds_store_b64 v65, v[0:1]
; %bb.887:                              ;   in Loop: Header=BB141_3 Depth=1
	s_or_b32 exec_lo, exec_lo, s44
	s_wait_dscnt 0x0
	s_barrier_signal -1
	s_barrier_wait -1
	s_and_saveexec_b32 s44, s100
	s_cbranch_execz .LBB141_889
; %bb.888:                              ;   in Loop: Header=BB141_3 Depth=1
	ds_load_b64 v[44:45], v63 offset:29120
	ds_load_b64 v[46:47], v65
	s_wait_dscnt 0x0
	v_fmac_f64_e32 v[0:1], v[44:45], v[46:47]
.LBB141_889:                            ;   in Loop: Header=BB141_3 Depth=1
	s_or_b32 exec_lo, exec_lo, s44
	s_barrier_signal -1
	s_barrier_wait -1
	s_and_saveexec_b32 s44, s101
; %bb.890:                              ;   in Loop: Header=BB141_3 Depth=1
	ds_store_b64 v65, v[0:1]
; %bb.891:                              ;   in Loop: Header=BB141_3 Depth=1
	s_or_b32 exec_lo, exec_lo, s44
	s_wait_dscnt 0x0
	s_barrier_signal -1
	s_barrier_wait -1
	s_and_saveexec_b32 s44, s102
	s_cbranch_execz .LBB141_893
; %bb.892:                              ;   in Loop: Header=BB141_3 Depth=1
	ds_load_b64 v[44:45], v63 offset:29632
	ds_load_b64 v[46:47], v65
	s_wait_dscnt 0x0
	v_fmac_f64_e32 v[0:1], v[44:45], v[46:47]
.LBB141_893:                            ;   in Loop: Header=BB141_3 Depth=1
	s_or_b32 exec_lo, exec_lo, s44
	s_barrier_signal -1
	s_barrier_wait -1
	;; [unrolled: 19-line block ×3, first 2 shown]
	s_and_saveexec_b32 s44, vcc_hi
; %bb.898:                              ;   in Loop: Header=BB141_3 Depth=1
	ds_store_b64 v65, v[0:1]
; %bb.899:                              ;   in Loop: Header=BB141_3 Depth=1
	s_or_b32 exec_lo, exec_lo, s44
	s_wait_dscnt 0x0
	s_barrier_signal -1
	s_barrier_wait -1
	s_and_saveexec_b32 s44, s31
	s_cbranch_execz .LBB141_901
; %bb.900:                              ;   in Loop: Header=BB141_3 Depth=1
	ds_load_b64 v[44:45], v63 offset:30656
	ds_load_b64 v[46:47], v65
	s_wait_dscnt 0x0
	v_fmac_f64_e32 v[0:1], v[44:45], v[46:47]
.LBB141_901:                            ;   in Loop: Header=BB141_3 Depth=1
	s_or_b32 exec_lo, exec_lo, s44
	s_barrier_signal -1
	s_barrier_wait -1
	s_and_saveexec_b32 s44, s33
; %bb.902:                              ;   in Loop: Header=BB141_3 Depth=1
	ds_store_b64 v65, v[0:1]
; %bb.903:                              ;   in Loop: Header=BB141_3 Depth=1
	s_or_b32 exec_lo, exec_lo, s44
	s_wait_dscnt 0x0
	s_barrier_signal -1
	s_barrier_wait -1
	s_and_saveexec_b32 s44, s34
	s_cbranch_execz .LBB141_905
; %bb.904:                              ;   in Loop: Header=BB141_3 Depth=1
	ds_load_b64 v[44:45], v63 offset:31168
	ds_load_b64 v[46:47], v65
	s_wait_dscnt 0x0
	v_fmac_f64_e32 v[0:1], v[44:45], v[46:47]
.LBB141_905:                            ;   in Loop: Header=BB141_3 Depth=1
	s_or_b32 exec_lo, exec_lo, s44
	s_barrier_signal -1
	s_barrier_wait -1
	s_and_saveexec_b32 s44, s35
	;; [unrolled: 19-line block ×4, first 2 shown]
; %bb.914:                              ;   in Loop: Header=BB141_3 Depth=1
	ds_store_b64 v65, v[0:1]
; %bb.915:                              ;   in Loop: Header=BB141_3 Depth=1
	s_or_b32 exec_lo, exec_lo, s44
	s_wait_dscnt 0x0
	s_barrier_signal -1
	s_barrier_wait -1
	s_barrier_signal -1
	s_barrier_wait -1
	s_and_saveexec_b32 s44, s4
; %bb.916:                              ;   in Loop: Header=BB141_3 Depth=1
	v_xor_b32_e32 v1, 0x80000000, v1
	ds_store_b64 v66, v[0:1] offset:25024
; %bb.917:                              ;   in Loop: Header=BB141_3 Depth=1
	s_or_b32 exec_lo, exec_lo, s44
	s_wait_dscnt 0x0
	s_barrier_signal -1
	s_barrier_wait -1
	s_barrier_signal -1
	s_barrier_wait -1
	s_and_saveexec_b32 s44, s39
	s_cbranch_execz .LBB141_919
; %bb.918:                              ;   in Loop: Header=BB141_3 Depth=1
	ds_load_b64 v[0:1], v69 offset:25024
	s_wait_dscnt 0x0
	ds_store_b64 v70, v[0:1] offset:29056
	ds_load_b64 v[0:1], v69 offset:25032
	s_wait_dscnt 0x0
	ds_store_b64 v70, v[0:1] offset:29568
	;; [unrolled: 3-line block ×8, first 2 shown]
.LBB141_919:                            ;   in Loop: Header=BB141_3 Depth=1
	s_or_b32 exec_lo, exec_lo, s44
	s_wait_dscnt 0x0
	s_barrier_signal -1
	s_barrier_wait -1
	s_and_saveexec_b32 s44, s10
	s_cbranch_execz .LBB141_921
; %bb.920:                              ;   in Loop: Header=BB141_3 Depth=1
	ds_load_b64 v[0:1], v5 offset:29128
	v_mov_b32_e32 v2, v5
	ds_store_b64 v5, v[30:31] offset:29120
	s_wait_dscnt 0x1
	ds_store_b128 v5, v[0:3] offset:29632
.LBB141_921:                            ;   in Loop: Header=BB141_3 Depth=1
	s_or_b32 exec_lo, exec_lo, s44
	v_mov_b64_e32 v[0:1], 0
	s_wait_dscnt 0x0
	s_barrier_signal -1
	s_barrier_wait -1
	s_and_saveexec_b32 s44, s1
	s_cbranch_execz .LBB141_925
; %bb.922:                              ;   in Loop: Header=BB141_3 Depth=1
	ds_load_b64 v[0:1], v50 offset:29136
	ds_load_b64 v[44:45], v51 offset:29120
	s_wait_dscnt 0x0
	v_fma_f64 v[0:1], v[0:1], v[44:45], 0
	s_and_saveexec_b32 s45, s11
	s_cbranch_execz .LBB141_924
; %bb.923:                              ;   in Loop: Header=BB141_3 Depth=1
	ds_load_b64 v[44:45], v70 offset:29648
	ds_load_b64 v[46:47], v5 offset:29128
	s_wait_dscnt 0x0
	v_fmac_f64_e32 v[0:1], v[44:45], v[46:47]
.LBB141_924:                            ;   in Loop: Header=BB141_3 Depth=1
	s_or_b32 exec_lo, exec_lo, s45
	s_delay_alu instid0(VALU_DEP_1)
	v_xor_b32_e32 v1, 0x80000000, v1
.LBB141_925:                            ;   in Loop: Header=BB141_3 Depth=1
	s_or_b32 exec_lo, exec_lo, s44
	s_and_saveexec_b32 s44, s89
; %bb.926:                              ;   in Loop: Header=BB141_3 Depth=1
	ds_store_b64 v7, v[0:1]
; %bb.927:                              ;   in Loop: Header=BB141_3 Depth=1
	s_or_b32 exec_lo, exec_lo, s44
	s_wait_dscnt 0x0
	s_barrier_signal -1
	s_barrier_wait -1
	s_and_saveexec_b32 s44, s90
	s_cbranch_execz .LBB141_929
; %bb.928:                              ;   in Loop: Header=BB141_3 Depth=1
	ds_load_b64 v[44:45], v5 offset:30168
	ds_load_b64 v[46:47], v7
	s_wait_dscnt 0x0
	v_fmac_f64_e32 v[0:1], v[44:45], v[46:47]
.LBB141_929:                            ;   in Loop: Header=BB141_3 Depth=1
	s_or_b32 exec_lo, exec_lo, s44
	s_barrier_signal -1
	s_barrier_wait -1
	s_and_saveexec_b32 s44, s90
; %bb.930:                              ;   in Loop: Header=BB141_3 Depth=1
	ds_store_b64 v7, v[0:1]
; %bb.931:                              ;   in Loop: Header=BB141_3 Depth=1
	s_or_b32 exec_lo, exec_lo, s44
	s_wait_dscnt 0x0
	s_barrier_signal -1
	s_barrier_wait -1
	s_barrier_signal -1
	s_barrier_wait -1
	s_and_saveexec_b32 s44, s1
; %bb.932:                              ;   in Loop: Header=BB141_3 Depth=1
	v_xor_b32_e32 v1, 0x80000000, v1
	ds_store_b64 v50, v[0:1] offset:29136
; %bb.933:                              ;   in Loop: Header=BB141_3 Depth=1
	s_or_b32 exec_lo, exec_lo, s44
	s_wait_dscnt 0x0
	s_barrier_signal -1
	s_barrier_wait -1
	s_barrier_signal -1
	s_barrier_wait -1
	s_and_saveexec_b32 s44, s91
	s_cbranch_execz .LBB141_935
; %bb.934:                              ;   in Loop: Header=BB141_3 Depth=1
	ds_load_b64 v[0:1], v71 offset:29136
	s_wait_dscnt 0x0
	ds_store_b64 v70, v[0:1] offset:30144
	ds_load_b64 v[0:1], v71 offset:29144
	s_wait_dscnt 0x0
	ds_store_b64 v70, v[0:1] offset:30656
.LBB141_935:                            ;   in Loop: Header=BB141_3 Depth=1
	s_or_b32 exec_lo, exec_lo, s44
	s_wait_dscnt 0x0
	s_barrier_signal -1
	s_barrier_wait -1
	s_and_saveexec_b32 s44, s10
	s_cbranch_execz .LBB141_937
; %bb.936:                              ;   in Loop: Header=BB141_3 Depth=1
	ds_load_b64 v[0:1], v5 offset:30168
	v_mov_b32_e32 v2, v5
	ds_store_b64 v5, v[30:31] offset:30160
	s_wait_dscnt 0x1
	ds_store_b128 v5, v[0:3] offset:30672
.LBB141_937:                            ;   in Loop: Header=BB141_3 Depth=1
	s_or_b32 exec_lo, exec_lo, s44
	v_mov_b64_e32 v[0:1], 0
	s_wait_dscnt 0x0
	s_barrier_signal -1
	s_barrier_wait -1
	s_and_saveexec_b32 s44, s3
	s_cbranch_execz .LBB141_943
; %bb.938:                              ;   in Loop: Header=BB141_3 Depth=1
	ds_load_b64 v[0:1], v57 offset:29152
	ds_load_b64 v[44:45], v53 offset:29120
	s_wait_dscnt 0x0
	v_fma_f64 v[0:1], v[0:1], v[44:45], 0
	s_and_saveexec_b32 s45, s12
	s_cbranch_execnz .LBB141_1115
; %bb.939:                              ;   in Loop: Header=BB141_3 Depth=1
	s_or_b32 exec_lo, exec_lo, s45
	s_and_saveexec_b32 s45, s13
	s_cbranch_execnz .LBB141_1116
.LBB141_940:                            ;   in Loop: Header=BB141_3 Depth=1
	s_or_b32 exec_lo, exec_lo, s45
	s_and_saveexec_b32 s45, s1
	s_cbranch_execz .LBB141_942
.LBB141_941:                            ;   in Loop: Header=BB141_3 Depth=1
	ds_load_b64 v[44:45], v72 offset:30688
	ds_load_b64 v[46:47], v5 offset:29144
	s_wait_dscnt 0x0
	v_fmac_f64_e32 v[0:1], v[44:45], v[46:47]
.LBB141_942:                            ;   in Loop: Header=BB141_3 Depth=1
	s_or_b32 exec_lo, exec_lo, s45
	s_delay_alu instid0(VALU_DEP_1)
	v_xor_b32_e32 v1, 0x80000000, v1
.LBB141_943:                            ;   in Loop: Header=BB141_3 Depth=1
	s_or_b32 exec_lo, exec_lo, s44
	s_and_saveexec_b32 s44, s92
; %bb.944:                              ;   in Loop: Header=BB141_3 Depth=1
	ds_store_b64 v56, v[0:1]
; %bb.945:                              ;   in Loop: Header=BB141_3 Depth=1
	s_or_b32 exec_lo, exec_lo, s44
	s_wait_dscnt 0x0
	s_barrier_signal -1
	s_barrier_wait -1
	s_and_saveexec_b32 s44, s93
	s_cbranch_execz .LBB141_947
; %bb.946:                              ;   in Loop: Header=BB141_3 Depth=1
	ds_load_b64 v[44:45], v54 offset:31200
	ds_load_b64 v[46:47], v56
	s_wait_dscnt 0x0
	v_fmac_f64_e32 v[0:1], v[44:45], v[46:47]
.LBB141_947:                            ;   in Loop: Header=BB141_3 Depth=1
	s_or_b32 exec_lo, exec_lo, s44
	s_barrier_signal -1
	s_barrier_wait -1
	s_and_saveexec_b32 s44, s94
; %bb.948:                              ;   in Loop: Header=BB141_3 Depth=1
	ds_store_b64 v56, v[0:1]
; %bb.949:                              ;   in Loop: Header=BB141_3 Depth=1
	s_or_b32 exec_lo, exec_lo, s44
	s_wait_dscnt 0x0
	s_barrier_signal -1
	s_barrier_wait -1
	s_and_saveexec_b32 s44, s95
	s_cbranch_execz .LBB141_951
; %bb.950:                              ;   in Loop: Header=BB141_3 Depth=1
	ds_load_b64 v[44:45], v54 offset:31712
	ds_load_b64 v[46:47], v56
	s_wait_dscnt 0x0
	v_fmac_f64_e32 v[0:1], v[44:45], v[46:47]
.LBB141_951:                            ;   in Loop: Header=BB141_3 Depth=1
	s_or_b32 exec_lo, exec_lo, s44
	s_barrier_signal -1
	s_barrier_wait -1
	;; [unrolled: 19-line block ×3, first 2 shown]
	s_and_saveexec_b32 s44, s97
; %bb.956:                              ;   in Loop: Header=BB141_3 Depth=1
	ds_store_b64 v56, v[0:1]
; %bb.957:                              ;   in Loop: Header=BB141_3 Depth=1
	s_or_b32 exec_lo, exec_lo, s44
	s_wait_dscnt 0x0
	s_barrier_signal -1
	s_barrier_wait -1
	s_barrier_signal -1
	s_barrier_wait -1
	s_and_saveexec_b32 s44, s3
; %bb.958:                              ;   in Loop: Header=BB141_3 Depth=1
	v_xor_b32_e32 v1, 0x80000000, v1
	ds_store_b64 v57, v[0:1] offset:29152
; %bb.959:                              ;   in Loop: Header=BB141_3 Depth=1
	s_or_b32 exec_lo, exec_lo, s44
	s_wait_dscnt 0x0
	s_barrier_signal -1
	s_barrier_wait -1
	s_barrier_signal -1
	s_barrier_wait -1
	s_and_saveexec_b32 s44, s98
	s_cbranch_execz .LBB141_961
; %bb.960:                              ;   in Loop: Header=BB141_3 Depth=1
	ds_load_b64 v[0:1], v75 offset:29152
	s_wait_dscnt 0x0
	ds_store_b64 v11, v[0:1] offset:31168
	ds_load_b64 v[0:1], v75 offset:29160
	s_wait_dscnt 0x0
	ds_store_b64 v11, v[0:1] offset:31680
	;; [unrolled: 3-line block ×4, first 2 shown]
.LBB141_961:                            ;   in Loop: Header=BB141_3 Depth=1
	s_or_b32 exec_lo, exec_lo, s44
	s_wait_dscnt 0x0
	s_barrier_signal -1
	s_barrier_wait -1
	s_and_saveexec_b32 s44, s10
	s_cbranch_execz .LBB141_963
; %bb.962:                              ;   in Loop: Header=BB141_3 Depth=1
	ds_load_b64 v[0:1], v5 offset:31208
	v_mov_b32_e32 v2, v5
	ds_store_b64 v5, v[30:31] offset:31200
	s_wait_dscnt 0x1
	ds_store_b128 v5, v[0:3] offset:31712
.LBB141_963:                            ;   in Loop: Header=BB141_3 Depth=1
	s_or_b32 exec_lo, exec_lo, s44
	v_mov_b64_e32 v[0:1], 0
	s_wait_dscnt 0x0
	s_barrier_signal -1
	s_barrier_wait -1
	s_and_saveexec_b32 s44, s1
	s_cbranch_execz .LBB141_967
; %bb.964:                              ;   in Loop: Header=BB141_3 Depth=1
	ds_load_b64 v[0:1], v50 offset:31216
	ds_load_b64 v[44:45], v51 offset:31200
	s_wait_dscnt 0x0
	v_fma_f64 v[0:1], v[0:1], v[44:45], 0
	s_and_saveexec_b32 s45, s11
	s_cbranch_execz .LBB141_966
; %bb.965:                              ;   in Loop: Header=BB141_3 Depth=1
	ds_load_b64 v[44:45], v11 offset:31728
	ds_load_b64 v[46:47], v5 offset:31208
	s_wait_dscnt 0x0
	v_fmac_f64_e32 v[0:1], v[44:45], v[46:47]
.LBB141_966:                            ;   in Loop: Header=BB141_3 Depth=1
	s_or_b32 exec_lo, exec_lo, s45
	s_delay_alu instid0(VALU_DEP_1)
	v_xor_b32_e32 v1, 0x80000000, v1
.LBB141_967:                            ;   in Loop: Header=BB141_3 Depth=1
	s_or_b32 exec_lo, exec_lo, s44
	s_and_saveexec_b32 s44, s89
; %bb.968:                              ;   in Loop: Header=BB141_3 Depth=1
	ds_store_b64 v7, v[0:1]
; %bb.969:                              ;   in Loop: Header=BB141_3 Depth=1
	s_or_b32 exec_lo, exec_lo, s44
	s_wait_dscnt 0x0
	s_barrier_signal -1
	s_barrier_wait -1
	s_and_saveexec_b32 s44, s90
	s_cbranch_execz .LBB141_971
; %bb.970:                              ;   in Loop: Header=BB141_3 Depth=1
	ds_load_b64 v[44:45], v5 offset:32248
	ds_load_b64 v[46:47], v7
	s_wait_dscnt 0x0
	v_fmac_f64_e32 v[0:1], v[44:45], v[46:47]
.LBB141_971:                            ;   in Loop: Header=BB141_3 Depth=1
	s_or_b32 exec_lo, exec_lo, s44
	s_barrier_signal -1
	s_barrier_wait -1
	s_and_saveexec_b32 s44, s90
; %bb.972:                              ;   in Loop: Header=BB141_3 Depth=1
	ds_store_b64 v7, v[0:1]
; %bb.973:                              ;   in Loop: Header=BB141_3 Depth=1
	s_or_b32 exec_lo, exec_lo, s44
	s_wait_dscnt 0x0
	s_barrier_signal -1
	s_barrier_wait -1
	s_barrier_signal -1
	s_barrier_wait -1
	s_and_saveexec_b32 s44, s1
; %bb.974:                              ;   in Loop: Header=BB141_3 Depth=1
	v_xor_b32_e32 v1, 0x80000000, v1
	ds_store_b64 v50, v[0:1] offset:31216
; %bb.975:                              ;   in Loop: Header=BB141_3 Depth=1
	s_or_b32 exec_lo, exec_lo, s44
	s_wait_dscnt 0x0
	s_barrier_signal -1
	s_barrier_wait -1
	s_barrier_signal -1
	s_barrier_wait -1
	s_and_saveexec_b32 s44, s91
	s_cbranch_execz .LBB141_977
; %bb.976:                              ;   in Loop: Header=BB141_3 Depth=1
	ds_load_b64 v[0:1], v81 offset:31216
	s_wait_dscnt 0x0
	ds_store_b64 v11, v[0:1] offset:32224
	ds_load_b64 v[0:1], v81 offset:31224
	s_wait_dscnt 0x0
	ds_store_b64 v11, v[0:1] offset:32736
.LBB141_977:                            ;   in Loop: Header=BB141_3 Depth=1
	s_or_b32 exec_lo, exec_lo, s44
	s_wait_dscnt 0x0
	s_barrier_signal -1
	s_barrier_wait -1
	s_and_saveexec_b32 s44, s10
	s_cbranch_execz .LBB141_979
; %bb.978:                              ;   in Loop: Header=BB141_3 Depth=1
	ds_load_b64 v[0:1], v5 offset:32248
	v_mov_b32_e32 v2, v5
	ds_store_b64 v5, v[30:31] offset:32240
	s_wait_dscnt 0x1
	ds_store_b128 v5, v[0:3] offset:32752
.LBB141_979:                            ;   in Loop: Header=BB141_3 Depth=1
	s_or_b32 exec_lo, exec_lo, s44
.LBB141_980:                            ;   in Loop: Header=BB141_3 Depth=1
	v_add_nc_u64_e32 v[0:1], s[68:69], v[42:43]
	v_mov_b64_e32 v[42:43], 0
	s_wait_dscnt 0x0
	s_barrier_signal -1
	s_barrier_wait -1
	s_wait_xcnt 0x0
	s_and_saveexec_b32 s44, s40
	s_cbranch_execz .LBB141_982
; %bb.981:                              ;   in Loop: Header=BB141_3 Depth=1
	v_lshl_add_u64 v[42:43], v[24:25], 3, v[0:1]
	flat_load_b64 v[42:43], v[42:43]
	s_wait_loadcnt_dscnt 0x0
	v_mul_f64_e64 v[42:43], v[42:43], -s[64:65]
.LBB141_982:                            ;   in Loop: Header=BB141_3 Depth=1
	s_or_b32 exec_lo, exec_lo, s44
	s_delay_alu instid0(SALU_CYCLE_1)
	s_and_not1_b32 vcc_lo, exec_lo, s41
	s_cbranch_vccnz .LBB141_1008
; %bb.983:                              ;   in Loop: Header=BB141_3 Depth=1
	v_mov_b32_e32 v2, -1
	s_lshl_b64 s[44:45], s[62:63], 2
	s_delay_alu instid0(SALU_CYCLE_1)
	s_add_nc_u64 s[82:83], s[78:79], s[44:45]
	s_mov_b32 s44, 0
	s_branch .LBB141_986
.LBB141_984:                            ;   in Loop: Header=BB141_986 Depth=2
	s_wait_xcnt 0x0
	ds_load_b64 v[44:45], v82 offset:384
	s_wait_loadcnt_dscnt 0x0
	v_fmac_f64_e32 v[42:43], v[46:47], v[44:45]
.LBB141_985:                            ;   in Loop: Header=BB141_986 Depth=2
	s_or_b32 exec_lo, exec_lo, s45
	s_add_co_i32 s44, s44, 1
	s_delay_alu instid0(SALU_CYCLE_1)
	s_cmp_eq_u32 s44, s84
	s_cbranch_scc1 .LBB141_1008
.LBB141_986:                            ;   Parent Loop BB141_3 Depth=1
                                        ; =>  This Loop Header: Depth=2
                                        ;       Child Loop BB141_988 Depth 3
	v_cmp_gt_i32_e32 vcc_lo, s44, v2
	s_and_b32 s46, s55, vcc_lo
	s_delay_alu instid0(SALU_CYCLE_1)
	s_and_saveexec_b32 s45, s46
	s_cbranch_execz .LBB141_989
; %bb.987:                              ;   in Loop: Header=BB141_986 Depth=2
	global_load_b32 v2, v5, s[82:83]
	s_wait_loadcnt 0x0
	v_cmp_le_i32_e32 vcc_lo, s44, v2
	s_cbranch_vccnz .LBB141_989
.LBB141_988:                            ;   Parent Loop BB141_3 Depth=1
                                        ;     Parent Loop BB141_986 Depth=2
                                        ; =>    This Inner Loop Header: Depth=3
	global_wb scope:SCOPE_DEV
	s_wait_storecnt 0x0
	global_inv scope:SCOPE_DEV
	global_load_b32 v2, v5, s[82:83]
	s_wait_loadcnt 0x0
	v_cmp_gt_i32_e32 vcc_lo, s44, v2
	s_cbranch_vccnz .LBB141_988
.LBB141_989:                            ;   in Loop: Header=BB141_986 Depth=2
	s_or_b32 exec_lo, exec_lo, s45
	s_sub_co_i32 s45, s85, s44
	global_wb scope:SCOPE_DEV
	s_wait_storecnt 0x0
	global_inv scope:SCOPE_DEV
	s_lshl_b32 s46, s45, 6
	s_wait_loadcnt 0x0
	s_barrier_signal -1
	s_barrier_wait -1
	s_and_saveexec_b32 s47, s56
	s_cbranch_execz .LBB141_993
; %bb.990:                              ;   in Loop: Header=BB141_986 Depth=2
	s_ashr_i32 s48, s46, 31
	v_mov_b64_e32 v[46:47], 0
	v_dual_mov_b32 v45, s48 :: v_dual_bitop2_b32 v44, s46, v10 bitop3:0x54
	s_mov_b32 s48, exec_lo
	s_delay_alu instid0(VALU_DEP_1)
	v_cmpx_gt_i64_e64 s[76:77], v[44:45]
	s_cbranch_execz .LBB141_992
; %bb.991:                              ;   in Loop: Header=BB141_986 Depth=2
	v_mul_u64_e32 v[44:45], s[70:71], v[44:45]
	s_delay_alu instid0(VALU_DEP_1)
	v_lshl_add_u64 v[44:45], v[44:45], 3, v[0:1]
	flat_load_b64 v[46:47], v[44:45]
.LBB141_992:                            ;   in Loop: Header=BB141_986 Depth=2
	s_wait_xcnt 0x0
	s_or_b32 exec_lo, exec_lo, s48
	s_wait_loadcnt_dscnt 0x0
	ds_store_b64 v85, v[46:47]
.LBB141_993:                            ;   in Loop: Header=BB141_986 Depth=2
	s_or_b32 exec_lo, exec_lo, s47
	v_add_nc_u32_e32 v46, s46, v8
	s_cmp_lg_u32 s45, s42
	s_wait_dscnt 0x0
	s_cselect_b32 s46, -1, 0
	s_barrier_signal -1
	v_ashrrev_i32_e32 v47, 31, v46
	v_cmp_gt_i32_e32 vcc_lo, s76, v46
	s_barrier_wait -1
	s_delay_alu instid0(VALU_DEP_2) | instskip(SKIP_2) | instid1(SALU_CYCLE_1)
	v_lshl_add_u64 v[44:45], v[46:47], 3, v[40:41]
	v_cndmask_b32_e64 v47, 0, 1, s46
	s_and_b32 s47, vcc_lo, s0
	s_and_saveexec_b32 s45, s47
	s_cbranch_execz .LBB141_997
; %bb.994:                              ;   in Loop: Header=BB141_986 Depth=2
	v_mov_b64_e32 v[48:49], v[32:33]
	s_and_not1_b32 vcc_lo, exec_lo, s46
	s_cbranch_vccnz .LBB141_996
; %bb.995:                              ;   in Loop: Header=BB141_986 Depth=2
	flat_load_b64 v[48:49], v[44:45]
.LBB141_996:                            ;   in Loop: Header=BB141_986 Depth=2
	ds_load_b64 v[98:99], v82
	s_wait_loadcnt_dscnt 0x0
	v_fmac_f64_e32 v[42:43], v[48:49], v[98:99]
.LBB141_997:                            ;   in Loop: Header=BB141_986 Depth=2
	s_or_b32 exec_lo, exec_lo, s45
	v_add_nc_u32_e32 v48, 16, v46
	s_delay_alu instid0(VALU_DEP_1) | instskip(SKIP_1) | instid1(SALU_CYCLE_1)
	v_cmp_gt_i32_e32 vcc_lo, s76, v48
	s_and_b32 s46, vcc_lo, s0
	s_and_saveexec_b32 s45, s46
	s_cbranch_execz .LBB141_1001
; %bb.998:                              ;   in Loop: Header=BB141_986 Depth=2
	v_cmp_ne_u32_e32 vcc_lo, 1, v47
	v_mov_b64_e32 v[48:49], v[34:35]
	s_cbranch_vccnz .LBB141_1000
; %bb.999:                              ;   in Loop: Header=BB141_986 Depth=2
	flat_load_b64 v[48:49], v[44:45] offset:128
.LBB141_1000:                           ;   in Loop: Header=BB141_986 Depth=2
	ds_load_b64 v[98:99], v82 offset:128
	s_wait_loadcnt_dscnt 0x0
	v_fmac_f64_e32 v[42:43], v[48:49], v[98:99]
.LBB141_1001:                           ;   in Loop: Header=BB141_986 Depth=2
	s_or_b32 exec_lo, exec_lo, s45
	v_add_nc_u32_e32 v48, 32, v46
	s_delay_alu instid0(VALU_DEP_1) | instskip(SKIP_1) | instid1(SALU_CYCLE_1)
	v_cmp_gt_i32_e32 vcc_lo, s76, v48
	s_and_b32 s46, vcc_lo, s0
	s_and_saveexec_b32 s45, s46
	s_cbranch_execz .LBB141_1005
; %bb.1002:                             ;   in Loop: Header=BB141_986 Depth=2
	v_cmp_ne_u32_e32 vcc_lo, 1, v47
	v_mov_b64_e32 v[48:49], v[36:37]
	s_cbranch_vccnz .LBB141_1004
; %bb.1003:                             ;   in Loop: Header=BB141_986 Depth=2
	flat_load_b64 v[48:49], v[44:45] offset:256
.LBB141_1004:                           ;   in Loop: Header=BB141_986 Depth=2
	ds_load_b64 v[98:99], v82 offset:256
	s_wait_loadcnt_dscnt 0x0
	v_fmac_f64_e32 v[42:43], v[48:49], v[98:99]
.LBB141_1005:                           ;   in Loop: Header=BB141_986 Depth=2
	s_or_b32 exec_lo, exec_lo, s45
	v_add_nc_u32_e32 v46, 48, v46
	s_delay_alu instid0(VALU_DEP_1) | instskip(SKIP_1) | instid1(SALU_CYCLE_1)
	v_cmp_gt_i32_e32 vcc_lo, s76, v46
	s_and_b32 s46, vcc_lo, s0
	s_and_saveexec_b32 s45, s46
	s_cbranch_execz .LBB141_985
; %bb.1006:                             ;   in Loop: Header=BB141_986 Depth=2
	v_cmp_ne_u32_e32 vcc_lo, 1, v47
	v_mov_b64_e32 v[46:47], v[38:39]
	s_cbranch_vccnz .LBB141_984
; %bb.1007:                             ;   in Loop: Header=BB141_986 Depth=2
	flat_load_b64 v[46:47], v[44:45] offset:384
	s_branch .LBB141_984
.LBB141_1008:                           ;   in Loop: Header=BB141_3 Depth=1
	ds_store_b64 v90, v[42:43]
	s_wait_dscnt 0x0
	s_barrier_signal -1
	s_barrier_wait -1
	s_and_saveexec_b32 s44, s2
	s_cbranch_execz .LBB141_1010
; %bb.1009:                             ;   in Loop: Header=BB141_3 Depth=1
	ds_load_2addr_stride64_b64 v[44:47], v92 offset0:1 offset1:2
	ds_load_2addr_stride64_b64 v[98:101], v92 offset0:3 offset1:4
	s_wait_dscnt 0x1
	v_add_f64_e32 v[40:41], v[42:43], v[44:45]
	s_delay_alu instid0(VALU_DEP_1) | instskip(SKIP_1) | instid1(VALU_DEP_1)
	v_add_f64_e32 v[40:41], v[40:41], v[46:47]
	s_wait_dscnt 0x0
	v_add_f64_e32 v[40:41], v[40:41], v[98:99]
	s_delay_alu instid0(VALU_DEP_1) | instskip(SKIP_4) | instid1(VALU_DEP_1)
	v_add_f64_e32 v[48:49], v[40:41], v[100:101]
	ds_load_2addr_stride64_b64 v[40:43], v92 offset0:5 offset1:6
	ds_load_2addr_stride64_b64 v[44:47], v92 offset0:7 offset1:8
	s_wait_dscnt 0x1
	v_add_f64_e32 v[40:41], v[48:49], v[40:41]
	v_add_f64_e32 v[40:41], v[40:41], v[42:43]
	s_wait_dscnt 0x0
	s_delay_alu instid0(VALU_DEP_1) | instskip(NEXT) | instid1(VALU_DEP_1)
	v_add_f64_e32 v[40:41], v[40:41], v[44:45]
	v_add_f64_e32 v[48:49], v[40:41], v[46:47]
	ds_load_2addr_stride64_b64 v[40:43], v92 offset0:9 offset1:10
	ds_load_2addr_stride64_b64 v[44:47], v92 offset0:11 offset1:12
	s_wait_dscnt 0x1
	v_add_f64_e32 v[40:41], v[48:49], v[40:41]
	s_delay_alu instid0(VALU_DEP_1) | instskip(SKIP_1) | instid1(VALU_DEP_1)
	v_add_f64_e32 v[40:41], v[40:41], v[42:43]
	s_wait_dscnt 0x0
	v_add_f64_e32 v[40:41], v[40:41], v[44:45]
	s_delay_alu instid0(VALU_DEP_1) | instskip(SKIP_4) | instid1(VALU_DEP_1)
	v_add_f64_e32 v[44:45], v[40:41], v[46:47]
	ds_load_2addr_stride64_b64 v[40:43], v92 offset0:13 offset1:14
	ds_load_b64 v[46:47], v92 offset:7680
	s_wait_dscnt 0x1
	v_add_f64_e32 v[40:41], v[44:45], v[40:41]
	v_add_f64_e32 v[40:41], v[40:41], v[42:43]
	s_wait_dscnt 0x0
	s_delay_alu instid0(VALU_DEP_1) | instskip(NEXT) | instid1(VALU_DEP_1)
	v_add_f64_e32 v[40:41], v[40:41], v[46:47]
	v_xor_b32_e32 v2, 0x80000000, v41
	s_delay_alu instid0(VALU_DEP_2) | instskip(NEXT) | instid1(VALU_DEP_2)
	v_cndmask_b32_e64 v42, v40, 0, s61
	v_cndmask_b32_e64 v43, v2, 0, s61
.LBB141_1010:                           ;   in Loop: Header=BB141_3 Depth=1
	s_or_b32 exec_lo, exec_lo, s44
	s_delay_alu instid0(SALU_CYCLE_1)
	s_and_not1_b32 vcc_lo, exec_lo, s88
	s_cbranch_vccnz .LBB141_1020
; %bb.1011:                             ;   in Loop: Header=BB141_3 Depth=1
	s_and_saveexec_b32 s44, s2
; %bb.1012:                             ;   in Loop: Header=BB141_3 Depth=1
	ds_store_b64 v94, v[42:43]
; %bb.1013:                             ;   in Loop: Header=BB141_3 Depth=1
	s_or_b32 exec_lo, exec_lo, s44
	v_mov_b64_e32 v[40:41], 0
	s_wait_dscnt 0x0
	s_barrier_signal -1
	s_barrier_wait -1
	s_and_saveexec_b32 s44, s6
	s_cbranch_execnz .LBB141_1060
; %bb.1014:                             ;   in Loop: Header=BB141_3 Depth=1
	s_or_b32 exec_lo, exec_lo, s44
	s_and_saveexec_b32 s44, s7
	s_cbranch_execnz .LBB141_1061
.LBB141_1015:                           ;   in Loop: Header=BB141_3 Depth=1
	s_or_b32 exec_lo, exec_lo, s44
	s_and_saveexec_b32 s44, s8
	s_cbranch_execnz .LBB141_1062
.LBB141_1016:                           ;   in Loop: Header=BB141_3 Depth=1
	s_or_b32 exec_lo, exec_lo, s44
	s_and_saveexec_b32 s44, s9
	s_cbranch_execz .LBB141_1018
.LBB141_1017:                           ;   in Loop: Header=BB141_3 Depth=1
	ds_load_b64 v[44:45], v93 offset:24576
	ds_load_b64 v[46:47], v82 offset:384
	s_wait_dscnt 0x0
	v_fmac_f64_e32 v[40:41], v[44:45], v[46:47]
.LBB141_1018:                           ;   in Loop: Header=BB141_3 Depth=1
	s_or_b32 exec_lo, exec_lo, s44
	s_mov_b32 s44, 0
	s_mov_b32 s82, 0
	ds_store_b64 v90, v[40:41]
	s_wait_dscnt 0x0
	s_barrier_signal -1
	s_barrier_wait -1
                                        ; implicit-def: $vgpr44_vgpr45
	s_and_saveexec_b32 s83, s2
	s_cbranch_execz .LBB141_1063
; %bb.1019:                             ;   in Loop: Header=BB141_3 Depth=1
	ds_load_2addr_stride64_b64 v[44:47], v92 offset0:1 offset1:2
	ds_load_2addr_stride64_b64 v[98:101], v92 offset0:3 offset1:4
	s_mov_b32 s82, exec_lo
	s_wait_dscnt 0x1
	v_add_f64_e32 v[40:41], v[40:41], v[44:45]
	s_delay_alu instid0(VALU_DEP_1) | instskip(SKIP_1) | instid1(VALU_DEP_1)
	v_add_f64_e32 v[40:41], v[46:47], v[40:41]
	s_wait_dscnt 0x0
	v_add_f64_e32 v[40:41], v[98:99], v[40:41]
	s_delay_alu instid0(VALU_DEP_1) | instskip(SKIP_4) | instid1(VALU_DEP_1)
	v_add_f64_e32 v[40:41], v[100:101], v[40:41]
	ds_load_2addr_stride64_b64 v[44:47], v92 offset0:5 offset1:6
	ds_load_2addr_stride64_b64 v[98:101], v92 offset0:7 offset1:8
	s_wait_dscnt 0x1
	v_add_f64_e32 v[40:41], v[44:45], v[40:41]
	v_add_f64_e32 v[40:41], v[46:47], v[40:41]
	s_wait_dscnt 0x0
	s_delay_alu instid0(VALU_DEP_1) | instskip(NEXT) | instid1(VALU_DEP_1)
	v_add_f64_e32 v[40:41], v[98:99], v[40:41]
	v_add_f64_e32 v[40:41], v[100:101], v[40:41]
	ds_load_2addr_stride64_b64 v[44:47], v92 offset0:9 offset1:10
	ds_load_2addr_stride64_b64 v[98:101], v92 offset0:11 offset1:12
	s_wait_dscnt 0x1
	v_add_f64_e32 v[40:41], v[44:45], v[40:41]
	s_delay_alu instid0(VALU_DEP_1) | instskip(SKIP_4) | instid1(VALU_DEP_1)
	v_add_f64_e32 v[40:41], v[46:47], v[40:41]
	ds_load_2addr_stride64_b64 v[44:47], v92 offset0:13 offset1:14
	ds_load_b64 v[48:49], v92 offset:7680
	s_wait_dscnt 0x2
	v_add_f64_e32 v[40:41], v[98:99], v[40:41]
	v_add_f64_e32 v[40:41], v[100:101], v[40:41]
	s_wait_dscnt 0x1
	s_delay_alu instid0(VALU_DEP_1) | instskip(NEXT) | instid1(VALU_DEP_1)
	v_add_f64_e32 v[40:41], v[44:45], v[40:41]
	v_add_f64_e32 v[40:41], v[46:47], v[40:41]
	s_wait_dscnt 0x0
	s_delay_alu instid0(VALU_DEP_1) | instskip(SKIP_1) | instid1(SALU_CYCLE_1)
	v_add_f64_e32 v[44:45], v[48:49], v[40:41]
	s_or_b32 exec_lo, exec_lo, s83
	s_and_b32 vcc_lo, exec_lo, s44
	s_cbranch_vccnz .LBB141_1021
	s_branch .LBB141_1064
.LBB141_1020:                           ;   in Loop: Header=BB141_3 Depth=1
	s_mov_b32 s82, 0
                                        ; implicit-def: $vgpr44_vgpr45
	s_cbranch_execz .LBB141_1064
.LBB141_1021:                           ;   in Loop: Header=BB141_3 Depth=1
	v_dual_mov_b32 v2, v97 :: v_dual_mov_b32 v40, v96
	s_mov_b32 s44, 63
	s_branch .LBB141_1023
.LBB141_1022:                           ;   in Loop: Header=BB141_1023 Depth=2
	s_or_b32 exec_lo, exec_lo, s46
	v_add_nc_u32_e32 v40, 0xfffff800, v40
	v_add_nc_u32_e32 v2, 4, v2
	s_add_co_i32 s44, s44, -4
	s_cmp_lg_u32 s45, 0
	s_barrier_signal -1
	s_barrier_wait -1
	s_cbranch_scc0 .LBB141_1039
.LBB141_1023:                           ;   Parent Loop BB141_3 Depth=1
                                        ; =>  This Inner Loop Header: Depth=2
	s_delay_alu instid0(VALU_DEP_1) | instskip(SKIP_1) | instid1(SALU_CYCLE_1)
	v_cmp_eq_u32_e32 vcc_lo, 0, v2
	s_and_b32 s46, s2, vcc_lo
	s_and_saveexec_b32 s45, s46
; %bb.1024:                             ;   in Loop: Header=BB141_1023 Depth=2
	ds_store_b64 v5, v[42:43] offset:41472
; %bb.1025:                             ;   in Loop: Header=BB141_1023 Depth=2
	s_or_b32 exec_lo, exec_lo, s45
	v_cmp_gt_u32_e32 vcc_lo, s44, v6
	s_wait_dscnt 0x0
	s_barrier_signal -1
	s_barrier_wait -1
	s_and_b32 s46, s2, vcc_lo
	s_delay_alu instid0(SALU_CYCLE_1)
	s_and_saveexec_b32 s45, s46
	s_cbranch_execz .LBB141_1027
; %bb.1026:                             ;   in Loop: Header=BB141_1023 Depth=2
	ds_load_b64 v[44:45], v40 offset:1536
	ds_load_b64 v[46:47], v5 offset:41472
	s_wait_dscnt 0x0
	v_fmac_f64_e32 v[42:43], v[44:45], v[46:47]
.LBB141_1027:                           ;   in Loop: Header=BB141_1023 Depth=2
	s_or_b32 exec_lo, exec_lo, s45
	s_add_co_i32 s45, s44, -1
	s_delay_alu instid0(SALU_CYCLE_1) | instskip(SKIP_3) | instid1(SALU_CYCLE_1)
	v_cmp_eq_u32_e32 vcc_lo, s45, v6
	s_barrier_signal -1
	s_barrier_wait -1
	s_and_b32 s47, s2, vcc_lo
	s_and_saveexec_b32 s46, s47
; %bb.1028:                             ;   in Loop: Header=BB141_1023 Depth=2
	ds_store_b64 v5, v[42:43] offset:41472
; %bb.1029:                             ;   in Loop: Header=BB141_1023 Depth=2
	s_or_b32 exec_lo, exec_lo, s46
	v_cmp_gt_u32_e32 vcc_lo, s45, v6
	s_wait_dscnt 0x0
	s_barrier_signal -1
	s_barrier_wait -1
	s_and_b32 s46, s2, vcc_lo
	s_delay_alu instid0(SALU_CYCLE_1)
	s_and_saveexec_b32 s45, s46
	s_cbranch_execz .LBB141_1031
; %bb.1030:                             ;   in Loop: Header=BB141_1023 Depth=2
	ds_load_b64 v[44:45], v40 offset:1024
	ds_load_b64 v[46:47], v5 offset:41472
	s_wait_dscnt 0x0
	v_fmac_f64_e32 v[42:43], v[44:45], v[46:47]
.LBB141_1031:                           ;   in Loop: Header=BB141_1023 Depth=2
	s_or_b32 exec_lo, exec_lo, s45
	s_add_co_i32 s45, s44, -2
	s_delay_alu instid0(SALU_CYCLE_1) | instskip(SKIP_3) | instid1(SALU_CYCLE_1)
	v_cmp_eq_u32_e32 vcc_lo, s45, v6
	s_barrier_signal -1
	s_barrier_wait -1
	;; [unrolled: 26-line block ×3, first 2 shown]
	s_and_b32 s47, s2, vcc_lo
	s_and_saveexec_b32 s46, s47
; %bb.1036:                             ;   in Loop: Header=BB141_1023 Depth=2
	ds_store_b64 v5, v[42:43] offset:41472
; %bb.1037:                             ;   in Loop: Header=BB141_1023 Depth=2
	s_or_b32 exec_lo, exec_lo, s46
	v_cmp_gt_u32_e32 vcc_lo, s45, v6
	s_wait_dscnt 0x0
	s_barrier_signal -1
	s_barrier_wait -1
	s_and_b32 s47, s2, vcc_lo
	s_delay_alu instid0(SALU_CYCLE_1)
	s_and_saveexec_b32 s46, s47
	s_cbranch_execz .LBB141_1022
; %bb.1038:                             ;   in Loop: Header=BB141_1023 Depth=2
	ds_load_b64 v[44:45], v40
	ds_load_b64 v[46:47], v5 offset:41472
	s_wait_dscnt 0x0
	v_fmac_f64_e32 v[42:43], v[44:45], v[46:47]
	s_branch .LBB141_1022
.LBB141_1039:                           ;   in Loop: Header=BB141_3 Depth=1
	s_and_b32 vcc_lo, exec_lo, s86
	s_mov_b32 s44, -1
	s_cbranch_vccnz .LBB141_1065
; %bb.1040:                             ;   in Loop: Header=BB141_3 Depth=1
	s_and_not1_b32 vcc_lo, exec_lo, s44
	s_cbranch_vccz .LBB141_1066
.LBB141_1041:                           ;   in Loop: Header=BB141_3 Depth=1
	s_and_saveexec_b32 s44, s82
	s_cbranch_execz .LBB141_1043
.LBB141_1042:                           ;   in Loop: Header=BB141_3 Depth=1
	v_lshl_add_u64 v[0:1], v[26:27], 3, v[0:1]
	flat_store_b64 v[0:1], v[42:43]
.LBB141_1043:                           ;   in Loop: Header=BB141_3 Depth=1
	s_wait_xcnt 0x0
	s_or_b32 exec_lo, exec_lo, s44
	global_wb scope:SCOPE_DEV
	s_wait_storecnt_dscnt 0x0
	global_inv scope:SCOPE_DEV
	s_wait_loadcnt 0x0
	s_barrier_signal -1
	s_barrier_wait -1
	s_and_saveexec_b32 s44, s55
	s_cbranch_execz .LBB141_2
; %bb.1044:                             ;   in Loop: Header=BB141_3 Depth=1
	s_lshl_b64 s[46:47], s[62:63], 2
	s_delay_alu instid0(SALU_CYCLE_1)
	s_add_nc_u64 s[46:47], s[78:79], s[46:47]
	global_load_b32 v0, v5, s[46:47]
	s_wait_loadcnt 0x0
	v_add_nc_u32_e32 v0, 1, v0
	global_store_b32 v5, v0, s[46:47]
	s_branch .LBB141_2
.LBB141_1045:                           ;   in Loop: Header=BB141_3 Depth=1
	s_mov_b32 s45, exec_lo
	v_readlane_b32 s46, v102, 23
	s_and_b32 s46, s45, s46
	s_delay_alu instid0(SALU_CYCLE_1)
	s_mov_b32 exec_lo, s46
; %bb.1046:                             ;   in Loop: Header=BB141_3 Depth=1
	ds_store_b64 v86, v[28:29]
; %bb.1047:                             ;   in Loop: Header=BB141_3 Depth=1
	s_or_b32 exec_lo, exec_lo, s45
	s_and_not1_saveexec_b32 s44, s44
	s_cbranch_execz .LBB141_16
.LBB141_1048:                           ;   in Loop: Header=BB141_3 Depth=1
	v_lshl_add_u64 v[44:45], v[16:17], 3, v[0:1]
	flat_load_b64 v[44:45], v[44:45]
	s_wait_loadcnt_dscnt 0x0
	v_xor_b32_e32 v45, 0x80000000, v45
	ds_store_b64 v86, v[44:45]
	s_or_b32 exec_lo, exec_lo, s44
	s_and_saveexec_b32 s44, s7
	s_delay_alu instid0(SALU_CYCLE_1)
	s_xor_b32 s44, exec_lo, s44
	s_cbranch_execz .LBB141_17
.LBB141_1049:                           ;   in Loop: Header=BB141_3 Depth=1
	s_mov_b32 s45, exec_lo
	v_readlane_b32 s46, v102, 24
	s_and_b32 s46, s45, s46
	s_delay_alu instid0(SALU_CYCLE_1)
	s_mov_b32 exec_lo, s46
; %bb.1050:                             ;   in Loop: Header=BB141_3 Depth=1
	ds_store_b64 v87, v[28:29]
; %bb.1051:                             ;   in Loop: Header=BB141_3 Depth=1
	s_or_b32 exec_lo, exec_lo, s45
	s_and_not1_saveexec_b32 s44, s44
	s_cbranch_execz .LBB141_18
.LBB141_1052:                           ;   in Loop: Header=BB141_3 Depth=1
	v_lshl_add_u64 v[44:45], v[18:19], 3, v[0:1]
	flat_load_b64 v[44:45], v[44:45]
	s_wait_loadcnt_dscnt 0x0
	v_xor_b32_e32 v45, 0x80000000, v45
	ds_store_b64 v87, v[44:45]
	s_or_b32 exec_lo, exec_lo, s44
	s_and_saveexec_b32 s44, s8
	s_delay_alu instid0(SALU_CYCLE_1)
	s_xor_b32 s44, exec_lo, s44
	s_cbranch_execz .LBB141_19
.LBB141_1053:                           ;   in Loop: Header=BB141_3 Depth=1
	s_mov_b32 s45, exec_lo
	v_readlane_b32 s46, v102, 25
	s_and_b32 s46, s45, s46
	s_delay_alu instid0(SALU_CYCLE_1)
	s_mov_b32 exec_lo, s46
; %bb.1054:                             ;   in Loop: Header=BB141_3 Depth=1
	ds_store_b64 v88, v[28:29]
; %bb.1055:                             ;   in Loop: Header=BB141_3 Depth=1
	s_or_b32 exec_lo, exec_lo, s45
	s_and_not1_saveexec_b32 s44, s44
	s_cbranch_execz .LBB141_20
.LBB141_1056:                           ;   in Loop: Header=BB141_3 Depth=1
	v_lshl_add_u64 v[44:45], v[20:21], 3, v[0:1]
	flat_load_b64 v[44:45], v[44:45]
	s_wait_loadcnt_dscnt 0x0
	v_xor_b32_e32 v45, 0x80000000, v45
	ds_store_b64 v88, v[44:45]
	s_or_b32 exec_lo, exec_lo, s44
	s_and_saveexec_b32 s44, s9
	s_delay_alu instid0(SALU_CYCLE_1)
	s_xor_b32 s44, exec_lo, s44
	s_cbranch_execz .LBB141_21
.LBB141_1057:                           ;   in Loop: Header=BB141_3 Depth=1
	s_mov_b32 s45, exec_lo
	v_readlane_b32 s46, v102, 26
	s_and_b32 s46, s45, s46
	s_delay_alu instid0(SALU_CYCLE_1)
	s_mov_b32 exec_lo, s46
; %bb.1058:                             ;   in Loop: Header=BB141_3 Depth=1
	ds_store_b64 v89, v[28:29]
; %bb.1059:                             ;   in Loop: Header=BB141_3 Depth=1
	s_or_b32 exec_lo, exec_lo, s45
	s_and_not1_saveexec_b32 s44, s44
	s_cbranch_execnz .LBB141_22
	s_branch .LBB141_23
.LBB141_1060:                           ;   in Loop: Header=BB141_3 Depth=1
	ds_load_b64 v[40:41], v93
	ds_load_b64 v[44:45], v82
	s_wait_dscnt 0x0
	v_fma_f64 v[40:41], v[40:41], v[44:45], 0
	s_or_b32 exec_lo, exec_lo, s44
	s_and_saveexec_b32 s44, s7
	s_cbranch_execz .LBB141_1015
.LBB141_1061:                           ;   in Loop: Header=BB141_3 Depth=1
	ds_load_b64 v[44:45], v93 offset:8192
	ds_load_b64 v[46:47], v82 offset:128
	s_wait_dscnt 0x0
	v_fmac_f64_e32 v[40:41], v[44:45], v[46:47]
	s_or_b32 exec_lo, exec_lo, s44
	s_and_saveexec_b32 s44, s8
	s_cbranch_execz .LBB141_1016
.LBB141_1062:                           ;   in Loop: Header=BB141_3 Depth=1
	ds_load_b64 v[44:45], v93 offset:16384
	ds_load_b64 v[46:47], v82 offset:256
	s_wait_dscnt 0x0
	v_fmac_f64_e32 v[40:41], v[44:45], v[46:47]
	s_or_b32 exec_lo, exec_lo, s44
	s_and_saveexec_b32 s44, s9
	s_cbranch_execnz .LBB141_1017
	s_branch .LBB141_1018
.LBB141_1063:                           ;   in Loop: Header=BB141_3 Depth=1
	s_or_b32 exec_lo, exec_lo, s83
	s_delay_alu instid0(SALU_CYCLE_1)
	s_and_b32 vcc_lo, exec_lo, s44
	s_cbranch_vccnz .LBB141_1021
.LBB141_1064:                           ;   in Loop: Header=BB141_3 Depth=1
	s_delay_alu instid0(VALU_DEP_1)
	v_mov_b64_e32 v[42:43], v[44:45]
	s_and_saveexec_b32 s44, s82
	s_cbranch_execnz .LBB141_1042
	s_branch .LBB141_1043
.LBB141_1065:                           ;   in Loop: Header=BB141_3 Depth=1
	s_and_not1_b32 s45, s82, exec_lo
	s_and_b32 s46, s2, exec_lo
	s_delay_alu instid0(SALU_CYCLE_1)
	s_or_b32 s82, s45, s46
	s_cbranch_execnz .LBB141_1041
.LBB141_1066:                           ;   in Loop: Header=BB141_3 Depth=1
	v_readlane_b32 s45, v103, 12
	s_and_not1_b32 s44, s82, exec_lo
	s_and_b32 s45, s45, exec_lo
	s_delay_alu instid0(SALU_CYCLE_1) | instskip(NEXT) | instid1(SALU_CYCLE_1)
	s_or_b32 s82, s44, s45
	s_and_saveexec_b32 s44, s82
	s_cbranch_execnz .LBB141_1042
	s_branch .LBB141_1043
.LBB141_1067:                           ;   in Loop: Header=BB141_3 Depth=1
	ds_load_b64 v[44:45], v58 offset:544
	ds_load_b64 v[46:47], v53 offset:8
	s_wait_dscnt 0x0
	v_fmac_f64_e32 v[0:1], v[44:45], v[46:47]
	s_or_b32 exec_lo, exec_lo, s45
	s_and_saveexec_b32 s45, s13
	s_cbranch_execz .LBB141_72
.LBB141_1068:                           ;   in Loop: Header=BB141_3 Depth=1
	ds_load_b64 v[44:45], v57 offset:1056
	ds_load_b64 v[46:47], v53 offset:16
	s_wait_dscnt 0x0
	v_fmac_f64_e32 v[0:1], v[44:45], v[46:47]
	s_or_b32 exec_lo, exec_lo, s45
	s_and_saveexec_b32 s45, s1
	s_cbranch_execnz .LBB141_73
	s_branch .LBB141_74
.LBB141_1069:                           ;   in Loop: Header=BB141_3 Depth=1
	ds_load_b64 v[44:45], v67 offset:576
	ds_load_b64 v[46:47], v61 offset:8
	s_wait_dscnt 0x0
	v_fmac_f64_e32 v[0:1], v[44:45], v[46:47]
	s_or_b32 exec_lo, exec_lo, s45
	s_and_saveexec_b32 s45, s15
	s_cbranch_execz .LBB141_114
.LBB141_1070:                           ;   in Loop: Header=BB141_3 Depth=1
	ds_load_b64 v[44:45], v67 offset:1088
	ds_load_b64 v[46:47], v61 offset:16
	s_wait_dscnt 0x0
	v_fmac_f64_e32 v[0:1], v[44:45], v[46:47]
	s_or_b32 exec_lo, exec_lo, s45
	s_and_saveexec_b32 s45, s16
	s_cbranch_execz .LBB141_115
.LBB141_1071:                           ;   in Loop: Header=BB141_3 Depth=1
	ds_load_b64 v[44:45], v67 offset:1600
	ds_load_b64 v[46:47], v61 offset:24
	s_wait_dscnt 0x0
	v_fmac_f64_e32 v[0:1], v[44:45], v[46:47]
	s_or_b32 exec_lo, exec_lo, s45
	s_and_saveexec_b32 s45, s17
	s_cbranch_execz .LBB141_116
.LBB141_1072:                           ;   in Loop: Header=BB141_3 Depth=1
	ds_load_b64 v[44:45], v66 offset:2112
	ds_load_b64 v[46:47], v61 offset:32
	s_wait_dscnt 0x0
	v_fmac_f64_e32 v[0:1], v[44:45], v[46:47]
	s_or_b32 exec_lo, exec_lo, s45
	s_and_saveexec_b32 s45, s18
	s_cbranch_execz .LBB141_117
.LBB141_1073:                           ;   in Loop: Header=BB141_3 Depth=1
	ds_load_b64 v[44:45], v67 offset:2624
	ds_load_b64 v[46:47], v61 offset:40
	s_wait_dscnt 0x0
	v_fmac_f64_e32 v[0:1], v[44:45], v[46:47]
	s_or_b32 exec_lo, exec_lo, s45
	s_and_saveexec_b32 s45, s3
	s_cbranch_execz .LBB141_118
.LBB141_1074:                           ;   in Loop: Header=BB141_3 Depth=1
	ds_load_b64 v[44:45], v66 offset:3136
	ds_load_b64 v[46:47], v61 offset:48
	s_wait_dscnt 0x0
	v_fmac_f64_e32 v[0:1], v[44:45], v[46:47]
	s_or_b32 exec_lo, exec_lo, s45
	s_and_saveexec_b32 s45, s13
	s_cbranch_execnz .LBB141_119
	s_branch .LBB141_120
.LBB141_1075:                           ;   in Loop: Header=BB141_3 Depth=1
	ds_load_b64 v[44:45], v58 offset:4704
	ds_load_b64 v[46:47], v53 offset:4168
	s_wait_dscnt 0x0
	v_fmac_f64_e32 v[0:1], v[44:45], v[46:47]
	s_or_b32 exec_lo, exec_lo, s45
	s_and_saveexec_b32 s45, s13
	s_cbranch_execz .LBB141_176
.LBB141_1076:                           ;   in Loop: Header=BB141_3 Depth=1
	ds_load_b64 v[44:45], v57 offset:5216
	ds_load_b64 v[46:47], v53 offset:4176
	s_wait_dscnt 0x0
	v_fmac_f64_e32 v[0:1], v[44:45], v[46:47]
	s_or_b32 exec_lo, exec_lo, s45
	s_and_saveexec_b32 s45, s1
	s_cbranch_execnz .LBB141_177
	s_branch .LBB141_178
.LBB141_1077:                           ;   in Loop: Header=BB141_3 Depth=1
	ds_load_b64 v[44:45], v78 offset:5760
	ds_load_b64 v[46:47], v73 offset:88
	s_wait_dscnt 0x0
	v_fmac_f64_e32 v[0:1], v[44:45], v[46:47]
	s_or_b32 exec_lo, exec_lo, s44
	s_and_saveexec_b32 s44, s4
	s_cbranch_execz .LBB141_238
.LBB141_1078:                           ;   in Loop: Header=BB141_3 Depth=1
	ds_load_b64 v[44:45], v77 offset:6272
	ds_load_b64 v[46:47], v73 offset:96
	s_wait_dscnt 0x0
	v_fmac_f64_e32 v[0:1], v[44:45], v[46:47]
	s_or_b32 exec_lo, exec_lo, s44
	s_and_saveexec_b32 s44, s15
	s_cbranch_execz .LBB141_239
.LBB141_1079:                           ;   in Loop: Header=BB141_3 Depth=1
	ds_load_b64 v[44:45], v78 offset:6784
	ds_load_b64 v[46:47], v73 offset:104
	s_wait_dscnt 0x0
	v_fmac_f64_e32 v[0:1], v[44:45], v[46:47]
	s_or_b32 exec_lo, exec_lo, s44
	s_and_saveexec_b32 s44, s17
	s_cbranch_execz .LBB141_240
.LBB141_1080:                           ;   in Loop: Header=BB141_3 Depth=1
	ds_load_b64 v[44:45], v77 offset:7296
	ds_load_b64 v[46:47], v73 offset:112
	s_wait_dscnt 0x0
	v_fmac_f64_e32 v[0:1], v[44:45], v[46:47]
	s_or_b32 exec_lo, exec_lo, s44
	s_and_saveexec_b32 s44, s3
	s_cbranch_execnz .LBB141_241
	s_branch .LBB141_242
.LBB141_1081:                           ;   in Loop: Header=BB141_3 Depth=1
	ds_load_b64 v[44:45], v58 offset:8864
	ds_load_b64 v[46:47], v53 offset:8328
	s_wait_dscnt 0x0
	v_fmac_f64_e32 v[0:1], v[44:45], v[46:47]
	s_or_b32 exec_lo, exec_lo, s45
	s_and_saveexec_b32 s45, s13
	s_cbranch_execz .LBB141_330
.LBB141_1082:                           ;   in Loop: Header=BB141_3 Depth=1
	ds_load_b64 v[44:45], v57 offset:9376
	ds_load_b64 v[46:47], v53 offset:8336
	s_wait_dscnt 0x0
	v_fmac_f64_e32 v[0:1], v[44:45], v[46:47]
	s_or_b32 exec_lo, exec_lo, s45
	s_and_saveexec_b32 s45, s1
	s_cbranch_execnz .LBB141_331
	s_branch .LBB141_332
.LBB141_1083:                           ;   in Loop: Header=BB141_3 Depth=1
	ds_load_b64 v[44:45], v67 offset:8896
	ds_load_b64 v[46:47], v61 offset:8328
	s_wait_dscnt 0x0
	v_fmac_f64_e32 v[0:1], v[44:45], v[46:47]
	s_or_b32 exec_lo, exec_lo, s45
	s_and_saveexec_b32 s45, s15
	s_cbranch_execz .LBB141_372
.LBB141_1084:                           ;   in Loop: Header=BB141_3 Depth=1
	ds_load_b64 v[44:45], v67 offset:9408
	ds_load_b64 v[46:47], v61 offset:8336
	s_wait_dscnt 0x0
	v_fmac_f64_e32 v[0:1], v[44:45], v[46:47]
	s_or_b32 exec_lo, exec_lo, s45
	s_and_saveexec_b32 s45, s16
	s_cbranch_execz .LBB141_373
.LBB141_1085:                           ;   in Loop: Header=BB141_3 Depth=1
	ds_load_b64 v[44:45], v67 offset:9920
	ds_load_b64 v[46:47], v61 offset:8344
	s_wait_dscnt 0x0
	v_fmac_f64_e32 v[0:1], v[44:45], v[46:47]
	s_or_b32 exec_lo, exec_lo, s45
	s_and_saveexec_b32 s45, s17
	s_cbranch_execz .LBB141_374
.LBB141_1086:                           ;   in Loop: Header=BB141_3 Depth=1
	ds_load_b64 v[44:45], v66 offset:10432
	ds_load_b64 v[46:47], v61 offset:8352
	s_wait_dscnt 0x0
	v_fmac_f64_e32 v[0:1], v[44:45], v[46:47]
	s_or_b32 exec_lo, exec_lo, s45
	s_and_saveexec_b32 s45, s18
	s_cbranch_execz .LBB141_375
.LBB141_1087:                           ;   in Loop: Header=BB141_3 Depth=1
	ds_load_b64 v[44:45], v67 offset:10944
	ds_load_b64 v[46:47], v61 offset:8360
	s_wait_dscnt 0x0
	v_fmac_f64_e32 v[0:1], v[44:45], v[46:47]
	s_or_b32 exec_lo, exec_lo, s45
	s_and_saveexec_b32 s45, s3
	s_cbranch_execz .LBB141_376
.LBB141_1088:                           ;   in Loop: Header=BB141_3 Depth=1
	ds_load_b64 v[44:45], v66 offset:11456
	ds_load_b64 v[46:47], v61 offset:8368
	s_wait_dscnt 0x0
	v_fmac_f64_e32 v[0:1], v[44:45], v[46:47]
	s_or_b32 exec_lo, exec_lo, s45
	s_and_saveexec_b32 s45, s13
	s_cbranch_execnz .LBB141_377
	s_branch .LBB141_378
.LBB141_1089:                           ;   in Loop: Header=BB141_3 Depth=1
	ds_load_b64 v[44:45], v58 offset:13024
	ds_load_b64 v[46:47], v53 offset:12488
	s_wait_dscnt 0x0
	v_fmac_f64_e32 v[0:1], v[44:45], v[46:47]
	s_or_b32 exec_lo, exec_lo, s45
	s_and_saveexec_b32 s45, s13
	s_cbranch_execz .LBB141_434
.LBB141_1090:                           ;   in Loop: Header=BB141_3 Depth=1
	ds_load_b64 v[44:45], v57 offset:13536
	ds_load_b64 v[46:47], v53 offset:12496
	s_wait_dscnt 0x0
	v_fmac_f64_e32 v[0:1], v[44:45], v[46:47]
	s_or_b32 exec_lo, exec_lo, s45
	s_and_saveexec_b32 s45, s1
	s_cbranch_execnz .LBB141_435
	s_branch .LBB141_436
.LBB141_1091:                           ;   in Loop: Header=BB141_3 Depth=1
	ds_load_b64 v[44:45], v83 offset:15104
	ds_load_b64 v[46:47], v2 offset:232
	s_wait_dscnt 0x0
	v_fmac_f64_e32 v[0:1], v[44:45], v[46:47]
	s_or_b32 exec_lo, exec_lo, s44
	s_and_saveexec_b32 s44, s4
	s_cbranch_execz .LBB141_532
.LBB141_1092:                           ;   in Loop: Header=BB141_3 Depth=1
	ds_load_b64 v[44:45], v83 offset:15616
	ds_load_b64 v[46:47], v2 offset:240
	s_wait_dscnt 0x0
	v_fmac_f64_e32 v[0:1], v[44:45], v[46:47]
	s_or_b32 exec_lo, exec_lo, s44
	s_and_saveexec_b32 s44, s17
	s_cbranch_execnz .LBB141_533
	s_branch .LBB141_534
.LBB141_1093:                           ;   in Loop: Header=BB141_3 Depth=1
	ds_load_b64 v[44:45], v58 offset:17184
	ds_load_b64 v[46:47], v53 offset:16648
	s_wait_dscnt 0x0
	v_fmac_f64_e32 v[0:1], v[44:45], v[46:47]
	s_or_b32 exec_lo, exec_lo, s45
	s_and_saveexec_b32 s45, s13
	s_cbranch_execz .LBB141_578
.LBB141_1094:                           ;   in Loop: Header=BB141_3 Depth=1
	ds_load_b64 v[44:45], v57 offset:17696
	ds_load_b64 v[46:47], v53 offset:16656
	s_wait_dscnt 0x0
	v_fmac_f64_e32 v[0:1], v[44:45], v[46:47]
	s_or_b32 exec_lo, exec_lo, s45
	s_and_saveexec_b32 s45, s1
	s_cbranch_execnz .LBB141_579
	s_branch .LBB141_580
.LBB141_1095:                           ;   in Loop: Header=BB141_3 Depth=1
	ds_load_b64 v[44:45], v67 offset:17216
	ds_load_b64 v[46:47], v61 offset:16648
	s_wait_dscnt 0x0
	v_fmac_f64_e32 v[0:1], v[44:45], v[46:47]
	s_or_b32 exec_lo, exec_lo, s45
	s_and_saveexec_b32 s45, s15
	s_cbranch_execz .LBB141_620
.LBB141_1096:                           ;   in Loop: Header=BB141_3 Depth=1
	ds_load_b64 v[44:45], v67 offset:17728
	ds_load_b64 v[46:47], v61 offset:16656
	s_wait_dscnt 0x0
	v_fmac_f64_e32 v[0:1], v[44:45], v[46:47]
	s_or_b32 exec_lo, exec_lo, s45
	s_and_saveexec_b32 s45, s16
	s_cbranch_execz .LBB141_621
.LBB141_1097:                           ;   in Loop: Header=BB141_3 Depth=1
	ds_load_b64 v[44:45], v67 offset:18240
	ds_load_b64 v[46:47], v61 offset:16664
	s_wait_dscnt 0x0
	v_fmac_f64_e32 v[0:1], v[44:45], v[46:47]
	s_or_b32 exec_lo, exec_lo, s45
	s_and_saveexec_b32 s45, s17
	s_cbranch_execz .LBB141_622
.LBB141_1098:                           ;   in Loop: Header=BB141_3 Depth=1
	ds_load_b64 v[44:45], v66 offset:18752
	ds_load_b64 v[46:47], v61 offset:16672
	s_wait_dscnt 0x0
	v_fmac_f64_e32 v[0:1], v[44:45], v[46:47]
	s_or_b32 exec_lo, exec_lo, s45
	s_and_saveexec_b32 s45, s18
	s_cbranch_execz .LBB141_623
.LBB141_1099:                           ;   in Loop: Header=BB141_3 Depth=1
	ds_load_b64 v[44:45], v67 offset:19264
	ds_load_b64 v[46:47], v61 offset:16680
	s_wait_dscnt 0x0
	v_fmac_f64_e32 v[0:1], v[44:45], v[46:47]
	s_or_b32 exec_lo, exec_lo, s45
	s_and_saveexec_b32 s45, s3
	s_cbranch_execz .LBB141_624
.LBB141_1100:                           ;   in Loop: Header=BB141_3 Depth=1
	ds_load_b64 v[44:45], v66 offset:19776
	ds_load_b64 v[46:47], v61 offset:16688
	s_wait_dscnt 0x0
	v_fmac_f64_e32 v[0:1], v[44:45], v[46:47]
	s_or_b32 exec_lo, exec_lo, s45
	s_and_saveexec_b32 s45, s13
	s_cbranch_execnz .LBB141_625
	s_branch .LBB141_626
.LBB141_1101:                           ;   in Loop: Header=BB141_3 Depth=1
	ds_load_b64 v[44:45], v58 offset:21344
	ds_load_b64 v[46:47], v53 offset:20808
	s_wait_dscnt 0x0
	v_fmac_f64_e32 v[0:1], v[44:45], v[46:47]
	s_or_b32 exec_lo, exec_lo, s45
	s_and_saveexec_b32 s45, s13
	s_cbranch_execz .LBB141_682
.LBB141_1102:                           ;   in Loop: Header=BB141_3 Depth=1
	ds_load_b64 v[44:45], v57 offset:21856
	ds_load_b64 v[46:47], v53 offset:20816
	s_wait_dscnt 0x0
	v_fmac_f64_e32 v[0:1], v[44:45], v[46:47]
	s_or_b32 exec_lo, exec_lo, s45
	s_and_saveexec_b32 s45, s1
	s_cbranch_execnz .LBB141_683
	s_branch .LBB141_684
.LBB141_1103:                           ;   in Loop: Header=BB141_3 Depth=1
	ds_load_b64 v[44:45], v78 offset:22400
	ds_load_b64 v[46:47], v73 offset:16728
	s_wait_dscnt 0x0
	v_fmac_f64_e32 v[0:1], v[44:45], v[46:47]
	s_or_b32 exec_lo, exec_lo, s44
	s_and_saveexec_b32 s44, s4
	s_cbranch_execz .LBB141_744
.LBB141_1104:                           ;   in Loop: Header=BB141_3 Depth=1
	ds_load_b64 v[44:45], v77 offset:22912
	ds_load_b64 v[46:47], v73 offset:16736
	s_wait_dscnt 0x0
	v_fmac_f64_e32 v[0:1], v[44:45], v[46:47]
	s_or_b32 exec_lo, exec_lo, s44
	s_and_saveexec_b32 s44, s15
	s_cbranch_execz .LBB141_745
.LBB141_1105:                           ;   in Loop: Header=BB141_3 Depth=1
	ds_load_b64 v[44:45], v78 offset:23424
	ds_load_b64 v[46:47], v73 offset:16744
	s_wait_dscnt 0x0
	v_fmac_f64_e32 v[0:1], v[44:45], v[46:47]
	s_or_b32 exec_lo, exec_lo, s44
	s_and_saveexec_b32 s44, s17
	s_cbranch_execz .LBB141_746
.LBB141_1106:                           ;   in Loop: Header=BB141_3 Depth=1
	ds_load_b64 v[44:45], v77 offset:23936
	ds_load_b64 v[46:47], v73 offset:16752
	s_wait_dscnt 0x0
	v_fmac_f64_e32 v[0:1], v[44:45], v[46:47]
	s_or_b32 exec_lo, exec_lo, s44
	s_and_saveexec_b32 s44, s3
	s_cbranch_execnz .LBB141_747
	s_branch .LBB141_748
.LBB141_1107:                           ;   in Loop: Header=BB141_3 Depth=1
	ds_load_b64 v[44:45], v58 offset:25504
	ds_load_b64 v[46:47], v53 offset:24968
	s_wait_dscnt 0x0
	v_fmac_f64_e32 v[0:1], v[44:45], v[46:47]
	s_or_b32 exec_lo, exec_lo, s45
	s_and_saveexec_b32 s45, s13
	s_cbranch_execz .LBB141_836
.LBB141_1108:                           ;   in Loop: Header=BB141_3 Depth=1
	ds_load_b64 v[44:45], v57 offset:26016
	ds_load_b64 v[46:47], v53 offset:24976
	s_wait_dscnt 0x0
	v_fmac_f64_e32 v[0:1], v[44:45], v[46:47]
	s_or_b32 exec_lo, exec_lo, s45
	s_and_saveexec_b32 s45, s1
	s_cbranch_execnz .LBB141_837
	s_branch .LBB141_838
.LBB141_1109:                           ;   in Loop: Header=BB141_3 Depth=1
	ds_load_b64 v[44:45], v67 offset:25536
	ds_load_b64 v[46:47], v61 offset:24968
	s_wait_dscnt 0x0
	v_fmac_f64_e32 v[0:1], v[44:45], v[46:47]
	s_or_b32 exec_lo, exec_lo, s45
	s_and_saveexec_b32 s45, s15
	s_cbranch_execz .LBB141_878
.LBB141_1110:                           ;   in Loop: Header=BB141_3 Depth=1
	ds_load_b64 v[44:45], v67 offset:26048
	ds_load_b64 v[46:47], v61 offset:24976
	s_wait_dscnt 0x0
	v_fmac_f64_e32 v[0:1], v[44:45], v[46:47]
	s_or_b32 exec_lo, exec_lo, s45
	s_and_saveexec_b32 s45, s16
	s_cbranch_execz .LBB141_879
.LBB141_1111:                           ;   in Loop: Header=BB141_3 Depth=1
	ds_load_b64 v[44:45], v67 offset:26560
	ds_load_b64 v[46:47], v61 offset:24984
	s_wait_dscnt 0x0
	v_fmac_f64_e32 v[0:1], v[44:45], v[46:47]
	s_or_b32 exec_lo, exec_lo, s45
	s_and_saveexec_b32 s45, s17
	s_cbranch_execz .LBB141_880
.LBB141_1112:                           ;   in Loop: Header=BB141_3 Depth=1
	ds_load_b64 v[44:45], v66 offset:27072
	ds_load_b64 v[46:47], v61 offset:24992
	s_wait_dscnt 0x0
	v_fmac_f64_e32 v[0:1], v[44:45], v[46:47]
	s_or_b32 exec_lo, exec_lo, s45
	s_and_saveexec_b32 s45, s18
	s_cbranch_execz .LBB141_881
.LBB141_1113:                           ;   in Loop: Header=BB141_3 Depth=1
	ds_load_b64 v[44:45], v67 offset:27584
	ds_load_b64 v[46:47], v61 offset:25000
	s_wait_dscnt 0x0
	v_fmac_f64_e32 v[0:1], v[44:45], v[46:47]
	s_or_b32 exec_lo, exec_lo, s45
	s_and_saveexec_b32 s45, s3
	s_cbranch_execz .LBB141_882
.LBB141_1114:                           ;   in Loop: Header=BB141_3 Depth=1
	ds_load_b64 v[44:45], v66 offset:28096
	ds_load_b64 v[46:47], v61 offset:25008
	s_wait_dscnt 0x0
	v_fmac_f64_e32 v[0:1], v[44:45], v[46:47]
	s_or_b32 exec_lo, exec_lo, s45
	s_and_saveexec_b32 s45, s13
	s_cbranch_execnz .LBB141_883
	s_branch .LBB141_884
.LBB141_1115:                           ;   in Loop: Header=BB141_3 Depth=1
	ds_load_b64 v[44:45], v58 offset:29664
	ds_load_b64 v[46:47], v53 offset:29128
	s_wait_dscnt 0x0
	v_fmac_f64_e32 v[0:1], v[44:45], v[46:47]
	s_or_b32 exec_lo, exec_lo, s45
	s_and_saveexec_b32 s45, s13
	s_cbranch_execz .LBB141_940
.LBB141_1116:                           ;   in Loop: Header=BB141_3 Depth=1
	ds_load_b64 v[44:45], v57 offset:30176
	ds_load_b64 v[46:47], v53 offset:29136
	s_wait_dscnt 0x0
	v_fmac_f64_e32 v[0:1], v[44:45], v[46:47]
	s_or_b32 exec_lo, exec_lo, s45
	s_and_saveexec_b32 s45, s1
	s_cbranch_execnz .LBB141_941
	s_branch .LBB141_942
.LBB141_1117:
	s_endpgm
	.section	.rodata,"a",@progbits
	.p2align	6, 0x0
	.amdhsa_kernel _ZL19rocblas_trsv_deviceILi64ELi16ELb1ELb1ELb1ELb1EddPKPKdPKPdEviT7_lllT6_T8_lllPii
		.amdhsa_group_segment_fixed_size 41480
		.amdhsa_private_segment_fixed_size 0
		.amdhsa_kernarg_size 352
		.amdhsa_user_sgpr_count 2
		.amdhsa_user_sgpr_dispatch_ptr 0
		.amdhsa_user_sgpr_queue_ptr 0
		.amdhsa_user_sgpr_kernarg_segment_ptr 1
		.amdhsa_user_sgpr_dispatch_id 0
		.amdhsa_user_sgpr_kernarg_preload_length 0
		.amdhsa_user_sgpr_kernarg_preload_offset 0
		.amdhsa_user_sgpr_private_segment_size 0
		.amdhsa_wavefront_size32 1
		.amdhsa_uses_dynamic_stack 0
		.amdhsa_enable_private_segment 0
		.amdhsa_system_sgpr_workgroup_id_x 1
		.amdhsa_system_sgpr_workgroup_id_y 0
		.amdhsa_system_sgpr_workgroup_id_z 1
		.amdhsa_system_sgpr_workgroup_info 0
		.amdhsa_system_vgpr_workitem_id 1
		.amdhsa_next_free_vgpr 104
		.amdhsa_next_free_sgpr 105
		.amdhsa_named_barrier_count 0
		.amdhsa_reserve_vcc 1
		.amdhsa_float_round_mode_32 0
		.amdhsa_float_round_mode_16_64 0
		.amdhsa_float_denorm_mode_32 3
		.amdhsa_float_denorm_mode_16_64 3
		.amdhsa_fp16_overflow 0
		.amdhsa_memory_ordered 1
		.amdhsa_forward_progress 1
		.amdhsa_inst_pref_size 241
		.amdhsa_round_robin_scheduling 0
		.amdhsa_exception_fp_ieee_invalid_op 0
		.amdhsa_exception_fp_denorm_src 0
		.amdhsa_exception_fp_ieee_div_zero 0
		.amdhsa_exception_fp_ieee_overflow 0
		.amdhsa_exception_fp_ieee_underflow 0
		.amdhsa_exception_fp_ieee_inexact 0
		.amdhsa_exception_int_div_zero 0
	.end_amdhsa_kernel
	.section	.text._ZL19rocblas_trsv_deviceILi64ELi16ELb1ELb1ELb1ELb1EddPKPKdPKPdEviT7_lllT6_T8_lllPii,"axG",@progbits,_ZL19rocblas_trsv_deviceILi64ELi16ELb1ELb1ELb1ELb1EddPKPKdPKPdEviT7_lllT6_T8_lllPii,comdat
.Lfunc_end141:
	.size	_ZL19rocblas_trsv_deviceILi64ELi16ELb1ELb1ELb1ELb1EddPKPKdPKPdEviT7_lllT6_T8_lllPii, .Lfunc_end141-_ZL19rocblas_trsv_deviceILi64ELi16ELb1ELb1ELb1ELb1EddPKPKdPKPdEviT7_lllT6_T8_lllPii
                                        ; -- End function
	.set _ZL19rocblas_trsv_deviceILi64ELi16ELb1ELb1ELb1ELb1EddPKPKdPKPdEviT7_lllT6_T8_lllPii.num_vgpr, 104
	.set _ZL19rocblas_trsv_deviceILi64ELi16ELb1ELb1ELb1ELb1EddPKPKdPKPdEviT7_lllT6_T8_lllPii.num_agpr, 0
	.set _ZL19rocblas_trsv_deviceILi64ELi16ELb1ELb1ELb1ELb1EddPKPKdPKPdEviT7_lllT6_T8_lllPii.numbered_sgpr, 105
	.set _ZL19rocblas_trsv_deviceILi64ELi16ELb1ELb1ELb1ELb1EddPKPKdPKPdEviT7_lllT6_T8_lllPii.num_named_barrier, 0
	.set _ZL19rocblas_trsv_deviceILi64ELi16ELb1ELb1ELb1ELb1EddPKPKdPKPdEviT7_lllT6_T8_lllPii.private_seg_size, 0
	.set _ZL19rocblas_trsv_deviceILi64ELi16ELb1ELb1ELb1ELb1EddPKPKdPKPdEviT7_lllT6_T8_lllPii.uses_vcc, 1
	.set _ZL19rocblas_trsv_deviceILi64ELi16ELb1ELb1ELb1ELb1EddPKPKdPKPdEviT7_lllT6_T8_lllPii.uses_flat_scratch, 0
	.set _ZL19rocblas_trsv_deviceILi64ELi16ELb1ELb1ELb1ELb1EddPKPKdPKPdEviT7_lllT6_T8_lllPii.has_dyn_sized_stack, 0
	.set _ZL19rocblas_trsv_deviceILi64ELi16ELb1ELb1ELb1ELb1EddPKPKdPKPdEviT7_lllT6_T8_lllPii.has_recursion, 0
	.set _ZL19rocblas_trsv_deviceILi64ELi16ELb1ELb1ELb1ELb1EddPKPKdPKPdEviT7_lllT6_T8_lllPii.has_indirect_call, 0
	.section	.AMDGPU.csdata,"",@progbits
; Kernel info:
; codeLenInByte = 30764
; TotalNumSgprs: 107
; NumVgprs: 104
; ScratchSize: 0
; MemoryBound: 0
; FloatMode: 240
; IeeeMode: 1
; LDSByteSize: 41480 bytes/workgroup (compile time only)
; SGPRBlocks: 0
; VGPRBlocks: 6
; NumSGPRsForWavesPerEU: 107
; NumVGPRsForWavesPerEU: 104
; NamedBarCnt: 0
; Occupancy: 9
; WaveLimiterHint : 1
; COMPUTE_PGM_RSRC2:SCRATCH_EN: 0
; COMPUTE_PGM_RSRC2:USER_SGPR: 2
; COMPUTE_PGM_RSRC2:TRAP_HANDLER: 0
; COMPUTE_PGM_RSRC2:TGID_X_EN: 1
; COMPUTE_PGM_RSRC2:TGID_Y_EN: 0
; COMPUTE_PGM_RSRC2:TGID_Z_EN: 1
; COMPUTE_PGM_RSRC2:TIDIG_COMP_CNT: 1
	.section	.text._ZL19rocblas_trsv_deviceILi64ELi16ELb1ELb0ELb0ELb0EddPKPKdPKPdEviT7_lllT6_T8_lllPii,"axG",@progbits,_ZL19rocblas_trsv_deviceILi64ELi16ELb1ELb0ELb0ELb0EddPKPKdPKPdEviT7_lllT6_T8_lllPii,comdat
	.globl	_ZL19rocblas_trsv_deviceILi64ELi16ELb1ELb0ELb0ELb0EddPKPKdPKPdEviT7_lllT6_T8_lllPii ; -- Begin function _ZL19rocblas_trsv_deviceILi64ELi16ELb1ELb0ELb0ELb0EddPKPKdPKPdEviT7_lllT6_T8_lllPii
	.p2align	8
	.type	_ZL19rocblas_trsv_deviceILi64ELi16ELb1ELb0ELb0ELb0EddPKPKdPKPdEviT7_lllT6_T8_lllPii,@function
_ZL19rocblas_trsv_deviceILi64ELi16ELb1ELb0ELb0ELb0EddPKPKdPKPdEviT7_lllT6_T8_lllPii: ; @_ZL19rocblas_trsv_deviceILi64ELi16ELb1ELb0ELb0ELb0EddPKPKdPKPdEviT7_lllT6_T8_lllPii
; %bb.0:
	s_load_b32 s96, s[0:1], 0x58
	s_bfe_u32 s2, ttmp6, 0x40014
	s_lshr_b32 s3, ttmp7, 16
	s_add_co_i32 s2, s2, 1
	s_bfe_u32 s5, ttmp6, 0x40008
	s_mul_i32 s4, s3, s2
	s_getreg_b32 s2, hwreg(HW_REG_IB_STS2, 6, 4)
	s_add_co_i32 s5, s5, s4
	s_cmp_eq_u32 s2, 0
	s_mov_b32 s71, 0
	s_cselect_b32 s70, s3, s5
	s_wait_kmcnt 0x0
	s_cmp_ge_u32 s70, s96
	s_cbranch_scc1 .LBB142_1087
; %bb.1:
	s_clause 0x3
	s_load_b32 s3, s[0:1], 0x6c
	s_load_b32 s97, s[0:1], 0x0
	s_load_b64 s[84:85], s[0:1], 0x18
	s_load_b256 s[72:79], s[0:1], 0x28
	s_bfe_u32 s5, ttmp6, 0x4000c
	s_and_b32 s4, ttmp6, 15
	s_add_co_i32 s5, s5, 1
	s_clause 0x1
	s_load_b64 s[86:87], s[0:1], 0x50
	s_load_b128 s[80:83], s[0:1], 0x8
	s_wait_xcnt 0x0
	s_mul_i32 s0, ttmp9, s5
	v_bfe_u32 v44, v0, 10, 10
	s_add_co_i32 s4, s4, s0
	s_cmp_eq_u32 s2, 0
	v_mov_b32_e32 v1, 0
	s_cselect_b32 s98, ttmp9, s4
	v_and_b32_e32 v2, 0x3ff, v0
	v_lshlrev_b32_e32 v10, 6, v44
	v_sub_co_u32 v45, s5, s98, 1
	v_dual_mov_b32 v5, v1 :: v_dual_mov_b32 v3, v1
	s_wait_kmcnt 0x0
	s_add_co_i32 s0, s97, -1
	s_ashr_i32 s1, s97, 31
	s_and_b32 s2, s3, 0xffff
	s_ashr_i32 s3, s0, 31
	s_lshr_b32 s1, s1, 26
	s_lshr_b32 s3, s3, 26
	s_add_co_i32 s1, s97, s1
	s_add_co_i32 s0, s0, s3
	s_and_not1_b32 s1, s1, 63
	s_ashr_i32 s0, s0, 6
	s_sub_co_i32 s13, s97, s1
	s_cmp_eq_u32 s0, s98
	s_add_nc_u64 s[0:1], s[84:85], 1
	s_cselect_b32 s3, -1, 0
	s_cmp_lg_u32 s13, 0
	v_mad_u32_u24 v4, v44, s2, v2
	s_cselect_b32 s4, -1, 0
	s_lshl_b32 s10, s98, 6
	s_delay_alu instid0(SALU_CYCLE_1) | instskip(SKIP_3) | instid1(VALU_DEP_3)
	v_dual_add_nc_u32 v14, s10, v44 :: v_dual_bitop2_b32 v11, v10, v2 bitop3:0x14
	v_mad_nc_u64_u32 v[18:19], s0, s10, v[2:3]
	v_and_b32_e32 v3, v10, v2
	s_xor_b32 s2, s5, -1
	v_lshrrev_b16 v11, 1, v11
	v_subrev_nc_u32_e32 v12, 64, v14
	v_add_nc_u32_e32 v6, s10, v2
	s_ashr_i32 s11, s10, 31
                                        ; implicit-def: $vgpr86 : SGPR spill to VGPR lane
	s_and_b32 s12, s4, s3
	v_writelane_b32 v86, s2, 0
	s_delay_alu instid0(VALU_DEP_2) | instskip(SKIP_3) | instid1(VALU_DEP_1)
	v_dual_ashrrev_i32 v13, 31, v12 :: v_dual_ashrrev_i32 v7, 31, v6
	s_mul_i32 s1, s1, s10
	s_mul_i32 s2, s0, s11
	s_xor_b32 s100, s12, -1
	v_mul_u64_e32 v[8:9], s[84:85], v[12:13]
	v_lshrrev_b32_e32 v13, 10, v0
	v_add_nc_u16 v3, v3, v11
	v_dual_add_nc_u32 v35, v10, v2 :: v_dual_bitop2_b32 v11, 1, v0 bitop3:0x40
	v_add3_u32 v19, s2, s1, v19
	s_cmp_gt_i32 s98, 4
	s_delay_alu instid0(VALU_DEP_3) | instskip(NEXT) | instid1(VALU_DEP_3)
	v_and_b32_e32 v10, 0xffff, v3
	v_lshlrev_b32_e32 v15, 3, v11
	v_cmp_eq_u32_e64 s2, 1, v11
	v_dual_lshrrev_b32 v11, 2, v35 :: v_dual_lshlrev_b32 v48, 3, v2
	s_cselect_b32 s1, -1, 0
	v_bitop3_b32 v34, v0, v13, 0x3ff bitop3:0xa8
	s_and_b32 s101, s1, s100
	v_cmp_gt_u32_e64 s1, 4, v35
	v_lshl_add_u32 v3, v10, 3, 0x8000
	v_lshl_or_b32 v46, v10, 9, v15
	v_mul_u32_u24_e32 v47, 0x208, v10
	v_dual_lshlrev_b32 v10, 3, v11 :: v_dual_bitop2_b32 v13, 3, v0 bitop3:0x40
	v_mul_u32_u24_e32 v49, 0x208, v11
	s_xor_b32 s3, s2, -1
	s_and_b32 s103, s2, s1
	s_and_b32 s102, s3, s1
	v_cmp_gt_u32_e64 s2, 16, v35
	v_add_nc_u32_e32 v50, 0x8000, v10
	v_dual_lshlrev_b32 v51, 3, v13 :: v_dual_sub_nc_u32 v10, v49, v10
	v_cmp_eq_u32_e64 s3, 0, v13
	v_cmp_ne_u32_e64 s4, 0, v13
	v_cmp_eq_u32_e64 s5, 1, v13
	s_delay_alu instid0(VALU_DEP_4)
	v_lshl_or_b32 v52, v11, 9, v51
	v_dual_add_nc_u32 v53, v10, v51 :: v_dual_bitop2_b32 v11, 7, v0 bitop3:0x40
	s_and_b32 s104, s3, s2
	s_and_b32 vcc_hi, s4, s2
	v_cmp_lt_u32_e64 s3, 1, v13
	v_cmp_eq_u32_e64 s4, 2, v13
	s_and_b32 s36, s5, s2
	v_cmp_eq_u32_e64 s5, 3, v13
	v_cmp_lt_u32_e64 s6, 1, v11
	s_and_b32 s37, s3, s2
	s_and_b32 s38, s4, s2
	v_cmp_gt_u32_e64 s3, 64, v35
	v_cmp_eq_u32_e64 s4, 0, v11
	s_and_b32 s39, s5, s2
	v_cmp_ne_u32_e64 s5, 0, v11
	v_cmp_eq_u32_e64 s7, 2, v11
	v_cmp_lt_u32_e64 s8, 2, v11
	s_and_b32 s40, s4, s3
	v_cmp_eq_u32_e64 s4, 1, v11
	s_and_b32 s41, s5, s3
	s_and_b32 s43, s6, s3
	v_cmp_lt_u32_e64 s5, 3, v11
	v_cmp_eq_u32_e64 s6, 4, v11
	s_and_b32 s42, s4, s3
	v_cmp_eq_u32_e64 s4, 3, v11
	v_lshlrev_b32_e32 v55, 3, v11
	s_and_b32 s44, s7, s3
	s_and_b32 s45, s8, s3
	v_cmp_lt_u32_e64 s7, 4, v11
	v_cmp_eq_u32_e64 s8, 5, v11
	s_and_b32 s46, s4, s3
	s_and_b32 s47, s5, s3
	;; [unrolled: 1-line block ×3, first 2 shown]
	v_cmp_lt_u32_e64 s4, 5, v11
	v_cmp_eq_u32_e64 s5, 6, v11
	v_cmp_eq_u32_e64 s6, 7, v11
	v_and_b32_e32 v11, 15, v0
	s_and_b32 s49, s7, s3
	s_and_b32 s51, s4, s3
	;; [unrolled: 1-line block ×3, first 2 shown]
	v_cmp_gt_u32_e64 s4, 0x100, v35
	v_cmp_eq_u32_e64 s5, 0, v11
	s_and_b32 s53, s6, s3
	v_cmp_ne_u32_e64 s6, 0, v11
	v_cmp_eq_u32_e64 s7, 1, v11
	s_and_b32 s50, s8, s3
	s_and_b32 s5, s5, s4
	v_cmp_lt_u32_e64 s8, 1, v11
	v_writelane_b32 v86, s5, 1
	s_and_b32 s6, s6, s4
	v_cmp_eq_u32_e64 s5, 2, v11
	v_and_b32_e32 v13, 0x1fff8, v35
	v_lshrrev_b32_e32 v10, 3, v35
	v_writelane_b32 v86, s6, 2
	s_and_b32 s6, s7, s4
	s_and_b32 s5, s5, s4
	v_cmp_lt_u32_e64 s7, 3, v11
	v_mul_u32_u24_e32 v54, 0x208, v10
	v_writelane_b32 v86, s6, 3
	s_and_b32 s6, s8, s4
	v_cmp_eq_u32_e64 s8, 4, v11
	s_and_b32 s67, s7, s4
	v_cmp_eq_u32_e64 s7, 6, v11
	v_writelane_b32 v86, s6, 4
	v_cmp_lt_u32_e64 s6, 2, v11
	s_and_b32 s68, s8, s4
	v_cmp_lt_u32_e64 s8, 6, v11
	s_and_b32 s27, s7, s4
	v_writelane_b32 v86, s5, 5
	v_cmp_eq_u32_e64 s5, 3, v11
	s_and_b32 s6, s6, s4
	s_and_b32 s29, s8, s4
	v_cmp_lt_u32_e64 s7, 8, v11
	v_writelane_b32 v86, s6, 6
	s_and_b32 s5, s5, s4
	v_cmp_lt_u32_e64 s6, 4, v11
	v_cmp_eq_u32_e64 s8, 9, v11
	v_sub_nc_u32_e32 v15, v54, v13
	v_writelane_b32 v86, s5, 7
	v_cmp_eq_u32_e64 s5, 5, v11
	s_and_b32 s9, s6, s4
	v_cmp_lt_u32_e64 s6, 5, v11
	v_lshl_or_b32 v57, v10, 9, v55
	v_lshrrev_b32_e32 v10, 4, v35
	s_and_b32 s23, s5, s4
	v_cmp_eq_u32_e64 s5, 7, v11
	s_and_b32 s25, s6, s4
	v_cmp_lt_u32_e64 s6, 7, v11
	s_and_b32 s62, s7, s4
	s_and_b32 s63, s8, s4
	;; [unrolled: 1-line block ×3, first 2 shown]
	v_cmp_eq_u32_e64 s5, 8, v11
	s_and_b32 s34, s6, s4
	v_cmp_lt_u32_e64 s6, 9, v11
	v_cmp_eq_u32_e64 s7, 11, v11
	v_cmp_lt_u32_e64 s8, 11, v11
	s_and_b32 s61, s5, s4
	v_cmp_eq_u32_e64 s5, 10, v11
	s_and_b32 s64, s6, s4
	v_cmp_lt_u32_e64 s6, 10, v11
	v_cmp_le_i32_e64 s14, s13, v2
	v_add_nc_u32_e32 v56, 0x8000, v13
	s_and_b32 s24, s5, s4
	v_cmp_eq_u32_e64 s5, 12, v11
	v_dual_add_nc_u32 v58, v15, v55 :: v_dual_lshlrev_b32 v13, 3, v10
	v_mul_u32_u24_e32 v59, 0x208, v10
	v_lshlrev_b32_e32 v60, 3, v11
	s_and_b32 s33, s5, s4
	v_cmp_eq_u32_e64 s5, 13, v11
	s_and_b32 s26, s6, s4
	v_cmp_lt_u32_e64 s6, 12, v11
	s_and_b32 s28, s7, s4
	s_and_b32 s30, s8, s4
	;; [unrolled: 1-line block ×3, first 2 shown]
	v_cmp_eq_u32_e64 s5, 15, v11
	v_cmp_lt_u32_e64 s7, 13, v11
	v_cmp_eq_u32_e64 s8, 14, v11
	s_and_b32 s58, s14, s12
	v_cmp_gt_i32_e32 vcc_lo, s13, v2
	s_and_b32 s57, s5, s4
	v_cmp_eq_u32_e64 s5, 0, v44
	v_sub_nc_u32_e32 v15, v59, v13
	v_lshl_or_b32 v62, v10, 9, v60
	s_and_b32 s99, s6, s4
	v_dual_lshrrev_b32 v10, 5, v35 :: v_dual_bitop2_b32 v65, 31, v0 bitop3:0x40
	s_xor_b32 s6, s58, -1
	s_and_b32 s55, s7, s4
	s_and_b32 s56, s8, s4
	;; [unrolled: 1-line block ×3, first 2 shown]
	s_cmp_gt_i32 s98, 0
	v_cmp_gt_i32_e64 s0, s97, v6
	v_dual_lshlrev_b32 v64, 3, v10 :: v_dual_add_nc_u32 v63, v15, v60
	v_lshlrev_b32_e32 v66, 9, v10
	s_cselect_b32 s66, -1, 0
	s_and_b32 s6, s5, vcc_lo
	v_subrev_nc_u32_e32 v15, 48, v14
	v_cmp_gt_i32_e32 vcc_lo, s97, v12
	v_writelane_b32 v86, s6, 8
	v_add_nc_u64_e32 v[10:11], s[10:11], v[4:5]
	v_dual_add_nc_u32 v36, 16, v44 :: v_dual_add_nc_u32 v37, 32, v44
	v_add_nc_u32_e32 v0, s10, v4
	v_subrev_nc_u32_e32 v16, 32, v14
	v_cmp_gt_i32_e64 s6, s97, v15
	s_and_b32 s10, s0, vcc_lo
	v_dual_add_nc_u32 v38, 48, v44 :: v_dual_add_nc_u32 v17, -16, v14
	v_writelane_b32 v86, s10, 9
	v_cmp_gt_i32_e64 s7, s97, v16
	s_and_b32 s6, s0, s6
	v_cmp_le_i32_e32 vcc_lo, s13, v44
	v_cmp_gt_i32_e64 s8, s97, v17
	v_writelane_b32 v86, s6, 10
	s_and_b32 s6, s0, s7
	v_cmp_le_u32_e64 s11, v2, v36
	v_cmp_le_i32_e64 s12, s13, v36
	v_cmp_le_u32_e64 s16, v2, v37
	v_writelane_b32 v86, s6, 11
	s_and_b32 s6, s0, s8
	v_cmp_le_u32_e64 s8, v2, v44
	s_or_b32 s7, s12, s14
	v_cmp_le_u32_e64 s17, v2, v38
	v_writelane_b32 v86, s6, 12
	s_or_b32 s6, vcc_lo, s14
	v_cmp_le_i32_e32 vcc_lo, s13, v37
	s_or_b32 s6, s6, s8
	v_cmp_le_i32_e64 s13, s13, v38
	v_writelane_b32 v86, s8, 13
	v_cmp_ne_u32_e64 s10, v2, v44
	v_cmp_ne_u32_e64 s15, v2, v36
                                        ; implicit-def: $vgpr85 : SGPR spill to VGPR lane
	v_mul_u32_u24_e32 v69, 0x208, v65
	v_lshl_add_u32 v70, v44, 3, 0xa000
	v_writelane_b32 v86, s6, 14
	s_or_b32 s6, s7, s11
	s_or_b32 s7, s13, s14
	s_or_b32 s8, s14, s10
	v_dual_lshlrev_b32 v20, 9, v65 :: v_dual_add_nc_u32 v75, v70, v48
	v_writelane_b32 v86, s11, 15
	v_cmp_gt_u32_e64 s11, 0x50, v35
	v_mul_u64_e32 v[10:11], s[78:79], v[10:11]
	s_delay_alu instid0(VALU_DEP_4)
	v_dual_sub_nc_u32 v28, v69, v20 :: v_dual_bitop2_b32 v41, v38, v2 bitop3:0x54
	v_writelane_b32 v86, s6, 16
	s_or_b32 s6, vcc_lo, s14
	v_or_b32_e32 v39, v36, v2
	s_or_b32 s6, s6, s16
	v_mul_u64_e32 v[20:21], s[78:79], v[6:7]
	v_writelane_b32 v86, s16, 17
	v_mul_u64_e32 v[22:23], s[78:79], v[0:1]
	v_add_nc_u32_e32 v61, 0x8000, v13
	v_mad_nc_u64_u32 v[12:13], s84, v44, v[18:19]
	v_mad_nc_u64_u32 v[14:15], s84, v36, v[18:19]
	v_writelane_b32 v86, s6, 18
	s_or_b32 s6, s7, s17
	v_cmp_ne_u32_e64 s7, v2, v38
	v_mad_nc_u64_u32 v[16:17], s84, v37, v[18:19]
	v_mad_nc_u64_u32 v[18:19], s84, v38, v[18:19]
	v_writelane_b32 v86, s17, 19
                                        ; implicit-def: $vgpr84 : SGPR spill to VGPR lane
	v_or_b32_e32 v40, v37, v2
	v_mov_b64_e32 v[24:25], 0
	v_cmp_lt_u32_e32 vcc_lo, 0x3ff, v35
	v_mad_u32 v13, s85, v44, v13
	v_writelane_b32 v86, s6, 20
	v_cmp_ne_u32_e64 s6, v2, v37
	v_mad_u32 v15, s85, v36, v15
	v_add_nc_u32_e32 v67, 0x8000, v64
	v_mad_u32 v17, s85, v37, v17
	v_writelane_b32 v86, s10, 21
	v_mad_u32 v19, s85, v38, v19
	v_lshl_or_b32 v68, v65, 3, v66
	v_lshl_add_u32 v71, v4, 3, 0xa000
	v_lshl_add_u32 v72, v35, 3, 0x8000
	v_writelane_b32 v86, s8, 22
	s_or_b32 s8, s14, s15
	v_add_nc_u32_e32 v73, 0x8000, v48
	v_lshl_add_u32 v74, v44, 9, v48
	v_lshl_add_u32 v5, v2, 9, v48
	v_writelane_b32 v86, s15, 23
	v_lshl_add_u32 v76, v36, 9, v48
	v_lshl_add_u32 v77, v37, 9, v48
	v_add_nc_u32_e32 v78, 0x4100, v28
	v_lshl_add_u32 v79, v38, 9, v48
	v_writelane_b32 v86, s8, 24
	v_cmp_gt_u32_e64 s8, 0x70, v35
	v_cmp_gt_u32_e64 s15, 2, v35
	;; [unrolled: 1-line block ×4, first 2 shown]
	v_writelane_b32 v86, s6, 25
	s_or_b32 s6, s14, s6
	v_cmp_gt_u32_e64 s18, 56, v35
	v_cmp_gt_u32_e64 s19, 48, v35
	;; [unrolled: 1-line block ×3, first 2 shown]
	v_writelane_b32 v86, s6, 26
	s_or_b32 s6, s14, s7
	v_cmp_eq_u32_e64 s14, 0, v34
	v_cmp_gt_u32_e64 s21, 32, v35
	v_cmp_gt_u32_e64 s22, 24, v35
	v_writelane_b32 v86, s7, 27
	v_cmp_gt_u32_e64 s7, 0xa0, v35
	v_cmp_gt_u32_e64 s35, 0x400, v35
	v_cmp_eq_u32_e64 s59, 0, v4
	v_cmp_gt_u32_e64 s60, 64, v4
	v_writelane_b32 v86, s6, 28
	v_cmp_gt_u32_e64 s6, 0xf0, v35
	s_xor_b32 s10, vcc_lo, -1
	s_lshl_b64 s[88:89], s[84:85], 7
	s_lshl_b64 s[90:91], s[84:85], 8
	s_mul_u64 s[92:93], s[84:85], 0x180
	v_writelane_b32 v86, s6, 29
	v_cmp_gt_u32_e64 s6, 0xe0, v35
	s_lshl_b64 s[82:83], s[82:83], 3
	s_lshl_b64 s[76:77], s[76:77], 3
                                        ; implicit-def: $vgpr26_vgpr27
                                        ; implicit-def: $vgpr28_vgpr29
                                        ; implicit-def: $vgpr30_vgpr31
                                        ; implicit-def: $vgpr32_vgpr33
	v_writelane_b32 v86, s6, 30
	v_cmp_gt_u32_e64 s6, 0xd0, v35
	s_delay_alu instid0(VALU_DEP_1) | instskip(SKIP_1) | instid1(VALU_DEP_1)
	v_writelane_b32 v86, s6, 31
	v_cmp_gt_u32_e64 s6, 0xc0, v35
	v_writelane_b32 v85, s6, 0
	v_cmp_gt_u32_e64 s6, 0xb0, v35
	s_delay_alu instid0(VALU_DEP_1) | instskip(SKIP_1) | instid1(VALU_DEP_1)
	v_writelane_b32 v85, s6, 1
	v_cmp_gt_u32_e64 s6, 0x90, v35
	v_writelane_b32 v85, s6, 2
	v_cmp_gt_u32_e64 s6, 0x80, v35
	;; [unrolled: 2-line block ×4, first 2 shown]
	s_delay_alu instid0(VALU_DEP_1) | instskip(SKIP_1) | instid1(VALU_DEP_1)
	v_writelane_b32 v85, s11, 5
	v_cmp_gt_u32_e64 s11, 0x3c0, v35
	v_writelane_b32 v85, s11, 6
	v_cmp_gt_u32_e64 s11, 0x3a0, v35
	s_delay_alu instid0(VALU_DEP_1) | instskip(SKIP_1) | instid1(VALU_DEP_1)
	v_writelane_b32 v85, s11, 7
	v_cmp_gt_u32_e64 s11, 0x380, v35
	v_writelane_b32 v85, s11, 8
	v_cmp_gt_u32_e64 s11, 0x360, v35
	;; [unrolled: 5-line block ×11, first 2 shown]
	s_delay_alu instid0(VALU_DEP_1) | instskip(SKIP_1) | instid1(VALU_DEP_1)
	v_writelane_b32 v85, s11, 27
	v_cmp_ge_u32_e64 s11, v2, v44
	v_writelane_b32 v85, s11, 28
	v_cmp_ge_u32_e64 s11, v2, v36
	s_delay_alu instid0(VALU_DEP_1) | instskip(SKIP_1) | instid1(VALU_DEP_1)
	v_writelane_b32 v85, s11, 29
	v_cmp_ge_u32_e64 s11, v2, v37
	v_writelane_b32 v85, s11, 30
	v_cmp_ge_u32_e64 s11, v2, v38
	s_delay_alu instid0(VALU_DEP_1) | instskip(SKIP_1) | instid1(VALU_DEP_1)
	v_writelane_b32 v85, s11, 31
	v_cmp_gt_u32_e64 s11, 64, v34
	v_writelane_b32 v84, s11, 0
	v_cmp_gt_u32_e64 s11, 64, v39
	s_delay_alu instid0(VALU_DEP_1) | instskip(SKIP_1) | instid1(VALU_DEP_1)
	v_writelane_b32 v84, s11, 1
	v_cmp_gt_u32_e64 s11, 64, v40
	v_writelane_b32 v84, s11, 2
	v_cmp_gt_u32_e64 s11, 64, v41
	s_delay_alu instid0(VALU_DEP_1)
	v_writelane_b32 v84, s11, 3
	s_branch .LBB142_3
.LBB142_2:                              ;   in Loop: Header=BB142_3 Depth=1
	s_wait_xcnt 0x0
	s_or_b32 exec_lo, exec_lo, s11
	s_add_co_i32 s70, s70, 0x10000
	global_wb scope:SCOPE_DEV
	s_wait_storecnt 0x0
	global_inv scope:SCOPE_DEV
	s_cmp_lt_u32 s70, s96
	s_cbranch_scc0 .LBB142_1087
.LBB142_3:                              ; =>This Loop Header: Depth=1
                                        ;     Child Loop BB142_539 Depth 2
                                        ;     Child Loop BB142_956 Depth 2
                                        ;       Child Loop BB142_958 Depth 3
                                        ;     Child Loop BB142_996 Depth 2
	v_mov_b32_e32 v0, s70
	v_readlane_b32 s11, v86, 0
	s_clause 0x1
	global_load_b64 v[34:35], v0, s[80:81] scale_offset
	global_load_b64 v[36:37], v0, s[74:75] scale_offset
	s_and_not1_b32 vcc_lo, exec_lo, s11
	s_wait_loadcnt 0x1
	v_add_nc_u64_e32 v[34:35], s[82:83], v[34:35]
	s_cbranch_vccz .LBB142_6
; %bb.4:                                ;   in Loop: Header=BB142_3 Depth=1
	s_and_not1_b32 vcc_lo, exec_lo, s100
	s_mov_b32 s11, -1
	s_cbranch_vccz .LBB142_15
.LBB142_5:                              ;   in Loop: Header=BB142_3 Depth=1
	s_and_b32 vcc_lo, exec_lo, s11
	s_cbranch_vccnz .LBB142_50
	s_branch .LBB142_85
.LBB142_6:                              ;   in Loop: Header=BB142_3 Depth=1
	s_delay_alu instid0(VALU_DEP_1)
	v_lshl_add_u64 v[30:31], v[8:9], 3, v[34:35]
	v_mov_b64_e32 v[28:29], 0
	v_mov_b64_e32 v[26:27], 0
	s_wait_loadcnt 0x0
	s_barrier_signal -1
	v_lshl_add_u64 v[38:39], v[6:7], 3, v[30:31]
	s_barrier_wait -1
	s_wait_xcnt 0x0
	s_mov_b32 s11, exec_lo
	v_readlane_b32 s12, v86, 9
	s_and_b32 s12, s11, s12
	s_delay_alu instid0(SALU_CYCLE_1)
	s_mov_b32 exec_lo, s12
	s_cbranch_execz .LBB142_8
; %bb.7:                                ;   in Loop: Header=BB142_3 Depth=1
	flat_load_b64 v[26:27], v[38:39]
.LBB142_8:                              ;   in Loop: Header=BB142_3 Depth=1
	s_wait_xcnt 0x0
	s_or_b32 exec_lo, exec_lo, s11
	s_wait_loadcnt_dscnt 0x0
	s_barrier_signal -1
	s_barrier_wait -1
	s_mov_b32 s11, exec_lo
	v_readlane_b32 s12, v86, 10
	s_and_b32 s12, s11, s12
	s_delay_alu instid0(SALU_CYCLE_1)
	s_mov_b32 exec_lo, s12
	s_cbranch_execz .LBB142_10
; %bb.9:                                ;   in Loop: Header=BB142_3 Depth=1
	v_add_nc_u64_e32 v[28:29], s[88:89], v[38:39]
	flat_load_b64 v[28:29], v[28:29]
.LBB142_10:                             ;   in Loop: Header=BB142_3 Depth=1
	s_wait_xcnt 0x0
	s_or_b32 exec_lo, exec_lo, s11
	v_mov_b64_e32 v[32:33], 0
	v_mov_b64_e32 v[30:31], 0
	s_wait_loadcnt_dscnt 0x0
	s_barrier_signal -1
	s_barrier_wait -1
	s_mov_b32 s11, exec_lo
	v_readlane_b32 s12, v86, 11
	s_and_b32 s12, s11, s12
	s_delay_alu instid0(SALU_CYCLE_1)
	s_mov_b32 exec_lo, s12
	s_cbranch_execz .LBB142_12
; %bb.11:                               ;   in Loop: Header=BB142_3 Depth=1
	v_add_nc_u64_e32 v[30:31], s[90:91], v[38:39]
	flat_load_b64 v[30:31], v[30:31]
.LBB142_12:                             ;   in Loop: Header=BB142_3 Depth=1
	s_wait_xcnt 0x0
	s_or_b32 exec_lo, exec_lo, s11
	s_wait_loadcnt_dscnt 0x0
	s_barrier_signal -1
	s_barrier_wait -1
	s_mov_b32 s11, exec_lo
	v_readlane_b32 s12, v86, 12
	s_and_b32 s12, s11, s12
	s_delay_alu instid0(SALU_CYCLE_1)
	s_mov_b32 exec_lo, s12
	s_cbranch_execz .LBB142_14
; %bb.13:                               ;   in Loop: Header=BB142_3 Depth=1
	v_add_nc_u64_e32 v[32:33], s[92:93], v[38:39]
	flat_load_b64 v[32:33], v[32:33]
.LBB142_14:                             ;   in Loop: Header=BB142_3 Depth=1
	s_wait_xcnt 0x0
	s_or_b32 exec_lo, exec_lo, s11
	s_delay_alu instid0(SALU_CYCLE_1)
	s_and_not1_b32 vcc_lo, exec_lo, s100
	s_mov_b32 s11, -1
	s_cbranch_vccnz .LBB142_5
.LBB142_15:                             ;   in Loop: Header=BB142_3 Depth=1
	s_mov_b32 s69, 0
                                        ; implicit-def: $vgpr38_vgpr39
	s_wait_xcnt 0x0
	s_mov_b32 s11, exec_lo
	v_readlane_b32 s12, v86, 13
	s_and_b32 s12, s11, s12
	s_delay_alu instid0(SALU_CYCLE_1)
	s_xor_b32 s11, s12, s11
	s_mov_b32 exec_lo, s12
	s_cbranch_execnz .LBB142_1017
; %bb.16:                               ;   in Loop: Header=BB142_3 Depth=1
	s_and_not1_saveexec_b32 s11, s11
	s_cbranch_execnz .LBB142_1022
.LBB142_17:                             ;   in Loop: Header=BB142_3 Depth=1
	s_or_b32 exec_lo, exec_lo, s11
	s_and_saveexec_b32 s11, s69
.LBB142_18:                             ;   in Loop: Header=BB142_3 Depth=1
	ds_store_b64 v74, v[38:39]
.LBB142_19:                             ;   in Loop: Header=BB142_3 Depth=1
	s_or_b32 exec_lo, exec_lo, s11
	s_delay_alu instid0(SALU_CYCLE_1) | instskip(SKIP_2) | instid1(SALU_CYCLE_1)
	s_mov_b32 s11, exec_lo
	v_readlane_b32 s12, v86, 15
	s_and_b32 s12, s11, s12
	s_xor_b32 s11, s12, s11
	s_mov_b32 exec_lo, s12
	s_cbranch_execz .LBB142_27
; %bb.20:                               ;   in Loop: Header=BB142_3 Depth=1
	s_mov_b32 s12, exec_lo
	v_readlane_b32 s13, v86, 23
	s_and_b32 s13, s12, s13
	s_delay_alu instid0(SALU_CYCLE_1)
	s_xor_b32 s12, s13, s12
	s_mov_b32 exec_lo, s13
	s_cbranch_execz .LBB142_24
; %bb.21:                               ;   in Loop: Header=BB142_3 Depth=1
	s_mov_b32 s13, exec_lo
	v_readlane_b32 s69, v84, 1
	s_and_b32 s69, s13, s69
	s_delay_alu instid0(SALU_CYCLE_1)
	s_mov_b32 exec_lo, s69
; %bb.22:                               ;   in Loop: Header=BB142_3 Depth=1
	ds_store_b64 v76, v[24:25]
; %bb.23:                               ;   in Loop: Header=BB142_3 Depth=1
	s_or_b32 exec_lo, exec_lo, s13
.LBB142_24:                             ;   in Loop: Header=BB142_3 Depth=1
	s_and_not1_saveexec_b32 s12, s12
	s_cbranch_execz .LBB142_26
; %bb.25:                               ;   in Loop: Header=BB142_3 Depth=1
	v_lshl_add_u64 v[38:39], v[14:15], 3, v[34:35]
	flat_load_b64 v[38:39], v[38:39]
	s_wait_loadcnt_dscnt 0x0
	v_div_scale_f64 v[40:41], null, v[38:39], v[38:39], 1.0
	s_delay_alu instid0(VALU_DEP_1) | instskip(SKIP_1) | instid1(TRANS32_DEP_1)
	v_rcp_f64_e32 v[42:43], v[40:41]
	v_nop
	v_fma_f64 v[80:81], -v[40:41], v[42:43], 1.0
	s_delay_alu instid0(VALU_DEP_1) | instskip(NEXT) | instid1(VALU_DEP_1)
	v_fmac_f64_e32 v[42:43], v[42:43], v[80:81]
	v_fma_f64 v[80:81], -v[40:41], v[42:43], 1.0
	s_delay_alu instid0(VALU_DEP_1) | instskip(SKIP_1) | instid1(VALU_DEP_1)
	v_fmac_f64_e32 v[42:43], v[42:43], v[80:81]
	v_div_scale_f64 v[80:81], vcc_lo, 1.0, v[38:39], 1.0
	v_mul_f64_e32 v[82:83], v[80:81], v[42:43]
	s_delay_alu instid0(VALU_DEP_1) | instskip(NEXT) | instid1(VALU_DEP_1)
	v_fma_f64 v[40:41], -v[40:41], v[82:83], v[80:81]
	v_div_fmas_f64 v[40:41], v[40:41], v[42:43], v[82:83]
	s_delay_alu instid0(VALU_DEP_1)
	v_div_fixup_f64 v[38:39], v[40:41], v[38:39], 1.0
	ds_store_b64 v76, v[38:39]
.LBB142_26:                             ;   in Loop: Header=BB142_3 Depth=1
	s_or_b32 exec_lo, exec_lo, s12
.LBB142_27:                             ;   in Loop: Header=BB142_3 Depth=1
	s_and_not1_saveexec_b32 s11, s11
	s_cbranch_execz .LBB142_29
; %bb.28:                               ;   in Loop: Header=BB142_3 Depth=1
	v_lshl_add_u64 v[38:39], v[14:15], 3, v[34:35]
	flat_load_b64 v[38:39], v[38:39]
	s_wait_loadcnt_dscnt 0x0
	v_xor_b32_e32 v39, 0x80000000, v39
	ds_store_b64 v76, v[38:39]
.LBB142_29:                             ;   in Loop: Header=BB142_3 Depth=1
	s_or_b32 exec_lo, exec_lo, s11
	s_delay_alu instid0(SALU_CYCLE_1) | instskip(SKIP_2) | instid1(SALU_CYCLE_1)
	s_mov_b32 s11, exec_lo
	v_readlane_b32 s12, v86, 17
	s_and_b32 s12, s11, s12
	s_xor_b32 s11, s12, s11
	s_mov_b32 exec_lo, s12
	s_cbranch_execz .LBB142_37
; %bb.30:                               ;   in Loop: Header=BB142_3 Depth=1
	s_mov_b32 s12, exec_lo
	v_readlane_b32 s13, v86, 25
	s_and_b32 s13, s12, s13
	s_delay_alu instid0(SALU_CYCLE_1)
	s_xor_b32 s12, s13, s12
	s_mov_b32 exec_lo, s13
	s_cbranch_execz .LBB142_34
; %bb.31:                               ;   in Loop: Header=BB142_3 Depth=1
	s_mov_b32 s13, exec_lo
	v_readlane_b32 s69, v84, 2
	s_and_b32 s69, s13, s69
	s_delay_alu instid0(SALU_CYCLE_1)
	s_mov_b32 exec_lo, s69
; %bb.32:                               ;   in Loop: Header=BB142_3 Depth=1
	ds_store_b64 v77, v[24:25]
; %bb.33:                               ;   in Loop: Header=BB142_3 Depth=1
	s_or_b32 exec_lo, exec_lo, s13
.LBB142_34:                             ;   in Loop: Header=BB142_3 Depth=1
	s_and_not1_saveexec_b32 s12, s12
	s_cbranch_execz .LBB142_36
; %bb.35:                               ;   in Loop: Header=BB142_3 Depth=1
	v_lshl_add_u64 v[38:39], v[16:17], 3, v[34:35]
	flat_load_b64 v[38:39], v[38:39]
	s_wait_loadcnt_dscnt 0x0
	v_div_scale_f64 v[40:41], null, v[38:39], v[38:39], 1.0
	s_delay_alu instid0(VALU_DEP_1) | instskip(SKIP_1) | instid1(TRANS32_DEP_1)
	v_rcp_f64_e32 v[42:43], v[40:41]
	v_nop
	v_fma_f64 v[80:81], -v[40:41], v[42:43], 1.0
	s_delay_alu instid0(VALU_DEP_1) | instskip(NEXT) | instid1(VALU_DEP_1)
	v_fmac_f64_e32 v[42:43], v[42:43], v[80:81]
	v_fma_f64 v[80:81], -v[40:41], v[42:43], 1.0
	s_delay_alu instid0(VALU_DEP_1) | instskip(SKIP_1) | instid1(VALU_DEP_1)
	v_fmac_f64_e32 v[42:43], v[42:43], v[80:81]
	v_div_scale_f64 v[80:81], vcc_lo, 1.0, v[38:39], 1.0
	v_mul_f64_e32 v[82:83], v[80:81], v[42:43]
	s_delay_alu instid0(VALU_DEP_1) | instskip(NEXT) | instid1(VALU_DEP_1)
	v_fma_f64 v[40:41], -v[40:41], v[82:83], v[80:81]
	v_div_fmas_f64 v[40:41], v[40:41], v[42:43], v[82:83]
	s_delay_alu instid0(VALU_DEP_1)
	v_div_fixup_f64 v[38:39], v[40:41], v[38:39], 1.0
	ds_store_b64 v77, v[38:39]
.LBB142_36:                             ;   in Loop: Header=BB142_3 Depth=1
	s_or_b32 exec_lo, exec_lo, s12
.LBB142_37:                             ;   in Loop: Header=BB142_3 Depth=1
	s_and_not1_saveexec_b32 s11, s11
	s_cbranch_execz .LBB142_39
; %bb.38:                               ;   in Loop: Header=BB142_3 Depth=1
	v_lshl_add_u64 v[38:39], v[16:17], 3, v[34:35]
	flat_load_b64 v[38:39], v[38:39]
	s_wait_loadcnt_dscnt 0x0
	v_xor_b32_e32 v39, 0x80000000, v39
	ds_store_b64 v77, v[38:39]
.LBB142_39:                             ;   in Loop: Header=BB142_3 Depth=1
	;; [unrolled: 63-line block ×3, first 2 shown]
	s_or_b32 exec_lo, exec_lo, s11
	s_branch .LBB142_85
.LBB142_50:                             ;   in Loop: Header=BB142_3 Depth=1
	s_mov_b32 s69, 0
                                        ; implicit-def: $vgpr38_vgpr39
	s_wait_xcnt 0x0
	s_mov_b32 s11, exec_lo
	v_readlane_b32 s12, v86, 14
	s_and_b32 s12, s11, s12
	s_delay_alu instid0(SALU_CYCLE_1)
	s_xor_b32 s11, s12, s11
	s_mov_b32 exec_lo, s12
	s_cbranch_execnz .LBB142_1023
; %bb.51:                               ;   in Loop: Header=BB142_3 Depth=1
	s_and_not1_saveexec_b32 s11, s11
	s_cbranch_execnz .LBB142_1028
.LBB142_52:                             ;   in Loop: Header=BB142_3 Depth=1
	s_or_b32 exec_lo, exec_lo, s11
	s_and_saveexec_b32 s11, s69
.LBB142_53:                             ;   in Loop: Header=BB142_3 Depth=1
	ds_store_b64 v74, v[38:39]
.LBB142_54:                             ;   in Loop: Header=BB142_3 Depth=1
	s_or_b32 exec_lo, exec_lo, s11
	s_delay_alu instid0(SALU_CYCLE_1) | instskip(SKIP_2) | instid1(SALU_CYCLE_1)
	s_mov_b32 s11, exec_lo
	v_readlane_b32 s12, v86, 16
	s_and_b32 s12, s11, s12
	s_xor_b32 s11, s12, s11
	s_mov_b32 exec_lo, s12
	s_cbranch_execz .LBB142_62
; %bb.55:                               ;   in Loop: Header=BB142_3 Depth=1
	s_mov_b32 s12, exec_lo
	v_readlane_b32 s13, v86, 24
	s_and_b32 s13, s12, s13
	s_delay_alu instid0(SALU_CYCLE_1)
	s_xor_b32 s12, s13, s12
	s_mov_b32 exec_lo, s13
	s_cbranch_execz .LBB142_59
; %bb.56:                               ;   in Loop: Header=BB142_3 Depth=1
	s_mov_b32 s13, exec_lo
	v_readlane_b32 s69, v84, 1
	s_and_b32 s69, s13, s69
	s_delay_alu instid0(SALU_CYCLE_1)
	s_mov_b32 exec_lo, s69
; %bb.57:                               ;   in Loop: Header=BB142_3 Depth=1
	ds_store_b64 v76, v[24:25]
; %bb.58:                               ;   in Loop: Header=BB142_3 Depth=1
	s_or_b32 exec_lo, exec_lo, s13
.LBB142_59:                             ;   in Loop: Header=BB142_3 Depth=1
	s_and_not1_saveexec_b32 s12, s12
	s_cbranch_execz .LBB142_61
; %bb.60:                               ;   in Loop: Header=BB142_3 Depth=1
	v_lshl_add_u64 v[38:39], v[14:15], 3, v[34:35]
	flat_load_b64 v[38:39], v[38:39]
	s_wait_loadcnt_dscnt 0x0
	v_div_scale_f64 v[40:41], null, v[38:39], v[38:39], 1.0
	s_delay_alu instid0(VALU_DEP_1) | instskip(SKIP_1) | instid1(TRANS32_DEP_1)
	v_rcp_f64_e32 v[42:43], v[40:41]
	v_nop
	v_fma_f64 v[80:81], -v[40:41], v[42:43], 1.0
	s_delay_alu instid0(VALU_DEP_1) | instskip(NEXT) | instid1(VALU_DEP_1)
	v_fmac_f64_e32 v[42:43], v[42:43], v[80:81]
	v_fma_f64 v[80:81], -v[40:41], v[42:43], 1.0
	s_delay_alu instid0(VALU_DEP_1) | instskip(SKIP_1) | instid1(VALU_DEP_1)
	v_fmac_f64_e32 v[42:43], v[42:43], v[80:81]
	v_div_scale_f64 v[80:81], vcc_lo, 1.0, v[38:39], 1.0
	v_mul_f64_e32 v[82:83], v[80:81], v[42:43]
	s_delay_alu instid0(VALU_DEP_1) | instskip(NEXT) | instid1(VALU_DEP_1)
	v_fma_f64 v[40:41], -v[40:41], v[82:83], v[80:81]
	v_div_fmas_f64 v[40:41], v[40:41], v[42:43], v[82:83]
	s_delay_alu instid0(VALU_DEP_1)
	v_div_fixup_f64 v[38:39], v[40:41], v[38:39], 1.0
	ds_store_b64 v76, v[38:39]
.LBB142_61:                             ;   in Loop: Header=BB142_3 Depth=1
	s_or_b32 exec_lo, exec_lo, s12
.LBB142_62:                             ;   in Loop: Header=BB142_3 Depth=1
	s_and_not1_saveexec_b32 s11, s11
	s_cbranch_execz .LBB142_64
; %bb.63:                               ;   in Loop: Header=BB142_3 Depth=1
	v_lshl_add_u64 v[38:39], v[14:15], 3, v[34:35]
	flat_load_b64 v[38:39], v[38:39]
	s_wait_loadcnt_dscnt 0x0
	v_xor_b32_e32 v39, 0x80000000, v39
	ds_store_b64 v76, v[38:39]
.LBB142_64:                             ;   in Loop: Header=BB142_3 Depth=1
	s_or_b32 exec_lo, exec_lo, s11
	s_delay_alu instid0(SALU_CYCLE_1) | instskip(SKIP_2) | instid1(SALU_CYCLE_1)
	s_mov_b32 s11, exec_lo
	v_readlane_b32 s12, v86, 18
	s_and_b32 s12, s11, s12
	s_xor_b32 s11, s12, s11
	s_mov_b32 exec_lo, s12
	s_cbranch_execz .LBB142_72
; %bb.65:                               ;   in Loop: Header=BB142_3 Depth=1
	s_mov_b32 s12, exec_lo
	v_readlane_b32 s13, v86, 26
	s_and_b32 s13, s12, s13
	s_delay_alu instid0(SALU_CYCLE_1)
	s_xor_b32 s12, s13, s12
	s_mov_b32 exec_lo, s13
	s_cbranch_execz .LBB142_69
; %bb.66:                               ;   in Loop: Header=BB142_3 Depth=1
	s_mov_b32 s13, exec_lo
	v_readlane_b32 s69, v84, 2
	s_and_b32 s69, s13, s69
	s_delay_alu instid0(SALU_CYCLE_1)
	s_mov_b32 exec_lo, s69
; %bb.67:                               ;   in Loop: Header=BB142_3 Depth=1
	ds_store_b64 v77, v[24:25]
; %bb.68:                               ;   in Loop: Header=BB142_3 Depth=1
	s_or_b32 exec_lo, exec_lo, s13
.LBB142_69:                             ;   in Loop: Header=BB142_3 Depth=1
	s_and_not1_saveexec_b32 s12, s12
	s_cbranch_execz .LBB142_71
; %bb.70:                               ;   in Loop: Header=BB142_3 Depth=1
	v_lshl_add_u64 v[38:39], v[16:17], 3, v[34:35]
	flat_load_b64 v[38:39], v[38:39]
	s_wait_loadcnt_dscnt 0x0
	v_div_scale_f64 v[40:41], null, v[38:39], v[38:39], 1.0
	s_delay_alu instid0(VALU_DEP_1) | instskip(SKIP_1) | instid1(TRANS32_DEP_1)
	v_rcp_f64_e32 v[42:43], v[40:41]
	v_nop
	v_fma_f64 v[80:81], -v[40:41], v[42:43], 1.0
	s_delay_alu instid0(VALU_DEP_1) | instskip(NEXT) | instid1(VALU_DEP_1)
	v_fmac_f64_e32 v[42:43], v[42:43], v[80:81]
	v_fma_f64 v[80:81], -v[40:41], v[42:43], 1.0
	s_delay_alu instid0(VALU_DEP_1) | instskip(SKIP_1) | instid1(VALU_DEP_1)
	v_fmac_f64_e32 v[42:43], v[42:43], v[80:81]
	v_div_scale_f64 v[80:81], vcc_lo, 1.0, v[38:39], 1.0
	v_mul_f64_e32 v[82:83], v[80:81], v[42:43]
	s_delay_alu instid0(VALU_DEP_1) | instskip(NEXT) | instid1(VALU_DEP_1)
	v_fma_f64 v[40:41], -v[40:41], v[82:83], v[80:81]
	v_div_fmas_f64 v[40:41], v[40:41], v[42:43], v[82:83]
	s_delay_alu instid0(VALU_DEP_1)
	v_div_fixup_f64 v[38:39], v[40:41], v[38:39], 1.0
	ds_store_b64 v77, v[38:39]
.LBB142_71:                             ;   in Loop: Header=BB142_3 Depth=1
	s_or_b32 exec_lo, exec_lo, s12
.LBB142_72:                             ;   in Loop: Header=BB142_3 Depth=1
	s_and_not1_saveexec_b32 s11, s11
	s_cbranch_execz .LBB142_74
; %bb.73:                               ;   in Loop: Header=BB142_3 Depth=1
	v_lshl_add_u64 v[38:39], v[16:17], 3, v[34:35]
	flat_load_b64 v[38:39], v[38:39]
	s_wait_loadcnt_dscnt 0x0
	v_xor_b32_e32 v39, 0x80000000, v39
	ds_store_b64 v77, v[38:39]
.LBB142_74:                             ;   in Loop: Header=BB142_3 Depth=1
	;; [unrolled: 63-line block ×3, first 2 shown]
	s_or_b32 exec_lo, exec_lo, s11
.LBB142_85:                             ;   in Loop: Header=BB142_3 Depth=1
	s_delay_alu instid0(SALU_CYCLE_1)
	s_and_not1_b32 vcc_lo, exec_lo, s101
	s_wait_loadcnt_dscnt 0x0
	s_barrier_signal -1
	s_barrier_wait -1
	s_cbranch_vccnz .LBB142_950
; %bb.86:                               ;   in Loop: Header=BB142_3 Depth=1
	s_wait_xcnt 0x0
	s_and_saveexec_b32 s11, s14
	s_cbranch_execz .LBB142_88
; %bb.87:                               ;   in Loop: Header=BB142_3 Depth=1
	ds_load_b128 v[38:41], v1
	ds_load_b64 v[42:43], v1 offset:520
	s_wait_dscnt 0x0
	v_mul_f64_e32 v[38:39], v[38:39], v[42:43]
	s_delay_alu instid0(VALU_DEP_1)
	v_mul_f64_e32 v[38:39], v[40:41], v[38:39]
	ds_store_b64 v1, v[38:39] offset:8
.LBB142_88:                             ;   in Loop: Header=BB142_3 Depth=1
	s_or_b32 exec_lo, exec_lo, s11
	v_mov_b64_e32 v[38:39], 0
	s_wait_dscnt 0x0
	s_barrier_signal -1
	s_barrier_wait -1
	s_and_saveexec_b32 s11, s1
	s_cbranch_execz .LBB142_92
; %bb.89:                               ;   in Loop: Header=BB142_3 Depth=1
	ds_load_b64 v[38:39], v46 offset:16
	ds_load_b64 v[40:41], v47
	s_wait_dscnt 0x0
	v_fma_f64 v[38:39], v[38:39], v[40:41], 0
	s_and_saveexec_b32 s12, s15
	s_cbranch_execz .LBB142_91
; %bb.90:                               ;   in Loop: Header=BB142_3 Depth=1
	ds_load_b64 v[40:41], v48 offset:528
	ds_load_b64 v[42:43], v1 offset:8
	s_wait_dscnt 0x0
	v_fmac_f64_e32 v[38:39], v[40:41], v[42:43]
.LBB142_91:                             ;   in Loop: Header=BB142_3 Depth=1
	s_or_b32 exec_lo, exec_lo, s12
	s_delay_alu instid0(VALU_DEP_1)
	v_xor_b32_e32 v39, 0x80000000, v39
.LBB142_92:                             ;   in Loop: Header=BB142_3 Depth=1
	s_or_b32 exec_lo, exec_lo, s11
	s_and_saveexec_b32 s11, s102
	s_cbranch_execz .LBB142_94
; %bb.93:                               ;   in Loop: Header=BB142_3 Depth=1
	ds_load_b64 v[40:41], v1 offset:1040
	s_wait_dscnt 0x0
	v_mul_f64_e32 v[38:39], v[38:39], v[40:41]
	ds_store_b64 v3, v[38:39]
.LBB142_94:                             ;   in Loop: Header=BB142_3 Depth=1
	s_or_b32 exec_lo, exec_lo, s11
	s_wait_dscnt 0x0
	s_barrier_signal -1
	s_barrier_wait -1
	s_and_saveexec_b32 s11, s103
	s_cbranch_execz .LBB142_96
; %bb.95:                               ;   in Loop: Header=BB142_3 Depth=1
	ds_load_b64 v[40:41], v1 offset:1048
	ds_load_b64 v[42:43], v3
	s_wait_dscnt 0x0
	v_fmac_f64_e32 v[38:39], v[40:41], v[42:43]
.LBB142_96:                             ;   in Loop: Header=BB142_3 Depth=1
	s_or_b32 exec_lo, exec_lo, s11
	s_barrier_signal -1
	s_barrier_wait -1
	s_and_saveexec_b32 s11, s103
	s_cbranch_execz .LBB142_98
; %bb.97:                               ;   in Loop: Header=BB142_3 Depth=1
	ds_load_b64 v[40:41], v1 offset:1560
	s_wait_dscnt 0x0
	v_mul_f64_e32 v[38:39], v[38:39], v[40:41]
	ds_store_b64 v3, v[38:39]
.LBB142_98:                             ;   in Loop: Header=BB142_3 Depth=1
	s_or_b32 exec_lo, exec_lo, s11
	s_wait_dscnt 0x0
	s_barrier_signal -1
	s_barrier_wait -1
	s_barrier_signal -1
	s_barrier_wait -1
	s_and_saveexec_b32 s11, s1
; %bb.99:                               ;   in Loop: Header=BB142_3 Depth=1
	s_delay_alu instid0(VALU_DEP_1)
	v_xor_b32_e32 v39, 0x80000000, v39
	ds_store_b64 v46, v[38:39] offset:16
; %bb.100:                              ;   in Loop: Header=BB142_3 Depth=1
	s_or_b32 exec_lo, exec_lo, s11
	s_wait_dscnt 0x0
	s_barrier_signal -1
	s_barrier_wait -1
	s_barrier_signal -1
	s_barrier_wait -1
	s_and_saveexec_b32 s11, s14
	s_cbranch_execz .LBB142_102
; %bb.101:                              ;   in Loop: Header=BB142_3 Depth=1
	ds_load_b128 v[38:41], v1 offset:1040
	ds_load_b64 v[42:43], v1 offset:1560
	s_wait_dscnt 0x0
	v_mul_f64_e32 v[38:39], v[38:39], v[42:43]
	s_delay_alu instid0(VALU_DEP_1)
	v_mul_f64_e32 v[38:39], v[40:41], v[38:39]
	ds_store_b64 v1, v[38:39] offset:1048
.LBB142_102:                            ;   in Loop: Header=BB142_3 Depth=1
	s_or_b32 exec_lo, exec_lo, s11
	v_mov_b64_e32 v[38:39], 0
	s_wait_dscnt 0x0
	s_barrier_signal -1
	s_barrier_wait -1
	s_and_saveexec_b32 s11, s2
	s_cbranch_execz .LBB142_108
; %bb.103:                              ;   in Loop: Header=BB142_3 Depth=1
	ds_load_b64 v[38:39], v52 offset:32
	ds_load_b64 v[40:41], v49
	s_wait_dscnt 0x0
	v_fma_f64 v[38:39], v[38:39], v[40:41], 0
	s_and_saveexec_b32 s12, s16
	s_cbranch_execnz .LBB142_1034
; %bb.104:                              ;   in Loop: Header=BB142_3 Depth=1
	s_or_b32 exec_lo, exec_lo, s12
	s_and_saveexec_b32 s12, s17
	s_cbranch_execnz .LBB142_1035
.LBB142_105:                            ;   in Loop: Header=BB142_3 Depth=1
	s_or_b32 exec_lo, exec_lo, s12
	s_and_saveexec_b32 s12, s1
	s_cbranch_execz .LBB142_107
.LBB142_106:                            ;   in Loop: Header=BB142_3 Depth=1
	ds_load_b64 v[40:41], v48 offset:1568
	ds_load_b64 v[42:43], v1 offset:24
	s_wait_dscnt 0x0
	v_fmac_f64_e32 v[38:39], v[40:41], v[42:43]
.LBB142_107:                            ;   in Loop: Header=BB142_3 Depth=1
	s_or_b32 exec_lo, exec_lo, s12
	s_delay_alu instid0(VALU_DEP_1)
	v_xor_b32_e32 v39, 0x80000000, v39
.LBB142_108:                            ;   in Loop: Header=BB142_3 Depth=1
	s_or_b32 exec_lo, exec_lo, s11
	s_and_saveexec_b32 s11, s104
	s_cbranch_execz .LBB142_110
; %bb.109:                              ;   in Loop: Header=BB142_3 Depth=1
	ds_load_b64 v[40:41], v1 offset:2080
	s_wait_dscnt 0x0
	v_mul_f64_e32 v[38:39], v[38:39], v[40:41]
	ds_store_b64 v50, v[38:39]
.LBB142_110:                            ;   in Loop: Header=BB142_3 Depth=1
	s_or_b32 exec_lo, exec_lo, s11
	s_wait_dscnt 0x0
	s_barrier_signal -1
	s_barrier_wait -1
	s_and_saveexec_b32 s11, vcc_hi
	s_cbranch_execz .LBB142_112
; %bb.111:                              ;   in Loop: Header=BB142_3 Depth=1
	ds_load_b64 v[40:41], v51 offset:2080
	ds_load_b64 v[42:43], v50
	s_wait_dscnt 0x0
	v_fmac_f64_e32 v[38:39], v[40:41], v[42:43]
.LBB142_112:                            ;   in Loop: Header=BB142_3 Depth=1
	s_or_b32 exec_lo, exec_lo, s11
	s_barrier_signal -1
	s_barrier_wait -1
	s_and_saveexec_b32 s11, s36
	s_cbranch_execz .LBB142_114
; %bb.113:                              ;   in Loop: Header=BB142_3 Depth=1
	ds_load_b64 v[40:41], v1 offset:2600
	s_wait_dscnt 0x0
	v_mul_f64_e32 v[38:39], v[38:39], v[40:41]
	ds_store_b64 v50, v[38:39]
.LBB142_114:                            ;   in Loop: Header=BB142_3 Depth=1
	s_or_b32 exec_lo, exec_lo, s11
	s_wait_dscnt 0x0
	s_barrier_signal -1
	s_barrier_wait -1
	s_and_saveexec_b32 s11, s37
	s_cbranch_execz .LBB142_116
; %bb.115:                              ;   in Loop: Header=BB142_3 Depth=1
	ds_load_b64 v[40:41], v51 offset:2592
	ds_load_b64 v[42:43], v50
	s_wait_dscnt 0x0
	v_fmac_f64_e32 v[38:39], v[40:41], v[42:43]
.LBB142_116:                            ;   in Loop: Header=BB142_3 Depth=1
	s_or_b32 exec_lo, exec_lo, s11
	s_barrier_signal -1
	s_barrier_wait -1
	s_and_saveexec_b32 s11, s38
	s_cbranch_execz .LBB142_118
; %bb.117:                              ;   in Loop: Header=BB142_3 Depth=1
	ds_load_b64 v[40:41], v1 offset:3120
	s_wait_dscnt 0x0
	v_mul_f64_e32 v[38:39], v[38:39], v[40:41]
	ds_store_b64 v50, v[38:39]
.LBB142_118:                            ;   in Loop: Header=BB142_3 Depth=1
	s_or_b32 exec_lo, exec_lo, s11
	s_wait_dscnt 0x0
	s_barrier_signal -1
	s_barrier_wait -1
	s_and_saveexec_b32 s11, s39
	s_cbranch_execz .LBB142_120
; %bb.119:                              ;   in Loop: Header=BB142_3 Depth=1
	ds_load_b64 v[40:41], v1 offset:3128
	ds_load_b64 v[42:43], v50
	s_wait_dscnt 0x0
	v_fmac_f64_e32 v[38:39], v[40:41], v[42:43]
.LBB142_120:                            ;   in Loop: Header=BB142_3 Depth=1
	s_or_b32 exec_lo, exec_lo, s11
	s_barrier_signal -1
	s_barrier_wait -1
	s_and_saveexec_b32 s11, s39
	s_cbranch_execz .LBB142_122
; %bb.121:                              ;   in Loop: Header=BB142_3 Depth=1
	ds_load_b64 v[40:41], v1 offset:3640
	s_wait_dscnt 0x0
	v_mul_f64_e32 v[38:39], v[38:39], v[40:41]
	ds_store_b64 v50, v[38:39]
.LBB142_122:                            ;   in Loop: Header=BB142_3 Depth=1
	s_or_b32 exec_lo, exec_lo, s11
	s_wait_dscnt 0x0
	s_barrier_signal -1
	s_barrier_wait -1
	s_barrier_signal -1
	s_barrier_wait -1
	s_and_saveexec_b32 s11, s2
; %bb.123:                              ;   in Loop: Header=BB142_3 Depth=1
	s_delay_alu instid0(VALU_DEP_1)
	v_xor_b32_e32 v39, 0x80000000, v39
	ds_store_b64 v52, v[38:39] offset:32
; %bb.124:                              ;   in Loop: Header=BB142_3 Depth=1
	s_or_b32 exec_lo, exec_lo, s11
	s_wait_dscnt 0x0
	s_barrier_signal -1
	s_barrier_wait -1
	s_barrier_signal -1
	s_barrier_wait -1
	s_and_saveexec_b32 s11, s14
	s_cbranch_execz .LBB142_126
; %bb.125:                              ;   in Loop: Header=BB142_3 Depth=1
	ds_load_b128 v[38:41], v1 offset:2080
	ds_load_b64 v[42:43], v1 offset:2600
	s_wait_dscnt 0x0
	v_mul_f64_e32 v[38:39], v[38:39], v[42:43]
	s_delay_alu instid0(VALU_DEP_1)
	v_mul_f64_e32 v[38:39], v[40:41], v[38:39]
	ds_store_b64 v1, v[38:39] offset:2088
.LBB142_126:                            ;   in Loop: Header=BB142_3 Depth=1
	s_or_b32 exec_lo, exec_lo, s11
	v_mov_b64_e32 v[38:39], 0
	s_wait_dscnt 0x0
	s_barrier_signal -1
	s_barrier_wait -1
	s_and_saveexec_b32 s11, s1
	s_cbranch_execz .LBB142_130
; %bb.127:                              ;   in Loop: Header=BB142_3 Depth=1
	ds_load_b64 v[38:39], v46 offset:2096
	ds_load_b64 v[40:41], v47 offset:2080
	s_wait_dscnt 0x0
	v_fma_f64 v[38:39], v[38:39], v[40:41], 0
	s_and_saveexec_b32 s12, s15
	s_cbranch_execz .LBB142_129
; %bb.128:                              ;   in Loop: Header=BB142_3 Depth=1
	ds_load_b64 v[40:41], v48 offset:2608
	ds_load_b64 v[42:43], v1 offset:2088
	s_wait_dscnt 0x0
	v_fmac_f64_e32 v[38:39], v[40:41], v[42:43]
.LBB142_129:                            ;   in Loop: Header=BB142_3 Depth=1
	s_or_b32 exec_lo, exec_lo, s12
	s_delay_alu instid0(VALU_DEP_1)
	v_xor_b32_e32 v39, 0x80000000, v39
.LBB142_130:                            ;   in Loop: Header=BB142_3 Depth=1
	s_or_b32 exec_lo, exec_lo, s11
	s_and_saveexec_b32 s11, s102
	s_cbranch_execz .LBB142_132
; %bb.131:                              ;   in Loop: Header=BB142_3 Depth=1
	ds_load_b64 v[40:41], v1 offset:3120
	s_wait_dscnt 0x0
	v_mul_f64_e32 v[38:39], v[38:39], v[40:41]
	ds_store_b64 v3, v[38:39]
.LBB142_132:                            ;   in Loop: Header=BB142_3 Depth=1
	s_or_b32 exec_lo, exec_lo, s11
	s_wait_dscnt 0x0
	s_barrier_signal -1
	s_barrier_wait -1
	s_and_saveexec_b32 s11, s103
	s_cbranch_execz .LBB142_134
; %bb.133:                              ;   in Loop: Header=BB142_3 Depth=1
	ds_load_b64 v[40:41], v1 offset:3128
	ds_load_b64 v[42:43], v3
	s_wait_dscnt 0x0
	v_fmac_f64_e32 v[38:39], v[40:41], v[42:43]
.LBB142_134:                            ;   in Loop: Header=BB142_3 Depth=1
	s_or_b32 exec_lo, exec_lo, s11
	s_barrier_signal -1
	s_barrier_wait -1
	s_and_saveexec_b32 s11, s103
	s_cbranch_execz .LBB142_136
; %bb.135:                              ;   in Loop: Header=BB142_3 Depth=1
	ds_load_b64 v[40:41], v1 offset:3640
	s_wait_dscnt 0x0
	v_mul_f64_e32 v[38:39], v[38:39], v[40:41]
	ds_store_b64 v3, v[38:39]
.LBB142_136:                            ;   in Loop: Header=BB142_3 Depth=1
	s_or_b32 exec_lo, exec_lo, s11
	s_wait_dscnt 0x0
	s_barrier_signal -1
	s_barrier_wait -1
	s_barrier_signal -1
	s_barrier_wait -1
	s_and_saveexec_b32 s11, s1
; %bb.137:                              ;   in Loop: Header=BB142_3 Depth=1
	s_delay_alu instid0(VALU_DEP_1)
	v_xor_b32_e32 v39, 0x80000000, v39
	ds_store_b64 v46, v[38:39] offset:2096
; %bb.138:                              ;   in Loop: Header=BB142_3 Depth=1
	s_or_b32 exec_lo, exec_lo, s11
	s_wait_dscnt 0x0
	s_barrier_signal -1
	s_barrier_wait -1
	s_barrier_signal -1
	s_barrier_wait -1
	s_and_saveexec_b32 s11, s14
	s_cbranch_execz .LBB142_140
; %bb.139:                              ;   in Loop: Header=BB142_3 Depth=1
	ds_load_b128 v[38:41], v1 offset:3120
	ds_load_b64 v[42:43], v1 offset:3640
	s_wait_dscnt 0x0
	v_mul_f64_e32 v[38:39], v[38:39], v[42:43]
	s_delay_alu instid0(VALU_DEP_1)
	v_mul_f64_e32 v[38:39], v[40:41], v[38:39]
	ds_store_b64 v1, v[38:39] offset:3128
.LBB142_140:                            ;   in Loop: Header=BB142_3 Depth=1
	s_or_b32 exec_lo, exec_lo, s11
	v_mov_b64_e32 v[38:39], 0
	s_wait_dscnt 0x0
	s_barrier_signal -1
	s_barrier_wait -1
	s_and_saveexec_b32 s11, s3
	s_cbranch_execz .LBB142_150
; %bb.141:                              ;   in Loop: Header=BB142_3 Depth=1
	ds_load_b64 v[38:39], v57 offset:64
	ds_load_b64 v[40:41], v54
	s_wait_dscnt 0x0
	v_fma_f64 v[38:39], v[38:39], v[40:41], 0
	s_and_saveexec_b32 s12, s18
	s_cbranch_execnz .LBB142_1036
; %bb.142:                              ;   in Loop: Header=BB142_3 Depth=1
	s_or_b32 exec_lo, exec_lo, s12
	s_and_saveexec_b32 s12, s19
	s_cbranch_execnz .LBB142_1037
.LBB142_143:                            ;   in Loop: Header=BB142_3 Depth=1
	s_or_b32 exec_lo, exec_lo, s12
	s_and_saveexec_b32 s12, s20
	s_cbranch_execnz .LBB142_1038
.LBB142_144:                            ;   in Loop: Header=BB142_3 Depth=1
	s_or_b32 exec_lo, exec_lo, s12
	s_and_saveexec_b32 s12, s21
	s_cbranch_execnz .LBB142_1039
.LBB142_145:                            ;   in Loop: Header=BB142_3 Depth=1
	s_or_b32 exec_lo, exec_lo, s12
	s_and_saveexec_b32 s12, s22
	s_cbranch_execnz .LBB142_1040
.LBB142_146:                            ;   in Loop: Header=BB142_3 Depth=1
	s_or_b32 exec_lo, exec_lo, s12
	s_and_saveexec_b32 s12, s2
	s_cbranch_execnz .LBB142_1041
.LBB142_147:                            ;   in Loop: Header=BB142_3 Depth=1
	s_or_b32 exec_lo, exec_lo, s12
	s_and_saveexec_b32 s12, s17
	s_cbranch_execz .LBB142_149
.LBB142_148:                            ;   in Loop: Header=BB142_3 Depth=1
	ds_load_b64 v[40:41], v48 offset:3648
	ds_load_b64 v[42:43], v1 offset:56
	s_wait_dscnt 0x0
	v_fmac_f64_e32 v[38:39], v[40:41], v[42:43]
.LBB142_149:                            ;   in Loop: Header=BB142_3 Depth=1
	s_or_b32 exec_lo, exec_lo, s12
	s_delay_alu instid0(VALU_DEP_1)
	v_xor_b32_e32 v39, 0x80000000, v39
.LBB142_150:                            ;   in Loop: Header=BB142_3 Depth=1
	s_or_b32 exec_lo, exec_lo, s11
	s_and_saveexec_b32 s11, s40
	s_cbranch_execz .LBB142_152
; %bb.151:                              ;   in Loop: Header=BB142_3 Depth=1
	ds_load_b64 v[40:41], v1 offset:4160
	s_wait_dscnt 0x0
	v_mul_f64_e32 v[38:39], v[38:39], v[40:41]
	ds_store_b64 v56, v[38:39]
.LBB142_152:                            ;   in Loop: Header=BB142_3 Depth=1
	s_or_b32 exec_lo, exec_lo, s11
	s_wait_dscnt 0x0
	s_barrier_signal -1
	s_barrier_wait -1
	s_and_saveexec_b32 s11, s41
	s_cbranch_execz .LBB142_154
; %bb.153:                              ;   in Loop: Header=BB142_3 Depth=1
	ds_load_b64 v[40:41], v55 offset:4160
	ds_load_b64 v[42:43], v56
	s_wait_dscnt 0x0
	v_fmac_f64_e32 v[38:39], v[40:41], v[42:43]
.LBB142_154:                            ;   in Loop: Header=BB142_3 Depth=1
	s_or_b32 exec_lo, exec_lo, s11
	s_barrier_signal -1
	s_barrier_wait -1
	s_and_saveexec_b32 s11, s42
	s_cbranch_execz .LBB142_156
; %bb.155:                              ;   in Loop: Header=BB142_3 Depth=1
	ds_load_b64 v[40:41], v1 offset:4680
	s_wait_dscnt 0x0
	v_mul_f64_e32 v[38:39], v[38:39], v[40:41]
	ds_store_b64 v56, v[38:39]
.LBB142_156:                            ;   in Loop: Header=BB142_3 Depth=1
	s_or_b32 exec_lo, exec_lo, s11
	s_wait_dscnt 0x0
	s_barrier_signal -1
	s_barrier_wait -1
	s_and_saveexec_b32 s11, s43
	s_cbranch_execz .LBB142_158
; %bb.157:                              ;   in Loop: Header=BB142_3 Depth=1
	ds_load_b64 v[40:41], v55 offset:4672
	ds_load_b64 v[42:43], v56
	s_wait_dscnt 0x0
	v_fmac_f64_e32 v[38:39], v[40:41], v[42:43]
.LBB142_158:                            ;   in Loop: Header=BB142_3 Depth=1
	s_or_b32 exec_lo, exec_lo, s11
	s_barrier_signal -1
	s_barrier_wait -1
	;; [unrolled: 23-line block ×7, first 2 shown]
	s_and_saveexec_b32 s11, s53
	s_cbranch_execz .LBB142_180
; %bb.179:                              ;   in Loop: Header=BB142_3 Depth=1
	ds_load_b64 v[40:41], v1 offset:7800
	s_wait_dscnt 0x0
	v_mul_f64_e32 v[38:39], v[38:39], v[40:41]
	ds_store_b64 v56, v[38:39]
.LBB142_180:                            ;   in Loop: Header=BB142_3 Depth=1
	s_or_b32 exec_lo, exec_lo, s11
	s_wait_dscnt 0x0
	s_barrier_signal -1
	s_barrier_wait -1
	s_barrier_signal -1
	s_barrier_wait -1
	s_and_saveexec_b32 s11, s3
; %bb.181:                              ;   in Loop: Header=BB142_3 Depth=1
	s_delay_alu instid0(VALU_DEP_1)
	v_xor_b32_e32 v39, 0x80000000, v39
	ds_store_b64 v57, v[38:39] offset:64
; %bb.182:                              ;   in Loop: Header=BB142_3 Depth=1
	s_or_b32 exec_lo, exec_lo, s11
	s_wait_dscnt 0x0
	s_barrier_signal -1
	s_barrier_wait -1
	s_barrier_signal -1
	s_barrier_wait -1
	s_and_saveexec_b32 s11, s14
	s_cbranch_execz .LBB142_184
; %bb.183:                              ;   in Loop: Header=BB142_3 Depth=1
	ds_load_b128 v[38:41], v1 offset:4160
	ds_load_b64 v[42:43], v1 offset:4680
	s_wait_dscnt 0x0
	v_mul_f64_e32 v[38:39], v[38:39], v[42:43]
	s_delay_alu instid0(VALU_DEP_1)
	v_mul_f64_e32 v[38:39], v[40:41], v[38:39]
	ds_store_b64 v1, v[38:39] offset:4168
.LBB142_184:                            ;   in Loop: Header=BB142_3 Depth=1
	s_or_b32 exec_lo, exec_lo, s11
	v_mov_b64_e32 v[38:39], 0
	s_wait_dscnt 0x0
	s_barrier_signal -1
	s_barrier_wait -1
	s_and_saveexec_b32 s11, s1
	s_cbranch_execz .LBB142_188
; %bb.185:                              ;   in Loop: Header=BB142_3 Depth=1
	ds_load_b64 v[38:39], v46 offset:4176
	ds_load_b64 v[40:41], v47 offset:4160
	s_wait_dscnt 0x0
	v_fma_f64 v[38:39], v[38:39], v[40:41], 0
	s_and_saveexec_b32 s12, s15
	s_cbranch_execz .LBB142_187
; %bb.186:                              ;   in Loop: Header=BB142_3 Depth=1
	ds_load_b64 v[40:41], v48 offset:4688
	ds_load_b64 v[42:43], v1 offset:4168
	s_wait_dscnt 0x0
	v_fmac_f64_e32 v[38:39], v[40:41], v[42:43]
.LBB142_187:                            ;   in Loop: Header=BB142_3 Depth=1
	s_or_b32 exec_lo, exec_lo, s12
	s_delay_alu instid0(VALU_DEP_1)
	v_xor_b32_e32 v39, 0x80000000, v39
.LBB142_188:                            ;   in Loop: Header=BB142_3 Depth=1
	s_or_b32 exec_lo, exec_lo, s11
	s_and_saveexec_b32 s11, s102
	s_cbranch_execz .LBB142_190
; %bb.189:                              ;   in Loop: Header=BB142_3 Depth=1
	ds_load_b64 v[40:41], v1 offset:5200
	s_wait_dscnt 0x0
	v_mul_f64_e32 v[38:39], v[38:39], v[40:41]
	ds_store_b64 v3, v[38:39]
.LBB142_190:                            ;   in Loop: Header=BB142_3 Depth=1
	s_or_b32 exec_lo, exec_lo, s11
	s_wait_dscnt 0x0
	s_barrier_signal -1
	s_barrier_wait -1
	s_and_saveexec_b32 s11, s103
	s_cbranch_execz .LBB142_192
; %bb.191:                              ;   in Loop: Header=BB142_3 Depth=1
	ds_load_b64 v[40:41], v1 offset:5208
	ds_load_b64 v[42:43], v3
	s_wait_dscnt 0x0
	v_fmac_f64_e32 v[38:39], v[40:41], v[42:43]
.LBB142_192:                            ;   in Loop: Header=BB142_3 Depth=1
	s_or_b32 exec_lo, exec_lo, s11
	s_barrier_signal -1
	s_barrier_wait -1
	s_and_saveexec_b32 s11, s103
	s_cbranch_execz .LBB142_194
; %bb.193:                              ;   in Loop: Header=BB142_3 Depth=1
	ds_load_b64 v[40:41], v1 offset:5720
	s_wait_dscnt 0x0
	v_mul_f64_e32 v[38:39], v[38:39], v[40:41]
	ds_store_b64 v3, v[38:39]
.LBB142_194:                            ;   in Loop: Header=BB142_3 Depth=1
	s_or_b32 exec_lo, exec_lo, s11
	s_wait_dscnt 0x0
	s_barrier_signal -1
	s_barrier_wait -1
	s_barrier_signal -1
	s_barrier_wait -1
	s_and_saveexec_b32 s11, s1
; %bb.195:                              ;   in Loop: Header=BB142_3 Depth=1
	s_delay_alu instid0(VALU_DEP_1)
	v_xor_b32_e32 v39, 0x80000000, v39
	ds_store_b64 v46, v[38:39] offset:4176
; %bb.196:                              ;   in Loop: Header=BB142_3 Depth=1
	s_or_b32 exec_lo, exec_lo, s11
	s_wait_dscnt 0x0
	s_barrier_signal -1
	s_barrier_wait -1
	s_barrier_signal -1
	s_barrier_wait -1
	s_and_saveexec_b32 s11, s14
	s_cbranch_execz .LBB142_198
; %bb.197:                              ;   in Loop: Header=BB142_3 Depth=1
	ds_load_b128 v[38:41], v1 offset:5200
	ds_load_b64 v[42:43], v1 offset:5720
	s_wait_dscnt 0x0
	v_mul_f64_e32 v[38:39], v[38:39], v[42:43]
	s_delay_alu instid0(VALU_DEP_1)
	v_mul_f64_e32 v[38:39], v[40:41], v[38:39]
	ds_store_b64 v1, v[38:39] offset:5208
.LBB142_198:                            ;   in Loop: Header=BB142_3 Depth=1
	s_or_b32 exec_lo, exec_lo, s11
	v_mov_b64_e32 v[38:39], 0
	s_wait_dscnt 0x0
	s_barrier_signal -1
	s_barrier_wait -1
	s_and_saveexec_b32 s11, s2
	s_cbranch_execz .LBB142_204
; %bb.199:                              ;   in Loop: Header=BB142_3 Depth=1
	ds_load_b64 v[38:39], v52 offset:4192
	ds_load_b64 v[40:41], v49 offset:4160
	s_wait_dscnt 0x0
	v_fma_f64 v[38:39], v[38:39], v[40:41], 0
	s_and_saveexec_b32 s12, s16
	s_cbranch_execnz .LBB142_1042
; %bb.200:                              ;   in Loop: Header=BB142_3 Depth=1
	s_or_b32 exec_lo, exec_lo, s12
	s_and_saveexec_b32 s12, s17
	s_cbranch_execnz .LBB142_1043
.LBB142_201:                            ;   in Loop: Header=BB142_3 Depth=1
	s_or_b32 exec_lo, exec_lo, s12
	s_and_saveexec_b32 s12, s1
	s_cbranch_execz .LBB142_203
.LBB142_202:                            ;   in Loop: Header=BB142_3 Depth=1
	ds_load_b64 v[40:41], v48 offset:5728
	ds_load_b64 v[42:43], v1 offset:4184
	s_wait_dscnt 0x0
	v_fmac_f64_e32 v[38:39], v[40:41], v[42:43]
.LBB142_203:                            ;   in Loop: Header=BB142_3 Depth=1
	s_or_b32 exec_lo, exec_lo, s12
	s_delay_alu instid0(VALU_DEP_1)
	v_xor_b32_e32 v39, 0x80000000, v39
.LBB142_204:                            ;   in Loop: Header=BB142_3 Depth=1
	s_or_b32 exec_lo, exec_lo, s11
	s_and_saveexec_b32 s11, s104
	s_cbranch_execz .LBB142_206
; %bb.205:                              ;   in Loop: Header=BB142_3 Depth=1
	ds_load_b64 v[40:41], v1 offset:6240
	s_wait_dscnt 0x0
	v_mul_f64_e32 v[38:39], v[38:39], v[40:41]
	ds_store_b64 v50, v[38:39]
.LBB142_206:                            ;   in Loop: Header=BB142_3 Depth=1
	s_or_b32 exec_lo, exec_lo, s11
	s_wait_dscnt 0x0
	s_barrier_signal -1
	s_barrier_wait -1
	s_and_saveexec_b32 s11, vcc_hi
	s_cbranch_execz .LBB142_208
; %bb.207:                              ;   in Loop: Header=BB142_3 Depth=1
	ds_load_b64 v[40:41], v51 offset:6240
	ds_load_b64 v[42:43], v50
	s_wait_dscnt 0x0
	v_fmac_f64_e32 v[38:39], v[40:41], v[42:43]
.LBB142_208:                            ;   in Loop: Header=BB142_3 Depth=1
	s_or_b32 exec_lo, exec_lo, s11
	s_barrier_signal -1
	s_barrier_wait -1
	s_and_saveexec_b32 s11, s36
	s_cbranch_execz .LBB142_210
; %bb.209:                              ;   in Loop: Header=BB142_3 Depth=1
	ds_load_b64 v[40:41], v1 offset:6760
	s_wait_dscnt 0x0
	v_mul_f64_e32 v[38:39], v[38:39], v[40:41]
	ds_store_b64 v50, v[38:39]
.LBB142_210:                            ;   in Loop: Header=BB142_3 Depth=1
	s_or_b32 exec_lo, exec_lo, s11
	s_wait_dscnt 0x0
	s_barrier_signal -1
	s_barrier_wait -1
	s_and_saveexec_b32 s11, s37
	s_cbranch_execz .LBB142_212
; %bb.211:                              ;   in Loop: Header=BB142_3 Depth=1
	ds_load_b64 v[40:41], v51 offset:6752
	ds_load_b64 v[42:43], v50
	s_wait_dscnt 0x0
	v_fmac_f64_e32 v[38:39], v[40:41], v[42:43]
.LBB142_212:                            ;   in Loop: Header=BB142_3 Depth=1
	s_or_b32 exec_lo, exec_lo, s11
	s_barrier_signal -1
	s_barrier_wait -1
	s_and_saveexec_b32 s11, s38
	s_cbranch_execz .LBB142_214
; %bb.213:                              ;   in Loop: Header=BB142_3 Depth=1
	ds_load_b64 v[40:41], v1 offset:7280
	s_wait_dscnt 0x0
	v_mul_f64_e32 v[38:39], v[38:39], v[40:41]
	ds_store_b64 v50, v[38:39]
.LBB142_214:                            ;   in Loop: Header=BB142_3 Depth=1
	s_or_b32 exec_lo, exec_lo, s11
	s_wait_dscnt 0x0
	s_barrier_signal -1
	s_barrier_wait -1
	s_and_saveexec_b32 s11, s39
	s_cbranch_execz .LBB142_216
; %bb.215:                              ;   in Loop: Header=BB142_3 Depth=1
	ds_load_b64 v[40:41], v1 offset:7288
	ds_load_b64 v[42:43], v50
	s_wait_dscnt 0x0
	v_fmac_f64_e32 v[38:39], v[40:41], v[42:43]
.LBB142_216:                            ;   in Loop: Header=BB142_3 Depth=1
	s_or_b32 exec_lo, exec_lo, s11
	s_barrier_signal -1
	s_barrier_wait -1
	s_and_saveexec_b32 s11, s39
	s_cbranch_execz .LBB142_218
; %bb.217:                              ;   in Loop: Header=BB142_3 Depth=1
	ds_load_b64 v[40:41], v1 offset:7800
	s_wait_dscnt 0x0
	v_mul_f64_e32 v[38:39], v[38:39], v[40:41]
	ds_store_b64 v50, v[38:39]
.LBB142_218:                            ;   in Loop: Header=BB142_3 Depth=1
	s_or_b32 exec_lo, exec_lo, s11
	s_wait_dscnt 0x0
	s_barrier_signal -1
	s_barrier_wait -1
	s_barrier_signal -1
	s_barrier_wait -1
	s_and_saveexec_b32 s11, s2
; %bb.219:                              ;   in Loop: Header=BB142_3 Depth=1
	s_delay_alu instid0(VALU_DEP_1)
	v_xor_b32_e32 v39, 0x80000000, v39
	ds_store_b64 v52, v[38:39] offset:4192
; %bb.220:                              ;   in Loop: Header=BB142_3 Depth=1
	s_or_b32 exec_lo, exec_lo, s11
	s_wait_dscnt 0x0
	s_barrier_signal -1
	s_barrier_wait -1
	s_barrier_signal -1
	s_barrier_wait -1
	s_and_saveexec_b32 s11, s14
	s_cbranch_execz .LBB142_222
; %bb.221:                              ;   in Loop: Header=BB142_3 Depth=1
	ds_load_b128 v[38:41], v1 offset:6240
	ds_load_b64 v[42:43], v1 offset:6760
	s_wait_dscnt 0x0
	v_mul_f64_e32 v[38:39], v[38:39], v[42:43]
	s_delay_alu instid0(VALU_DEP_1)
	v_mul_f64_e32 v[38:39], v[40:41], v[38:39]
	ds_store_b64 v1, v[38:39] offset:6248
.LBB142_222:                            ;   in Loop: Header=BB142_3 Depth=1
	s_or_b32 exec_lo, exec_lo, s11
	v_mov_b64_e32 v[38:39], 0
	s_wait_dscnt 0x0
	s_barrier_signal -1
	s_barrier_wait -1
	s_and_saveexec_b32 s11, s1
	s_cbranch_execz .LBB142_226
; %bb.223:                              ;   in Loop: Header=BB142_3 Depth=1
	ds_load_b64 v[38:39], v46 offset:6256
	ds_load_b64 v[40:41], v47 offset:6240
	s_wait_dscnt 0x0
	v_fma_f64 v[38:39], v[38:39], v[40:41], 0
	s_and_saveexec_b32 s12, s15
	s_cbranch_execz .LBB142_225
; %bb.224:                              ;   in Loop: Header=BB142_3 Depth=1
	ds_load_b64 v[40:41], v48 offset:6768
	ds_load_b64 v[42:43], v1 offset:6248
	s_wait_dscnt 0x0
	v_fmac_f64_e32 v[38:39], v[40:41], v[42:43]
.LBB142_225:                            ;   in Loop: Header=BB142_3 Depth=1
	s_or_b32 exec_lo, exec_lo, s12
	s_delay_alu instid0(VALU_DEP_1)
	v_xor_b32_e32 v39, 0x80000000, v39
.LBB142_226:                            ;   in Loop: Header=BB142_3 Depth=1
	s_or_b32 exec_lo, exec_lo, s11
	s_and_saveexec_b32 s11, s102
	s_cbranch_execz .LBB142_228
; %bb.227:                              ;   in Loop: Header=BB142_3 Depth=1
	ds_load_b64 v[40:41], v1 offset:7280
	s_wait_dscnt 0x0
	v_mul_f64_e32 v[38:39], v[38:39], v[40:41]
	ds_store_b64 v3, v[38:39]
.LBB142_228:                            ;   in Loop: Header=BB142_3 Depth=1
	s_or_b32 exec_lo, exec_lo, s11
	s_wait_dscnt 0x0
	s_barrier_signal -1
	s_barrier_wait -1
	s_and_saveexec_b32 s11, s103
	s_cbranch_execz .LBB142_230
; %bb.229:                              ;   in Loop: Header=BB142_3 Depth=1
	ds_load_b64 v[40:41], v1 offset:7288
	ds_load_b64 v[42:43], v3
	s_wait_dscnt 0x0
	v_fmac_f64_e32 v[38:39], v[40:41], v[42:43]
.LBB142_230:                            ;   in Loop: Header=BB142_3 Depth=1
	s_or_b32 exec_lo, exec_lo, s11
	s_barrier_signal -1
	s_barrier_wait -1
	s_and_saveexec_b32 s11, s103
	s_cbranch_execz .LBB142_232
; %bb.231:                              ;   in Loop: Header=BB142_3 Depth=1
	ds_load_b64 v[40:41], v1 offset:7800
	s_wait_dscnt 0x0
	v_mul_f64_e32 v[38:39], v[38:39], v[40:41]
	ds_store_b64 v3, v[38:39]
.LBB142_232:                            ;   in Loop: Header=BB142_3 Depth=1
	s_or_b32 exec_lo, exec_lo, s11
	s_wait_dscnt 0x0
	s_barrier_signal -1
	s_barrier_wait -1
	s_barrier_signal -1
	s_barrier_wait -1
	s_and_saveexec_b32 s11, s1
; %bb.233:                              ;   in Loop: Header=BB142_3 Depth=1
	s_delay_alu instid0(VALU_DEP_1)
	v_xor_b32_e32 v39, 0x80000000, v39
	ds_store_b64 v46, v[38:39] offset:6256
; %bb.234:                              ;   in Loop: Header=BB142_3 Depth=1
	s_or_b32 exec_lo, exec_lo, s11
	s_wait_dscnt 0x0
	s_barrier_signal -1
	s_barrier_wait -1
	s_barrier_signal -1
	s_barrier_wait -1
	s_and_saveexec_b32 s11, s14
	s_cbranch_execz .LBB142_236
; %bb.235:                              ;   in Loop: Header=BB142_3 Depth=1
	ds_load_b128 v[38:41], v1 offset:7280
	ds_load_b64 v[42:43], v1 offset:7800
	s_wait_dscnt 0x0
	v_mul_f64_e32 v[38:39], v[38:39], v[42:43]
	s_delay_alu instid0(VALU_DEP_1)
	v_mul_f64_e32 v[38:39], v[40:41], v[38:39]
	ds_store_b64 v1, v[38:39] offset:7288
.LBB142_236:                            ;   in Loop: Header=BB142_3 Depth=1
	s_or_b32 exec_lo, exec_lo, s11
	v_mov_b64_e32 v[38:39], 0
	s_wait_dscnt 0x0
	s_barrier_signal -1
	s_barrier_wait -1
	s_and_saveexec_b32 s69, s4
	s_cbranch_execz .LBB142_264
; %bb.237:                              ;   in Loop: Header=BB142_3 Depth=1
	ds_load_b64 v[38:39], v62 offset:128
	ds_load_b64 v[40:41], v59
	s_wait_dscnt 0x0
	v_fma_f64 v[38:39], v[38:39], v[40:41], 0
	s_mov_b32 s11, exec_lo
	v_readlane_b32 s12, v86, 29
	s_and_b32 s12, s11, s12
	s_delay_alu instid0(SALU_CYCLE_1)
	s_mov_b32 exec_lo, s12
	s_cbranch_execz .LBB142_239
; %bb.238:                              ;   in Loop: Header=BB142_3 Depth=1
	ds_load_b64 v[40:41], v63 offset:640
	ds_load_b64 v[42:43], v59 offset:8
	s_wait_dscnt 0x0
	v_fmac_f64_e32 v[38:39], v[40:41], v[42:43]
.LBB142_239:                            ;   in Loop: Header=BB142_3 Depth=1
	s_or_b32 exec_lo, exec_lo, s11
	s_delay_alu instid0(SALU_CYCLE_1) | instskip(SKIP_2) | instid1(SALU_CYCLE_1)
	s_mov_b32 s11, exec_lo
	v_readlane_b32 s12, v86, 30
	s_and_b32 s12, s11, s12
	s_mov_b32 exec_lo, s12
	s_cbranch_execz .LBB142_241
; %bb.240:                              ;   in Loop: Header=BB142_3 Depth=1
	ds_load_b64 v[40:41], v63 offset:1152
	ds_load_b64 v[42:43], v59 offset:16
	s_wait_dscnt 0x0
	v_fmac_f64_e32 v[38:39], v[40:41], v[42:43]
.LBB142_241:                            ;   in Loop: Header=BB142_3 Depth=1
	s_or_b32 exec_lo, exec_lo, s11
	s_delay_alu instid0(SALU_CYCLE_1) | instskip(SKIP_2) | instid1(SALU_CYCLE_1)
	s_mov_b32 s11, exec_lo
	v_readlane_b32 s12, v86, 31
	s_and_b32 s12, s11, s12
	;; [unrolled: 13-line block ×4, first 2 shown]
	s_mov_b32 exec_lo, s12
	s_cbranch_execz .LBB142_247
; %bb.246:                              ;   in Loop: Header=BB142_3 Depth=1
	ds_load_b64 v[40:41], v63 offset:2688
	ds_load_b64 v[42:43], v59 offset:40
	s_wait_dscnt 0x0
	v_fmac_f64_e32 v[38:39], v[40:41], v[42:43]
.LBB142_247:                            ;   in Loop: Header=BB142_3 Depth=1
	s_or_b32 exec_lo, exec_lo, s11
	s_and_saveexec_b32 s11, s7
	s_cbranch_execz .LBB142_249
; %bb.248:                              ;   in Loop: Header=BB142_3 Depth=1
	ds_load_b64 v[40:41], v63 offset:3200
	ds_load_b64 v[42:43], v59 offset:48
	s_wait_dscnt 0x0
	v_fmac_f64_e32 v[38:39], v[40:41], v[42:43]
.LBB142_249:                            ;   in Loop: Header=BB142_3 Depth=1
	s_or_b32 exec_lo, exec_lo, s11
	s_delay_alu instid0(SALU_CYCLE_1) | instskip(SKIP_2) | instid1(SALU_CYCLE_1)
	s_mov_b32 s11, exec_lo
	v_readlane_b32 s12, v85, 2
	s_and_b32 s12, s11, s12
	s_mov_b32 exec_lo, s12
	s_cbranch_execz .LBB142_251
; %bb.250:                              ;   in Loop: Header=BB142_3 Depth=1
	ds_load_b64 v[40:41], v63 offset:3712
	ds_load_b64 v[42:43], v59 offset:56
	s_wait_dscnt 0x0
	v_fmac_f64_e32 v[38:39], v[40:41], v[42:43]
.LBB142_251:                            ;   in Loop: Header=BB142_3 Depth=1
	s_or_b32 exec_lo, exec_lo, s11
	s_and_saveexec_b32 s11, s6
	s_cbranch_execz .LBB142_253
; %bb.252:                              ;   in Loop: Header=BB142_3 Depth=1
	ds_load_b64 v[40:41], v62 offset:4224
	ds_load_b64 v[42:43], v59 offset:64
	s_wait_dscnt 0x0
	v_fmac_f64_e32 v[38:39], v[40:41], v[42:43]
.LBB142_253:                            ;   in Loop: Header=BB142_3 Depth=1
	s_or_b32 exec_lo, exec_lo, s11
	s_delay_alu instid0(SALU_CYCLE_1) | instskip(SKIP_2) | instid1(SALU_CYCLE_1)
	s_mov_b32 s11, exec_lo
	v_readlane_b32 s12, v85, 3
	s_and_b32 s12, s11, s12
	;; [unrolled: 22-line block ×3, first 2 shown]
	s_mov_b32 exec_lo, s12
	s_cbranch_execnz .LBB142_1044
; %bb.258:                              ;   in Loop: Header=BB142_3 Depth=1
	s_or_b32 exec_lo, exec_lo, s11
	s_and_saveexec_b32 s11, s3
	s_cbranch_execnz .LBB142_1045
.LBB142_259:                            ;   in Loop: Header=BB142_3 Depth=1
	s_or_b32 exec_lo, exec_lo, s11
	s_and_saveexec_b32 s11, s19
	s_cbranch_execnz .LBB142_1046
.LBB142_260:                            ;   in Loop: Header=BB142_3 Depth=1
	s_or_b32 exec_lo, exec_lo, s11
	s_and_saveexec_b32 s11, s21
	s_cbranch_execnz .LBB142_1047
.LBB142_261:                            ;   in Loop: Header=BB142_3 Depth=1
	s_or_b32 exec_lo, exec_lo, s11
	s_and_saveexec_b32 s11, s2
	s_cbranch_execz .LBB142_263
.LBB142_262:                            ;   in Loop: Header=BB142_3 Depth=1
	ds_load_b64 v[40:41], v48 offset:7808
	ds_load_b64 v[42:43], v1 offset:120
	s_wait_dscnt 0x0
	v_fmac_f64_e32 v[38:39], v[40:41], v[42:43]
.LBB142_263:                            ;   in Loop: Header=BB142_3 Depth=1
	s_or_b32 exec_lo, exec_lo, s11
	s_delay_alu instid0(VALU_DEP_1)
	v_xor_b32_e32 v39, 0x80000000, v39
.LBB142_264:                            ;   in Loop: Header=BB142_3 Depth=1
	s_or_b32 exec_lo, exec_lo, s69
	s_delay_alu instid0(SALU_CYCLE_1) | instskip(SKIP_2) | instid1(SALU_CYCLE_1)
	s_mov_b32 s11, exec_lo
	v_readlane_b32 s12, v86, 1
	s_and_b32 s12, s11, s12
	s_mov_b32 exec_lo, s12
	s_cbranch_execz .LBB142_266
; %bb.265:                              ;   in Loop: Header=BB142_3 Depth=1
	ds_load_b64 v[40:41], v1 offset:8320
	s_wait_dscnt 0x0
	v_mul_f64_e32 v[38:39], v[38:39], v[40:41]
	ds_store_b64 v61, v[38:39]
.LBB142_266:                            ;   in Loop: Header=BB142_3 Depth=1
	s_or_b32 exec_lo, exec_lo, s11
	s_wait_dscnt 0x0
	s_barrier_signal -1
	s_barrier_wait -1
	s_mov_b32 s11, exec_lo
	v_readlane_b32 s12, v86, 2
	s_and_b32 s12, s11, s12
	s_delay_alu instid0(SALU_CYCLE_1)
	s_mov_b32 exec_lo, s12
	s_cbranch_execz .LBB142_268
; %bb.267:                              ;   in Loop: Header=BB142_3 Depth=1
	ds_load_b64 v[40:41], v60 offset:8320
	ds_load_b64 v[42:43], v61
	s_wait_dscnt 0x0
	v_fmac_f64_e32 v[38:39], v[40:41], v[42:43]
.LBB142_268:                            ;   in Loop: Header=BB142_3 Depth=1
	s_or_b32 exec_lo, exec_lo, s11
	s_barrier_signal -1
	s_barrier_wait -1
	s_mov_b32 s11, exec_lo
	v_readlane_b32 s12, v86, 3
	s_and_b32 s12, s11, s12
	s_delay_alu instid0(SALU_CYCLE_1)
	s_mov_b32 exec_lo, s12
	s_cbranch_execz .LBB142_270
; %bb.269:                              ;   in Loop: Header=BB142_3 Depth=1
	ds_load_b64 v[40:41], v1 offset:8840
	s_wait_dscnt 0x0
	v_mul_f64_e32 v[38:39], v[38:39], v[40:41]
	ds_store_b64 v61, v[38:39]
.LBB142_270:                            ;   in Loop: Header=BB142_3 Depth=1
	s_or_b32 exec_lo, exec_lo, s11
	s_wait_dscnt 0x0
	s_barrier_signal -1
	s_barrier_wait -1
	s_mov_b32 s11, exec_lo
	v_readlane_b32 s12, v86, 4
	s_and_b32 s12, s11, s12
	s_delay_alu instid0(SALU_CYCLE_1)
	s_mov_b32 exec_lo, s12
	s_cbranch_execz .LBB142_272
; %bb.271:                              ;   in Loop: Header=BB142_3 Depth=1
	ds_load_b64 v[40:41], v60 offset:8832
	ds_load_b64 v[42:43], v61
	s_wait_dscnt 0x0
	v_fmac_f64_e32 v[38:39], v[40:41], v[42:43]
.LBB142_272:                            ;   in Loop: Header=BB142_3 Depth=1
	s_or_b32 exec_lo, exec_lo, s11
	s_barrier_signal -1
	s_barrier_wait -1
	s_mov_b32 s11, exec_lo
	v_readlane_b32 s12, v86, 5
	s_and_b32 s12, s11, s12
	s_delay_alu instid0(SALU_CYCLE_1)
	s_mov_b32 exec_lo, s12
	s_cbranch_execz .LBB142_274
; %bb.273:                              ;   in Loop: Header=BB142_3 Depth=1
	ds_load_b64 v[40:41], v1 offset:9360
	s_wait_dscnt 0x0
	v_mul_f64_e32 v[38:39], v[38:39], v[40:41]
	ds_store_b64 v61, v[38:39]
.LBB142_274:                            ;   in Loop: Header=BB142_3 Depth=1
	s_or_b32 exec_lo, exec_lo, s11
	s_wait_dscnt 0x0
	s_barrier_signal -1
	s_barrier_wait -1
	s_mov_b32 s11, exec_lo
	v_readlane_b32 s12, v86, 6
	s_and_b32 s12, s11, s12
	s_delay_alu instid0(SALU_CYCLE_1)
	s_mov_b32 exec_lo, s12
	s_cbranch_execz .LBB142_276
; %bb.275:                              ;   in Loop: Header=BB142_3 Depth=1
	ds_load_b64 v[40:41], v60 offset:9344
	ds_load_b64 v[42:43], v61
	s_wait_dscnt 0x0
	v_fmac_f64_e32 v[38:39], v[40:41], v[42:43]
.LBB142_276:                            ;   in Loop: Header=BB142_3 Depth=1
	s_or_b32 exec_lo, exec_lo, s11
	s_barrier_signal -1
	s_barrier_wait -1
	s_mov_b32 s11, exec_lo
	v_readlane_b32 s12, v86, 7
	s_and_b32 s12, s11, s12
	s_delay_alu instid0(SALU_CYCLE_1)
	s_mov_b32 exec_lo, s12
	s_cbranch_execz .LBB142_278
; %bb.277:                              ;   in Loop: Header=BB142_3 Depth=1
	ds_load_b64 v[40:41], v1 offset:9880
	s_wait_dscnt 0x0
	v_mul_f64_e32 v[38:39], v[38:39], v[40:41]
	ds_store_b64 v61, v[38:39]
.LBB142_278:                            ;   in Loop: Header=BB142_3 Depth=1
	s_or_b32 exec_lo, exec_lo, s11
	s_wait_dscnt 0x0
	s_barrier_signal -1
	s_barrier_wait -1
	s_and_saveexec_b32 s11, s67
	s_cbranch_execz .LBB142_280
; %bb.279:                              ;   in Loop: Header=BB142_3 Depth=1
	ds_load_b64 v[40:41], v60 offset:9856
	ds_load_b64 v[42:43], v61
	s_wait_dscnt 0x0
	v_fmac_f64_e32 v[38:39], v[40:41], v[42:43]
.LBB142_280:                            ;   in Loop: Header=BB142_3 Depth=1
	s_or_b32 exec_lo, exec_lo, s11
	s_barrier_signal -1
	s_barrier_wait -1
	s_and_saveexec_b32 s11, s68
	s_cbranch_execz .LBB142_282
; %bb.281:                              ;   in Loop: Header=BB142_3 Depth=1
	ds_load_b64 v[40:41], v1 offset:10400
	s_wait_dscnt 0x0
	v_mul_f64_e32 v[38:39], v[38:39], v[40:41]
	ds_store_b64 v61, v[38:39]
.LBB142_282:                            ;   in Loop: Header=BB142_3 Depth=1
	s_or_b32 exec_lo, exec_lo, s11
	s_wait_dscnt 0x0
	s_barrier_signal -1
	s_barrier_wait -1
	s_and_saveexec_b32 s11, s9
	s_cbranch_execz .LBB142_284
; %bb.283:                              ;   in Loop: Header=BB142_3 Depth=1
	ds_load_b64 v[40:41], v60 offset:10368
	ds_load_b64 v[42:43], v61
	s_wait_dscnt 0x0
	v_fmac_f64_e32 v[38:39], v[40:41], v[42:43]
.LBB142_284:                            ;   in Loop: Header=BB142_3 Depth=1
	s_or_b32 exec_lo, exec_lo, s11
	s_barrier_signal -1
	s_barrier_wait -1
	s_and_saveexec_b32 s11, s23
	;; [unrolled: 23-line block ×12, first 2 shown]
	s_cbranch_execz .LBB142_326
; %bb.325:                              ;   in Loop: Header=BB142_3 Depth=1
	ds_load_b64 v[40:41], v1 offset:16120
	s_wait_dscnt 0x0
	v_mul_f64_e32 v[38:39], v[38:39], v[40:41]
	ds_store_b64 v61, v[38:39]
.LBB142_326:                            ;   in Loop: Header=BB142_3 Depth=1
	s_or_b32 exec_lo, exec_lo, s11
	s_wait_dscnt 0x0
	s_barrier_signal -1
	s_barrier_wait -1
	s_barrier_signal -1
	s_barrier_wait -1
	s_and_saveexec_b32 s11, s4
; %bb.327:                              ;   in Loop: Header=BB142_3 Depth=1
	s_delay_alu instid0(VALU_DEP_1)
	v_xor_b32_e32 v39, 0x80000000, v39
	ds_store_b64 v62, v[38:39] offset:128
; %bb.328:                              ;   in Loop: Header=BB142_3 Depth=1
	s_or_b32 exec_lo, exec_lo, s11
	s_wait_dscnt 0x0
	s_barrier_signal -1
	s_barrier_wait -1
	s_barrier_signal -1
	s_barrier_wait -1
	s_and_saveexec_b32 s11, s14
	s_cbranch_execz .LBB142_330
; %bb.329:                              ;   in Loop: Header=BB142_3 Depth=1
	ds_load_b128 v[38:41], v1 offset:8320
	ds_load_b64 v[42:43], v1 offset:8840
	s_wait_dscnt 0x0
	v_mul_f64_e32 v[38:39], v[38:39], v[42:43]
	s_delay_alu instid0(VALU_DEP_1)
	v_mul_f64_e32 v[38:39], v[40:41], v[38:39]
	ds_store_b64 v1, v[38:39] offset:8328
.LBB142_330:                            ;   in Loop: Header=BB142_3 Depth=1
	s_or_b32 exec_lo, exec_lo, s11
	v_mov_b64_e32 v[38:39], 0
	s_wait_dscnt 0x0
	s_barrier_signal -1
	s_barrier_wait -1
	s_and_saveexec_b32 s11, s1
	s_cbranch_execz .LBB142_334
; %bb.331:                              ;   in Loop: Header=BB142_3 Depth=1
	ds_load_b64 v[38:39], v46 offset:8336
	ds_load_b64 v[40:41], v47 offset:8320
	s_wait_dscnt 0x0
	v_fma_f64 v[38:39], v[38:39], v[40:41], 0
	s_and_saveexec_b32 s12, s15
	s_cbranch_execz .LBB142_333
; %bb.332:                              ;   in Loop: Header=BB142_3 Depth=1
	ds_load_b64 v[40:41], v48 offset:8848
	ds_load_b64 v[42:43], v1 offset:8328
	s_wait_dscnt 0x0
	v_fmac_f64_e32 v[38:39], v[40:41], v[42:43]
.LBB142_333:                            ;   in Loop: Header=BB142_3 Depth=1
	s_or_b32 exec_lo, exec_lo, s12
	s_delay_alu instid0(VALU_DEP_1)
	v_xor_b32_e32 v39, 0x80000000, v39
.LBB142_334:                            ;   in Loop: Header=BB142_3 Depth=1
	s_or_b32 exec_lo, exec_lo, s11
	s_and_saveexec_b32 s11, s102
	s_cbranch_execz .LBB142_336
; %bb.335:                              ;   in Loop: Header=BB142_3 Depth=1
	ds_load_b64 v[40:41], v1 offset:9360
	s_wait_dscnt 0x0
	v_mul_f64_e32 v[38:39], v[38:39], v[40:41]
	ds_store_b64 v3, v[38:39]
.LBB142_336:                            ;   in Loop: Header=BB142_3 Depth=1
	s_or_b32 exec_lo, exec_lo, s11
	s_wait_dscnt 0x0
	s_barrier_signal -1
	s_barrier_wait -1
	s_and_saveexec_b32 s11, s103
	s_cbranch_execz .LBB142_338
; %bb.337:                              ;   in Loop: Header=BB142_3 Depth=1
	ds_load_b64 v[40:41], v1 offset:9368
	ds_load_b64 v[42:43], v3
	s_wait_dscnt 0x0
	v_fmac_f64_e32 v[38:39], v[40:41], v[42:43]
.LBB142_338:                            ;   in Loop: Header=BB142_3 Depth=1
	s_or_b32 exec_lo, exec_lo, s11
	s_barrier_signal -1
	s_barrier_wait -1
	s_and_saveexec_b32 s11, s103
	s_cbranch_execz .LBB142_340
; %bb.339:                              ;   in Loop: Header=BB142_3 Depth=1
	ds_load_b64 v[40:41], v1 offset:9880
	s_wait_dscnt 0x0
	v_mul_f64_e32 v[38:39], v[38:39], v[40:41]
	ds_store_b64 v3, v[38:39]
.LBB142_340:                            ;   in Loop: Header=BB142_3 Depth=1
	s_or_b32 exec_lo, exec_lo, s11
	s_wait_dscnt 0x0
	s_barrier_signal -1
	s_barrier_wait -1
	s_barrier_signal -1
	s_barrier_wait -1
	s_and_saveexec_b32 s11, s1
; %bb.341:                              ;   in Loop: Header=BB142_3 Depth=1
	s_delay_alu instid0(VALU_DEP_1)
	v_xor_b32_e32 v39, 0x80000000, v39
	ds_store_b64 v46, v[38:39] offset:8336
; %bb.342:                              ;   in Loop: Header=BB142_3 Depth=1
	s_or_b32 exec_lo, exec_lo, s11
	s_wait_dscnt 0x0
	s_barrier_signal -1
	s_barrier_wait -1
	s_barrier_signal -1
	s_barrier_wait -1
	s_and_saveexec_b32 s11, s14
	s_cbranch_execz .LBB142_344
; %bb.343:                              ;   in Loop: Header=BB142_3 Depth=1
	ds_load_b128 v[38:41], v1 offset:9360
	ds_load_b64 v[42:43], v1 offset:9880
	s_wait_dscnt 0x0
	v_mul_f64_e32 v[38:39], v[38:39], v[42:43]
	s_delay_alu instid0(VALU_DEP_1)
	v_mul_f64_e32 v[38:39], v[40:41], v[38:39]
	ds_store_b64 v1, v[38:39] offset:9368
.LBB142_344:                            ;   in Loop: Header=BB142_3 Depth=1
	s_or_b32 exec_lo, exec_lo, s11
	v_mov_b64_e32 v[38:39], 0
	s_wait_dscnt 0x0
	s_barrier_signal -1
	s_barrier_wait -1
	s_and_saveexec_b32 s11, s2
	s_cbranch_execz .LBB142_350
; %bb.345:                              ;   in Loop: Header=BB142_3 Depth=1
	ds_load_b64 v[38:39], v52 offset:8352
	ds_load_b64 v[40:41], v49 offset:8320
	s_wait_dscnt 0x0
	v_fma_f64 v[38:39], v[38:39], v[40:41], 0
	s_and_saveexec_b32 s12, s16
	s_cbranch_execnz .LBB142_1048
; %bb.346:                              ;   in Loop: Header=BB142_3 Depth=1
	s_or_b32 exec_lo, exec_lo, s12
	s_and_saveexec_b32 s12, s17
	s_cbranch_execnz .LBB142_1049
.LBB142_347:                            ;   in Loop: Header=BB142_3 Depth=1
	s_or_b32 exec_lo, exec_lo, s12
	s_and_saveexec_b32 s12, s1
	s_cbranch_execz .LBB142_349
.LBB142_348:                            ;   in Loop: Header=BB142_3 Depth=1
	ds_load_b64 v[40:41], v48 offset:9888
	ds_load_b64 v[42:43], v1 offset:8344
	s_wait_dscnt 0x0
	v_fmac_f64_e32 v[38:39], v[40:41], v[42:43]
.LBB142_349:                            ;   in Loop: Header=BB142_3 Depth=1
	s_or_b32 exec_lo, exec_lo, s12
	s_delay_alu instid0(VALU_DEP_1)
	v_xor_b32_e32 v39, 0x80000000, v39
.LBB142_350:                            ;   in Loop: Header=BB142_3 Depth=1
	s_or_b32 exec_lo, exec_lo, s11
	s_and_saveexec_b32 s11, s104
	s_cbranch_execz .LBB142_352
; %bb.351:                              ;   in Loop: Header=BB142_3 Depth=1
	ds_load_b64 v[40:41], v1 offset:10400
	s_wait_dscnt 0x0
	v_mul_f64_e32 v[38:39], v[38:39], v[40:41]
	ds_store_b64 v50, v[38:39]
.LBB142_352:                            ;   in Loop: Header=BB142_3 Depth=1
	s_or_b32 exec_lo, exec_lo, s11
	s_wait_dscnt 0x0
	s_barrier_signal -1
	s_barrier_wait -1
	s_and_saveexec_b32 s11, vcc_hi
	s_cbranch_execz .LBB142_354
; %bb.353:                              ;   in Loop: Header=BB142_3 Depth=1
	ds_load_b64 v[40:41], v51 offset:10400
	ds_load_b64 v[42:43], v50
	s_wait_dscnt 0x0
	v_fmac_f64_e32 v[38:39], v[40:41], v[42:43]
.LBB142_354:                            ;   in Loop: Header=BB142_3 Depth=1
	s_or_b32 exec_lo, exec_lo, s11
	s_barrier_signal -1
	s_barrier_wait -1
	s_and_saveexec_b32 s11, s36
	s_cbranch_execz .LBB142_356
; %bb.355:                              ;   in Loop: Header=BB142_3 Depth=1
	ds_load_b64 v[40:41], v1 offset:10920
	s_wait_dscnt 0x0
	v_mul_f64_e32 v[38:39], v[38:39], v[40:41]
	ds_store_b64 v50, v[38:39]
.LBB142_356:                            ;   in Loop: Header=BB142_3 Depth=1
	s_or_b32 exec_lo, exec_lo, s11
	s_wait_dscnt 0x0
	s_barrier_signal -1
	s_barrier_wait -1
	s_and_saveexec_b32 s11, s37
	s_cbranch_execz .LBB142_358
; %bb.357:                              ;   in Loop: Header=BB142_3 Depth=1
	ds_load_b64 v[40:41], v51 offset:10912
	ds_load_b64 v[42:43], v50
	s_wait_dscnt 0x0
	v_fmac_f64_e32 v[38:39], v[40:41], v[42:43]
.LBB142_358:                            ;   in Loop: Header=BB142_3 Depth=1
	s_or_b32 exec_lo, exec_lo, s11
	s_barrier_signal -1
	s_barrier_wait -1
	s_and_saveexec_b32 s11, s38
	s_cbranch_execz .LBB142_360
; %bb.359:                              ;   in Loop: Header=BB142_3 Depth=1
	ds_load_b64 v[40:41], v1 offset:11440
	s_wait_dscnt 0x0
	v_mul_f64_e32 v[38:39], v[38:39], v[40:41]
	ds_store_b64 v50, v[38:39]
.LBB142_360:                            ;   in Loop: Header=BB142_3 Depth=1
	s_or_b32 exec_lo, exec_lo, s11
	s_wait_dscnt 0x0
	s_barrier_signal -1
	s_barrier_wait -1
	s_and_saveexec_b32 s11, s39
	s_cbranch_execz .LBB142_362
; %bb.361:                              ;   in Loop: Header=BB142_3 Depth=1
	ds_load_b64 v[40:41], v1 offset:11448
	ds_load_b64 v[42:43], v50
	s_wait_dscnt 0x0
	v_fmac_f64_e32 v[38:39], v[40:41], v[42:43]
.LBB142_362:                            ;   in Loop: Header=BB142_3 Depth=1
	s_or_b32 exec_lo, exec_lo, s11
	s_barrier_signal -1
	s_barrier_wait -1
	s_and_saveexec_b32 s11, s39
	s_cbranch_execz .LBB142_364
; %bb.363:                              ;   in Loop: Header=BB142_3 Depth=1
	ds_load_b64 v[40:41], v1 offset:11960
	s_wait_dscnt 0x0
	v_mul_f64_e32 v[38:39], v[38:39], v[40:41]
	ds_store_b64 v50, v[38:39]
.LBB142_364:                            ;   in Loop: Header=BB142_3 Depth=1
	s_or_b32 exec_lo, exec_lo, s11
	s_wait_dscnt 0x0
	s_barrier_signal -1
	s_barrier_wait -1
	s_barrier_signal -1
	s_barrier_wait -1
	s_and_saveexec_b32 s11, s2
; %bb.365:                              ;   in Loop: Header=BB142_3 Depth=1
	s_delay_alu instid0(VALU_DEP_1)
	v_xor_b32_e32 v39, 0x80000000, v39
	ds_store_b64 v52, v[38:39] offset:8352
; %bb.366:                              ;   in Loop: Header=BB142_3 Depth=1
	s_or_b32 exec_lo, exec_lo, s11
	s_wait_dscnt 0x0
	s_barrier_signal -1
	s_barrier_wait -1
	s_barrier_signal -1
	s_barrier_wait -1
	s_and_saveexec_b32 s11, s14
	s_cbranch_execz .LBB142_368
; %bb.367:                              ;   in Loop: Header=BB142_3 Depth=1
	ds_load_b128 v[38:41], v1 offset:10400
	ds_load_b64 v[42:43], v1 offset:10920
	s_wait_dscnt 0x0
	v_mul_f64_e32 v[38:39], v[38:39], v[42:43]
	s_delay_alu instid0(VALU_DEP_1)
	v_mul_f64_e32 v[38:39], v[40:41], v[38:39]
	ds_store_b64 v1, v[38:39] offset:10408
.LBB142_368:                            ;   in Loop: Header=BB142_3 Depth=1
	s_or_b32 exec_lo, exec_lo, s11
	v_mov_b64_e32 v[38:39], 0
	s_wait_dscnt 0x0
	s_barrier_signal -1
	s_barrier_wait -1
	s_and_saveexec_b32 s11, s1
	s_cbranch_execz .LBB142_372
; %bb.369:                              ;   in Loop: Header=BB142_3 Depth=1
	ds_load_b64 v[38:39], v46 offset:10416
	ds_load_b64 v[40:41], v47 offset:10400
	s_wait_dscnt 0x0
	v_fma_f64 v[38:39], v[38:39], v[40:41], 0
	s_and_saveexec_b32 s12, s15
	s_cbranch_execz .LBB142_371
; %bb.370:                              ;   in Loop: Header=BB142_3 Depth=1
	ds_load_b64 v[40:41], v48 offset:10928
	ds_load_b64 v[42:43], v1 offset:10408
	s_wait_dscnt 0x0
	v_fmac_f64_e32 v[38:39], v[40:41], v[42:43]
.LBB142_371:                            ;   in Loop: Header=BB142_3 Depth=1
	s_or_b32 exec_lo, exec_lo, s12
	s_delay_alu instid0(VALU_DEP_1)
	v_xor_b32_e32 v39, 0x80000000, v39
.LBB142_372:                            ;   in Loop: Header=BB142_3 Depth=1
	s_or_b32 exec_lo, exec_lo, s11
	s_and_saveexec_b32 s11, s102
	s_cbranch_execz .LBB142_374
; %bb.373:                              ;   in Loop: Header=BB142_3 Depth=1
	ds_load_b64 v[40:41], v1 offset:11440
	s_wait_dscnt 0x0
	v_mul_f64_e32 v[38:39], v[38:39], v[40:41]
	ds_store_b64 v3, v[38:39]
.LBB142_374:                            ;   in Loop: Header=BB142_3 Depth=1
	s_or_b32 exec_lo, exec_lo, s11
	s_wait_dscnt 0x0
	s_barrier_signal -1
	s_barrier_wait -1
	s_and_saveexec_b32 s11, s103
	s_cbranch_execz .LBB142_376
; %bb.375:                              ;   in Loop: Header=BB142_3 Depth=1
	ds_load_b64 v[40:41], v1 offset:11448
	ds_load_b64 v[42:43], v3
	s_wait_dscnt 0x0
	v_fmac_f64_e32 v[38:39], v[40:41], v[42:43]
.LBB142_376:                            ;   in Loop: Header=BB142_3 Depth=1
	s_or_b32 exec_lo, exec_lo, s11
	s_barrier_signal -1
	s_barrier_wait -1
	s_and_saveexec_b32 s11, s103
	s_cbranch_execz .LBB142_378
; %bb.377:                              ;   in Loop: Header=BB142_3 Depth=1
	ds_load_b64 v[40:41], v1 offset:11960
	s_wait_dscnt 0x0
	v_mul_f64_e32 v[38:39], v[38:39], v[40:41]
	ds_store_b64 v3, v[38:39]
.LBB142_378:                            ;   in Loop: Header=BB142_3 Depth=1
	s_or_b32 exec_lo, exec_lo, s11
	s_wait_dscnt 0x0
	s_barrier_signal -1
	s_barrier_wait -1
	s_barrier_signal -1
	s_barrier_wait -1
	s_and_saveexec_b32 s11, s1
; %bb.379:                              ;   in Loop: Header=BB142_3 Depth=1
	s_delay_alu instid0(VALU_DEP_1)
	v_xor_b32_e32 v39, 0x80000000, v39
	ds_store_b64 v46, v[38:39] offset:10416
; %bb.380:                              ;   in Loop: Header=BB142_3 Depth=1
	s_or_b32 exec_lo, exec_lo, s11
	s_wait_dscnt 0x0
	s_barrier_signal -1
	s_barrier_wait -1
	s_barrier_signal -1
	s_barrier_wait -1
	s_and_saveexec_b32 s11, s14
	s_cbranch_execz .LBB142_382
; %bb.381:                              ;   in Loop: Header=BB142_3 Depth=1
	ds_load_b128 v[38:41], v1 offset:11440
	ds_load_b64 v[42:43], v1 offset:11960
	s_wait_dscnt 0x0
	v_mul_f64_e32 v[38:39], v[38:39], v[42:43]
	s_delay_alu instid0(VALU_DEP_1)
	v_mul_f64_e32 v[38:39], v[40:41], v[38:39]
	ds_store_b64 v1, v[38:39] offset:11448
.LBB142_382:                            ;   in Loop: Header=BB142_3 Depth=1
	s_or_b32 exec_lo, exec_lo, s11
	v_mov_b64_e32 v[38:39], 0
	s_wait_dscnt 0x0
	s_barrier_signal -1
	s_barrier_wait -1
	s_and_saveexec_b32 s11, s3
	s_cbranch_execz .LBB142_392
; %bb.383:                              ;   in Loop: Header=BB142_3 Depth=1
	ds_load_b64 v[38:39], v57 offset:8384
	ds_load_b64 v[40:41], v54 offset:8320
	s_wait_dscnt 0x0
	v_fma_f64 v[38:39], v[38:39], v[40:41], 0
	s_and_saveexec_b32 s12, s18
	s_cbranch_execnz .LBB142_1050
; %bb.384:                              ;   in Loop: Header=BB142_3 Depth=1
	s_or_b32 exec_lo, exec_lo, s12
	s_and_saveexec_b32 s12, s19
	s_cbranch_execnz .LBB142_1051
.LBB142_385:                            ;   in Loop: Header=BB142_3 Depth=1
	s_or_b32 exec_lo, exec_lo, s12
	s_and_saveexec_b32 s12, s20
	s_cbranch_execnz .LBB142_1052
.LBB142_386:                            ;   in Loop: Header=BB142_3 Depth=1
	s_or_b32 exec_lo, exec_lo, s12
	s_and_saveexec_b32 s12, s21
	s_cbranch_execnz .LBB142_1053
.LBB142_387:                            ;   in Loop: Header=BB142_3 Depth=1
	s_or_b32 exec_lo, exec_lo, s12
	s_and_saveexec_b32 s12, s22
	s_cbranch_execnz .LBB142_1054
.LBB142_388:                            ;   in Loop: Header=BB142_3 Depth=1
	s_or_b32 exec_lo, exec_lo, s12
	s_and_saveexec_b32 s12, s2
	s_cbranch_execnz .LBB142_1055
.LBB142_389:                            ;   in Loop: Header=BB142_3 Depth=1
	s_or_b32 exec_lo, exec_lo, s12
	s_and_saveexec_b32 s12, s17
	s_cbranch_execz .LBB142_391
.LBB142_390:                            ;   in Loop: Header=BB142_3 Depth=1
	ds_load_b64 v[40:41], v48 offset:11968
	ds_load_b64 v[42:43], v1 offset:8376
	s_wait_dscnt 0x0
	v_fmac_f64_e32 v[38:39], v[40:41], v[42:43]
.LBB142_391:                            ;   in Loop: Header=BB142_3 Depth=1
	s_or_b32 exec_lo, exec_lo, s12
	s_delay_alu instid0(VALU_DEP_1)
	v_xor_b32_e32 v39, 0x80000000, v39
.LBB142_392:                            ;   in Loop: Header=BB142_3 Depth=1
	s_or_b32 exec_lo, exec_lo, s11
	s_and_saveexec_b32 s11, s40
	s_cbranch_execz .LBB142_394
; %bb.393:                              ;   in Loop: Header=BB142_3 Depth=1
	ds_load_b64 v[40:41], v1 offset:12480
	s_wait_dscnt 0x0
	v_mul_f64_e32 v[38:39], v[38:39], v[40:41]
	ds_store_b64 v56, v[38:39]
.LBB142_394:                            ;   in Loop: Header=BB142_3 Depth=1
	s_or_b32 exec_lo, exec_lo, s11
	s_wait_dscnt 0x0
	s_barrier_signal -1
	s_barrier_wait -1
	s_and_saveexec_b32 s11, s41
	s_cbranch_execz .LBB142_396
; %bb.395:                              ;   in Loop: Header=BB142_3 Depth=1
	ds_load_b64 v[40:41], v55 offset:12480
	ds_load_b64 v[42:43], v56
	s_wait_dscnt 0x0
	v_fmac_f64_e32 v[38:39], v[40:41], v[42:43]
.LBB142_396:                            ;   in Loop: Header=BB142_3 Depth=1
	s_or_b32 exec_lo, exec_lo, s11
	s_barrier_signal -1
	s_barrier_wait -1
	s_and_saveexec_b32 s11, s42
	s_cbranch_execz .LBB142_398
; %bb.397:                              ;   in Loop: Header=BB142_3 Depth=1
	ds_load_b64 v[40:41], v1 offset:13000
	s_wait_dscnt 0x0
	v_mul_f64_e32 v[38:39], v[38:39], v[40:41]
	ds_store_b64 v56, v[38:39]
.LBB142_398:                            ;   in Loop: Header=BB142_3 Depth=1
	s_or_b32 exec_lo, exec_lo, s11
	s_wait_dscnt 0x0
	s_barrier_signal -1
	s_barrier_wait -1
	s_and_saveexec_b32 s11, s43
	s_cbranch_execz .LBB142_400
; %bb.399:                              ;   in Loop: Header=BB142_3 Depth=1
	ds_load_b64 v[40:41], v55 offset:12992
	ds_load_b64 v[42:43], v56
	s_wait_dscnt 0x0
	v_fmac_f64_e32 v[38:39], v[40:41], v[42:43]
.LBB142_400:                            ;   in Loop: Header=BB142_3 Depth=1
	s_or_b32 exec_lo, exec_lo, s11
	s_barrier_signal -1
	s_barrier_wait -1
	;; [unrolled: 23-line block ×7, first 2 shown]
	s_and_saveexec_b32 s11, s53
	s_cbranch_execz .LBB142_422
; %bb.421:                              ;   in Loop: Header=BB142_3 Depth=1
	ds_load_b64 v[40:41], v1 offset:16120
	s_wait_dscnt 0x0
	v_mul_f64_e32 v[38:39], v[38:39], v[40:41]
	ds_store_b64 v56, v[38:39]
.LBB142_422:                            ;   in Loop: Header=BB142_3 Depth=1
	s_or_b32 exec_lo, exec_lo, s11
	s_wait_dscnt 0x0
	s_barrier_signal -1
	s_barrier_wait -1
	s_barrier_signal -1
	s_barrier_wait -1
	s_and_saveexec_b32 s11, s3
; %bb.423:                              ;   in Loop: Header=BB142_3 Depth=1
	s_delay_alu instid0(VALU_DEP_1)
	v_xor_b32_e32 v39, 0x80000000, v39
	ds_store_b64 v57, v[38:39] offset:8384
; %bb.424:                              ;   in Loop: Header=BB142_3 Depth=1
	s_or_b32 exec_lo, exec_lo, s11
	s_wait_dscnt 0x0
	s_barrier_signal -1
	s_barrier_wait -1
	s_barrier_signal -1
	s_barrier_wait -1
	s_and_saveexec_b32 s11, s14
	s_cbranch_execz .LBB142_426
; %bb.425:                              ;   in Loop: Header=BB142_3 Depth=1
	ds_load_b128 v[38:41], v1 offset:12480
	ds_load_b64 v[42:43], v1 offset:13000
	s_wait_dscnt 0x0
	v_mul_f64_e32 v[38:39], v[38:39], v[42:43]
	s_delay_alu instid0(VALU_DEP_1)
	v_mul_f64_e32 v[38:39], v[40:41], v[38:39]
	ds_store_b64 v1, v[38:39] offset:12488
.LBB142_426:                            ;   in Loop: Header=BB142_3 Depth=1
	s_or_b32 exec_lo, exec_lo, s11
	v_mov_b64_e32 v[38:39], 0
	s_wait_dscnt 0x0
	s_barrier_signal -1
	s_barrier_wait -1
	s_and_saveexec_b32 s11, s1
	s_cbranch_execz .LBB142_430
; %bb.427:                              ;   in Loop: Header=BB142_3 Depth=1
	ds_load_b64 v[38:39], v46 offset:12496
	ds_load_b64 v[40:41], v47 offset:12480
	s_wait_dscnt 0x0
	v_fma_f64 v[38:39], v[38:39], v[40:41], 0
	s_and_saveexec_b32 s12, s15
	s_cbranch_execz .LBB142_429
; %bb.428:                              ;   in Loop: Header=BB142_3 Depth=1
	ds_load_b64 v[40:41], v48 offset:13008
	ds_load_b64 v[42:43], v1 offset:12488
	s_wait_dscnt 0x0
	v_fmac_f64_e32 v[38:39], v[40:41], v[42:43]
.LBB142_429:                            ;   in Loop: Header=BB142_3 Depth=1
	s_or_b32 exec_lo, exec_lo, s12
	s_delay_alu instid0(VALU_DEP_1)
	v_xor_b32_e32 v39, 0x80000000, v39
.LBB142_430:                            ;   in Loop: Header=BB142_3 Depth=1
	s_or_b32 exec_lo, exec_lo, s11
	s_and_saveexec_b32 s11, s102
	s_cbranch_execz .LBB142_432
; %bb.431:                              ;   in Loop: Header=BB142_3 Depth=1
	ds_load_b64 v[40:41], v1 offset:13520
	s_wait_dscnt 0x0
	v_mul_f64_e32 v[38:39], v[38:39], v[40:41]
	ds_store_b64 v3, v[38:39]
.LBB142_432:                            ;   in Loop: Header=BB142_3 Depth=1
	s_or_b32 exec_lo, exec_lo, s11
	s_wait_dscnt 0x0
	s_barrier_signal -1
	s_barrier_wait -1
	s_and_saveexec_b32 s11, s103
	s_cbranch_execz .LBB142_434
; %bb.433:                              ;   in Loop: Header=BB142_3 Depth=1
	ds_load_b64 v[40:41], v1 offset:13528
	ds_load_b64 v[42:43], v3
	s_wait_dscnt 0x0
	v_fmac_f64_e32 v[38:39], v[40:41], v[42:43]
.LBB142_434:                            ;   in Loop: Header=BB142_3 Depth=1
	s_or_b32 exec_lo, exec_lo, s11
	s_barrier_signal -1
	s_barrier_wait -1
	s_and_saveexec_b32 s11, s103
	s_cbranch_execz .LBB142_436
; %bb.435:                              ;   in Loop: Header=BB142_3 Depth=1
	ds_load_b64 v[40:41], v1 offset:14040
	s_wait_dscnt 0x0
	v_mul_f64_e32 v[38:39], v[38:39], v[40:41]
	ds_store_b64 v3, v[38:39]
.LBB142_436:                            ;   in Loop: Header=BB142_3 Depth=1
	s_or_b32 exec_lo, exec_lo, s11
	s_wait_dscnt 0x0
	s_barrier_signal -1
	s_barrier_wait -1
	s_barrier_signal -1
	s_barrier_wait -1
	s_and_saveexec_b32 s11, s1
; %bb.437:                              ;   in Loop: Header=BB142_3 Depth=1
	s_delay_alu instid0(VALU_DEP_1)
	v_xor_b32_e32 v39, 0x80000000, v39
	ds_store_b64 v46, v[38:39] offset:12496
; %bb.438:                              ;   in Loop: Header=BB142_3 Depth=1
	s_or_b32 exec_lo, exec_lo, s11
	s_wait_dscnt 0x0
	s_barrier_signal -1
	s_barrier_wait -1
	s_barrier_signal -1
	s_barrier_wait -1
	s_and_saveexec_b32 s11, s14
	s_cbranch_execz .LBB142_440
; %bb.439:                              ;   in Loop: Header=BB142_3 Depth=1
	ds_load_b128 v[38:41], v1 offset:13520
	ds_load_b64 v[42:43], v1 offset:14040
	s_wait_dscnt 0x0
	v_mul_f64_e32 v[38:39], v[38:39], v[42:43]
	s_delay_alu instid0(VALU_DEP_1)
	v_mul_f64_e32 v[38:39], v[40:41], v[38:39]
	ds_store_b64 v1, v[38:39] offset:13528
.LBB142_440:                            ;   in Loop: Header=BB142_3 Depth=1
	s_or_b32 exec_lo, exec_lo, s11
	v_mov_b64_e32 v[38:39], 0
	s_wait_dscnt 0x0
	s_barrier_signal -1
	s_barrier_wait -1
	s_and_saveexec_b32 s11, s2
	s_cbranch_execz .LBB142_446
; %bb.441:                              ;   in Loop: Header=BB142_3 Depth=1
	ds_load_b64 v[38:39], v52 offset:12512
	ds_load_b64 v[40:41], v49 offset:12480
	s_wait_dscnt 0x0
	v_fma_f64 v[38:39], v[38:39], v[40:41], 0
	s_and_saveexec_b32 s12, s16
	s_cbranch_execnz .LBB142_1056
; %bb.442:                              ;   in Loop: Header=BB142_3 Depth=1
	s_or_b32 exec_lo, exec_lo, s12
	s_and_saveexec_b32 s12, s17
	s_cbranch_execnz .LBB142_1057
.LBB142_443:                            ;   in Loop: Header=BB142_3 Depth=1
	s_or_b32 exec_lo, exec_lo, s12
	s_and_saveexec_b32 s12, s1
	s_cbranch_execz .LBB142_445
.LBB142_444:                            ;   in Loop: Header=BB142_3 Depth=1
	ds_load_b64 v[40:41], v48 offset:14048
	ds_load_b64 v[42:43], v1 offset:12504
	s_wait_dscnt 0x0
	v_fmac_f64_e32 v[38:39], v[40:41], v[42:43]
.LBB142_445:                            ;   in Loop: Header=BB142_3 Depth=1
	s_or_b32 exec_lo, exec_lo, s12
	s_delay_alu instid0(VALU_DEP_1)
	v_xor_b32_e32 v39, 0x80000000, v39
.LBB142_446:                            ;   in Loop: Header=BB142_3 Depth=1
	s_or_b32 exec_lo, exec_lo, s11
	s_and_saveexec_b32 s11, s104
	s_cbranch_execz .LBB142_448
; %bb.447:                              ;   in Loop: Header=BB142_3 Depth=1
	ds_load_b64 v[40:41], v1 offset:14560
	s_wait_dscnt 0x0
	v_mul_f64_e32 v[38:39], v[38:39], v[40:41]
	ds_store_b64 v50, v[38:39]
.LBB142_448:                            ;   in Loop: Header=BB142_3 Depth=1
	s_or_b32 exec_lo, exec_lo, s11
	s_wait_dscnt 0x0
	s_barrier_signal -1
	s_barrier_wait -1
	s_and_saveexec_b32 s11, vcc_hi
	s_cbranch_execz .LBB142_450
; %bb.449:                              ;   in Loop: Header=BB142_3 Depth=1
	ds_load_b64 v[40:41], v51 offset:14560
	ds_load_b64 v[42:43], v50
	s_wait_dscnt 0x0
	v_fmac_f64_e32 v[38:39], v[40:41], v[42:43]
.LBB142_450:                            ;   in Loop: Header=BB142_3 Depth=1
	s_or_b32 exec_lo, exec_lo, s11
	s_barrier_signal -1
	s_barrier_wait -1
	s_and_saveexec_b32 s11, s36
	s_cbranch_execz .LBB142_452
; %bb.451:                              ;   in Loop: Header=BB142_3 Depth=1
	ds_load_b64 v[40:41], v1 offset:15080
	s_wait_dscnt 0x0
	v_mul_f64_e32 v[38:39], v[38:39], v[40:41]
	ds_store_b64 v50, v[38:39]
.LBB142_452:                            ;   in Loop: Header=BB142_3 Depth=1
	s_or_b32 exec_lo, exec_lo, s11
	s_wait_dscnt 0x0
	s_barrier_signal -1
	s_barrier_wait -1
	s_and_saveexec_b32 s11, s37
	s_cbranch_execz .LBB142_454
; %bb.453:                              ;   in Loop: Header=BB142_3 Depth=1
	ds_load_b64 v[40:41], v51 offset:15072
	ds_load_b64 v[42:43], v50
	s_wait_dscnt 0x0
	v_fmac_f64_e32 v[38:39], v[40:41], v[42:43]
.LBB142_454:                            ;   in Loop: Header=BB142_3 Depth=1
	s_or_b32 exec_lo, exec_lo, s11
	s_barrier_signal -1
	s_barrier_wait -1
	s_and_saveexec_b32 s11, s38
	s_cbranch_execz .LBB142_456
; %bb.455:                              ;   in Loop: Header=BB142_3 Depth=1
	ds_load_b64 v[40:41], v1 offset:15600
	s_wait_dscnt 0x0
	v_mul_f64_e32 v[38:39], v[38:39], v[40:41]
	ds_store_b64 v50, v[38:39]
.LBB142_456:                            ;   in Loop: Header=BB142_3 Depth=1
	s_or_b32 exec_lo, exec_lo, s11
	s_wait_dscnt 0x0
	s_barrier_signal -1
	s_barrier_wait -1
	s_and_saveexec_b32 s11, s39
	s_cbranch_execz .LBB142_458
; %bb.457:                              ;   in Loop: Header=BB142_3 Depth=1
	ds_load_b64 v[40:41], v1 offset:15608
	ds_load_b64 v[42:43], v50
	s_wait_dscnt 0x0
	v_fmac_f64_e32 v[38:39], v[40:41], v[42:43]
.LBB142_458:                            ;   in Loop: Header=BB142_3 Depth=1
	s_or_b32 exec_lo, exec_lo, s11
	s_barrier_signal -1
	s_barrier_wait -1
	s_and_saveexec_b32 s11, s39
	s_cbranch_execz .LBB142_460
; %bb.459:                              ;   in Loop: Header=BB142_3 Depth=1
	ds_load_b64 v[40:41], v1 offset:16120
	s_wait_dscnt 0x0
	v_mul_f64_e32 v[38:39], v[38:39], v[40:41]
	ds_store_b64 v50, v[38:39]
.LBB142_460:                            ;   in Loop: Header=BB142_3 Depth=1
	s_or_b32 exec_lo, exec_lo, s11
	s_wait_dscnt 0x0
	s_barrier_signal -1
	s_barrier_wait -1
	s_barrier_signal -1
	s_barrier_wait -1
	s_and_saveexec_b32 s11, s2
; %bb.461:                              ;   in Loop: Header=BB142_3 Depth=1
	s_delay_alu instid0(VALU_DEP_1)
	v_xor_b32_e32 v39, 0x80000000, v39
	ds_store_b64 v52, v[38:39] offset:12512
; %bb.462:                              ;   in Loop: Header=BB142_3 Depth=1
	s_or_b32 exec_lo, exec_lo, s11
	s_wait_dscnt 0x0
	s_barrier_signal -1
	s_barrier_wait -1
	s_barrier_signal -1
	s_barrier_wait -1
	s_and_saveexec_b32 s11, s14
	s_cbranch_execz .LBB142_464
; %bb.463:                              ;   in Loop: Header=BB142_3 Depth=1
	ds_load_b128 v[38:41], v1 offset:14560
	ds_load_b64 v[42:43], v1 offset:15080
	s_wait_dscnt 0x0
	v_mul_f64_e32 v[38:39], v[38:39], v[42:43]
	s_delay_alu instid0(VALU_DEP_1)
	v_mul_f64_e32 v[38:39], v[40:41], v[38:39]
	ds_store_b64 v1, v[38:39] offset:14568
.LBB142_464:                            ;   in Loop: Header=BB142_3 Depth=1
	s_or_b32 exec_lo, exec_lo, s11
	v_mov_b64_e32 v[38:39], 0
	s_wait_dscnt 0x0
	s_barrier_signal -1
	s_barrier_wait -1
	s_and_saveexec_b32 s11, s1
	s_cbranch_execz .LBB142_468
; %bb.465:                              ;   in Loop: Header=BB142_3 Depth=1
	ds_load_b64 v[38:39], v46 offset:14576
	ds_load_b64 v[40:41], v47 offset:14560
	s_wait_dscnt 0x0
	v_fma_f64 v[38:39], v[38:39], v[40:41], 0
	s_and_saveexec_b32 s12, s15
	s_cbranch_execz .LBB142_467
; %bb.466:                              ;   in Loop: Header=BB142_3 Depth=1
	ds_load_b64 v[40:41], v48 offset:15088
	ds_load_b64 v[42:43], v1 offset:14568
	s_wait_dscnt 0x0
	v_fmac_f64_e32 v[38:39], v[40:41], v[42:43]
.LBB142_467:                            ;   in Loop: Header=BB142_3 Depth=1
	s_or_b32 exec_lo, exec_lo, s12
	s_delay_alu instid0(VALU_DEP_1)
	v_xor_b32_e32 v39, 0x80000000, v39
.LBB142_468:                            ;   in Loop: Header=BB142_3 Depth=1
	s_or_b32 exec_lo, exec_lo, s11
	s_and_saveexec_b32 s11, s102
	s_cbranch_execz .LBB142_470
; %bb.469:                              ;   in Loop: Header=BB142_3 Depth=1
	ds_load_b64 v[40:41], v1 offset:15600
	s_wait_dscnt 0x0
	v_mul_f64_e32 v[38:39], v[38:39], v[40:41]
	ds_store_b64 v3, v[38:39]
.LBB142_470:                            ;   in Loop: Header=BB142_3 Depth=1
	s_or_b32 exec_lo, exec_lo, s11
	s_wait_dscnt 0x0
	s_barrier_signal -1
	s_barrier_wait -1
	s_and_saveexec_b32 s11, s103
	s_cbranch_execz .LBB142_472
; %bb.471:                              ;   in Loop: Header=BB142_3 Depth=1
	ds_load_b64 v[40:41], v1 offset:15608
	ds_load_b64 v[42:43], v3
	s_wait_dscnt 0x0
	v_fmac_f64_e32 v[38:39], v[40:41], v[42:43]
.LBB142_472:                            ;   in Loop: Header=BB142_3 Depth=1
	s_or_b32 exec_lo, exec_lo, s11
	s_barrier_signal -1
	s_barrier_wait -1
	s_and_saveexec_b32 s11, s103
	s_cbranch_execz .LBB142_474
; %bb.473:                              ;   in Loop: Header=BB142_3 Depth=1
	ds_load_b64 v[40:41], v1 offset:16120
	s_wait_dscnt 0x0
	v_mul_f64_e32 v[38:39], v[38:39], v[40:41]
	ds_store_b64 v3, v[38:39]
.LBB142_474:                            ;   in Loop: Header=BB142_3 Depth=1
	s_or_b32 exec_lo, exec_lo, s11
	s_wait_dscnt 0x0
	s_barrier_signal -1
	s_barrier_wait -1
	s_barrier_signal -1
	s_barrier_wait -1
	s_and_saveexec_b32 s11, s1
; %bb.475:                              ;   in Loop: Header=BB142_3 Depth=1
	s_delay_alu instid0(VALU_DEP_1)
	v_xor_b32_e32 v39, 0x80000000, v39
	ds_store_b64 v46, v[38:39] offset:14576
; %bb.476:                              ;   in Loop: Header=BB142_3 Depth=1
	s_or_b32 exec_lo, exec_lo, s11
	s_wait_dscnt 0x0
	s_barrier_signal -1
	s_barrier_wait -1
	s_barrier_signal -1
	s_barrier_wait -1
	s_and_saveexec_b32 s11, s14
	s_cbranch_execz .LBB142_478
; %bb.477:                              ;   in Loop: Header=BB142_3 Depth=1
	ds_load_b128 v[38:41], v1 offset:15600
	ds_load_b64 v[42:43], v1 offset:16120
	s_wait_dscnt 0x0
	v_mul_f64_e32 v[38:39], v[38:39], v[42:43]
	s_delay_alu instid0(VALU_DEP_1)
	v_mul_f64_e32 v[38:39], v[40:41], v[38:39]
	ds_store_b64 v1, v[38:39] offset:15608
.LBB142_478:                            ;   in Loop: Header=BB142_3 Depth=1
	s_or_b32 exec_lo, exec_lo, s11
	v_mov_b64_e32 v[38:39], 0
	s_wait_dscnt 0x0
	s_barrier_signal -1
	s_barrier_wait -1
	s_and_saveexec_b32 s69, s35
	s_cbranch_execz .LBB142_537
; %bb.479:                              ;   in Loop: Header=BB142_3 Depth=1
	v_add_nc_u32_e32 v0, v66, v64
	ds_load_b64 v[38:39], v68 offset:256
	ds_load_b64 v[40:41], v0
	s_wait_dscnt 0x0
	v_fma_f64 v[38:39], v[38:39], v[40:41], 0
	s_mov_b32 s11, exec_lo
	v_readlane_b32 s12, v85, 5
	s_and_b32 s12, s11, s12
	s_delay_alu instid0(SALU_CYCLE_1)
	s_mov_b32 exec_lo, s12
	s_cbranch_execz .LBB142_481
; %bb.480:                              ;   in Loop: Header=BB142_3 Depth=1
	ds_load_b64 v[40:41], v68 offset:768
	ds_load_b64 v[42:43], v0 offset:8
	s_wait_dscnt 0x0
	v_fmac_f64_e32 v[38:39], v[40:41], v[42:43]
.LBB142_481:                            ;   in Loop: Header=BB142_3 Depth=1
	s_or_b32 exec_lo, exec_lo, s11
	s_delay_alu instid0(SALU_CYCLE_1) | instskip(SKIP_2) | instid1(SALU_CYCLE_1)
	s_mov_b32 s11, exec_lo
	v_readlane_b32 s12, v85, 6
	s_and_b32 s12, s11, s12
	s_mov_b32 exec_lo, s12
	s_cbranch_execz .LBB142_483
; %bb.482:                              ;   in Loop: Header=BB142_3 Depth=1
	ds_load_b64 v[40:41], v68 offset:1280
	ds_load_b64 v[42:43], v0 offset:16
	s_wait_dscnt 0x0
	v_fmac_f64_e32 v[38:39], v[40:41], v[42:43]
.LBB142_483:                            ;   in Loop: Header=BB142_3 Depth=1
	s_or_b32 exec_lo, exec_lo, s11
	s_delay_alu instid0(SALU_CYCLE_1) | instskip(SKIP_2) | instid1(SALU_CYCLE_1)
	s_mov_b32 s11, exec_lo
	v_readlane_b32 s12, v85, 7
	s_and_b32 s12, s11, s12
	;; [unrolled: 13-line block ×22, first 2 shown]
	s_mov_b32 exec_lo, s12
	s_cbranch_execz .LBB142_525
; %bb.524:                              ;   in Loop: Header=BB142_3 Depth=1
	ds_load_b64 v[40:41], v68 offset:12032
	ds_load_b64 v[42:43], v0 offset:184
	s_wait_dscnt 0x0
	v_fmac_f64_e32 v[38:39], v[40:41], v[42:43]
.LBB142_525:                            ;   in Loop: Header=BB142_3 Depth=1
	s_or_b32 exec_lo, exec_lo, s11
	s_and_saveexec_b32 s11, s4
	s_cbranch_execz .LBB142_527
; %bb.526:                              ;   in Loop: Header=BB142_3 Depth=1
	ds_load_b64 v[40:41], v68 offset:12544
	ds_load_b64 v[42:43], v0 offset:192
	s_wait_dscnt 0x0
	v_fmac_f64_e32 v[38:39], v[40:41], v[42:43]
.LBB142_527:                            ;   in Loop: Header=BB142_3 Depth=1
	s_or_b32 exec_lo, exec_lo, s11
	s_delay_alu instid0(SALU_CYCLE_1) | instskip(SKIP_2) | instid1(SALU_CYCLE_1)
	s_mov_b32 s11, exec_lo
	v_readlane_b32 s12, v86, 30
	s_and_b32 s12, s11, s12
	s_mov_b32 exec_lo, s12
	s_cbranch_execz .LBB142_529
; %bb.528:                              ;   in Loop: Header=BB142_3 Depth=1
	ds_load_b64 v[40:41], v68 offset:13056
	ds_load_b64 v[42:43], v0 offset:200
	s_wait_dscnt 0x0
	v_fmac_f64_e32 v[38:39], v[40:41], v[42:43]
.LBB142_529:                            ;   in Loop: Header=BB142_3 Depth=1
	s_or_b32 exec_lo, exec_lo, s11
	s_delay_alu instid0(SALU_CYCLE_1) | instskip(SKIP_2) | instid1(SALU_CYCLE_1)
	s_mov_b32 s11, exec_lo
	v_readlane_b32 s12, v85, 0
	s_and_b32 s12, s11, s12
	s_mov_b32 exec_lo, s12
	s_cbranch_execnz .LBB142_1058
; %bb.530:                              ;   in Loop: Header=BB142_3 Depth=1
	s_or_b32 exec_lo, exec_lo, s11
	s_and_saveexec_b32 s11, s7
	s_cbranch_execnz .LBB142_1059
.LBB142_531:                            ;   in Loop: Header=BB142_3 Depth=1
	s_or_b32 exec_lo, exec_lo, s11
	s_and_saveexec_b32 s11, s6
	s_cbranch_execnz .LBB142_1060
.LBB142_532:                            ;   in Loop: Header=BB142_3 Depth=1
	s_or_b32 exec_lo, exec_lo, s11
	s_and_saveexec_b32 s11, s8
	s_cbranch_execnz .LBB142_1061
.LBB142_533:                            ;   in Loop: Header=BB142_3 Depth=1
	s_or_b32 exec_lo, exec_lo, s11
	s_and_saveexec_b32 s11, s3
	s_cbranch_execnz .LBB142_1062
.LBB142_534:                            ;   in Loop: Header=BB142_3 Depth=1
	s_or_b32 exec_lo, exec_lo, s11
	s_and_saveexec_b32 s11, s21
	s_cbranch_execz .LBB142_536
.LBB142_535:                            ;   in Loop: Header=BB142_3 Depth=1
	ds_load_b64 v[40:41], v48 offset:16128
	ds_load_b64 v[42:43], v1 offset:248
	s_wait_dscnt 0x0
	v_fmac_f64_e32 v[38:39], v[40:41], v[42:43]
.LBB142_536:                            ;   in Loop: Header=BB142_3 Depth=1
	s_or_b32 exec_lo, exec_lo, s11
	s_delay_alu instid0(VALU_DEP_1)
	v_xor_b32_e32 v39, 0x80000000, v39
.LBB142_537:                            ;   in Loop: Header=BB142_3 Depth=1
	s_or_b32 exec_lo, exec_lo, s69
	v_dual_mov_b32 v0, v65 :: v_dual_mov_b32 v40, v78
	s_mov_b32 s11, 0
	s_branch .LBB142_539
.LBB142_538:                            ;   in Loop: Header=BB142_539 Depth=2
	s_or_b32 exec_lo, exec_lo, s12
	v_add_nc_u32_e32 v40, 0x800, v40
	v_add_nc_u32_e32 v0, -4, v0
	s_add_co_i32 s11, s11, 4
	s_delay_alu instid0(SALU_CYCLE_1)
	s_cmp_eq_u32 s11, 32
	s_barrier_signal -1
	s_barrier_wait -1
	s_cbranch_scc1 .LBB142_555
.LBB142_539:                            ;   Parent Loop BB142_3 Depth=1
                                        ; =>  This Inner Loop Header: Depth=2
	s_delay_alu instid0(VALU_DEP_1) | instskip(SKIP_1) | instid1(SALU_CYCLE_1)
	v_cmp_eq_u32_e32 vcc_lo, 0, v0
	s_and_b32 s13, s10, vcc_lo
	s_and_saveexec_b32 s12, s13
	s_cbranch_execz .LBB142_541
; %bb.540:                              ;   in Loop: Header=BB142_539 Depth=2
	ds_load_b64 v[42:43], v69 offset:16640
	s_wait_dscnt 0x0
	v_mul_f64_e32 v[38:39], v[38:39], v[42:43]
	ds_store_b64 v67, v[38:39]
.LBB142_541:                            ;   in Loop: Header=BB142_539 Depth=2
	s_or_b32 exec_lo, exec_lo, s12
	v_cmp_lt_u32_e32 vcc_lo, s11, v65
	s_wait_dscnt 0x0
	s_barrier_signal -1
	s_barrier_wait -1
	s_and_b32 s13, s10, vcc_lo
	s_delay_alu instid0(SALU_CYCLE_1)
	s_and_saveexec_b32 s12, s13
	s_cbranch_execz .LBB142_543
; %bb.542:                              ;   in Loop: Header=BB142_539 Depth=2
	ds_load_b64 v[42:43], v40
	ds_load_b64 v[80:81], v67
	s_wait_dscnt 0x0
	v_fmac_f64_e32 v[38:39], v[42:43], v[80:81]
.LBB142_543:                            ;   in Loop: Header=BB142_539 Depth=2
	s_or_b32 exec_lo, exec_lo, s12
	s_or_b32 s12, s11, 1
	s_delay_alu instid0(SALU_CYCLE_1) | instskip(SKIP_3) | instid1(SALU_CYCLE_1)
	v_cmp_eq_u32_e32 vcc_lo, s12, v65
	s_barrier_signal -1
	s_barrier_wait -1
	s_and_b32 s69, s10, vcc_lo
	s_and_saveexec_b32 s13, s69
	s_cbranch_execz .LBB142_545
; %bb.544:                              ;   in Loop: Header=BB142_539 Depth=2
	ds_load_b64 v[42:43], v69 offset:16640
	s_wait_dscnt 0x0
	v_mul_f64_e32 v[38:39], v[38:39], v[42:43]
	ds_store_b64 v67, v[38:39]
.LBB142_545:                            ;   in Loop: Header=BB142_539 Depth=2
	s_or_b32 exec_lo, exec_lo, s13
	v_cmp_lt_u32_e32 vcc_lo, s12, v65
	s_wait_dscnt 0x0
	s_barrier_signal -1
	s_barrier_wait -1
	s_and_b32 s13, s10, vcc_lo
	s_delay_alu instid0(SALU_CYCLE_1)
	s_and_saveexec_b32 s12, s13
	s_cbranch_execz .LBB142_547
; %bb.546:                              ;   in Loop: Header=BB142_539 Depth=2
	ds_load_b64 v[42:43], v40 offset:512
	ds_load_b64 v[80:81], v67
	s_wait_dscnt 0x0
	v_fmac_f64_e32 v[38:39], v[42:43], v[80:81]
.LBB142_547:                            ;   in Loop: Header=BB142_539 Depth=2
	s_or_b32 exec_lo, exec_lo, s12
	s_or_b32 s12, s11, 2
	s_delay_alu instid0(SALU_CYCLE_1) | instskip(SKIP_3) | instid1(SALU_CYCLE_1)
	v_cmp_eq_u32_e32 vcc_lo, s12, v65
	s_barrier_signal -1
	s_barrier_wait -1
	s_and_b32 s69, s10, vcc_lo
	s_and_saveexec_b32 s13, s69
	s_cbranch_execz .LBB142_549
; %bb.548:                              ;   in Loop: Header=BB142_539 Depth=2
	ds_load_b64 v[42:43], v69 offset:16640
	s_wait_dscnt 0x0
	v_mul_f64_e32 v[38:39], v[38:39], v[42:43]
	ds_store_b64 v67, v[38:39]
.LBB142_549:                            ;   in Loop: Header=BB142_539 Depth=2
	s_or_b32 exec_lo, exec_lo, s13
	v_cmp_lt_u32_e32 vcc_lo, s12, v65
	s_wait_dscnt 0x0
	s_barrier_signal -1
	s_barrier_wait -1
	s_and_b32 s13, s10, vcc_lo
	s_delay_alu instid0(SALU_CYCLE_1)
	s_and_saveexec_b32 s12, s13
	s_cbranch_execz .LBB142_551
; %bb.550:                              ;   in Loop: Header=BB142_539 Depth=2
	ds_load_b64 v[42:43], v40 offset:1024
	ds_load_b64 v[80:81], v67
	s_wait_dscnt 0x0
	v_fmac_f64_e32 v[38:39], v[42:43], v[80:81]
.LBB142_551:                            ;   in Loop: Header=BB142_539 Depth=2
	s_or_b32 exec_lo, exec_lo, s12
	s_or_b32 s12, s11, 3
	s_delay_alu instid0(SALU_CYCLE_1) | instskip(SKIP_3) | instid1(SALU_CYCLE_1)
	v_cmp_eq_u32_e32 vcc_lo, s12, v65
	s_barrier_signal -1
	s_barrier_wait -1
	s_and_b32 s69, s10, vcc_lo
	s_and_saveexec_b32 s13, s69
	s_cbranch_execz .LBB142_553
; %bb.552:                              ;   in Loop: Header=BB142_539 Depth=2
	ds_load_b64 v[42:43], v69 offset:16640
	s_wait_dscnt 0x0
	v_mul_f64_e32 v[38:39], v[38:39], v[42:43]
	ds_store_b64 v67, v[38:39]
.LBB142_553:                            ;   in Loop: Header=BB142_539 Depth=2
	s_or_b32 exec_lo, exec_lo, s13
	v_cmp_lt_u32_e32 vcc_lo, s12, v65
	s_wait_dscnt 0x0
	s_barrier_signal -1
	s_barrier_wait -1
	s_and_b32 s13, s10, vcc_lo
	s_delay_alu instid0(SALU_CYCLE_1)
	s_and_saveexec_b32 s12, s13
	s_cbranch_execz .LBB142_538
; %bb.554:                              ;   in Loop: Header=BB142_539 Depth=2
	ds_load_b64 v[42:43], v40 offset:1536
	ds_load_b64 v[80:81], v67
	s_wait_dscnt 0x0
	v_fmac_f64_e32 v[38:39], v[42:43], v[80:81]
	s_branch .LBB142_538
.LBB142_555:                            ;   in Loop: Header=BB142_3 Depth=1
	s_and_saveexec_b32 s11, s35
; %bb.556:                              ;   in Loop: Header=BB142_3 Depth=1
	s_delay_alu instid0(VALU_DEP_3)
	v_xor_b32_e32 v39, 0x80000000, v39
	ds_store_b64 v68, v[38:39] offset:256
; %bb.557:                              ;   in Loop: Header=BB142_3 Depth=1
	s_or_b32 exec_lo, exec_lo, s11
	s_wait_dscnt 0x0
	s_barrier_signal -1
	s_barrier_wait -1
	s_barrier_signal -1
	s_barrier_wait -1
	s_and_saveexec_b32 s11, s14
	s_cbranch_execz .LBB142_559
; %bb.558:                              ;   in Loop: Header=BB142_3 Depth=1
	ds_load_b128 v[38:41], v1 offset:16640
	ds_load_b64 v[42:43], v1 offset:17160
	s_wait_dscnt 0x0
	v_mul_f64_e32 v[38:39], v[38:39], v[42:43]
	s_delay_alu instid0(VALU_DEP_1)
	v_mul_f64_e32 v[38:39], v[40:41], v[38:39]
	ds_store_b64 v1, v[38:39] offset:16648
.LBB142_559:                            ;   in Loop: Header=BB142_3 Depth=1
	s_or_b32 exec_lo, exec_lo, s11
	v_mov_b64_e32 v[38:39], 0
	s_wait_dscnt 0x0
	s_barrier_signal -1
	s_barrier_wait -1
	s_and_saveexec_b32 s11, s1
	s_cbranch_execz .LBB142_563
; %bb.560:                              ;   in Loop: Header=BB142_3 Depth=1
	ds_load_b64 v[38:39], v46 offset:16656
	ds_load_b64 v[40:41], v47 offset:16640
	s_wait_dscnt 0x0
	v_fma_f64 v[38:39], v[38:39], v[40:41], 0
	s_and_saveexec_b32 s12, s15
	s_cbranch_execz .LBB142_562
; %bb.561:                              ;   in Loop: Header=BB142_3 Depth=1
	ds_load_b64 v[40:41], v48 offset:17168
	ds_load_b64 v[42:43], v1 offset:16648
	s_wait_dscnt 0x0
	v_fmac_f64_e32 v[38:39], v[40:41], v[42:43]
.LBB142_562:                            ;   in Loop: Header=BB142_3 Depth=1
	s_or_b32 exec_lo, exec_lo, s12
	s_delay_alu instid0(VALU_DEP_1)
	v_xor_b32_e32 v39, 0x80000000, v39
.LBB142_563:                            ;   in Loop: Header=BB142_3 Depth=1
	s_or_b32 exec_lo, exec_lo, s11
	s_and_saveexec_b32 s11, s102
	s_cbranch_execz .LBB142_565
; %bb.564:                              ;   in Loop: Header=BB142_3 Depth=1
	ds_load_b64 v[40:41], v1 offset:17680
	s_wait_dscnt 0x0
	v_mul_f64_e32 v[38:39], v[38:39], v[40:41]
	ds_store_b64 v3, v[38:39]
.LBB142_565:                            ;   in Loop: Header=BB142_3 Depth=1
	s_or_b32 exec_lo, exec_lo, s11
	s_wait_dscnt 0x0
	s_barrier_signal -1
	s_barrier_wait -1
	s_and_saveexec_b32 s11, s103
	s_cbranch_execz .LBB142_567
; %bb.566:                              ;   in Loop: Header=BB142_3 Depth=1
	ds_load_b64 v[40:41], v1 offset:17688
	ds_load_b64 v[42:43], v3
	s_wait_dscnt 0x0
	v_fmac_f64_e32 v[38:39], v[40:41], v[42:43]
.LBB142_567:                            ;   in Loop: Header=BB142_3 Depth=1
	s_or_b32 exec_lo, exec_lo, s11
	s_barrier_signal -1
	s_barrier_wait -1
	s_and_saveexec_b32 s11, s103
	s_cbranch_execz .LBB142_569
; %bb.568:                              ;   in Loop: Header=BB142_3 Depth=1
	ds_load_b64 v[40:41], v1 offset:18200
	s_wait_dscnt 0x0
	v_mul_f64_e32 v[38:39], v[38:39], v[40:41]
	ds_store_b64 v3, v[38:39]
.LBB142_569:                            ;   in Loop: Header=BB142_3 Depth=1
	s_or_b32 exec_lo, exec_lo, s11
	s_wait_dscnt 0x0
	s_barrier_signal -1
	s_barrier_wait -1
	s_barrier_signal -1
	s_barrier_wait -1
	s_and_saveexec_b32 s11, s1
; %bb.570:                              ;   in Loop: Header=BB142_3 Depth=1
	s_delay_alu instid0(VALU_DEP_1)
	v_xor_b32_e32 v39, 0x80000000, v39
	ds_store_b64 v46, v[38:39] offset:16656
; %bb.571:                              ;   in Loop: Header=BB142_3 Depth=1
	s_or_b32 exec_lo, exec_lo, s11
	s_wait_dscnt 0x0
	s_barrier_signal -1
	s_barrier_wait -1
	s_barrier_signal -1
	s_barrier_wait -1
	s_and_saveexec_b32 s11, s14
	s_cbranch_execz .LBB142_573
; %bb.572:                              ;   in Loop: Header=BB142_3 Depth=1
	ds_load_b128 v[38:41], v1 offset:17680
	ds_load_b64 v[42:43], v1 offset:18200
	s_wait_dscnt 0x0
	v_mul_f64_e32 v[38:39], v[38:39], v[42:43]
	s_delay_alu instid0(VALU_DEP_1)
	v_mul_f64_e32 v[38:39], v[40:41], v[38:39]
	ds_store_b64 v1, v[38:39] offset:17688
.LBB142_573:                            ;   in Loop: Header=BB142_3 Depth=1
	s_or_b32 exec_lo, exec_lo, s11
	v_mov_b64_e32 v[38:39], 0
	s_wait_dscnt 0x0
	s_barrier_signal -1
	s_barrier_wait -1
	s_and_saveexec_b32 s11, s2
	s_cbranch_execz .LBB142_579
; %bb.574:                              ;   in Loop: Header=BB142_3 Depth=1
	ds_load_b64 v[38:39], v52 offset:16672
	ds_load_b64 v[40:41], v49 offset:16640
	s_wait_dscnt 0x0
	v_fma_f64 v[38:39], v[38:39], v[40:41], 0
	s_and_saveexec_b32 s12, s16
	s_cbranch_execnz .LBB142_1063
; %bb.575:                              ;   in Loop: Header=BB142_3 Depth=1
	s_or_b32 exec_lo, exec_lo, s12
	s_and_saveexec_b32 s12, s17
	s_cbranch_execnz .LBB142_1064
.LBB142_576:                            ;   in Loop: Header=BB142_3 Depth=1
	s_or_b32 exec_lo, exec_lo, s12
	s_and_saveexec_b32 s12, s1
	s_cbranch_execz .LBB142_578
.LBB142_577:                            ;   in Loop: Header=BB142_3 Depth=1
	ds_load_b64 v[40:41], v48 offset:18208
	ds_load_b64 v[42:43], v1 offset:16664
	s_wait_dscnt 0x0
	v_fmac_f64_e32 v[38:39], v[40:41], v[42:43]
.LBB142_578:                            ;   in Loop: Header=BB142_3 Depth=1
	s_or_b32 exec_lo, exec_lo, s12
	s_delay_alu instid0(VALU_DEP_1)
	v_xor_b32_e32 v39, 0x80000000, v39
.LBB142_579:                            ;   in Loop: Header=BB142_3 Depth=1
	s_or_b32 exec_lo, exec_lo, s11
	s_and_saveexec_b32 s11, s104
	s_cbranch_execz .LBB142_581
; %bb.580:                              ;   in Loop: Header=BB142_3 Depth=1
	ds_load_b64 v[40:41], v1 offset:18720
	s_wait_dscnt 0x0
	v_mul_f64_e32 v[38:39], v[38:39], v[40:41]
	ds_store_b64 v50, v[38:39]
.LBB142_581:                            ;   in Loop: Header=BB142_3 Depth=1
	s_or_b32 exec_lo, exec_lo, s11
	s_wait_dscnt 0x0
	s_barrier_signal -1
	s_barrier_wait -1
	s_and_saveexec_b32 s11, vcc_hi
	s_cbranch_execz .LBB142_583
; %bb.582:                              ;   in Loop: Header=BB142_3 Depth=1
	ds_load_b64 v[40:41], v51 offset:18720
	ds_load_b64 v[42:43], v50
	s_wait_dscnt 0x0
	v_fmac_f64_e32 v[38:39], v[40:41], v[42:43]
.LBB142_583:                            ;   in Loop: Header=BB142_3 Depth=1
	s_or_b32 exec_lo, exec_lo, s11
	s_barrier_signal -1
	s_barrier_wait -1
	s_and_saveexec_b32 s11, s36
	s_cbranch_execz .LBB142_585
; %bb.584:                              ;   in Loop: Header=BB142_3 Depth=1
	ds_load_b64 v[40:41], v1 offset:19240
	s_wait_dscnt 0x0
	v_mul_f64_e32 v[38:39], v[38:39], v[40:41]
	ds_store_b64 v50, v[38:39]
.LBB142_585:                            ;   in Loop: Header=BB142_3 Depth=1
	s_or_b32 exec_lo, exec_lo, s11
	s_wait_dscnt 0x0
	s_barrier_signal -1
	s_barrier_wait -1
	s_and_saveexec_b32 s11, s37
	s_cbranch_execz .LBB142_587
; %bb.586:                              ;   in Loop: Header=BB142_3 Depth=1
	ds_load_b64 v[40:41], v51 offset:19232
	ds_load_b64 v[42:43], v50
	s_wait_dscnt 0x0
	v_fmac_f64_e32 v[38:39], v[40:41], v[42:43]
.LBB142_587:                            ;   in Loop: Header=BB142_3 Depth=1
	s_or_b32 exec_lo, exec_lo, s11
	s_barrier_signal -1
	s_barrier_wait -1
	s_and_saveexec_b32 s11, s38
	s_cbranch_execz .LBB142_589
; %bb.588:                              ;   in Loop: Header=BB142_3 Depth=1
	ds_load_b64 v[40:41], v1 offset:19760
	s_wait_dscnt 0x0
	v_mul_f64_e32 v[38:39], v[38:39], v[40:41]
	ds_store_b64 v50, v[38:39]
.LBB142_589:                            ;   in Loop: Header=BB142_3 Depth=1
	s_or_b32 exec_lo, exec_lo, s11
	s_wait_dscnt 0x0
	s_barrier_signal -1
	s_barrier_wait -1
	s_and_saveexec_b32 s11, s39
	s_cbranch_execz .LBB142_591
; %bb.590:                              ;   in Loop: Header=BB142_3 Depth=1
	ds_load_b64 v[40:41], v1 offset:19768
	ds_load_b64 v[42:43], v50
	s_wait_dscnt 0x0
	v_fmac_f64_e32 v[38:39], v[40:41], v[42:43]
.LBB142_591:                            ;   in Loop: Header=BB142_3 Depth=1
	s_or_b32 exec_lo, exec_lo, s11
	s_barrier_signal -1
	s_barrier_wait -1
	s_and_saveexec_b32 s11, s39
	s_cbranch_execz .LBB142_593
; %bb.592:                              ;   in Loop: Header=BB142_3 Depth=1
	ds_load_b64 v[40:41], v1 offset:20280
	s_wait_dscnt 0x0
	v_mul_f64_e32 v[38:39], v[38:39], v[40:41]
	ds_store_b64 v50, v[38:39]
.LBB142_593:                            ;   in Loop: Header=BB142_3 Depth=1
	s_or_b32 exec_lo, exec_lo, s11
	s_wait_dscnt 0x0
	s_barrier_signal -1
	s_barrier_wait -1
	s_barrier_signal -1
	s_barrier_wait -1
	s_and_saveexec_b32 s11, s2
; %bb.594:                              ;   in Loop: Header=BB142_3 Depth=1
	s_delay_alu instid0(VALU_DEP_1)
	v_xor_b32_e32 v39, 0x80000000, v39
	ds_store_b64 v52, v[38:39] offset:16672
; %bb.595:                              ;   in Loop: Header=BB142_3 Depth=1
	s_or_b32 exec_lo, exec_lo, s11
	s_wait_dscnt 0x0
	s_barrier_signal -1
	s_barrier_wait -1
	s_barrier_signal -1
	s_barrier_wait -1
	s_and_saveexec_b32 s11, s14
	s_cbranch_execz .LBB142_597
; %bb.596:                              ;   in Loop: Header=BB142_3 Depth=1
	ds_load_b128 v[38:41], v1 offset:18720
	ds_load_b64 v[42:43], v1 offset:19240
	s_wait_dscnt 0x0
	v_mul_f64_e32 v[38:39], v[38:39], v[42:43]
	s_delay_alu instid0(VALU_DEP_1)
	v_mul_f64_e32 v[38:39], v[40:41], v[38:39]
	ds_store_b64 v1, v[38:39] offset:18728
.LBB142_597:                            ;   in Loop: Header=BB142_3 Depth=1
	s_or_b32 exec_lo, exec_lo, s11
	v_mov_b64_e32 v[38:39], 0
	s_wait_dscnt 0x0
	s_barrier_signal -1
	s_barrier_wait -1
	s_and_saveexec_b32 s11, s1
	s_cbranch_execz .LBB142_601
; %bb.598:                              ;   in Loop: Header=BB142_3 Depth=1
	ds_load_b64 v[38:39], v46 offset:18736
	ds_load_b64 v[40:41], v47 offset:18720
	s_wait_dscnt 0x0
	v_fma_f64 v[38:39], v[38:39], v[40:41], 0
	s_and_saveexec_b32 s12, s15
	s_cbranch_execz .LBB142_600
; %bb.599:                              ;   in Loop: Header=BB142_3 Depth=1
	ds_load_b64 v[40:41], v48 offset:19248
	ds_load_b64 v[42:43], v1 offset:18728
	s_wait_dscnt 0x0
	v_fmac_f64_e32 v[38:39], v[40:41], v[42:43]
.LBB142_600:                            ;   in Loop: Header=BB142_3 Depth=1
	s_or_b32 exec_lo, exec_lo, s12
	s_delay_alu instid0(VALU_DEP_1)
	v_xor_b32_e32 v39, 0x80000000, v39
.LBB142_601:                            ;   in Loop: Header=BB142_3 Depth=1
	s_or_b32 exec_lo, exec_lo, s11
	s_and_saveexec_b32 s11, s102
	s_cbranch_execz .LBB142_603
; %bb.602:                              ;   in Loop: Header=BB142_3 Depth=1
	ds_load_b64 v[40:41], v1 offset:19760
	s_wait_dscnt 0x0
	v_mul_f64_e32 v[38:39], v[38:39], v[40:41]
	ds_store_b64 v3, v[38:39]
.LBB142_603:                            ;   in Loop: Header=BB142_3 Depth=1
	s_or_b32 exec_lo, exec_lo, s11
	s_wait_dscnt 0x0
	s_barrier_signal -1
	s_barrier_wait -1
	s_and_saveexec_b32 s11, s103
	s_cbranch_execz .LBB142_605
; %bb.604:                              ;   in Loop: Header=BB142_3 Depth=1
	ds_load_b64 v[40:41], v1 offset:19768
	ds_load_b64 v[42:43], v3
	s_wait_dscnt 0x0
	v_fmac_f64_e32 v[38:39], v[40:41], v[42:43]
.LBB142_605:                            ;   in Loop: Header=BB142_3 Depth=1
	s_or_b32 exec_lo, exec_lo, s11
	s_barrier_signal -1
	s_barrier_wait -1
	s_and_saveexec_b32 s11, s103
	s_cbranch_execz .LBB142_607
; %bb.606:                              ;   in Loop: Header=BB142_3 Depth=1
	ds_load_b64 v[40:41], v1 offset:20280
	s_wait_dscnt 0x0
	v_mul_f64_e32 v[38:39], v[38:39], v[40:41]
	ds_store_b64 v3, v[38:39]
.LBB142_607:                            ;   in Loop: Header=BB142_3 Depth=1
	s_or_b32 exec_lo, exec_lo, s11
	s_wait_dscnt 0x0
	s_barrier_signal -1
	s_barrier_wait -1
	s_barrier_signal -1
	s_barrier_wait -1
	s_and_saveexec_b32 s11, s1
; %bb.608:                              ;   in Loop: Header=BB142_3 Depth=1
	s_delay_alu instid0(VALU_DEP_1)
	v_xor_b32_e32 v39, 0x80000000, v39
	ds_store_b64 v46, v[38:39] offset:18736
; %bb.609:                              ;   in Loop: Header=BB142_3 Depth=1
	s_or_b32 exec_lo, exec_lo, s11
	s_wait_dscnt 0x0
	s_barrier_signal -1
	s_barrier_wait -1
	s_barrier_signal -1
	s_barrier_wait -1
	s_and_saveexec_b32 s11, s14
	s_cbranch_execz .LBB142_611
; %bb.610:                              ;   in Loop: Header=BB142_3 Depth=1
	ds_load_b128 v[38:41], v1 offset:19760
	ds_load_b64 v[42:43], v1 offset:20280
	s_wait_dscnt 0x0
	v_mul_f64_e32 v[38:39], v[38:39], v[42:43]
	s_delay_alu instid0(VALU_DEP_1)
	v_mul_f64_e32 v[38:39], v[40:41], v[38:39]
	ds_store_b64 v1, v[38:39] offset:19768
.LBB142_611:                            ;   in Loop: Header=BB142_3 Depth=1
	s_or_b32 exec_lo, exec_lo, s11
	v_mov_b64_e32 v[38:39], 0
	s_wait_dscnt 0x0
	s_barrier_signal -1
	s_barrier_wait -1
	s_and_saveexec_b32 s11, s3
	s_cbranch_execz .LBB142_621
; %bb.612:                              ;   in Loop: Header=BB142_3 Depth=1
	ds_load_b64 v[38:39], v57 offset:16704
	ds_load_b64 v[40:41], v54 offset:16640
	s_wait_dscnt 0x0
	v_fma_f64 v[38:39], v[38:39], v[40:41], 0
	s_and_saveexec_b32 s12, s18
	s_cbranch_execnz .LBB142_1065
; %bb.613:                              ;   in Loop: Header=BB142_3 Depth=1
	s_or_b32 exec_lo, exec_lo, s12
	s_and_saveexec_b32 s12, s19
	s_cbranch_execnz .LBB142_1066
.LBB142_614:                            ;   in Loop: Header=BB142_3 Depth=1
	s_or_b32 exec_lo, exec_lo, s12
	s_and_saveexec_b32 s12, s20
	s_cbranch_execnz .LBB142_1067
.LBB142_615:                            ;   in Loop: Header=BB142_3 Depth=1
	s_or_b32 exec_lo, exec_lo, s12
	s_and_saveexec_b32 s12, s21
	s_cbranch_execnz .LBB142_1068
.LBB142_616:                            ;   in Loop: Header=BB142_3 Depth=1
	s_or_b32 exec_lo, exec_lo, s12
	s_and_saveexec_b32 s12, s22
	s_cbranch_execnz .LBB142_1069
.LBB142_617:                            ;   in Loop: Header=BB142_3 Depth=1
	s_or_b32 exec_lo, exec_lo, s12
	s_and_saveexec_b32 s12, s2
	s_cbranch_execnz .LBB142_1070
.LBB142_618:                            ;   in Loop: Header=BB142_3 Depth=1
	s_or_b32 exec_lo, exec_lo, s12
	s_and_saveexec_b32 s12, s17
	s_cbranch_execz .LBB142_620
.LBB142_619:                            ;   in Loop: Header=BB142_3 Depth=1
	ds_load_b64 v[40:41], v48 offset:20288
	ds_load_b64 v[42:43], v1 offset:16696
	s_wait_dscnt 0x0
	v_fmac_f64_e32 v[38:39], v[40:41], v[42:43]
.LBB142_620:                            ;   in Loop: Header=BB142_3 Depth=1
	s_or_b32 exec_lo, exec_lo, s12
	s_delay_alu instid0(VALU_DEP_1)
	v_xor_b32_e32 v39, 0x80000000, v39
.LBB142_621:                            ;   in Loop: Header=BB142_3 Depth=1
	s_or_b32 exec_lo, exec_lo, s11
	s_and_saveexec_b32 s11, s40
	s_cbranch_execz .LBB142_623
; %bb.622:                              ;   in Loop: Header=BB142_3 Depth=1
	ds_load_b64 v[40:41], v1 offset:20800
	s_wait_dscnt 0x0
	v_mul_f64_e32 v[38:39], v[38:39], v[40:41]
	ds_store_b64 v56, v[38:39]
.LBB142_623:                            ;   in Loop: Header=BB142_3 Depth=1
	s_or_b32 exec_lo, exec_lo, s11
	s_wait_dscnt 0x0
	s_barrier_signal -1
	s_barrier_wait -1
	s_and_saveexec_b32 s11, s41
	s_cbranch_execz .LBB142_625
; %bb.624:                              ;   in Loop: Header=BB142_3 Depth=1
	ds_load_b64 v[40:41], v55 offset:20800
	ds_load_b64 v[42:43], v56
	s_wait_dscnt 0x0
	v_fmac_f64_e32 v[38:39], v[40:41], v[42:43]
.LBB142_625:                            ;   in Loop: Header=BB142_3 Depth=1
	s_or_b32 exec_lo, exec_lo, s11
	s_barrier_signal -1
	s_barrier_wait -1
	s_and_saveexec_b32 s11, s42
	s_cbranch_execz .LBB142_627
; %bb.626:                              ;   in Loop: Header=BB142_3 Depth=1
	ds_load_b64 v[40:41], v1 offset:21320
	s_wait_dscnt 0x0
	v_mul_f64_e32 v[38:39], v[38:39], v[40:41]
	ds_store_b64 v56, v[38:39]
.LBB142_627:                            ;   in Loop: Header=BB142_3 Depth=1
	s_or_b32 exec_lo, exec_lo, s11
	s_wait_dscnt 0x0
	s_barrier_signal -1
	s_barrier_wait -1
	s_and_saveexec_b32 s11, s43
	s_cbranch_execz .LBB142_629
; %bb.628:                              ;   in Loop: Header=BB142_3 Depth=1
	ds_load_b64 v[40:41], v55 offset:21312
	ds_load_b64 v[42:43], v56
	s_wait_dscnt 0x0
	v_fmac_f64_e32 v[38:39], v[40:41], v[42:43]
.LBB142_629:                            ;   in Loop: Header=BB142_3 Depth=1
	s_or_b32 exec_lo, exec_lo, s11
	s_barrier_signal -1
	s_barrier_wait -1
	s_and_saveexec_b32 s11, s44
	s_cbranch_execz .LBB142_631
; %bb.630:                              ;   in Loop: Header=BB142_3 Depth=1
	ds_load_b64 v[40:41], v1 offset:21840
	s_wait_dscnt 0x0
	v_mul_f64_e32 v[38:39], v[38:39], v[40:41]
	ds_store_b64 v56, v[38:39]
.LBB142_631:                            ;   in Loop: Header=BB142_3 Depth=1
	s_or_b32 exec_lo, exec_lo, s11
	s_wait_dscnt 0x0
	s_barrier_signal -1
	s_barrier_wait -1
	s_and_saveexec_b32 s11, s45
	s_cbranch_execz .LBB142_633
; %bb.632:                              ;   in Loop: Header=BB142_3 Depth=1
	ds_load_b64 v[40:41], v55 offset:21824
	ds_load_b64 v[42:43], v56
	s_wait_dscnt 0x0
	v_fmac_f64_e32 v[38:39], v[40:41], v[42:43]
.LBB142_633:                            ;   in Loop: Header=BB142_3 Depth=1
	s_or_b32 exec_lo, exec_lo, s11
	s_barrier_signal -1
	s_barrier_wait -1
	s_and_saveexec_b32 s11, s46
	s_cbranch_execz .LBB142_635
; %bb.634:                              ;   in Loop: Header=BB142_3 Depth=1
	ds_load_b64 v[40:41], v1 offset:22360
	s_wait_dscnt 0x0
	v_mul_f64_e32 v[38:39], v[38:39], v[40:41]
	ds_store_b64 v56, v[38:39]
.LBB142_635:                            ;   in Loop: Header=BB142_3 Depth=1
	s_or_b32 exec_lo, exec_lo, s11
	s_wait_dscnt 0x0
	s_barrier_signal -1
	s_barrier_wait -1
	s_and_saveexec_b32 s11, s47
	s_cbranch_execz .LBB142_637
; %bb.636:                              ;   in Loop: Header=BB142_3 Depth=1
	ds_load_b64 v[40:41], v55 offset:22336
	ds_load_b64 v[42:43], v56
	s_wait_dscnt 0x0
	v_fmac_f64_e32 v[38:39], v[40:41], v[42:43]
.LBB142_637:                            ;   in Loop: Header=BB142_3 Depth=1
	s_or_b32 exec_lo, exec_lo, s11
	s_barrier_signal -1
	s_barrier_wait -1
	s_and_saveexec_b32 s11, s48
	s_cbranch_execz .LBB142_639
; %bb.638:                              ;   in Loop: Header=BB142_3 Depth=1
	ds_load_b64 v[40:41], v1 offset:22880
	s_wait_dscnt 0x0
	v_mul_f64_e32 v[38:39], v[38:39], v[40:41]
	ds_store_b64 v56, v[38:39]
.LBB142_639:                            ;   in Loop: Header=BB142_3 Depth=1
	s_or_b32 exec_lo, exec_lo, s11
	s_wait_dscnt 0x0
	s_barrier_signal -1
	s_barrier_wait -1
	s_and_saveexec_b32 s11, s49
	s_cbranch_execz .LBB142_641
; %bb.640:                              ;   in Loop: Header=BB142_3 Depth=1
	ds_load_b64 v[40:41], v55 offset:22848
	ds_load_b64 v[42:43], v56
	s_wait_dscnt 0x0
	v_fmac_f64_e32 v[38:39], v[40:41], v[42:43]
.LBB142_641:                            ;   in Loop: Header=BB142_3 Depth=1
	s_or_b32 exec_lo, exec_lo, s11
	s_barrier_signal -1
	s_barrier_wait -1
	s_and_saveexec_b32 s11, s50
	s_cbranch_execz .LBB142_643
; %bb.642:                              ;   in Loop: Header=BB142_3 Depth=1
	ds_load_b64 v[40:41], v1 offset:23400
	s_wait_dscnt 0x0
	v_mul_f64_e32 v[38:39], v[38:39], v[40:41]
	ds_store_b64 v56, v[38:39]
.LBB142_643:                            ;   in Loop: Header=BB142_3 Depth=1
	s_or_b32 exec_lo, exec_lo, s11
	s_wait_dscnt 0x0
	s_barrier_signal -1
	s_barrier_wait -1
	s_and_saveexec_b32 s11, s51
	s_cbranch_execz .LBB142_645
; %bb.644:                              ;   in Loop: Header=BB142_3 Depth=1
	ds_load_b64 v[40:41], v55 offset:23360
	ds_load_b64 v[42:43], v56
	s_wait_dscnt 0x0
	v_fmac_f64_e32 v[38:39], v[40:41], v[42:43]
.LBB142_645:                            ;   in Loop: Header=BB142_3 Depth=1
	s_or_b32 exec_lo, exec_lo, s11
	s_barrier_signal -1
	s_barrier_wait -1
	s_and_saveexec_b32 s11, s52
	s_cbranch_execz .LBB142_647
; %bb.646:                              ;   in Loop: Header=BB142_3 Depth=1
	ds_load_b64 v[40:41], v1 offset:23920
	s_wait_dscnt 0x0
	v_mul_f64_e32 v[38:39], v[38:39], v[40:41]
	ds_store_b64 v56, v[38:39]
.LBB142_647:                            ;   in Loop: Header=BB142_3 Depth=1
	s_or_b32 exec_lo, exec_lo, s11
	s_wait_dscnt 0x0
	s_barrier_signal -1
	s_barrier_wait -1
	s_and_saveexec_b32 s11, s53
	s_cbranch_execz .LBB142_649
; %bb.648:                              ;   in Loop: Header=BB142_3 Depth=1
	ds_load_b64 v[40:41], v1 offset:23928
	ds_load_b64 v[42:43], v56
	s_wait_dscnt 0x0
	v_fmac_f64_e32 v[38:39], v[40:41], v[42:43]
.LBB142_649:                            ;   in Loop: Header=BB142_3 Depth=1
	s_or_b32 exec_lo, exec_lo, s11
	s_barrier_signal -1
	s_barrier_wait -1
	s_and_saveexec_b32 s11, s53
	s_cbranch_execz .LBB142_651
; %bb.650:                              ;   in Loop: Header=BB142_3 Depth=1
	ds_load_b64 v[40:41], v1 offset:24440
	s_wait_dscnt 0x0
	v_mul_f64_e32 v[38:39], v[38:39], v[40:41]
	ds_store_b64 v56, v[38:39]
.LBB142_651:                            ;   in Loop: Header=BB142_3 Depth=1
	s_or_b32 exec_lo, exec_lo, s11
	s_wait_dscnt 0x0
	s_barrier_signal -1
	s_barrier_wait -1
	s_barrier_signal -1
	s_barrier_wait -1
	s_and_saveexec_b32 s11, s3
; %bb.652:                              ;   in Loop: Header=BB142_3 Depth=1
	s_delay_alu instid0(VALU_DEP_1)
	v_xor_b32_e32 v39, 0x80000000, v39
	ds_store_b64 v57, v[38:39] offset:16704
; %bb.653:                              ;   in Loop: Header=BB142_3 Depth=1
	s_or_b32 exec_lo, exec_lo, s11
	s_wait_dscnt 0x0
	s_barrier_signal -1
	s_barrier_wait -1
	s_barrier_signal -1
	s_barrier_wait -1
	s_and_saveexec_b32 s11, s14
	s_cbranch_execz .LBB142_655
; %bb.654:                              ;   in Loop: Header=BB142_3 Depth=1
	ds_load_b128 v[38:41], v1 offset:20800
	ds_load_b64 v[42:43], v1 offset:21320
	s_wait_dscnt 0x0
	v_mul_f64_e32 v[38:39], v[38:39], v[42:43]
	s_delay_alu instid0(VALU_DEP_1)
	v_mul_f64_e32 v[38:39], v[40:41], v[38:39]
	ds_store_b64 v1, v[38:39] offset:20808
.LBB142_655:                            ;   in Loop: Header=BB142_3 Depth=1
	s_or_b32 exec_lo, exec_lo, s11
	v_mov_b64_e32 v[38:39], 0
	s_wait_dscnt 0x0
	s_barrier_signal -1
	s_barrier_wait -1
	s_and_saveexec_b32 s11, s1
	s_cbranch_execz .LBB142_659
; %bb.656:                              ;   in Loop: Header=BB142_3 Depth=1
	ds_load_b64 v[38:39], v46 offset:20816
	ds_load_b64 v[40:41], v47 offset:20800
	s_wait_dscnt 0x0
	v_fma_f64 v[38:39], v[38:39], v[40:41], 0
	s_and_saveexec_b32 s12, s15
	s_cbranch_execz .LBB142_658
; %bb.657:                              ;   in Loop: Header=BB142_3 Depth=1
	ds_load_b64 v[40:41], v48 offset:21328
	ds_load_b64 v[42:43], v1 offset:20808
	s_wait_dscnt 0x0
	v_fmac_f64_e32 v[38:39], v[40:41], v[42:43]
.LBB142_658:                            ;   in Loop: Header=BB142_3 Depth=1
	s_or_b32 exec_lo, exec_lo, s12
	s_delay_alu instid0(VALU_DEP_1)
	v_xor_b32_e32 v39, 0x80000000, v39
.LBB142_659:                            ;   in Loop: Header=BB142_3 Depth=1
	s_or_b32 exec_lo, exec_lo, s11
	s_and_saveexec_b32 s11, s102
	s_cbranch_execz .LBB142_661
; %bb.660:                              ;   in Loop: Header=BB142_3 Depth=1
	ds_load_b64 v[40:41], v1 offset:21840
	s_wait_dscnt 0x0
	v_mul_f64_e32 v[38:39], v[38:39], v[40:41]
	ds_store_b64 v3, v[38:39]
.LBB142_661:                            ;   in Loop: Header=BB142_3 Depth=1
	s_or_b32 exec_lo, exec_lo, s11
	s_wait_dscnt 0x0
	s_barrier_signal -1
	s_barrier_wait -1
	s_and_saveexec_b32 s11, s103
	s_cbranch_execz .LBB142_663
; %bb.662:                              ;   in Loop: Header=BB142_3 Depth=1
	ds_load_b64 v[40:41], v1 offset:21848
	ds_load_b64 v[42:43], v3
	s_wait_dscnt 0x0
	v_fmac_f64_e32 v[38:39], v[40:41], v[42:43]
.LBB142_663:                            ;   in Loop: Header=BB142_3 Depth=1
	s_or_b32 exec_lo, exec_lo, s11
	s_barrier_signal -1
	s_barrier_wait -1
	s_and_saveexec_b32 s11, s103
	s_cbranch_execz .LBB142_665
; %bb.664:                              ;   in Loop: Header=BB142_3 Depth=1
	ds_load_b64 v[40:41], v1 offset:22360
	s_wait_dscnt 0x0
	v_mul_f64_e32 v[38:39], v[38:39], v[40:41]
	ds_store_b64 v3, v[38:39]
.LBB142_665:                            ;   in Loop: Header=BB142_3 Depth=1
	s_or_b32 exec_lo, exec_lo, s11
	s_wait_dscnt 0x0
	s_barrier_signal -1
	s_barrier_wait -1
	s_barrier_signal -1
	s_barrier_wait -1
	s_and_saveexec_b32 s11, s1
; %bb.666:                              ;   in Loop: Header=BB142_3 Depth=1
	s_delay_alu instid0(VALU_DEP_1)
	v_xor_b32_e32 v39, 0x80000000, v39
	ds_store_b64 v46, v[38:39] offset:20816
; %bb.667:                              ;   in Loop: Header=BB142_3 Depth=1
	s_or_b32 exec_lo, exec_lo, s11
	s_wait_dscnt 0x0
	s_barrier_signal -1
	s_barrier_wait -1
	s_barrier_signal -1
	s_barrier_wait -1
	s_and_saveexec_b32 s11, s14
	s_cbranch_execz .LBB142_669
; %bb.668:                              ;   in Loop: Header=BB142_3 Depth=1
	ds_load_b128 v[38:41], v1 offset:21840
	ds_load_b64 v[42:43], v1 offset:22360
	s_wait_dscnt 0x0
	v_mul_f64_e32 v[38:39], v[38:39], v[42:43]
	s_delay_alu instid0(VALU_DEP_1)
	v_mul_f64_e32 v[38:39], v[40:41], v[38:39]
	ds_store_b64 v1, v[38:39] offset:21848
.LBB142_669:                            ;   in Loop: Header=BB142_3 Depth=1
	s_or_b32 exec_lo, exec_lo, s11
	v_mov_b64_e32 v[38:39], 0
	s_wait_dscnt 0x0
	s_barrier_signal -1
	s_barrier_wait -1
	s_and_saveexec_b32 s11, s2
	s_cbranch_execz .LBB142_675
; %bb.670:                              ;   in Loop: Header=BB142_3 Depth=1
	ds_load_b64 v[38:39], v52 offset:20832
	ds_load_b64 v[40:41], v49 offset:20800
	s_wait_dscnt 0x0
	v_fma_f64 v[38:39], v[38:39], v[40:41], 0
	s_and_saveexec_b32 s12, s16
	s_cbranch_execnz .LBB142_1071
; %bb.671:                              ;   in Loop: Header=BB142_3 Depth=1
	s_or_b32 exec_lo, exec_lo, s12
	s_and_saveexec_b32 s12, s17
	s_cbranch_execnz .LBB142_1072
.LBB142_672:                            ;   in Loop: Header=BB142_3 Depth=1
	s_or_b32 exec_lo, exec_lo, s12
	s_and_saveexec_b32 s12, s1
	s_cbranch_execz .LBB142_674
.LBB142_673:                            ;   in Loop: Header=BB142_3 Depth=1
	ds_load_b64 v[40:41], v48 offset:22368
	ds_load_b64 v[42:43], v1 offset:20824
	s_wait_dscnt 0x0
	v_fmac_f64_e32 v[38:39], v[40:41], v[42:43]
.LBB142_674:                            ;   in Loop: Header=BB142_3 Depth=1
	s_or_b32 exec_lo, exec_lo, s12
	s_delay_alu instid0(VALU_DEP_1)
	v_xor_b32_e32 v39, 0x80000000, v39
.LBB142_675:                            ;   in Loop: Header=BB142_3 Depth=1
	s_or_b32 exec_lo, exec_lo, s11
	s_and_saveexec_b32 s11, s104
	s_cbranch_execz .LBB142_677
; %bb.676:                              ;   in Loop: Header=BB142_3 Depth=1
	ds_load_b64 v[40:41], v1 offset:22880
	s_wait_dscnt 0x0
	v_mul_f64_e32 v[38:39], v[38:39], v[40:41]
	ds_store_b64 v50, v[38:39]
.LBB142_677:                            ;   in Loop: Header=BB142_3 Depth=1
	s_or_b32 exec_lo, exec_lo, s11
	s_wait_dscnt 0x0
	s_barrier_signal -1
	s_barrier_wait -1
	s_and_saveexec_b32 s11, vcc_hi
	s_cbranch_execz .LBB142_679
; %bb.678:                              ;   in Loop: Header=BB142_3 Depth=1
	ds_load_b64 v[40:41], v51 offset:22880
	ds_load_b64 v[42:43], v50
	s_wait_dscnt 0x0
	v_fmac_f64_e32 v[38:39], v[40:41], v[42:43]
.LBB142_679:                            ;   in Loop: Header=BB142_3 Depth=1
	s_or_b32 exec_lo, exec_lo, s11
	s_barrier_signal -1
	s_barrier_wait -1
	s_and_saveexec_b32 s11, s36
	s_cbranch_execz .LBB142_681
; %bb.680:                              ;   in Loop: Header=BB142_3 Depth=1
	ds_load_b64 v[40:41], v1 offset:23400
	s_wait_dscnt 0x0
	v_mul_f64_e32 v[38:39], v[38:39], v[40:41]
	ds_store_b64 v50, v[38:39]
.LBB142_681:                            ;   in Loop: Header=BB142_3 Depth=1
	s_or_b32 exec_lo, exec_lo, s11
	s_wait_dscnt 0x0
	s_barrier_signal -1
	s_barrier_wait -1
	s_and_saveexec_b32 s11, s37
	s_cbranch_execz .LBB142_683
; %bb.682:                              ;   in Loop: Header=BB142_3 Depth=1
	ds_load_b64 v[40:41], v51 offset:23392
	ds_load_b64 v[42:43], v50
	s_wait_dscnt 0x0
	v_fmac_f64_e32 v[38:39], v[40:41], v[42:43]
.LBB142_683:                            ;   in Loop: Header=BB142_3 Depth=1
	s_or_b32 exec_lo, exec_lo, s11
	s_barrier_signal -1
	s_barrier_wait -1
	s_and_saveexec_b32 s11, s38
	s_cbranch_execz .LBB142_685
; %bb.684:                              ;   in Loop: Header=BB142_3 Depth=1
	ds_load_b64 v[40:41], v1 offset:23920
	s_wait_dscnt 0x0
	v_mul_f64_e32 v[38:39], v[38:39], v[40:41]
	ds_store_b64 v50, v[38:39]
.LBB142_685:                            ;   in Loop: Header=BB142_3 Depth=1
	s_or_b32 exec_lo, exec_lo, s11
	s_wait_dscnt 0x0
	s_barrier_signal -1
	s_barrier_wait -1
	s_and_saveexec_b32 s11, s39
	s_cbranch_execz .LBB142_687
; %bb.686:                              ;   in Loop: Header=BB142_3 Depth=1
	ds_load_b64 v[40:41], v1 offset:23928
	ds_load_b64 v[42:43], v50
	s_wait_dscnt 0x0
	v_fmac_f64_e32 v[38:39], v[40:41], v[42:43]
.LBB142_687:                            ;   in Loop: Header=BB142_3 Depth=1
	s_or_b32 exec_lo, exec_lo, s11
	s_barrier_signal -1
	s_barrier_wait -1
	s_and_saveexec_b32 s11, s39
	s_cbranch_execz .LBB142_689
; %bb.688:                              ;   in Loop: Header=BB142_3 Depth=1
	ds_load_b64 v[40:41], v1 offset:24440
	s_wait_dscnt 0x0
	v_mul_f64_e32 v[38:39], v[38:39], v[40:41]
	ds_store_b64 v50, v[38:39]
.LBB142_689:                            ;   in Loop: Header=BB142_3 Depth=1
	s_or_b32 exec_lo, exec_lo, s11
	s_wait_dscnt 0x0
	s_barrier_signal -1
	s_barrier_wait -1
	s_barrier_signal -1
	s_barrier_wait -1
	s_and_saveexec_b32 s11, s2
; %bb.690:                              ;   in Loop: Header=BB142_3 Depth=1
	s_delay_alu instid0(VALU_DEP_1)
	v_xor_b32_e32 v39, 0x80000000, v39
	ds_store_b64 v52, v[38:39] offset:20832
; %bb.691:                              ;   in Loop: Header=BB142_3 Depth=1
	s_or_b32 exec_lo, exec_lo, s11
	s_wait_dscnt 0x0
	s_barrier_signal -1
	s_barrier_wait -1
	s_barrier_signal -1
	s_barrier_wait -1
	s_and_saveexec_b32 s11, s14
	s_cbranch_execz .LBB142_693
; %bb.692:                              ;   in Loop: Header=BB142_3 Depth=1
	ds_load_b128 v[38:41], v1 offset:22880
	ds_load_b64 v[42:43], v1 offset:23400
	s_wait_dscnt 0x0
	v_mul_f64_e32 v[38:39], v[38:39], v[42:43]
	s_delay_alu instid0(VALU_DEP_1)
	v_mul_f64_e32 v[38:39], v[40:41], v[38:39]
	ds_store_b64 v1, v[38:39] offset:22888
.LBB142_693:                            ;   in Loop: Header=BB142_3 Depth=1
	s_or_b32 exec_lo, exec_lo, s11
	v_mov_b64_e32 v[38:39], 0
	s_wait_dscnt 0x0
	s_barrier_signal -1
	s_barrier_wait -1
	s_and_saveexec_b32 s11, s1
	s_cbranch_execz .LBB142_697
; %bb.694:                              ;   in Loop: Header=BB142_3 Depth=1
	ds_load_b64 v[38:39], v46 offset:22896
	ds_load_b64 v[40:41], v47 offset:22880
	s_wait_dscnt 0x0
	v_fma_f64 v[38:39], v[38:39], v[40:41], 0
	s_and_saveexec_b32 s12, s15
	s_cbranch_execz .LBB142_696
; %bb.695:                              ;   in Loop: Header=BB142_3 Depth=1
	ds_load_b64 v[40:41], v48 offset:23408
	ds_load_b64 v[42:43], v1 offset:22888
	s_wait_dscnt 0x0
	v_fmac_f64_e32 v[38:39], v[40:41], v[42:43]
.LBB142_696:                            ;   in Loop: Header=BB142_3 Depth=1
	s_or_b32 exec_lo, exec_lo, s12
	s_delay_alu instid0(VALU_DEP_1)
	v_xor_b32_e32 v39, 0x80000000, v39
.LBB142_697:                            ;   in Loop: Header=BB142_3 Depth=1
	s_or_b32 exec_lo, exec_lo, s11
	s_and_saveexec_b32 s11, s102
	s_cbranch_execz .LBB142_699
; %bb.698:                              ;   in Loop: Header=BB142_3 Depth=1
	ds_load_b64 v[40:41], v1 offset:23920
	s_wait_dscnt 0x0
	v_mul_f64_e32 v[38:39], v[38:39], v[40:41]
	ds_store_b64 v3, v[38:39]
.LBB142_699:                            ;   in Loop: Header=BB142_3 Depth=1
	s_or_b32 exec_lo, exec_lo, s11
	s_wait_dscnt 0x0
	s_barrier_signal -1
	s_barrier_wait -1
	s_and_saveexec_b32 s11, s103
	s_cbranch_execz .LBB142_701
; %bb.700:                              ;   in Loop: Header=BB142_3 Depth=1
	ds_load_b64 v[40:41], v1 offset:23928
	ds_load_b64 v[42:43], v3
	s_wait_dscnt 0x0
	v_fmac_f64_e32 v[38:39], v[40:41], v[42:43]
.LBB142_701:                            ;   in Loop: Header=BB142_3 Depth=1
	s_or_b32 exec_lo, exec_lo, s11
	s_barrier_signal -1
	s_barrier_wait -1
	s_and_saveexec_b32 s11, s103
	s_cbranch_execz .LBB142_703
; %bb.702:                              ;   in Loop: Header=BB142_3 Depth=1
	ds_load_b64 v[40:41], v1 offset:24440
	s_wait_dscnt 0x0
	v_mul_f64_e32 v[38:39], v[38:39], v[40:41]
	ds_store_b64 v3, v[38:39]
.LBB142_703:                            ;   in Loop: Header=BB142_3 Depth=1
	s_or_b32 exec_lo, exec_lo, s11
	s_wait_dscnt 0x0
	s_barrier_signal -1
	s_barrier_wait -1
	s_barrier_signal -1
	s_barrier_wait -1
	s_and_saveexec_b32 s11, s1
; %bb.704:                              ;   in Loop: Header=BB142_3 Depth=1
	s_delay_alu instid0(VALU_DEP_1)
	v_xor_b32_e32 v39, 0x80000000, v39
	ds_store_b64 v46, v[38:39] offset:22896
; %bb.705:                              ;   in Loop: Header=BB142_3 Depth=1
	s_or_b32 exec_lo, exec_lo, s11
	s_wait_dscnt 0x0
	s_barrier_signal -1
	s_barrier_wait -1
	s_barrier_signal -1
	s_barrier_wait -1
	s_and_saveexec_b32 s11, s14
	s_cbranch_execz .LBB142_707
; %bb.706:                              ;   in Loop: Header=BB142_3 Depth=1
	ds_load_b128 v[38:41], v1 offset:23920
	ds_load_b64 v[42:43], v1 offset:24440
	s_wait_dscnt 0x0
	v_mul_f64_e32 v[38:39], v[38:39], v[42:43]
	s_delay_alu instid0(VALU_DEP_1)
	v_mul_f64_e32 v[38:39], v[40:41], v[38:39]
	ds_store_b64 v1, v[38:39] offset:23928
.LBB142_707:                            ;   in Loop: Header=BB142_3 Depth=1
	s_or_b32 exec_lo, exec_lo, s11
	v_mov_b64_e32 v[38:39], 0
	s_wait_dscnt 0x0
	s_barrier_signal -1
	s_barrier_wait -1
	s_and_saveexec_b32 s69, s4
	s_cbranch_execz .LBB142_735
; %bb.708:                              ;   in Loop: Header=BB142_3 Depth=1
	ds_load_b64 v[38:39], v62 offset:16768
	ds_load_b64 v[40:41], v59 offset:16640
	s_wait_dscnt 0x0
	v_fma_f64 v[38:39], v[38:39], v[40:41], 0
	s_mov_b32 s11, exec_lo
	v_readlane_b32 s12, v86, 29
	s_and_b32 s12, s11, s12
	s_delay_alu instid0(SALU_CYCLE_1)
	s_mov_b32 exec_lo, s12
	s_cbranch_execz .LBB142_710
; %bb.709:                              ;   in Loop: Header=BB142_3 Depth=1
	ds_load_b64 v[40:41], v63 offset:17280
	ds_load_b64 v[42:43], v59 offset:16648
	s_wait_dscnt 0x0
	v_fmac_f64_e32 v[38:39], v[40:41], v[42:43]
.LBB142_710:                            ;   in Loop: Header=BB142_3 Depth=1
	s_or_b32 exec_lo, exec_lo, s11
	s_delay_alu instid0(SALU_CYCLE_1) | instskip(SKIP_2) | instid1(SALU_CYCLE_1)
	s_mov_b32 s11, exec_lo
	v_readlane_b32 s12, v86, 30
	s_and_b32 s12, s11, s12
	s_mov_b32 exec_lo, s12
	s_cbranch_execz .LBB142_712
; %bb.711:                              ;   in Loop: Header=BB142_3 Depth=1
	ds_load_b64 v[40:41], v63 offset:17792
	ds_load_b64 v[42:43], v59 offset:16656
	s_wait_dscnt 0x0
	v_fmac_f64_e32 v[38:39], v[40:41], v[42:43]
.LBB142_712:                            ;   in Loop: Header=BB142_3 Depth=1
	s_or_b32 exec_lo, exec_lo, s11
	s_delay_alu instid0(SALU_CYCLE_1) | instskip(SKIP_2) | instid1(SALU_CYCLE_1)
	s_mov_b32 s11, exec_lo
	v_readlane_b32 s12, v86, 31
	s_and_b32 s12, s11, s12
	;; [unrolled: 13-line block ×4, first 2 shown]
	s_mov_b32 exec_lo, s12
	s_cbranch_execz .LBB142_718
; %bb.717:                              ;   in Loop: Header=BB142_3 Depth=1
	ds_load_b64 v[40:41], v63 offset:19328
	ds_load_b64 v[42:43], v59 offset:16680
	s_wait_dscnt 0x0
	v_fmac_f64_e32 v[38:39], v[40:41], v[42:43]
.LBB142_718:                            ;   in Loop: Header=BB142_3 Depth=1
	s_or_b32 exec_lo, exec_lo, s11
	s_and_saveexec_b32 s11, s7
	s_cbranch_execz .LBB142_720
; %bb.719:                              ;   in Loop: Header=BB142_3 Depth=1
	ds_load_b64 v[40:41], v63 offset:19840
	ds_load_b64 v[42:43], v59 offset:16688
	s_wait_dscnt 0x0
	v_fmac_f64_e32 v[38:39], v[40:41], v[42:43]
.LBB142_720:                            ;   in Loop: Header=BB142_3 Depth=1
	s_or_b32 exec_lo, exec_lo, s11
	s_delay_alu instid0(SALU_CYCLE_1) | instskip(SKIP_2) | instid1(SALU_CYCLE_1)
	s_mov_b32 s11, exec_lo
	v_readlane_b32 s12, v85, 2
	s_and_b32 s12, s11, s12
	s_mov_b32 exec_lo, s12
	s_cbranch_execz .LBB142_722
; %bb.721:                              ;   in Loop: Header=BB142_3 Depth=1
	ds_load_b64 v[40:41], v63 offset:20352
	ds_load_b64 v[42:43], v59 offset:16696
	s_wait_dscnt 0x0
	v_fmac_f64_e32 v[38:39], v[40:41], v[42:43]
.LBB142_722:                            ;   in Loop: Header=BB142_3 Depth=1
	s_or_b32 exec_lo, exec_lo, s11
	s_and_saveexec_b32 s11, s6
	s_cbranch_execz .LBB142_724
; %bb.723:                              ;   in Loop: Header=BB142_3 Depth=1
	ds_load_b64 v[40:41], v62 offset:20864
	ds_load_b64 v[42:43], v59 offset:16704
	s_wait_dscnt 0x0
	v_fmac_f64_e32 v[38:39], v[40:41], v[42:43]
.LBB142_724:                            ;   in Loop: Header=BB142_3 Depth=1
	s_or_b32 exec_lo, exec_lo, s11
	s_delay_alu instid0(SALU_CYCLE_1) | instskip(SKIP_2) | instid1(SALU_CYCLE_1)
	s_mov_b32 s11, exec_lo
	v_readlane_b32 s12, v85, 3
	s_and_b32 s12, s11, s12
	s_mov_b32 exec_lo, s12
	s_cbranch_execz .LBB142_726
; %bb.725:                              ;   in Loop: Header=BB142_3 Depth=1
	ds_load_b64 v[40:41], v63 offset:21376
	ds_load_b64 v[42:43], v59 offset:16712
	s_wait_dscnt 0x0
	v_fmac_f64_e32 v[38:39], v[40:41], v[42:43]
.LBB142_726:                            ;   in Loop: Header=BB142_3 Depth=1
	s_or_b32 exec_lo, exec_lo, s11
	s_and_saveexec_b32 s11, s8
	s_cbranch_execz .LBB142_728
; %bb.727:                              ;   in Loop: Header=BB142_3 Depth=1
	ds_load_b64 v[40:41], v63 offset:21888
	ds_load_b64 v[42:43], v59 offset:16720
	s_wait_dscnt 0x0
	v_fmac_f64_e32 v[38:39], v[40:41], v[42:43]
.LBB142_728:                            ;   in Loop: Header=BB142_3 Depth=1
	s_or_b32 exec_lo, exec_lo, s11
	s_delay_alu instid0(SALU_CYCLE_1) | instskip(SKIP_2) | instid1(SALU_CYCLE_1)
	s_mov_b32 s11, exec_lo
	v_readlane_b32 s12, v85, 4
	s_and_b32 s12, s11, s12
	s_mov_b32 exec_lo, s12
	s_cbranch_execnz .LBB142_1073
; %bb.729:                              ;   in Loop: Header=BB142_3 Depth=1
	s_or_b32 exec_lo, exec_lo, s11
	s_and_saveexec_b32 s11, s3
	s_cbranch_execnz .LBB142_1074
.LBB142_730:                            ;   in Loop: Header=BB142_3 Depth=1
	s_or_b32 exec_lo, exec_lo, s11
	s_and_saveexec_b32 s11, s19
	s_cbranch_execnz .LBB142_1075
.LBB142_731:                            ;   in Loop: Header=BB142_3 Depth=1
	s_or_b32 exec_lo, exec_lo, s11
	s_and_saveexec_b32 s11, s21
	s_cbranch_execnz .LBB142_1076
.LBB142_732:                            ;   in Loop: Header=BB142_3 Depth=1
	s_or_b32 exec_lo, exec_lo, s11
	s_and_saveexec_b32 s11, s2
	s_cbranch_execz .LBB142_734
.LBB142_733:                            ;   in Loop: Header=BB142_3 Depth=1
	ds_load_b64 v[40:41], v48 offset:24448
	ds_load_b64 v[42:43], v1 offset:16760
	s_wait_dscnt 0x0
	v_fmac_f64_e32 v[38:39], v[40:41], v[42:43]
.LBB142_734:                            ;   in Loop: Header=BB142_3 Depth=1
	s_or_b32 exec_lo, exec_lo, s11
	s_delay_alu instid0(VALU_DEP_1)
	v_xor_b32_e32 v39, 0x80000000, v39
.LBB142_735:                            ;   in Loop: Header=BB142_3 Depth=1
	s_or_b32 exec_lo, exec_lo, s69
	s_delay_alu instid0(SALU_CYCLE_1) | instskip(SKIP_2) | instid1(SALU_CYCLE_1)
	s_mov_b32 s11, exec_lo
	v_readlane_b32 s12, v86, 1
	s_and_b32 s12, s11, s12
	s_mov_b32 exec_lo, s12
	s_cbranch_execz .LBB142_737
; %bb.736:                              ;   in Loop: Header=BB142_3 Depth=1
	ds_load_b64 v[40:41], v1 offset:24960
	s_wait_dscnt 0x0
	v_mul_f64_e32 v[38:39], v[38:39], v[40:41]
	ds_store_b64 v61, v[38:39]
.LBB142_737:                            ;   in Loop: Header=BB142_3 Depth=1
	s_or_b32 exec_lo, exec_lo, s11
	s_wait_dscnt 0x0
	s_barrier_signal -1
	s_barrier_wait -1
	s_mov_b32 s11, exec_lo
	v_readlane_b32 s12, v86, 2
	s_and_b32 s12, s11, s12
	s_delay_alu instid0(SALU_CYCLE_1)
	s_mov_b32 exec_lo, s12
	s_cbranch_execz .LBB142_739
; %bb.738:                              ;   in Loop: Header=BB142_3 Depth=1
	ds_load_b64 v[40:41], v60 offset:24960
	ds_load_b64 v[42:43], v61
	s_wait_dscnt 0x0
	v_fmac_f64_e32 v[38:39], v[40:41], v[42:43]
.LBB142_739:                            ;   in Loop: Header=BB142_3 Depth=1
	s_or_b32 exec_lo, exec_lo, s11
	s_barrier_signal -1
	s_barrier_wait -1
	s_mov_b32 s11, exec_lo
	v_readlane_b32 s12, v86, 3
	s_and_b32 s12, s11, s12
	s_delay_alu instid0(SALU_CYCLE_1)
	s_mov_b32 exec_lo, s12
	s_cbranch_execz .LBB142_741
; %bb.740:                              ;   in Loop: Header=BB142_3 Depth=1
	ds_load_b64 v[40:41], v1 offset:25480
	s_wait_dscnt 0x0
	v_mul_f64_e32 v[38:39], v[38:39], v[40:41]
	ds_store_b64 v61, v[38:39]
.LBB142_741:                            ;   in Loop: Header=BB142_3 Depth=1
	s_or_b32 exec_lo, exec_lo, s11
	s_wait_dscnt 0x0
	s_barrier_signal -1
	s_barrier_wait -1
	s_mov_b32 s11, exec_lo
	v_readlane_b32 s12, v86, 4
	s_and_b32 s12, s11, s12
	s_delay_alu instid0(SALU_CYCLE_1)
	s_mov_b32 exec_lo, s12
	s_cbranch_execz .LBB142_743
; %bb.742:                              ;   in Loop: Header=BB142_3 Depth=1
	ds_load_b64 v[40:41], v60 offset:25472
	ds_load_b64 v[42:43], v61
	s_wait_dscnt 0x0
	v_fmac_f64_e32 v[38:39], v[40:41], v[42:43]
.LBB142_743:                            ;   in Loop: Header=BB142_3 Depth=1
	s_or_b32 exec_lo, exec_lo, s11
	s_barrier_signal -1
	s_barrier_wait -1
	s_mov_b32 s11, exec_lo
	v_readlane_b32 s12, v86, 5
	s_and_b32 s12, s11, s12
	s_delay_alu instid0(SALU_CYCLE_1)
	;; [unrolled: 31-line block ×3, first 2 shown]
	s_mov_b32 exec_lo, s12
	s_cbranch_execz .LBB142_749
; %bb.748:                              ;   in Loop: Header=BB142_3 Depth=1
	ds_load_b64 v[40:41], v1 offset:26520
	s_wait_dscnt 0x0
	v_mul_f64_e32 v[38:39], v[38:39], v[40:41]
	ds_store_b64 v61, v[38:39]
.LBB142_749:                            ;   in Loop: Header=BB142_3 Depth=1
	s_or_b32 exec_lo, exec_lo, s11
	s_wait_dscnt 0x0
	s_barrier_signal -1
	s_barrier_wait -1
	s_and_saveexec_b32 s11, s67
	s_cbranch_execz .LBB142_751
; %bb.750:                              ;   in Loop: Header=BB142_3 Depth=1
	ds_load_b64 v[40:41], v60 offset:26496
	ds_load_b64 v[42:43], v61
	s_wait_dscnt 0x0
	v_fmac_f64_e32 v[38:39], v[40:41], v[42:43]
.LBB142_751:                            ;   in Loop: Header=BB142_3 Depth=1
	s_or_b32 exec_lo, exec_lo, s11
	s_barrier_signal -1
	s_barrier_wait -1
	s_and_saveexec_b32 s11, s68
	s_cbranch_execz .LBB142_753
; %bb.752:                              ;   in Loop: Header=BB142_3 Depth=1
	ds_load_b64 v[40:41], v1 offset:27040
	s_wait_dscnt 0x0
	v_mul_f64_e32 v[38:39], v[38:39], v[40:41]
	ds_store_b64 v61, v[38:39]
.LBB142_753:                            ;   in Loop: Header=BB142_3 Depth=1
	s_or_b32 exec_lo, exec_lo, s11
	s_wait_dscnt 0x0
	s_barrier_signal -1
	s_barrier_wait -1
	s_and_saveexec_b32 s11, s9
	s_cbranch_execz .LBB142_755
; %bb.754:                              ;   in Loop: Header=BB142_3 Depth=1
	ds_load_b64 v[40:41], v60 offset:27008
	ds_load_b64 v[42:43], v61
	s_wait_dscnt 0x0
	v_fmac_f64_e32 v[38:39], v[40:41], v[42:43]
.LBB142_755:                            ;   in Loop: Header=BB142_3 Depth=1
	s_or_b32 exec_lo, exec_lo, s11
	s_barrier_signal -1
	s_barrier_wait -1
	s_and_saveexec_b32 s11, s23
	;; [unrolled: 23-line block ×12, first 2 shown]
	s_cbranch_execz .LBB142_797
; %bb.796:                              ;   in Loop: Header=BB142_3 Depth=1
	ds_load_b64 v[40:41], v1 offset:32760
	s_wait_dscnt 0x0
	v_mul_f64_e32 v[38:39], v[38:39], v[40:41]
	ds_store_b64 v61, v[38:39]
.LBB142_797:                            ;   in Loop: Header=BB142_3 Depth=1
	s_or_b32 exec_lo, exec_lo, s11
	s_wait_dscnt 0x0
	s_barrier_signal -1
	s_barrier_wait -1
	s_barrier_signal -1
	s_barrier_wait -1
	s_and_saveexec_b32 s11, s4
; %bb.798:                              ;   in Loop: Header=BB142_3 Depth=1
	s_delay_alu instid0(VALU_DEP_1)
	v_xor_b32_e32 v39, 0x80000000, v39
	ds_store_b64 v62, v[38:39] offset:16768
; %bb.799:                              ;   in Loop: Header=BB142_3 Depth=1
	s_or_b32 exec_lo, exec_lo, s11
	s_wait_dscnt 0x0
	s_barrier_signal -1
	s_barrier_wait -1
	s_barrier_signal -1
	s_barrier_wait -1
	s_and_saveexec_b32 s11, s14
	s_cbranch_execz .LBB142_801
; %bb.800:                              ;   in Loop: Header=BB142_3 Depth=1
	ds_load_b128 v[38:41], v1 offset:24960
	ds_load_b64 v[42:43], v1 offset:25480
	s_wait_dscnt 0x0
	v_mul_f64_e32 v[38:39], v[38:39], v[42:43]
	s_delay_alu instid0(VALU_DEP_1)
	v_mul_f64_e32 v[38:39], v[40:41], v[38:39]
	ds_store_b64 v1, v[38:39] offset:24968
.LBB142_801:                            ;   in Loop: Header=BB142_3 Depth=1
	s_or_b32 exec_lo, exec_lo, s11
	v_mov_b64_e32 v[38:39], 0
	s_wait_dscnt 0x0
	s_barrier_signal -1
	s_barrier_wait -1
	s_and_saveexec_b32 s11, s1
	s_cbranch_execz .LBB142_805
; %bb.802:                              ;   in Loop: Header=BB142_3 Depth=1
	ds_load_b64 v[38:39], v46 offset:24976
	ds_load_b64 v[40:41], v47 offset:24960
	s_wait_dscnt 0x0
	v_fma_f64 v[38:39], v[38:39], v[40:41], 0
	s_and_saveexec_b32 s12, s15
	s_cbranch_execz .LBB142_804
; %bb.803:                              ;   in Loop: Header=BB142_3 Depth=1
	ds_load_b64 v[40:41], v48 offset:25488
	ds_load_b64 v[42:43], v1 offset:24968
	s_wait_dscnt 0x0
	v_fmac_f64_e32 v[38:39], v[40:41], v[42:43]
.LBB142_804:                            ;   in Loop: Header=BB142_3 Depth=1
	s_or_b32 exec_lo, exec_lo, s12
	s_delay_alu instid0(VALU_DEP_1)
	v_xor_b32_e32 v39, 0x80000000, v39
.LBB142_805:                            ;   in Loop: Header=BB142_3 Depth=1
	s_or_b32 exec_lo, exec_lo, s11
	s_and_saveexec_b32 s11, s102
	s_cbranch_execz .LBB142_807
; %bb.806:                              ;   in Loop: Header=BB142_3 Depth=1
	ds_load_b64 v[40:41], v1 offset:26000
	s_wait_dscnt 0x0
	v_mul_f64_e32 v[38:39], v[38:39], v[40:41]
	ds_store_b64 v3, v[38:39]
.LBB142_807:                            ;   in Loop: Header=BB142_3 Depth=1
	s_or_b32 exec_lo, exec_lo, s11
	s_wait_dscnt 0x0
	s_barrier_signal -1
	s_barrier_wait -1
	s_and_saveexec_b32 s11, s103
	s_cbranch_execz .LBB142_809
; %bb.808:                              ;   in Loop: Header=BB142_3 Depth=1
	ds_load_b64 v[40:41], v1 offset:26008
	ds_load_b64 v[42:43], v3
	s_wait_dscnt 0x0
	v_fmac_f64_e32 v[38:39], v[40:41], v[42:43]
.LBB142_809:                            ;   in Loop: Header=BB142_3 Depth=1
	s_or_b32 exec_lo, exec_lo, s11
	s_barrier_signal -1
	s_barrier_wait -1
	s_and_saveexec_b32 s11, s103
	s_cbranch_execz .LBB142_811
; %bb.810:                              ;   in Loop: Header=BB142_3 Depth=1
	ds_load_b64 v[40:41], v1 offset:26520
	s_wait_dscnt 0x0
	v_mul_f64_e32 v[38:39], v[38:39], v[40:41]
	ds_store_b64 v3, v[38:39]
.LBB142_811:                            ;   in Loop: Header=BB142_3 Depth=1
	s_or_b32 exec_lo, exec_lo, s11
	s_wait_dscnt 0x0
	s_barrier_signal -1
	s_barrier_wait -1
	s_barrier_signal -1
	s_barrier_wait -1
	s_and_saveexec_b32 s11, s1
; %bb.812:                              ;   in Loop: Header=BB142_3 Depth=1
	s_delay_alu instid0(VALU_DEP_1)
	v_xor_b32_e32 v39, 0x80000000, v39
	ds_store_b64 v46, v[38:39] offset:24976
; %bb.813:                              ;   in Loop: Header=BB142_3 Depth=1
	s_or_b32 exec_lo, exec_lo, s11
	s_wait_dscnt 0x0
	s_barrier_signal -1
	s_barrier_wait -1
	s_barrier_signal -1
	s_barrier_wait -1
	s_and_saveexec_b32 s11, s14
	s_cbranch_execz .LBB142_815
; %bb.814:                              ;   in Loop: Header=BB142_3 Depth=1
	ds_load_b128 v[38:41], v1 offset:26000
	ds_load_b64 v[42:43], v1 offset:26520
	s_wait_dscnt 0x0
	v_mul_f64_e32 v[38:39], v[38:39], v[42:43]
	s_delay_alu instid0(VALU_DEP_1)
	v_mul_f64_e32 v[38:39], v[40:41], v[38:39]
	ds_store_b64 v1, v[38:39] offset:26008
.LBB142_815:                            ;   in Loop: Header=BB142_3 Depth=1
	s_or_b32 exec_lo, exec_lo, s11
	v_mov_b64_e32 v[38:39], 0
	s_wait_dscnt 0x0
	s_barrier_signal -1
	s_barrier_wait -1
	s_and_saveexec_b32 s11, s2
	s_cbranch_execz .LBB142_821
; %bb.816:                              ;   in Loop: Header=BB142_3 Depth=1
	ds_load_b64 v[38:39], v52 offset:24992
	ds_load_b64 v[40:41], v49 offset:24960
	s_wait_dscnt 0x0
	v_fma_f64 v[38:39], v[38:39], v[40:41], 0
	s_and_saveexec_b32 s12, s16
	s_cbranch_execnz .LBB142_1077
; %bb.817:                              ;   in Loop: Header=BB142_3 Depth=1
	s_or_b32 exec_lo, exec_lo, s12
	s_and_saveexec_b32 s12, s17
	s_cbranch_execnz .LBB142_1078
.LBB142_818:                            ;   in Loop: Header=BB142_3 Depth=1
	s_or_b32 exec_lo, exec_lo, s12
	s_and_saveexec_b32 s12, s1
	s_cbranch_execz .LBB142_820
.LBB142_819:                            ;   in Loop: Header=BB142_3 Depth=1
	ds_load_b64 v[40:41], v48 offset:26528
	ds_load_b64 v[42:43], v1 offset:24984
	s_wait_dscnt 0x0
	v_fmac_f64_e32 v[38:39], v[40:41], v[42:43]
.LBB142_820:                            ;   in Loop: Header=BB142_3 Depth=1
	s_or_b32 exec_lo, exec_lo, s12
	s_delay_alu instid0(VALU_DEP_1)
	v_xor_b32_e32 v39, 0x80000000, v39
.LBB142_821:                            ;   in Loop: Header=BB142_3 Depth=1
	s_or_b32 exec_lo, exec_lo, s11
	s_and_saveexec_b32 s11, s104
	s_cbranch_execz .LBB142_823
; %bb.822:                              ;   in Loop: Header=BB142_3 Depth=1
	ds_load_b64 v[40:41], v1 offset:27040
	s_wait_dscnt 0x0
	v_mul_f64_e32 v[38:39], v[38:39], v[40:41]
	ds_store_b64 v50, v[38:39]
.LBB142_823:                            ;   in Loop: Header=BB142_3 Depth=1
	s_or_b32 exec_lo, exec_lo, s11
	s_wait_dscnt 0x0
	s_barrier_signal -1
	s_barrier_wait -1
	s_and_saveexec_b32 s11, vcc_hi
	s_cbranch_execz .LBB142_825
; %bb.824:                              ;   in Loop: Header=BB142_3 Depth=1
	ds_load_b64 v[40:41], v51 offset:27040
	ds_load_b64 v[42:43], v50
	s_wait_dscnt 0x0
	v_fmac_f64_e32 v[38:39], v[40:41], v[42:43]
.LBB142_825:                            ;   in Loop: Header=BB142_3 Depth=1
	s_or_b32 exec_lo, exec_lo, s11
	s_barrier_signal -1
	s_barrier_wait -1
	s_and_saveexec_b32 s11, s36
	s_cbranch_execz .LBB142_827
; %bb.826:                              ;   in Loop: Header=BB142_3 Depth=1
	ds_load_b64 v[40:41], v1 offset:27560
	s_wait_dscnt 0x0
	v_mul_f64_e32 v[38:39], v[38:39], v[40:41]
	ds_store_b64 v50, v[38:39]
.LBB142_827:                            ;   in Loop: Header=BB142_3 Depth=1
	s_or_b32 exec_lo, exec_lo, s11
	s_wait_dscnt 0x0
	s_barrier_signal -1
	s_barrier_wait -1
	s_and_saveexec_b32 s11, s37
	s_cbranch_execz .LBB142_829
; %bb.828:                              ;   in Loop: Header=BB142_3 Depth=1
	ds_load_b64 v[40:41], v51 offset:27552
	ds_load_b64 v[42:43], v50
	s_wait_dscnt 0x0
	v_fmac_f64_e32 v[38:39], v[40:41], v[42:43]
.LBB142_829:                            ;   in Loop: Header=BB142_3 Depth=1
	s_or_b32 exec_lo, exec_lo, s11
	s_barrier_signal -1
	s_barrier_wait -1
	s_and_saveexec_b32 s11, s38
	s_cbranch_execz .LBB142_831
; %bb.830:                              ;   in Loop: Header=BB142_3 Depth=1
	ds_load_b64 v[40:41], v1 offset:28080
	s_wait_dscnt 0x0
	v_mul_f64_e32 v[38:39], v[38:39], v[40:41]
	ds_store_b64 v50, v[38:39]
.LBB142_831:                            ;   in Loop: Header=BB142_3 Depth=1
	s_or_b32 exec_lo, exec_lo, s11
	s_wait_dscnt 0x0
	s_barrier_signal -1
	s_barrier_wait -1
	s_and_saveexec_b32 s11, s39
	s_cbranch_execz .LBB142_833
; %bb.832:                              ;   in Loop: Header=BB142_3 Depth=1
	ds_load_b64 v[40:41], v1 offset:28088
	ds_load_b64 v[42:43], v50
	s_wait_dscnt 0x0
	v_fmac_f64_e32 v[38:39], v[40:41], v[42:43]
.LBB142_833:                            ;   in Loop: Header=BB142_3 Depth=1
	s_or_b32 exec_lo, exec_lo, s11
	s_barrier_signal -1
	s_barrier_wait -1
	s_and_saveexec_b32 s11, s39
	s_cbranch_execz .LBB142_835
; %bb.834:                              ;   in Loop: Header=BB142_3 Depth=1
	ds_load_b64 v[40:41], v1 offset:28600
	s_wait_dscnt 0x0
	v_mul_f64_e32 v[38:39], v[38:39], v[40:41]
	ds_store_b64 v50, v[38:39]
.LBB142_835:                            ;   in Loop: Header=BB142_3 Depth=1
	s_or_b32 exec_lo, exec_lo, s11
	s_wait_dscnt 0x0
	s_barrier_signal -1
	s_barrier_wait -1
	s_barrier_signal -1
	s_barrier_wait -1
	s_and_saveexec_b32 s11, s2
; %bb.836:                              ;   in Loop: Header=BB142_3 Depth=1
	s_delay_alu instid0(VALU_DEP_1)
	v_xor_b32_e32 v39, 0x80000000, v39
	ds_store_b64 v52, v[38:39] offset:24992
; %bb.837:                              ;   in Loop: Header=BB142_3 Depth=1
	s_or_b32 exec_lo, exec_lo, s11
	s_wait_dscnt 0x0
	s_barrier_signal -1
	s_barrier_wait -1
	s_barrier_signal -1
	s_barrier_wait -1
	s_and_saveexec_b32 s11, s14
	s_cbranch_execz .LBB142_839
; %bb.838:                              ;   in Loop: Header=BB142_3 Depth=1
	ds_load_b128 v[38:41], v1 offset:27040
	ds_load_b64 v[42:43], v1 offset:27560
	s_wait_dscnt 0x0
	v_mul_f64_e32 v[38:39], v[38:39], v[42:43]
	s_delay_alu instid0(VALU_DEP_1)
	v_mul_f64_e32 v[38:39], v[40:41], v[38:39]
	ds_store_b64 v1, v[38:39] offset:27048
.LBB142_839:                            ;   in Loop: Header=BB142_3 Depth=1
	s_or_b32 exec_lo, exec_lo, s11
	v_mov_b64_e32 v[38:39], 0
	s_wait_dscnt 0x0
	s_barrier_signal -1
	s_barrier_wait -1
	s_and_saveexec_b32 s11, s1
	s_cbranch_execz .LBB142_843
; %bb.840:                              ;   in Loop: Header=BB142_3 Depth=1
	ds_load_b64 v[38:39], v46 offset:27056
	ds_load_b64 v[40:41], v47 offset:27040
	s_wait_dscnt 0x0
	v_fma_f64 v[38:39], v[38:39], v[40:41], 0
	s_and_saveexec_b32 s12, s15
	s_cbranch_execz .LBB142_842
; %bb.841:                              ;   in Loop: Header=BB142_3 Depth=1
	ds_load_b64 v[40:41], v48 offset:27568
	ds_load_b64 v[42:43], v1 offset:27048
	s_wait_dscnt 0x0
	v_fmac_f64_e32 v[38:39], v[40:41], v[42:43]
.LBB142_842:                            ;   in Loop: Header=BB142_3 Depth=1
	s_or_b32 exec_lo, exec_lo, s12
	s_delay_alu instid0(VALU_DEP_1)
	v_xor_b32_e32 v39, 0x80000000, v39
.LBB142_843:                            ;   in Loop: Header=BB142_3 Depth=1
	s_or_b32 exec_lo, exec_lo, s11
	s_and_saveexec_b32 s11, s102
	s_cbranch_execz .LBB142_845
; %bb.844:                              ;   in Loop: Header=BB142_3 Depth=1
	ds_load_b64 v[40:41], v1 offset:28080
	s_wait_dscnt 0x0
	v_mul_f64_e32 v[38:39], v[38:39], v[40:41]
	ds_store_b64 v3, v[38:39]
.LBB142_845:                            ;   in Loop: Header=BB142_3 Depth=1
	s_or_b32 exec_lo, exec_lo, s11
	s_wait_dscnt 0x0
	s_barrier_signal -1
	s_barrier_wait -1
	s_and_saveexec_b32 s11, s103
	s_cbranch_execz .LBB142_847
; %bb.846:                              ;   in Loop: Header=BB142_3 Depth=1
	ds_load_b64 v[40:41], v1 offset:28088
	ds_load_b64 v[42:43], v3
	s_wait_dscnt 0x0
	v_fmac_f64_e32 v[38:39], v[40:41], v[42:43]
.LBB142_847:                            ;   in Loop: Header=BB142_3 Depth=1
	s_or_b32 exec_lo, exec_lo, s11
	s_barrier_signal -1
	s_barrier_wait -1
	s_and_saveexec_b32 s11, s103
	s_cbranch_execz .LBB142_849
; %bb.848:                              ;   in Loop: Header=BB142_3 Depth=1
	ds_load_b64 v[40:41], v1 offset:28600
	s_wait_dscnt 0x0
	v_mul_f64_e32 v[38:39], v[38:39], v[40:41]
	ds_store_b64 v3, v[38:39]
.LBB142_849:                            ;   in Loop: Header=BB142_3 Depth=1
	s_or_b32 exec_lo, exec_lo, s11
	s_wait_dscnt 0x0
	s_barrier_signal -1
	s_barrier_wait -1
	s_barrier_signal -1
	s_barrier_wait -1
	s_and_saveexec_b32 s11, s1
; %bb.850:                              ;   in Loop: Header=BB142_3 Depth=1
	s_delay_alu instid0(VALU_DEP_1)
	v_xor_b32_e32 v39, 0x80000000, v39
	ds_store_b64 v46, v[38:39] offset:27056
; %bb.851:                              ;   in Loop: Header=BB142_3 Depth=1
	s_or_b32 exec_lo, exec_lo, s11
	s_wait_dscnt 0x0
	s_barrier_signal -1
	s_barrier_wait -1
	s_barrier_signal -1
	s_barrier_wait -1
	s_and_saveexec_b32 s11, s14
	s_cbranch_execz .LBB142_853
; %bb.852:                              ;   in Loop: Header=BB142_3 Depth=1
	ds_load_b128 v[38:41], v1 offset:28080
	ds_load_b64 v[42:43], v1 offset:28600
	s_wait_dscnt 0x0
	v_mul_f64_e32 v[38:39], v[38:39], v[42:43]
	s_delay_alu instid0(VALU_DEP_1)
	v_mul_f64_e32 v[38:39], v[40:41], v[38:39]
	ds_store_b64 v1, v[38:39] offset:28088
.LBB142_853:                            ;   in Loop: Header=BB142_3 Depth=1
	s_or_b32 exec_lo, exec_lo, s11
	v_mov_b64_e32 v[38:39], 0
	s_wait_dscnt 0x0
	s_barrier_signal -1
	s_barrier_wait -1
	s_and_saveexec_b32 s11, s3
	s_cbranch_execz .LBB142_863
; %bb.854:                              ;   in Loop: Header=BB142_3 Depth=1
	ds_load_b64 v[38:39], v57 offset:25024
	ds_load_b64 v[40:41], v54 offset:24960
	s_wait_dscnt 0x0
	v_fma_f64 v[38:39], v[38:39], v[40:41], 0
	s_and_saveexec_b32 s12, s18
	s_cbranch_execnz .LBB142_1079
; %bb.855:                              ;   in Loop: Header=BB142_3 Depth=1
	s_or_b32 exec_lo, exec_lo, s12
	s_and_saveexec_b32 s12, s19
	s_cbranch_execnz .LBB142_1080
.LBB142_856:                            ;   in Loop: Header=BB142_3 Depth=1
	s_or_b32 exec_lo, exec_lo, s12
	s_and_saveexec_b32 s12, s20
	s_cbranch_execnz .LBB142_1081
.LBB142_857:                            ;   in Loop: Header=BB142_3 Depth=1
	s_or_b32 exec_lo, exec_lo, s12
	s_and_saveexec_b32 s12, s21
	s_cbranch_execnz .LBB142_1082
.LBB142_858:                            ;   in Loop: Header=BB142_3 Depth=1
	s_or_b32 exec_lo, exec_lo, s12
	s_and_saveexec_b32 s12, s22
	s_cbranch_execnz .LBB142_1083
.LBB142_859:                            ;   in Loop: Header=BB142_3 Depth=1
	s_or_b32 exec_lo, exec_lo, s12
	s_and_saveexec_b32 s12, s2
	s_cbranch_execnz .LBB142_1084
.LBB142_860:                            ;   in Loop: Header=BB142_3 Depth=1
	s_or_b32 exec_lo, exec_lo, s12
	s_and_saveexec_b32 s12, s17
	s_cbranch_execz .LBB142_862
.LBB142_861:                            ;   in Loop: Header=BB142_3 Depth=1
	ds_load_b64 v[40:41], v48 offset:28608
	ds_load_b64 v[42:43], v1 offset:25016
	s_wait_dscnt 0x0
	v_fmac_f64_e32 v[38:39], v[40:41], v[42:43]
.LBB142_862:                            ;   in Loop: Header=BB142_3 Depth=1
	s_or_b32 exec_lo, exec_lo, s12
	s_delay_alu instid0(VALU_DEP_1)
	v_xor_b32_e32 v39, 0x80000000, v39
.LBB142_863:                            ;   in Loop: Header=BB142_3 Depth=1
	s_or_b32 exec_lo, exec_lo, s11
	s_and_saveexec_b32 s11, s40
	s_cbranch_execz .LBB142_865
; %bb.864:                              ;   in Loop: Header=BB142_3 Depth=1
	ds_load_b64 v[40:41], v1 offset:29120
	s_wait_dscnt 0x0
	v_mul_f64_e32 v[38:39], v[38:39], v[40:41]
	ds_store_b64 v56, v[38:39]
.LBB142_865:                            ;   in Loop: Header=BB142_3 Depth=1
	s_or_b32 exec_lo, exec_lo, s11
	s_wait_dscnt 0x0
	s_barrier_signal -1
	s_barrier_wait -1
	s_and_saveexec_b32 s11, s41
	s_cbranch_execz .LBB142_867
; %bb.866:                              ;   in Loop: Header=BB142_3 Depth=1
	ds_load_b64 v[40:41], v55 offset:29120
	ds_load_b64 v[42:43], v56
	s_wait_dscnt 0x0
	v_fmac_f64_e32 v[38:39], v[40:41], v[42:43]
.LBB142_867:                            ;   in Loop: Header=BB142_3 Depth=1
	s_or_b32 exec_lo, exec_lo, s11
	s_barrier_signal -1
	s_barrier_wait -1
	s_and_saveexec_b32 s11, s42
	s_cbranch_execz .LBB142_869
; %bb.868:                              ;   in Loop: Header=BB142_3 Depth=1
	ds_load_b64 v[40:41], v1 offset:29640
	s_wait_dscnt 0x0
	v_mul_f64_e32 v[38:39], v[38:39], v[40:41]
	ds_store_b64 v56, v[38:39]
.LBB142_869:                            ;   in Loop: Header=BB142_3 Depth=1
	s_or_b32 exec_lo, exec_lo, s11
	s_wait_dscnt 0x0
	s_barrier_signal -1
	s_barrier_wait -1
	s_and_saveexec_b32 s11, s43
	s_cbranch_execz .LBB142_871
; %bb.870:                              ;   in Loop: Header=BB142_3 Depth=1
	ds_load_b64 v[40:41], v55 offset:29632
	ds_load_b64 v[42:43], v56
	s_wait_dscnt 0x0
	v_fmac_f64_e32 v[38:39], v[40:41], v[42:43]
.LBB142_871:                            ;   in Loop: Header=BB142_3 Depth=1
	s_or_b32 exec_lo, exec_lo, s11
	s_barrier_signal -1
	s_barrier_wait -1
	;; [unrolled: 23-line block ×7, first 2 shown]
	s_and_saveexec_b32 s11, s53
	s_cbranch_execz .LBB142_893
; %bb.892:                              ;   in Loop: Header=BB142_3 Depth=1
	ds_load_b64 v[40:41], v1 offset:32760
	s_wait_dscnt 0x0
	v_mul_f64_e32 v[38:39], v[38:39], v[40:41]
	ds_store_b64 v56, v[38:39]
.LBB142_893:                            ;   in Loop: Header=BB142_3 Depth=1
	s_or_b32 exec_lo, exec_lo, s11
	s_wait_dscnt 0x0
	s_barrier_signal -1
	s_barrier_wait -1
	s_barrier_signal -1
	s_barrier_wait -1
	s_and_saveexec_b32 s11, s3
; %bb.894:                              ;   in Loop: Header=BB142_3 Depth=1
	s_delay_alu instid0(VALU_DEP_1)
	v_xor_b32_e32 v39, 0x80000000, v39
	ds_store_b64 v57, v[38:39] offset:25024
; %bb.895:                              ;   in Loop: Header=BB142_3 Depth=1
	s_or_b32 exec_lo, exec_lo, s11
	s_wait_dscnt 0x0
	s_barrier_signal -1
	s_barrier_wait -1
	s_barrier_signal -1
	s_barrier_wait -1
	s_and_saveexec_b32 s11, s14
	s_cbranch_execz .LBB142_897
; %bb.896:                              ;   in Loop: Header=BB142_3 Depth=1
	ds_load_b128 v[38:41], v1 offset:29120
	ds_load_b64 v[42:43], v1 offset:29640
	s_wait_dscnt 0x0
	v_mul_f64_e32 v[38:39], v[38:39], v[42:43]
	s_delay_alu instid0(VALU_DEP_1)
	v_mul_f64_e32 v[38:39], v[40:41], v[38:39]
	ds_store_b64 v1, v[38:39] offset:29128
.LBB142_897:                            ;   in Loop: Header=BB142_3 Depth=1
	s_or_b32 exec_lo, exec_lo, s11
	v_mov_b64_e32 v[38:39], 0
	s_wait_dscnt 0x0
	s_barrier_signal -1
	s_barrier_wait -1
	s_and_saveexec_b32 s11, s1
	s_cbranch_execz .LBB142_901
; %bb.898:                              ;   in Loop: Header=BB142_3 Depth=1
	ds_load_b64 v[38:39], v46 offset:29136
	ds_load_b64 v[40:41], v47 offset:29120
	s_wait_dscnt 0x0
	v_fma_f64 v[38:39], v[38:39], v[40:41], 0
	s_and_saveexec_b32 s12, s15
	s_cbranch_execz .LBB142_900
; %bb.899:                              ;   in Loop: Header=BB142_3 Depth=1
	ds_load_b64 v[40:41], v48 offset:29648
	ds_load_b64 v[42:43], v1 offset:29128
	s_wait_dscnt 0x0
	v_fmac_f64_e32 v[38:39], v[40:41], v[42:43]
.LBB142_900:                            ;   in Loop: Header=BB142_3 Depth=1
	s_or_b32 exec_lo, exec_lo, s12
	s_delay_alu instid0(VALU_DEP_1)
	v_xor_b32_e32 v39, 0x80000000, v39
.LBB142_901:                            ;   in Loop: Header=BB142_3 Depth=1
	s_or_b32 exec_lo, exec_lo, s11
	s_and_saveexec_b32 s11, s102
	s_cbranch_execz .LBB142_903
; %bb.902:                              ;   in Loop: Header=BB142_3 Depth=1
	ds_load_b64 v[40:41], v1 offset:30160
	s_wait_dscnt 0x0
	v_mul_f64_e32 v[38:39], v[38:39], v[40:41]
	ds_store_b64 v3, v[38:39]
.LBB142_903:                            ;   in Loop: Header=BB142_3 Depth=1
	s_or_b32 exec_lo, exec_lo, s11
	s_wait_dscnt 0x0
	s_barrier_signal -1
	s_barrier_wait -1
	s_and_saveexec_b32 s11, s103
	s_cbranch_execz .LBB142_905
; %bb.904:                              ;   in Loop: Header=BB142_3 Depth=1
	ds_load_b64 v[40:41], v1 offset:30168
	ds_load_b64 v[42:43], v3
	s_wait_dscnt 0x0
	v_fmac_f64_e32 v[38:39], v[40:41], v[42:43]
.LBB142_905:                            ;   in Loop: Header=BB142_3 Depth=1
	s_or_b32 exec_lo, exec_lo, s11
	s_barrier_signal -1
	s_barrier_wait -1
	s_and_saveexec_b32 s11, s103
	s_cbranch_execz .LBB142_907
; %bb.906:                              ;   in Loop: Header=BB142_3 Depth=1
	ds_load_b64 v[40:41], v1 offset:30680
	s_wait_dscnt 0x0
	v_mul_f64_e32 v[38:39], v[38:39], v[40:41]
	ds_store_b64 v3, v[38:39]
.LBB142_907:                            ;   in Loop: Header=BB142_3 Depth=1
	s_or_b32 exec_lo, exec_lo, s11
	s_wait_dscnt 0x0
	s_barrier_signal -1
	s_barrier_wait -1
	s_barrier_signal -1
	s_barrier_wait -1
	s_and_saveexec_b32 s11, s1
; %bb.908:                              ;   in Loop: Header=BB142_3 Depth=1
	s_delay_alu instid0(VALU_DEP_1)
	v_xor_b32_e32 v39, 0x80000000, v39
	ds_store_b64 v46, v[38:39] offset:29136
; %bb.909:                              ;   in Loop: Header=BB142_3 Depth=1
	s_or_b32 exec_lo, exec_lo, s11
	s_wait_dscnt 0x0
	s_barrier_signal -1
	s_barrier_wait -1
	s_barrier_signal -1
	s_barrier_wait -1
	s_and_saveexec_b32 s11, s14
	s_cbranch_execz .LBB142_911
; %bb.910:                              ;   in Loop: Header=BB142_3 Depth=1
	ds_load_b128 v[38:41], v1 offset:30160
	ds_load_b64 v[42:43], v1 offset:30680
	s_wait_dscnt 0x0
	v_mul_f64_e32 v[38:39], v[38:39], v[42:43]
	s_delay_alu instid0(VALU_DEP_1)
	v_mul_f64_e32 v[38:39], v[40:41], v[38:39]
	ds_store_b64 v1, v[38:39] offset:30168
.LBB142_911:                            ;   in Loop: Header=BB142_3 Depth=1
	s_or_b32 exec_lo, exec_lo, s11
	v_mov_b64_e32 v[38:39], 0
	s_wait_dscnt 0x0
	s_barrier_signal -1
	s_barrier_wait -1
	s_and_saveexec_b32 s11, s2
	s_cbranch_execz .LBB142_917
; %bb.912:                              ;   in Loop: Header=BB142_3 Depth=1
	ds_load_b64 v[38:39], v52 offset:29152
	ds_load_b64 v[40:41], v49 offset:29120
	s_wait_dscnt 0x0
	v_fma_f64 v[38:39], v[38:39], v[40:41], 0
	s_and_saveexec_b32 s12, s16
	s_cbranch_execnz .LBB142_1085
; %bb.913:                              ;   in Loop: Header=BB142_3 Depth=1
	s_or_b32 exec_lo, exec_lo, s12
	s_and_saveexec_b32 s12, s17
	s_cbranch_execnz .LBB142_1086
.LBB142_914:                            ;   in Loop: Header=BB142_3 Depth=1
	s_or_b32 exec_lo, exec_lo, s12
	s_and_saveexec_b32 s12, s1
	s_cbranch_execz .LBB142_916
.LBB142_915:                            ;   in Loop: Header=BB142_3 Depth=1
	ds_load_b64 v[40:41], v48 offset:30688
	ds_load_b64 v[42:43], v1 offset:29144
	s_wait_dscnt 0x0
	v_fmac_f64_e32 v[38:39], v[40:41], v[42:43]
.LBB142_916:                            ;   in Loop: Header=BB142_3 Depth=1
	s_or_b32 exec_lo, exec_lo, s12
	s_delay_alu instid0(VALU_DEP_1)
	v_xor_b32_e32 v39, 0x80000000, v39
.LBB142_917:                            ;   in Loop: Header=BB142_3 Depth=1
	s_or_b32 exec_lo, exec_lo, s11
	s_and_saveexec_b32 s11, s104
	s_cbranch_execz .LBB142_919
; %bb.918:                              ;   in Loop: Header=BB142_3 Depth=1
	ds_load_b64 v[40:41], v1 offset:31200
	s_wait_dscnt 0x0
	v_mul_f64_e32 v[38:39], v[38:39], v[40:41]
	ds_store_b64 v50, v[38:39]
.LBB142_919:                            ;   in Loop: Header=BB142_3 Depth=1
	s_or_b32 exec_lo, exec_lo, s11
	s_wait_dscnt 0x0
	s_barrier_signal -1
	s_barrier_wait -1
	s_and_saveexec_b32 s11, vcc_hi
	s_cbranch_execz .LBB142_921
; %bb.920:                              ;   in Loop: Header=BB142_3 Depth=1
	ds_load_b64 v[40:41], v51 offset:31200
	ds_load_b64 v[42:43], v50
	s_wait_dscnt 0x0
	v_fmac_f64_e32 v[38:39], v[40:41], v[42:43]
.LBB142_921:                            ;   in Loop: Header=BB142_3 Depth=1
	s_or_b32 exec_lo, exec_lo, s11
	s_barrier_signal -1
	s_barrier_wait -1
	s_and_saveexec_b32 s11, s36
	s_cbranch_execz .LBB142_923
; %bb.922:                              ;   in Loop: Header=BB142_3 Depth=1
	ds_load_b64 v[40:41], v1 offset:31720
	s_wait_dscnt 0x0
	v_mul_f64_e32 v[38:39], v[38:39], v[40:41]
	ds_store_b64 v50, v[38:39]
.LBB142_923:                            ;   in Loop: Header=BB142_3 Depth=1
	s_or_b32 exec_lo, exec_lo, s11
	s_wait_dscnt 0x0
	s_barrier_signal -1
	s_barrier_wait -1
	s_and_saveexec_b32 s11, s37
	s_cbranch_execz .LBB142_925
; %bb.924:                              ;   in Loop: Header=BB142_3 Depth=1
	ds_load_b64 v[40:41], v51 offset:31712
	ds_load_b64 v[42:43], v50
	s_wait_dscnt 0x0
	v_fmac_f64_e32 v[38:39], v[40:41], v[42:43]
.LBB142_925:                            ;   in Loop: Header=BB142_3 Depth=1
	s_or_b32 exec_lo, exec_lo, s11
	s_barrier_signal -1
	s_barrier_wait -1
	s_and_saveexec_b32 s11, s38
	s_cbranch_execz .LBB142_927
; %bb.926:                              ;   in Loop: Header=BB142_3 Depth=1
	ds_load_b64 v[40:41], v1 offset:32240
	s_wait_dscnt 0x0
	v_mul_f64_e32 v[38:39], v[38:39], v[40:41]
	ds_store_b64 v50, v[38:39]
.LBB142_927:                            ;   in Loop: Header=BB142_3 Depth=1
	s_or_b32 exec_lo, exec_lo, s11
	s_wait_dscnt 0x0
	s_barrier_signal -1
	s_barrier_wait -1
	s_and_saveexec_b32 s11, s39
	s_cbranch_execz .LBB142_929
; %bb.928:                              ;   in Loop: Header=BB142_3 Depth=1
	ds_load_b64 v[40:41], v1 offset:32248
	ds_load_b64 v[42:43], v50
	s_wait_dscnt 0x0
	v_fmac_f64_e32 v[38:39], v[40:41], v[42:43]
.LBB142_929:                            ;   in Loop: Header=BB142_3 Depth=1
	s_or_b32 exec_lo, exec_lo, s11
	s_barrier_signal -1
	s_barrier_wait -1
	s_and_saveexec_b32 s11, s39
	s_cbranch_execz .LBB142_931
; %bb.930:                              ;   in Loop: Header=BB142_3 Depth=1
	ds_load_b64 v[40:41], v1 offset:32760
	s_wait_dscnt 0x0
	v_mul_f64_e32 v[38:39], v[38:39], v[40:41]
	ds_store_b64 v50, v[38:39]
.LBB142_931:                            ;   in Loop: Header=BB142_3 Depth=1
	s_or_b32 exec_lo, exec_lo, s11
	s_wait_dscnt 0x0
	s_barrier_signal -1
	s_barrier_wait -1
	s_barrier_signal -1
	s_barrier_wait -1
	s_and_saveexec_b32 s11, s2
; %bb.932:                              ;   in Loop: Header=BB142_3 Depth=1
	s_delay_alu instid0(VALU_DEP_1)
	v_xor_b32_e32 v39, 0x80000000, v39
	ds_store_b64 v52, v[38:39] offset:29152
; %bb.933:                              ;   in Loop: Header=BB142_3 Depth=1
	s_or_b32 exec_lo, exec_lo, s11
	s_wait_dscnt 0x0
	s_barrier_signal -1
	s_barrier_wait -1
	s_barrier_signal -1
	s_barrier_wait -1
	s_and_saveexec_b32 s11, s14
	s_cbranch_execz .LBB142_935
; %bb.934:                              ;   in Loop: Header=BB142_3 Depth=1
	ds_load_b128 v[38:41], v1 offset:31200
	ds_load_b64 v[42:43], v1 offset:31720
	s_wait_dscnt 0x0
	v_mul_f64_e32 v[38:39], v[38:39], v[42:43]
	s_delay_alu instid0(VALU_DEP_1)
	v_mul_f64_e32 v[38:39], v[40:41], v[38:39]
	ds_store_b64 v1, v[38:39] offset:31208
.LBB142_935:                            ;   in Loop: Header=BB142_3 Depth=1
	s_or_b32 exec_lo, exec_lo, s11
	v_mov_b64_e32 v[38:39], 0
	s_wait_dscnt 0x0
	s_barrier_signal -1
	s_barrier_wait -1
	s_and_saveexec_b32 s11, s1
	s_cbranch_execz .LBB142_939
; %bb.936:                              ;   in Loop: Header=BB142_3 Depth=1
	ds_load_b64 v[38:39], v46 offset:31216
	ds_load_b64 v[40:41], v47 offset:31200
	s_wait_dscnt 0x0
	v_fma_f64 v[38:39], v[38:39], v[40:41], 0
	s_and_saveexec_b32 s12, s15
	s_cbranch_execz .LBB142_938
; %bb.937:                              ;   in Loop: Header=BB142_3 Depth=1
	ds_load_b64 v[40:41], v48 offset:31728
	ds_load_b64 v[42:43], v1 offset:31208
	s_wait_dscnt 0x0
	v_fmac_f64_e32 v[38:39], v[40:41], v[42:43]
.LBB142_938:                            ;   in Loop: Header=BB142_3 Depth=1
	s_or_b32 exec_lo, exec_lo, s12
	s_delay_alu instid0(VALU_DEP_1)
	v_xor_b32_e32 v39, 0x80000000, v39
.LBB142_939:                            ;   in Loop: Header=BB142_3 Depth=1
	s_or_b32 exec_lo, exec_lo, s11
	s_and_saveexec_b32 s11, s102
	s_cbranch_execz .LBB142_941
; %bb.940:                              ;   in Loop: Header=BB142_3 Depth=1
	ds_load_b64 v[40:41], v1 offset:32240
	s_wait_dscnt 0x0
	v_mul_f64_e32 v[38:39], v[38:39], v[40:41]
	ds_store_b64 v3, v[38:39]
.LBB142_941:                            ;   in Loop: Header=BB142_3 Depth=1
	s_or_b32 exec_lo, exec_lo, s11
	s_wait_dscnt 0x0
	s_barrier_signal -1
	s_barrier_wait -1
	s_and_saveexec_b32 s11, s103
	s_cbranch_execz .LBB142_943
; %bb.942:                              ;   in Loop: Header=BB142_3 Depth=1
	ds_load_b64 v[40:41], v1 offset:32248
	ds_load_b64 v[42:43], v3
	s_wait_dscnt 0x0
	v_fmac_f64_e32 v[38:39], v[40:41], v[42:43]
.LBB142_943:                            ;   in Loop: Header=BB142_3 Depth=1
	s_or_b32 exec_lo, exec_lo, s11
	s_barrier_signal -1
	s_barrier_wait -1
	s_and_saveexec_b32 s11, s103
	s_cbranch_execz .LBB142_945
; %bb.944:                              ;   in Loop: Header=BB142_3 Depth=1
	ds_load_b64 v[40:41], v1 offset:32760
	s_wait_dscnt 0x0
	v_mul_f64_e32 v[38:39], v[38:39], v[40:41]
	ds_store_b64 v3, v[38:39]
.LBB142_945:                            ;   in Loop: Header=BB142_3 Depth=1
	s_or_b32 exec_lo, exec_lo, s11
	s_wait_dscnt 0x0
	s_barrier_signal -1
	s_barrier_wait -1
	s_barrier_signal -1
	s_barrier_wait -1
	s_and_saveexec_b32 s11, s1
; %bb.946:                              ;   in Loop: Header=BB142_3 Depth=1
	s_delay_alu instid0(VALU_DEP_1)
	v_xor_b32_e32 v39, 0x80000000, v39
	ds_store_b64 v46, v[38:39] offset:31216
; %bb.947:                              ;   in Loop: Header=BB142_3 Depth=1
	s_or_b32 exec_lo, exec_lo, s11
	s_wait_dscnt 0x0
	s_barrier_signal -1
	s_barrier_wait -1
	s_barrier_signal -1
	s_barrier_wait -1
	s_and_saveexec_b32 s11, s14
	s_cbranch_execz .LBB142_949
; %bb.948:                              ;   in Loop: Header=BB142_3 Depth=1
	ds_load_b128 v[38:41], v1 offset:32240
	ds_load_b64 v[42:43], v1 offset:32760
	s_wait_dscnt 0x0
	v_mul_f64_e32 v[38:39], v[38:39], v[42:43]
	s_delay_alu instid0(VALU_DEP_1)
	v_mul_f64_e32 v[38:39], v[40:41], v[38:39]
	ds_store_b64 v1, v[38:39] offset:32248
.LBB142_949:                            ;   in Loop: Header=BB142_3 Depth=1
	s_or_b32 exec_lo, exec_lo, s11
.LBB142_950:                            ;   in Loop: Header=BB142_3 Depth=1
	v_add_nc_u64_e32 v[36:37], s[76:77], v[36:37]
	v_mov_b64_e32 v[38:39], 0
	s_wait_dscnt 0x0
	s_barrier_signal -1
	s_barrier_wait -1
	s_wait_xcnt 0x0
	s_and_saveexec_b32 s11, s65
	s_cbranch_execz .LBB142_952
; %bb.951:                              ;   in Loop: Header=BB142_3 Depth=1
	v_lshl_add_u64 v[38:39], v[20:21], 3, v[36:37]
	flat_load_b64 v[38:39], v[38:39]
	s_wait_loadcnt_dscnt 0x0
	v_mul_f64_e64 v[38:39], v[38:39], -s[72:73]
.LBB142_952:                            ;   in Loop: Header=BB142_3 Depth=1
	s_or_b32 exec_lo, exec_lo, s11
	s_delay_alu instid0(SALU_CYCLE_1)
	s_and_not1_b32 vcc_lo, exec_lo, s66
	s_cbranch_vccnz .LBB142_978
; %bb.953:                              ;   in Loop: Header=BB142_3 Depth=1
	v_lshl_add_u64 v[34:35], v[6:7], 3, v[34:35]
	v_mov_b32_e32 v80, -1
	s_lshl_b64 s[12:13], s[70:71], 2
	s_mov_b32 s11, 0
	s_add_nc_u64 s[94:95], s[86:87], s[12:13]
	s_branch .LBB142_956
.LBB142_954:                            ;   in Loop: Header=BB142_956 Depth=2
	s_wait_xcnt 0x0
	ds_load_b64 v[40:41], v70 offset:384
	s_wait_loadcnt_dscnt 0x0
	v_fmac_f64_e32 v[38:39], v[42:43], v[40:41]
.LBB142_955:                            ;   in Loop: Header=BB142_956 Depth=2
	s_or_b32 exec_lo, exec_lo, s12
	s_add_co_i32 s11, s11, 1
	s_delay_alu instid0(SALU_CYCLE_1)
	s_cmp_eq_u32 s11, s98
	s_cbranch_scc1 .LBB142_978
.LBB142_956:                            ;   Parent Loop BB142_3 Depth=1
                                        ; =>  This Loop Header: Depth=2
                                        ;       Child Loop BB142_958 Depth 3
	v_cmp_gt_i32_e32 vcc_lo, s11, v80
	s_and_b32 s13, s59, vcc_lo
	s_delay_alu instid0(SALU_CYCLE_1)
	s_and_saveexec_b32 s12, s13
	s_cbranch_execz .LBB142_959
; %bb.957:                              ;   in Loop: Header=BB142_956 Depth=2
	global_load_b32 v80, v1, s[94:95]
	s_wait_loadcnt 0x0
	v_cmp_le_i32_e32 vcc_lo, s11, v80
	s_cbranch_vccnz .LBB142_959
.LBB142_958:                            ;   Parent Loop BB142_3 Depth=1
                                        ;     Parent Loop BB142_956 Depth=2
                                        ; =>    This Inner Loop Header: Depth=3
	global_wb scope:SCOPE_DEV
	s_wait_storecnt 0x0
	global_inv scope:SCOPE_DEV
	global_load_b32 v80, v1, s[94:95]
	s_wait_loadcnt 0x0
	v_cmp_gt_i32_e32 vcc_lo, s11, v80
	s_cbranch_vccnz .LBB142_958
.LBB142_959:                            ;   in Loop: Header=BB142_956 Depth=2
	s_or_b32 exec_lo, exec_lo, s12
	s_lshl_b32 s69, s11, 6
	global_wb scope:SCOPE_DEV
	s_wait_storecnt 0x0
	global_inv scope:SCOPE_DEV
	s_wait_loadcnt 0x0
	s_barrier_signal -1
	s_barrier_wait -1
	s_and_saveexec_b32 s12, s60
	s_cbranch_execz .LBB142_963
; %bb.960:                              ;   in Loop: Header=BB142_956 Depth=2
	v_mov_b64_e32 v[40:41], 0
	v_or_b32_e32 v0, s69, v4
	s_mov_b32 s13, exec_lo
	s_delay_alu instid0(VALU_DEP_1)
	v_cmpx_gt_i32_e64 s97, v0
	s_cbranch_execz .LBB142_962
; %bb.961:                              ;   in Loop: Header=BB142_956 Depth=2
	v_mul_u64_e32 v[40:41], s[78:79], v[0:1]
	s_delay_alu instid0(VALU_DEP_1)
	v_lshl_add_u64 v[40:41], v[40:41], 3, v[36:37]
	flat_load_b64 v[40:41], v[40:41]
.LBB142_962:                            ;   in Loop: Header=BB142_956 Depth=2
	s_wait_xcnt 0x0
	s_or_b32 exec_lo, exec_lo, s13
	s_wait_loadcnt_dscnt 0x0
	ds_store_b64 v71, v[40:41]
.LBB142_963:                            ;   in Loop: Header=BB142_956 Depth=2
	s_or_b32 exec_lo, exec_lo, s12
	v_add_nc_u32_e32 v0, s69, v44
	v_cmp_ne_u32_e32 vcc_lo, s11, v45
	s_wait_dscnt 0x0
	s_barrier_signal -1
	s_barrier_wait -1
	v_mul_u64_e32 v[40:41], s[84:85], v[0:1]
	v_cmp_gt_i32_e64 s69, s97, v0
	v_cndmask_b32_e64 v81, 0, 1, vcc_lo
	s_and_b32 s13, s0, s69
	v_lshl_add_u64 v[40:41], v[40:41], 3, v[34:35]
	s_and_saveexec_b32 s12, s13
	s_cbranch_execz .LBB142_967
; %bb.964:                              ;   in Loop: Header=BB142_956 Depth=2
	v_mov_b64_e32 v[42:43], v[26:27]
	s_and_not1_b32 vcc_lo, exec_lo, vcc_lo
	s_cbranch_vccnz .LBB142_966
; %bb.965:                              ;   in Loop: Header=BB142_956 Depth=2
	flat_load_b64 v[42:43], v[40:41]
.LBB142_966:                            ;   in Loop: Header=BB142_956 Depth=2
	ds_load_b64 v[82:83], v70
	s_wait_loadcnt_dscnt 0x0
	v_fmac_f64_e32 v[38:39], v[42:43], v[82:83]
.LBB142_967:                            ;   in Loop: Header=BB142_956 Depth=2
	s_or_b32 exec_lo, exec_lo, s12
	v_add_nc_u32_e32 v42, 16, v0
	s_delay_alu instid0(VALU_DEP_1) | instskip(SKIP_1) | instid1(SALU_CYCLE_1)
	v_cmp_gt_i32_e32 vcc_lo, s97, v42
	s_and_b32 s13, s0, vcc_lo
	s_and_saveexec_b32 s12, s13
	s_cbranch_execz .LBB142_971
; %bb.968:                              ;   in Loop: Header=BB142_956 Depth=2
	v_cmp_ne_u32_e32 vcc_lo, 1, v81
	v_mov_b64_e32 v[42:43], v[28:29]
	s_cbranch_vccnz .LBB142_970
; %bb.969:                              ;   in Loop: Header=BB142_956 Depth=2
	v_add_nc_u64_e32 v[42:43], s[88:89], v[40:41]
	flat_load_b64 v[42:43], v[42:43]
.LBB142_970:                            ;   in Loop: Header=BB142_956 Depth=2
	ds_load_b64 v[82:83], v70 offset:128
	s_wait_loadcnt_dscnt 0x0
	v_fmac_f64_e32 v[38:39], v[42:43], v[82:83]
.LBB142_971:                            ;   in Loop: Header=BB142_956 Depth=2
	s_or_b32 exec_lo, exec_lo, s12
	v_add_nc_u32_e32 v42, 32, v0
	s_delay_alu instid0(VALU_DEP_1) | instskip(SKIP_1) | instid1(SALU_CYCLE_1)
	v_cmp_gt_i32_e32 vcc_lo, s97, v42
	s_and_b32 s13, s0, vcc_lo
	s_and_saveexec_b32 s12, s13
	s_cbranch_execz .LBB142_975
; %bb.972:                              ;   in Loop: Header=BB142_956 Depth=2
	v_cmp_ne_u32_e32 vcc_lo, 1, v81
	v_mov_b64_e32 v[42:43], v[30:31]
	s_cbranch_vccnz .LBB142_974
; %bb.973:                              ;   in Loop: Header=BB142_956 Depth=2
	v_add_nc_u64_e32 v[42:43], s[90:91], v[40:41]
	flat_load_b64 v[42:43], v[42:43]
.LBB142_974:                            ;   in Loop: Header=BB142_956 Depth=2
	ds_load_b64 v[82:83], v70 offset:256
	s_wait_loadcnt_dscnt 0x0
	v_fmac_f64_e32 v[38:39], v[42:43], v[82:83]
.LBB142_975:                            ;   in Loop: Header=BB142_956 Depth=2
	s_or_b32 exec_lo, exec_lo, s12
	v_add_nc_u32_e32 v0, 48, v0
	s_delay_alu instid0(VALU_DEP_1) | instskip(SKIP_1) | instid1(SALU_CYCLE_1)
	v_cmp_gt_i32_e32 vcc_lo, s97, v0
	s_and_b32 s13, s0, vcc_lo
	s_and_saveexec_b32 s12, s13
	s_cbranch_execz .LBB142_955
; %bb.976:                              ;   in Loop: Header=BB142_956 Depth=2
	v_cmp_ne_u32_e32 vcc_lo, 1, v81
	v_mov_b64_e32 v[42:43], v[32:33]
	s_cbranch_vccnz .LBB142_954
; %bb.977:                              ;   in Loop: Header=BB142_956 Depth=2
	v_add_nc_u64_e32 v[40:41], s[92:93], v[40:41]
	flat_load_b64 v[42:43], v[40:41]
	s_branch .LBB142_954
.LBB142_978:                            ;   in Loop: Header=BB142_3 Depth=1
	ds_store_b64 v72, v[38:39]
	s_wait_dscnt 0x0
	s_barrier_signal -1
	s_barrier_wait -1
	s_and_saveexec_b32 s11, s5
	s_cbranch_execz .LBB142_980
; %bb.979:                              ;   in Loop: Header=BB142_3 Depth=1
	ds_load_2addr_stride64_b64 v[40:43], v73 offset0:1 offset1:2
	ds_load_2addr_stride64_b64 v[80:83], v73 offset0:3 offset1:4
	s_wait_dscnt 0x1
	v_add_f64_e32 v[34:35], v[38:39], v[40:41]
	s_delay_alu instid0(VALU_DEP_1) | instskip(SKIP_1) | instid1(VALU_DEP_1)
	v_add_f64_e32 v[34:35], v[34:35], v[42:43]
	s_wait_dscnt 0x0
	v_add_f64_e32 v[34:35], v[34:35], v[80:81]
	s_delay_alu instid0(VALU_DEP_1) | instskip(SKIP_4) | instid1(VALU_DEP_1)
	v_add_f64_e32 v[34:35], v[34:35], v[82:83]
	ds_load_2addr_stride64_b64 v[38:41], v73 offset0:5 offset1:6
	ds_load_2addr_stride64_b64 v[80:83], v73 offset0:7 offset1:8
	s_wait_dscnt 0x1
	v_add_f64_e32 v[34:35], v[34:35], v[38:39]
	v_add_f64_e32 v[34:35], v[34:35], v[40:41]
	s_wait_dscnt 0x0
	s_delay_alu instid0(VALU_DEP_1) | instskip(NEXT) | instid1(VALU_DEP_1)
	v_add_f64_e32 v[34:35], v[34:35], v[80:81]
	v_add_f64_e32 v[34:35], v[34:35], v[82:83]
	ds_load_2addr_stride64_b64 v[38:41], v73 offset0:9 offset1:10
	ds_load_2addr_stride64_b64 v[80:83], v73 offset0:11 offset1:12
	s_wait_dscnt 0x1
	v_add_f64_e32 v[34:35], v[34:35], v[38:39]
	s_delay_alu instid0(VALU_DEP_1) | instskip(SKIP_4) | instid1(VALU_DEP_1)
	v_add_f64_e32 v[34:35], v[34:35], v[40:41]
	ds_load_2addr_stride64_b64 v[38:41], v73 offset0:13 offset1:14
	ds_load_b64 v[42:43], v73 offset:7680
	s_wait_dscnt 0x2
	v_add_f64_e32 v[34:35], v[34:35], v[80:81]
	v_add_f64_e32 v[34:35], v[34:35], v[82:83]
	s_wait_dscnt 0x1
	s_delay_alu instid0(VALU_DEP_1) | instskip(NEXT) | instid1(VALU_DEP_1)
	v_add_f64_e32 v[34:35], v[34:35], v[38:39]
	v_add_f64_e32 v[34:35], v[34:35], v[40:41]
	s_wait_dscnt 0x0
	s_delay_alu instid0(VALU_DEP_1) | instskip(NEXT) | instid1(VALU_DEP_1)
	v_add_f64_e32 v[34:35], v[34:35], v[42:43]
	v_xor_b32_e32 v0, 0x80000000, v35
	s_delay_alu instid0(VALU_DEP_2) | instskip(NEXT) | instid1(VALU_DEP_2)
	v_cndmask_b32_e64 v38, v34, 0, s58
	v_cndmask_b32_e64 v39, v0, 0, s58
.LBB142_980:                            ;   in Loop: Header=BB142_3 Depth=1
	s_or_b32 exec_lo, exec_lo, s11
	s_delay_alu instid0(SALU_CYCLE_1)
	s_and_not1_b32 vcc_lo, exec_lo, s101
	s_cbranch_vccnz .LBB142_993
; %bb.981:                              ;   in Loop: Header=BB142_3 Depth=1
	s_and_saveexec_b32 s11, s5
; %bb.982:                              ;   in Loop: Header=BB142_3 Depth=1
	ds_store_b64 v75, v[38:39]
; %bb.983:                              ;   in Loop: Header=BB142_3 Depth=1
	s_or_b32 exec_lo, exec_lo, s11
	v_mov_b64_e32 v[34:35], 0
	s_wait_dscnt 0x0
	s_barrier_signal -1
	s_barrier_wait -1
	s_mov_b32 s11, exec_lo
	v_readlane_b32 s12, v85, 28
	s_and_b32 s12, s11, s12
	s_delay_alu instid0(SALU_CYCLE_1)
	s_mov_b32 exec_lo, s12
	s_cbranch_execz .LBB142_985
; %bb.984:                              ;   in Loop: Header=BB142_3 Depth=1
	ds_load_b64 v[34:35], v74
	ds_load_b64 v[40:41], v70
	s_wait_dscnt 0x0
	v_fma_f64 v[34:35], v[34:35], v[40:41], 0
.LBB142_985:                            ;   in Loop: Header=BB142_3 Depth=1
	s_or_b32 exec_lo, exec_lo, s11
	s_delay_alu instid0(SALU_CYCLE_1) | instskip(SKIP_2) | instid1(SALU_CYCLE_1)
	s_mov_b32 s11, exec_lo
	v_readlane_b32 s12, v85, 29
	s_and_b32 s12, s11, s12
	s_mov_b32 exec_lo, s12
	s_cbranch_execz .LBB142_987
; %bb.986:                              ;   in Loop: Header=BB142_3 Depth=1
	ds_load_b64 v[40:41], v74 offset:8192
	ds_load_b64 v[42:43], v70 offset:128
	s_wait_dscnt 0x0
	v_fmac_f64_e32 v[34:35], v[40:41], v[42:43]
.LBB142_987:                            ;   in Loop: Header=BB142_3 Depth=1
	s_or_b32 exec_lo, exec_lo, s11
	s_delay_alu instid0(SALU_CYCLE_1) | instskip(SKIP_2) | instid1(SALU_CYCLE_1)
	s_mov_b32 s11, exec_lo
	v_readlane_b32 s12, v85, 30
	s_and_b32 s12, s11, s12
	s_mov_b32 exec_lo, s12
	s_cbranch_execz .LBB142_989
; %bb.988:                              ;   in Loop: Header=BB142_3 Depth=1
	ds_load_b64 v[40:41], v74 offset:16384
	ds_load_b64 v[42:43], v70 offset:256
	s_wait_dscnt 0x0
	v_fmac_f64_e32 v[34:35], v[40:41], v[42:43]
.LBB142_989:                            ;   in Loop: Header=BB142_3 Depth=1
	;; [unrolled: 13-line block ×3, first 2 shown]
	s_or_b32 exec_lo, exec_lo, s11
	s_mov_b32 s11, 0
	s_mov_b32 s69, 0
	ds_store_b64 v72, v[34:35]
	s_wait_dscnt 0x0
	s_barrier_signal -1
	s_barrier_wait -1
                                        ; implicit-def: $vgpr40_vgpr41
	s_and_saveexec_b32 s94, s5
	s_cbranch_execz .LBB142_1029
; %bb.992:                              ;   in Loop: Header=BB142_3 Depth=1
	ds_load_2addr_stride64_b64 v[40:43], v73 offset0:1 offset1:2
	ds_load_2addr_stride64_b64 v[80:83], v73 offset0:3 offset1:4
	s_mov_b32 s69, exec_lo
	s_wait_dscnt 0x1
	v_add_f64_e32 v[34:35], v[34:35], v[40:41]
	s_delay_alu instid0(VALU_DEP_1) | instskip(SKIP_1) | instid1(VALU_DEP_1)
	v_add_f64_e32 v[34:35], v[42:43], v[34:35]
	s_wait_dscnt 0x0
	v_add_f64_e32 v[34:35], v[80:81], v[34:35]
	s_delay_alu instid0(VALU_DEP_1) | instskip(SKIP_4) | instid1(VALU_DEP_1)
	v_add_f64_e32 v[34:35], v[82:83], v[34:35]
	ds_load_2addr_stride64_b64 v[40:43], v73 offset0:5 offset1:6
	ds_load_2addr_stride64_b64 v[80:83], v73 offset0:7 offset1:8
	s_wait_dscnt 0x1
	v_add_f64_e32 v[34:35], v[40:41], v[34:35]
	v_add_f64_e32 v[34:35], v[42:43], v[34:35]
	s_wait_dscnt 0x0
	s_delay_alu instid0(VALU_DEP_1) | instskip(NEXT) | instid1(VALU_DEP_1)
	v_add_f64_e32 v[34:35], v[80:81], v[34:35]
	v_add_f64_e32 v[34:35], v[82:83], v[34:35]
	ds_load_2addr_stride64_b64 v[40:43], v73 offset0:9 offset1:10
	ds_load_2addr_stride64_b64 v[80:83], v73 offset0:11 offset1:12
	s_wait_dscnt 0x1
	v_add_f64_e32 v[34:35], v[40:41], v[34:35]
	s_delay_alu instid0(VALU_DEP_1) | instskip(SKIP_1) | instid1(VALU_DEP_1)
	v_add_f64_e32 v[34:35], v[42:43], v[34:35]
	s_wait_dscnt 0x0
	v_add_f64_e32 v[34:35], v[80:81], v[34:35]
	ds_load_2addr_stride64_b64 v[40:43], v73 offset0:13 offset1:14
	ds_load_b64 v[80:81], v73 offset:7680
	v_add_f64_e32 v[34:35], v[82:83], v[34:35]
	s_wait_dscnt 0x1
	s_delay_alu instid0(VALU_DEP_1) | instskip(NEXT) | instid1(VALU_DEP_1)
	v_add_f64_e32 v[34:35], v[40:41], v[34:35]
	v_add_f64_e32 v[34:35], v[42:43], v[34:35]
	s_wait_dscnt 0x0
	s_delay_alu instid0(VALU_DEP_1) | instskip(SKIP_1) | instid1(SALU_CYCLE_1)
	v_add_f64_e32 v[40:41], v[80:81], v[34:35]
	s_or_b32 exec_lo, exec_lo, s94
	s_and_b32 vcc_lo, exec_lo, s11
	s_cbranch_vccnz .LBB142_994
	s_branch .LBB142_1030
.LBB142_993:                            ;   in Loop: Header=BB142_3 Depth=1
	s_mov_b32 s69, 0
                                        ; implicit-def: $vgpr40_vgpr41
	s_cbranch_execz .LBB142_1030
.LBB142_994:                            ;   in Loop: Header=BB142_3 Depth=1
	v_dual_mov_b32 v0, v2 :: v_dual_mov_b32 v34, v48
	s_mov_b32 s11, 0
	s_branch .LBB142_996
.LBB142_995:                            ;   in Loop: Header=BB142_996 Depth=2
	s_or_b32 exec_lo, exec_lo, s12
	v_add_nc_u32_e32 v34, 0x800, v34
	v_add_nc_u32_e32 v0, -4, v0
	s_add_co_i32 s11, s11, 4
	s_delay_alu instid0(SALU_CYCLE_1)
	s_cmp_lg_u32 s11, 64
	s_barrier_signal -1
	s_barrier_wait -1
	s_cbranch_scc0 .LBB142_1012
.LBB142_996:                            ;   Parent Loop BB142_3 Depth=1
                                        ; =>  This Inner Loop Header: Depth=2
	s_delay_alu instid0(VALU_DEP_1) | instskip(SKIP_1) | instid1(SALU_CYCLE_1)
	v_cmp_eq_u32_e32 vcc_lo, 0, v0
	s_and_b32 s13, s5, vcc_lo
	s_and_saveexec_b32 s12, s13
	s_cbranch_execz .LBB142_998
; %bb.997:                              ;   in Loop: Header=BB142_996 Depth=2
	ds_load_b64 v[40:41], v5
	s_wait_dscnt 0x0
	v_mul_f64_e32 v[38:39], v[38:39], v[40:41]
	ds_store_b64 v1, v[38:39] offset:41472
.LBB142_998:                            ;   in Loop: Header=BB142_996 Depth=2
	s_or_b32 exec_lo, exec_lo, s12
	v_cmp_lt_u32_e32 vcc_lo, s11, v2
	s_wait_dscnt 0x0
	s_barrier_signal -1
	s_barrier_wait -1
	s_and_b32 s13, s5, vcc_lo
	s_delay_alu instid0(SALU_CYCLE_1)
	s_and_saveexec_b32 s12, s13
	s_cbranch_execz .LBB142_1000
; %bb.999:                              ;   in Loop: Header=BB142_996 Depth=2
	ds_load_b64 v[40:41], v34
	ds_load_b64 v[42:43], v1 offset:41472
	s_wait_dscnt 0x0
	v_fmac_f64_e32 v[38:39], v[40:41], v[42:43]
.LBB142_1000:                           ;   in Loop: Header=BB142_996 Depth=2
	s_or_b32 exec_lo, exec_lo, s12
	s_or_b32 s12, s11, 1
	s_delay_alu instid0(SALU_CYCLE_1) | instskip(SKIP_3) | instid1(SALU_CYCLE_1)
	v_cmp_eq_u32_e32 vcc_lo, s12, v2
	s_barrier_signal -1
	s_barrier_wait -1
	s_and_b32 s94, s5, vcc_lo
	s_and_saveexec_b32 s13, s94
	s_cbranch_execz .LBB142_1002
; %bb.1001:                             ;   in Loop: Header=BB142_996 Depth=2
	ds_load_b64 v[40:41], v5
	s_wait_dscnt 0x0
	v_mul_f64_e32 v[38:39], v[38:39], v[40:41]
	ds_store_b64 v1, v[38:39] offset:41472
.LBB142_1002:                           ;   in Loop: Header=BB142_996 Depth=2
	s_or_b32 exec_lo, exec_lo, s13
	v_cmp_lt_u32_e32 vcc_lo, s12, v2
	s_wait_dscnt 0x0
	s_barrier_signal -1
	s_barrier_wait -1
	s_and_b32 s13, s5, vcc_lo
	s_delay_alu instid0(SALU_CYCLE_1)
	s_and_saveexec_b32 s12, s13
	s_cbranch_execz .LBB142_1004
; %bb.1003:                             ;   in Loop: Header=BB142_996 Depth=2
	ds_load_b64 v[40:41], v34 offset:512
	ds_load_b64 v[42:43], v1 offset:41472
	s_wait_dscnt 0x0
	v_fmac_f64_e32 v[38:39], v[40:41], v[42:43]
.LBB142_1004:                           ;   in Loop: Header=BB142_996 Depth=2
	s_or_b32 exec_lo, exec_lo, s12
	s_or_b32 s12, s11, 2
	s_delay_alu instid0(SALU_CYCLE_1) | instskip(SKIP_3) | instid1(SALU_CYCLE_1)
	v_cmp_eq_u32_e32 vcc_lo, s12, v2
	s_barrier_signal -1
	s_barrier_wait -1
	s_and_b32 s94, s5, vcc_lo
	s_and_saveexec_b32 s13, s94
	s_cbranch_execz .LBB142_1006
; %bb.1005:                             ;   in Loop: Header=BB142_996 Depth=2
	ds_load_b64 v[40:41], v5
	s_wait_dscnt 0x0
	v_mul_f64_e32 v[38:39], v[38:39], v[40:41]
	ds_store_b64 v1, v[38:39] offset:41472
.LBB142_1006:                           ;   in Loop: Header=BB142_996 Depth=2
	s_or_b32 exec_lo, exec_lo, s13
	v_cmp_lt_u32_e32 vcc_lo, s12, v2
	s_wait_dscnt 0x0
	s_barrier_signal -1
	s_barrier_wait -1
	s_and_b32 s13, s5, vcc_lo
	s_delay_alu instid0(SALU_CYCLE_1)
	s_and_saveexec_b32 s12, s13
	s_cbranch_execz .LBB142_1008
; %bb.1007:                             ;   in Loop: Header=BB142_996 Depth=2
	ds_load_b64 v[40:41], v34 offset:1024
	ds_load_b64 v[42:43], v1 offset:41472
	s_wait_dscnt 0x0
	v_fmac_f64_e32 v[38:39], v[40:41], v[42:43]
.LBB142_1008:                           ;   in Loop: Header=BB142_996 Depth=2
	s_or_b32 exec_lo, exec_lo, s12
	s_or_b32 s12, s11, 3
	s_delay_alu instid0(SALU_CYCLE_1) | instskip(SKIP_3) | instid1(SALU_CYCLE_1)
	v_cmp_eq_u32_e32 vcc_lo, s12, v2
	s_barrier_signal -1
	s_barrier_wait -1
	s_and_b32 s94, s5, vcc_lo
	s_and_saveexec_b32 s13, s94
	s_cbranch_execz .LBB142_1010
; %bb.1009:                             ;   in Loop: Header=BB142_996 Depth=2
	ds_load_b64 v[40:41], v5
	s_wait_dscnt 0x0
	v_mul_f64_e32 v[38:39], v[38:39], v[40:41]
	ds_store_b64 v1, v[38:39] offset:41472
.LBB142_1010:                           ;   in Loop: Header=BB142_996 Depth=2
	s_or_b32 exec_lo, exec_lo, s13
	v_cmp_lt_u32_e32 vcc_lo, s12, v2
	s_wait_dscnt 0x0
	s_barrier_signal -1
	s_barrier_wait -1
	s_and_b32 s13, s5, vcc_lo
	s_delay_alu instid0(SALU_CYCLE_1)
	s_and_saveexec_b32 s12, s13
	s_cbranch_execz .LBB142_995
; %bb.1011:                             ;   in Loop: Header=BB142_996 Depth=2
	ds_load_b64 v[40:41], v34 offset:1536
	ds_load_b64 v[42:43], v1 offset:41472
	s_wait_dscnt 0x0
	v_fmac_f64_e32 v[38:39], v[40:41], v[42:43]
	s_branch .LBB142_995
.LBB142_1012:                           ;   in Loop: Header=BB142_3 Depth=1
	s_and_b32 vcc_lo, exec_lo, s100
	s_mov_b32 s11, -1
	s_cbranch_vccz .LBB142_1014
; %bb.1013:                             ;   in Loop: Header=BB142_3 Depth=1
	s_and_not1_b32 s12, s69, exec_lo
	s_and_b32 s13, s5, exec_lo
	s_mov_b32 s11, 0
	s_or_b32 s69, s12, s13
.LBB142_1014:                           ;   in Loop: Header=BB142_3 Depth=1
	s_and_not1_b32 vcc_lo, exec_lo, s11
	s_cbranch_vccnz .LBB142_1016
; %bb.1015:                             ;   in Loop: Header=BB142_3 Depth=1
	v_readlane_b32 s12, v86, 8
	s_and_not1_b32 s11, s69, exec_lo
	s_and_b32 s12, s12, exec_lo
	s_delay_alu instid0(SALU_CYCLE_1)
	s_or_b32 s69, s11, s12
.LBB142_1016:                           ;   in Loop: Header=BB142_3 Depth=1
	v_mov_b64_e32 v[34:35], v[10:11]
	s_and_saveexec_b32 s11, s69
	s_cbranch_execnz .LBB142_1031
	s_branch .LBB142_1032
.LBB142_1017:                           ;   in Loop: Header=BB142_3 Depth=1
	s_mov_b32 s12, exec_lo
	v_readlane_b32 s13, v86, 21
	s_and_b32 s13, s12, s13
	s_delay_alu instid0(SALU_CYCLE_1)
	s_xor_b32 s12, s13, s12
	s_mov_b32 exec_lo, s13
	s_cbranch_execz .LBB142_1019
; %bb.1018:                             ;   in Loop: Header=BB142_3 Depth=1
	v_readlane_b32 s13, v84, 0
	s_and_b32 s69, s13, exec_lo
.LBB142_1019:                           ;   in Loop: Header=BB142_3 Depth=1
	s_or_saveexec_b32 s94, s12
	v_mov_b64_e32 v[38:39], 0
	s_xor_b32 exec_lo, exec_lo, s94
	s_cbranch_execz .LBB142_1021
; %bb.1020:                             ;   in Loop: Header=BB142_3 Depth=1
	v_lshl_add_u64 v[38:39], v[12:13], 3, v[34:35]
	s_or_b32 s69, s69, exec_lo
	flat_load_b64 v[38:39], v[38:39]
	s_wait_loadcnt_dscnt 0x0
	v_div_scale_f64 v[40:41], null, v[38:39], v[38:39], 1.0
	s_delay_alu instid0(VALU_DEP_1) | instskip(SKIP_1) | instid1(TRANS32_DEP_1)
	v_rcp_f64_e32 v[42:43], v[40:41]
	v_nop
	v_fma_f64 v[80:81], -v[40:41], v[42:43], 1.0
	s_delay_alu instid0(VALU_DEP_1) | instskip(NEXT) | instid1(VALU_DEP_1)
	v_fmac_f64_e32 v[42:43], v[42:43], v[80:81]
	v_fma_f64 v[80:81], -v[40:41], v[42:43], 1.0
	s_delay_alu instid0(VALU_DEP_1) | instskip(SKIP_1) | instid1(VALU_DEP_1)
	v_fmac_f64_e32 v[42:43], v[42:43], v[80:81]
	v_div_scale_f64 v[80:81], vcc_lo, 1.0, v[38:39], 1.0
	v_mul_f64_e32 v[82:83], v[80:81], v[42:43]
	s_delay_alu instid0(VALU_DEP_1) | instskip(NEXT) | instid1(VALU_DEP_1)
	v_fma_f64 v[40:41], -v[40:41], v[82:83], v[80:81]
	v_div_fmas_f64 v[40:41], v[40:41], v[42:43], v[82:83]
	s_delay_alu instid0(VALU_DEP_1)
	v_div_fixup_f64 v[38:39], v[40:41], v[38:39], 1.0
.LBB142_1021:                           ;   in Loop: Header=BB142_3 Depth=1
	s_or_b32 exec_lo, exec_lo, s94
	s_delay_alu instid0(SALU_CYCLE_1)
	s_and_b32 s69, s69, exec_lo
	s_and_not1_saveexec_b32 s11, s11
	s_cbranch_execz .LBB142_17
.LBB142_1022:                           ;   in Loop: Header=BB142_3 Depth=1
	v_lshl_add_u64 v[38:39], v[12:13], 3, v[34:35]
	s_or_b32 s69, s69, exec_lo
	flat_load_b64 v[38:39], v[38:39]
	s_wait_loadcnt_dscnt 0x0
	v_xor_b32_e32 v39, 0x80000000, v39
	s_or_b32 exec_lo, exec_lo, s11
	s_and_saveexec_b32 s11, s69
	s_cbranch_execnz .LBB142_18
	s_branch .LBB142_19
.LBB142_1023:                           ;   in Loop: Header=BB142_3 Depth=1
	s_mov_b32 s12, exec_lo
	v_readlane_b32 s13, v86, 22
	s_and_b32 s13, s12, s13
	s_delay_alu instid0(SALU_CYCLE_1)
	s_xor_b32 s12, s13, s12
	s_mov_b32 exec_lo, s13
	s_cbranch_execz .LBB142_1025
; %bb.1024:                             ;   in Loop: Header=BB142_3 Depth=1
	v_readlane_b32 s13, v84, 0
	s_and_b32 s69, s13, exec_lo
.LBB142_1025:                           ;   in Loop: Header=BB142_3 Depth=1
	s_or_saveexec_b32 s94, s12
	v_mov_b64_e32 v[38:39], 0
	s_xor_b32 exec_lo, exec_lo, s94
	s_cbranch_execz .LBB142_1027
; %bb.1026:                             ;   in Loop: Header=BB142_3 Depth=1
	v_lshl_add_u64 v[38:39], v[12:13], 3, v[34:35]
	s_or_b32 s69, s69, exec_lo
	flat_load_b64 v[38:39], v[38:39]
	s_wait_loadcnt_dscnt 0x0
	v_div_scale_f64 v[40:41], null, v[38:39], v[38:39], 1.0
	s_delay_alu instid0(VALU_DEP_1) | instskip(SKIP_1) | instid1(TRANS32_DEP_1)
	v_rcp_f64_e32 v[42:43], v[40:41]
	v_nop
	v_fma_f64 v[80:81], -v[40:41], v[42:43], 1.0
	s_delay_alu instid0(VALU_DEP_1) | instskip(NEXT) | instid1(VALU_DEP_1)
	v_fmac_f64_e32 v[42:43], v[42:43], v[80:81]
	v_fma_f64 v[80:81], -v[40:41], v[42:43], 1.0
	s_delay_alu instid0(VALU_DEP_1) | instskip(SKIP_1) | instid1(VALU_DEP_1)
	v_fmac_f64_e32 v[42:43], v[42:43], v[80:81]
	v_div_scale_f64 v[80:81], vcc_lo, 1.0, v[38:39], 1.0
	v_mul_f64_e32 v[82:83], v[80:81], v[42:43]
	s_delay_alu instid0(VALU_DEP_1) | instskip(NEXT) | instid1(VALU_DEP_1)
	v_fma_f64 v[40:41], -v[40:41], v[82:83], v[80:81]
	v_div_fmas_f64 v[40:41], v[40:41], v[42:43], v[82:83]
	s_delay_alu instid0(VALU_DEP_1)
	v_div_fixup_f64 v[38:39], v[40:41], v[38:39], 1.0
.LBB142_1027:                           ;   in Loop: Header=BB142_3 Depth=1
	s_or_b32 exec_lo, exec_lo, s94
	s_delay_alu instid0(SALU_CYCLE_1)
	s_and_b32 s69, s69, exec_lo
	s_and_not1_saveexec_b32 s11, s11
	s_cbranch_execz .LBB142_52
.LBB142_1028:                           ;   in Loop: Header=BB142_3 Depth=1
	v_lshl_add_u64 v[38:39], v[12:13], 3, v[34:35]
	s_or_b32 s69, s69, exec_lo
	flat_load_b64 v[38:39], v[38:39]
	s_wait_loadcnt_dscnt 0x0
	v_xor_b32_e32 v39, 0x80000000, v39
	s_or_b32 exec_lo, exec_lo, s11
	s_and_saveexec_b32 s11, s69
	s_cbranch_execnz .LBB142_53
	s_branch .LBB142_54
.LBB142_1029:                           ;   in Loop: Header=BB142_3 Depth=1
	s_or_b32 exec_lo, exec_lo, s94
	s_delay_alu instid0(SALU_CYCLE_1)
	s_and_b32 vcc_lo, exec_lo, s11
	s_cbranch_vccnz .LBB142_994
.LBB142_1030:                           ;   in Loop: Header=BB142_3 Depth=1
	s_delay_alu instid0(VALU_DEP_1)
	v_mov_b64_e32 v[38:39], v[40:41]
	v_mov_b64_e32 v[34:35], v[22:23]
	s_and_saveexec_b32 s11, s69
	s_cbranch_execz .LBB142_1032
.LBB142_1031:                           ;   in Loop: Header=BB142_3 Depth=1
	s_delay_alu instid0(VALU_DEP_1)
	v_lshl_add_u64 v[34:35], v[34:35], 3, v[36:37]
	flat_store_b64 v[34:35], v[38:39]
.LBB142_1032:                           ;   in Loop: Header=BB142_3 Depth=1
	s_wait_xcnt 0x0
	s_or_b32 exec_lo, exec_lo, s11
	global_wb scope:SCOPE_DEV
	s_wait_storecnt_dscnt 0x0
	global_inv scope:SCOPE_DEV
	s_wait_loadcnt 0x0
	s_barrier_signal -1
	s_barrier_wait -1
	s_and_saveexec_b32 s11, s59
	s_cbranch_execz .LBB142_2
; %bb.1033:                             ;   in Loop: Header=BB142_3 Depth=1
	s_lshl_b64 s[12:13], s[70:71], 2
	s_delay_alu instid0(SALU_CYCLE_1)
	s_add_nc_u64 s[12:13], s[86:87], s[12:13]
	global_load_b32 v0, v1, s[12:13]
	s_wait_loadcnt 0x0
	v_add_nc_u32_e32 v0, 1, v0
	global_store_b32 v1, v0, s[12:13]
	s_branch .LBB142_2
.LBB142_1034:                           ;   in Loop: Header=BB142_3 Depth=1
	ds_load_b64 v[40:41], v53 offset:544
	ds_load_b64 v[42:43], v49 offset:8
	s_wait_dscnt 0x0
	v_fmac_f64_e32 v[38:39], v[40:41], v[42:43]
	s_or_b32 exec_lo, exec_lo, s12
	s_and_saveexec_b32 s12, s17
	s_cbranch_execz .LBB142_105
.LBB142_1035:                           ;   in Loop: Header=BB142_3 Depth=1
	ds_load_b64 v[40:41], v52 offset:1056
	ds_load_b64 v[42:43], v49 offset:16
	s_wait_dscnt 0x0
	v_fmac_f64_e32 v[38:39], v[40:41], v[42:43]
	s_or_b32 exec_lo, exec_lo, s12
	s_and_saveexec_b32 s12, s1
	s_cbranch_execnz .LBB142_106
	s_branch .LBB142_107
.LBB142_1036:                           ;   in Loop: Header=BB142_3 Depth=1
	ds_load_b64 v[40:41], v58 offset:576
	ds_load_b64 v[42:43], v54 offset:8
	s_wait_dscnt 0x0
	v_fmac_f64_e32 v[38:39], v[40:41], v[42:43]
	s_or_b32 exec_lo, exec_lo, s12
	s_and_saveexec_b32 s12, s19
	s_cbranch_execz .LBB142_143
.LBB142_1037:                           ;   in Loop: Header=BB142_3 Depth=1
	ds_load_b64 v[40:41], v58 offset:1088
	ds_load_b64 v[42:43], v54 offset:16
	s_wait_dscnt 0x0
	v_fmac_f64_e32 v[38:39], v[40:41], v[42:43]
	s_or_b32 exec_lo, exec_lo, s12
	s_and_saveexec_b32 s12, s20
	s_cbranch_execz .LBB142_144
.LBB142_1038:                           ;   in Loop: Header=BB142_3 Depth=1
	ds_load_b64 v[40:41], v58 offset:1600
	ds_load_b64 v[42:43], v54 offset:24
	s_wait_dscnt 0x0
	v_fmac_f64_e32 v[38:39], v[40:41], v[42:43]
	s_or_b32 exec_lo, exec_lo, s12
	s_and_saveexec_b32 s12, s21
	s_cbranch_execz .LBB142_145
.LBB142_1039:                           ;   in Loop: Header=BB142_3 Depth=1
	ds_load_b64 v[40:41], v57 offset:2112
	ds_load_b64 v[42:43], v54 offset:32
	s_wait_dscnt 0x0
	v_fmac_f64_e32 v[38:39], v[40:41], v[42:43]
	s_or_b32 exec_lo, exec_lo, s12
	s_and_saveexec_b32 s12, s22
	s_cbranch_execz .LBB142_146
.LBB142_1040:                           ;   in Loop: Header=BB142_3 Depth=1
	ds_load_b64 v[40:41], v58 offset:2624
	ds_load_b64 v[42:43], v54 offset:40
	s_wait_dscnt 0x0
	v_fmac_f64_e32 v[38:39], v[40:41], v[42:43]
	s_or_b32 exec_lo, exec_lo, s12
	s_and_saveexec_b32 s12, s2
	s_cbranch_execz .LBB142_147
.LBB142_1041:                           ;   in Loop: Header=BB142_3 Depth=1
	ds_load_b64 v[40:41], v57 offset:3136
	ds_load_b64 v[42:43], v54 offset:48
	s_wait_dscnt 0x0
	v_fmac_f64_e32 v[38:39], v[40:41], v[42:43]
	s_or_b32 exec_lo, exec_lo, s12
	s_and_saveexec_b32 s12, s17
	s_cbranch_execnz .LBB142_148
	s_branch .LBB142_149
.LBB142_1042:                           ;   in Loop: Header=BB142_3 Depth=1
	ds_load_b64 v[40:41], v53 offset:4704
	ds_load_b64 v[42:43], v49 offset:4168
	s_wait_dscnt 0x0
	v_fmac_f64_e32 v[38:39], v[40:41], v[42:43]
	s_or_b32 exec_lo, exec_lo, s12
	s_and_saveexec_b32 s12, s17
	s_cbranch_execz .LBB142_201
.LBB142_1043:                           ;   in Loop: Header=BB142_3 Depth=1
	ds_load_b64 v[40:41], v52 offset:5216
	ds_load_b64 v[42:43], v49 offset:4176
	s_wait_dscnt 0x0
	v_fmac_f64_e32 v[38:39], v[40:41], v[42:43]
	s_or_b32 exec_lo, exec_lo, s12
	s_and_saveexec_b32 s12, s1
	s_cbranch_execnz .LBB142_202
	s_branch .LBB142_203
.LBB142_1044:                           ;   in Loop: Header=BB142_3 Depth=1
	ds_load_b64 v[40:41], v63 offset:5760
	ds_load_b64 v[42:43], v59 offset:88
	s_wait_dscnt 0x0
	v_fmac_f64_e32 v[38:39], v[40:41], v[42:43]
	s_or_b32 exec_lo, exec_lo, s11
	s_and_saveexec_b32 s11, s3
	s_cbranch_execz .LBB142_259
.LBB142_1045:                           ;   in Loop: Header=BB142_3 Depth=1
	ds_load_b64 v[40:41], v62 offset:6272
	ds_load_b64 v[42:43], v59 offset:96
	s_wait_dscnt 0x0
	v_fmac_f64_e32 v[38:39], v[40:41], v[42:43]
	s_or_b32 exec_lo, exec_lo, s11
	s_and_saveexec_b32 s11, s19
	s_cbranch_execz .LBB142_260
.LBB142_1046:                           ;   in Loop: Header=BB142_3 Depth=1
	ds_load_b64 v[40:41], v63 offset:6784
	ds_load_b64 v[42:43], v59 offset:104
	s_wait_dscnt 0x0
	v_fmac_f64_e32 v[38:39], v[40:41], v[42:43]
	s_or_b32 exec_lo, exec_lo, s11
	s_and_saveexec_b32 s11, s21
	s_cbranch_execz .LBB142_261
.LBB142_1047:                           ;   in Loop: Header=BB142_3 Depth=1
	ds_load_b64 v[40:41], v62 offset:7296
	ds_load_b64 v[42:43], v59 offset:112
	s_wait_dscnt 0x0
	v_fmac_f64_e32 v[38:39], v[40:41], v[42:43]
	s_or_b32 exec_lo, exec_lo, s11
	s_and_saveexec_b32 s11, s2
	s_cbranch_execnz .LBB142_262
	s_branch .LBB142_263
.LBB142_1048:                           ;   in Loop: Header=BB142_3 Depth=1
	ds_load_b64 v[40:41], v53 offset:8864
	ds_load_b64 v[42:43], v49 offset:8328
	s_wait_dscnt 0x0
	v_fmac_f64_e32 v[38:39], v[40:41], v[42:43]
	s_or_b32 exec_lo, exec_lo, s12
	s_and_saveexec_b32 s12, s17
	s_cbranch_execz .LBB142_347
.LBB142_1049:                           ;   in Loop: Header=BB142_3 Depth=1
	ds_load_b64 v[40:41], v52 offset:9376
	ds_load_b64 v[42:43], v49 offset:8336
	s_wait_dscnt 0x0
	v_fmac_f64_e32 v[38:39], v[40:41], v[42:43]
	s_or_b32 exec_lo, exec_lo, s12
	s_and_saveexec_b32 s12, s1
	s_cbranch_execnz .LBB142_348
	s_branch .LBB142_349
.LBB142_1050:                           ;   in Loop: Header=BB142_3 Depth=1
	ds_load_b64 v[40:41], v58 offset:8896
	ds_load_b64 v[42:43], v54 offset:8328
	s_wait_dscnt 0x0
	v_fmac_f64_e32 v[38:39], v[40:41], v[42:43]
	s_or_b32 exec_lo, exec_lo, s12
	s_and_saveexec_b32 s12, s19
	s_cbranch_execz .LBB142_385
.LBB142_1051:                           ;   in Loop: Header=BB142_3 Depth=1
	ds_load_b64 v[40:41], v58 offset:9408
	ds_load_b64 v[42:43], v54 offset:8336
	s_wait_dscnt 0x0
	v_fmac_f64_e32 v[38:39], v[40:41], v[42:43]
	s_or_b32 exec_lo, exec_lo, s12
	s_and_saveexec_b32 s12, s20
	s_cbranch_execz .LBB142_386
.LBB142_1052:                           ;   in Loop: Header=BB142_3 Depth=1
	ds_load_b64 v[40:41], v58 offset:9920
	ds_load_b64 v[42:43], v54 offset:8344
	s_wait_dscnt 0x0
	v_fmac_f64_e32 v[38:39], v[40:41], v[42:43]
	s_or_b32 exec_lo, exec_lo, s12
	s_and_saveexec_b32 s12, s21
	s_cbranch_execz .LBB142_387
.LBB142_1053:                           ;   in Loop: Header=BB142_3 Depth=1
	ds_load_b64 v[40:41], v57 offset:10432
	ds_load_b64 v[42:43], v54 offset:8352
	s_wait_dscnt 0x0
	v_fmac_f64_e32 v[38:39], v[40:41], v[42:43]
	s_or_b32 exec_lo, exec_lo, s12
	s_and_saveexec_b32 s12, s22
	s_cbranch_execz .LBB142_388
.LBB142_1054:                           ;   in Loop: Header=BB142_3 Depth=1
	ds_load_b64 v[40:41], v58 offset:10944
	ds_load_b64 v[42:43], v54 offset:8360
	s_wait_dscnt 0x0
	v_fmac_f64_e32 v[38:39], v[40:41], v[42:43]
	s_or_b32 exec_lo, exec_lo, s12
	s_and_saveexec_b32 s12, s2
	s_cbranch_execz .LBB142_389
.LBB142_1055:                           ;   in Loop: Header=BB142_3 Depth=1
	ds_load_b64 v[40:41], v57 offset:11456
	ds_load_b64 v[42:43], v54 offset:8368
	s_wait_dscnt 0x0
	v_fmac_f64_e32 v[38:39], v[40:41], v[42:43]
	s_or_b32 exec_lo, exec_lo, s12
	s_and_saveexec_b32 s12, s17
	s_cbranch_execnz .LBB142_390
	s_branch .LBB142_391
.LBB142_1056:                           ;   in Loop: Header=BB142_3 Depth=1
	ds_load_b64 v[40:41], v53 offset:13024
	ds_load_b64 v[42:43], v49 offset:12488
	s_wait_dscnt 0x0
	v_fmac_f64_e32 v[38:39], v[40:41], v[42:43]
	s_or_b32 exec_lo, exec_lo, s12
	s_and_saveexec_b32 s12, s17
	s_cbranch_execz .LBB142_443
.LBB142_1057:                           ;   in Loop: Header=BB142_3 Depth=1
	ds_load_b64 v[40:41], v52 offset:13536
	ds_load_b64 v[42:43], v49 offset:12496
	s_wait_dscnt 0x0
	v_fmac_f64_e32 v[38:39], v[40:41], v[42:43]
	s_or_b32 exec_lo, exec_lo, s12
	s_and_saveexec_b32 s12, s1
	s_cbranch_execnz .LBB142_444
	s_branch .LBB142_445
.LBB142_1058:                           ;   in Loop: Header=BB142_3 Depth=1
	ds_load_b64 v[40:41], v68 offset:13568
	ds_load_b64 v[42:43], v0 offset:208
	s_wait_dscnt 0x0
	v_fmac_f64_e32 v[38:39], v[40:41], v[42:43]
	s_or_b32 exec_lo, exec_lo, s11
	s_and_saveexec_b32 s11, s7
	s_cbranch_execz .LBB142_531
.LBB142_1059:                           ;   in Loop: Header=BB142_3 Depth=1
	ds_load_b64 v[40:41], v68 offset:14080
	ds_load_b64 v[42:43], v0 offset:216
	s_wait_dscnt 0x0
	v_fmac_f64_e32 v[38:39], v[40:41], v[42:43]
	s_or_b32 exec_lo, exec_lo, s11
	s_and_saveexec_b32 s11, s6
	s_cbranch_execz .LBB142_532
.LBB142_1060:                           ;   in Loop: Header=BB142_3 Depth=1
	ds_load_b64 v[40:41], v68 offset:14592
	ds_load_b64 v[42:43], v0 offset:224
	s_wait_dscnt 0x0
	v_fmac_f64_e32 v[38:39], v[40:41], v[42:43]
	s_or_b32 exec_lo, exec_lo, s11
	s_and_saveexec_b32 s11, s8
	s_cbranch_execz .LBB142_533
.LBB142_1061:                           ;   in Loop: Header=BB142_3 Depth=1
	ds_load_b64 v[40:41], v68 offset:15104
	ds_load_b64 v[42:43], v0 offset:232
	s_wait_dscnt 0x0
	v_fmac_f64_e32 v[38:39], v[40:41], v[42:43]
	s_or_b32 exec_lo, exec_lo, s11
	s_and_saveexec_b32 s11, s3
	s_cbranch_execz .LBB142_534
.LBB142_1062:                           ;   in Loop: Header=BB142_3 Depth=1
	ds_load_b64 v[40:41], v68 offset:15616
	ds_load_b64 v[42:43], v0 offset:240
	s_wait_dscnt 0x0
	v_fmac_f64_e32 v[38:39], v[40:41], v[42:43]
	s_or_b32 exec_lo, exec_lo, s11
	s_and_saveexec_b32 s11, s21
	s_cbranch_execnz .LBB142_535
	s_branch .LBB142_536
.LBB142_1063:                           ;   in Loop: Header=BB142_3 Depth=1
	ds_load_b64 v[40:41], v53 offset:17184
	ds_load_b64 v[42:43], v49 offset:16648
	s_wait_dscnt 0x0
	v_fmac_f64_e32 v[38:39], v[40:41], v[42:43]
	s_or_b32 exec_lo, exec_lo, s12
	s_and_saveexec_b32 s12, s17
	s_cbranch_execz .LBB142_576
.LBB142_1064:                           ;   in Loop: Header=BB142_3 Depth=1
	ds_load_b64 v[40:41], v52 offset:17696
	ds_load_b64 v[42:43], v49 offset:16656
	s_wait_dscnt 0x0
	v_fmac_f64_e32 v[38:39], v[40:41], v[42:43]
	s_or_b32 exec_lo, exec_lo, s12
	s_and_saveexec_b32 s12, s1
	s_cbranch_execnz .LBB142_577
	s_branch .LBB142_578
.LBB142_1065:                           ;   in Loop: Header=BB142_3 Depth=1
	ds_load_b64 v[40:41], v58 offset:17216
	ds_load_b64 v[42:43], v54 offset:16648
	s_wait_dscnt 0x0
	v_fmac_f64_e32 v[38:39], v[40:41], v[42:43]
	s_or_b32 exec_lo, exec_lo, s12
	s_and_saveexec_b32 s12, s19
	s_cbranch_execz .LBB142_614
.LBB142_1066:                           ;   in Loop: Header=BB142_3 Depth=1
	ds_load_b64 v[40:41], v58 offset:17728
	ds_load_b64 v[42:43], v54 offset:16656
	s_wait_dscnt 0x0
	v_fmac_f64_e32 v[38:39], v[40:41], v[42:43]
	s_or_b32 exec_lo, exec_lo, s12
	s_and_saveexec_b32 s12, s20
	s_cbranch_execz .LBB142_615
.LBB142_1067:                           ;   in Loop: Header=BB142_3 Depth=1
	ds_load_b64 v[40:41], v58 offset:18240
	ds_load_b64 v[42:43], v54 offset:16664
	s_wait_dscnt 0x0
	v_fmac_f64_e32 v[38:39], v[40:41], v[42:43]
	s_or_b32 exec_lo, exec_lo, s12
	s_and_saveexec_b32 s12, s21
	s_cbranch_execz .LBB142_616
.LBB142_1068:                           ;   in Loop: Header=BB142_3 Depth=1
	ds_load_b64 v[40:41], v57 offset:18752
	ds_load_b64 v[42:43], v54 offset:16672
	s_wait_dscnt 0x0
	v_fmac_f64_e32 v[38:39], v[40:41], v[42:43]
	s_or_b32 exec_lo, exec_lo, s12
	s_and_saveexec_b32 s12, s22
	s_cbranch_execz .LBB142_617
.LBB142_1069:                           ;   in Loop: Header=BB142_3 Depth=1
	ds_load_b64 v[40:41], v58 offset:19264
	ds_load_b64 v[42:43], v54 offset:16680
	s_wait_dscnt 0x0
	v_fmac_f64_e32 v[38:39], v[40:41], v[42:43]
	s_or_b32 exec_lo, exec_lo, s12
	s_and_saveexec_b32 s12, s2
	s_cbranch_execz .LBB142_618
.LBB142_1070:                           ;   in Loop: Header=BB142_3 Depth=1
	ds_load_b64 v[40:41], v57 offset:19776
	ds_load_b64 v[42:43], v54 offset:16688
	s_wait_dscnt 0x0
	v_fmac_f64_e32 v[38:39], v[40:41], v[42:43]
	s_or_b32 exec_lo, exec_lo, s12
	s_and_saveexec_b32 s12, s17
	s_cbranch_execnz .LBB142_619
	s_branch .LBB142_620
.LBB142_1071:                           ;   in Loop: Header=BB142_3 Depth=1
	ds_load_b64 v[40:41], v53 offset:21344
	ds_load_b64 v[42:43], v49 offset:20808
	s_wait_dscnt 0x0
	v_fmac_f64_e32 v[38:39], v[40:41], v[42:43]
	s_or_b32 exec_lo, exec_lo, s12
	s_and_saveexec_b32 s12, s17
	s_cbranch_execz .LBB142_672
.LBB142_1072:                           ;   in Loop: Header=BB142_3 Depth=1
	ds_load_b64 v[40:41], v52 offset:21856
	ds_load_b64 v[42:43], v49 offset:20816
	s_wait_dscnt 0x0
	v_fmac_f64_e32 v[38:39], v[40:41], v[42:43]
	s_or_b32 exec_lo, exec_lo, s12
	s_and_saveexec_b32 s12, s1
	s_cbranch_execnz .LBB142_673
	s_branch .LBB142_674
.LBB142_1073:                           ;   in Loop: Header=BB142_3 Depth=1
	ds_load_b64 v[40:41], v63 offset:22400
	ds_load_b64 v[42:43], v59 offset:16728
	s_wait_dscnt 0x0
	v_fmac_f64_e32 v[38:39], v[40:41], v[42:43]
	s_or_b32 exec_lo, exec_lo, s11
	s_and_saveexec_b32 s11, s3
	s_cbranch_execz .LBB142_730
.LBB142_1074:                           ;   in Loop: Header=BB142_3 Depth=1
	ds_load_b64 v[40:41], v62 offset:22912
	ds_load_b64 v[42:43], v59 offset:16736
	s_wait_dscnt 0x0
	v_fmac_f64_e32 v[38:39], v[40:41], v[42:43]
	s_or_b32 exec_lo, exec_lo, s11
	s_and_saveexec_b32 s11, s19
	s_cbranch_execz .LBB142_731
.LBB142_1075:                           ;   in Loop: Header=BB142_3 Depth=1
	ds_load_b64 v[40:41], v63 offset:23424
	ds_load_b64 v[42:43], v59 offset:16744
	s_wait_dscnt 0x0
	v_fmac_f64_e32 v[38:39], v[40:41], v[42:43]
	s_or_b32 exec_lo, exec_lo, s11
	s_and_saveexec_b32 s11, s21
	s_cbranch_execz .LBB142_732
.LBB142_1076:                           ;   in Loop: Header=BB142_3 Depth=1
	ds_load_b64 v[40:41], v62 offset:23936
	ds_load_b64 v[42:43], v59 offset:16752
	s_wait_dscnt 0x0
	v_fmac_f64_e32 v[38:39], v[40:41], v[42:43]
	s_or_b32 exec_lo, exec_lo, s11
	s_and_saveexec_b32 s11, s2
	s_cbranch_execnz .LBB142_733
	s_branch .LBB142_734
.LBB142_1077:                           ;   in Loop: Header=BB142_3 Depth=1
	ds_load_b64 v[40:41], v53 offset:25504
	ds_load_b64 v[42:43], v49 offset:24968
	s_wait_dscnt 0x0
	v_fmac_f64_e32 v[38:39], v[40:41], v[42:43]
	s_or_b32 exec_lo, exec_lo, s12
	s_and_saveexec_b32 s12, s17
	s_cbranch_execz .LBB142_818
.LBB142_1078:                           ;   in Loop: Header=BB142_3 Depth=1
	ds_load_b64 v[40:41], v52 offset:26016
	ds_load_b64 v[42:43], v49 offset:24976
	s_wait_dscnt 0x0
	v_fmac_f64_e32 v[38:39], v[40:41], v[42:43]
	s_or_b32 exec_lo, exec_lo, s12
	s_and_saveexec_b32 s12, s1
	s_cbranch_execnz .LBB142_819
	s_branch .LBB142_820
.LBB142_1079:                           ;   in Loop: Header=BB142_3 Depth=1
	ds_load_b64 v[40:41], v58 offset:25536
	ds_load_b64 v[42:43], v54 offset:24968
	s_wait_dscnt 0x0
	v_fmac_f64_e32 v[38:39], v[40:41], v[42:43]
	s_or_b32 exec_lo, exec_lo, s12
	s_and_saveexec_b32 s12, s19
	s_cbranch_execz .LBB142_856
.LBB142_1080:                           ;   in Loop: Header=BB142_3 Depth=1
	ds_load_b64 v[40:41], v58 offset:26048
	ds_load_b64 v[42:43], v54 offset:24976
	s_wait_dscnt 0x0
	v_fmac_f64_e32 v[38:39], v[40:41], v[42:43]
	s_or_b32 exec_lo, exec_lo, s12
	s_and_saveexec_b32 s12, s20
	s_cbranch_execz .LBB142_857
.LBB142_1081:                           ;   in Loop: Header=BB142_3 Depth=1
	ds_load_b64 v[40:41], v58 offset:26560
	ds_load_b64 v[42:43], v54 offset:24984
	s_wait_dscnt 0x0
	v_fmac_f64_e32 v[38:39], v[40:41], v[42:43]
	s_or_b32 exec_lo, exec_lo, s12
	s_and_saveexec_b32 s12, s21
	s_cbranch_execz .LBB142_858
.LBB142_1082:                           ;   in Loop: Header=BB142_3 Depth=1
	ds_load_b64 v[40:41], v57 offset:27072
	ds_load_b64 v[42:43], v54 offset:24992
	s_wait_dscnt 0x0
	v_fmac_f64_e32 v[38:39], v[40:41], v[42:43]
	s_or_b32 exec_lo, exec_lo, s12
	s_and_saveexec_b32 s12, s22
	s_cbranch_execz .LBB142_859
.LBB142_1083:                           ;   in Loop: Header=BB142_3 Depth=1
	ds_load_b64 v[40:41], v58 offset:27584
	ds_load_b64 v[42:43], v54 offset:25000
	s_wait_dscnt 0x0
	v_fmac_f64_e32 v[38:39], v[40:41], v[42:43]
	s_or_b32 exec_lo, exec_lo, s12
	s_and_saveexec_b32 s12, s2
	s_cbranch_execz .LBB142_860
.LBB142_1084:                           ;   in Loop: Header=BB142_3 Depth=1
	ds_load_b64 v[40:41], v57 offset:28096
	ds_load_b64 v[42:43], v54 offset:25008
	s_wait_dscnt 0x0
	v_fmac_f64_e32 v[38:39], v[40:41], v[42:43]
	s_or_b32 exec_lo, exec_lo, s12
	s_and_saveexec_b32 s12, s17
	s_cbranch_execnz .LBB142_861
	s_branch .LBB142_862
.LBB142_1085:                           ;   in Loop: Header=BB142_3 Depth=1
	ds_load_b64 v[40:41], v53 offset:29664
	ds_load_b64 v[42:43], v49 offset:29128
	s_wait_dscnt 0x0
	v_fmac_f64_e32 v[38:39], v[40:41], v[42:43]
	s_or_b32 exec_lo, exec_lo, s12
	s_and_saveexec_b32 s12, s17
	s_cbranch_execz .LBB142_914
.LBB142_1086:                           ;   in Loop: Header=BB142_3 Depth=1
	ds_load_b64 v[40:41], v52 offset:30176
	ds_load_b64 v[42:43], v49 offset:29136
	s_wait_dscnt 0x0
	v_fmac_f64_e32 v[38:39], v[40:41], v[42:43]
	s_or_b32 exec_lo, exec_lo, s12
	s_and_saveexec_b32 s12, s1
	s_cbranch_execnz .LBB142_915
	s_branch .LBB142_916
.LBB142_1087:
	s_endpgm
	.section	.rodata,"a",@progbits
	.p2align	6, 0x0
	.amdhsa_kernel _ZL19rocblas_trsv_deviceILi64ELi16ELb1ELb0ELb0ELb0EddPKPKdPKPdEviT7_lllT6_T8_lllPii
		.amdhsa_group_segment_fixed_size 41480
		.amdhsa_private_segment_fixed_size 0
		.amdhsa_kernarg_size 352
		.amdhsa_user_sgpr_count 2
		.amdhsa_user_sgpr_dispatch_ptr 0
		.amdhsa_user_sgpr_queue_ptr 0
		.amdhsa_user_sgpr_kernarg_segment_ptr 1
		.amdhsa_user_sgpr_dispatch_id 0
		.amdhsa_user_sgpr_kernarg_preload_length 0
		.amdhsa_user_sgpr_kernarg_preload_offset 0
		.amdhsa_user_sgpr_private_segment_size 0
		.amdhsa_wavefront_size32 1
		.amdhsa_uses_dynamic_stack 0
		.amdhsa_enable_private_segment 0
		.amdhsa_system_sgpr_workgroup_id_x 1
		.amdhsa_system_sgpr_workgroup_id_y 0
		.amdhsa_system_sgpr_workgroup_id_z 1
		.amdhsa_system_sgpr_workgroup_info 0
		.amdhsa_system_vgpr_workitem_id 1
		.amdhsa_next_free_vgpr 87
		.amdhsa_next_free_sgpr 105
		.amdhsa_named_barrier_count 0
		.amdhsa_reserve_vcc 1
		.amdhsa_float_round_mode_32 0
		.amdhsa_float_round_mode_16_64 0
		.amdhsa_float_denorm_mode_32 3
		.amdhsa_float_denorm_mode_16_64 3
		.amdhsa_fp16_overflow 0
		.amdhsa_memory_ordered 1
		.amdhsa_forward_progress 1
		.amdhsa_inst_pref_size 243
		.amdhsa_round_robin_scheduling 0
		.amdhsa_exception_fp_ieee_invalid_op 0
		.amdhsa_exception_fp_denorm_src 0
		.amdhsa_exception_fp_ieee_div_zero 0
		.amdhsa_exception_fp_ieee_overflow 0
		.amdhsa_exception_fp_ieee_underflow 0
		.amdhsa_exception_fp_ieee_inexact 0
		.amdhsa_exception_int_div_zero 0
	.end_amdhsa_kernel
	.section	.text._ZL19rocblas_trsv_deviceILi64ELi16ELb1ELb0ELb0ELb0EddPKPKdPKPdEviT7_lllT6_T8_lllPii,"axG",@progbits,_ZL19rocblas_trsv_deviceILi64ELi16ELb1ELb0ELb0ELb0EddPKPKdPKPdEviT7_lllT6_T8_lllPii,comdat
.Lfunc_end142:
	.size	_ZL19rocblas_trsv_deviceILi64ELi16ELb1ELb0ELb0ELb0EddPKPKdPKPdEviT7_lllT6_T8_lllPii, .Lfunc_end142-_ZL19rocblas_trsv_deviceILi64ELi16ELb1ELb0ELb0ELb0EddPKPKdPKPdEviT7_lllT6_T8_lllPii
                                        ; -- End function
	.set _ZL19rocblas_trsv_deviceILi64ELi16ELb1ELb0ELb0ELb0EddPKPKdPKPdEviT7_lllT6_T8_lllPii.num_vgpr, 87
	.set _ZL19rocblas_trsv_deviceILi64ELi16ELb1ELb0ELb0ELb0EddPKPKdPKPdEviT7_lllT6_T8_lllPii.num_agpr, 0
	.set _ZL19rocblas_trsv_deviceILi64ELi16ELb1ELb0ELb0ELb0EddPKPKdPKPdEviT7_lllT6_T8_lllPii.numbered_sgpr, 105
	.set _ZL19rocblas_trsv_deviceILi64ELi16ELb1ELb0ELb0ELb0EddPKPKdPKPdEviT7_lllT6_T8_lllPii.num_named_barrier, 0
	.set _ZL19rocblas_trsv_deviceILi64ELi16ELb1ELb0ELb0ELb0EddPKPKdPKPdEviT7_lllT6_T8_lllPii.private_seg_size, 0
	.set _ZL19rocblas_trsv_deviceILi64ELi16ELb1ELb0ELb0ELb0EddPKPKdPKPdEviT7_lllT6_T8_lllPii.uses_vcc, 1
	.set _ZL19rocblas_trsv_deviceILi64ELi16ELb1ELb0ELb0ELb0EddPKPKdPKPdEviT7_lllT6_T8_lllPii.uses_flat_scratch, 0
	.set _ZL19rocblas_trsv_deviceILi64ELi16ELb1ELb0ELb0ELb0EddPKPKdPKPdEviT7_lllT6_T8_lllPii.has_dyn_sized_stack, 0
	.set _ZL19rocblas_trsv_deviceILi64ELi16ELb1ELb0ELb0ELb0EddPKPKdPKPdEviT7_lllT6_T8_lllPii.has_recursion, 0
	.set _ZL19rocblas_trsv_deviceILi64ELi16ELb1ELb0ELb0ELb0EddPKPKdPKPdEviT7_lllT6_T8_lllPii.has_indirect_call, 0
	.section	.AMDGPU.csdata,"",@progbits
; Kernel info:
; codeLenInByte = 31076
; TotalNumSgprs: 107
; NumVgprs: 87
; ScratchSize: 0
; MemoryBound: 0
; FloatMode: 240
; IeeeMode: 1
; LDSByteSize: 41480 bytes/workgroup (compile time only)
; SGPRBlocks: 0
; VGPRBlocks: 5
; NumSGPRsForWavesPerEU: 107
; NumVGPRsForWavesPerEU: 87
; NamedBarCnt: 0
; Occupancy: 10
; WaveLimiterHint : 1
; COMPUTE_PGM_RSRC2:SCRATCH_EN: 0
; COMPUTE_PGM_RSRC2:USER_SGPR: 2
; COMPUTE_PGM_RSRC2:TRAP_HANDLER: 0
; COMPUTE_PGM_RSRC2:TGID_X_EN: 1
; COMPUTE_PGM_RSRC2:TGID_Y_EN: 0
; COMPUTE_PGM_RSRC2:TGID_Z_EN: 1
; COMPUTE_PGM_RSRC2:TIDIG_COMP_CNT: 1
	.section	.text._ZL19rocblas_trsv_deviceILi64ELi16ELb1ELb1ELb0ELb0EddPKPKdPKPdEviT7_lllT6_T8_lllPii,"axG",@progbits,_ZL19rocblas_trsv_deviceILi64ELi16ELb1ELb1ELb0ELb0EddPKPKdPKPdEviT7_lllT6_T8_lllPii,comdat
	.globl	_ZL19rocblas_trsv_deviceILi64ELi16ELb1ELb1ELb0ELb0EddPKPKdPKPdEviT7_lllT6_T8_lllPii ; -- Begin function _ZL19rocblas_trsv_deviceILi64ELi16ELb1ELb1ELb0ELb0EddPKPKdPKPdEviT7_lllT6_T8_lllPii
	.p2align	8
	.type	_ZL19rocblas_trsv_deviceILi64ELi16ELb1ELb1ELb0ELb0EddPKPKdPKPdEviT7_lllT6_T8_lllPii,@function
_ZL19rocblas_trsv_deviceILi64ELi16ELb1ELb1ELb0ELb0EddPKPKdPKPdEviT7_lllT6_T8_lllPii: ; @_ZL19rocblas_trsv_deviceILi64ELi16ELb1ELb1ELb0ELb0EddPKPKdPKPdEviT7_lllT6_T8_lllPii
; %bb.0:
	s_load_b32 s6, s[0:1], 0x58
	s_bfe_u32 s2, ttmp6, 0x40014
	s_lshr_b32 s3, ttmp7, 16
	s_add_co_i32 s2, s2, 1
	s_bfe_u32 s5, ttmp6, 0x40008
	s_mul_i32 s4, s3, s2
	s_getreg_b32 s2, hwreg(HW_REG_IB_STS2, 6, 4)
	s_add_co_i32 s5, s5, s4
	s_cmp_eq_u32 s2, 0
	s_mov_b32 s67, 0
	s_cselect_b32 s66, s3, s5
                                        ; implicit-def: $vgpr100 : SGPR spill to VGPR lane
	s_wait_kmcnt 0x0
	s_cmp_ge_u32 s66, s6
	v_writelane_b32 v100, s6, 0
	s_cbranch_scc1 .LBB143_1149
; %bb.1:
	s_clause 0x2
	s_load_b32 s3, s[0:1], 0x6c
	s_load_b32 s87, s[0:1], 0x60
	;; [unrolled: 1-line block ×3, first 2 shown]
	s_bfe_u32 s5, ttmp6, 0x4000c
	s_and_b32 s4, ttmp6, 15
	s_add_co_i32 s5, s5, 1
	s_clause 0x1
	s_load_b64 s[12:13], s[0:1], 0x18
	s_load_b256 s[68:75], s[0:1], 0x28
	s_mul_i32 s5, ttmp9, s5
	s_clause 0x1
	s_load_b64 s[82:83], s[0:1], 0x50
	s_load_b128 s[76:79], s[0:1], 0x8
	s_add_co_i32 s4, s4, s5
	s_cmp_eq_u32 s2, 0
	v_and_b32_e32 v2, 0x3ff, v0
	s_cselect_b32 s86, ttmp9, s4
	v_bfe_u32 v42, v0, 10, 10
	v_mov_b32_e32 v5, 0
                                        ; implicit-def: $vgpr99 : SGPR spill to VGPR lane
                                        ; implicit-def: $vgpr98 : SGPR spill to VGPR lane
	s_delay_alu instid0(VALU_DEP_3) | instskip(SKIP_1) | instid1(VALU_DEP_4)
	v_dual_lshlrev_b32 v21, 6, v2 :: v_dual_bitop2_b32 v68, 31, v0 bitop3:0x40
	v_lshlrev_b32_e32 v45, 3, v2
	v_lshl_add_u32 v30, v42, 6, v2
	s_wait_kmcnt 0x0
	s_and_b32 s0, s3, 0xffff
	s_add_co_i32 s87, s87, -1
	s_add_co_i32 s1, s80, -1
	s_ashr_i32 s81, s80, 31
	s_ashr_i32 s2, s1, 31
	s_lshr_b32 s3, s81, 26
	s_lshr_b32 s2, s2, 26
	s_add_co_i32 s3, s80, s3
	s_add_co_i32 s1, s1, s2
	s_and_not1_b32 s3, s3, 63
	s_sub_co_i32 s49, s87, s86
	s_ashr_i32 s1, s1, 6
	s_sub_co_i32 s15, s80, s3
	s_cmp_eq_u32 s1, s49
	v_dual_mov_b32 v3, v5 :: v_dual_add_nc_u32 v20, 16, v42
	s_cselect_b32 s1, -1, 0
	s_cmp_lg_u32 s15, 0
	v_cmp_gt_u32_e64 s4, 2, v2
	s_cselect_b32 s2, -1, 0
	v_add_nc_u32_e32 v12, v20, v21
	s_and_b32 s18, s2, s1
	s_add_nc_u64 s[2:3], s[12:13], 1
	s_xor_b32 s88, s18, -1
	s_cmp_lg_u32 s86, 0
	v_cmp_le_i32_e64 s14, s15, v2
	s_cselect_b32 s1, -1, 0
	s_lshl_b32 s16, s49, 6
	s_delay_alu instid0(SALU_CYCLE_1)
	v_dual_add_nc_u32 v1, v42, v21 :: v_dual_add_nc_u32 v22, s16, v42
	s_cmp_lt_i32 s86, 5
	v_mad_nc_u64_u32 v[16:17], s2, s16, v[2:3]
	s_cselect_b32 vcc_lo, -1, 0
	v_add_nc_u32_e32 v10, s16, v2
	v_dual_cndmask_b32 v23, v30, v1 :: v_dual_add_nc_u32 v6, 64, v22
	v_and_b32_e32 v1, 1, v0
	v_lshl_add_u32 v3, v20, 6, v2
	s_ashr_i32 s17, s16, 31
	s_delay_alu instid0(VALU_DEP_3)
	v_ashrrev_i32_e32 v7, 31, v6
	v_writelane_b32 v100, s1, 1
	s_or_b32 vcc_lo, vcc_lo, s18
	s_mul_i32 s1, s2, s17
	s_mul_i32 s2, s3, s16
	v_cmp_eq_u32_e64 s3, 1, v1
	v_dual_cndmask_b32 v24, v3, v12 :: v_dual_ashrrev_i32 v11, 31, v10
	v_dual_lshrrev_b32 v3, 10, v0 :: v_dual_lshrrev_b32 v12, 1, v30
	v_add3_u32 v17, s1, s2, v17
	v_lshlrev_b32_e32 v13, 3, v1
	v_cmp_gt_u32_e64 s1, 4, v30
	s_xor_b32 s2, s3, -1
	v_bitop3_b32 v31, v0, v3, 0x3ff bitop3:0xa8
	v_lshl_add_u32 v3, v12, 3, 0x8000
	v_lshl_or_b32 v43, v12, 9, v13
	v_mul_u32_u24_e32 v44, 0x208, v12
	s_and_b32 s91, s2, s1
	v_dual_lshrrev_b32 v1, 2, v30 :: v_dual_bitop2_b32 v12, 3, v0 bitop3:0x40
	v_cmp_eq_u32_e64 s2, 0, v42
	s_and_b32 s92, s3, s1
	v_cmp_gt_u32_e64 s3, 16, v30
	v_dual_lshlrev_b32 v13, 3, v1 :: v_dual_lshlrev_b32 v47, 3, v12
	v_mul_u32_u24_e32 v46, 0x208, v1
	s_and_b32 s93, s2, s4
	v_cmp_eq_u32_e64 s4, 0, v12
	v_cmp_ne_u32_e64 s5, 0, v12
	v_lshl_or_b32 v50, v1, 9, v47
	v_dual_sub_nc_u32 v14, v46, v13 :: v_dual_lshrrev_b32 v1, 3, v30
	s_and_b32 s94, s4, s3
	v_cmp_eq_u32_e64 s4, 1, v12
	v_cmp_lt_u32_e64 s6, 1, v12
	s_delay_alu instid0(VALU_DEP_3)
	v_add_nc_u32_e32 v51, v14, v47
	v_cmp_eq_u32_e64 s8, 2, v12
	s_and_b32 s95, s5, s3
	v_cmp_eq_u32_e64 s5, 3, v12
	s_and_b32 s96, s4, s3
	v_cmp_gt_u32_e64 s4, 4, v2
	v_and_b32_e32 v12, 7, v0
	s_and_b32 s97, s6, s3
	s_and_b32 s99, s5, s3
	;; [unrolled: 1-line block ×4, first 2 shown]
	v_cmp_gt_u32_e64 s4, 64, v30
	v_cmp_eq_u32_e64 s5, 0, v12
	v_cmp_ne_u32_e64 s6, 0, v12
	v_cmp_eq_u32_e64 s8, 1, v12
	v_dual_lshlrev_b32 v56, 3, v12 :: v_dual_bitop2_b32 v14, -8, v30 bitop3:0x40
	s_and_b32 s101, s5, s4
	s_and_b32 s102, s6, s4
	v_cmp_lt_u32_e64 s5, 1, v12
	v_cmp_eq_u32_e64 s6, 2, v12
	v_mul_u32_u24_e32 v55, 0x208, v1
	s_and_b32 s103, s8, s4
	v_cmp_lt_u32_e64 s8, 2, v12
	s_and_b32 s104, s5, s4
	v_cmp_lt_u32_e64 s5, 3, v12
	s_and_b32 vcc_hi, s6, s4
	v_cmp_eq_u32_e64 s6, 4, v12
	v_cmp_eq_u32_e64 s9, 3, v12
	v_sub_nc_u32_e32 v15, v55, v14
	s_and_b32 s38, s5, s4
	v_cmp_lt_u32_e64 s5, 4, v12
	s_and_b32 s39, s6, s4
	v_cmp_eq_u32_e64 s6, 6, v12
	s_and_b32 s36, s8, s4
	s_and_b32 s37, s9, s4
	v_cmp_eq_u32_e64 s8, 5, v12
	v_cmp_lt_u32_e64 s9, 5, v12
	s_and_b32 s40, s5, s4
	s_and_b32 s43, s6, s4
	v_cmp_eq_u32_e64 s5, 7, v12
	v_cmp_gt_u32_e64 s6, 8, v2
	v_and_b32_e32 v12, 15, v0
	s_and_b32 s41, s8, s4
	s_and_b32 s42, s9, s4
	;; [unrolled: 1-line block ×4, first 2 shown]
	v_cmp_gt_u32_e64 s5, 0x100, v30
	v_cmp_eq_u32_e64 s6, 0, v12
	v_cmp_ne_u32_e64 s8, 0, v12
	v_cmp_eq_u32_e64 s9, 1, v12
	v_cmp_eq_u32_e64 s10, 2, v12
	s_and_b32 s46, s14, s18
	s_and_b32 s6, s6, s5
	;; [unrolled: 1-line block ×3, first 2 shown]
	v_writelane_b32 v100, s6, 2
	v_cmp_lt_u32_e64 s6, 1, v12
	v_cmp_gt_i32_e64 s7, s15, v2
	v_dual_add_nc_u32 v26, 32, v42 :: v_dual_add_nc_u32 v27, 48, v42
	v_writelane_b32 v100, s8, 3
	s_and_b32 s8, s9, s5
	s_and_b32 s6, s6, s5
	v_cmp_lt_u32_e64 s9, 3, v12
	v_add_nc_u32_e32 v29, 0x50, v22
	v_writelane_b32 v100, s8, 4
	v_cmp_lt_u32_e64 s8, 2, v12
	s_xor_b32 s90, vcc_lo, -1
	s_and_b32 s53, s9, s5
	v_cmp_eq_u32_e64 s9, 6, v12
	v_writelane_b32 v100, s6, 5
	s_and_b32 s6, s10, s5
	s_and_b32 s8, s8, s5
	v_cmp_lt_u32_e64 s10, 4, v12
	s_and_b32 s58, s9, s5
	v_writelane_b32 v100, s6, 6
	v_cmp_eq_u32_e64 s6, 3, v12
	v_cmp_lt_u32_e64 s9, 8, v12
	s_and_b32 s55, s10, s5
	v_cmp_eq_u32_e64 s10, 7, v12
	v_writelane_b32 v100, s8, 7
	s_and_b32 s6, s6, s5
	v_cmp_eq_u32_e64 s8, 4, v12
	s_and_b32 s11, s9, s5
	s_and_b32 s62, s10, s5
	v_writelane_b32 v100, s6, 8
	v_cmp_eq_u32_e64 s6, 5, v12
	s_and_b32 s54, s8, s5
	v_cmp_lt_u32_e64 s8, 5, v12
	v_cmp_lt_u32_e64 s10, 9, v12
	v_cmp_eq_u32_e64 s9, 11, v12
	s_and_b32 s56, s6, s5
	v_cmp_lt_u32_e64 s6, 6, v12
	s_and_b32 s57, s8, s5
	v_cmp_lt_u32_e64 s8, 7, v12
	s_and_b32 s25, s10, s5
	v_cmp_eq_u32_e64 s10, 12, v12
	s_and_b32 s61, s6, s5
	v_cmp_eq_u32_e64 s6, 8, v12
	;; [unrolled: 2-line block ×3, first 2 shown]
	s_and_b32 s31, s9, s5
	s_and_b32 s24, s10, s5
	;; [unrolled: 1-line block ×3, first 2 shown]
	v_cmp_eq_u32_e64 s6, 10, v12
	s_and_b32 s23, s8, s5
	v_cmp_lt_u32_e64 s8, 10, v12
	v_cmp_lt_u32_e64 s9, 13, v12
	v_cmp_eq_u32_e64 s10, 15, v12
	s_and_b32 s27, s6, s5
	v_cmp_lt_u32_e64 s6, 11, v12
	s_and_b32 s29, s8, s5
	v_cmp_lt_u32_e64 s8, 12, v12
	s_and_b32 s30, s9, s5
	s_and_b32 s89, s10, s5
	;; [unrolled: 1-line block ×3, first 2 shown]
	v_cmp_eq_u32_e64 s6, 13, v12
	s_and_b32 s26, s8, s5
	v_cmp_eq_u32_e64 s8, 14, v12
	v_mad_u32_u24 v4, v42, s0, v2
	v_cmp_gt_i32_e64 s0, s80, v10
	s_and_b32 s28, s6, s5
	v_cmp_gt_u32_e64 s6, 16, v2
	s_and_b32 s33, s8, s5
	s_xor_b32 s8, s46, -1
	v_add_nc_u32_e32 v32, 0x60, v22
	s_and_b32 s47, s2, s8
	s_and_b32 s65, s2, s6
	v_cmp_gt_u32_e64 s6, 32, v2
	v_cmp_gt_i32_e64 s8, s80, v29
	v_lshl_add_u32 v29, v26, 6, v2
	v_add_nc_u32_e32 v49, 0x8000, v13
	v_mul_i32_i24_e32 v13, 0xfffffe08, v2
	s_and_b32 s6, s2, s6
	s_cmp_gt_i32 s86, 0
	v_writelane_b32 v100, s6, 9
	s_cselect_b32 s48, -1, 0
	s_and_b32 s7, s2, s7
	v_mul_lo_u32 v28, v13, 6
	v_mul_u32_u24_e32 v25, 0x1f8, v2
	v_writelane_b32 v100, s7, 10
	v_cmp_gt_i32_e64 s7, s80, v6
	v_add_nc_u32_e32 v22, 0x70, v22
	v_cmp_gt_i32_e64 s9, s80, v32
	v_lshl_or_b32 v59, v1, 9, v56
	v_dual_add_nc_u32 v60, v15, v56 :: v_dual_lshrrev_b32 v1, 4, v30
	s_and_b32 s7, s7, s0
	v_lshl_add_u32 v32, v27, 6, v2
	v_writelane_b32 v100, s7, 11
	s_and_b32 s7, s8, s0
	v_mad_u32 v25, v25, 7, v28
	v_dual_add_nc_u32 v28, v26, v21 :: v_dual_add_nc_u32 v21, v27, v21
	v_writelane_b32 v100, s7, 12
	v_cmp_gt_i32_e64 s10, s80, v22
	s_and_b32 s7, s9, s0
	v_dual_cndmask_b32 v21, v32, v21 :: v_dual_add_nc_u32 v58, 0x8000, v14
	v_writelane_b32 v100, s7, 13
	v_dual_lshlrev_b32 v14, 3, v1 :: v_dual_lshlrev_b32 v64, 3, v12
	v_mul_u32_u24_e32 v62, 0x208, v1
	v_cndmask_b32_e32 v22, v29, v28, vcc_lo
	s_and_b32 s7, s10, s0
	v_cmp_le_i32_e32 vcc_lo, s15, v42
	v_cmp_le_u32_e64 s6, v2, v42
	v_writelane_b32 v100, s7, 14
	v_cmp_le_i32_e64 s7, s15, v20
	v_sub_nc_u32_e32 v15, v62, v14
	s_or_b32 s8, vcc_lo, s14
	v_lshl_or_b32 v66, v1, 9, v64
	s_or_b32 s8, s8, s6
	s_or_b32 s10, s7, s14
	v_cmp_le_u32_e64 s7, v2, v20
	v_writelane_b32 v100, s8, 15
	v_dual_add_nc_u32 v67, v15, v64 :: v_dual_lshrrev_b32 v1, 5, v30
	v_cmp_le_i32_e32 vcc_lo, s15, v26
	v_cmp_le_u32_e64 s8, v2, v26
	s_or_b32 s10, s10, s7
	v_cmp_le_i32_e64 s9, s15, v27
	v_writelane_b32 v100, s10, 16
	v_mul_u64_e32 v[8:9], s[12:13], v[10:11]
	v_add_nc_u32_e32 v65, 0x8000, v14
	v_dual_lshlrev_b32 v69, 3, v1 :: v_dual_lshlrev_b32 v70, 9, v1
	v_mul_u64_e32 v[0:1], s[74:75], v[10:11]
	v_mad_nc_u64_u32 v[10:11], s12, v42, v[16:17]
	v_mad_nc_u64_u32 v[12:13], s12, v20, v[16:17]
	;; [unrolled: 1-line block ×4, first 2 shown]
	s_or_b32 s12, vcc_lo, s14
	v_cmp_ne_u32_e64 s15, v2, v27
	s_or_b32 s10, s12, s8
	v_cmp_ne_u32_e64 s12, v2, v20
	v_writelane_b32 v100, s10, 17
	s_or_b32 s10, s9, s14
	v_cmp_le_u32_e64 s9, v2, v27
	v_mad_u32 v11, s13, v42, v11
	v_mad_u32 v13, s13, v20, v13
	;; [unrolled: 1-line block ×4, first 2 shown]
	s_or_b32 s10, s10, s9
	v_cmp_ne_u32_e64 s13, v2, v26
	v_writelane_b32 v100, s10, 18
	v_cmp_ne_u32_e64 s10, v2, v42
	v_mad_u32_u24 v48, 0x1f8, v2, v45
	v_add_nc_u64_e32 v[18:19], s[16:17], v[4:5]
	v_dual_lshlrev_b32 v76, 3, v24 :: v_dual_lshlrev_b32 v78, 3, v22
	s_delay_alu instid0(VALU_DEP_4)
	v_writelane_b32 v100, s10, 19
	s_or_b32 s10, s14, s10
	v_mad_i32_i24 v52, 0xfffffe08, v2, v48
	v_dual_lshlrev_b32 v22, 3, v42 :: v_dual_lshlrev_b32 v80, 3, v21
	v_writelane_b32 v100, s10, 20
	s_or_b32 s10, s14, s12
	s_delay_alu instid0(VALU_DEP_3)
	v_mad_u32_u24 v53, 0x1f8, v2, v52
	v_mul_u64_e32 v[18:19], s[74:75], v[18:19]
	v_mul_u32_u24_e32 v83, 0x208, v68
	v_writelane_b32 v100, s12, 21
	v_lshlrev_b32_e32 v21, 9, v68
	v_mad_i32_i24 v54, 0xfffffe08, v2, v53
	v_mul_u32_u24_e32 v33, 0x1f0, v2
	v_or_b32_e32 v32, v20, v2
	v_writelane_b32 v100, s10, 22
	s_or_b32 s10, s14, s13
	v_mad_u32_u24 v57, 0x1f8, v2, v54
	v_sub_nc_u32_e32 v21, v83, v21
	v_dual_sub_nc_u32 v25, v25, v33 :: v_dual_lshlrev_b32 v75, 3, v23
	v_writelane_b32 v100, s13, 23
	s_delay_alu instid0(VALU_DEP_4)
	v_mad_i32_i24 v61, 0xfffffe08, v2, v57
	v_or_b32_e32 v81, 0xa000, v22
	v_or_b32_e32 v33, v26, v2
	;; [unrolled: 1-line block ×3, first 2 shown]
	v_writelane_b32 v100, s10, 24
	s_or_b32 s10, s14, s15
	v_mad_u32_u24 v63, 0x1f8, v2, v61
	v_add_nc_u32_e32 v92, v81, v45
	v_add_nc_u32_e32 v84, 0x4100, v21
	v_writelane_b32 v100, s15, 25
	v_cmp_lt_u32_e32 vcc_lo, 0x3ff, v30
	v_mad_i32_i24 v71, 0xfffffe08, v2, v63
	v_mov_b64_e32 v[20:21], 0
	v_add_nc_u32_e32 v85, 0x7800, v25
	v_writelane_b32 v100, s10, 26
	v_cmp_gt_u32_e64 s10, 0xf0, v30
	v_mad_u32_u24 v72, 0x1f8, v2, v71
	v_add_nc_u32_e32 v86, 0x8000, v69
	v_lshl_or_b32 v87, v68, 3, v70
	v_lshl_add_u32 v88, v4, 3, 0xa000
	v_writelane_b32 v100, s10, 27
	v_cmp_gt_u32_e64 s10, 0xe0, v30
	v_mad_i32_i24 v73, 0xfffffe08, v2, v72
	v_lshl_add_u32 v89, v30, 3, 0x8000
	v_add_nc_u32_e32 v90, 0x8000, v45
	v_subrev_nc_u32_e32 v93, 63, v2
	v_writelane_b32 v100, s10, 28
	v_cmp_gt_u32_e64 s10, 0xd0, v30
	v_mad_u32_u24 v74, 0x1f8, v2, v73
	v_lshl_add_u32 v91, v42, 9, v73
	v_cmp_eq_u32_e64 s14, 0, v31
	v_cmp_gt_u32_e64 s15, 2, v30
	v_writelane_b32 v100, s10, 29
	v_cmp_gt_u32_e64 s10, 0xc0, v30
	v_mad_i32_i24 v77, 0xfffffe08, v2, v74
	v_cmp_gt_u32_e64 s16, 12, v30
	v_cmp_gt_u32_e64 s17, 8, v30
	;; [unrolled: 1-line block ×3, first 2 shown]
	v_writelane_b32 v100, s10, 30
	v_cmp_gt_u32_e64 s10, 0xb0, v30
	v_mad_u32_u24 v79, 0x1f8, v2, v77
	v_cmp_gt_u32_e64 s19, 48, v30
	v_cmp_gt_u32_e64 s20, 40, v30
	v_cmp_gt_u32_e64 s21, 32, v30
	v_writelane_b32 v100, s10, 31
	v_cmp_gt_u32_e64 s10, 0xa0, v30
	v_add_nc_u32_e32 v82, v79, v22
	v_cmp_gt_u32_e64 s22, 24, v30
	v_cmp_gt_u32_e64 s35, 0x400, v30
	v_cmp_eq_u32_e64 s59, 0, v4
	v_writelane_b32 v99, s10, 0
	v_cmp_gt_u32_e64 s10, 0x90, v30
	v_cmp_gt_u32_e64 s60, 64, v4
	s_add_co_i32 s49, s49, 1
	s_xor_b32 s13, vcc_lo, -1
	s_lshl_b64 s[78:79], s[78:79], 3
	v_writelane_b32 v99, s10, 1
	v_cmp_gt_u32_e64 s10, 0x80, v30
	s_lshl_b64 s[72:73], s[72:73], 3
                                        ; implicit-def: $vgpr22_vgpr23
                                        ; implicit-def: $vgpr24_vgpr25
                                        ; implicit-def: $vgpr26_vgpr27
                                        ; implicit-def: $vgpr28_vgpr29
	v_writelane_b32 v99, s10, 2
	v_cmp_gt_u32_e64 s10, 0x70, v30
	s_delay_alu instid0(VALU_DEP_1) | instskip(SKIP_1) | instid1(VALU_DEP_1)
	v_writelane_b32 v99, s10, 3
	v_cmp_gt_u32_e64 s10, 0x60, v30
	v_writelane_b32 v99, s10, 4
	v_cmp_gt_u32_e64 s10, 0x50, v30
	s_delay_alu instid0(VALU_DEP_1) | instskip(SKIP_1) | instid1(VALU_DEP_1)
	v_writelane_b32 v99, s10, 5
	v_cmp_gt_u32_e64 s10, 0x3e0, v30
	;; [unrolled: 5-line block ×15, first 2 shown]
	v_writelane_b32 v98, s10, 0
	s_branch .LBB143_3
.LBB143_2:                              ;   in Loop: Header=BB143_3 Depth=1
	s_wait_xcnt 0x0
	s_or_b32 exec_lo, exec_lo, s10
	v_readlane_b32 s10, v100, 0
	s_add_co_i32 s66, s66, 0x10000
	global_wb scope:SCOPE_DEV
	s_wait_storecnt 0x0
	global_inv scope:SCOPE_DEV
	s_cmp_lt_u32 s66, s10
	s_cbranch_scc0 .LBB143_1149
.LBB143_3:                              ; =>This Loop Header: Depth=1
                                        ;     Child Loop BB143_553 Depth 2
                                        ;     Child Loop BB143_1002 Depth 2
                                        ;       Child Loop BB143_1004 Depth 3
                                        ;     Child Loop BB143_1039 Depth 2
	v_mov_b32_e32 v32, s66
	v_readlane_b32 s10, v100, 1
	s_clause 0x1
	global_load_b64 v[30:31], v32, s[76:77] scale_offset
	global_load_b64 v[32:33], v32, s[70:71] scale_offset
	s_and_not1_b32 vcc_lo, exec_lo, s10
	s_wait_loadcnt 0x1
	v_add_nc_u64_e32 v[34:35], s[78:79], v[30:31]
	s_delay_alu instid0(VALU_DEP_1)
	v_lshl_add_u64 v[30:31], v[8:9], 3, v[34:35]
	s_cbranch_vccnz .LBB143_13
; %bb.4:                                ;   in Loop: Header=BB143_3 Depth=1
	v_mov_b64_e32 v[24:25], 0
	v_mov_b64_e32 v[22:23], 0
	s_delay_alu instid0(VALU_DEP_3)
	v_lshl_add_u64 v[36:37], v[6:7], 3, v[30:31]
	s_wait_loadcnt 0x0
	s_barrier_signal -1
	s_barrier_wait -1
	s_wait_xcnt 0x0
	s_mov_b32 s10, exec_lo
	v_readlane_b32 s12, v100, 11
	s_and_b32 s12, s10, s12
	s_delay_alu instid0(SALU_CYCLE_1)
	s_mov_b32 exec_lo, s12
	s_cbranch_execz .LBB143_6
; %bb.5:                                ;   in Loop: Header=BB143_3 Depth=1
	flat_load_b64 v[22:23], v[36:37]
.LBB143_6:                              ;   in Loop: Header=BB143_3 Depth=1
	s_wait_xcnt 0x0
	s_or_b32 exec_lo, exec_lo, s10
	s_wait_loadcnt_dscnt 0x0
	s_barrier_signal -1
	s_barrier_wait -1
	s_mov_b32 s10, exec_lo
	v_readlane_b32 s12, v100, 12
	s_and_b32 s12, s10, s12
	s_delay_alu instid0(SALU_CYCLE_1)
	s_mov_b32 exec_lo, s12
	s_cbranch_execz .LBB143_8
; %bb.7:                                ;   in Loop: Header=BB143_3 Depth=1
	flat_load_b64 v[24:25], v[36:37] offset:128
.LBB143_8:                              ;   in Loop: Header=BB143_3 Depth=1
	s_wait_xcnt 0x0
	s_or_b32 exec_lo, exec_lo, s10
	v_mov_b64_e32 v[28:29], 0
	v_mov_b64_e32 v[26:27], 0
	s_wait_loadcnt_dscnt 0x0
	s_barrier_signal -1
	s_barrier_wait -1
	s_mov_b32 s10, exec_lo
	v_readlane_b32 s12, v100, 13
	s_and_b32 s12, s10, s12
	s_delay_alu instid0(SALU_CYCLE_1)
	s_mov_b32 exec_lo, s12
	s_cbranch_execz .LBB143_10
; %bb.9:                                ;   in Loop: Header=BB143_3 Depth=1
	flat_load_b64 v[26:27], v[36:37] offset:256
.LBB143_10:                             ;   in Loop: Header=BB143_3 Depth=1
	s_wait_xcnt 0x0
	s_or_b32 exec_lo, exec_lo, s10
	s_wait_loadcnt_dscnt 0x0
	s_barrier_signal -1
	s_barrier_wait -1
	s_mov_b32 s10, exec_lo
	v_readlane_b32 s12, v100, 14
	s_and_b32 s12, s10, s12
	s_delay_alu instid0(SALU_CYCLE_1)
	s_mov_b32 exec_lo, s12
	s_cbranch_execz .LBB143_12
; %bb.11:                               ;   in Loop: Header=BB143_3 Depth=1
	flat_load_b64 v[28:29], v[36:37] offset:384
.LBB143_12:                             ;   in Loop: Header=BB143_3 Depth=1
	s_wait_xcnt 0x0
	s_or_b32 exec_lo, exec_lo, s10
.LBB143_13:                             ;   in Loop: Header=BB143_3 Depth=1
	s_delay_alu instid0(SALU_CYCLE_1)
	s_and_not1_b32 vcc_lo, exec_lo, s88
	s_mov_b32 s10, -1
	s_cbranch_vccnz .LBB143_24
; %bb.14:                               ;   in Loop: Header=BB143_3 Depth=1
	s_wait_xcnt 0x0
	s_and_saveexec_b32 s10, s6
	s_delay_alu instid0(SALU_CYCLE_1)
	s_xor_b32 s10, exec_lo, s10
	s_cbranch_execnz .LBB143_1061
; %bb.15:                               ;   in Loop: Header=BB143_3 Depth=1
	s_and_not1_saveexec_b32 s10, s10
	s_cbranch_execnz .LBB143_1068
.LBB143_16:                             ;   in Loop: Header=BB143_3 Depth=1
	s_or_b32 exec_lo, exec_lo, s10
	s_and_saveexec_b32 s10, s7
	s_delay_alu instid0(SALU_CYCLE_1)
	s_xor_b32 s10, exec_lo, s10
	s_cbranch_execnz .LBB143_1069
.LBB143_17:                             ;   in Loop: Header=BB143_3 Depth=1
	s_and_not1_saveexec_b32 s10, s10
	s_cbranch_execnz .LBB143_1076
.LBB143_18:                             ;   in Loop: Header=BB143_3 Depth=1
	s_or_b32 exec_lo, exec_lo, s10
	s_and_saveexec_b32 s10, s8
	s_delay_alu instid0(SALU_CYCLE_1)
	s_xor_b32 s10, exec_lo, s10
	s_cbranch_execnz .LBB143_1077
.LBB143_19:                             ;   in Loop: Header=BB143_3 Depth=1
	s_and_not1_saveexec_b32 s10, s10
	s_cbranch_execnz .LBB143_1084
.LBB143_20:                             ;   in Loop: Header=BB143_3 Depth=1
	s_or_b32 exec_lo, exec_lo, s10
	s_and_saveexec_b32 s10, s9
	s_delay_alu instid0(SALU_CYCLE_1)
	s_xor_b32 s10, exec_lo, s10
	s_cbranch_execnz .LBB143_1085
.LBB143_21:                             ;   in Loop: Header=BB143_3 Depth=1
	s_and_not1_saveexec_b32 s10, s10
	s_cbranch_execz .LBB143_23
.LBB143_22:                             ;   in Loop: Header=BB143_3 Depth=1
	v_lshl_add_u64 v[36:37], v[16:17], 3, v[34:35]
	flat_load_b64 v[36:37], v[36:37]
	s_wait_loadcnt_dscnt 0x0
	v_xor_b32_e32 v37, 0x80000000, v37
	ds_store_b64 v80, v[36:37]
.LBB143_23:                             ;   in Loop: Header=BB143_3 Depth=1
	s_or_b32 exec_lo, exec_lo, s10
	s_mov_b32 s10, 0
.LBB143_24:                             ;   in Loop: Header=BB143_3 Depth=1
	s_delay_alu instid0(SALU_CYCLE_1)
	s_and_b32 vcc_lo, exec_lo, s10
	s_cbranch_vccz .LBB143_66
; %bb.25:                               ;   in Loop: Header=BB143_3 Depth=1
	s_wait_xcnt 0x0
	s_mov_b32 s10, exec_lo
	v_readlane_b32 s12, v100, 15
	s_and_b32 s12, s10, s12
	s_delay_alu instid0(SALU_CYCLE_1)
	s_xor_b32 s10, s12, s10
	s_mov_b32 exec_lo, s12
	s_cbranch_execz .LBB143_33
; %bb.26:                               ;   in Loop: Header=BB143_3 Depth=1
	s_mov_b32 s12, exec_lo
	v_readlane_b32 s50, v100, 20
	s_and_b32 s50, s12, s50
	s_delay_alu instid0(SALU_CYCLE_1)
	s_xor_b32 s12, s50, s12
	s_mov_b32 exec_lo, s50
	s_cbranch_execz .LBB143_30
; %bb.27:                               ;   in Loop: Header=BB143_3 Depth=1
	s_mov_b32 s50, exec_lo
	v_readlane_b32 s51, v99, 29
	s_and_b32 s51, s50, s51
	s_delay_alu instid0(SALU_CYCLE_1)
	s_mov_b32 exec_lo, s51
; %bb.28:                               ;   in Loop: Header=BB143_3 Depth=1
	ds_store_b64 v82, v[20:21]
; %bb.29:                               ;   in Loop: Header=BB143_3 Depth=1
	s_or_b32 exec_lo, exec_lo, s50
.LBB143_30:                             ;   in Loop: Header=BB143_3 Depth=1
	s_and_not1_saveexec_b32 s12, s12
	s_cbranch_execz .LBB143_32
; %bb.31:                               ;   in Loop: Header=BB143_3 Depth=1
	v_lshl_add_u64 v[36:37], v[10:11], 3, v[34:35]
	flat_load_b64 v[36:37], v[36:37]
	s_wait_loadcnt_dscnt 0x0
	v_div_scale_f64 v[38:39], null, v[36:37], v[36:37], 1.0
	s_delay_alu instid0(VALU_DEP_1) | instskip(SKIP_1) | instid1(TRANS32_DEP_1)
	v_rcp_f64_e32 v[40:41], v[38:39]
	v_nop
	v_fma_f64 v[94:95], -v[38:39], v[40:41], 1.0
	s_delay_alu instid0(VALU_DEP_1) | instskip(NEXT) | instid1(VALU_DEP_1)
	v_fmac_f64_e32 v[40:41], v[40:41], v[94:95]
	v_fma_f64 v[94:95], -v[38:39], v[40:41], 1.0
	s_delay_alu instid0(VALU_DEP_1) | instskip(SKIP_1) | instid1(VALU_DEP_1)
	v_fmac_f64_e32 v[40:41], v[40:41], v[94:95]
	v_div_scale_f64 v[94:95], vcc_lo, 1.0, v[36:37], 1.0
	v_mul_f64_e32 v[96:97], v[94:95], v[40:41]
	s_delay_alu instid0(VALU_DEP_1) | instskip(NEXT) | instid1(VALU_DEP_1)
	v_fma_f64 v[38:39], -v[38:39], v[96:97], v[94:95]
	v_div_fmas_f64 v[38:39], v[38:39], v[40:41], v[96:97]
	s_delay_alu instid0(VALU_DEP_1)
	v_div_fixup_f64 v[36:37], v[38:39], v[36:37], 1.0
	ds_store_b64 v82, v[36:37]
.LBB143_32:                             ;   in Loop: Header=BB143_3 Depth=1
	s_or_b32 exec_lo, exec_lo, s12
.LBB143_33:                             ;   in Loop: Header=BB143_3 Depth=1
	s_and_not1_saveexec_b32 s10, s10
	s_cbranch_execz .LBB143_35
; %bb.34:                               ;   in Loop: Header=BB143_3 Depth=1
	v_lshl_add_u64 v[36:37], v[10:11], 3, v[34:35]
	flat_load_b64 v[36:37], v[36:37]
	s_wait_loadcnt_dscnt 0x0
	v_xor_b32_e32 v37, 0x80000000, v37
	ds_store_b64 v82, v[36:37]
.LBB143_35:                             ;   in Loop: Header=BB143_3 Depth=1
	s_or_b32 exec_lo, exec_lo, s10
	s_delay_alu instid0(SALU_CYCLE_1) | instskip(SKIP_2) | instid1(SALU_CYCLE_1)
	s_mov_b32 s10, exec_lo
	v_readlane_b32 s12, v100, 16
	s_and_b32 s12, s10, s12
	s_xor_b32 s10, s12, s10
	s_mov_b32 exec_lo, s12
	s_cbranch_execz .LBB143_43
; %bb.36:                               ;   in Loop: Header=BB143_3 Depth=1
	s_mov_b32 s12, exec_lo
	v_readlane_b32 s50, v100, 22
	s_and_b32 s50, s12, s50
	s_delay_alu instid0(SALU_CYCLE_1)
	s_xor_b32 s12, s50, s12
	s_mov_b32 exec_lo, s50
	s_cbranch_execz .LBB143_40
; %bb.37:                               ;   in Loop: Header=BB143_3 Depth=1
	s_mov_b32 s50, exec_lo
	v_readlane_b32 s51, v99, 30
	s_and_b32 s51, s50, s51
	s_delay_alu instid0(SALU_CYCLE_1)
	s_mov_b32 exec_lo, s51
; %bb.38:                               ;   in Loop: Header=BB143_3 Depth=1
	ds_store_b64 v76, v[20:21]
; %bb.39:                               ;   in Loop: Header=BB143_3 Depth=1
	s_or_b32 exec_lo, exec_lo, s50
.LBB143_40:                             ;   in Loop: Header=BB143_3 Depth=1
	s_and_not1_saveexec_b32 s12, s12
	s_cbranch_execz .LBB143_42
; %bb.41:                               ;   in Loop: Header=BB143_3 Depth=1
	v_lshl_add_u64 v[36:37], v[12:13], 3, v[34:35]
	flat_load_b64 v[36:37], v[36:37]
	s_wait_loadcnt_dscnt 0x0
	v_div_scale_f64 v[38:39], null, v[36:37], v[36:37], 1.0
	s_delay_alu instid0(VALU_DEP_1) | instskip(SKIP_1) | instid1(TRANS32_DEP_1)
	v_rcp_f64_e32 v[40:41], v[38:39]
	v_nop
	v_fma_f64 v[94:95], -v[38:39], v[40:41], 1.0
	s_delay_alu instid0(VALU_DEP_1) | instskip(NEXT) | instid1(VALU_DEP_1)
	v_fmac_f64_e32 v[40:41], v[40:41], v[94:95]
	v_fma_f64 v[94:95], -v[38:39], v[40:41], 1.0
	s_delay_alu instid0(VALU_DEP_1) | instskip(SKIP_1) | instid1(VALU_DEP_1)
	v_fmac_f64_e32 v[40:41], v[40:41], v[94:95]
	v_div_scale_f64 v[94:95], vcc_lo, 1.0, v[36:37], 1.0
	v_mul_f64_e32 v[96:97], v[94:95], v[40:41]
	s_delay_alu instid0(VALU_DEP_1) | instskip(NEXT) | instid1(VALU_DEP_1)
	v_fma_f64 v[38:39], -v[38:39], v[96:97], v[94:95]
	v_div_fmas_f64 v[38:39], v[38:39], v[40:41], v[96:97]
	s_delay_alu instid0(VALU_DEP_1)
	v_div_fixup_f64 v[36:37], v[38:39], v[36:37], 1.0
	ds_store_b64 v76, v[36:37]
.LBB143_42:                             ;   in Loop: Header=BB143_3 Depth=1
	s_or_b32 exec_lo, exec_lo, s12
.LBB143_43:                             ;   in Loop: Header=BB143_3 Depth=1
	s_and_not1_saveexec_b32 s10, s10
	s_cbranch_execz .LBB143_45
; %bb.44:                               ;   in Loop: Header=BB143_3 Depth=1
	v_lshl_add_u64 v[36:37], v[12:13], 3, v[34:35]
	flat_load_b64 v[36:37], v[36:37]
	s_wait_loadcnt_dscnt 0x0
	v_xor_b32_e32 v37, 0x80000000, v37
	ds_store_b64 v76, v[36:37]
.LBB143_45:                             ;   in Loop: Header=BB143_3 Depth=1
	s_or_b32 exec_lo, exec_lo, s10
	s_delay_alu instid0(SALU_CYCLE_1) | instskip(SKIP_2) | instid1(SALU_CYCLE_1)
	s_mov_b32 s10, exec_lo
	v_readlane_b32 s12, v100, 17
	s_and_b32 s12, s10, s12
	;; [unrolled: 63-line block ×3, first 2 shown]
	s_xor_b32 s10, s12, s10
	s_mov_b32 exec_lo, s12
	s_cbranch_execz .LBB143_63
; %bb.56:                               ;   in Loop: Header=BB143_3 Depth=1
	s_mov_b32 s12, exec_lo
	v_readlane_b32 s50, v100, 26
	s_and_b32 s50, s12, s50
	s_delay_alu instid0(SALU_CYCLE_1)
	s_xor_b32 s12, s50, s12
	s_mov_b32 exec_lo, s50
	s_cbranch_execz .LBB143_60
; %bb.57:                               ;   in Loop: Header=BB143_3 Depth=1
	s_mov_b32 s50, exec_lo
	v_readlane_b32 s51, v98, 0
	s_and_b32 s51, s50, s51
	s_delay_alu instid0(SALU_CYCLE_1)
	s_mov_b32 exec_lo, s51
; %bb.58:                               ;   in Loop: Header=BB143_3 Depth=1
	ds_store_b64 v80, v[20:21]
; %bb.59:                               ;   in Loop: Header=BB143_3 Depth=1
	s_or_b32 exec_lo, exec_lo, s50
                                        ; implicit-def: $vgpr34_vgpr35
.LBB143_60:                             ;   in Loop: Header=BB143_3 Depth=1
	s_and_not1_saveexec_b32 s12, s12
	s_cbranch_execz .LBB143_62
; %bb.61:                               ;   in Loop: Header=BB143_3 Depth=1
	v_lshl_add_u64 v[34:35], v[16:17], 3, v[34:35]
	flat_load_b64 v[34:35], v[34:35]
	s_wait_loadcnt_dscnt 0x0
	v_div_scale_f64 v[36:37], null, v[34:35], v[34:35], 1.0
	s_delay_alu instid0(VALU_DEP_1) | instskip(SKIP_1) | instid1(TRANS32_DEP_1)
	v_rcp_f64_e32 v[38:39], v[36:37]
	v_nop
	v_fma_f64 v[40:41], -v[36:37], v[38:39], 1.0
	s_delay_alu instid0(VALU_DEP_1) | instskip(NEXT) | instid1(VALU_DEP_1)
	v_fmac_f64_e32 v[38:39], v[38:39], v[40:41]
	v_fma_f64 v[40:41], -v[36:37], v[38:39], 1.0
	s_delay_alu instid0(VALU_DEP_1) | instskip(SKIP_1) | instid1(VALU_DEP_1)
	v_fmac_f64_e32 v[38:39], v[38:39], v[40:41]
	v_div_scale_f64 v[40:41], vcc_lo, 1.0, v[34:35], 1.0
	v_mul_f64_e32 v[94:95], v[40:41], v[38:39]
	s_delay_alu instid0(VALU_DEP_1) | instskip(NEXT) | instid1(VALU_DEP_1)
	v_fma_f64 v[36:37], -v[36:37], v[94:95], v[40:41]
	v_div_fmas_f64 v[36:37], v[36:37], v[38:39], v[94:95]
	s_delay_alu instid0(VALU_DEP_1)
	v_div_fixup_f64 v[34:35], v[36:37], v[34:35], 1.0
	ds_store_b64 v80, v[34:35]
.LBB143_62:                             ;   in Loop: Header=BB143_3 Depth=1
	s_or_b32 exec_lo, exec_lo, s12
                                        ; implicit-def: $vgpr34_vgpr35
.LBB143_63:                             ;   in Loop: Header=BB143_3 Depth=1
	s_and_not1_saveexec_b32 s10, s10
	s_cbranch_execz .LBB143_65
; %bb.64:                               ;   in Loop: Header=BB143_3 Depth=1
	v_lshl_add_u64 v[34:35], v[16:17], 3, v[34:35]
	flat_load_b64 v[34:35], v[34:35]
	s_wait_loadcnt_dscnt 0x0
	v_xor_b32_e32 v35, 0x80000000, v35
	ds_store_b64 v80, v[34:35]
.LBB143_65:                             ;   in Loop: Header=BB143_3 Depth=1
	s_or_b32 exec_lo, exec_lo, s10
.LBB143_66:                             ;   in Loop: Header=BB143_3 Depth=1
	s_delay_alu instid0(SALU_CYCLE_1)
	s_and_not1_b32 vcc_lo, exec_lo, s90
	s_wait_loadcnt_dscnt 0x0
	s_barrier_signal -1
	s_barrier_wait -1
	s_cbranch_vccnz .LBB143_996
; %bb.67:                               ;   in Loop: Header=BB143_3 Depth=1
	s_and_saveexec_b32 s10, s14
	s_cbranch_execz .LBB143_69
; %bb.68:                               ;   in Loop: Header=BB143_3 Depth=1
	ds_load_b128 v[34:37], v5
	ds_load_b64 v[38:39], v5 offset:520
	s_wait_dscnt 0x0
	v_mul_f64_e32 v[34:35], v[34:35], v[38:39]
	s_delay_alu instid0(VALU_DEP_1)
	v_mul_f64_e32 v[34:35], v[36:37], v[34:35]
	ds_store_2addr_b64 v5, v[34:35], v[34:35] offset0:1 offset1:64
.LBB143_69:                             ;   in Loop: Header=BB143_3 Depth=1
	s_or_b32 exec_lo, exec_lo, s10
	v_mov_b64_e32 v[34:35], 0
	s_wait_dscnt 0x0
	s_barrier_signal -1
	s_barrier_wait -1
	s_and_saveexec_b32 s10, s1
	s_cbranch_execz .LBB143_73
; %bb.70:                               ;   in Loop: Header=BB143_3 Depth=1
	ds_load_b64 v[34:35], v43 offset:16
	ds_load_b64 v[36:37], v44
	s_wait_dscnt 0x0
	v_fma_f64 v[34:35], v[34:35], v[36:37], 0
	s_and_saveexec_b32 s12, s15
	s_cbranch_execz .LBB143_72
; %bb.71:                               ;   in Loop: Header=BB143_3 Depth=1
	ds_load_b64 v[36:37], v45 offset:528
	ds_load_b64 v[38:39], v5 offset:8
	s_wait_dscnt 0x0
	v_fmac_f64_e32 v[34:35], v[36:37], v[38:39]
.LBB143_72:                             ;   in Loop: Header=BB143_3 Depth=1
	s_or_b32 exec_lo, exec_lo, s12
	s_delay_alu instid0(VALU_DEP_1)
	v_xor_b32_e32 v35, 0x80000000, v35
.LBB143_73:                             ;   in Loop: Header=BB143_3 Depth=1
	s_or_b32 exec_lo, exec_lo, s10
	s_and_saveexec_b32 s10, s91
	s_cbranch_execz .LBB143_75
; %bb.74:                               ;   in Loop: Header=BB143_3 Depth=1
	ds_load_b64 v[36:37], v5 offset:1040
	s_wait_dscnt 0x0
	v_mul_f64_e32 v[34:35], v[34:35], v[36:37]
	ds_store_b64 v3, v[34:35]
.LBB143_75:                             ;   in Loop: Header=BB143_3 Depth=1
	s_or_b32 exec_lo, exec_lo, s10
	s_wait_dscnt 0x0
	s_barrier_signal -1
	s_barrier_wait -1
	s_and_saveexec_b32 s10, s92
	s_cbranch_execz .LBB143_77
; %bb.76:                               ;   in Loop: Header=BB143_3 Depth=1
	ds_load_b64 v[36:37], v5 offset:1048
	ds_load_b64 v[38:39], v3
	s_wait_dscnt 0x0
	v_fmac_f64_e32 v[34:35], v[36:37], v[38:39]
.LBB143_77:                             ;   in Loop: Header=BB143_3 Depth=1
	s_or_b32 exec_lo, exec_lo, s10
	s_barrier_signal -1
	s_barrier_wait -1
	s_and_saveexec_b32 s10, s92
	s_cbranch_execz .LBB143_79
; %bb.78:                               ;   in Loop: Header=BB143_3 Depth=1
	ds_load_b64 v[36:37], v5 offset:1560
	s_wait_dscnt 0x0
	v_mul_f64_e32 v[34:35], v[34:35], v[36:37]
	ds_store_b64 v3, v[34:35]
.LBB143_79:                             ;   in Loop: Header=BB143_3 Depth=1
	s_or_b32 exec_lo, exec_lo, s10
	s_wait_dscnt 0x0
	s_barrier_signal -1
	s_barrier_wait -1
	s_barrier_signal -1
	s_barrier_wait -1
	s_and_saveexec_b32 s10, s1
; %bb.80:                               ;   in Loop: Header=BB143_3 Depth=1
	s_delay_alu instid0(VALU_DEP_1)
	v_xor_b32_e32 v35, 0x80000000, v35
	ds_store_b64 v43, v[34:35] offset:16
; %bb.81:                               ;   in Loop: Header=BB143_3 Depth=1
	s_or_b32 exec_lo, exec_lo, s10
	s_wait_dscnt 0x0
	s_barrier_signal -1
	s_barrier_wait -1
	s_barrier_signal -1
	s_barrier_wait -1
	s_and_saveexec_b32 s10, s93
	s_cbranch_execz .LBB143_83
; %bb.82:                               ;   in Loop: Header=BB143_3 Depth=1
	ds_load_b64 v[34:35], v48 offset:16
	s_wait_dscnt 0x0
	ds_store_b64 v45, v[34:35] offset:1024
	ds_load_b64 v[34:35], v48 offset:24
	s_wait_dscnt 0x0
	ds_store_b64 v45, v[34:35] offset:1536
.LBB143_83:                             ;   in Loop: Header=BB143_3 Depth=1
	s_or_b32 exec_lo, exec_lo, s10
	s_wait_dscnt 0x0
	s_barrier_signal -1
	s_barrier_wait -1
	s_and_saveexec_b32 s10, s14
	s_cbranch_execz .LBB143_85
; %bb.84:                               ;   in Loop: Header=BB143_3 Depth=1
	ds_load_b128 v[34:37], v5 offset:1040
	ds_load_b64 v[38:39], v5 offset:1560
	s_wait_dscnt 0x0
	v_mul_f64_e32 v[34:35], v[34:35], v[38:39]
	s_delay_alu instid0(VALU_DEP_1)
	v_mul_f64_e32 v[34:35], v[36:37], v[34:35]
	ds_store_2addr_b64 v5, v[34:35], v[34:35] offset0:131 offset1:194
.LBB143_85:                             ;   in Loop: Header=BB143_3 Depth=1
	s_or_b32 exec_lo, exec_lo, s10
	v_mov_b64_e32 v[34:35], 0
	s_wait_dscnt 0x0
	s_barrier_signal -1
	s_barrier_wait -1
	s_and_saveexec_b32 s10, s3
	s_cbranch_execz .LBB143_91
; %bb.86:                               ;   in Loop: Header=BB143_3 Depth=1
	ds_load_b64 v[34:35], v50 offset:32
	ds_load_b64 v[36:37], v46
	s_wait_dscnt 0x0
	v_fma_f64 v[34:35], v[34:35], v[36:37], 0
	s_and_saveexec_b32 s12, s16
	s_cbranch_execnz .LBB143_1099
; %bb.87:                               ;   in Loop: Header=BB143_3 Depth=1
	s_or_b32 exec_lo, exec_lo, s12
	s_and_saveexec_b32 s12, s17
	s_cbranch_execnz .LBB143_1100
.LBB143_88:                             ;   in Loop: Header=BB143_3 Depth=1
	s_or_b32 exec_lo, exec_lo, s12
	s_and_saveexec_b32 s12, s1
	s_cbranch_execz .LBB143_90
.LBB143_89:                             ;   in Loop: Header=BB143_3 Depth=1
	ds_load_b64 v[36:37], v52 offset:1568
	ds_load_b64 v[38:39], v5 offset:24
	s_wait_dscnt 0x0
	v_fmac_f64_e32 v[34:35], v[36:37], v[38:39]
.LBB143_90:                             ;   in Loop: Header=BB143_3 Depth=1
	s_or_b32 exec_lo, exec_lo, s12
	s_delay_alu instid0(VALU_DEP_1)
	v_xor_b32_e32 v35, 0x80000000, v35
.LBB143_91:                             ;   in Loop: Header=BB143_3 Depth=1
	s_or_b32 exec_lo, exec_lo, s10
	s_and_saveexec_b32 s10, s94
	s_cbranch_execz .LBB143_93
; %bb.92:                               ;   in Loop: Header=BB143_3 Depth=1
	ds_load_b64 v[36:37], v5 offset:2080
	s_wait_dscnt 0x0
	v_mul_f64_e32 v[34:35], v[34:35], v[36:37]
	ds_store_b64 v49, v[34:35]
.LBB143_93:                             ;   in Loop: Header=BB143_3 Depth=1
	s_or_b32 exec_lo, exec_lo, s10
	s_wait_dscnt 0x0
	s_barrier_signal -1
	s_barrier_wait -1
	s_and_saveexec_b32 s10, s95
	s_cbranch_execz .LBB143_95
; %bb.94:                               ;   in Loop: Header=BB143_3 Depth=1
	ds_load_b64 v[36:37], v47 offset:2080
	ds_load_b64 v[38:39], v49
	s_wait_dscnt 0x0
	v_fmac_f64_e32 v[34:35], v[36:37], v[38:39]
.LBB143_95:                             ;   in Loop: Header=BB143_3 Depth=1
	s_or_b32 exec_lo, exec_lo, s10
	s_barrier_signal -1
	s_barrier_wait -1
	s_and_saveexec_b32 s10, s96
	s_cbranch_execz .LBB143_97
; %bb.96:                               ;   in Loop: Header=BB143_3 Depth=1
	ds_load_b64 v[36:37], v5 offset:2600
	s_wait_dscnt 0x0
	v_mul_f64_e32 v[34:35], v[34:35], v[36:37]
	ds_store_b64 v49, v[34:35]
.LBB143_97:                             ;   in Loop: Header=BB143_3 Depth=1
	s_or_b32 exec_lo, exec_lo, s10
	s_wait_dscnt 0x0
	s_barrier_signal -1
	s_barrier_wait -1
	s_and_saveexec_b32 s10, s97
	s_cbranch_execz .LBB143_99
; %bb.98:                               ;   in Loop: Header=BB143_3 Depth=1
	ds_load_b64 v[36:37], v47 offset:2592
	ds_load_b64 v[38:39], v49
	s_wait_dscnt 0x0
	v_fmac_f64_e32 v[34:35], v[36:37], v[38:39]
.LBB143_99:                             ;   in Loop: Header=BB143_3 Depth=1
	s_or_b32 exec_lo, exec_lo, s10
	s_barrier_signal -1
	s_barrier_wait -1
	s_and_saveexec_b32 s10, s98
	s_cbranch_execz .LBB143_101
; %bb.100:                              ;   in Loop: Header=BB143_3 Depth=1
	ds_load_b64 v[36:37], v5 offset:3120
	s_wait_dscnt 0x0
	v_mul_f64_e32 v[34:35], v[34:35], v[36:37]
	ds_store_b64 v49, v[34:35]
.LBB143_101:                            ;   in Loop: Header=BB143_3 Depth=1
	s_or_b32 exec_lo, exec_lo, s10
	s_wait_dscnt 0x0
	s_barrier_signal -1
	s_barrier_wait -1
	s_and_saveexec_b32 s10, s99
	s_cbranch_execz .LBB143_103
; %bb.102:                              ;   in Loop: Header=BB143_3 Depth=1
	ds_load_b64 v[36:37], v5 offset:3128
	ds_load_b64 v[38:39], v49
	s_wait_dscnt 0x0
	v_fmac_f64_e32 v[34:35], v[36:37], v[38:39]
.LBB143_103:                            ;   in Loop: Header=BB143_3 Depth=1
	s_or_b32 exec_lo, exec_lo, s10
	s_barrier_signal -1
	s_barrier_wait -1
	s_and_saveexec_b32 s10, s99
	s_cbranch_execz .LBB143_105
; %bb.104:                              ;   in Loop: Header=BB143_3 Depth=1
	ds_load_b64 v[36:37], v5 offset:3640
	s_wait_dscnt 0x0
	v_mul_f64_e32 v[34:35], v[34:35], v[36:37]
	ds_store_b64 v49, v[34:35]
.LBB143_105:                            ;   in Loop: Header=BB143_3 Depth=1
	s_or_b32 exec_lo, exec_lo, s10
	s_wait_dscnt 0x0
	s_barrier_signal -1
	s_barrier_wait -1
	s_barrier_signal -1
	s_barrier_wait -1
	s_and_saveexec_b32 s10, s3
; %bb.106:                              ;   in Loop: Header=BB143_3 Depth=1
	s_delay_alu instid0(VALU_DEP_1)
	v_xor_b32_e32 v35, 0x80000000, v35
	ds_store_b64 v50, v[34:35] offset:32
; %bb.107:                              ;   in Loop: Header=BB143_3 Depth=1
	s_or_b32 exec_lo, exec_lo, s10
	s_wait_dscnt 0x0
	s_barrier_signal -1
	s_barrier_wait -1
	s_barrier_signal -1
	s_barrier_wait -1
	s_and_saveexec_b32 s10, s100
	s_cbranch_execz .LBB143_109
; %bb.108:                              ;   in Loop: Header=BB143_3 Depth=1
	ds_load_b64 v[34:35], v53 offset:32
	s_wait_dscnt 0x0
	ds_store_b64 v54, v[34:35] offset:2048
	ds_load_b64 v[34:35], v53 offset:40
	s_wait_dscnt 0x0
	ds_store_b64 v54, v[34:35] offset:2560
	;; [unrolled: 3-line block ×4, first 2 shown]
.LBB143_109:                            ;   in Loop: Header=BB143_3 Depth=1
	s_or_b32 exec_lo, exec_lo, s10
	s_wait_dscnt 0x0
	s_barrier_signal -1
	s_barrier_wait -1
	s_and_saveexec_b32 s10, s14
	s_cbranch_execz .LBB143_111
; %bb.110:                              ;   in Loop: Header=BB143_3 Depth=1
	ds_load_b128 v[34:37], v5 offset:2080
	ds_load_b64 v[38:39], v5 offset:2600
	s_wait_dscnt 0x0
	v_mul_f64_e32 v[34:35], v[34:35], v[38:39]
	s_delay_alu instid0(VALU_DEP_1)
	v_mul_f64_e32 v[34:35], v[36:37], v[34:35]
	v_add_nc_u32_e64 v36, 0x800, 0
	ds_store_2addr_b64 v36, v[34:35], v[34:35] offset0:5 offset1:68
.LBB143_111:                            ;   in Loop: Header=BB143_3 Depth=1
	s_or_b32 exec_lo, exec_lo, s10
	v_mov_b64_e32 v[34:35], 0
	s_wait_dscnt 0x0
	s_barrier_signal -1
	s_barrier_wait -1
	s_and_saveexec_b32 s10, s1
	s_cbranch_execz .LBB143_115
; %bb.112:                              ;   in Loop: Header=BB143_3 Depth=1
	ds_load_b64 v[34:35], v43 offset:2096
	ds_load_b64 v[36:37], v44 offset:2080
	s_wait_dscnt 0x0
	v_fma_f64 v[34:35], v[34:35], v[36:37], 0
	s_and_saveexec_b32 s12, s15
	s_cbranch_execz .LBB143_114
; %bb.113:                              ;   in Loop: Header=BB143_3 Depth=1
	ds_load_b64 v[36:37], v54 offset:2608
	ds_load_b64 v[38:39], v5 offset:2088
	s_wait_dscnt 0x0
	v_fmac_f64_e32 v[34:35], v[36:37], v[38:39]
.LBB143_114:                            ;   in Loop: Header=BB143_3 Depth=1
	s_or_b32 exec_lo, exec_lo, s12
	s_delay_alu instid0(VALU_DEP_1)
	v_xor_b32_e32 v35, 0x80000000, v35
.LBB143_115:                            ;   in Loop: Header=BB143_3 Depth=1
	s_or_b32 exec_lo, exec_lo, s10
	s_and_saveexec_b32 s10, s91
	s_cbranch_execz .LBB143_117
; %bb.116:                              ;   in Loop: Header=BB143_3 Depth=1
	ds_load_b64 v[36:37], v5 offset:3120
	s_wait_dscnt 0x0
	v_mul_f64_e32 v[34:35], v[34:35], v[36:37]
	ds_store_b64 v3, v[34:35]
.LBB143_117:                            ;   in Loop: Header=BB143_3 Depth=1
	s_or_b32 exec_lo, exec_lo, s10
	s_wait_dscnt 0x0
	s_barrier_signal -1
	s_barrier_wait -1
	s_and_saveexec_b32 s10, s92
	s_cbranch_execz .LBB143_119
; %bb.118:                              ;   in Loop: Header=BB143_3 Depth=1
	ds_load_b64 v[36:37], v5 offset:3128
	ds_load_b64 v[38:39], v3
	s_wait_dscnt 0x0
	v_fmac_f64_e32 v[34:35], v[36:37], v[38:39]
.LBB143_119:                            ;   in Loop: Header=BB143_3 Depth=1
	s_or_b32 exec_lo, exec_lo, s10
	s_barrier_signal -1
	s_barrier_wait -1
	s_and_saveexec_b32 s10, s92
	s_cbranch_execz .LBB143_121
; %bb.120:                              ;   in Loop: Header=BB143_3 Depth=1
	ds_load_b64 v[36:37], v5 offset:3640
	s_wait_dscnt 0x0
	v_mul_f64_e32 v[34:35], v[34:35], v[36:37]
	ds_store_b64 v3, v[34:35]
.LBB143_121:                            ;   in Loop: Header=BB143_3 Depth=1
	s_or_b32 exec_lo, exec_lo, s10
	s_wait_dscnt 0x0
	s_barrier_signal -1
	s_barrier_wait -1
	s_barrier_signal -1
	s_barrier_wait -1
	s_and_saveexec_b32 s10, s1
; %bb.122:                              ;   in Loop: Header=BB143_3 Depth=1
	s_delay_alu instid0(VALU_DEP_1)
	v_xor_b32_e32 v35, 0x80000000, v35
	ds_store_b64 v43, v[34:35] offset:2096
; %bb.123:                              ;   in Loop: Header=BB143_3 Depth=1
	s_or_b32 exec_lo, exec_lo, s10
	s_wait_dscnt 0x0
	s_barrier_signal -1
	s_barrier_wait -1
	s_barrier_signal -1
	s_barrier_wait -1
	s_and_saveexec_b32 s10, s93
	s_cbranch_execz .LBB143_125
; %bb.124:                              ;   in Loop: Header=BB143_3 Depth=1
	ds_load_b64 v[34:35], v57 offset:2096
	s_wait_dscnt 0x0
	ds_store_b64 v54, v[34:35] offset:3104
	ds_load_b64 v[34:35], v57 offset:2104
	s_wait_dscnt 0x0
	ds_store_b64 v54, v[34:35] offset:3616
.LBB143_125:                            ;   in Loop: Header=BB143_3 Depth=1
	s_or_b32 exec_lo, exec_lo, s10
	s_wait_dscnt 0x0
	s_barrier_signal -1
	s_barrier_wait -1
	s_and_saveexec_b32 s10, s14
	s_cbranch_execz .LBB143_127
; %bb.126:                              ;   in Loop: Header=BB143_3 Depth=1
	ds_load_b128 v[34:37], v5 offset:3120
	ds_load_b64 v[38:39], v5 offset:3640
	s_wait_dscnt 0x0
	v_mul_f64_e32 v[34:35], v[34:35], v[38:39]
	s_delay_alu instid0(VALU_DEP_1)
	v_mul_f64_e32 v[34:35], v[36:37], v[34:35]
	v_add_nc_u32_e64 v36, 0x800, 0
	ds_store_2addr_b64 v36, v[34:35], v[34:35] offset0:135 offset1:198
.LBB143_127:                            ;   in Loop: Header=BB143_3 Depth=1
	s_or_b32 exec_lo, exec_lo, s10
	v_mov_b64_e32 v[34:35], 0
	s_wait_dscnt 0x0
	s_barrier_signal -1
	s_barrier_wait -1
	s_and_saveexec_b32 s10, s4
	s_cbranch_execz .LBB143_137
; %bb.128:                              ;   in Loop: Header=BB143_3 Depth=1
	ds_load_b64 v[34:35], v59 offset:64
	ds_load_b64 v[36:37], v55
	s_wait_dscnt 0x0
	v_fma_f64 v[34:35], v[34:35], v[36:37], 0
	s_and_saveexec_b32 s12, s18
	s_cbranch_execnz .LBB143_1101
; %bb.129:                              ;   in Loop: Header=BB143_3 Depth=1
	s_or_b32 exec_lo, exec_lo, s12
	s_and_saveexec_b32 s12, s19
	s_cbranch_execnz .LBB143_1102
.LBB143_130:                            ;   in Loop: Header=BB143_3 Depth=1
	s_or_b32 exec_lo, exec_lo, s12
	s_and_saveexec_b32 s12, s20
	s_cbranch_execnz .LBB143_1103
.LBB143_131:                            ;   in Loop: Header=BB143_3 Depth=1
	s_or_b32 exec_lo, exec_lo, s12
	s_and_saveexec_b32 s12, s21
	s_cbranch_execnz .LBB143_1104
.LBB143_132:                            ;   in Loop: Header=BB143_3 Depth=1
	s_or_b32 exec_lo, exec_lo, s12
	s_and_saveexec_b32 s12, s22
	s_cbranch_execnz .LBB143_1105
.LBB143_133:                            ;   in Loop: Header=BB143_3 Depth=1
	s_or_b32 exec_lo, exec_lo, s12
	s_and_saveexec_b32 s12, s3
	s_cbranch_execnz .LBB143_1106
.LBB143_134:                            ;   in Loop: Header=BB143_3 Depth=1
	s_or_b32 exec_lo, exec_lo, s12
	s_and_saveexec_b32 s12, s17
	s_cbranch_execz .LBB143_136
.LBB143_135:                            ;   in Loop: Header=BB143_3 Depth=1
	ds_load_b64 v[36:37], v61 offset:3648
	ds_load_b64 v[38:39], v5 offset:56
	s_wait_dscnt 0x0
	v_fmac_f64_e32 v[34:35], v[36:37], v[38:39]
.LBB143_136:                            ;   in Loop: Header=BB143_3 Depth=1
	s_or_b32 exec_lo, exec_lo, s12
	s_delay_alu instid0(VALU_DEP_1)
	v_xor_b32_e32 v35, 0x80000000, v35
.LBB143_137:                            ;   in Loop: Header=BB143_3 Depth=1
	s_or_b32 exec_lo, exec_lo, s10
	s_and_saveexec_b32 s10, s101
	s_cbranch_execz .LBB143_139
; %bb.138:                              ;   in Loop: Header=BB143_3 Depth=1
	ds_load_b64 v[36:37], v5 offset:4160
	s_wait_dscnt 0x0
	v_mul_f64_e32 v[34:35], v[34:35], v[36:37]
	ds_store_b64 v58, v[34:35]
.LBB143_139:                            ;   in Loop: Header=BB143_3 Depth=1
	s_or_b32 exec_lo, exec_lo, s10
	s_wait_dscnt 0x0
	s_barrier_signal -1
	s_barrier_wait -1
	s_and_saveexec_b32 s10, s102
	s_cbranch_execz .LBB143_141
; %bb.140:                              ;   in Loop: Header=BB143_3 Depth=1
	ds_load_b64 v[36:37], v56 offset:4160
	ds_load_b64 v[38:39], v58
	s_wait_dscnt 0x0
	v_fmac_f64_e32 v[34:35], v[36:37], v[38:39]
.LBB143_141:                            ;   in Loop: Header=BB143_3 Depth=1
	s_or_b32 exec_lo, exec_lo, s10
	s_barrier_signal -1
	s_barrier_wait -1
	s_and_saveexec_b32 s10, s103
	s_cbranch_execz .LBB143_143
; %bb.142:                              ;   in Loop: Header=BB143_3 Depth=1
	ds_load_b64 v[36:37], v5 offset:4680
	s_wait_dscnt 0x0
	v_mul_f64_e32 v[34:35], v[34:35], v[36:37]
	ds_store_b64 v58, v[34:35]
.LBB143_143:                            ;   in Loop: Header=BB143_3 Depth=1
	s_or_b32 exec_lo, exec_lo, s10
	s_wait_dscnt 0x0
	s_barrier_signal -1
	s_barrier_wait -1
	s_and_saveexec_b32 s10, s104
	s_cbranch_execz .LBB143_145
; %bb.144:                              ;   in Loop: Header=BB143_3 Depth=1
	ds_load_b64 v[36:37], v56 offset:4672
	ds_load_b64 v[38:39], v58
	s_wait_dscnt 0x0
	v_fmac_f64_e32 v[34:35], v[36:37], v[38:39]
.LBB143_145:                            ;   in Loop: Header=BB143_3 Depth=1
	s_or_b32 exec_lo, exec_lo, s10
	s_barrier_signal -1
	s_barrier_wait -1
	s_and_saveexec_b32 s10, vcc_hi
	s_cbranch_execz .LBB143_147
; %bb.146:                              ;   in Loop: Header=BB143_3 Depth=1
	ds_load_b64 v[36:37], v5 offset:5200
	s_wait_dscnt 0x0
	v_mul_f64_e32 v[34:35], v[34:35], v[36:37]
	ds_store_b64 v58, v[34:35]
.LBB143_147:                            ;   in Loop: Header=BB143_3 Depth=1
	s_or_b32 exec_lo, exec_lo, s10
	s_wait_dscnt 0x0
	s_barrier_signal -1
	s_barrier_wait -1
	s_and_saveexec_b32 s10, s36
	s_cbranch_execz .LBB143_149
; %bb.148:                              ;   in Loop: Header=BB143_3 Depth=1
	ds_load_b64 v[36:37], v56 offset:5184
	ds_load_b64 v[38:39], v58
	s_wait_dscnt 0x0
	v_fmac_f64_e32 v[34:35], v[36:37], v[38:39]
.LBB143_149:                            ;   in Loop: Header=BB143_3 Depth=1
	s_or_b32 exec_lo, exec_lo, s10
	s_barrier_signal -1
	s_barrier_wait -1
	s_and_saveexec_b32 s10, s37
	s_cbranch_execz .LBB143_151
; %bb.150:                              ;   in Loop: Header=BB143_3 Depth=1
	ds_load_b64 v[36:37], v5 offset:5720
	s_wait_dscnt 0x0
	v_mul_f64_e32 v[34:35], v[34:35], v[36:37]
	ds_store_b64 v58, v[34:35]
.LBB143_151:                            ;   in Loop: Header=BB143_3 Depth=1
	s_or_b32 exec_lo, exec_lo, s10
	s_wait_dscnt 0x0
	s_barrier_signal -1
	s_barrier_wait -1
	s_and_saveexec_b32 s10, s38
	s_cbranch_execz .LBB143_153
; %bb.152:                              ;   in Loop: Header=BB143_3 Depth=1
	ds_load_b64 v[36:37], v56 offset:5696
	ds_load_b64 v[38:39], v58
	s_wait_dscnt 0x0
	v_fmac_f64_e32 v[34:35], v[36:37], v[38:39]
.LBB143_153:                            ;   in Loop: Header=BB143_3 Depth=1
	s_or_b32 exec_lo, exec_lo, s10
	s_barrier_signal -1
	s_barrier_wait -1
	s_and_saveexec_b32 s10, s39
	;; [unrolled: 23-line block ×5, first 2 shown]
	s_cbranch_execz .LBB143_167
; %bb.166:                              ;   in Loop: Header=BB143_3 Depth=1
	ds_load_b64 v[36:37], v5 offset:7800
	s_wait_dscnt 0x0
	v_mul_f64_e32 v[34:35], v[34:35], v[36:37]
	ds_store_b64 v58, v[34:35]
.LBB143_167:                            ;   in Loop: Header=BB143_3 Depth=1
	s_or_b32 exec_lo, exec_lo, s10
	s_wait_dscnt 0x0
	s_barrier_signal -1
	s_barrier_wait -1
	s_barrier_signal -1
	s_barrier_wait -1
	s_and_saveexec_b32 s10, s4
; %bb.168:                              ;   in Loop: Header=BB143_3 Depth=1
	s_delay_alu instid0(VALU_DEP_1)
	v_xor_b32_e32 v35, 0x80000000, v35
	ds_store_b64 v59, v[34:35] offset:64
; %bb.169:                              ;   in Loop: Header=BB143_3 Depth=1
	s_or_b32 exec_lo, exec_lo, s10
	s_wait_dscnt 0x0
	s_barrier_signal -1
	s_barrier_wait -1
	s_barrier_signal -1
	s_barrier_wait -1
	s_and_saveexec_b32 s10, s45
	s_cbranch_execz .LBB143_171
; %bb.170:                              ;   in Loop: Header=BB143_3 Depth=1
	ds_load_b64 v[34:35], v63 offset:64
	s_wait_dscnt 0x0
	ds_store_b64 v71, v[34:35] offset:4096
	ds_load_b64 v[34:35], v63 offset:72
	s_wait_dscnt 0x0
	ds_store_b64 v71, v[34:35] offset:4608
	;; [unrolled: 3-line block ×8, first 2 shown]
.LBB143_171:                            ;   in Loop: Header=BB143_3 Depth=1
	s_or_b32 exec_lo, exec_lo, s10
	s_wait_dscnt 0x0
	s_barrier_signal -1
	s_barrier_wait -1
	s_and_saveexec_b32 s10, s14
	s_cbranch_execz .LBB143_173
; %bb.172:                              ;   in Loop: Header=BB143_3 Depth=1
	ds_load_b128 v[34:37], v5 offset:4160
	ds_load_b64 v[38:39], v5 offset:4680
	s_wait_dscnt 0x0
	v_mul_f64_e32 v[34:35], v[34:35], v[38:39]
	s_delay_alu instid0(VALU_DEP_1)
	v_mul_f64_e32 v[34:35], v[36:37], v[34:35]
	v_add_nc_u32_e64 v36, 0x1000, 0
	ds_store_2addr_b64 v36, v[34:35], v[34:35] offset0:9 offset1:72
.LBB143_173:                            ;   in Loop: Header=BB143_3 Depth=1
	s_or_b32 exec_lo, exec_lo, s10
	v_mov_b64_e32 v[34:35], 0
	s_wait_dscnt 0x0
	s_barrier_signal -1
	s_barrier_wait -1
	s_and_saveexec_b32 s10, s1
	s_cbranch_execz .LBB143_177
; %bb.174:                              ;   in Loop: Header=BB143_3 Depth=1
	ds_load_b64 v[34:35], v43 offset:4176
	ds_load_b64 v[36:37], v44 offset:4160
	s_wait_dscnt 0x0
	v_fma_f64 v[34:35], v[34:35], v[36:37], 0
	s_and_saveexec_b32 s12, s15
	s_cbranch_execz .LBB143_176
; %bb.175:                              ;   in Loop: Header=BB143_3 Depth=1
	ds_load_b64 v[36:37], v71 offset:4688
	ds_load_b64 v[38:39], v5 offset:4168
	s_wait_dscnt 0x0
	v_fmac_f64_e32 v[34:35], v[36:37], v[38:39]
.LBB143_176:                            ;   in Loop: Header=BB143_3 Depth=1
	s_or_b32 exec_lo, exec_lo, s12
	s_delay_alu instid0(VALU_DEP_1)
	v_xor_b32_e32 v35, 0x80000000, v35
.LBB143_177:                            ;   in Loop: Header=BB143_3 Depth=1
	s_or_b32 exec_lo, exec_lo, s10
	s_and_saveexec_b32 s10, s91
	s_cbranch_execz .LBB143_179
; %bb.178:                              ;   in Loop: Header=BB143_3 Depth=1
	ds_load_b64 v[36:37], v5 offset:5200
	s_wait_dscnt 0x0
	v_mul_f64_e32 v[34:35], v[34:35], v[36:37]
	ds_store_b64 v3, v[34:35]
.LBB143_179:                            ;   in Loop: Header=BB143_3 Depth=1
	s_or_b32 exec_lo, exec_lo, s10
	s_wait_dscnt 0x0
	s_barrier_signal -1
	s_barrier_wait -1
	s_and_saveexec_b32 s10, s92
	s_cbranch_execz .LBB143_181
; %bb.180:                              ;   in Loop: Header=BB143_3 Depth=1
	ds_load_b64 v[36:37], v5 offset:5208
	ds_load_b64 v[38:39], v3
	s_wait_dscnt 0x0
	v_fmac_f64_e32 v[34:35], v[36:37], v[38:39]
.LBB143_181:                            ;   in Loop: Header=BB143_3 Depth=1
	s_or_b32 exec_lo, exec_lo, s10
	s_barrier_signal -1
	s_barrier_wait -1
	s_and_saveexec_b32 s10, s92
	s_cbranch_execz .LBB143_183
; %bb.182:                              ;   in Loop: Header=BB143_3 Depth=1
	ds_load_b64 v[36:37], v5 offset:5720
	s_wait_dscnt 0x0
	v_mul_f64_e32 v[34:35], v[34:35], v[36:37]
	ds_store_b64 v3, v[34:35]
.LBB143_183:                            ;   in Loop: Header=BB143_3 Depth=1
	s_or_b32 exec_lo, exec_lo, s10
	s_wait_dscnt 0x0
	s_barrier_signal -1
	s_barrier_wait -1
	s_barrier_signal -1
	s_barrier_wait -1
	s_and_saveexec_b32 s10, s1
; %bb.184:                              ;   in Loop: Header=BB143_3 Depth=1
	s_delay_alu instid0(VALU_DEP_1)
	v_xor_b32_e32 v35, 0x80000000, v35
	ds_store_b64 v43, v[34:35] offset:4176
; %bb.185:                              ;   in Loop: Header=BB143_3 Depth=1
	s_or_b32 exec_lo, exec_lo, s10
	s_wait_dscnt 0x0
	s_barrier_signal -1
	s_barrier_wait -1
	s_barrier_signal -1
	s_barrier_wait -1
	s_and_saveexec_b32 s10, s93
	s_cbranch_execz .LBB143_187
; %bb.186:                              ;   in Loop: Header=BB143_3 Depth=1
	ds_load_b64 v[34:35], v72 offset:4176
	s_wait_dscnt 0x0
	ds_store_b64 v71, v[34:35] offset:5184
	ds_load_b64 v[34:35], v72 offset:4184
	s_wait_dscnt 0x0
	ds_store_b64 v71, v[34:35] offset:5696
.LBB143_187:                            ;   in Loop: Header=BB143_3 Depth=1
	s_or_b32 exec_lo, exec_lo, s10
	s_wait_dscnt 0x0
	s_barrier_signal -1
	s_barrier_wait -1
	s_and_saveexec_b32 s10, s14
	s_cbranch_execz .LBB143_189
; %bb.188:                              ;   in Loop: Header=BB143_3 Depth=1
	ds_load_b128 v[34:37], v5 offset:5200
	ds_load_b64 v[38:39], v5 offset:5720
	s_wait_dscnt 0x0
	v_mul_f64_e32 v[34:35], v[34:35], v[38:39]
	s_delay_alu instid0(VALU_DEP_1)
	v_mul_f64_e32 v[34:35], v[36:37], v[34:35]
	v_add_nc_u32_e64 v36, 0x1000, 0
	ds_store_2addr_b64 v36, v[34:35], v[34:35] offset0:139 offset1:202
.LBB143_189:                            ;   in Loop: Header=BB143_3 Depth=1
	s_or_b32 exec_lo, exec_lo, s10
	v_mov_b64_e32 v[34:35], 0
	s_wait_dscnt 0x0
	s_barrier_signal -1
	s_barrier_wait -1
	s_and_saveexec_b32 s10, s3
	s_cbranch_execz .LBB143_195
; %bb.190:                              ;   in Loop: Header=BB143_3 Depth=1
	ds_load_b64 v[34:35], v50 offset:4192
	ds_load_b64 v[36:37], v46 offset:4160
	s_wait_dscnt 0x0
	v_fma_f64 v[34:35], v[34:35], v[36:37], 0
	s_and_saveexec_b32 s12, s16
	s_cbranch_execnz .LBB143_1107
; %bb.191:                              ;   in Loop: Header=BB143_3 Depth=1
	s_or_b32 exec_lo, exec_lo, s12
	s_and_saveexec_b32 s12, s17
	s_cbranch_execnz .LBB143_1108
.LBB143_192:                            ;   in Loop: Header=BB143_3 Depth=1
	s_or_b32 exec_lo, exec_lo, s12
	s_and_saveexec_b32 s12, s1
	s_cbranch_execz .LBB143_194
.LBB143_193:                            ;   in Loop: Header=BB143_3 Depth=1
	ds_load_b64 v[36:37], v73 offset:5728
	ds_load_b64 v[38:39], v5 offset:4184
	s_wait_dscnt 0x0
	v_fmac_f64_e32 v[34:35], v[36:37], v[38:39]
.LBB143_194:                            ;   in Loop: Header=BB143_3 Depth=1
	s_or_b32 exec_lo, exec_lo, s12
	s_delay_alu instid0(VALU_DEP_1)
	v_xor_b32_e32 v35, 0x80000000, v35
.LBB143_195:                            ;   in Loop: Header=BB143_3 Depth=1
	s_or_b32 exec_lo, exec_lo, s10
	s_and_saveexec_b32 s10, s94
	s_cbranch_execz .LBB143_197
; %bb.196:                              ;   in Loop: Header=BB143_3 Depth=1
	ds_load_b64 v[36:37], v5 offset:6240
	s_wait_dscnt 0x0
	v_mul_f64_e32 v[34:35], v[34:35], v[36:37]
	ds_store_b64 v49, v[34:35]
.LBB143_197:                            ;   in Loop: Header=BB143_3 Depth=1
	s_or_b32 exec_lo, exec_lo, s10
	s_wait_dscnt 0x0
	s_barrier_signal -1
	s_barrier_wait -1
	s_and_saveexec_b32 s10, s95
	s_cbranch_execz .LBB143_199
; %bb.198:                              ;   in Loop: Header=BB143_3 Depth=1
	ds_load_b64 v[36:37], v47 offset:6240
	ds_load_b64 v[38:39], v49
	s_wait_dscnt 0x0
	v_fmac_f64_e32 v[34:35], v[36:37], v[38:39]
.LBB143_199:                            ;   in Loop: Header=BB143_3 Depth=1
	s_or_b32 exec_lo, exec_lo, s10
	s_barrier_signal -1
	s_barrier_wait -1
	s_and_saveexec_b32 s10, s96
	s_cbranch_execz .LBB143_201
; %bb.200:                              ;   in Loop: Header=BB143_3 Depth=1
	ds_load_b64 v[36:37], v5 offset:6760
	s_wait_dscnt 0x0
	v_mul_f64_e32 v[34:35], v[34:35], v[36:37]
	ds_store_b64 v49, v[34:35]
.LBB143_201:                            ;   in Loop: Header=BB143_3 Depth=1
	s_or_b32 exec_lo, exec_lo, s10
	s_wait_dscnt 0x0
	s_barrier_signal -1
	s_barrier_wait -1
	s_and_saveexec_b32 s10, s97
	s_cbranch_execz .LBB143_203
; %bb.202:                              ;   in Loop: Header=BB143_3 Depth=1
	ds_load_b64 v[36:37], v47 offset:6752
	ds_load_b64 v[38:39], v49
	s_wait_dscnt 0x0
	v_fmac_f64_e32 v[34:35], v[36:37], v[38:39]
.LBB143_203:                            ;   in Loop: Header=BB143_3 Depth=1
	s_or_b32 exec_lo, exec_lo, s10
	s_barrier_signal -1
	s_barrier_wait -1
	;; [unrolled: 23-line block ×3, first 2 shown]
	s_and_saveexec_b32 s10, s99
	s_cbranch_execz .LBB143_209
; %bb.208:                              ;   in Loop: Header=BB143_3 Depth=1
	ds_load_b64 v[36:37], v5 offset:7800
	s_wait_dscnt 0x0
	v_mul_f64_e32 v[34:35], v[34:35], v[36:37]
	ds_store_b64 v49, v[34:35]
.LBB143_209:                            ;   in Loop: Header=BB143_3 Depth=1
	s_or_b32 exec_lo, exec_lo, s10
	s_wait_dscnt 0x0
	s_barrier_signal -1
	s_barrier_wait -1
	s_barrier_signal -1
	s_barrier_wait -1
	s_and_saveexec_b32 s10, s3
; %bb.210:                              ;   in Loop: Header=BB143_3 Depth=1
	s_delay_alu instid0(VALU_DEP_1)
	v_xor_b32_e32 v35, 0x80000000, v35
	ds_store_b64 v50, v[34:35] offset:4192
; %bb.211:                              ;   in Loop: Header=BB143_3 Depth=1
	s_or_b32 exec_lo, exec_lo, s10
	s_wait_dscnt 0x0
	s_barrier_signal -1
	s_barrier_wait -1
	s_barrier_signal -1
	s_barrier_wait -1
	s_and_saveexec_b32 s10, s100
	s_cbranch_execz .LBB143_213
; %bb.212:                              ;   in Loop: Header=BB143_3 Depth=1
	ds_load_b64 v[34:35], v74 offset:4192
	s_wait_dscnt 0x0
	ds_store_b64 v77, v[34:35] offset:6208
	ds_load_b64 v[34:35], v74 offset:4200
	s_wait_dscnt 0x0
	ds_store_b64 v77, v[34:35] offset:6720
	;; [unrolled: 3-line block ×4, first 2 shown]
.LBB143_213:                            ;   in Loop: Header=BB143_3 Depth=1
	s_or_b32 exec_lo, exec_lo, s10
	s_wait_dscnt 0x0
	s_barrier_signal -1
	s_barrier_wait -1
	s_and_saveexec_b32 s10, s14
	s_cbranch_execz .LBB143_215
; %bb.214:                              ;   in Loop: Header=BB143_3 Depth=1
	ds_load_b128 v[34:37], v5 offset:6240
	ds_load_b64 v[38:39], v5 offset:6760
	s_wait_dscnt 0x0
	v_mul_f64_e32 v[34:35], v[34:35], v[38:39]
	s_delay_alu instid0(VALU_DEP_1)
	v_mul_f64_e32 v[34:35], v[36:37], v[34:35]
	v_add_nc_u32_e64 v36, 0x1800, 0
	ds_store_2addr_b64 v36, v[34:35], v[34:35] offset0:13 offset1:76
.LBB143_215:                            ;   in Loop: Header=BB143_3 Depth=1
	s_or_b32 exec_lo, exec_lo, s10
	v_mov_b64_e32 v[34:35], 0
	s_wait_dscnt 0x0
	s_barrier_signal -1
	s_barrier_wait -1
	s_and_saveexec_b32 s10, s1
	s_cbranch_execz .LBB143_219
; %bb.216:                              ;   in Loop: Header=BB143_3 Depth=1
	ds_load_b64 v[34:35], v43 offset:6256
	ds_load_b64 v[36:37], v44 offset:6240
	s_wait_dscnt 0x0
	v_fma_f64 v[34:35], v[34:35], v[36:37], 0
	s_and_saveexec_b32 s12, s15
	s_cbranch_execz .LBB143_218
; %bb.217:                              ;   in Loop: Header=BB143_3 Depth=1
	ds_load_b64 v[36:37], v77 offset:6768
	ds_load_b64 v[38:39], v5 offset:6248
	s_wait_dscnt 0x0
	v_fmac_f64_e32 v[34:35], v[36:37], v[38:39]
.LBB143_218:                            ;   in Loop: Header=BB143_3 Depth=1
	s_or_b32 exec_lo, exec_lo, s12
	s_delay_alu instid0(VALU_DEP_1)
	v_xor_b32_e32 v35, 0x80000000, v35
.LBB143_219:                            ;   in Loop: Header=BB143_3 Depth=1
	s_or_b32 exec_lo, exec_lo, s10
	s_and_saveexec_b32 s10, s91
	s_cbranch_execz .LBB143_221
; %bb.220:                              ;   in Loop: Header=BB143_3 Depth=1
	ds_load_b64 v[36:37], v5 offset:7280
	s_wait_dscnt 0x0
	v_mul_f64_e32 v[34:35], v[34:35], v[36:37]
	ds_store_b64 v3, v[34:35]
.LBB143_221:                            ;   in Loop: Header=BB143_3 Depth=1
	s_or_b32 exec_lo, exec_lo, s10
	s_wait_dscnt 0x0
	s_barrier_signal -1
	s_barrier_wait -1
	s_and_saveexec_b32 s10, s92
	s_cbranch_execz .LBB143_223
; %bb.222:                              ;   in Loop: Header=BB143_3 Depth=1
	ds_load_b64 v[36:37], v5 offset:7288
	ds_load_b64 v[38:39], v3
	s_wait_dscnt 0x0
	v_fmac_f64_e32 v[34:35], v[36:37], v[38:39]
.LBB143_223:                            ;   in Loop: Header=BB143_3 Depth=1
	s_or_b32 exec_lo, exec_lo, s10
	s_barrier_signal -1
	s_barrier_wait -1
	s_and_saveexec_b32 s10, s92
	s_cbranch_execz .LBB143_225
; %bb.224:                              ;   in Loop: Header=BB143_3 Depth=1
	ds_load_b64 v[36:37], v5 offset:7800
	s_wait_dscnt 0x0
	v_mul_f64_e32 v[34:35], v[34:35], v[36:37]
	ds_store_b64 v3, v[34:35]
.LBB143_225:                            ;   in Loop: Header=BB143_3 Depth=1
	s_or_b32 exec_lo, exec_lo, s10
	s_wait_dscnt 0x0
	s_barrier_signal -1
	s_barrier_wait -1
	s_barrier_signal -1
	s_barrier_wait -1
	s_and_saveexec_b32 s10, s1
; %bb.226:                              ;   in Loop: Header=BB143_3 Depth=1
	s_delay_alu instid0(VALU_DEP_1)
	v_xor_b32_e32 v35, 0x80000000, v35
	ds_store_b64 v43, v[34:35] offset:6256
; %bb.227:                              ;   in Loop: Header=BB143_3 Depth=1
	s_or_b32 exec_lo, exec_lo, s10
	s_wait_dscnt 0x0
	s_barrier_signal -1
	s_barrier_wait -1
	s_barrier_signal -1
	s_barrier_wait -1
	s_and_saveexec_b32 s10, s93
	s_cbranch_execz .LBB143_229
; %bb.228:                              ;   in Loop: Header=BB143_3 Depth=1
	ds_load_b64 v[34:35], v79 offset:6256
	s_wait_dscnt 0x0
	ds_store_b64 v77, v[34:35] offset:7264
	ds_load_b64 v[34:35], v79 offset:6264
	s_wait_dscnt 0x0
	ds_store_b64 v77, v[34:35] offset:7776
.LBB143_229:                            ;   in Loop: Header=BB143_3 Depth=1
	s_or_b32 exec_lo, exec_lo, s10
	s_wait_dscnt 0x0
	s_barrier_signal -1
	s_barrier_wait -1
	s_and_saveexec_b32 s10, s14
	s_cbranch_execz .LBB143_231
; %bb.230:                              ;   in Loop: Header=BB143_3 Depth=1
	ds_load_b128 v[34:37], v5 offset:7280
	ds_load_b64 v[38:39], v5 offset:7800
	s_wait_dscnt 0x0
	v_mul_f64_e32 v[34:35], v[34:35], v[38:39]
	s_delay_alu instid0(VALU_DEP_1)
	v_mul_f64_e32 v[34:35], v[36:37], v[34:35]
	v_add_nc_u32_e64 v36, 0x1800, 0
	ds_store_2addr_b64 v36, v[34:35], v[34:35] offset0:143 offset1:206
.LBB143_231:                            ;   in Loop: Header=BB143_3 Depth=1
	s_or_b32 exec_lo, exec_lo, s10
	v_mov_b64_e32 v[34:35], 0
	s_wait_dscnt 0x0
	s_barrier_signal -1
	s_barrier_wait -1
	s_and_saveexec_b32 s84, s5
	s_cbranch_execz .LBB143_259
; %bb.232:                              ;   in Loop: Header=BB143_3 Depth=1
	ds_load_b64 v[34:35], v66 offset:128
	ds_load_b64 v[36:37], v62
	s_wait_dscnt 0x0
	v_fma_f64 v[34:35], v[34:35], v[36:37], 0
	s_mov_b32 s10, exec_lo
	v_readlane_b32 s12, v100, 27
	s_and_b32 s12, s10, s12
	s_delay_alu instid0(SALU_CYCLE_1)
	s_mov_b32 exec_lo, s12
	s_cbranch_execz .LBB143_234
; %bb.233:                              ;   in Loop: Header=BB143_3 Depth=1
	ds_load_b64 v[36:37], v67 offset:640
	ds_load_b64 v[38:39], v62 offset:8
	s_wait_dscnt 0x0
	v_fmac_f64_e32 v[34:35], v[36:37], v[38:39]
.LBB143_234:                            ;   in Loop: Header=BB143_3 Depth=1
	s_or_b32 exec_lo, exec_lo, s10
	s_delay_alu instid0(SALU_CYCLE_1) | instskip(SKIP_2) | instid1(SALU_CYCLE_1)
	s_mov_b32 s10, exec_lo
	v_readlane_b32 s12, v100, 28
	s_and_b32 s12, s10, s12
	s_mov_b32 exec_lo, s12
	s_cbranch_execz .LBB143_236
; %bb.235:                              ;   in Loop: Header=BB143_3 Depth=1
	ds_load_b64 v[36:37], v67 offset:1152
	ds_load_b64 v[38:39], v62 offset:16
	s_wait_dscnt 0x0
	v_fmac_f64_e32 v[34:35], v[36:37], v[38:39]
.LBB143_236:                            ;   in Loop: Header=BB143_3 Depth=1
	s_or_b32 exec_lo, exec_lo, s10
	s_delay_alu instid0(SALU_CYCLE_1) | instskip(SKIP_2) | instid1(SALU_CYCLE_1)
	s_mov_b32 s10, exec_lo
	v_readlane_b32 s12, v100, 29
	s_and_b32 s12, s10, s12
	;; [unrolled: 13-line block ×10, first 2 shown]
	s_mov_b32 exec_lo, s12
	s_cbranch_execnz .LBB143_1109
; %bb.253:                              ;   in Loop: Header=BB143_3 Depth=1
	s_or_b32 exec_lo, exec_lo, s10
	s_and_saveexec_b32 s10, s4
	s_cbranch_execnz .LBB143_1110
.LBB143_254:                            ;   in Loop: Header=BB143_3 Depth=1
	s_or_b32 exec_lo, exec_lo, s10
	s_and_saveexec_b32 s10, s19
	s_cbranch_execnz .LBB143_1111
.LBB143_255:                            ;   in Loop: Header=BB143_3 Depth=1
	s_or_b32 exec_lo, exec_lo, s10
	s_and_saveexec_b32 s10, s21
	s_cbranch_execnz .LBB143_1112
.LBB143_256:                            ;   in Loop: Header=BB143_3 Depth=1
	s_or_b32 exec_lo, exec_lo, s10
	s_and_saveexec_b32 s10, s3
	s_cbranch_execz .LBB143_258
.LBB143_257:                            ;   in Loop: Header=BB143_3 Depth=1
	ds_load_b64 v[36:37], v45 offset:7808
	ds_load_b64 v[38:39], v5 offset:120
	s_wait_dscnt 0x0
	v_fmac_f64_e32 v[34:35], v[36:37], v[38:39]
.LBB143_258:                            ;   in Loop: Header=BB143_3 Depth=1
	s_or_b32 exec_lo, exec_lo, s10
	s_delay_alu instid0(VALU_DEP_1)
	v_xor_b32_e32 v35, 0x80000000, v35
.LBB143_259:                            ;   in Loop: Header=BB143_3 Depth=1
	s_or_b32 exec_lo, exec_lo, s84
	s_delay_alu instid0(SALU_CYCLE_1) | instskip(SKIP_2) | instid1(SALU_CYCLE_1)
	s_mov_b32 s10, exec_lo
	v_readlane_b32 s12, v100, 2
	s_and_b32 s12, s10, s12
	s_mov_b32 exec_lo, s12
	s_cbranch_execz .LBB143_261
; %bb.260:                              ;   in Loop: Header=BB143_3 Depth=1
	ds_load_b64 v[36:37], v5 offset:8320
	s_wait_dscnt 0x0
	v_mul_f64_e32 v[34:35], v[34:35], v[36:37]
	ds_store_b64 v65, v[34:35]
.LBB143_261:                            ;   in Loop: Header=BB143_3 Depth=1
	s_or_b32 exec_lo, exec_lo, s10
	s_wait_dscnt 0x0
	s_barrier_signal -1
	s_barrier_wait -1
	s_mov_b32 s10, exec_lo
	v_readlane_b32 s12, v100, 3
	s_and_b32 s12, s10, s12
	s_delay_alu instid0(SALU_CYCLE_1)
	s_mov_b32 exec_lo, s12
	s_cbranch_execz .LBB143_263
; %bb.262:                              ;   in Loop: Header=BB143_3 Depth=1
	ds_load_b64 v[36:37], v64 offset:8320
	ds_load_b64 v[38:39], v65
	s_wait_dscnt 0x0
	v_fmac_f64_e32 v[34:35], v[36:37], v[38:39]
.LBB143_263:                            ;   in Loop: Header=BB143_3 Depth=1
	s_or_b32 exec_lo, exec_lo, s10
	s_barrier_signal -1
	s_barrier_wait -1
	s_mov_b32 s10, exec_lo
	v_readlane_b32 s12, v100, 4
	s_and_b32 s12, s10, s12
	s_delay_alu instid0(SALU_CYCLE_1)
	s_mov_b32 exec_lo, s12
	s_cbranch_execz .LBB143_265
; %bb.264:                              ;   in Loop: Header=BB143_3 Depth=1
	ds_load_b64 v[36:37], v5 offset:8840
	s_wait_dscnt 0x0
	v_mul_f64_e32 v[34:35], v[34:35], v[36:37]
	ds_store_b64 v65, v[34:35]
.LBB143_265:                            ;   in Loop: Header=BB143_3 Depth=1
	s_or_b32 exec_lo, exec_lo, s10
	s_wait_dscnt 0x0
	s_barrier_signal -1
	s_barrier_wait -1
	s_mov_b32 s10, exec_lo
	v_readlane_b32 s12, v100, 5
	s_and_b32 s12, s10, s12
	s_delay_alu instid0(SALU_CYCLE_1)
	s_mov_b32 exec_lo, s12
	s_cbranch_execz .LBB143_267
; %bb.266:                              ;   in Loop: Header=BB143_3 Depth=1
	ds_load_b64 v[36:37], v64 offset:8832
	ds_load_b64 v[38:39], v65
	s_wait_dscnt 0x0
	v_fmac_f64_e32 v[34:35], v[36:37], v[38:39]
.LBB143_267:                            ;   in Loop: Header=BB143_3 Depth=1
	s_or_b32 exec_lo, exec_lo, s10
	s_barrier_signal -1
	s_barrier_wait -1
	s_mov_b32 s10, exec_lo
	v_readlane_b32 s12, v100, 6
	s_and_b32 s12, s10, s12
	s_delay_alu instid0(SALU_CYCLE_1)
	;; [unrolled: 31-line block ×3, first 2 shown]
	s_mov_b32 exec_lo, s12
	s_cbranch_execz .LBB143_273
; %bb.272:                              ;   in Loop: Header=BB143_3 Depth=1
	ds_load_b64 v[36:37], v5 offset:9880
	s_wait_dscnt 0x0
	v_mul_f64_e32 v[34:35], v[34:35], v[36:37]
	ds_store_b64 v65, v[34:35]
.LBB143_273:                            ;   in Loop: Header=BB143_3 Depth=1
	s_or_b32 exec_lo, exec_lo, s10
	s_wait_dscnt 0x0
	s_barrier_signal -1
	s_barrier_wait -1
	s_and_saveexec_b32 s10, s53
	s_cbranch_execz .LBB143_275
; %bb.274:                              ;   in Loop: Header=BB143_3 Depth=1
	ds_load_b64 v[36:37], v64 offset:9856
	ds_load_b64 v[38:39], v65
	s_wait_dscnt 0x0
	v_fmac_f64_e32 v[34:35], v[36:37], v[38:39]
.LBB143_275:                            ;   in Loop: Header=BB143_3 Depth=1
	s_or_b32 exec_lo, exec_lo, s10
	s_barrier_signal -1
	s_barrier_wait -1
	s_and_saveexec_b32 s10, s54
	s_cbranch_execz .LBB143_277
; %bb.276:                              ;   in Loop: Header=BB143_3 Depth=1
	ds_load_b64 v[36:37], v5 offset:10400
	s_wait_dscnt 0x0
	v_mul_f64_e32 v[34:35], v[34:35], v[36:37]
	ds_store_b64 v65, v[34:35]
.LBB143_277:                            ;   in Loop: Header=BB143_3 Depth=1
	s_or_b32 exec_lo, exec_lo, s10
	s_wait_dscnt 0x0
	s_barrier_signal -1
	s_barrier_wait -1
	s_and_saveexec_b32 s10, s55
	s_cbranch_execz .LBB143_279
; %bb.278:                              ;   in Loop: Header=BB143_3 Depth=1
	ds_load_b64 v[36:37], v64 offset:10368
	ds_load_b64 v[38:39], v65
	s_wait_dscnt 0x0
	v_fmac_f64_e32 v[34:35], v[36:37], v[38:39]
.LBB143_279:                            ;   in Loop: Header=BB143_3 Depth=1
	s_or_b32 exec_lo, exec_lo, s10
	s_barrier_signal -1
	s_barrier_wait -1
	s_and_saveexec_b32 s10, s56
	;; [unrolled: 23-line block ×12, first 2 shown]
	s_cbranch_execz .LBB143_321
; %bb.320:                              ;   in Loop: Header=BB143_3 Depth=1
	ds_load_b64 v[36:37], v5 offset:16120
	s_wait_dscnt 0x0
	v_mul_f64_e32 v[34:35], v[34:35], v[36:37]
	ds_store_b64 v65, v[34:35]
.LBB143_321:                            ;   in Loop: Header=BB143_3 Depth=1
	s_or_b32 exec_lo, exec_lo, s10
	s_wait_dscnt 0x0
	s_barrier_signal -1
	s_barrier_wait -1
	s_barrier_signal -1
	s_barrier_wait -1
	s_and_saveexec_b32 s10, s5
; %bb.322:                              ;   in Loop: Header=BB143_3 Depth=1
	s_delay_alu instid0(VALU_DEP_1)
	v_xor_b32_e32 v35, 0x80000000, v35
	ds_store_b64 v66, v[34:35] offset:128
; %bb.323:                              ;   in Loop: Header=BB143_3 Depth=1
	s_or_b32 exec_lo, exec_lo, s10
	s_wait_dscnt 0x0
	s_barrier_signal -1
	s_barrier_wait -1
	s_barrier_signal -1
	s_barrier_wait -1
	s_and_saveexec_b32 s10, s65
	s_cbranch_execz .LBB143_325
; %bb.324:                              ;   in Loop: Header=BB143_3 Depth=1
	ds_load_b64 v[34:35], v48 offset:128
	s_wait_dscnt 0x0
	ds_store_b64 v52, v[34:35] offset:8192
	ds_load_b64 v[34:35], v48 offset:136
	s_wait_dscnt 0x0
	ds_store_b64 v52, v[34:35] offset:8704
	;; [unrolled: 3-line block ×16, first 2 shown]
.LBB143_325:                            ;   in Loop: Header=BB143_3 Depth=1
	s_or_b32 exec_lo, exec_lo, s10
	s_wait_dscnt 0x0
	s_barrier_signal -1
	s_barrier_wait -1
	s_and_saveexec_b32 s10, s14
	s_cbranch_execz .LBB143_327
; %bb.326:                              ;   in Loop: Header=BB143_3 Depth=1
	ds_load_b128 v[34:37], v5 offset:8320
	ds_load_b64 v[38:39], v5 offset:8840
	s_wait_dscnt 0x0
	v_mul_f64_e32 v[34:35], v[34:35], v[38:39]
	s_delay_alu instid0(VALU_DEP_1)
	v_mul_f64_e32 v[34:35], v[36:37], v[34:35]
	v_add_nc_u32_e64 v36, 0x2000, 0
	ds_store_2addr_b64 v36, v[34:35], v[34:35] offset0:17 offset1:80
.LBB143_327:                            ;   in Loop: Header=BB143_3 Depth=1
	s_or_b32 exec_lo, exec_lo, s10
	v_mov_b64_e32 v[34:35], 0
	s_wait_dscnt 0x0
	s_barrier_signal -1
	s_barrier_wait -1
	s_and_saveexec_b32 s10, s1
	s_cbranch_execz .LBB143_331
; %bb.328:                              ;   in Loop: Header=BB143_3 Depth=1
	ds_load_b64 v[34:35], v43 offset:8336
	ds_load_b64 v[36:37], v44 offset:8320
	s_wait_dscnt 0x0
	v_fma_f64 v[34:35], v[34:35], v[36:37], 0
	s_and_saveexec_b32 s12, s15
	s_cbranch_execz .LBB143_330
; %bb.329:                              ;   in Loop: Header=BB143_3 Depth=1
	ds_load_b64 v[36:37], v45 offset:8848
	ds_load_b64 v[38:39], v5 offset:8328
	s_wait_dscnt 0x0
	v_fmac_f64_e32 v[34:35], v[36:37], v[38:39]
.LBB143_330:                            ;   in Loop: Header=BB143_3 Depth=1
	s_or_b32 exec_lo, exec_lo, s12
	s_delay_alu instid0(VALU_DEP_1)
	v_xor_b32_e32 v35, 0x80000000, v35
.LBB143_331:                            ;   in Loop: Header=BB143_3 Depth=1
	s_or_b32 exec_lo, exec_lo, s10
	s_and_saveexec_b32 s10, s91
	s_cbranch_execz .LBB143_333
; %bb.332:                              ;   in Loop: Header=BB143_3 Depth=1
	ds_load_b64 v[36:37], v5 offset:9360
	s_wait_dscnt 0x0
	v_mul_f64_e32 v[34:35], v[34:35], v[36:37]
	ds_store_b64 v3, v[34:35]
.LBB143_333:                            ;   in Loop: Header=BB143_3 Depth=1
	s_or_b32 exec_lo, exec_lo, s10
	s_wait_dscnt 0x0
	s_barrier_signal -1
	s_barrier_wait -1
	s_and_saveexec_b32 s10, s92
	s_cbranch_execz .LBB143_335
; %bb.334:                              ;   in Loop: Header=BB143_3 Depth=1
	ds_load_b64 v[36:37], v5 offset:9368
	ds_load_b64 v[38:39], v3
	s_wait_dscnt 0x0
	v_fmac_f64_e32 v[34:35], v[36:37], v[38:39]
.LBB143_335:                            ;   in Loop: Header=BB143_3 Depth=1
	s_or_b32 exec_lo, exec_lo, s10
	s_barrier_signal -1
	s_barrier_wait -1
	s_and_saveexec_b32 s10, s92
	s_cbranch_execz .LBB143_337
; %bb.336:                              ;   in Loop: Header=BB143_3 Depth=1
	ds_load_b64 v[36:37], v5 offset:9880
	s_wait_dscnt 0x0
	v_mul_f64_e32 v[34:35], v[34:35], v[36:37]
	ds_store_b64 v3, v[34:35]
.LBB143_337:                            ;   in Loop: Header=BB143_3 Depth=1
	s_or_b32 exec_lo, exec_lo, s10
	s_wait_dscnt 0x0
	s_barrier_signal -1
	s_barrier_wait -1
	s_barrier_signal -1
	s_barrier_wait -1
	s_and_saveexec_b32 s10, s1
; %bb.338:                              ;   in Loop: Header=BB143_3 Depth=1
	s_delay_alu instid0(VALU_DEP_1)
	v_xor_b32_e32 v35, 0x80000000, v35
	ds_store_b64 v43, v[34:35] offset:8336
; %bb.339:                              ;   in Loop: Header=BB143_3 Depth=1
	s_or_b32 exec_lo, exec_lo, s10
	s_wait_dscnt 0x0
	s_barrier_signal -1
	s_barrier_wait -1
	s_barrier_signal -1
	s_barrier_wait -1
	s_and_saveexec_b32 s10, s93
	s_cbranch_execz .LBB143_341
; %bb.340:                              ;   in Loop: Header=BB143_3 Depth=1
	ds_load_b64 v[34:35], v48 offset:8336
	s_wait_dscnt 0x0
	ds_store_b64 v45, v[34:35] offset:9344
	ds_load_b64 v[34:35], v48 offset:8344
	s_wait_dscnt 0x0
	ds_store_b64 v45, v[34:35] offset:9856
.LBB143_341:                            ;   in Loop: Header=BB143_3 Depth=1
	s_or_b32 exec_lo, exec_lo, s10
	s_wait_dscnt 0x0
	s_barrier_signal -1
	s_barrier_wait -1
	s_and_saveexec_b32 s10, s14
	s_cbranch_execz .LBB143_343
; %bb.342:                              ;   in Loop: Header=BB143_3 Depth=1
	ds_load_b128 v[34:37], v5 offset:9360
	ds_load_b64 v[38:39], v5 offset:9880
	s_wait_dscnt 0x0
	v_mul_f64_e32 v[34:35], v[34:35], v[38:39]
	s_delay_alu instid0(VALU_DEP_1)
	v_mul_f64_e32 v[34:35], v[36:37], v[34:35]
	v_add_nc_u32_e64 v36, 0x2000, 0
	ds_store_2addr_b64 v36, v[34:35], v[34:35] offset0:147 offset1:210
.LBB143_343:                            ;   in Loop: Header=BB143_3 Depth=1
	s_or_b32 exec_lo, exec_lo, s10
	v_mov_b64_e32 v[34:35], 0
	s_wait_dscnt 0x0
	s_barrier_signal -1
	s_barrier_wait -1
	s_and_saveexec_b32 s10, s3
	s_cbranch_execz .LBB143_349
; %bb.344:                              ;   in Loop: Header=BB143_3 Depth=1
	ds_load_b64 v[34:35], v50 offset:8352
	ds_load_b64 v[36:37], v46 offset:8320
	s_wait_dscnt 0x0
	v_fma_f64 v[34:35], v[34:35], v[36:37], 0
	s_and_saveexec_b32 s12, s16
	s_cbranch_execnz .LBB143_1113
; %bb.345:                              ;   in Loop: Header=BB143_3 Depth=1
	s_or_b32 exec_lo, exec_lo, s12
	s_and_saveexec_b32 s12, s17
	s_cbranch_execnz .LBB143_1114
.LBB143_346:                            ;   in Loop: Header=BB143_3 Depth=1
	s_or_b32 exec_lo, exec_lo, s12
	s_and_saveexec_b32 s12, s1
	s_cbranch_execz .LBB143_348
.LBB143_347:                            ;   in Loop: Header=BB143_3 Depth=1
	ds_load_b64 v[36:37], v52 offset:9888
	ds_load_b64 v[38:39], v5 offset:8344
	s_wait_dscnt 0x0
	v_fmac_f64_e32 v[34:35], v[36:37], v[38:39]
.LBB143_348:                            ;   in Loop: Header=BB143_3 Depth=1
	s_or_b32 exec_lo, exec_lo, s12
	s_delay_alu instid0(VALU_DEP_1)
	v_xor_b32_e32 v35, 0x80000000, v35
.LBB143_349:                            ;   in Loop: Header=BB143_3 Depth=1
	s_or_b32 exec_lo, exec_lo, s10
	s_and_saveexec_b32 s10, s94
	s_cbranch_execz .LBB143_351
; %bb.350:                              ;   in Loop: Header=BB143_3 Depth=1
	ds_load_b64 v[36:37], v5 offset:10400
	s_wait_dscnt 0x0
	v_mul_f64_e32 v[34:35], v[34:35], v[36:37]
	ds_store_b64 v49, v[34:35]
.LBB143_351:                            ;   in Loop: Header=BB143_3 Depth=1
	s_or_b32 exec_lo, exec_lo, s10
	s_wait_dscnt 0x0
	s_barrier_signal -1
	s_barrier_wait -1
	s_and_saveexec_b32 s10, s95
	s_cbranch_execz .LBB143_353
; %bb.352:                              ;   in Loop: Header=BB143_3 Depth=1
	ds_load_b64 v[36:37], v47 offset:10400
	ds_load_b64 v[38:39], v49
	s_wait_dscnt 0x0
	v_fmac_f64_e32 v[34:35], v[36:37], v[38:39]
.LBB143_353:                            ;   in Loop: Header=BB143_3 Depth=1
	s_or_b32 exec_lo, exec_lo, s10
	s_barrier_signal -1
	s_barrier_wait -1
	s_and_saveexec_b32 s10, s96
	s_cbranch_execz .LBB143_355
; %bb.354:                              ;   in Loop: Header=BB143_3 Depth=1
	ds_load_b64 v[36:37], v5 offset:10920
	s_wait_dscnt 0x0
	v_mul_f64_e32 v[34:35], v[34:35], v[36:37]
	ds_store_b64 v49, v[34:35]
.LBB143_355:                            ;   in Loop: Header=BB143_3 Depth=1
	s_or_b32 exec_lo, exec_lo, s10
	s_wait_dscnt 0x0
	s_barrier_signal -1
	s_barrier_wait -1
	s_and_saveexec_b32 s10, s97
	s_cbranch_execz .LBB143_357
; %bb.356:                              ;   in Loop: Header=BB143_3 Depth=1
	ds_load_b64 v[36:37], v47 offset:10912
	ds_load_b64 v[38:39], v49
	s_wait_dscnt 0x0
	v_fmac_f64_e32 v[34:35], v[36:37], v[38:39]
.LBB143_357:                            ;   in Loop: Header=BB143_3 Depth=1
	s_or_b32 exec_lo, exec_lo, s10
	s_barrier_signal -1
	s_barrier_wait -1
	;; [unrolled: 23-line block ×3, first 2 shown]
	s_and_saveexec_b32 s10, s99
	s_cbranch_execz .LBB143_363
; %bb.362:                              ;   in Loop: Header=BB143_3 Depth=1
	ds_load_b64 v[36:37], v5 offset:11960
	s_wait_dscnt 0x0
	v_mul_f64_e32 v[34:35], v[34:35], v[36:37]
	ds_store_b64 v49, v[34:35]
.LBB143_363:                            ;   in Loop: Header=BB143_3 Depth=1
	s_or_b32 exec_lo, exec_lo, s10
	s_wait_dscnt 0x0
	s_barrier_signal -1
	s_barrier_wait -1
	s_barrier_signal -1
	s_barrier_wait -1
	s_and_saveexec_b32 s10, s3
; %bb.364:                              ;   in Loop: Header=BB143_3 Depth=1
	s_delay_alu instid0(VALU_DEP_1)
	v_xor_b32_e32 v35, 0x80000000, v35
	ds_store_b64 v50, v[34:35] offset:8352
; %bb.365:                              ;   in Loop: Header=BB143_3 Depth=1
	s_or_b32 exec_lo, exec_lo, s10
	s_wait_dscnt 0x0
	s_barrier_signal -1
	s_barrier_wait -1
	s_barrier_signal -1
	s_barrier_wait -1
	s_and_saveexec_b32 s10, s100
	s_cbranch_execz .LBB143_367
; %bb.366:                              ;   in Loop: Header=BB143_3 Depth=1
	ds_load_b64 v[34:35], v53 offset:8352
	s_wait_dscnt 0x0
	ds_store_b64 v54, v[34:35] offset:10368
	ds_load_b64 v[34:35], v53 offset:8360
	s_wait_dscnt 0x0
	ds_store_b64 v54, v[34:35] offset:10880
	ds_load_b64 v[34:35], v53 offset:8368
	s_wait_dscnt 0x0
	ds_store_b64 v54, v[34:35] offset:11392
	ds_load_b64 v[34:35], v53 offset:8376
	s_wait_dscnt 0x0
	ds_store_b64 v54, v[34:35] offset:11904
.LBB143_367:                            ;   in Loop: Header=BB143_3 Depth=1
	s_or_b32 exec_lo, exec_lo, s10
	s_wait_dscnt 0x0
	s_barrier_signal -1
	s_barrier_wait -1
	s_and_saveexec_b32 s10, s14
	s_cbranch_execz .LBB143_369
; %bb.368:                              ;   in Loop: Header=BB143_3 Depth=1
	ds_load_b128 v[34:37], v5 offset:10400
	ds_load_b64 v[38:39], v5 offset:10920
	s_wait_dscnt 0x0
	v_mul_f64_e32 v[34:35], v[34:35], v[38:39]
	s_delay_alu instid0(VALU_DEP_1)
	v_mul_f64_e32 v[34:35], v[36:37], v[34:35]
	v_add_nc_u32_e64 v36, 0x2800, 0
	ds_store_2addr_b64 v36, v[34:35], v[34:35] offset0:21 offset1:84
.LBB143_369:                            ;   in Loop: Header=BB143_3 Depth=1
	s_or_b32 exec_lo, exec_lo, s10
	v_mov_b64_e32 v[34:35], 0
	s_wait_dscnt 0x0
	s_barrier_signal -1
	s_barrier_wait -1
	s_and_saveexec_b32 s10, s1
	s_cbranch_execz .LBB143_373
; %bb.370:                              ;   in Loop: Header=BB143_3 Depth=1
	ds_load_b64 v[34:35], v43 offset:10416
	ds_load_b64 v[36:37], v44 offset:10400
	s_wait_dscnt 0x0
	v_fma_f64 v[34:35], v[34:35], v[36:37], 0
	s_and_saveexec_b32 s12, s15
	s_cbranch_execz .LBB143_372
; %bb.371:                              ;   in Loop: Header=BB143_3 Depth=1
	ds_load_b64 v[36:37], v54 offset:10928
	ds_load_b64 v[38:39], v5 offset:10408
	s_wait_dscnt 0x0
	v_fmac_f64_e32 v[34:35], v[36:37], v[38:39]
.LBB143_372:                            ;   in Loop: Header=BB143_3 Depth=1
	s_or_b32 exec_lo, exec_lo, s12
	s_delay_alu instid0(VALU_DEP_1)
	v_xor_b32_e32 v35, 0x80000000, v35
.LBB143_373:                            ;   in Loop: Header=BB143_3 Depth=1
	s_or_b32 exec_lo, exec_lo, s10
	s_and_saveexec_b32 s10, s91
	s_cbranch_execz .LBB143_375
; %bb.374:                              ;   in Loop: Header=BB143_3 Depth=1
	ds_load_b64 v[36:37], v5 offset:11440
	s_wait_dscnt 0x0
	v_mul_f64_e32 v[34:35], v[34:35], v[36:37]
	ds_store_b64 v3, v[34:35]
.LBB143_375:                            ;   in Loop: Header=BB143_3 Depth=1
	s_or_b32 exec_lo, exec_lo, s10
	s_wait_dscnt 0x0
	s_barrier_signal -1
	s_barrier_wait -1
	s_and_saveexec_b32 s10, s92
	s_cbranch_execz .LBB143_377
; %bb.376:                              ;   in Loop: Header=BB143_3 Depth=1
	ds_load_b64 v[36:37], v5 offset:11448
	ds_load_b64 v[38:39], v3
	s_wait_dscnt 0x0
	v_fmac_f64_e32 v[34:35], v[36:37], v[38:39]
.LBB143_377:                            ;   in Loop: Header=BB143_3 Depth=1
	s_or_b32 exec_lo, exec_lo, s10
	s_barrier_signal -1
	s_barrier_wait -1
	s_and_saveexec_b32 s10, s92
	s_cbranch_execz .LBB143_379
; %bb.378:                              ;   in Loop: Header=BB143_3 Depth=1
	ds_load_b64 v[36:37], v5 offset:11960
	s_wait_dscnt 0x0
	v_mul_f64_e32 v[34:35], v[34:35], v[36:37]
	ds_store_b64 v3, v[34:35]
.LBB143_379:                            ;   in Loop: Header=BB143_3 Depth=1
	s_or_b32 exec_lo, exec_lo, s10
	s_wait_dscnt 0x0
	s_barrier_signal -1
	s_barrier_wait -1
	s_barrier_signal -1
	s_barrier_wait -1
	s_and_saveexec_b32 s10, s1
; %bb.380:                              ;   in Loop: Header=BB143_3 Depth=1
	s_delay_alu instid0(VALU_DEP_1)
	v_xor_b32_e32 v35, 0x80000000, v35
	ds_store_b64 v43, v[34:35] offset:10416
; %bb.381:                              ;   in Loop: Header=BB143_3 Depth=1
	s_or_b32 exec_lo, exec_lo, s10
	s_wait_dscnt 0x0
	s_barrier_signal -1
	s_barrier_wait -1
	s_barrier_signal -1
	s_barrier_wait -1
	s_and_saveexec_b32 s10, s93
	s_cbranch_execz .LBB143_383
; %bb.382:                              ;   in Loop: Header=BB143_3 Depth=1
	ds_load_b64 v[34:35], v57 offset:10416
	s_wait_dscnt 0x0
	ds_store_b64 v54, v[34:35] offset:11424
	ds_load_b64 v[34:35], v57 offset:10424
	s_wait_dscnt 0x0
	ds_store_b64 v54, v[34:35] offset:11936
.LBB143_383:                            ;   in Loop: Header=BB143_3 Depth=1
	s_or_b32 exec_lo, exec_lo, s10
	s_wait_dscnt 0x0
	s_barrier_signal -1
	s_barrier_wait -1
	s_and_saveexec_b32 s10, s14
	s_cbranch_execz .LBB143_385
; %bb.384:                              ;   in Loop: Header=BB143_3 Depth=1
	ds_load_b128 v[34:37], v5 offset:11440
	ds_load_b64 v[38:39], v5 offset:11960
	s_wait_dscnt 0x0
	v_mul_f64_e32 v[34:35], v[34:35], v[38:39]
	s_delay_alu instid0(VALU_DEP_1)
	v_mul_f64_e32 v[34:35], v[36:37], v[34:35]
	v_add_nc_u32_e64 v36, 0x2800, 0
	ds_store_2addr_b64 v36, v[34:35], v[34:35] offset0:151 offset1:214
.LBB143_385:                            ;   in Loop: Header=BB143_3 Depth=1
	s_or_b32 exec_lo, exec_lo, s10
	v_mov_b64_e32 v[34:35], 0
	s_wait_dscnt 0x0
	s_barrier_signal -1
	s_barrier_wait -1
	s_and_saveexec_b32 s10, s4
	s_cbranch_execz .LBB143_395
; %bb.386:                              ;   in Loop: Header=BB143_3 Depth=1
	ds_load_b64 v[34:35], v59 offset:8384
	ds_load_b64 v[36:37], v55 offset:8320
	s_wait_dscnt 0x0
	v_fma_f64 v[34:35], v[34:35], v[36:37], 0
	s_and_saveexec_b32 s12, s18
	s_cbranch_execnz .LBB143_1115
; %bb.387:                              ;   in Loop: Header=BB143_3 Depth=1
	s_or_b32 exec_lo, exec_lo, s12
	s_and_saveexec_b32 s12, s19
	s_cbranch_execnz .LBB143_1116
.LBB143_388:                            ;   in Loop: Header=BB143_3 Depth=1
	s_or_b32 exec_lo, exec_lo, s12
	s_and_saveexec_b32 s12, s20
	s_cbranch_execnz .LBB143_1117
.LBB143_389:                            ;   in Loop: Header=BB143_3 Depth=1
	s_or_b32 exec_lo, exec_lo, s12
	s_and_saveexec_b32 s12, s21
	s_cbranch_execnz .LBB143_1118
.LBB143_390:                            ;   in Loop: Header=BB143_3 Depth=1
	s_or_b32 exec_lo, exec_lo, s12
	s_and_saveexec_b32 s12, s22
	s_cbranch_execnz .LBB143_1119
.LBB143_391:                            ;   in Loop: Header=BB143_3 Depth=1
	s_or_b32 exec_lo, exec_lo, s12
	s_and_saveexec_b32 s12, s3
	s_cbranch_execnz .LBB143_1120
.LBB143_392:                            ;   in Loop: Header=BB143_3 Depth=1
	s_or_b32 exec_lo, exec_lo, s12
	s_and_saveexec_b32 s12, s17
	s_cbranch_execz .LBB143_394
.LBB143_393:                            ;   in Loop: Header=BB143_3 Depth=1
	ds_load_b64 v[36:37], v61 offset:11968
	ds_load_b64 v[38:39], v5 offset:8376
	s_wait_dscnt 0x0
	v_fmac_f64_e32 v[34:35], v[36:37], v[38:39]
.LBB143_394:                            ;   in Loop: Header=BB143_3 Depth=1
	s_or_b32 exec_lo, exec_lo, s12
	s_delay_alu instid0(VALU_DEP_1)
	v_xor_b32_e32 v35, 0x80000000, v35
.LBB143_395:                            ;   in Loop: Header=BB143_3 Depth=1
	s_or_b32 exec_lo, exec_lo, s10
	s_and_saveexec_b32 s10, s101
	s_cbranch_execz .LBB143_397
; %bb.396:                              ;   in Loop: Header=BB143_3 Depth=1
	ds_load_b64 v[36:37], v5 offset:12480
	s_wait_dscnt 0x0
	v_mul_f64_e32 v[34:35], v[34:35], v[36:37]
	ds_store_b64 v58, v[34:35]
.LBB143_397:                            ;   in Loop: Header=BB143_3 Depth=1
	s_or_b32 exec_lo, exec_lo, s10
	s_wait_dscnt 0x0
	s_barrier_signal -1
	s_barrier_wait -1
	s_and_saveexec_b32 s10, s102
	s_cbranch_execz .LBB143_399
; %bb.398:                              ;   in Loop: Header=BB143_3 Depth=1
	ds_load_b64 v[36:37], v56 offset:12480
	ds_load_b64 v[38:39], v58
	s_wait_dscnt 0x0
	v_fmac_f64_e32 v[34:35], v[36:37], v[38:39]
.LBB143_399:                            ;   in Loop: Header=BB143_3 Depth=1
	s_or_b32 exec_lo, exec_lo, s10
	s_barrier_signal -1
	s_barrier_wait -1
	s_and_saveexec_b32 s10, s103
	s_cbranch_execz .LBB143_401
; %bb.400:                              ;   in Loop: Header=BB143_3 Depth=1
	ds_load_b64 v[36:37], v5 offset:13000
	s_wait_dscnt 0x0
	v_mul_f64_e32 v[34:35], v[34:35], v[36:37]
	ds_store_b64 v58, v[34:35]
.LBB143_401:                            ;   in Loop: Header=BB143_3 Depth=1
	s_or_b32 exec_lo, exec_lo, s10
	s_wait_dscnt 0x0
	s_barrier_signal -1
	s_barrier_wait -1
	s_and_saveexec_b32 s10, s104
	s_cbranch_execz .LBB143_403
; %bb.402:                              ;   in Loop: Header=BB143_3 Depth=1
	ds_load_b64 v[36:37], v56 offset:12992
	ds_load_b64 v[38:39], v58
	s_wait_dscnt 0x0
	v_fmac_f64_e32 v[34:35], v[36:37], v[38:39]
.LBB143_403:                            ;   in Loop: Header=BB143_3 Depth=1
	s_or_b32 exec_lo, exec_lo, s10
	s_barrier_signal -1
	s_barrier_wait -1
	s_and_saveexec_b32 s10, vcc_hi
	s_cbranch_execz .LBB143_405
; %bb.404:                              ;   in Loop: Header=BB143_3 Depth=1
	ds_load_b64 v[36:37], v5 offset:13520
	s_wait_dscnt 0x0
	v_mul_f64_e32 v[34:35], v[34:35], v[36:37]
	ds_store_b64 v58, v[34:35]
.LBB143_405:                            ;   in Loop: Header=BB143_3 Depth=1
	s_or_b32 exec_lo, exec_lo, s10
	s_wait_dscnt 0x0
	s_barrier_signal -1
	s_barrier_wait -1
	s_and_saveexec_b32 s10, s36
	s_cbranch_execz .LBB143_407
; %bb.406:                              ;   in Loop: Header=BB143_3 Depth=1
	ds_load_b64 v[36:37], v56 offset:13504
	ds_load_b64 v[38:39], v58
	s_wait_dscnt 0x0
	v_fmac_f64_e32 v[34:35], v[36:37], v[38:39]
.LBB143_407:                            ;   in Loop: Header=BB143_3 Depth=1
	s_or_b32 exec_lo, exec_lo, s10
	s_barrier_signal -1
	s_barrier_wait -1
	s_and_saveexec_b32 s10, s37
	s_cbranch_execz .LBB143_409
; %bb.408:                              ;   in Loop: Header=BB143_3 Depth=1
	ds_load_b64 v[36:37], v5 offset:14040
	s_wait_dscnt 0x0
	v_mul_f64_e32 v[34:35], v[34:35], v[36:37]
	ds_store_b64 v58, v[34:35]
.LBB143_409:                            ;   in Loop: Header=BB143_3 Depth=1
	s_or_b32 exec_lo, exec_lo, s10
	s_wait_dscnt 0x0
	s_barrier_signal -1
	s_barrier_wait -1
	s_and_saveexec_b32 s10, s38
	s_cbranch_execz .LBB143_411
; %bb.410:                              ;   in Loop: Header=BB143_3 Depth=1
	ds_load_b64 v[36:37], v56 offset:14016
	ds_load_b64 v[38:39], v58
	s_wait_dscnt 0x0
	v_fmac_f64_e32 v[34:35], v[36:37], v[38:39]
.LBB143_411:                            ;   in Loop: Header=BB143_3 Depth=1
	s_or_b32 exec_lo, exec_lo, s10
	s_barrier_signal -1
	s_barrier_wait -1
	s_and_saveexec_b32 s10, s39
	;; [unrolled: 23-line block ×5, first 2 shown]
	s_cbranch_execz .LBB143_425
; %bb.424:                              ;   in Loop: Header=BB143_3 Depth=1
	ds_load_b64 v[36:37], v5 offset:16120
	s_wait_dscnt 0x0
	v_mul_f64_e32 v[34:35], v[34:35], v[36:37]
	ds_store_b64 v58, v[34:35]
.LBB143_425:                            ;   in Loop: Header=BB143_3 Depth=1
	s_or_b32 exec_lo, exec_lo, s10
	s_wait_dscnt 0x0
	s_barrier_signal -1
	s_barrier_wait -1
	s_barrier_signal -1
	s_barrier_wait -1
	s_and_saveexec_b32 s10, s4
; %bb.426:                              ;   in Loop: Header=BB143_3 Depth=1
	s_delay_alu instid0(VALU_DEP_1)
	v_xor_b32_e32 v35, 0x80000000, v35
	ds_store_b64 v59, v[34:35] offset:8384
; %bb.427:                              ;   in Loop: Header=BB143_3 Depth=1
	s_or_b32 exec_lo, exec_lo, s10
	s_wait_dscnt 0x0
	s_barrier_signal -1
	s_barrier_wait -1
	s_barrier_signal -1
	s_barrier_wait -1
	s_and_saveexec_b32 s10, s45
	s_cbranch_execz .LBB143_429
; %bb.428:                              ;   in Loop: Header=BB143_3 Depth=1
	ds_load_b64 v[34:35], v63 offset:8384
	s_wait_dscnt 0x0
	ds_store_b64 v71, v[34:35] offset:12416
	ds_load_b64 v[34:35], v63 offset:8392
	s_wait_dscnt 0x0
	ds_store_b64 v71, v[34:35] offset:12928
	;; [unrolled: 3-line block ×8, first 2 shown]
.LBB143_429:                            ;   in Loop: Header=BB143_3 Depth=1
	s_or_b32 exec_lo, exec_lo, s10
	s_wait_dscnt 0x0
	s_barrier_signal -1
	s_barrier_wait -1
	s_and_saveexec_b32 s10, s14
	s_cbranch_execz .LBB143_431
; %bb.430:                              ;   in Loop: Header=BB143_3 Depth=1
	ds_load_b128 v[34:37], v5 offset:12480
	ds_load_b64 v[38:39], v5 offset:13000
	s_wait_dscnt 0x0
	v_mul_f64_e32 v[34:35], v[34:35], v[38:39]
	s_delay_alu instid0(VALU_DEP_1)
	v_mul_f64_e32 v[34:35], v[36:37], v[34:35]
	v_add_nc_u32_e64 v36, 0x3000, 0
	ds_store_2addr_b64 v36, v[34:35], v[34:35] offset0:25 offset1:88
.LBB143_431:                            ;   in Loop: Header=BB143_3 Depth=1
	s_or_b32 exec_lo, exec_lo, s10
	v_mov_b64_e32 v[34:35], 0
	s_wait_dscnt 0x0
	s_barrier_signal -1
	s_barrier_wait -1
	s_and_saveexec_b32 s10, s1
	s_cbranch_execz .LBB143_435
; %bb.432:                              ;   in Loop: Header=BB143_3 Depth=1
	ds_load_b64 v[34:35], v43 offset:12496
	ds_load_b64 v[36:37], v44 offset:12480
	s_wait_dscnt 0x0
	v_fma_f64 v[34:35], v[34:35], v[36:37], 0
	s_and_saveexec_b32 s12, s15
	s_cbranch_execz .LBB143_434
; %bb.433:                              ;   in Loop: Header=BB143_3 Depth=1
	ds_load_b64 v[36:37], v71 offset:13008
	ds_load_b64 v[38:39], v5 offset:12488
	s_wait_dscnt 0x0
	v_fmac_f64_e32 v[34:35], v[36:37], v[38:39]
.LBB143_434:                            ;   in Loop: Header=BB143_3 Depth=1
	s_or_b32 exec_lo, exec_lo, s12
	s_delay_alu instid0(VALU_DEP_1)
	v_xor_b32_e32 v35, 0x80000000, v35
.LBB143_435:                            ;   in Loop: Header=BB143_3 Depth=1
	s_or_b32 exec_lo, exec_lo, s10
	s_and_saveexec_b32 s10, s91
	s_cbranch_execz .LBB143_437
; %bb.436:                              ;   in Loop: Header=BB143_3 Depth=1
	ds_load_b64 v[36:37], v5 offset:13520
	s_wait_dscnt 0x0
	v_mul_f64_e32 v[34:35], v[34:35], v[36:37]
	ds_store_b64 v3, v[34:35]
.LBB143_437:                            ;   in Loop: Header=BB143_3 Depth=1
	s_or_b32 exec_lo, exec_lo, s10
	s_wait_dscnt 0x0
	s_barrier_signal -1
	s_barrier_wait -1
	s_and_saveexec_b32 s10, s92
	s_cbranch_execz .LBB143_439
; %bb.438:                              ;   in Loop: Header=BB143_3 Depth=1
	ds_load_b64 v[36:37], v5 offset:13528
	ds_load_b64 v[38:39], v3
	s_wait_dscnt 0x0
	v_fmac_f64_e32 v[34:35], v[36:37], v[38:39]
.LBB143_439:                            ;   in Loop: Header=BB143_3 Depth=1
	s_or_b32 exec_lo, exec_lo, s10
	s_barrier_signal -1
	s_barrier_wait -1
	s_and_saveexec_b32 s10, s92
	s_cbranch_execz .LBB143_441
; %bb.440:                              ;   in Loop: Header=BB143_3 Depth=1
	ds_load_b64 v[36:37], v5 offset:14040
	s_wait_dscnt 0x0
	v_mul_f64_e32 v[34:35], v[34:35], v[36:37]
	ds_store_b64 v3, v[34:35]
.LBB143_441:                            ;   in Loop: Header=BB143_3 Depth=1
	s_or_b32 exec_lo, exec_lo, s10
	s_wait_dscnt 0x0
	s_barrier_signal -1
	s_barrier_wait -1
	s_barrier_signal -1
	s_barrier_wait -1
	s_and_saveexec_b32 s10, s1
; %bb.442:                              ;   in Loop: Header=BB143_3 Depth=1
	s_delay_alu instid0(VALU_DEP_1)
	v_xor_b32_e32 v35, 0x80000000, v35
	ds_store_b64 v43, v[34:35] offset:12496
; %bb.443:                              ;   in Loop: Header=BB143_3 Depth=1
	s_or_b32 exec_lo, exec_lo, s10
	s_wait_dscnt 0x0
	s_barrier_signal -1
	s_barrier_wait -1
	s_barrier_signal -1
	s_barrier_wait -1
	s_and_saveexec_b32 s10, s93
	s_cbranch_execz .LBB143_445
; %bb.444:                              ;   in Loop: Header=BB143_3 Depth=1
	ds_load_b64 v[34:35], v72 offset:12496
	s_wait_dscnt 0x0
	ds_store_b64 v71, v[34:35] offset:13504
	ds_load_b64 v[34:35], v72 offset:12504
	s_wait_dscnt 0x0
	ds_store_b64 v71, v[34:35] offset:14016
.LBB143_445:                            ;   in Loop: Header=BB143_3 Depth=1
	s_or_b32 exec_lo, exec_lo, s10
	s_wait_dscnt 0x0
	s_barrier_signal -1
	s_barrier_wait -1
	s_and_saveexec_b32 s10, s14
	s_cbranch_execz .LBB143_447
; %bb.446:                              ;   in Loop: Header=BB143_3 Depth=1
	ds_load_b128 v[34:37], v5 offset:13520
	ds_load_b64 v[38:39], v5 offset:14040
	s_wait_dscnt 0x0
	v_mul_f64_e32 v[34:35], v[34:35], v[38:39]
	s_delay_alu instid0(VALU_DEP_1)
	v_mul_f64_e32 v[34:35], v[36:37], v[34:35]
	v_add_nc_u32_e64 v36, 0x3000, 0
	ds_store_2addr_b64 v36, v[34:35], v[34:35] offset0:155 offset1:218
.LBB143_447:                            ;   in Loop: Header=BB143_3 Depth=1
	s_or_b32 exec_lo, exec_lo, s10
	v_mov_b64_e32 v[34:35], 0
	s_wait_dscnt 0x0
	s_barrier_signal -1
	s_barrier_wait -1
	s_and_saveexec_b32 s10, s3
	s_cbranch_execz .LBB143_453
; %bb.448:                              ;   in Loop: Header=BB143_3 Depth=1
	ds_load_b64 v[34:35], v50 offset:12512
	ds_load_b64 v[36:37], v46 offset:12480
	s_wait_dscnt 0x0
	v_fma_f64 v[34:35], v[34:35], v[36:37], 0
	s_and_saveexec_b32 s12, s16
	s_cbranch_execnz .LBB143_1121
; %bb.449:                              ;   in Loop: Header=BB143_3 Depth=1
	s_or_b32 exec_lo, exec_lo, s12
	s_and_saveexec_b32 s12, s17
	s_cbranch_execnz .LBB143_1122
.LBB143_450:                            ;   in Loop: Header=BB143_3 Depth=1
	s_or_b32 exec_lo, exec_lo, s12
	s_and_saveexec_b32 s12, s1
	s_cbranch_execz .LBB143_452
.LBB143_451:                            ;   in Loop: Header=BB143_3 Depth=1
	ds_load_b64 v[36:37], v73 offset:14048
	ds_load_b64 v[38:39], v5 offset:12504
	s_wait_dscnt 0x0
	v_fmac_f64_e32 v[34:35], v[36:37], v[38:39]
.LBB143_452:                            ;   in Loop: Header=BB143_3 Depth=1
	s_or_b32 exec_lo, exec_lo, s12
	s_delay_alu instid0(VALU_DEP_1)
	v_xor_b32_e32 v35, 0x80000000, v35
.LBB143_453:                            ;   in Loop: Header=BB143_3 Depth=1
	s_or_b32 exec_lo, exec_lo, s10
	s_and_saveexec_b32 s10, s94
	s_cbranch_execz .LBB143_455
; %bb.454:                              ;   in Loop: Header=BB143_3 Depth=1
	ds_load_b64 v[36:37], v5 offset:14560
	s_wait_dscnt 0x0
	v_mul_f64_e32 v[34:35], v[34:35], v[36:37]
	ds_store_b64 v49, v[34:35]
.LBB143_455:                            ;   in Loop: Header=BB143_3 Depth=1
	s_or_b32 exec_lo, exec_lo, s10
	s_wait_dscnt 0x0
	s_barrier_signal -1
	s_barrier_wait -1
	s_and_saveexec_b32 s10, s95
	s_cbranch_execz .LBB143_457
; %bb.456:                              ;   in Loop: Header=BB143_3 Depth=1
	ds_load_b64 v[36:37], v47 offset:14560
	ds_load_b64 v[38:39], v49
	s_wait_dscnt 0x0
	v_fmac_f64_e32 v[34:35], v[36:37], v[38:39]
.LBB143_457:                            ;   in Loop: Header=BB143_3 Depth=1
	s_or_b32 exec_lo, exec_lo, s10
	s_barrier_signal -1
	s_barrier_wait -1
	s_and_saveexec_b32 s10, s96
	s_cbranch_execz .LBB143_459
; %bb.458:                              ;   in Loop: Header=BB143_3 Depth=1
	ds_load_b64 v[36:37], v5 offset:15080
	s_wait_dscnt 0x0
	v_mul_f64_e32 v[34:35], v[34:35], v[36:37]
	ds_store_b64 v49, v[34:35]
.LBB143_459:                            ;   in Loop: Header=BB143_3 Depth=1
	s_or_b32 exec_lo, exec_lo, s10
	s_wait_dscnt 0x0
	s_barrier_signal -1
	s_barrier_wait -1
	s_and_saveexec_b32 s10, s97
	s_cbranch_execz .LBB143_461
; %bb.460:                              ;   in Loop: Header=BB143_3 Depth=1
	ds_load_b64 v[36:37], v47 offset:15072
	ds_load_b64 v[38:39], v49
	s_wait_dscnt 0x0
	v_fmac_f64_e32 v[34:35], v[36:37], v[38:39]
.LBB143_461:                            ;   in Loop: Header=BB143_3 Depth=1
	s_or_b32 exec_lo, exec_lo, s10
	s_barrier_signal -1
	s_barrier_wait -1
	;; [unrolled: 23-line block ×3, first 2 shown]
	s_and_saveexec_b32 s10, s99
	s_cbranch_execz .LBB143_467
; %bb.466:                              ;   in Loop: Header=BB143_3 Depth=1
	ds_load_b64 v[36:37], v5 offset:16120
	s_wait_dscnt 0x0
	v_mul_f64_e32 v[34:35], v[34:35], v[36:37]
	ds_store_b64 v49, v[34:35]
.LBB143_467:                            ;   in Loop: Header=BB143_3 Depth=1
	s_or_b32 exec_lo, exec_lo, s10
	s_wait_dscnt 0x0
	s_barrier_signal -1
	s_barrier_wait -1
	s_barrier_signal -1
	s_barrier_wait -1
	s_and_saveexec_b32 s10, s3
; %bb.468:                              ;   in Loop: Header=BB143_3 Depth=1
	s_delay_alu instid0(VALU_DEP_1)
	v_xor_b32_e32 v35, 0x80000000, v35
	ds_store_b64 v50, v[34:35] offset:12512
; %bb.469:                              ;   in Loop: Header=BB143_3 Depth=1
	s_or_b32 exec_lo, exec_lo, s10
	s_wait_dscnt 0x0
	s_barrier_signal -1
	s_barrier_wait -1
	s_barrier_signal -1
	s_barrier_wait -1
	s_and_saveexec_b32 s10, s100
	s_cbranch_execz .LBB143_471
; %bb.470:                              ;   in Loop: Header=BB143_3 Depth=1
	ds_load_b64 v[34:35], v74 offset:12512
	s_wait_dscnt 0x0
	ds_store_b64 v77, v[34:35] offset:14528
	ds_load_b64 v[34:35], v74 offset:12520
	s_wait_dscnt 0x0
	ds_store_b64 v77, v[34:35] offset:15040
	;; [unrolled: 3-line block ×4, first 2 shown]
.LBB143_471:                            ;   in Loop: Header=BB143_3 Depth=1
	s_or_b32 exec_lo, exec_lo, s10
	s_wait_dscnt 0x0
	s_barrier_signal -1
	s_barrier_wait -1
	s_and_saveexec_b32 s10, s14
	s_cbranch_execz .LBB143_473
; %bb.472:                              ;   in Loop: Header=BB143_3 Depth=1
	ds_load_b128 v[34:37], v5 offset:14560
	ds_load_b64 v[38:39], v5 offset:15080
	s_wait_dscnt 0x0
	v_mul_f64_e32 v[34:35], v[34:35], v[38:39]
	s_delay_alu instid0(VALU_DEP_1)
	v_mul_f64_e32 v[34:35], v[36:37], v[34:35]
	v_add_nc_u32_e64 v36, 0x3800, 0
	ds_store_2addr_b64 v36, v[34:35], v[34:35] offset0:29 offset1:92
.LBB143_473:                            ;   in Loop: Header=BB143_3 Depth=1
	s_or_b32 exec_lo, exec_lo, s10
	v_mov_b64_e32 v[34:35], 0
	s_wait_dscnt 0x0
	s_barrier_signal -1
	s_barrier_wait -1
	s_and_saveexec_b32 s10, s1
	s_cbranch_execz .LBB143_477
; %bb.474:                              ;   in Loop: Header=BB143_3 Depth=1
	ds_load_b64 v[34:35], v43 offset:14576
	ds_load_b64 v[36:37], v44 offset:14560
	s_wait_dscnt 0x0
	v_fma_f64 v[34:35], v[34:35], v[36:37], 0
	s_and_saveexec_b32 s12, s15
	s_cbranch_execz .LBB143_476
; %bb.475:                              ;   in Loop: Header=BB143_3 Depth=1
	ds_load_b64 v[36:37], v77 offset:15088
	ds_load_b64 v[38:39], v5 offset:14568
	s_wait_dscnt 0x0
	v_fmac_f64_e32 v[34:35], v[36:37], v[38:39]
.LBB143_476:                            ;   in Loop: Header=BB143_3 Depth=1
	s_or_b32 exec_lo, exec_lo, s12
	s_delay_alu instid0(VALU_DEP_1)
	v_xor_b32_e32 v35, 0x80000000, v35
.LBB143_477:                            ;   in Loop: Header=BB143_3 Depth=1
	s_or_b32 exec_lo, exec_lo, s10
	s_and_saveexec_b32 s10, s91
	s_cbranch_execz .LBB143_479
; %bb.478:                              ;   in Loop: Header=BB143_3 Depth=1
	ds_load_b64 v[36:37], v5 offset:15600
	s_wait_dscnt 0x0
	v_mul_f64_e32 v[34:35], v[34:35], v[36:37]
	ds_store_b64 v3, v[34:35]
.LBB143_479:                            ;   in Loop: Header=BB143_3 Depth=1
	s_or_b32 exec_lo, exec_lo, s10
	s_wait_dscnt 0x0
	s_barrier_signal -1
	s_barrier_wait -1
	s_and_saveexec_b32 s10, s92
	s_cbranch_execz .LBB143_481
; %bb.480:                              ;   in Loop: Header=BB143_3 Depth=1
	ds_load_b64 v[36:37], v5 offset:15608
	ds_load_b64 v[38:39], v3
	s_wait_dscnt 0x0
	v_fmac_f64_e32 v[34:35], v[36:37], v[38:39]
.LBB143_481:                            ;   in Loop: Header=BB143_3 Depth=1
	s_or_b32 exec_lo, exec_lo, s10
	s_barrier_signal -1
	s_barrier_wait -1
	s_and_saveexec_b32 s10, s92
	s_cbranch_execz .LBB143_483
; %bb.482:                              ;   in Loop: Header=BB143_3 Depth=1
	ds_load_b64 v[36:37], v5 offset:16120
	s_wait_dscnt 0x0
	v_mul_f64_e32 v[34:35], v[34:35], v[36:37]
	ds_store_b64 v3, v[34:35]
.LBB143_483:                            ;   in Loop: Header=BB143_3 Depth=1
	s_or_b32 exec_lo, exec_lo, s10
	s_wait_dscnt 0x0
	s_barrier_signal -1
	s_barrier_wait -1
	s_barrier_signal -1
	s_barrier_wait -1
	s_and_saveexec_b32 s10, s1
; %bb.484:                              ;   in Loop: Header=BB143_3 Depth=1
	s_delay_alu instid0(VALU_DEP_1)
	v_xor_b32_e32 v35, 0x80000000, v35
	ds_store_b64 v43, v[34:35] offset:14576
; %bb.485:                              ;   in Loop: Header=BB143_3 Depth=1
	s_or_b32 exec_lo, exec_lo, s10
	s_wait_dscnt 0x0
	s_barrier_signal -1
	s_barrier_wait -1
	s_barrier_signal -1
	s_barrier_wait -1
	s_and_saveexec_b32 s10, s93
	s_cbranch_execz .LBB143_487
; %bb.486:                              ;   in Loop: Header=BB143_3 Depth=1
	ds_load_b64 v[34:35], v79 offset:14576
	s_wait_dscnt 0x0
	ds_store_b64 v77, v[34:35] offset:15584
	ds_load_b64 v[34:35], v79 offset:14584
	s_wait_dscnt 0x0
	ds_store_b64 v77, v[34:35] offset:16096
.LBB143_487:                            ;   in Loop: Header=BB143_3 Depth=1
	s_or_b32 exec_lo, exec_lo, s10
	s_wait_dscnt 0x0
	s_barrier_signal -1
	s_barrier_wait -1
	s_and_saveexec_b32 s10, s14
	s_cbranch_execz .LBB143_489
; %bb.488:                              ;   in Loop: Header=BB143_3 Depth=1
	ds_load_b128 v[34:37], v5 offset:15600
	ds_load_b64 v[38:39], v5 offset:16120
	s_wait_dscnt 0x0
	v_mul_f64_e32 v[34:35], v[34:35], v[38:39]
	s_delay_alu instid0(VALU_DEP_1)
	v_mul_f64_e32 v[34:35], v[36:37], v[34:35]
	v_add_nc_u32_e64 v36, 0x3800, 0
	ds_store_2addr_b64 v36, v[34:35], v[34:35] offset0:159 offset1:222
.LBB143_489:                            ;   in Loop: Header=BB143_3 Depth=1
	s_or_b32 exec_lo, exec_lo, s10
	v_mov_b64_e32 v[34:35], 0
	s_wait_dscnt 0x0
	s_barrier_signal -1
	s_barrier_wait -1
	s_and_saveexec_b32 s84, s35
	s_cbranch_execz .LBB143_551
; %bb.490:                              ;   in Loop: Header=BB143_3 Depth=1
	v_add_nc_u32_e32 v36, v70, v69
	ds_load_b64 v[34:35], v87 offset:256
	ds_load_b64 v[38:39], v36
	s_wait_dscnt 0x0
	v_fma_f64 v[34:35], v[34:35], v[38:39], 0
	s_mov_b32 s10, exec_lo
	v_readlane_b32 s12, v99, 6
	s_and_b32 s12, s10, s12
	s_delay_alu instid0(SALU_CYCLE_1)
	s_mov_b32 exec_lo, s12
	s_cbranch_execz .LBB143_492
; %bb.491:                              ;   in Loop: Header=BB143_3 Depth=1
	ds_load_b64 v[38:39], v87 offset:768
	ds_load_b64 v[40:41], v36 offset:8
	s_wait_dscnt 0x0
	v_fmac_f64_e32 v[34:35], v[38:39], v[40:41]
.LBB143_492:                            ;   in Loop: Header=BB143_3 Depth=1
	s_or_b32 exec_lo, exec_lo, s10
	s_delay_alu instid0(SALU_CYCLE_1) | instskip(SKIP_2) | instid1(SALU_CYCLE_1)
	s_mov_b32 s10, exec_lo
	v_readlane_b32 s12, v99, 7
	s_and_b32 s12, s10, s12
	s_mov_b32 exec_lo, s12
	s_cbranch_execz .LBB143_494
; %bb.493:                              ;   in Loop: Header=BB143_3 Depth=1
	ds_load_b64 v[38:39], v87 offset:1280
	ds_load_b64 v[40:41], v36 offset:16
	s_wait_dscnt 0x0
	v_fmac_f64_e32 v[34:35], v[38:39], v[40:41]
.LBB143_494:                            ;   in Loop: Header=BB143_3 Depth=1
	s_or_b32 exec_lo, exec_lo, s10
	s_delay_alu instid0(SALU_CYCLE_1) | instskip(SKIP_2) | instid1(SALU_CYCLE_1)
	s_mov_b32 s10, exec_lo
	v_readlane_b32 s12, v99, 8
	s_and_b32 s12, s10, s12
	;; [unrolled: 13-line block ×22, first 2 shown]
	s_mov_b32 exec_lo, s12
	s_cbranch_execz .LBB143_536
; %bb.535:                              ;   in Loop: Header=BB143_3 Depth=1
	ds_load_b64 v[38:39], v87 offset:12032
	ds_load_b64 v[40:41], v36 offset:184
	s_wait_dscnt 0x0
	v_fmac_f64_e32 v[34:35], v[38:39], v[40:41]
.LBB143_536:                            ;   in Loop: Header=BB143_3 Depth=1
	s_or_b32 exec_lo, exec_lo, s10
	s_and_saveexec_b32 s10, s5
	s_cbranch_execz .LBB143_538
; %bb.537:                              ;   in Loop: Header=BB143_3 Depth=1
	ds_load_b64 v[38:39], v87 offset:12544
	ds_load_b64 v[40:41], v36 offset:192
	s_wait_dscnt 0x0
	v_fmac_f64_e32 v[34:35], v[38:39], v[40:41]
.LBB143_538:                            ;   in Loop: Header=BB143_3 Depth=1
	s_or_b32 exec_lo, exec_lo, s10
	s_delay_alu instid0(SALU_CYCLE_1) | instskip(SKIP_2) | instid1(SALU_CYCLE_1)
	s_mov_b32 s10, exec_lo
	v_readlane_b32 s12, v100, 28
	s_and_b32 s12, s10, s12
	s_mov_b32 exec_lo, s12
	s_cbranch_execz .LBB143_540
; %bb.539:                              ;   in Loop: Header=BB143_3 Depth=1
	ds_load_b64 v[38:39], v87 offset:13056
	ds_load_b64 v[40:41], v36 offset:200
	s_wait_dscnt 0x0
	v_fmac_f64_e32 v[34:35], v[38:39], v[40:41]
.LBB143_540:                            ;   in Loop: Header=BB143_3 Depth=1
	s_or_b32 exec_lo, exec_lo, s10
	s_delay_alu instid0(SALU_CYCLE_1) | instskip(SKIP_2) | instid1(SALU_CYCLE_1)
	s_mov_b32 s10, exec_lo
	v_readlane_b32 s12, v100, 30
	s_and_b32 s12, s10, s12
	s_mov_b32 exec_lo, s12
	;; [unrolled: 13-line block ×5, first 2 shown]
	s_cbranch_execnz .LBB143_1123
; %bb.547:                              ;   in Loop: Header=BB143_3 Depth=1
	s_or_b32 exec_lo, exec_lo, s10
	s_and_saveexec_b32 s10, s4
	s_cbranch_execnz .LBB143_1124
.LBB143_548:                            ;   in Loop: Header=BB143_3 Depth=1
	s_or_b32 exec_lo, exec_lo, s10
	s_and_saveexec_b32 s10, s21
	s_cbranch_execz .LBB143_550
.LBB143_549:                            ;   in Loop: Header=BB143_3 Depth=1
	ds_load_b64 v[36:37], v45 offset:16128
	ds_load_b64 v[38:39], v5 offset:248
	s_wait_dscnt 0x0
	v_fmac_f64_e32 v[34:35], v[36:37], v[38:39]
.LBB143_550:                            ;   in Loop: Header=BB143_3 Depth=1
	s_or_b32 exec_lo, exec_lo, s10
	s_delay_alu instid0(VALU_DEP_1)
	v_xor_b32_e32 v35, 0x80000000, v35
.LBB143_551:                            ;   in Loop: Header=BB143_3 Depth=1
	s_or_b32 exec_lo, exec_lo, s84
	v_dual_mov_b32 v36, v68 :: v_dual_mov_b32 v37, v84
	s_mov_b32 s10, 0
	s_branch .LBB143_553
.LBB143_552:                            ;   in Loop: Header=BB143_553 Depth=2
	s_or_b32 exec_lo, exec_lo, s12
	v_add_nc_u32_e32 v37, 0x800, v37
	v_add_nc_u32_e32 v36, -4, v36
	s_add_co_i32 s10, s10, 4
	s_delay_alu instid0(SALU_CYCLE_1)
	s_cmp_eq_u32 s10, 32
	s_barrier_signal -1
	s_barrier_wait -1
	s_cbranch_scc1 .LBB143_569
.LBB143_553:                            ;   Parent Loop BB143_3 Depth=1
                                        ; =>  This Inner Loop Header: Depth=2
	s_delay_alu instid0(VALU_DEP_1) | instskip(SKIP_1) | instid1(SALU_CYCLE_1)
	v_cmp_eq_u32_e32 vcc_lo, 0, v36
	s_and_b32 s50, s13, vcc_lo
	s_and_saveexec_b32 s12, s50
	s_cbranch_execz .LBB143_555
; %bb.554:                              ;   in Loop: Header=BB143_553 Depth=2
	ds_load_b64 v[38:39], v83 offset:16640
	s_wait_dscnt 0x0
	v_mul_f64_e32 v[34:35], v[34:35], v[38:39]
	ds_store_b64 v86, v[34:35]
.LBB143_555:                            ;   in Loop: Header=BB143_553 Depth=2
	s_or_b32 exec_lo, exec_lo, s12
	v_cmp_lt_u32_e32 vcc_lo, s10, v68
	s_wait_dscnt 0x0
	s_barrier_signal -1
	s_barrier_wait -1
	s_and_b32 s50, s13, vcc_lo
	s_delay_alu instid0(SALU_CYCLE_1)
	s_and_saveexec_b32 s12, s50
	s_cbranch_execz .LBB143_557
; %bb.556:                              ;   in Loop: Header=BB143_553 Depth=2
	ds_load_b64 v[38:39], v37
	ds_load_b64 v[40:41], v86
	s_wait_dscnt 0x0
	v_fmac_f64_e32 v[34:35], v[38:39], v[40:41]
.LBB143_557:                            ;   in Loop: Header=BB143_553 Depth=2
	s_or_b32 exec_lo, exec_lo, s12
	s_or_b32 s12, s10, 1
	s_delay_alu instid0(SALU_CYCLE_1) | instskip(SKIP_3) | instid1(SALU_CYCLE_1)
	v_cmp_eq_u32_e32 vcc_lo, s12, v68
	s_barrier_signal -1
	s_barrier_wait -1
	s_and_b32 s51, s13, vcc_lo
	s_and_saveexec_b32 s50, s51
	s_cbranch_execz .LBB143_559
; %bb.558:                              ;   in Loop: Header=BB143_553 Depth=2
	ds_load_b64 v[38:39], v83 offset:16640
	s_wait_dscnt 0x0
	v_mul_f64_e32 v[34:35], v[34:35], v[38:39]
	ds_store_b64 v86, v[34:35]
.LBB143_559:                            ;   in Loop: Header=BB143_553 Depth=2
	s_or_b32 exec_lo, exec_lo, s50
	v_cmp_lt_u32_e32 vcc_lo, s12, v68
	s_wait_dscnt 0x0
	s_barrier_signal -1
	s_barrier_wait -1
	s_and_b32 s50, s13, vcc_lo
	s_delay_alu instid0(SALU_CYCLE_1)
	s_and_saveexec_b32 s12, s50
	s_cbranch_execz .LBB143_561
; %bb.560:                              ;   in Loop: Header=BB143_553 Depth=2
	ds_load_b64 v[38:39], v37 offset:512
	ds_load_b64 v[40:41], v86
	s_wait_dscnt 0x0
	v_fmac_f64_e32 v[34:35], v[38:39], v[40:41]
.LBB143_561:                            ;   in Loop: Header=BB143_553 Depth=2
	s_or_b32 exec_lo, exec_lo, s12
	s_or_b32 s12, s10, 2
	s_delay_alu instid0(SALU_CYCLE_1) | instskip(SKIP_3) | instid1(SALU_CYCLE_1)
	v_cmp_eq_u32_e32 vcc_lo, s12, v68
	s_barrier_signal -1
	s_barrier_wait -1
	s_and_b32 s51, s13, vcc_lo
	s_and_saveexec_b32 s50, s51
	s_cbranch_execz .LBB143_563
; %bb.562:                              ;   in Loop: Header=BB143_553 Depth=2
	ds_load_b64 v[38:39], v83 offset:16640
	s_wait_dscnt 0x0
	v_mul_f64_e32 v[34:35], v[34:35], v[38:39]
	ds_store_b64 v86, v[34:35]
.LBB143_563:                            ;   in Loop: Header=BB143_553 Depth=2
	s_or_b32 exec_lo, exec_lo, s50
	v_cmp_lt_u32_e32 vcc_lo, s12, v68
	s_wait_dscnt 0x0
	s_barrier_signal -1
	s_barrier_wait -1
	s_and_b32 s50, s13, vcc_lo
	s_delay_alu instid0(SALU_CYCLE_1)
	s_and_saveexec_b32 s12, s50
	s_cbranch_execz .LBB143_565
; %bb.564:                              ;   in Loop: Header=BB143_553 Depth=2
	ds_load_b64 v[38:39], v37 offset:1024
	ds_load_b64 v[40:41], v86
	s_wait_dscnt 0x0
	v_fmac_f64_e32 v[34:35], v[38:39], v[40:41]
.LBB143_565:                            ;   in Loop: Header=BB143_553 Depth=2
	s_or_b32 exec_lo, exec_lo, s12
	s_or_b32 s12, s10, 3
	s_delay_alu instid0(SALU_CYCLE_1) | instskip(SKIP_3) | instid1(SALU_CYCLE_1)
	v_cmp_eq_u32_e32 vcc_lo, s12, v68
	s_barrier_signal -1
	s_barrier_wait -1
	s_and_b32 s51, s13, vcc_lo
	s_and_saveexec_b32 s50, s51
	s_cbranch_execz .LBB143_567
; %bb.566:                              ;   in Loop: Header=BB143_553 Depth=2
	ds_load_b64 v[38:39], v83 offset:16640
	s_wait_dscnt 0x0
	v_mul_f64_e32 v[34:35], v[34:35], v[38:39]
	ds_store_b64 v86, v[34:35]
.LBB143_567:                            ;   in Loop: Header=BB143_553 Depth=2
	s_or_b32 exec_lo, exec_lo, s50
	v_cmp_lt_u32_e32 vcc_lo, s12, v68
	s_wait_dscnt 0x0
	s_barrier_signal -1
	s_barrier_wait -1
	s_and_b32 s50, s13, vcc_lo
	s_delay_alu instid0(SALU_CYCLE_1)
	s_and_saveexec_b32 s12, s50
	s_cbranch_execz .LBB143_552
; %bb.568:                              ;   in Loop: Header=BB143_553 Depth=2
	ds_load_b64 v[38:39], v37 offset:1536
	ds_load_b64 v[40:41], v86
	s_wait_dscnt 0x0
	v_fmac_f64_e32 v[34:35], v[38:39], v[40:41]
	s_branch .LBB143_552
.LBB143_569:                            ;   in Loop: Header=BB143_3 Depth=1
	s_and_saveexec_b32 s10, s35
; %bb.570:                              ;   in Loop: Header=BB143_3 Depth=1
	s_delay_alu instid0(VALU_DEP_3)
	v_xor_b32_e32 v35, 0x80000000, v35
	ds_store_b64 v87, v[34:35] offset:256
; %bb.571:                              ;   in Loop: Header=BB143_3 Depth=1
	s_or_b32 exec_lo, exec_lo, s10
	s_wait_dscnt 0x0
	s_barrier_signal -1
	s_barrier_wait -1
	s_barrier_signal -1
	s_barrier_wait -1
	s_mov_b32 s10, exec_lo
	v_readlane_b32 s12, v100, 9
	s_and_b32 s12, s10, s12
	s_delay_alu instid0(SALU_CYCLE_1)
	s_mov_b32 exec_lo, s12
	s_cbranch_execz .LBB143_573
; %bb.572:                              ;   in Loop: Header=BB143_3 Depth=1
	ds_load_b64 v[34:35], v48 offset:256
	s_wait_dscnt 0x0
	ds_store_b64 v52, v[34:35] offset:16384
	ds_load_b64 v[34:35], v48 offset:264
	s_wait_dscnt 0x0
	ds_store_b64 v52, v[34:35] offset:16896
	;; [unrolled: 3-line block ×32, first 2 shown]
.LBB143_573:                            ;   in Loop: Header=BB143_3 Depth=1
	s_or_b32 exec_lo, exec_lo, s10
	s_wait_dscnt 0x0
	s_barrier_signal -1
	s_barrier_wait -1
	s_and_saveexec_b32 s10, s14
	s_cbranch_execz .LBB143_575
; %bb.574:                              ;   in Loop: Header=BB143_3 Depth=1
	ds_load_b128 v[34:37], v5 offset:16640
	ds_load_b64 v[38:39], v5 offset:17160
	s_wait_dscnt 0x0
	v_mul_f64_e32 v[34:35], v[34:35], v[38:39]
	s_delay_alu instid0(VALU_DEP_1)
	v_mul_f64_e32 v[34:35], v[36:37], v[34:35]
	v_add_nc_u32_e64 v36, 0x4000, 0
	ds_store_2addr_b64 v36, v[34:35], v[34:35] offset0:33 offset1:96
.LBB143_575:                            ;   in Loop: Header=BB143_3 Depth=1
	s_or_b32 exec_lo, exec_lo, s10
	v_mov_b64_e32 v[34:35], 0
	s_wait_dscnt 0x0
	s_barrier_signal -1
	s_barrier_wait -1
	s_and_saveexec_b32 s10, s1
	s_cbranch_execz .LBB143_579
; %bb.576:                              ;   in Loop: Header=BB143_3 Depth=1
	ds_load_b64 v[34:35], v43 offset:16656
	ds_load_b64 v[36:37], v44 offset:16640
	s_wait_dscnt 0x0
	v_fma_f64 v[34:35], v[34:35], v[36:37], 0
	s_and_saveexec_b32 s12, s15
	s_cbranch_execz .LBB143_578
; %bb.577:                              ;   in Loop: Header=BB143_3 Depth=1
	ds_load_b64 v[36:37], v45 offset:17168
	ds_load_b64 v[38:39], v5 offset:16648
	s_wait_dscnt 0x0
	v_fmac_f64_e32 v[34:35], v[36:37], v[38:39]
.LBB143_578:                            ;   in Loop: Header=BB143_3 Depth=1
	s_or_b32 exec_lo, exec_lo, s12
	s_delay_alu instid0(VALU_DEP_1)
	v_xor_b32_e32 v35, 0x80000000, v35
.LBB143_579:                            ;   in Loop: Header=BB143_3 Depth=1
	s_or_b32 exec_lo, exec_lo, s10
	s_and_saveexec_b32 s10, s91
	s_cbranch_execz .LBB143_581
; %bb.580:                              ;   in Loop: Header=BB143_3 Depth=1
	ds_load_b64 v[36:37], v5 offset:17680
	s_wait_dscnt 0x0
	v_mul_f64_e32 v[34:35], v[34:35], v[36:37]
	ds_store_b64 v3, v[34:35]
.LBB143_581:                            ;   in Loop: Header=BB143_3 Depth=1
	s_or_b32 exec_lo, exec_lo, s10
	s_wait_dscnt 0x0
	s_barrier_signal -1
	s_barrier_wait -1
	s_and_saveexec_b32 s10, s92
	s_cbranch_execz .LBB143_583
; %bb.582:                              ;   in Loop: Header=BB143_3 Depth=1
	ds_load_b64 v[36:37], v5 offset:17688
	ds_load_b64 v[38:39], v3
	s_wait_dscnt 0x0
	v_fmac_f64_e32 v[34:35], v[36:37], v[38:39]
.LBB143_583:                            ;   in Loop: Header=BB143_3 Depth=1
	s_or_b32 exec_lo, exec_lo, s10
	s_barrier_signal -1
	s_barrier_wait -1
	s_and_saveexec_b32 s10, s92
	s_cbranch_execz .LBB143_585
; %bb.584:                              ;   in Loop: Header=BB143_3 Depth=1
	ds_load_b64 v[36:37], v5 offset:18200
	s_wait_dscnt 0x0
	v_mul_f64_e32 v[34:35], v[34:35], v[36:37]
	ds_store_b64 v3, v[34:35]
.LBB143_585:                            ;   in Loop: Header=BB143_3 Depth=1
	s_or_b32 exec_lo, exec_lo, s10
	s_wait_dscnt 0x0
	s_barrier_signal -1
	s_barrier_wait -1
	s_barrier_signal -1
	s_barrier_wait -1
	s_and_saveexec_b32 s10, s1
; %bb.586:                              ;   in Loop: Header=BB143_3 Depth=1
	s_delay_alu instid0(VALU_DEP_1)
	v_xor_b32_e32 v35, 0x80000000, v35
	ds_store_b64 v43, v[34:35] offset:16656
; %bb.587:                              ;   in Loop: Header=BB143_3 Depth=1
	s_or_b32 exec_lo, exec_lo, s10
	s_wait_dscnt 0x0
	s_barrier_signal -1
	s_barrier_wait -1
	s_barrier_signal -1
	s_barrier_wait -1
	s_and_saveexec_b32 s10, s93
	s_cbranch_execz .LBB143_589
; %bb.588:                              ;   in Loop: Header=BB143_3 Depth=1
	ds_load_b64 v[34:35], v48 offset:16656
	s_wait_dscnt 0x0
	ds_store_b64 v45, v[34:35] offset:17664
	ds_load_b64 v[34:35], v48 offset:16664
	s_wait_dscnt 0x0
	ds_store_b64 v45, v[34:35] offset:18176
.LBB143_589:                            ;   in Loop: Header=BB143_3 Depth=1
	s_or_b32 exec_lo, exec_lo, s10
	s_wait_dscnt 0x0
	s_barrier_signal -1
	s_barrier_wait -1
	s_and_saveexec_b32 s10, s14
	s_cbranch_execz .LBB143_591
; %bb.590:                              ;   in Loop: Header=BB143_3 Depth=1
	ds_load_b128 v[34:37], v5 offset:17680
	ds_load_b64 v[38:39], v5 offset:18200
	s_wait_dscnt 0x0
	v_mul_f64_e32 v[34:35], v[34:35], v[38:39]
	s_delay_alu instid0(VALU_DEP_1)
	v_mul_f64_e32 v[34:35], v[36:37], v[34:35]
	v_add_nc_u32_e64 v36, 0x4000, 0
	ds_store_2addr_b64 v36, v[34:35], v[34:35] offset0:163 offset1:226
.LBB143_591:                            ;   in Loop: Header=BB143_3 Depth=1
	s_or_b32 exec_lo, exec_lo, s10
	v_mov_b64_e32 v[34:35], 0
	s_wait_dscnt 0x0
	s_barrier_signal -1
	s_barrier_wait -1
	s_and_saveexec_b32 s10, s3
	s_cbranch_execz .LBB143_597
; %bb.592:                              ;   in Loop: Header=BB143_3 Depth=1
	ds_load_b64 v[34:35], v50 offset:16672
	ds_load_b64 v[36:37], v46 offset:16640
	s_wait_dscnt 0x0
	v_fma_f64 v[34:35], v[34:35], v[36:37], 0
	s_and_saveexec_b32 s12, s16
	s_cbranch_execnz .LBB143_1125
; %bb.593:                              ;   in Loop: Header=BB143_3 Depth=1
	s_or_b32 exec_lo, exec_lo, s12
	s_and_saveexec_b32 s12, s17
	s_cbranch_execnz .LBB143_1126
.LBB143_594:                            ;   in Loop: Header=BB143_3 Depth=1
	s_or_b32 exec_lo, exec_lo, s12
	s_and_saveexec_b32 s12, s1
	s_cbranch_execz .LBB143_596
.LBB143_595:                            ;   in Loop: Header=BB143_3 Depth=1
	ds_load_b64 v[36:37], v52 offset:18208
	ds_load_b64 v[38:39], v5 offset:16664
	s_wait_dscnt 0x0
	v_fmac_f64_e32 v[34:35], v[36:37], v[38:39]
.LBB143_596:                            ;   in Loop: Header=BB143_3 Depth=1
	s_or_b32 exec_lo, exec_lo, s12
	s_delay_alu instid0(VALU_DEP_1)
	v_xor_b32_e32 v35, 0x80000000, v35
.LBB143_597:                            ;   in Loop: Header=BB143_3 Depth=1
	s_or_b32 exec_lo, exec_lo, s10
	s_and_saveexec_b32 s10, s94
	s_cbranch_execz .LBB143_599
; %bb.598:                              ;   in Loop: Header=BB143_3 Depth=1
	ds_load_b64 v[36:37], v5 offset:18720
	s_wait_dscnt 0x0
	v_mul_f64_e32 v[34:35], v[34:35], v[36:37]
	ds_store_b64 v49, v[34:35]
.LBB143_599:                            ;   in Loop: Header=BB143_3 Depth=1
	s_or_b32 exec_lo, exec_lo, s10
	s_wait_dscnt 0x0
	s_barrier_signal -1
	s_barrier_wait -1
	s_and_saveexec_b32 s10, s95
	s_cbranch_execz .LBB143_601
; %bb.600:                              ;   in Loop: Header=BB143_3 Depth=1
	ds_load_b64 v[36:37], v47 offset:18720
	ds_load_b64 v[38:39], v49
	s_wait_dscnt 0x0
	v_fmac_f64_e32 v[34:35], v[36:37], v[38:39]
.LBB143_601:                            ;   in Loop: Header=BB143_3 Depth=1
	s_or_b32 exec_lo, exec_lo, s10
	s_barrier_signal -1
	s_barrier_wait -1
	s_and_saveexec_b32 s10, s96
	s_cbranch_execz .LBB143_603
; %bb.602:                              ;   in Loop: Header=BB143_3 Depth=1
	ds_load_b64 v[36:37], v5 offset:19240
	s_wait_dscnt 0x0
	v_mul_f64_e32 v[34:35], v[34:35], v[36:37]
	ds_store_b64 v49, v[34:35]
.LBB143_603:                            ;   in Loop: Header=BB143_3 Depth=1
	s_or_b32 exec_lo, exec_lo, s10
	s_wait_dscnt 0x0
	s_barrier_signal -1
	s_barrier_wait -1
	s_and_saveexec_b32 s10, s97
	s_cbranch_execz .LBB143_605
; %bb.604:                              ;   in Loop: Header=BB143_3 Depth=1
	ds_load_b64 v[36:37], v47 offset:19232
	ds_load_b64 v[38:39], v49
	s_wait_dscnt 0x0
	v_fmac_f64_e32 v[34:35], v[36:37], v[38:39]
.LBB143_605:                            ;   in Loop: Header=BB143_3 Depth=1
	s_or_b32 exec_lo, exec_lo, s10
	s_barrier_signal -1
	s_barrier_wait -1
	;; [unrolled: 23-line block ×3, first 2 shown]
	s_and_saveexec_b32 s10, s99
	s_cbranch_execz .LBB143_611
; %bb.610:                              ;   in Loop: Header=BB143_3 Depth=1
	ds_load_b64 v[36:37], v5 offset:20280
	s_wait_dscnt 0x0
	v_mul_f64_e32 v[34:35], v[34:35], v[36:37]
	ds_store_b64 v49, v[34:35]
.LBB143_611:                            ;   in Loop: Header=BB143_3 Depth=1
	s_or_b32 exec_lo, exec_lo, s10
	s_wait_dscnt 0x0
	s_barrier_signal -1
	s_barrier_wait -1
	s_barrier_signal -1
	s_barrier_wait -1
	s_and_saveexec_b32 s10, s3
; %bb.612:                              ;   in Loop: Header=BB143_3 Depth=1
	s_delay_alu instid0(VALU_DEP_1)
	v_xor_b32_e32 v35, 0x80000000, v35
	ds_store_b64 v50, v[34:35] offset:16672
; %bb.613:                              ;   in Loop: Header=BB143_3 Depth=1
	s_or_b32 exec_lo, exec_lo, s10
	s_wait_dscnt 0x0
	s_barrier_signal -1
	s_barrier_wait -1
	s_barrier_signal -1
	s_barrier_wait -1
	s_and_saveexec_b32 s10, s100
	s_cbranch_execz .LBB143_615
; %bb.614:                              ;   in Loop: Header=BB143_3 Depth=1
	ds_load_b64 v[34:35], v53 offset:16672
	s_wait_dscnt 0x0
	ds_store_b64 v54, v[34:35] offset:18688
	ds_load_b64 v[34:35], v53 offset:16680
	s_wait_dscnt 0x0
	ds_store_b64 v54, v[34:35] offset:19200
	;; [unrolled: 3-line block ×4, first 2 shown]
.LBB143_615:                            ;   in Loop: Header=BB143_3 Depth=1
	s_or_b32 exec_lo, exec_lo, s10
	s_wait_dscnt 0x0
	s_barrier_signal -1
	s_barrier_wait -1
	s_and_saveexec_b32 s10, s14
	s_cbranch_execz .LBB143_617
; %bb.616:                              ;   in Loop: Header=BB143_3 Depth=1
	ds_load_b128 v[34:37], v5 offset:18720
	ds_load_b64 v[38:39], v5 offset:19240
	s_wait_dscnt 0x0
	v_mul_f64_e32 v[34:35], v[34:35], v[38:39]
	s_delay_alu instid0(VALU_DEP_1)
	v_mul_f64_e32 v[34:35], v[36:37], v[34:35]
	v_add_nc_u32_e64 v36, 0x4800, 0
	ds_store_2addr_b64 v36, v[34:35], v[34:35] offset0:37 offset1:100
.LBB143_617:                            ;   in Loop: Header=BB143_3 Depth=1
	s_or_b32 exec_lo, exec_lo, s10
	v_mov_b64_e32 v[34:35], 0
	s_wait_dscnt 0x0
	s_barrier_signal -1
	s_barrier_wait -1
	s_and_saveexec_b32 s10, s1
	s_cbranch_execz .LBB143_621
; %bb.618:                              ;   in Loop: Header=BB143_3 Depth=1
	ds_load_b64 v[34:35], v43 offset:18736
	ds_load_b64 v[36:37], v44 offset:18720
	s_wait_dscnt 0x0
	v_fma_f64 v[34:35], v[34:35], v[36:37], 0
	s_and_saveexec_b32 s12, s15
	s_cbranch_execz .LBB143_620
; %bb.619:                              ;   in Loop: Header=BB143_3 Depth=1
	ds_load_b64 v[36:37], v54 offset:19248
	ds_load_b64 v[38:39], v5 offset:18728
	s_wait_dscnt 0x0
	v_fmac_f64_e32 v[34:35], v[36:37], v[38:39]
.LBB143_620:                            ;   in Loop: Header=BB143_3 Depth=1
	s_or_b32 exec_lo, exec_lo, s12
	s_delay_alu instid0(VALU_DEP_1)
	v_xor_b32_e32 v35, 0x80000000, v35
.LBB143_621:                            ;   in Loop: Header=BB143_3 Depth=1
	s_or_b32 exec_lo, exec_lo, s10
	s_and_saveexec_b32 s10, s91
	s_cbranch_execz .LBB143_623
; %bb.622:                              ;   in Loop: Header=BB143_3 Depth=1
	ds_load_b64 v[36:37], v5 offset:19760
	s_wait_dscnt 0x0
	v_mul_f64_e32 v[34:35], v[34:35], v[36:37]
	ds_store_b64 v3, v[34:35]
.LBB143_623:                            ;   in Loop: Header=BB143_3 Depth=1
	s_or_b32 exec_lo, exec_lo, s10
	s_wait_dscnt 0x0
	s_barrier_signal -1
	s_barrier_wait -1
	s_and_saveexec_b32 s10, s92
	s_cbranch_execz .LBB143_625
; %bb.624:                              ;   in Loop: Header=BB143_3 Depth=1
	ds_load_b64 v[36:37], v5 offset:19768
	ds_load_b64 v[38:39], v3
	s_wait_dscnt 0x0
	v_fmac_f64_e32 v[34:35], v[36:37], v[38:39]
.LBB143_625:                            ;   in Loop: Header=BB143_3 Depth=1
	s_or_b32 exec_lo, exec_lo, s10
	s_barrier_signal -1
	s_barrier_wait -1
	s_and_saveexec_b32 s10, s92
	s_cbranch_execz .LBB143_627
; %bb.626:                              ;   in Loop: Header=BB143_3 Depth=1
	ds_load_b64 v[36:37], v5 offset:20280
	s_wait_dscnt 0x0
	v_mul_f64_e32 v[34:35], v[34:35], v[36:37]
	ds_store_b64 v3, v[34:35]
.LBB143_627:                            ;   in Loop: Header=BB143_3 Depth=1
	s_or_b32 exec_lo, exec_lo, s10
	s_wait_dscnt 0x0
	s_barrier_signal -1
	s_barrier_wait -1
	s_barrier_signal -1
	s_barrier_wait -1
	s_and_saveexec_b32 s10, s1
; %bb.628:                              ;   in Loop: Header=BB143_3 Depth=1
	s_delay_alu instid0(VALU_DEP_1)
	v_xor_b32_e32 v35, 0x80000000, v35
	ds_store_b64 v43, v[34:35] offset:18736
; %bb.629:                              ;   in Loop: Header=BB143_3 Depth=1
	s_or_b32 exec_lo, exec_lo, s10
	s_wait_dscnt 0x0
	s_barrier_signal -1
	s_barrier_wait -1
	s_barrier_signal -1
	s_barrier_wait -1
	s_and_saveexec_b32 s10, s93
	s_cbranch_execz .LBB143_631
; %bb.630:                              ;   in Loop: Header=BB143_3 Depth=1
	ds_load_b64 v[34:35], v57 offset:18736
	s_wait_dscnt 0x0
	ds_store_b64 v54, v[34:35] offset:19744
	ds_load_b64 v[34:35], v57 offset:18744
	s_wait_dscnt 0x0
	ds_store_b64 v54, v[34:35] offset:20256
.LBB143_631:                            ;   in Loop: Header=BB143_3 Depth=1
	s_or_b32 exec_lo, exec_lo, s10
	s_wait_dscnt 0x0
	s_barrier_signal -1
	s_barrier_wait -1
	s_and_saveexec_b32 s10, s14
	s_cbranch_execz .LBB143_633
; %bb.632:                              ;   in Loop: Header=BB143_3 Depth=1
	ds_load_b128 v[34:37], v5 offset:19760
	ds_load_b64 v[38:39], v5 offset:20280
	s_wait_dscnt 0x0
	v_mul_f64_e32 v[34:35], v[34:35], v[38:39]
	s_delay_alu instid0(VALU_DEP_1)
	v_mul_f64_e32 v[34:35], v[36:37], v[34:35]
	v_add_nc_u32_e64 v36, 0x4800, 0
	ds_store_2addr_b64 v36, v[34:35], v[34:35] offset0:167 offset1:230
.LBB143_633:                            ;   in Loop: Header=BB143_3 Depth=1
	s_or_b32 exec_lo, exec_lo, s10
	v_mov_b64_e32 v[34:35], 0
	s_wait_dscnt 0x0
	s_barrier_signal -1
	s_barrier_wait -1
	s_and_saveexec_b32 s10, s4
	s_cbranch_execz .LBB143_643
; %bb.634:                              ;   in Loop: Header=BB143_3 Depth=1
	ds_load_b64 v[34:35], v59 offset:16704
	ds_load_b64 v[36:37], v55 offset:16640
	s_wait_dscnt 0x0
	v_fma_f64 v[34:35], v[34:35], v[36:37], 0
	s_and_saveexec_b32 s12, s18
	s_cbranch_execnz .LBB143_1127
; %bb.635:                              ;   in Loop: Header=BB143_3 Depth=1
	s_or_b32 exec_lo, exec_lo, s12
	s_and_saveexec_b32 s12, s19
	s_cbranch_execnz .LBB143_1128
.LBB143_636:                            ;   in Loop: Header=BB143_3 Depth=1
	s_or_b32 exec_lo, exec_lo, s12
	s_and_saveexec_b32 s12, s20
	s_cbranch_execnz .LBB143_1129
.LBB143_637:                            ;   in Loop: Header=BB143_3 Depth=1
	s_or_b32 exec_lo, exec_lo, s12
	s_and_saveexec_b32 s12, s21
	s_cbranch_execnz .LBB143_1130
.LBB143_638:                            ;   in Loop: Header=BB143_3 Depth=1
	s_or_b32 exec_lo, exec_lo, s12
	s_and_saveexec_b32 s12, s22
	s_cbranch_execnz .LBB143_1131
.LBB143_639:                            ;   in Loop: Header=BB143_3 Depth=1
	s_or_b32 exec_lo, exec_lo, s12
	s_and_saveexec_b32 s12, s3
	s_cbranch_execnz .LBB143_1132
.LBB143_640:                            ;   in Loop: Header=BB143_3 Depth=1
	s_or_b32 exec_lo, exec_lo, s12
	s_and_saveexec_b32 s12, s17
	s_cbranch_execz .LBB143_642
.LBB143_641:                            ;   in Loop: Header=BB143_3 Depth=1
	ds_load_b64 v[36:37], v61 offset:20288
	ds_load_b64 v[38:39], v5 offset:16696
	s_wait_dscnt 0x0
	v_fmac_f64_e32 v[34:35], v[36:37], v[38:39]
.LBB143_642:                            ;   in Loop: Header=BB143_3 Depth=1
	s_or_b32 exec_lo, exec_lo, s12
	s_delay_alu instid0(VALU_DEP_1)
	v_xor_b32_e32 v35, 0x80000000, v35
.LBB143_643:                            ;   in Loop: Header=BB143_3 Depth=1
	s_or_b32 exec_lo, exec_lo, s10
	s_and_saveexec_b32 s10, s101
	s_cbranch_execz .LBB143_645
; %bb.644:                              ;   in Loop: Header=BB143_3 Depth=1
	ds_load_b64 v[36:37], v5 offset:20800
	s_wait_dscnt 0x0
	v_mul_f64_e32 v[34:35], v[34:35], v[36:37]
	ds_store_b64 v58, v[34:35]
.LBB143_645:                            ;   in Loop: Header=BB143_3 Depth=1
	s_or_b32 exec_lo, exec_lo, s10
	s_wait_dscnt 0x0
	s_barrier_signal -1
	s_barrier_wait -1
	s_and_saveexec_b32 s10, s102
	s_cbranch_execz .LBB143_647
; %bb.646:                              ;   in Loop: Header=BB143_3 Depth=1
	ds_load_b64 v[36:37], v56 offset:20800
	ds_load_b64 v[38:39], v58
	s_wait_dscnt 0x0
	v_fmac_f64_e32 v[34:35], v[36:37], v[38:39]
.LBB143_647:                            ;   in Loop: Header=BB143_3 Depth=1
	s_or_b32 exec_lo, exec_lo, s10
	s_barrier_signal -1
	s_barrier_wait -1
	s_and_saveexec_b32 s10, s103
	s_cbranch_execz .LBB143_649
; %bb.648:                              ;   in Loop: Header=BB143_3 Depth=1
	ds_load_b64 v[36:37], v5 offset:21320
	s_wait_dscnt 0x0
	v_mul_f64_e32 v[34:35], v[34:35], v[36:37]
	ds_store_b64 v58, v[34:35]
.LBB143_649:                            ;   in Loop: Header=BB143_3 Depth=1
	s_or_b32 exec_lo, exec_lo, s10
	s_wait_dscnt 0x0
	s_barrier_signal -1
	s_barrier_wait -1
	s_and_saveexec_b32 s10, s104
	s_cbranch_execz .LBB143_651
; %bb.650:                              ;   in Loop: Header=BB143_3 Depth=1
	ds_load_b64 v[36:37], v56 offset:21312
	ds_load_b64 v[38:39], v58
	s_wait_dscnt 0x0
	v_fmac_f64_e32 v[34:35], v[36:37], v[38:39]
.LBB143_651:                            ;   in Loop: Header=BB143_3 Depth=1
	s_or_b32 exec_lo, exec_lo, s10
	s_barrier_signal -1
	s_barrier_wait -1
	s_and_saveexec_b32 s10, vcc_hi
	s_cbranch_execz .LBB143_653
; %bb.652:                              ;   in Loop: Header=BB143_3 Depth=1
	ds_load_b64 v[36:37], v5 offset:21840
	s_wait_dscnt 0x0
	v_mul_f64_e32 v[34:35], v[34:35], v[36:37]
	ds_store_b64 v58, v[34:35]
.LBB143_653:                            ;   in Loop: Header=BB143_3 Depth=1
	s_or_b32 exec_lo, exec_lo, s10
	s_wait_dscnt 0x0
	s_barrier_signal -1
	s_barrier_wait -1
	s_and_saveexec_b32 s10, s36
	s_cbranch_execz .LBB143_655
; %bb.654:                              ;   in Loop: Header=BB143_3 Depth=1
	ds_load_b64 v[36:37], v56 offset:21824
	ds_load_b64 v[38:39], v58
	s_wait_dscnt 0x0
	v_fmac_f64_e32 v[34:35], v[36:37], v[38:39]
.LBB143_655:                            ;   in Loop: Header=BB143_3 Depth=1
	s_or_b32 exec_lo, exec_lo, s10
	s_barrier_signal -1
	s_barrier_wait -1
	s_and_saveexec_b32 s10, s37
	s_cbranch_execz .LBB143_657
; %bb.656:                              ;   in Loop: Header=BB143_3 Depth=1
	ds_load_b64 v[36:37], v5 offset:22360
	s_wait_dscnt 0x0
	v_mul_f64_e32 v[34:35], v[34:35], v[36:37]
	ds_store_b64 v58, v[34:35]
.LBB143_657:                            ;   in Loop: Header=BB143_3 Depth=1
	s_or_b32 exec_lo, exec_lo, s10
	s_wait_dscnt 0x0
	s_barrier_signal -1
	s_barrier_wait -1
	s_and_saveexec_b32 s10, s38
	s_cbranch_execz .LBB143_659
; %bb.658:                              ;   in Loop: Header=BB143_3 Depth=1
	ds_load_b64 v[36:37], v56 offset:22336
	ds_load_b64 v[38:39], v58
	s_wait_dscnt 0x0
	v_fmac_f64_e32 v[34:35], v[36:37], v[38:39]
.LBB143_659:                            ;   in Loop: Header=BB143_3 Depth=1
	s_or_b32 exec_lo, exec_lo, s10
	s_barrier_signal -1
	s_barrier_wait -1
	s_and_saveexec_b32 s10, s39
	;; [unrolled: 23-line block ×5, first 2 shown]
	s_cbranch_execz .LBB143_673
; %bb.672:                              ;   in Loop: Header=BB143_3 Depth=1
	ds_load_b64 v[36:37], v5 offset:24440
	s_wait_dscnt 0x0
	v_mul_f64_e32 v[34:35], v[34:35], v[36:37]
	ds_store_b64 v58, v[34:35]
.LBB143_673:                            ;   in Loop: Header=BB143_3 Depth=1
	s_or_b32 exec_lo, exec_lo, s10
	s_wait_dscnt 0x0
	s_barrier_signal -1
	s_barrier_wait -1
	s_barrier_signal -1
	s_barrier_wait -1
	s_and_saveexec_b32 s10, s4
; %bb.674:                              ;   in Loop: Header=BB143_3 Depth=1
	s_delay_alu instid0(VALU_DEP_1)
	v_xor_b32_e32 v35, 0x80000000, v35
	ds_store_b64 v59, v[34:35] offset:16704
; %bb.675:                              ;   in Loop: Header=BB143_3 Depth=1
	s_or_b32 exec_lo, exec_lo, s10
	s_wait_dscnt 0x0
	s_barrier_signal -1
	s_barrier_wait -1
	s_barrier_signal -1
	s_barrier_wait -1
	s_and_saveexec_b32 s10, s45
	s_cbranch_execz .LBB143_677
; %bb.676:                              ;   in Loop: Header=BB143_3 Depth=1
	ds_load_b64 v[34:35], v63 offset:16704
	s_wait_dscnt 0x0
	ds_store_b64 v71, v[34:35] offset:20736
	ds_load_b64 v[34:35], v63 offset:16712
	s_wait_dscnt 0x0
	ds_store_b64 v71, v[34:35] offset:21248
	;; [unrolled: 3-line block ×8, first 2 shown]
.LBB143_677:                            ;   in Loop: Header=BB143_3 Depth=1
	s_or_b32 exec_lo, exec_lo, s10
	s_wait_dscnt 0x0
	s_barrier_signal -1
	s_barrier_wait -1
	s_and_saveexec_b32 s10, s14
	s_cbranch_execz .LBB143_679
; %bb.678:                              ;   in Loop: Header=BB143_3 Depth=1
	ds_load_b128 v[34:37], v5 offset:20800
	ds_load_b64 v[38:39], v5 offset:21320
	s_wait_dscnt 0x0
	v_mul_f64_e32 v[34:35], v[34:35], v[38:39]
	s_delay_alu instid0(VALU_DEP_1)
	v_mul_f64_e32 v[34:35], v[36:37], v[34:35]
	v_add_nc_u32_e64 v36, 0x5000, 0
	ds_store_2addr_b64 v36, v[34:35], v[34:35] offset0:41 offset1:104
.LBB143_679:                            ;   in Loop: Header=BB143_3 Depth=1
	s_or_b32 exec_lo, exec_lo, s10
	v_mov_b64_e32 v[34:35], 0
	s_wait_dscnt 0x0
	s_barrier_signal -1
	s_barrier_wait -1
	s_and_saveexec_b32 s10, s1
	s_cbranch_execz .LBB143_683
; %bb.680:                              ;   in Loop: Header=BB143_3 Depth=1
	ds_load_b64 v[34:35], v43 offset:20816
	ds_load_b64 v[36:37], v44 offset:20800
	s_wait_dscnt 0x0
	v_fma_f64 v[34:35], v[34:35], v[36:37], 0
	s_and_saveexec_b32 s12, s15
	s_cbranch_execz .LBB143_682
; %bb.681:                              ;   in Loop: Header=BB143_3 Depth=1
	ds_load_b64 v[36:37], v71 offset:21328
	ds_load_b64 v[38:39], v5 offset:20808
	s_wait_dscnt 0x0
	v_fmac_f64_e32 v[34:35], v[36:37], v[38:39]
.LBB143_682:                            ;   in Loop: Header=BB143_3 Depth=1
	s_or_b32 exec_lo, exec_lo, s12
	s_delay_alu instid0(VALU_DEP_1)
	v_xor_b32_e32 v35, 0x80000000, v35
.LBB143_683:                            ;   in Loop: Header=BB143_3 Depth=1
	s_or_b32 exec_lo, exec_lo, s10
	s_and_saveexec_b32 s10, s91
	s_cbranch_execz .LBB143_685
; %bb.684:                              ;   in Loop: Header=BB143_3 Depth=1
	ds_load_b64 v[36:37], v5 offset:21840
	s_wait_dscnt 0x0
	v_mul_f64_e32 v[34:35], v[34:35], v[36:37]
	ds_store_b64 v3, v[34:35]
.LBB143_685:                            ;   in Loop: Header=BB143_3 Depth=1
	s_or_b32 exec_lo, exec_lo, s10
	s_wait_dscnt 0x0
	s_barrier_signal -1
	s_barrier_wait -1
	s_and_saveexec_b32 s10, s92
	s_cbranch_execz .LBB143_687
; %bb.686:                              ;   in Loop: Header=BB143_3 Depth=1
	ds_load_b64 v[36:37], v5 offset:21848
	ds_load_b64 v[38:39], v3
	s_wait_dscnt 0x0
	v_fmac_f64_e32 v[34:35], v[36:37], v[38:39]
.LBB143_687:                            ;   in Loop: Header=BB143_3 Depth=1
	s_or_b32 exec_lo, exec_lo, s10
	s_barrier_signal -1
	s_barrier_wait -1
	s_and_saveexec_b32 s10, s92
	s_cbranch_execz .LBB143_689
; %bb.688:                              ;   in Loop: Header=BB143_3 Depth=1
	ds_load_b64 v[36:37], v5 offset:22360
	s_wait_dscnt 0x0
	v_mul_f64_e32 v[34:35], v[34:35], v[36:37]
	ds_store_b64 v3, v[34:35]
.LBB143_689:                            ;   in Loop: Header=BB143_3 Depth=1
	s_or_b32 exec_lo, exec_lo, s10
	s_wait_dscnt 0x0
	s_barrier_signal -1
	s_barrier_wait -1
	s_barrier_signal -1
	s_barrier_wait -1
	s_and_saveexec_b32 s10, s1
; %bb.690:                              ;   in Loop: Header=BB143_3 Depth=1
	s_delay_alu instid0(VALU_DEP_1)
	v_xor_b32_e32 v35, 0x80000000, v35
	ds_store_b64 v43, v[34:35] offset:20816
; %bb.691:                              ;   in Loop: Header=BB143_3 Depth=1
	s_or_b32 exec_lo, exec_lo, s10
	s_wait_dscnt 0x0
	s_barrier_signal -1
	s_barrier_wait -1
	s_barrier_signal -1
	s_barrier_wait -1
	s_and_saveexec_b32 s10, s93
	s_cbranch_execz .LBB143_693
; %bb.692:                              ;   in Loop: Header=BB143_3 Depth=1
	ds_load_b64 v[34:35], v72 offset:20816
	s_wait_dscnt 0x0
	ds_store_b64 v71, v[34:35] offset:21824
	ds_load_b64 v[34:35], v72 offset:20824
	s_wait_dscnt 0x0
	ds_store_b64 v71, v[34:35] offset:22336
.LBB143_693:                            ;   in Loop: Header=BB143_3 Depth=1
	s_or_b32 exec_lo, exec_lo, s10
	s_wait_dscnt 0x0
	s_barrier_signal -1
	s_barrier_wait -1
	s_and_saveexec_b32 s10, s14
	s_cbranch_execz .LBB143_695
; %bb.694:                              ;   in Loop: Header=BB143_3 Depth=1
	ds_load_b128 v[34:37], v5 offset:21840
	ds_load_b64 v[38:39], v5 offset:22360
	s_wait_dscnt 0x0
	v_mul_f64_e32 v[34:35], v[34:35], v[38:39]
	s_delay_alu instid0(VALU_DEP_1)
	v_mul_f64_e32 v[34:35], v[36:37], v[34:35]
	v_add_nc_u32_e64 v36, 0x5000, 0
	ds_store_2addr_b64 v36, v[34:35], v[34:35] offset0:171 offset1:234
.LBB143_695:                            ;   in Loop: Header=BB143_3 Depth=1
	s_or_b32 exec_lo, exec_lo, s10
	v_mov_b64_e32 v[34:35], 0
	s_wait_dscnt 0x0
	s_barrier_signal -1
	s_barrier_wait -1
	s_and_saveexec_b32 s10, s3
	s_cbranch_execz .LBB143_701
; %bb.696:                              ;   in Loop: Header=BB143_3 Depth=1
	ds_load_b64 v[34:35], v50 offset:20832
	ds_load_b64 v[36:37], v46 offset:20800
	s_wait_dscnt 0x0
	v_fma_f64 v[34:35], v[34:35], v[36:37], 0
	s_and_saveexec_b32 s12, s16
	s_cbranch_execnz .LBB143_1133
; %bb.697:                              ;   in Loop: Header=BB143_3 Depth=1
	s_or_b32 exec_lo, exec_lo, s12
	s_and_saveexec_b32 s12, s17
	s_cbranch_execnz .LBB143_1134
.LBB143_698:                            ;   in Loop: Header=BB143_3 Depth=1
	s_or_b32 exec_lo, exec_lo, s12
	s_and_saveexec_b32 s12, s1
	s_cbranch_execz .LBB143_700
.LBB143_699:                            ;   in Loop: Header=BB143_3 Depth=1
	ds_load_b64 v[36:37], v73 offset:22368
	ds_load_b64 v[38:39], v5 offset:20824
	s_wait_dscnt 0x0
	v_fmac_f64_e32 v[34:35], v[36:37], v[38:39]
.LBB143_700:                            ;   in Loop: Header=BB143_3 Depth=1
	s_or_b32 exec_lo, exec_lo, s12
	s_delay_alu instid0(VALU_DEP_1)
	v_xor_b32_e32 v35, 0x80000000, v35
.LBB143_701:                            ;   in Loop: Header=BB143_3 Depth=1
	s_or_b32 exec_lo, exec_lo, s10
	s_and_saveexec_b32 s10, s94
	s_cbranch_execz .LBB143_703
; %bb.702:                              ;   in Loop: Header=BB143_3 Depth=1
	ds_load_b64 v[36:37], v5 offset:22880
	s_wait_dscnt 0x0
	v_mul_f64_e32 v[34:35], v[34:35], v[36:37]
	ds_store_b64 v49, v[34:35]
.LBB143_703:                            ;   in Loop: Header=BB143_3 Depth=1
	s_or_b32 exec_lo, exec_lo, s10
	s_wait_dscnt 0x0
	s_barrier_signal -1
	s_barrier_wait -1
	s_and_saveexec_b32 s10, s95
	s_cbranch_execz .LBB143_705
; %bb.704:                              ;   in Loop: Header=BB143_3 Depth=1
	ds_load_b64 v[36:37], v47 offset:22880
	ds_load_b64 v[38:39], v49
	s_wait_dscnt 0x0
	v_fmac_f64_e32 v[34:35], v[36:37], v[38:39]
.LBB143_705:                            ;   in Loop: Header=BB143_3 Depth=1
	s_or_b32 exec_lo, exec_lo, s10
	s_barrier_signal -1
	s_barrier_wait -1
	s_and_saveexec_b32 s10, s96
	s_cbranch_execz .LBB143_707
; %bb.706:                              ;   in Loop: Header=BB143_3 Depth=1
	ds_load_b64 v[36:37], v5 offset:23400
	s_wait_dscnt 0x0
	v_mul_f64_e32 v[34:35], v[34:35], v[36:37]
	ds_store_b64 v49, v[34:35]
.LBB143_707:                            ;   in Loop: Header=BB143_3 Depth=1
	s_or_b32 exec_lo, exec_lo, s10
	s_wait_dscnt 0x0
	s_barrier_signal -1
	s_barrier_wait -1
	s_and_saveexec_b32 s10, s97
	s_cbranch_execz .LBB143_709
; %bb.708:                              ;   in Loop: Header=BB143_3 Depth=1
	ds_load_b64 v[36:37], v47 offset:23392
	ds_load_b64 v[38:39], v49
	s_wait_dscnt 0x0
	v_fmac_f64_e32 v[34:35], v[36:37], v[38:39]
.LBB143_709:                            ;   in Loop: Header=BB143_3 Depth=1
	s_or_b32 exec_lo, exec_lo, s10
	s_barrier_signal -1
	s_barrier_wait -1
	;; [unrolled: 23-line block ×3, first 2 shown]
	s_and_saveexec_b32 s10, s99
	s_cbranch_execz .LBB143_715
; %bb.714:                              ;   in Loop: Header=BB143_3 Depth=1
	ds_load_b64 v[36:37], v5 offset:24440
	s_wait_dscnt 0x0
	v_mul_f64_e32 v[34:35], v[34:35], v[36:37]
	ds_store_b64 v49, v[34:35]
.LBB143_715:                            ;   in Loop: Header=BB143_3 Depth=1
	s_or_b32 exec_lo, exec_lo, s10
	s_wait_dscnt 0x0
	s_barrier_signal -1
	s_barrier_wait -1
	s_barrier_signal -1
	s_barrier_wait -1
	s_and_saveexec_b32 s10, s3
; %bb.716:                              ;   in Loop: Header=BB143_3 Depth=1
	s_delay_alu instid0(VALU_DEP_1)
	v_xor_b32_e32 v35, 0x80000000, v35
	ds_store_b64 v50, v[34:35] offset:20832
; %bb.717:                              ;   in Loop: Header=BB143_3 Depth=1
	s_or_b32 exec_lo, exec_lo, s10
	s_wait_dscnt 0x0
	s_barrier_signal -1
	s_barrier_wait -1
	s_barrier_signal -1
	s_barrier_wait -1
	s_and_saveexec_b32 s10, s100
	s_cbranch_execz .LBB143_719
; %bb.718:                              ;   in Loop: Header=BB143_3 Depth=1
	ds_load_b64 v[34:35], v74 offset:20832
	s_wait_dscnt 0x0
	ds_store_b64 v77, v[34:35] offset:22848
	ds_load_b64 v[34:35], v74 offset:20840
	s_wait_dscnt 0x0
	ds_store_b64 v77, v[34:35] offset:23360
	;; [unrolled: 3-line block ×4, first 2 shown]
.LBB143_719:                            ;   in Loop: Header=BB143_3 Depth=1
	s_or_b32 exec_lo, exec_lo, s10
	s_wait_dscnt 0x0
	s_barrier_signal -1
	s_barrier_wait -1
	s_and_saveexec_b32 s10, s14
	s_cbranch_execz .LBB143_721
; %bb.720:                              ;   in Loop: Header=BB143_3 Depth=1
	ds_load_b128 v[34:37], v5 offset:22880
	ds_load_b64 v[38:39], v5 offset:23400
	s_wait_dscnt 0x0
	v_mul_f64_e32 v[34:35], v[34:35], v[38:39]
	s_delay_alu instid0(VALU_DEP_1)
	v_mul_f64_e32 v[34:35], v[36:37], v[34:35]
	v_add_nc_u32_e64 v36, 0x5800, 0
	ds_store_2addr_b64 v36, v[34:35], v[34:35] offset0:45 offset1:108
.LBB143_721:                            ;   in Loop: Header=BB143_3 Depth=1
	s_or_b32 exec_lo, exec_lo, s10
	v_mov_b64_e32 v[34:35], 0
	s_wait_dscnt 0x0
	s_barrier_signal -1
	s_barrier_wait -1
	s_and_saveexec_b32 s10, s1
	s_cbranch_execz .LBB143_725
; %bb.722:                              ;   in Loop: Header=BB143_3 Depth=1
	ds_load_b64 v[34:35], v43 offset:22896
	ds_load_b64 v[36:37], v44 offset:22880
	s_wait_dscnt 0x0
	v_fma_f64 v[34:35], v[34:35], v[36:37], 0
	s_and_saveexec_b32 s12, s15
	s_cbranch_execz .LBB143_724
; %bb.723:                              ;   in Loop: Header=BB143_3 Depth=1
	ds_load_b64 v[36:37], v77 offset:23408
	ds_load_b64 v[38:39], v5 offset:22888
	s_wait_dscnt 0x0
	v_fmac_f64_e32 v[34:35], v[36:37], v[38:39]
.LBB143_724:                            ;   in Loop: Header=BB143_3 Depth=1
	s_or_b32 exec_lo, exec_lo, s12
	s_delay_alu instid0(VALU_DEP_1)
	v_xor_b32_e32 v35, 0x80000000, v35
.LBB143_725:                            ;   in Loop: Header=BB143_3 Depth=1
	s_or_b32 exec_lo, exec_lo, s10
	s_and_saveexec_b32 s10, s91
	s_cbranch_execz .LBB143_727
; %bb.726:                              ;   in Loop: Header=BB143_3 Depth=1
	ds_load_b64 v[36:37], v5 offset:23920
	s_wait_dscnt 0x0
	v_mul_f64_e32 v[34:35], v[34:35], v[36:37]
	ds_store_b64 v3, v[34:35]
.LBB143_727:                            ;   in Loop: Header=BB143_3 Depth=1
	s_or_b32 exec_lo, exec_lo, s10
	s_wait_dscnt 0x0
	s_barrier_signal -1
	s_barrier_wait -1
	s_and_saveexec_b32 s10, s92
	s_cbranch_execz .LBB143_729
; %bb.728:                              ;   in Loop: Header=BB143_3 Depth=1
	ds_load_b64 v[36:37], v5 offset:23928
	ds_load_b64 v[38:39], v3
	s_wait_dscnt 0x0
	v_fmac_f64_e32 v[34:35], v[36:37], v[38:39]
.LBB143_729:                            ;   in Loop: Header=BB143_3 Depth=1
	s_or_b32 exec_lo, exec_lo, s10
	s_barrier_signal -1
	s_barrier_wait -1
	s_and_saveexec_b32 s10, s92
	s_cbranch_execz .LBB143_731
; %bb.730:                              ;   in Loop: Header=BB143_3 Depth=1
	ds_load_b64 v[36:37], v5 offset:24440
	s_wait_dscnt 0x0
	v_mul_f64_e32 v[34:35], v[34:35], v[36:37]
	ds_store_b64 v3, v[34:35]
.LBB143_731:                            ;   in Loop: Header=BB143_3 Depth=1
	s_or_b32 exec_lo, exec_lo, s10
	s_wait_dscnt 0x0
	s_barrier_signal -1
	s_barrier_wait -1
	s_barrier_signal -1
	s_barrier_wait -1
	s_and_saveexec_b32 s10, s1
; %bb.732:                              ;   in Loop: Header=BB143_3 Depth=1
	s_delay_alu instid0(VALU_DEP_1)
	v_xor_b32_e32 v35, 0x80000000, v35
	ds_store_b64 v43, v[34:35] offset:22896
; %bb.733:                              ;   in Loop: Header=BB143_3 Depth=1
	s_or_b32 exec_lo, exec_lo, s10
	s_wait_dscnt 0x0
	s_barrier_signal -1
	s_barrier_wait -1
	s_barrier_signal -1
	s_barrier_wait -1
	s_and_saveexec_b32 s10, s93
	s_cbranch_execz .LBB143_735
; %bb.734:                              ;   in Loop: Header=BB143_3 Depth=1
	ds_load_b64 v[34:35], v79 offset:22896
	s_wait_dscnt 0x0
	ds_store_b64 v77, v[34:35] offset:23904
	ds_load_b64 v[34:35], v79 offset:22904
	s_wait_dscnt 0x0
	ds_store_b64 v77, v[34:35] offset:24416
.LBB143_735:                            ;   in Loop: Header=BB143_3 Depth=1
	s_or_b32 exec_lo, exec_lo, s10
	s_wait_dscnt 0x0
	s_barrier_signal -1
	s_barrier_wait -1
	s_and_saveexec_b32 s10, s14
	s_cbranch_execz .LBB143_737
; %bb.736:                              ;   in Loop: Header=BB143_3 Depth=1
	ds_load_b128 v[34:37], v5 offset:23920
	ds_load_b64 v[38:39], v5 offset:24440
	s_wait_dscnt 0x0
	v_mul_f64_e32 v[34:35], v[34:35], v[38:39]
	s_delay_alu instid0(VALU_DEP_1)
	v_mul_f64_e32 v[34:35], v[36:37], v[34:35]
	v_add_nc_u32_e64 v36, 0x5800, 0
	ds_store_2addr_b64 v36, v[34:35], v[34:35] offset0:175 offset1:238
.LBB143_737:                            ;   in Loop: Header=BB143_3 Depth=1
	s_or_b32 exec_lo, exec_lo, s10
	v_mov_b64_e32 v[34:35], 0
	s_wait_dscnt 0x0
	s_barrier_signal -1
	s_barrier_wait -1
	s_and_saveexec_b32 s84, s5
	s_cbranch_execz .LBB143_765
; %bb.738:                              ;   in Loop: Header=BB143_3 Depth=1
	ds_load_b64 v[34:35], v66 offset:16768
	ds_load_b64 v[36:37], v62 offset:16640
	s_wait_dscnt 0x0
	v_fma_f64 v[34:35], v[34:35], v[36:37], 0
	s_mov_b32 s10, exec_lo
	v_readlane_b32 s12, v100, 27
	s_and_b32 s12, s10, s12
	s_delay_alu instid0(SALU_CYCLE_1)
	s_mov_b32 exec_lo, s12
	s_cbranch_execz .LBB143_740
; %bb.739:                              ;   in Loop: Header=BB143_3 Depth=1
	ds_load_b64 v[36:37], v67 offset:17280
	ds_load_b64 v[38:39], v62 offset:16648
	s_wait_dscnt 0x0
	v_fmac_f64_e32 v[34:35], v[36:37], v[38:39]
.LBB143_740:                            ;   in Loop: Header=BB143_3 Depth=1
	s_or_b32 exec_lo, exec_lo, s10
	s_delay_alu instid0(SALU_CYCLE_1) | instskip(SKIP_2) | instid1(SALU_CYCLE_1)
	s_mov_b32 s10, exec_lo
	v_readlane_b32 s12, v100, 28
	s_and_b32 s12, s10, s12
	s_mov_b32 exec_lo, s12
	s_cbranch_execz .LBB143_742
; %bb.741:                              ;   in Loop: Header=BB143_3 Depth=1
	ds_load_b64 v[36:37], v67 offset:17792
	ds_load_b64 v[38:39], v62 offset:16656
	s_wait_dscnt 0x0
	v_fmac_f64_e32 v[34:35], v[36:37], v[38:39]
.LBB143_742:                            ;   in Loop: Header=BB143_3 Depth=1
	s_or_b32 exec_lo, exec_lo, s10
	s_delay_alu instid0(SALU_CYCLE_1) | instskip(SKIP_2) | instid1(SALU_CYCLE_1)
	s_mov_b32 s10, exec_lo
	v_readlane_b32 s12, v100, 29
	s_and_b32 s12, s10, s12
	;; [unrolled: 13-line block ×10, first 2 shown]
	s_mov_b32 exec_lo, s12
	s_cbranch_execnz .LBB143_1135
; %bb.759:                              ;   in Loop: Header=BB143_3 Depth=1
	s_or_b32 exec_lo, exec_lo, s10
	s_and_saveexec_b32 s10, s4
	s_cbranch_execnz .LBB143_1136
.LBB143_760:                            ;   in Loop: Header=BB143_3 Depth=1
	s_or_b32 exec_lo, exec_lo, s10
	s_and_saveexec_b32 s10, s19
	s_cbranch_execnz .LBB143_1137
.LBB143_761:                            ;   in Loop: Header=BB143_3 Depth=1
	s_or_b32 exec_lo, exec_lo, s10
	s_and_saveexec_b32 s10, s21
	s_cbranch_execnz .LBB143_1138
.LBB143_762:                            ;   in Loop: Header=BB143_3 Depth=1
	s_or_b32 exec_lo, exec_lo, s10
	s_and_saveexec_b32 s10, s3
	s_cbranch_execz .LBB143_764
.LBB143_763:                            ;   in Loop: Header=BB143_3 Depth=1
	ds_load_b64 v[36:37], v45 offset:24448
	ds_load_b64 v[38:39], v5 offset:16760
	s_wait_dscnt 0x0
	v_fmac_f64_e32 v[34:35], v[36:37], v[38:39]
.LBB143_764:                            ;   in Loop: Header=BB143_3 Depth=1
	s_or_b32 exec_lo, exec_lo, s10
	s_delay_alu instid0(VALU_DEP_1)
	v_xor_b32_e32 v35, 0x80000000, v35
.LBB143_765:                            ;   in Loop: Header=BB143_3 Depth=1
	s_or_b32 exec_lo, exec_lo, s84
	s_delay_alu instid0(SALU_CYCLE_1) | instskip(SKIP_2) | instid1(SALU_CYCLE_1)
	s_mov_b32 s10, exec_lo
	v_readlane_b32 s12, v100, 2
	s_and_b32 s12, s10, s12
	s_mov_b32 exec_lo, s12
	s_cbranch_execz .LBB143_767
; %bb.766:                              ;   in Loop: Header=BB143_3 Depth=1
	ds_load_b64 v[36:37], v5 offset:24960
	s_wait_dscnt 0x0
	v_mul_f64_e32 v[34:35], v[34:35], v[36:37]
	ds_store_b64 v65, v[34:35]
.LBB143_767:                            ;   in Loop: Header=BB143_3 Depth=1
	s_or_b32 exec_lo, exec_lo, s10
	s_wait_dscnt 0x0
	s_barrier_signal -1
	s_barrier_wait -1
	s_mov_b32 s10, exec_lo
	v_readlane_b32 s12, v100, 3
	s_and_b32 s12, s10, s12
	s_delay_alu instid0(SALU_CYCLE_1)
	s_mov_b32 exec_lo, s12
	s_cbranch_execz .LBB143_769
; %bb.768:                              ;   in Loop: Header=BB143_3 Depth=1
	ds_load_b64 v[36:37], v64 offset:24960
	ds_load_b64 v[38:39], v65
	s_wait_dscnt 0x0
	v_fmac_f64_e32 v[34:35], v[36:37], v[38:39]
.LBB143_769:                            ;   in Loop: Header=BB143_3 Depth=1
	s_or_b32 exec_lo, exec_lo, s10
	s_barrier_signal -1
	s_barrier_wait -1
	s_mov_b32 s10, exec_lo
	v_readlane_b32 s12, v100, 4
	s_and_b32 s12, s10, s12
	s_delay_alu instid0(SALU_CYCLE_1)
	s_mov_b32 exec_lo, s12
	s_cbranch_execz .LBB143_771
; %bb.770:                              ;   in Loop: Header=BB143_3 Depth=1
	ds_load_b64 v[36:37], v5 offset:25480
	s_wait_dscnt 0x0
	v_mul_f64_e32 v[34:35], v[34:35], v[36:37]
	ds_store_b64 v65, v[34:35]
.LBB143_771:                            ;   in Loop: Header=BB143_3 Depth=1
	s_or_b32 exec_lo, exec_lo, s10
	s_wait_dscnt 0x0
	s_barrier_signal -1
	s_barrier_wait -1
	s_mov_b32 s10, exec_lo
	v_readlane_b32 s12, v100, 5
	s_and_b32 s12, s10, s12
	s_delay_alu instid0(SALU_CYCLE_1)
	s_mov_b32 exec_lo, s12
	s_cbranch_execz .LBB143_773
; %bb.772:                              ;   in Loop: Header=BB143_3 Depth=1
	ds_load_b64 v[36:37], v64 offset:25472
	ds_load_b64 v[38:39], v65
	s_wait_dscnt 0x0
	v_fmac_f64_e32 v[34:35], v[36:37], v[38:39]
.LBB143_773:                            ;   in Loop: Header=BB143_3 Depth=1
	s_or_b32 exec_lo, exec_lo, s10
	s_barrier_signal -1
	s_barrier_wait -1
	s_mov_b32 s10, exec_lo
	v_readlane_b32 s12, v100, 6
	s_and_b32 s12, s10, s12
	s_delay_alu instid0(SALU_CYCLE_1)
	;; [unrolled: 31-line block ×3, first 2 shown]
	s_mov_b32 exec_lo, s12
	s_cbranch_execz .LBB143_779
; %bb.778:                              ;   in Loop: Header=BB143_3 Depth=1
	ds_load_b64 v[36:37], v5 offset:26520
	s_wait_dscnt 0x0
	v_mul_f64_e32 v[34:35], v[34:35], v[36:37]
	ds_store_b64 v65, v[34:35]
.LBB143_779:                            ;   in Loop: Header=BB143_3 Depth=1
	s_or_b32 exec_lo, exec_lo, s10
	s_wait_dscnt 0x0
	s_barrier_signal -1
	s_barrier_wait -1
	s_and_saveexec_b32 s10, s53
	s_cbranch_execz .LBB143_781
; %bb.780:                              ;   in Loop: Header=BB143_3 Depth=1
	ds_load_b64 v[36:37], v64 offset:26496
	ds_load_b64 v[38:39], v65
	s_wait_dscnt 0x0
	v_fmac_f64_e32 v[34:35], v[36:37], v[38:39]
.LBB143_781:                            ;   in Loop: Header=BB143_3 Depth=1
	s_or_b32 exec_lo, exec_lo, s10
	s_barrier_signal -1
	s_barrier_wait -1
	s_and_saveexec_b32 s10, s54
	s_cbranch_execz .LBB143_783
; %bb.782:                              ;   in Loop: Header=BB143_3 Depth=1
	ds_load_b64 v[36:37], v5 offset:27040
	s_wait_dscnt 0x0
	v_mul_f64_e32 v[34:35], v[34:35], v[36:37]
	ds_store_b64 v65, v[34:35]
.LBB143_783:                            ;   in Loop: Header=BB143_3 Depth=1
	s_or_b32 exec_lo, exec_lo, s10
	s_wait_dscnt 0x0
	s_barrier_signal -1
	s_barrier_wait -1
	s_and_saveexec_b32 s10, s55
	s_cbranch_execz .LBB143_785
; %bb.784:                              ;   in Loop: Header=BB143_3 Depth=1
	ds_load_b64 v[36:37], v64 offset:27008
	ds_load_b64 v[38:39], v65
	s_wait_dscnt 0x0
	v_fmac_f64_e32 v[34:35], v[36:37], v[38:39]
.LBB143_785:                            ;   in Loop: Header=BB143_3 Depth=1
	s_or_b32 exec_lo, exec_lo, s10
	s_barrier_signal -1
	s_barrier_wait -1
	s_and_saveexec_b32 s10, s56
	;; [unrolled: 23-line block ×12, first 2 shown]
	s_cbranch_execz .LBB143_827
; %bb.826:                              ;   in Loop: Header=BB143_3 Depth=1
	ds_load_b64 v[36:37], v5 offset:32760
	s_wait_dscnt 0x0
	v_mul_f64_e32 v[34:35], v[34:35], v[36:37]
	ds_store_b64 v65, v[34:35]
.LBB143_827:                            ;   in Loop: Header=BB143_3 Depth=1
	s_or_b32 exec_lo, exec_lo, s10
	s_wait_dscnt 0x0
	s_barrier_signal -1
	s_barrier_wait -1
	s_barrier_signal -1
	s_barrier_wait -1
	s_and_saveexec_b32 s10, s5
; %bb.828:                              ;   in Loop: Header=BB143_3 Depth=1
	s_delay_alu instid0(VALU_DEP_1)
	v_xor_b32_e32 v35, 0x80000000, v35
	ds_store_b64 v66, v[34:35] offset:16768
; %bb.829:                              ;   in Loop: Header=BB143_3 Depth=1
	s_or_b32 exec_lo, exec_lo, s10
	s_wait_dscnt 0x0
	s_barrier_signal -1
	s_barrier_wait -1
	s_barrier_signal -1
	s_barrier_wait -1
	s_and_saveexec_b32 s10, s65
	s_cbranch_execz .LBB143_831
; %bb.830:                              ;   in Loop: Header=BB143_3 Depth=1
	ds_load_b64 v[34:35], v48 offset:16768
	s_wait_dscnt 0x0
	ds_store_b64 v52, v[34:35] offset:24832
	ds_load_b64 v[34:35], v48 offset:16776
	s_wait_dscnt 0x0
	ds_store_b64 v52, v[34:35] offset:25344
	;; [unrolled: 3-line block ×16, first 2 shown]
.LBB143_831:                            ;   in Loop: Header=BB143_3 Depth=1
	s_or_b32 exec_lo, exec_lo, s10
	s_wait_dscnt 0x0
	s_barrier_signal -1
	s_barrier_wait -1
	s_and_saveexec_b32 s10, s14
	s_cbranch_execz .LBB143_833
; %bb.832:                              ;   in Loop: Header=BB143_3 Depth=1
	ds_load_b128 v[34:37], v5 offset:24960
	ds_load_b64 v[38:39], v5 offset:25480
	s_wait_dscnt 0x0
	v_mul_f64_e32 v[34:35], v[34:35], v[38:39]
	s_delay_alu instid0(VALU_DEP_1)
	v_mul_f64_e32 v[34:35], v[36:37], v[34:35]
	v_add_nc_u32_e64 v36, 0x6000, 0
	ds_store_2addr_b64 v36, v[34:35], v[34:35] offset0:49 offset1:112
.LBB143_833:                            ;   in Loop: Header=BB143_3 Depth=1
	s_or_b32 exec_lo, exec_lo, s10
	v_mov_b64_e32 v[34:35], 0
	s_wait_dscnt 0x0
	s_barrier_signal -1
	s_barrier_wait -1
	s_and_saveexec_b32 s10, s1
	s_cbranch_execz .LBB143_837
; %bb.834:                              ;   in Loop: Header=BB143_3 Depth=1
	ds_load_b64 v[34:35], v43 offset:24976
	ds_load_b64 v[36:37], v44 offset:24960
	s_wait_dscnt 0x0
	v_fma_f64 v[34:35], v[34:35], v[36:37], 0
	s_and_saveexec_b32 s12, s15
	s_cbranch_execz .LBB143_836
; %bb.835:                              ;   in Loop: Header=BB143_3 Depth=1
	ds_load_b64 v[36:37], v45 offset:25488
	ds_load_b64 v[38:39], v5 offset:24968
	s_wait_dscnt 0x0
	v_fmac_f64_e32 v[34:35], v[36:37], v[38:39]
.LBB143_836:                            ;   in Loop: Header=BB143_3 Depth=1
	s_or_b32 exec_lo, exec_lo, s12
	s_delay_alu instid0(VALU_DEP_1)
	v_xor_b32_e32 v35, 0x80000000, v35
.LBB143_837:                            ;   in Loop: Header=BB143_3 Depth=1
	s_or_b32 exec_lo, exec_lo, s10
	s_and_saveexec_b32 s10, s91
	s_cbranch_execz .LBB143_839
; %bb.838:                              ;   in Loop: Header=BB143_3 Depth=1
	ds_load_b64 v[36:37], v5 offset:26000
	s_wait_dscnt 0x0
	v_mul_f64_e32 v[34:35], v[34:35], v[36:37]
	ds_store_b64 v3, v[34:35]
.LBB143_839:                            ;   in Loop: Header=BB143_3 Depth=1
	s_or_b32 exec_lo, exec_lo, s10
	s_wait_dscnt 0x0
	s_barrier_signal -1
	s_barrier_wait -1
	s_and_saveexec_b32 s10, s92
	s_cbranch_execz .LBB143_841
; %bb.840:                              ;   in Loop: Header=BB143_3 Depth=1
	ds_load_b64 v[36:37], v5 offset:26008
	ds_load_b64 v[38:39], v3
	s_wait_dscnt 0x0
	v_fmac_f64_e32 v[34:35], v[36:37], v[38:39]
.LBB143_841:                            ;   in Loop: Header=BB143_3 Depth=1
	s_or_b32 exec_lo, exec_lo, s10
	s_barrier_signal -1
	s_barrier_wait -1
	s_and_saveexec_b32 s10, s92
	s_cbranch_execz .LBB143_843
; %bb.842:                              ;   in Loop: Header=BB143_3 Depth=1
	ds_load_b64 v[36:37], v5 offset:26520
	s_wait_dscnt 0x0
	v_mul_f64_e32 v[34:35], v[34:35], v[36:37]
	ds_store_b64 v3, v[34:35]
.LBB143_843:                            ;   in Loop: Header=BB143_3 Depth=1
	s_or_b32 exec_lo, exec_lo, s10
	s_wait_dscnt 0x0
	s_barrier_signal -1
	s_barrier_wait -1
	s_barrier_signal -1
	s_barrier_wait -1
	s_and_saveexec_b32 s10, s1
; %bb.844:                              ;   in Loop: Header=BB143_3 Depth=1
	s_delay_alu instid0(VALU_DEP_1)
	v_xor_b32_e32 v35, 0x80000000, v35
	ds_store_b64 v43, v[34:35] offset:24976
; %bb.845:                              ;   in Loop: Header=BB143_3 Depth=1
	s_or_b32 exec_lo, exec_lo, s10
	s_wait_dscnt 0x0
	s_barrier_signal -1
	s_barrier_wait -1
	s_barrier_signal -1
	s_barrier_wait -1
	s_and_saveexec_b32 s10, s93
	s_cbranch_execz .LBB143_847
; %bb.846:                              ;   in Loop: Header=BB143_3 Depth=1
	ds_load_b64 v[34:35], v48 offset:24976
	s_wait_dscnt 0x0
	ds_store_b64 v45, v[34:35] offset:25984
	ds_load_b64 v[34:35], v48 offset:24984
	s_wait_dscnt 0x0
	ds_store_b64 v45, v[34:35] offset:26496
.LBB143_847:                            ;   in Loop: Header=BB143_3 Depth=1
	s_or_b32 exec_lo, exec_lo, s10
	s_wait_dscnt 0x0
	s_barrier_signal -1
	s_barrier_wait -1
	s_and_saveexec_b32 s10, s14
	s_cbranch_execz .LBB143_849
; %bb.848:                              ;   in Loop: Header=BB143_3 Depth=1
	ds_load_b128 v[34:37], v5 offset:26000
	ds_load_b64 v[38:39], v5 offset:26520
	s_wait_dscnt 0x0
	v_mul_f64_e32 v[34:35], v[34:35], v[38:39]
	s_delay_alu instid0(VALU_DEP_1)
	v_mul_f64_e32 v[34:35], v[36:37], v[34:35]
	v_add_nc_u32_e64 v36, 0x6000, 0
	ds_store_2addr_b64 v36, v[34:35], v[34:35] offset0:179 offset1:242
.LBB143_849:                            ;   in Loop: Header=BB143_3 Depth=1
	s_or_b32 exec_lo, exec_lo, s10
	v_mov_b64_e32 v[34:35], 0
	s_wait_dscnt 0x0
	s_barrier_signal -1
	s_barrier_wait -1
	s_and_saveexec_b32 s10, s3
	s_cbranch_execz .LBB143_855
; %bb.850:                              ;   in Loop: Header=BB143_3 Depth=1
	ds_load_b64 v[34:35], v50 offset:24992
	ds_load_b64 v[36:37], v46 offset:24960
	s_wait_dscnt 0x0
	v_fma_f64 v[34:35], v[34:35], v[36:37], 0
	s_and_saveexec_b32 s12, s16
	s_cbranch_execnz .LBB143_1139
; %bb.851:                              ;   in Loop: Header=BB143_3 Depth=1
	s_or_b32 exec_lo, exec_lo, s12
	s_and_saveexec_b32 s12, s17
	s_cbranch_execnz .LBB143_1140
.LBB143_852:                            ;   in Loop: Header=BB143_3 Depth=1
	s_or_b32 exec_lo, exec_lo, s12
	s_and_saveexec_b32 s12, s1
	s_cbranch_execz .LBB143_854
.LBB143_853:                            ;   in Loop: Header=BB143_3 Depth=1
	ds_load_b64 v[36:37], v52 offset:26528
	ds_load_b64 v[38:39], v5 offset:24984
	s_wait_dscnt 0x0
	v_fmac_f64_e32 v[34:35], v[36:37], v[38:39]
.LBB143_854:                            ;   in Loop: Header=BB143_3 Depth=1
	s_or_b32 exec_lo, exec_lo, s12
	s_delay_alu instid0(VALU_DEP_1)
	v_xor_b32_e32 v35, 0x80000000, v35
.LBB143_855:                            ;   in Loop: Header=BB143_3 Depth=1
	s_or_b32 exec_lo, exec_lo, s10
	s_and_saveexec_b32 s10, s94
	s_cbranch_execz .LBB143_857
; %bb.856:                              ;   in Loop: Header=BB143_3 Depth=1
	ds_load_b64 v[36:37], v5 offset:27040
	s_wait_dscnt 0x0
	v_mul_f64_e32 v[34:35], v[34:35], v[36:37]
	ds_store_b64 v49, v[34:35]
.LBB143_857:                            ;   in Loop: Header=BB143_3 Depth=1
	s_or_b32 exec_lo, exec_lo, s10
	s_wait_dscnt 0x0
	s_barrier_signal -1
	s_barrier_wait -1
	s_and_saveexec_b32 s10, s95
	s_cbranch_execz .LBB143_859
; %bb.858:                              ;   in Loop: Header=BB143_3 Depth=1
	ds_load_b64 v[36:37], v47 offset:27040
	ds_load_b64 v[38:39], v49
	s_wait_dscnt 0x0
	v_fmac_f64_e32 v[34:35], v[36:37], v[38:39]
.LBB143_859:                            ;   in Loop: Header=BB143_3 Depth=1
	s_or_b32 exec_lo, exec_lo, s10
	s_barrier_signal -1
	s_barrier_wait -1
	s_and_saveexec_b32 s10, s96
	s_cbranch_execz .LBB143_861
; %bb.860:                              ;   in Loop: Header=BB143_3 Depth=1
	ds_load_b64 v[36:37], v5 offset:27560
	s_wait_dscnt 0x0
	v_mul_f64_e32 v[34:35], v[34:35], v[36:37]
	ds_store_b64 v49, v[34:35]
.LBB143_861:                            ;   in Loop: Header=BB143_3 Depth=1
	s_or_b32 exec_lo, exec_lo, s10
	s_wait_dscnt 0x0
	s_barrier_signal -1
	s_barrier_wait -1
	s_and_saveexec_b32 s10, s97
	s_cbranch_execz .LBB143_863
; %bb.862:                              ;   in Loop: Header=BB143_3 Depth=1
	ds_load_b64 v[36:37], v47 offset:27552
	ds_load_b64 v[38:39], v49
	s_wait_dscnt 0x0
	v_fmac_f64_e32 v[34:35], v[36:37], v[38:39]
.LBB143_863:                            ;   in Loop: Header=BB143_3 Depth=1
	s_or_b32 exec_lo, exec_lo, s10
	s_barrier_signal -1
	s_barrier_wait -1
	;; [unrolled: 23-line block ×3, first 2 shown]
	s_and_saveexec_b32 s10, s99
	s_cbranch_execz .LBB143_869
; %bb.868:                              ;   in Loop: Header=BB143_3 Depth=1
	ds_load_b64 v[36:37], v5 offset:28600
	s_wait_dscnt 0x0
	v_mul_f64_e32 v[34:35], v[34:35], v[36:37]
	ds_store_b64 v49, v[34:35]
.LBB143_869:                            ;   in Loop: Header=BB143_3 Depth=1
	s_or_b32 exec_lo, exec_lo, s10
	s_wait_dscnt 0x0
	s_barrier_signal -1
	s_barrier_wait -1
	s_barrier_signal -1
	s_barrier_wait -1
	s_and_saveexec_b32 s10, s3
; %bb.870:                              ;   in Loop: Header=BB143_3 Depth=1
	s_delay_alu instid0(VALU_DEP_1)
	v_xor_b32_e32 v35, 0x80000000, v35
	ds_store_b64 v50, v[34:35] offset:24992
; %bb.871:                              ;   in Loop: Header=BB143_3 Depth=1
	s_or_b32 exec_lo, exec_lo, s10
	s_wait_dscnt 0x0
	s_barrier_signal -1
	s_barrier_wait -1
	s_barrier_signal -1
	s_barrier_wait -1
	s_and_saveexec_b32 s10, s100
	s_cbranch_execz .LBB143_873
; %bb.872:                              ;   in Loop: Header=BB143_3 Depth=1
	ds_load_b64 v[34:35], v53 offset:24992
	s_wait_dscnt 0x0
	ds_store_b64 v54, v[34:35] offset:27008
	ds_load_b64 v[34:35], v53 offset:25000
	s_wait_dscnt 0x0
	ds_store_b64 v54, v[34:35] offset:27520
	;; [unrolled: 3-line block ×4, first 2 shown]
.LBB143_873:                            ;   in Loop: Header=BB143_3 Depth=1
	s_or_b32 exec_lo, exec_lo, s10
	s_wait_dscnt 0x0
	s_barrier_signal -1
	s_barrier_wait -1
	s_and_saveexec_b32 s10, s14
	s_cbranch_execz .LBB143_875
; %bb.874:                              ;   in Loop: Header=BB143_3 Depth=1
	ds_load_b128 v[34:37], v5 offset:27040
	ds_load_b64 v[38:39], v5 offset:27560
	s_wait_dscnt 0x0
	v_mul_f64_e32 v[34:35], v[34:35], v[38:39]
	s_delay_alu instid0(VALU_DEP_1)
	v_mul_f64_e32 v[34:35], v[36:37], v[34:35]
	v_add_nc_u32_e64 v36, 0x6800, 0
	ds_store_2addr_b64 v36, v[34:35], v[34:35] offset0:53 offset1:116
.LBB143_875:                            ;   in Loop: Header=BB143_3 Depth=1
	s_or_b32 exec_lo, exec_lo, s10
	v_mov_b64_e32 v[34:35], 0
	s_wait_dscnt 0x0
	s_barrier_signal -1
	s_barrier_wait -1
	s_and_saveexec_b32 s10, s1
	s_cbranch_execz .LBB143_879
; %bb.876:                              ;   in Loop: Header=BB143_3 Depth=1
	ds_load_b64 v[34:35], v43 offset:27056
	ds_load_b64 v[36:37], v44 offset:27040
	s_wait_dscnt 0x0
	v_fma_f64 v[34:35], v[34:35], v[36:37], 0
	s_and_saveexec_b32 s12, s15
	s_cbranch_execz .LBB143_878
; %bb.877:                              ;   in Loop: Header=BB143_3 Depth=1
	ds_load_b64 v[36:37], v54 offset:27568
	ds_load_b64 v[38:39], v5 offset:27048
	s_wait_dscnt 0x0
	v_fmac_f64_e32 v[34:35], v[36:37], v[38:39]
.LBB143_878:                            ;   in Loop: Header=BB143_3 Depth=1
	s_or_b32 exec_lo, exec_lo, s12
	s_delay_alu instid0(VALU_DEP_1)
	v_xor_b32_e32 v35, 0x80000000, v35
.LBB143_879:                            ;   in Loop: Header=BB143_3 Depth=1
	s_or_b32 exec_lo, exec_lo, s10
	s_and_saveexec_b32 s10, s91
	s_cbranch_execz .LBB143_881
; %bb.880:                              ;   in Loop: Header=BB143_3 Depth=1
	ds_load_b64 v[36:37], v5 offset:28080
	s_wait_dscnt 0x0
	v_mul_f64_e32 v[34:35], v[34:35], v[36:37]
	ds_store_b64 v3, v[34:35]
.LBB143_881:                            ;   in Loop: Header=BB143_3 Depth=1
	s_or_b32 exec_lo, exec_lo, s10
	s_wait_dscnt 0x0
	s_barrier_signal -1
	s_barrier_wait -1
	s_and_saveexec_b32 s10, s92
	s_cbranch_execz .LBB143_883
; %bb.882:                              ;   in Loop: Header=BB143_3 Depth=1
	ds_load_b64 v[36:37], v5 offset:28088
	ds_load_b64 v[38:39], v3
	s_wait_dscnt 0x0
	v_fmac_f64_e32 v[34:35], v[36:37], v[38:39]
.LBB143_883:                            ;   in Loop: Header=BB143_3 Depth=1
	s_or_b32 exec_lo, exec_lo, s10
	s_barrier_signal -1
	s_barrier_wait -1
	s_and_saveexec_b32 s10, s92
	s_cbranch_execz .LBB143_885
; %bb.884:                              ;   in Loop: Header=BB143_3 Depth=1
	ds_load_b64 v[36:37], v5 offset:28600
	s_wait_dscnt 0x0
	v_mul_f64_e32 v[34:35], v[34:35], v[36:37]
	ds_store_b64 v3, v[34:35]
.LBB143_885:                            ;   in Loop: Header=BB143_3 Depth=1
	s_or_b32 exec_lo, exec_lo, s10
	s_wait_dscnt 0x0
	s_barrier_signal -1
	s_barrier_wait -1
	s_barrier_signal -1
	s_barrier_wait -1
	s_and_saveexec_b32 s10, s1
; %bb.886:                              ;   in Loop: Header=BB143_3 Depth=1
	s_delay_alu instid0(VALU_DEP_1)
	v_xor_b32_e32 v35, 0x80000000, v35
	ds_store_b64 v43, v[34:35] offset:27056
; %bb.887:                              ;   in Loop: Header=BB143_3 Depth=1
	s_or_b32 exec_lo, exec_lo, s10
	s_wait_dscnt 0x0
	s_barrier_signal -1
	s_barrier_wait -1
	s_barrier_signal -1
	s_barrier_wait -1
	s_and_saveexec_b32 s10, s93
	s_cbranch_execz .LBB143_889
; %bb.888:                              ;   in Loop: Header=BB143_3 Depth=1
	ds_load_b64 v[34:35], v57 offset:27056
	s_wait_dscnt 0x0
	ds_store_b64 v54, v[34:35] offset:28064
	ds_load_b64 v[34:35], v57 offset:27064
	s_wait_dscnt 0x0
	ds_store_b64 v54, v[34:35] offset:28576
.LBB143_889:                            ;   in Loop: Header=BB143_3 Depth=1
	s_or_b32 exec_lo, exec_lo, s10
	s_wait_dscnt 0x0
	s_barrier_signal -1
	s_barrier_wait -1
	s_and_saveexec_b32 s10, s14
	s_cbranch_execz .LBB143_891
; %bb.890:                              ;   in Loop: Header=BB143_3 Depth=1
	ds_load_b128 v[34:37], v5 offset:28080
	ds_load_b64 v[38:39], v5 offset:28600
	s_wait_dscnt 0x0
	v_mul_f64_e32 v[34:35], v[34:35], v[38:39]
	s_delay_alu instid0(VALU_DEP_1)
	v_mul_f64_e32 v[34:35], v[36:37], v[34:35]
	v_add_nc_u32_e64 v36, 0x6800, 0
	ds_store_2addr_b64 v36, v[34:35], v[34:35] offset0:183 offset1:246
.LBB143_891:                            ;   in Loop: Header=BB143_3 Depth=1
	s_or_b32 exec_lo, exec_lo, s10
	v_mov_b64_e32 v[34:35], 0
	s_wait_dscnt 0x0
	s_barrier_signal -1
	s_barrier_wait -1
	s_and_saveexec_b32 s10, s4
	s_cbranch_execz .LBB143_901
; %bb.892:                              ;   in Loop: Header=BB143_3 Depth=1
	ds_load_b64 v[34:35], v59 offset:25024
	ds_load_b64 v[36:37], v55 offset:24960
	s_wait_dscnt 0x0
	v_fma_f64 v[34:35], v[34:35], v[36:37], 0
	s_and_saveexec_b32 s12, s18
	s_cbranch_execnz .LBB143_1141
; %bb.893:                              ;   in Loop: Header=BB143_3 Depth=1
	s_or_b32 exec_lo, exec_lo, s12
	s_and_saveexec_b32 s12, s19
	s_cbranch_execnz .LBB143_1142
.LBB143_894:                            ;   in Loop: Header=BB143_3 Depth=1
	s_or_b32 exec_lo, exec_lo, s12
	s_and_saveexec_b32 s12, s20
	s_cbranch_execnz .LBB143_1143
.LBB143_895:                            ;   in Loop: Header=BB143_3 Depth=1
	s_or_b32 exec_lo, exec_lo, s12
	s_and_saveexec_b32 s12, s21
	s_cbranch_execnz .LBB143_1144
.LBB143_896:                            ;   in Loop: Header=BB143_3 Depth=1
	s_or_b32 exec_lo, exec_lo, s12
	s_and_saveexec_b32 s12, s22
	s_cbranch_execnz .LBB143_1145
.LBB143_897:                            ;   in Loop: Header=BB143_3 Depth=1
	s_or_b32 exec_lo, exec_lo, s12
	s_and_saveexec_b32 s12, s3
	s_cbranch_execnz .LBB143_1146
.LBB143_898:                            ;   in Loop: Header=BB143_3 Depth=1
	s_or_b32 exec_lo, exec_lo, s12
	s_and_saveexec_b32 s12, s17
	s_cbranch_execz .LBB143_900
.LBB143_899:                            ;   in Loop: Header=BB143_3 Depth=1
	ds_load_b64 v[36:37], v61 offset:28608
	ds_load_b64 v[38:39], v5 offset:25016
	s_wait_dscnt 0x0
	v_fmac_f64_e32 v[34:35], v[36:37], v[38:39]
.LBB143_900:                            ;   in Loop: Header=BB143_3 Depth=1
	s_or_b32 exec_lo, exec_lo, s12
	s_delay_alu instid0(VALU_DEP_1)
	v_xor_b32_e32 v35, 0x80000000, v35
.LBB143_901:                            ;   in Loop: Header=BB143_3 Depth=1
	s_or_b32 exec_lo, exec_lo, s10
	s_and_saveexec_b32 s10, s101
	s_cbranch_execz .LBB143_903
; %bb.902:                              ;   in Loop: Header=BB143_3 Depth=1
	ds_load_b64 v[36:37], v5 offset:29120
	s_wait_dscnt 0x0
	v_mul_f64_e32 v[34:35], v[34:35], v[36:37]
	ds_store_b64 v58, v[34:35]
.LBB143_903:                            ;   in Loop: Header=BB143_3 Depth=1
	s_or_b32 exec_lo, exec_lo, s10
	s_wait_dscnt 0x0
	s_barrier_signal -1
	s_barrier_wait -1
	s_and_saveexec_b32 s10, s102
	s_cbranch_execz .LBB143_905
; %bb.904:                              ;   in Loop: Header=BB143_3 Depth=1
	ds_load_b64 v[36:37], v56 offset:29120
	ds_load_b64 v[38:39], v58
	s_wait_dscnt 0x0
	v_fmac_f64_e32 v[34:35], v[36:37], v[38:39]
.LBB143_905:                            ;   in Loop: Header=BB143_3 Depth=1
	s_or_b32 exec_lo, exec_lo, s10
	s_barrier_signal -1
	s_barrier_wait -1
	s_and_saveexec_b32 s10, s103
	s_cbranch_execz .LBB143_907
; %bb.906:                              ;   in Loop: Header=BB143_3 Depth=1
	ds_load_b64 v[36:37], v5 offset:29640
	s_wait_dscnt 0x0
	v_mul_f64_e32 v[34:35], v[34:35], v[36:37]
	ds_store_b64 v58, v[34:35]
.LBB143_907:                            ;   in Loop: Header=BB143_3 Depth=1
	s_or_b32 exec_lo, exec_lo, s10
	s_wait_dscnt 0x0
	s_barrier_signal -1
	s_barrier_wait -1
	s_and_saveexec_b32 s10, s104
	s_cbranch_execz .LBB143_909
; %bb.908:                              ;   in Loop: Header=BB143_3 Depth=1
	ds_load_b64 v[36:37], v56 offset:29632
	ds_load_b64 v[38:39], v58
	s_wait_dscnt 0x0
	v_fmac_f64_e32 v[34:35], v[36:37], v[38:39]
.LBB143_909:                            ;   in Loop: Header=BB143_3 Depth=1
	s_or_b32 exec_lo, exec_lo, s10
	s_barrier_signal -1
	s_barrier_wait -1
	s_and_saveexec_b32 s10, vcc_hi
	s_cbranch_execz .LBB143_911
; %bb.910:                              ;   in Loop: Header=BB143_3 Depth=1
	ds_load_b64 v[36:37], v5 offset:30160
	s_wait_dscnt 0x0
	v_mul_f64_e32 v[34:35], v[34:35], v[36:37]
	ds_store_b64 v58, v[34:35]
.LBB143_911:                            ;   in Loop: Header=BB143_3 Depth=1
	s_or_b32 exec_lo, exec_lo, s10
	s_wait_dscnt 0x0
	s_barrier_signal -1
	s_barrier_wait -1
	s_and_saveexec_b32 s10, s36
	s_cbranch_execz .LBB143_913
; %bb.912:                              ;   in Loop: Header=BB143_3 Depth=1
	ds_load_b64 v[36:37], v56 offset:30144
	ds_load_b64 v[38:39], v58
	s_wait_dscnt 0x0
	v_fmac_f64_e32 v[34:35], v[36:37], v[38:39]
.LBB143_913:                            ;   in Loop: Header=BB143_3 Depth=1
	s_or_b32 exec_lo, exec_lo, s10
	s_barrier_signal -1
	s_barrier_wait -1
	s_and_saveexec_b32 s10, s37
	s_cbranch_execz .LBB143_915
; %bb.914:                              ;   in Loop: Header=BB143_3 Depth=1
	ds_load_b64 v[36:37], v5 offset:30680
	s_wait_dscnt 0x0
	v_mul_f64_e32 v[34:35], v[34:35], v[36:37]
	ds_store_b64 v58, v[34:35]
.LBB143_915:                            ;   in Loop: Header=BB143_3 Depth=1
	s_or_b32 exec_lo, exec_lo, s10
	s_wait_dscnt 0x0
	s_barrier_signal -1
	s_barrier_wait -1
	s_and_saveexec_b32 s10, s38
	s_cbranch_execz .LBB143_917
; %bb.916:                              ;   in Loop: Header=BB143_3 Depth=1
	ds_load_b64 v[36:37], v56 offset:30656
	ds_load_b64 v[38:39], v58
	s_wait_dscnt 0x0
	v_fmac_f64_e32 v[34:35], v[36:37], v[38:39]
.LBB143_917:                            ;   in Loop: Header=BB143_3 Depth=1
	s_or_b32 exec_lo, exec_lo, s10
	s_barrier_signal -1
	s_barrier_wait -1
	s_and_saveexec_b32 s10, s39
	;; [unrolled: 23-line block ×5, first 2 shown]
	s_cbranch_execz .LBB143_931
; %bb.930:                              ;   in Loop: Header=BB143_3 Depth=1
	ds_load_b64 v[36:37], v5 offset:32760
	s_wait_dscnt 0x0
	v_mul_f64_e32 v[34:35], v[34:35], v[36:37]
	ds_store_b64 v58, v[34:35]
.LBB143_931:                            ;   in Loop: Header=BB143_3 Depth=1
	s_or_b32 exec_lo, exec_lo, s10
	s_wait_dscnt 0x0
	s_barrier_signal -1
	s_barrier_wait -1
	s_barrier_signal -1
	s_barrier_wait -1
	s_and_saveexec_b32 s10, s4
; %bb.932:                              ;   in Loop: Header=BB143_3 Depth=1
	s_delay_alu instid0(VALU_DEP_1)
	v_xor_b32_e32 v35, 0x80000000, v35
	ds_store_b64 v59, v[34:35] offset:25024
; %bb.933:                              ;   in Loop: Header=BB143_3 Depth=1
	s_or_b32 exec_lo, exec_lo, s10
	s_wait_dscnt 0x0
	s_barrier_signal -1
	s_barrier_wait -1
	s_barrier_signal -1
	s_barrier_wait -1
	s_and_saveexec_b32 s10, s45
	s_cbranch_execz .LBB143_935
; %bb.934:                              ;   in Loop: Header=BB143_3 Depth=1
	ds_load_b64 v[34:35], v63 offset:25024
	s_wait_dscnt 0x0
	ds_store_b64 v71, v[34:35] offset:29056
	ds_load_b64 v[34:35], v63 offset:25032
	s_wait_dscnt 0x0
	ds_store_b64 v71, v[34:35] offset:29568
	;; [unrolled: 3-line block ×8, first 2 shown]
.LBB143_935:                            ;   in Loop: Header=BB143_3 Depth=1
	s_or_b32 exec_lo, exec_lo, s10
	s_wait_dscnt 0x0
	s_barrier_signal -1
	s_barrier_wait -1
	s_and_saveexec_b32 s10, s14
	s_cbranch_execz .LBB143_937
; %bb.936:                              ;   in Loop: Header=BB143_3 Depth=1
	ds_load_b128 v[34:37], v5 offset:29120
	ds_load_b64 v[38:39], v5 offset:29640
	s_wait_dscnt 0x0
	v_mul_f64_e32 v[34:35], v[34:35], v[38:39]
	s_delay_alu instid0(VALU_DEP_1)
	v_mul_f64_e32 v[34:35], v[36:37], v[34:35]
	v_add_nc_u32_e64 v36, 0x7000, 0
	ds_store_2addr_b64 v36, v[34:35], v[34:35] offset0:57 offset1:120
.LBB143_937:                            ;   in Loop: Header=BB143_3 Depth=1
	s_or_b32 exec_lo, exec_lo, s10
	v_mov_b64_e32 v[34:35], 0
	s_wait_dscnt 0x0
	s_barrier_signal -1
	s_barrier_wait -1
	s_and_saveexec_b32 s10, s1
	s_cbranch_execz .LBB143_941
; %bb.938:                              ;   in Loop: Header=BB143_3 Depth=1
	ds_load_b64 v[34:35], v43 offset:29136
	ds_load_b64 v[36:37], v44 offset:29120
	s_wait_dscnt 0x0
	v_fma_f64 v[34:35], v[34:35], v[36:37], 0
	s_and_saveexec_b32 s12, s15
	s_cbranch_execz .LBB143_940
; %bb.939:                              ;   in Loop: Header=BB143_3 Depth=1
	ds_load_b64 v[36:37], v71 offset:29648
	ds_load_b64 v[38:39], v5 offset:29128
	s_wait_dscnt 0x0
	v_fmac_f64_e32 v[34:35], v[36:37], v[38:39]
.LBB143_940:                            ;   in Loop: Header=BB143_3 Depth=1
	s_or_b32 exec_lo, exec_lo, s12
	s_delay_alu instid0(VALU_DEP_1)
	v_xor_b32_e32 v35, 0x80000000, v35
.LBB143_941:                            ;   in Loop: Header=BB143_3 Depth=1
	s_or_b32 exec_lo, exec_lo, s10
	s_and_saveexec_b32 s10, s91
	s_cbranch_execz .LBB143_943
; %bb.942:                              ;   in Loop: Header=BB143_3 Depth=1
	ds_load_b64 v[36:37], v5 offset:30160
	s_wait_dscnt 0x0
	v_mul_f64_e32 v[34:35], v[34:35], v[36:37]
	ds_store_b64 v3, v[34:35]
.LBB143_943:                            ;   in Loop: Header=BB143_3 Depth=1
	s_or_b32 exec_lo, exec_lo, s10
	s_wait_dscnt 0x0
	s_barrier_signal -1
	s_barrier_wait -1
	s_and_saveexec_b32 s10, s92
	s_cbranch_execz .LBB143_945
; %bb.944:                              ;   in Loop: Header=BB143_3 Depth=1
	ds_load_b64 v[36:37], v5 offset:30168
	ds_load_b64 v[38:39], v3
	s_wait_dscnt 0x0
	v_fmac_f64_e32 v[34:35], v[36:37], v[38:39]
.LBB143_945:                            ;   in Loop: Header=BB143_3 Depth=1
	s_or_b32 exec_lo, exec_lo, s10
	s_barrier_signal -1
	s_barrier_wait -1
	s_and_saveexec_b32 s10, s92
	s_cbranch_execz .LBB143_947
; %bb.946:                              ;   in Loop: Header=BB143_3 Depth=1
	ds_load_b64 v[36:37], v5 offset:30680
	s_wait_dscnt 0x0
	v_mul_f64_e32 v[34:35], v[34:35], v[36:37]
	ds_store_b64 v3, v[34:35]
.LBB143_947:                            ;   in Loop: Header=BB143_3 Depth=1
	s_or_b32 exec_lo, exec_lo, s10
	s_wait_dscnt 0x0
	s_barrier_signal -1
	s_barrier_wait -1
	s_barrier_signal -1
	s_barrier_wait -1
	s_and_saveexec_b32 s10, s1
; %bb.948:                              ;   in Loop: Header=BB143_3 Depth=1
	s_delay_alu instid0(VALU_DEP_1)
	v_xor_b32_e32 v35, 0x80000000, v35
	ds_store_b64 v43, v[34:35] offset:29136
; %bb.949:                              ;   in Loop: Header=BB143_3 Depth=1
	s_or_b32 exec_lo, exec_lo, s10
	s_wait_dscnt 0x0
	s_barrier_signal -1
	s_barrier_wait -1
	s_barrier_signal -1
	s_barrier_wait -1
	s_and_saveexec_b32 s10, s93
	s_cbranch_execz .LBB143_951
; %bb.950:                              ;   in Loop: Header=BB143_3 Depth=1
	ds_load_b64 v[34:35], v72 offset:29136
	s_wait_dscnt 0x0
	ds_store_b64 v71, v[34:35] offset:30144
	ds_load_b64 v[34:35], v72 offset:29144
	s_wait_dscnt 0x0
	ds_store_b64 v71, v[34:35] offset:30656
.LBB143_951:                            ;   in Loop: Header=BB143_3 Depth=1
	s_or_b32 exec_lo, exec_lo, s10
	s_wait_dscnt 0x0
	s_barrier_signal -1
	s_barrier_wait -1
	s_and_saveexec_b32 s10, s14
	s_cbranch_execz .LBB143_953
; %bb.952:                              ;   in Loop: Header=BB143_3 Depth=1
	ds_load_b128 v[34:37], v5 offset:30160
	ds_load_b64 v[38:39], v5 offset:30680
	s_wait_dscnt 0x0
	v_mul_f64_e32 v[34:35], v[34:35], v[38:39]
	s_delay_alu instid0(VALU_DEP_1)
	v_mul_f64_e32 v[34:35], v[36:37], v[34:35]
	v_add_nc_u32_e64 v36, 0x7000, 0
	ds_store_2addr_b64 v36, v[34:35], v[34:35] offset0:187 offset1:250
.LBB143_953:                            ;   in Loop: Header=BB143_3 Depth=1
	s_or_b32 exec_lo, exec_lo, s10
	v_mov_b64_e32 v[34:35], 0
	s_wait_dscnt 0x0
	s_barrier_signal -1
	s_barrier_wait -1
	s_and_saveexec_b32 s10, s3
	s_cbranch_execz .LBB143_959
; %bb.954:                              ;   in Loop: Header=BB143_3 Depth=1
	ds_load_b64 v[34:35], v50 offset:29152
	ds_load_b64 v[36:37], v46 offset:29120
	s_wait_dscnt 0x0
	v_fma_f64 v[34:35], v[34:35], v[36:37], 0
	s_and_saveexec_b32 s12, s16
	s_cbranch_execnz .LBB143_1147
; %bb.955:                              ;   in Loop: Header=BB143_3 Depth=1
	s_or_b32 exec_lo, exec_lo, s12
	s_and_saveexec_b32 s12, s17
	s_cbranch_execnz .LBB143_1148
.LBB143_956:                            ;   in Loop: Header=BB143_3 Depth=1
	s_or_b32 exec_lo, exec_lo, s12
	s_and_saveexec_b32 s12, s1
	s_cbranch_execz .LBB143_958
.LBB143_957:                            ;   in Loop: Header=BB143_3 Depth=1
	ds_load_b64 v[36:37], v73 offset:30688
	ds_load_b64 v[38:39], v5 offset:29144
	s_wait_dscnt 0x0
	v_fmac_f64_e32 v[34:35], v[36:37], v[38:39]
.LBB143_958:                            ;   in Loop: Header=BB143_3 Depth=1
	s_or_b32 exec_lo, exec_lo, s12
	s_delay_alu instid0(VALU_DEP_1)
	v_xor_b32_e32 v35, 0x80000000, v35
.LBB143_959:                            ;   in Loop: Header=BB143_3 Depth=1
	s_or_b32 exec_lo, exec_lo, s10
	s_and_saveexec_b32 s10, s94
	s_cbranch_execz .LBB143_961
; %bb.960:                              ;   in Loop: Header=BB143_3 Depth=1
	ds_load_b64 v[36:37], v5 offset:31200
	s_wait_dscnt 0x0
	v_mul_f64_e32 v[34:35], v[34:35], v[36:37]
	ds_store_b64 v49, v[34:35]
.LBB143_961:                            ;   in Loop: Header=BB143_3 Depth=1
	s_or_b32 exec_lo, exec_lo, s10
	s_wait_dscnt 0x0
	s_barrier_signal -1
	s_barrier_wait -1
	s_and_saveexec_b32 s10, s95
	s_cbranch_execz .LBB143_963
; %bb.962:                              ;   in Loop: Header=BB143_3 Depth=1
	ds_load_b64 v[36:37], v47 offset:31200
	ds_load_b64 v[38:39], v49
	s_wait_dscnt 0x0
	v_fmac_f64_e32 v[34:35], v[36:37], v[38:39]
.LBB143_963:                            ;   in Loop: Header=BB143_3 Depth=1
	s_or_b32 exec_lo, exec_lo, s10
	s_barrier_signal -1
	s_barrier_wait -1
	s_and_saveexec_b32 s10, s96
	s_cbranch_execz .LBB143_965
; %bb.964:                              ;   in Loop: Header=BB143_3 Depth=1
	ds_load_b64 v[36:37], v5 offset:31720
	s_wait_dscnt 0x0
	v_mul_f64_e32 v[34:35], v[34:35], v[36:37]
	ds_store_b64 v49, v[34:35]
.LBB143_965:                            ;   in Loop: Header=BB143_3 Depth=1
	s_or_b32 exec_lo, exec_lo, s10
	s_wait_dscnt 0x0
	s_barrier_signal -1
	s_barrier_wait -1
	s_and_saveexec_b32 s10, s97
	s_cbranch_execz .LBB143_967
; %bb.966:                              ;   in Loop: Header=BB143_3 Depth=1
	ds_load_b64 v[36:37], v47 offset:31712
	ds_load_b64 v[38:39], v49
	s_wait_dscnt 0x0
	v_fmac_f64_e32 v[34:35], v[36:37], v[38:39]
.LBB143_967:                            ;   in Loop: Header=BB143_3 Depth=1
	s_or_b32 exec_lo, exec_lo, s10
	s_barrier_signal -1
	s_barrier_wait -1
	;; [unrolled: 23-line block ×3, first 2 shown]
	s_and_saveexec_b32 s10, s99
	s_cbranch_execz .LBB143_973
; %bb.972:                              ;   in Loop: Header=BB143_3 Depth=1
	ds_load_b64 v[36:37], v5 offset:32760
	s_wait_dscnt 0x0
	v_mul_f64_e32 v[34:35], v[34:35], v[36:37]
	ds_store_b64 v49, v[34:35]
.LBB143_973:                            ;   in Loop: Header=BB143_3 Depth=1
	s_or_b32 exec_lo, exec_lo, s10
	s_wait_dscnt 0x0
	s_barrier_signal -1
	s_barrier_wait -1
	s_barrier_signal -1
	s_barrier_wait -1
	s_and_saveexec_b32 s10, s3
; %bb.974:                              ;   in Loop: Header=BB143_3 Depth=1
	s_delay_alu instid0(VALU_DEP_1)
	v_xor_b32_e32 v35, 0x80000000, v35
	ds_store_b64 v50, v[34:35] offset:29152
; %bb.975:                              ;   in Loop: Header=BB143_3 Depth=1
	s_or_b32 exec_lo, exec_lo, s10
	s_wait_dscnt 0x0
	s_barrier_signal -1
	s_barrier_wait -1
	s_barrier_signal -1
	s_barrier_wait -1
	s_and_saveexec_b32 s10, s100
	s_cbranch_execz .LBB143_977
; %bb.976:                              ;   in Loop: Header=BB143_3 Depth=1
	ds_load_b64 v[34:35], v74 offset:29152
	s_wait_dscnt 0x0
	ds_store_b64 v77, v[34:35] offset:31168
	ds_load_b64 v[34:35], v74 offset:29160
	s_wait_dscnt 0x0
	ds_store_b64 v77, v[34:35] offset:31680
	;; [unrolled: 3-line block ×4, first 2 shown]
.LBB143_977:                            ;   in Loop: Header=BB143_3 Depth=1
	s_or_b32 exec_lo, exec_lo, s10
	s_wait_dscnt 0x0
	s_barrier_signal -1
	s_barrier_wait -1
	s_and_saveexec_b32 s10, s14
	s_cbranch_execz .LBB143_979
; %bb.978:                              ;   in Loop: Header=BB143_3 Depth=1
	ds_load_b128 v[34:37], v5 offset:31200
	ds_load_b64 v[38:39], v5 offset:31720
	s_wait_dscnt 0x0
	v_mul_f64_e32 v[34:35], v[34:35], v[38:39]
	s_delay_alu instid0(VALU_DEP_1)
	v_mul_f64_e32 v[34:35], v[36:37], v[34:35]
	v_add_nc_u32_e64 v36, 0x7800, 0
	ds_store_2addr_b64 v36, v[34:35], v[34:35] offset0:61 offset1:124
.LBB143_979:                            ;   in Loop: Header=BB143_3 Depth=1
	s_or_b32 exec_lo, exec_lo, s10
	v_mov_b64_e32 v[34:35], 0
	s_wait_dscnt 0x0
	s_barrier_signal -1
	s_barrier_wait -1
	s_and_saveexec_b32 s10, s1
	s_cbranch_execz .LBB143_983
; %bb.980:                              ;   in Loop: Header=BB143_3 Depth=1
	ds_load_b64 v[34:35], v43 offset:31216
	ds_load_b64 v[36:37], v44 offset:31200
	s_wait_dscnt 0x0
	v_fma_f64 v[34:35], v[34:35], v[36:37], 0
	s_and_saveexec_b32 s12, s15
	s_cbranch_execz .LBB143_982
; %bb.981:                              ;   in Loop: Header=BB143_3 Depth=1
	ds_load_b64 v[36:37], v77 offset:31728
	ds_load_b64 v[38:39], v5 offset:31208
	s_wait_dscnt 0x0
	v_fmac_f64_e32 v[34:35], v[36:37], v[38:39]
.LBB143_982:                            ;   in Loop: Header=BB143_3 Depth=1
	s_or_b32 exec_lo, exec_lo, s12
	s_delay_alu instid0(VALU_DEP_1)
	v_xor_b32_e32 v35, 0x80000000, v35
.LBB143_983:                            ;   in Loop: Header=BB143_3 Depth=1
	s_or_b32 exec_lo, exec_lo, s10
	s_and_saveexec_b32 s10, s91
	s_cbranch_execz .LBB143_985
; %bb.984:                              ;   in Loop: Header=BB143_3 Depth=1
	ds_load_b64 v[36:37], v5 offset:32240
	s_wait_dscnt 0x0
	v_mul_f64_e32 v[34:35], v[34:35], v[36:37]
	ds_store_b64 v3, v[34:35]
.LBB143_985:                            ;   in Loop: Header=BB143_3 Depth=1
	s_or_b32 exec_lo, exec_lo, s10
	s_wait_dscnt 0x0
	s_barrier_signal -1
	s_barrier_wait -1
	s_and_saveexec_b32 s10, s92
	s_cbranch_execz .LBB143_987
; %bb.986:                              ;   in Loop: Header=BB143_3 Depth=1
	ds_load_b64 v[36:37], v5 offset:32248
	ds_load_b64 v[38:39], v3
	s_wait_dscnt 0x0
	v_fmac_f64_e32 v[34:35], v[36:37], v[38:39]
.LBB143_987:                            ;   in Loop: Header=BB143_3 Depth=1
	s_or_b32 exec_lo, exec_lo, s10
	s_barrier_signal -1
	s_barrier_wait -1
	s_and_saveexec_b32 s10, s92
	s_cbranch_execz .LBB143_989
; %bb.988:                              ;   in Loop: Header=BB143_3 Depth=1
	ds_load_b64 v[36:37], v5 offset:32760
	s_wait_dscnt 0x0
	v_mul_f64_e32 v[34:35], v[34:35], v[36:37]
	ds_store_b64 v3, v[34:35]
.LBB143_989:                            ;   in Loop: Header=BB143_3 Depth=1
	s_or_b32 exec_lo, exec_lo, s10
	s_wait_dscnt 0x0
	s_barrier_signal -1
	s_barrier_wait -1
	s_barrier_signal -1
	s_barrier_wait -1
	s_and_saveexec_b32 s10, s1
; %bb.990:                              ;   in Loop: Header=BB143_3 Depth=1
	s_delay_alu instid0(VALU_DEP_1)
	v_xor_b32_e32 v35, 0x80000000, v35
	ds_store_b64 v43, v[34:35] offset:31216
; %bb.991:                              ;   in Loop: Header=BB143_3 Depth=1
	s_or_b32 exec_lo, exec_lo, s10
	s_wait_dscnt 0x0
	s_barrier_signal -1
	s_barrier_wait -1
	s_barrier_signal -1
	s_barrier_wait -1
	s_and_saveexec_b32 s10, s93
	s_cbranch_execz .LBB143_993
; %bb.992:                              ;   in Loop: Header=BB143_3 Depth=1
	ds_load_b64 v[34:35], v79 offset:31216
	s_wait_dscnt 0x0
	ds_store_b64 v77, v[34:35] offset:32224
	ds_load_b64 v[34:35], v79 offset:31224
	s_wait_dscnt 0x0
	ds_store_b64 v77, v[34:35] offset:32736
.LBB143_993:                            ;   in Loop: Header=BB143_3 Depth=1
	s_or_b32 exec_lo, exec_lo, s10
	s_wait_dscnt 0x0
	s_barrier_signal -1
	s_barrier_wait -1
	s_and_saveexec_b32 s10, s14
	s_cbranch_execz .LBB143_995
; %bb.994:                              ;   in Loop: Header=BB143_3 Depth=1
	ds_load_b128 v[34:37], v5 offset:32240
	ds_load_b64 v[38:39], v5 offset:32760
	s_wait_dscnt 0x0
	v_mul_f64_e32 v[34:35], v[34:35], v[38:39]
	s_delay_alu instid0(VALU_DEP_1)
	v_mul_f64_e32 v[34:35], v[36:37], v[34:35]
	v_add_nc_u32_e64 v36, 0x7800, 0
	ds_store_2addr_b64 v36, v[34:35], v[34:35] offset0:191 offset1:254
.LBB143_995:                            ;   in Loop: Header=BB143_3 Depth=1
	s_or_b32 exec_lo, exec_lo, s10
.LBB143_996:                            ;   in Loop: Header=BB143_3 Depth=1
	v_add_nc_u64_e32 v[32:33], s[72:73], v[32:33]
	v_mov_b64_e32 v[34:35], 0
	s_wait_dscnt 0x0
	s_barrier_signal -1
	s_barrier_wait -1
	s_and_saveexec_b32 s10, s47
	s_cbranch_execz .LBB143_998
; %bb.997:                              ;   in Loop: Header=BB143_3 Depth=1
	v_lshl_add_u64 v[34:35], v[0:1], 3, v[32:33]
	flat_load_b64 v[34:35], v[34:35]
	s_wait_loadcnt_dscnt 0x0
	v_mul_f64_e64 v[34:35], v[34:35], -s[68:69]
.LBB143_998:                            ;   in Loop: Header=BB143_3 Depth=1
	s_or_b32 exec_lo, exec_lo, s10
	s_delay_alu instid0(SALU_CYCLE_1)
	s_and_not1_b32 vcc_lo, exec_lo, s48
	s_cbranch_vccnz .LBB143_1024
; %bb.999:                              ;   in Loop: Header=BB143_3 Depth=1
	v_mov_b32_e32 v94, -1
	s_lshl_b64 s[50:51], s[66:67], 2
	s_mov_b32 s10, 0
	s_add_nc_u64 s[84:85], s[82:83], s[50:51]
	s_branch .LBB143_1002
.LBB143_1000:                           ;   in Loop: Header=BB143_1002 Depth=2
	s_wait_xcnt 0x0
	ds_load_b64 v[36:37], v81 offset:384
	s_wait_loadcnt_dscnt 0x0
	v_fmac_f64_e32 v[34:35], v[38:39], v[36:37]
.LBB143_1001:                           ;   in Loop: Header=BB143_1002 Depth=2
	s_or_b32 exec_lo, exec_lo, s12
	s_add_co_i32 s10, s10, 1
	s_delay_alu instid0(SALU_CYCLE_1)
	s_cmp_eq_u32 s10, s86
	s_cbranch_scc1 .LBB143_1024
.LBB143_1002:                           ;   Parent Loop BB143_3 Depth=1
                                        ; =>  This Loop Header: Depth=2
                                        ;       Child Loop BB143_1004 Depth 3
	v_cmp_gt_i32_e32 vcc_lo, s10, v94
	s_and_b32 s50, s59, vcc_lo
	s_delay_alu instid0(SALU_CYCLE_1)
	s_and_saveexec_b32 s12, s50
	s_cbranch_execz .LBB143_1005
; %bb.1003:                             ;   in Loop: Header=BB143_1002 Depth=2
	global_load_b32 v94, v5, s[84:85]
	s_wait_loadcnt 0x0
	v_cmp_le_i32_e32 vcc_lo, s10, v94
	s_cbranch_vccnz .LBB143_1005
.LBB143_1004:                           ;   Parent Loop BB143_3 Depth=1
                                        ;     Parent Loop BB143_1002 Depth=2
                                        ; =>    This Inner Loop Header: Depth=3
	global_wb scope:SCOPE_DEV
	s_wait_storecnt 0x0
	global_inv scope:SCOPE_DEV
	global_load_b32 v94, v5, s[84:85]
	s_wait_loadcnt 0x0
	v_cmp_gt_i32_e32 vcc_lo, s10, v94
	s_cbranch_vccnz .LBB143_1004
.LBB143_1005:                           ;   in Loop: Header=BB143_1002 Depth=2
	s_or_b32 exec_lo, exec_lo, s12
	s_sub_co_i32 s12, s87, s10
	global_wb scope:SCOPE_DEV
	s_wait_storecnt 0x0
	global_inv scope:SCOPE_DEV
	s_lshl_b32 s50, s12, 6
	s_wait_loadcnt 0x0
	s_barrier_signal -1
	s_barrier_wait -1
	s_and_saveexec_b32 s51, s60
	s_cbranch_execz .LBB143_1009
; %bb.1006:                             ;   in Loop: Header=BB143_1002 Depth=2
	s_ashr_i32 s52, s50, 31
	v_mov_b64_e32 v[38:39], 0
	v_dual_mov_b32 v37, s52 :: v_dual_bitop2_b32 v36, s50, v4 bitop3:0x54
	s_mov_b32 s52, exec_lo
	s_delay_alu instid0(VALU_DEP_1)
	v_cmpx_gt_i64_e64 s[80:81], v[36:37]
	s_cbranch_execz .LBB143_1008
; %bb.1007:                             ;   in Loop: Header=BB143_1002 Depth=2
	v_mul_u64_e32 v[36:37], s[74:75], v[36:37]
	s_delay_alu instid0(VALU_DEP_1)
	v_lshl_add_u64 v[36:37], v[36:37], 3, v[32:33]
	flat_load_b64 v[38:39], v[36:37]
.LBB143_1008:                           ;   in Loop: Header=BB143_1002 Depth=2
	s_wait_xcnt 0x0
	s_or_b32 exec_lo, exec_lo, s52
	s_wait_loadcnt_dscnt 0x0
	ds_store_b64 v88, v[38:39]
.LBB143_1009:                           ;   in Loop: Header=BB143_1002 Depth=2
	s_or_b32 exec_lo, exec_lo, s51
	v_add_nc_u32_e32 v38, s50, v42
	s_cmp_lg_u32 s12, s49
	s_wait_dscnt 0x0
	s_cselect_b32 s50, -1, 0
	s_barrier_signal -1
	v_ashrrev_i32_e32 v39, 31, v38
	v_cmp_gt_i32_e32 vcc_lo, s80, v38
	s_barrier_wait -1
	s_delay_alu instid0(VALU_DEP_2) | instskip(SKIP_2) | instid1(SALU_CYCLE_1)
	v_lshl_add_u64 v[36:37], v[38:39], 3, v[30:31]
	v_cndmask_b32_e64 v39, 0, 1, s50
	s_and_b32 s51, vcc_lo, s0
	s_and_saveexec_b32 s12, s51
	s_cbranch_execz .LBB143_1013
; %bb.1010:                             ;   in Loop: Header=BB143_1002 Depth=2
	v_mov_b64_e32 v[40:41], v[22:23]
	s_and_not1_b32 vcc_lo, exec_lo, s50
	s_cbranch_vccnz .LBB143_1012
; %bb.1011:                             ;   in Loop: Header=BB143_1002 Depth=2
	flat_load_b64 v[40:41], v[36:37]
.LBB143_1012:                           ;   in Loop: Header=BB143_1002 Depth=2
	ds_load_b64 v[96:97], v81
	s_wait_loadcnt_dscnt 0x0
	v_fmac_f64_e32 v[34:35], v[40:41], v[96:97]
.LBB143_1013:                           ;   in Loop: Header=BB143_1002 Depth=2
	s_or_b32 exec_lo, exec_lo, s12
	v_add_nc_u32_e32 v40, 16, v38
	s_delay_alu instid0(VALU_DEP_1) | instskip(SKIP_1) | instid1(SALU_CYCLE_1)
	v_cmp_gt_i32_e32 vcc_lo, s80, v40
	s_and_b32 s50, vcc_lo, s0
	s_and_saveexec_b32 s12, s50
	s_cbranch_execz .LBB143_1017
; %bb.1014:                             ;   in Loop: Header=BB143_1002 Depth=2
	v_cmp_ne_u32_e32 vcc_lo, 1, v39
	v_mov_b64_e32 v[40:41], v[24:25]
	s_cbranch_vccnz .LBB143_1016
; %bb.1015:                             ;   in Loop: Header=BB143_1002 Depth=2
	flat_load_b64 v[40:41], v[36:37] offset:128
.LBB143_1016:                           ;   in Loop: Header=BB143_1002 Depth=2
	ds_load_b64 v[96:97], v81 offset:128
	s_wait_loadcnt_dscnt 0x0
	v_fmac_f64_e32 v[34:35], v[40:41], v[96:97]
.LBB143_1017:                           ;   in Loop: Header=BB143_1002 Depth=2
	s_or_b32 exec_lo, exec_lo, s12
	v_add_nc_u32_e32 v40, 32, v38
	s_delay_alu instid0(VALU_DEP_1) | instskip(SKIP_1) | instid1(SALU_CYCLE_1)
	v_cmp_gt_i32_e32 vcc_lo, s80, v40
	s_and_b32 s50, vcc_lo, s0
	s_and_saveexec_b32 s12, s50
	s_cbranch_execz .LBB143_1021
; %bb.1018:                             ;   in Loop: Header=BB143_1002 Depth=2
	v_cmp_ne_u32_e32 vcc_lo, 1, v39
	v_mov_b64_e32 v[40:41], v[26:27]
	s_cbranch_vccnz .LBB143_1020
; %bb.1019:                             ;   in Loop: Header=BB143_1002 Depth=2
	flat_load_b64 v[40:41], v[36:37] offset:256
.LBB143_1020:                           ;   in Loop: Header=BB143_1002 Depth=2
	ds_load_b64 v[96:97], v81 offset:256
	s_wait_loadcnt_dscnt 0x0
	v_fmac_f64_e32 v[34:35], v[40:41], v[96:97]
.LBB143_1021:                           ;   in Loop: Header=BB143_1002 Depth=2
	s_or_b32 exec_lo, exec_lo, s12
	v_add_nc_u32_e32 v38, 48, v38
	s_delay_alu instid0(VALU_DEP_1) | instskip(SKIP_1) | instid1(SALU_CYCLE_1)
	v_cmp_gt_i32_e32 vcc_lo, s80, v38
	s_and_b32 s50, vcc_lo, s0
	s_and_saveexec_b32 s12, s50
	s_cbranch_execz .LBB143_1001
; %bb.1022:                             ;   in Loop: Header=BB143_1002 Depth=2
	v_cmp_ne_u32_e32 vcc_lo, 1, v39
	v_mov_b64_e32 v[38:39], v[28:29]
	s_cbranch_vccnz .LBB143_1000
; %bb.1023:                             ;   in Loop: Header=BB143_1002 Depth=2
	flat_load_b64 v[38:39], v[36:37] offset:384
	s_branch .LBB143_1000
.LBB143_1024:                           ;   in Loop: Header=BB143_3 Depth=1
	ds_store_b64 v89, v[34:35]
	s_wait_dscnt 0x0
	s_barrier_signal -1
	s_barrier_wait -1
	s_and_saveexec_b32 s10, s2
	s_cbranch_execz .LBB143_1026
; %bb.1025:                             ;   in Loop: Header=BB143_3 Depth=1
	ds_load_2addr_stride64_b64 v[36:39], v90 offset0:1 offset1:2
	ds_load_2addr_stride64_b64 v[94:97], v90 offset0:3 offset1:4
	s_wait_dscnt 0x1
	v_add_f64_e32 v[30:31], v[34:35], v[36:37]
	s_delay_alu instid0(VALU_DEP_1) | instskip(SKIP_4) | instid1(VALU_DEP_1)
	v_add_f64_e32 v[30:31], v[30:31], v[38:39]
	ds_load_2addr_stride64_b64 v[34:37], v90 offset0:5 offset1:6
	ds_load_2addr_stride64_b64 v[38:41], v90 offset0:7 offset1:8
	s_wait_dscnt 0x2
	v_add_f64_e32 v[30:31], v[30:31], v[94:95]
	v_add_f64_e32 v[30:31], v[30:31], v[96:97]
	s_wait_dscnt 0x1
	s_delay_alu instid0(VALU_DEP_1) | instskip(NEXT) | instid1(VALU_DEP_1)
	v_add_f64_e32 v[30:31], v[30:31], v[34:35]
	v_add_f64_e32 v[30:31], v[30:31], v[36:37]
	s_wait_dscnt 0x0
	s_delay_alu instid0(VALU_DEP_1) | instskip(NEXT) | instid1(VALU_DEP_1)
	v_add_f64_e32 v[30:31], v[30:31], v[38:39]
	v_add_f64_e32 v[30:31], v[30:31], v[40:41]
	ds_load_2addr_stride64_b64 v[34:37], v90 offset0:9 offset1:10
	ds_load_2addr_stride64_b64 v[38:41], v90 offset0:11 offset1:12
	s_wait_dscnt 0x1
	v_add_f64_e32 v[30:31], v[30:31], v[34:35]
	s_delay_alu instid0(VALU_DEP_1) | instskip(SKIP_1) | instid1(VALU_DEP_1)
	v_add_f64_e32 v[30:31], v[30:31], v[36:37]
	s_wait_dscnt 0x0
	v_add_f64_e32 v[30:31], v[30:31], v[38:39]
	ds_load_2addr_stride64_b64 v[34:37], v90 offset0:13 offset1:14
	ds_load_b64 v[38:39], v90 offset:7680
	v_add_f64_e32 v[30:31], v[30:31], v[40:41]
	s_wait_dscnt 0x1
	s_delay_alu instid0(VALU_DEP_1) | instskip(NEXT) | instid1(VALU_DEP_1)
	v_add_f64_e32 v[30:31], v[30:31], v[34:35]
	v_add_f64_e32 v[30:31], v[30:31], v[36:37]
	s_wait_dscnt 0x0
	s_delay_alu instid0(VALU_DEP_1) | instskip(NEXT) | instid1(VALU_DEP_1)
	v_add_f64_e32 v[30:31], v[30:31], v[38:39]
	v_xor_b32_e32 v31, 0x80000000, v31
	s_delay_alu instid0(VALU_DEP_2) | instskip(NEXT) | instid1(VALU_DEP_2)
	v_cndmask_b32_e64 v34, v30, 0, s46
	v_cndmask_b32_e64 v35, v31, 0, s46
.LBB143_1026:                           ;   in Loop: Header=BB143_3 Depth=1
	s_or_b32 exec_lo, exec_lo, s10
	s_delay_alu instid0(SALU_CYCLE_1)
	s_and_not1_b32 vcc_lo, exec_lo, s90
	s_cbranch_vccnz .LBB143_1036
; %bb.1027:                             ;   in Loop: Header=BB143_3 Depth=1
	s_and_saveexec_b32 s10, s2
; %bb.1028:                             ;   in Loop: Header=BB143_3 Depth=1
	ds_store_b64 v92, v[34:35]
; %bb.1029:                             ;   in Loop: Header=BB143_3 Depth=1
	s_or_b32 exec_lo, exec_lo, s10
	v_mov_b64_e32 v[30:31], 0
	s_wait_dscnt 0x0
	s_barrier_signal -1
	s_barrier_wait -1
	s_and_saveexec_b32 s10, s6
	s_cbranch_execnz .LBB143_1092
; %bb.1030:                             ;   in Loop: Header=BB143_3 Depth=1
	s_or_b32 exec_lo, exec_lo, s10
	s_and_saveexec_b32 s10, s7
	s_cbranch_execnz .LBB143_1093
.LBB143_1031:                           ;   in Loop: Header=BB143_3 Depth=1
	s_or_b32 exec_lo, exec_lo, s10
	s_and_saveexec_b32 s10, s8
	s_cbranch_execnz .LBB143_1094
.LBB143_1032:                           ;   in Loop: Header=BB143_3 Depth=1
	s_or_b32 exec_lo, exec_lo, s10
	s_and_saveexec_b32 s10, s9
	s_cbranch_execz .LBB143_1034
.LBB143_1033:                           ;   in Loop: Header=BB143_3 Depth=1
	ds_load_b64 v[36:37], v91 offset:24576
	ds_load_b64 v[38:39], v81 offset:384
	s_wait_dscnt 0x0
	v_fmac_f64_e32 v[30:31], v[36:37], v[38:39]
.LBB143_1034:                           ;   in Loop: Header=BB143_3 Depth=1
	s_or_b32 exec_lo, exec_lo, s10
	s_mov_b32 s10, 0
	s_mov_b32 s84, 0
	ds_store_b64 v89, v[30:31]
	s_wait_dscnt 0x0
	s_barrier_signal -1
	s_barrier_wait -1
                                        ; implicit-def: $vgpr36_vgpr37
	s_and_saveexec_b32 s85, s2
	s_cbranch_execz .LBB143_1095
; %bb.1035:                             ;   in Loop: Header=BB143_3 Depth=1
	ds_load_2addr_stride64_b64 v[36:39], v90 offset0:1 offset1:2
	ds_load_2addr_stride64_b64 v[94:97], v90 offset0:3 offset1:4
	s_mov_b32 s84, exec_lo
	s_wait_dscnt 0x1
	v_add_f64_e32 v[30:31], v[30:31], v[36:37]
	s_delay_alu instid0(VALU_DEP_1) | instskip(SKIP_1) | instid1(VALU_DEP_1)
	v_add_f64_e32 v[30:31], v[38:39], v[30:31]
	s_wait_dscnt 0x0
	v_add_f64_e32 v[30:31], v[94:95], v[30:31]
	s_delay_alu instid0(VALU_DEP_1) | instskip(SKIP_4) | instid1(VALU_DEP_1)
	v_add_f64_e32 v[30:31], v[96:97], v[30:31]
	ds_load_2addr_stride64_b64 v[36:39], v90 offset0:5 offset1:6
	ds_load_2addr_stride64_b64 v[94:97], v90 offset0:7 offset1:8
	s_wait_dscnt 0x1
	v_add_f64_e32 v[30:31], v[36:37], v[30:31]
	v_add_f64_e32 v[30:31], v[38:39], v[30:31]
	s_wait_dscnt 0x0
	s_delay_alu instid0(VALU_DEP_1) | instskip(NEXT) | instid1(VALU_DEP_1)
	v_add_f64_e32 v[30:31], v[94:95], v[30:31]
	v_add_f64_e32 v[30:31], v[96:97], v[30:31]
	ds_load_2addr_stride64_b64 v[36:39], v90 offset0:9 offset1:10
	ds_load_2addr_stride64_b64 v[94:97], v90 offset0:11 offset1:12
	s_wait_dscnt 0x1
	v_add_f64_e32 v[30:31], v[36:37], v[30:31]
	s_delay_alu instid0(VALU_DEP_1) | instskip(SKIP_4) | instid1(VALU_DEP_1)
	v_add_f64_e32 v[30:31], v[38:39], v[30:31]
	ds_load_2addr_stride64_b64 v[36:39], v90 offset0:13 offset1:14
	ds_load_b64 v[40:41], v90 offset:7680
	s_wait_dscnt 0x2
	v_add_f64_e32 v[30:31], v[94:95], v[30:31]
	v_add_f64_e32 v[30:31], v[96:97], v[30:31]
	s_wait_dscnt 0x1
	s_delay_alu instid0(VALU_DEP_1) | instskip(NEXT) | instid1(VALU_DEP_1)
	v_add_f64_e32 v[30:31], v[36:37], v[30:31]
	v_add_f64_e32 v[30:31], v[38:39], v[30:31]
	s_wait_dscnt 0x0
	s_delay_alu instid0(VALU_DEP_1) | instskip(SKIP_1) | instid1(SALU_CYCLE_1)
	v_add_f64_e32 v[36:37], v[40:41], v[30:31]
	s_or_b32 exec_lo, exec_lo, s85
	s_and_b32 vcc_lo, exec_lo, s10
	s_cbranch_vccnz .LBB143_1037
	s_branch .LBB143_1096
.LBB143_1036:                           ;   in Loop: Header=BB143_3 Depth=1
	s_mov_b32 s84, 0
                                        ; implicit-def: $vgpr36_vgpr37
	s_cbranch_execz .LBB143_1096
.LBB143_1037:                           ;   in Loop: Header=BB143_3 Depth=1
	v_dual_mov_b32 v30, v93 :: v_dual_mov_b32 v31, v85
	s_mov_b32 s10, 63
	s_branch .LBB143_1039
.LBB143_1038:                           ;   in Loop: Header=BB143_1039 Depth=2
	s_or_b32 exec_lo, exec_lo, s12
	v_add_nc_u32_e32 v31, 0xfffff800, v31
	v_add_nc_u32_e32 v30, 4, v30
	s_add_co_i32 s10, s10, -4
	s_cmp_lg_u32 s85, 0
	s_barrier_signal -1
	s_barrier_wait -1
	s_cbranch_scc0 .LBB143_1055
.LBB143_1039:                           ;   Parent Loop BB143_3 Depth=1
                                        ; =>  This Inner Loop Header: Depth=2
	s_delay_alu instid0(VALU_DEP_1) | instskip(SKIP_2) | instid1(SALU_CYCLE_1)
	v_cmp_eq_u32_e32 vcc_lo, 0, v30
	v_add_nc_u32_e32 v36, v79, v45
	s_and_b32 s50, s2, vcc_lo
	s_and_saveexec_b32 s12, s50
	s_cbranch_execz .LBB143_1041
; %bb.1040:                             ;   in Loop: Header=BB143_1039 Depth=2
	ds_load_b64 v[38:39], v36
	s_wait_dscnt 0x0
	v_mul_f64_e32 v[34:35], v[34:35], v[38:39]
	ds_store_b64 v5, v[34:35] offset:41472
.LBB143_1041:                           ;   in Loop: Header=BB143_1039 Depth=2
	s_or_b32 exec_lo, exec_lo, s12
	v_cmp_gt_u32_e32 vcc_lo, s10, v2
	s_wait_dscnt 0x0
	s_barrier_signal -1
	s_barrier_wait -1
	s_and_b32 s50, s2, vcc_lo
	s_delay_alu instid0(SALU_CYCLE_1)
	s_and_saveexec_b32 s12, s50
	s_cbranch_execz .LBB143_1043
; %bb.1042:                             ;   in Loop: Header=BB143_1039 Depth=2
	ds_load_b64 v[38:39], v31 offset:1536
	ds_load_b64 v[40:41], v5 offset:41472
	s_wait_dscnt 0x0
	v_fmac_f64_e32 v[34:35], v[38:39], v[40:41]
.LBB143_1043:                           ;   in Loop: Header=BB143_1039 Depth=2
	s_or_b32 exec_lo, exec_lo, s12
	s_add_co_i32 s12, s10, -1
	s_delay_alu instid0(SALU_CYCLE_1) | instskip(SKIP_3) | instid1(SALU_CYCLE_1)
	v_cmp_eq_u32_e32 vcc_lo, s12, v2
	s_barrier_signal -1
	s_barrier_wait -1
	s_and_b32 s51, s2, vcc_lo
	s_and_saveexec_b32 s50, s51
	s_cbranch_execz .LBB143_1045
; %bb.1044:                             ;   in Loop: Header=BB143_1039 Depth=2
	ds_load_b64 v[38:39], v36
	s_wait_dscnt 0x0
	v_mul_f64_e32 v[34:35], v[34:35], v[38:39]
	ds_store_b64 v5, v[34:35] offset:41472
.LBB143_1045:                           ;   in Loop: Header=BB143_1039 Depth=2
	s_or_b32 exec_lo, exec_lo, s50
	v_cmp_gt_u32_e32 vcc_lo, s12, v2
	s_wait_dscnt 0x0
	s_barrier_signal -1
	s_barrier_wait -1
	s_and_b32 s50, s2, vcc_lo
	s_delay_alu instid0(SALU_CYCLE_1)
	s_and_saveexec_b32 s12, s50
	s_cbranch_execz .LBB143_1047
; %bb.1046:                             ;   in Loop: Header=BB143_1039 Depth=2
	ds_load_b64 v[38:39], v31 offset:1024
	ds_load_b64 v[40:41], v5 offset:41472
	s_wait_dscnt 0x0
	v_fmac_f64_e32 v[34:35], v[38:39], v[40:41]
.LBB143_1047:                           ;   in Loop: Header=BB143_1039 Depth=2
	s_or_b32 exec_lo, exec_lo, s12
	s_add_co_i32 s12, s10, -2
	s_delay_alu instid0(SALU_CYCLE_1) | instskip(SKIP_3) | instid1(SALU_CYCLE_1)
	v_cmp_eq_u32_e32 vcc_lo, s12, v2
	s_barrier_signal -1
	s_barrier_wait -1
	;; [unrolled: 30-line block ×3, first 2 shown]
	s_and_b32 s50, s2, vcc_lo
	s_and_saveexec_b32 s12, s50
	s_cbranch_execz .LBB143_1053
; %bb.1052:                             ;   in Loop: Header=BB143_1039 Depth=2
	ds_load_b64 v[36:37], v36
	s_wait_dscnt 0x0
	v_mul_f64_e32 v[34:35], v[34:35], v[36:37]
	ds_store_b64 v5, v[34:35] offset:41472
.LBB143_1053:                           ;   in Loop: Header=BB143_1039 Depth=2
	s_or_b32 exec_lo, exec_lo, s12
	v_cmp_gt_u32_e32 vcc_lo, s85, v2
	s_wait_dscnt 0x0
	s_barrier_signal -1
	s_barrier_wait -1
	s_and_b32 s50, s2, vcc_lo
	s_delay_alu instid0(SALU_CYCLE_1)
	s_and_saveexec_b32 s12, s50
	s_cbranch_execz .LBB143_1038
; %bb.1054:                             ;   in Loop: Header=BB143_1039 Depth=2
	ds_load_b64 v[36:37], v31
	ds_load_b64 v[38:39], v5 offset:41472
	s_wait_dscnt 0x0
	v_fmac_f64_e32 v[34:35], v[36:37], v[38:39]
	s_branch .LBB143_1038
.LBB143_1055:                           ;   in Loop: Header=BB143_3 Depth=1
	s_and_b32 vcc_lo, exec_lo, s88
	s_mov_b32 s10, -1
	s_cbranch_vccnz .LBB143_1097
; %bb.1056:                             ;   in Loop: Header=BB143_3 Depth=1
	s_and_not1_b32 vcc_lo, exec_lo, s10
	s_cbranch_vccz .LBB143_1098
.LBB143_1057:                           ;   in Loop: Header=BB143_3 Depth=1
	s_and_saveexec_b32 s10, s84
	s_cbranch_execz .LBB143_1059
.LBB143_1058:                           ;   in Loop: Header=BB143_3 Depth=1
	v_lshl_add_u64 v[30:31], v[18:19], 3, v[32:33]
	flat_store_b64 v[30:31], v[34:35]
.LBB143_1059:                           ;   in Loop: Header=BB143_3 Depth=1
	s_wait_xcnt 0x0
	s_or_b32 exec_lo, exec_lo, s10
	global_wb scope:SCOPE_DEV
	s_wait_storecnt_dscnt 0x0
	global_inv scope:SCOPE_DEV
	s_wait_loadcnt 0x0
	s_barrier_signal -1
	s_barrier_wait -1
	s_and_saveexec_b32 s10, s59
	s_cbranch_execz .LBB143_2
; %bb.1060:                             ;   in Loop: Header=BB143_3 Depth=1
	s_lshl_b64 s[50:51], s[66:67], 2
	s_delay_alu instid0(SALU_CYCLE_1)
	s_add_nc_u64 s[50:51], s[82:83], s[50:51]
	global_load_b32 v30, v5, s[50:51]
	s_wait_loadcnt 0x0
	v_add_nc_u32_e32 v30, 1, v30
	global_store_b32 v5, v30, s[50:51]
	s_branch .LBB143_2
.LBB143_1061:                           ;   in Loop: Header=BB143_3 Depth=1
	s_mov_b32 s12, exec_lo
	v_readlane_b32 s50, v100, 19
	s_and_b32 s50, s12, s50
	s_delay_alu instid0(SALU_CYCLE_1)
	s_xor_b32 s12, s50, s12
	s_mov_b32 exec_lo, s50
	s_cbranch_execz .LBB143_1065
; %bb.1062:                             ;   in Loop: Header=BB143_3 Depth=1
	s_mov_b32 s50, exec_lo
	v_readlane_b32 s51, v99, 29
	s_and_b32 s51, s50, s51
	s_delay_alu instid0(SALU_CYCLE_1)
	s_mov_b32 exec_lo, s51
; %bb.1063:                             ;   in Loop: Header=BB143_3 Depth=1
	ds_store_b64 v75, v[20:21]
; %bb.1064:                             ;   in Loop: Header=BB143_3 Depth=1
	s_or_b32 exec_lo, exec_lo, s50
.LBB143_1065:                           ;   in Loop: Header=BB143_3 Depth=1
	s_and_not1_saveexec_b32 s12, s12
	s_cbranch_execz .LBB143_1067
; %bb.1066:                             ;   in Loop: Header=BB143_3 Depth=1
	v_lshl_add_u64 v[36:37], v[10:11], 3, v[34:35]
	flat_load_b64 v[36:37], v[36:37]
	s_wait_loadcnt_dscnt 0x0
	v_div_scale_f64 v[38:39], null, v[36:37], v[36:37], 1.0
	s_delay_alu instid0(VALU_DEP_1) | instskip(SKIP_1) | instid1(TRANS32_DEP_1)
	v_rcp_f64_e32 v[40:41], v[38:39]
	v_nop
	v_fma_f64 v[94:95], -v[38:39], v[40:41], 1.0
	s_delay_alu instid0(VALU_DEP_1) | instskip(NEXT) | instid1(VALU_DEP_1)
	v_fmac_f64_e32 v[40:41], v[40:41], v[94:95]
	v_fma_f64 v[94:95], -v[38:39], v[40:41], 1.0
	s_delay_alu instid0(VALU_DEP_1) | instskip(SKIP_1) | instid1(VALU_DEP_1)
	v_fmac_f64_e32 v[40:41], v[40:41], v[94:95]
	v_div_scale_f64 v[94:95], vcc_lo, 1.0, v[36:37], 1.0
	v_mul_f64_e32 v[96:97], v[94:95], v[40:41]
	s_delay_alu instid0(VALU_DEP_1) | instskip(NEXT) | instid1(VALU_DEP_1)
	v_fma_f64 v[38:39], -v[38:39], v[96:97], v[94:95]
	v_div_fmas_f64 v[38:39], v[38:39], v[40:41], v[96:97]
	s_delay_alu instid0(VALU_DEP_1)
	v_div_fixup_f64 v[36:37], v[38:39], v[36:37], 1.0
	ds_store_b64 v75, v[36:37]
.LBB143_1067:                           ;   in Loop: Header=BB143_3 Depth=1
	s_or_b32 exec_lo, exec_lo, s12
	s_and_not1_saveexec_b32 s10, s10
	s_cbranch_execz .LBB143_16
.LBB143_1068:                           ;   in Loop: Header=BB143_3 Depth=1
	v_lshl_add_u64 v[36:37], v[10:11], 3, v[34:35]
	flat_load_b64 v[36:37], v[36:37]
	s_wait_loadcnt_dscnt 0x0
	v_xor_b32_e32 v37, 0x80000000, v37
	ds_store_b64 v75, v[36:37]
	s_or_b32 exec_lo, exec_lo, s10
	s_and_saveexec_b32 s10, s7
	s_delay_alu instid0(SALU_CYCLE_1)
	s_xor_b32 s10, exec_lo, s10
	s_cbranch_execz .LBB143_17
.LBB143_1069:                           ;   in Loop: Header=BB143_3 Depth=1
	s_mov_b32 s12, exec_lo
	v_readlane_b32 s50, v100, 21
	s_and_b32 s50, s12, s50
	s_delay_alu instid0(SALU_CYCLE_1)
	s_xor_b32 s12, s50, s12
	s_mov_b32 exec_lo, s50
	s_cbranch_execz .LBB143_1073
; %bb.1070:                             ;   in Loop: Header=BB143_3 Depth=1
	s_mov_b32 s50, exec_lo
	v_readlane_b32 s51, v99, 30
	s_and_b32 s51, s50, s51
	s_delay_alu instid0(SALU_CYCLE_1)
	s_mov_b32 exec_lo, s51
; %bb.1071:                             ;   in Loop: Header=BB143_3 Depth=1
	ds_store_b64 v76, v[20:21]
; %bb.1072:                             ;   in Loop: Header=BB143_3 Depth=1
	s_or_b32 exec_lo, exec_lo, s50
.LBB143_1073:                           ;   in Loop: Header=BB143_3 Depth=1
	s_and_not1_saveexec_b32 s12, s12
	s_cbranch_execz .LBB143_1075
; %bb.1074:                             ;   in Loop: Header=BB143_3 Depth=1
	v_lshl_add_u64 v[36:37], v[12:13], 3, v[34:35]
	flat_load_b64 v[36:37], v[36:37]
	s_wait_loadcnt_dscnt 0x0
	v_div_scale_f64 v[38:39], null, v[36:37], v[36:37], 1.0
	s_delay_alu instid0(VALU_DEP_1) | instskip(SKIP_1) | instid1(TRANS32_DEP_1)
	v_rcp_f64_e32 v[40:41], v[38:39]
	v_nop
	v_fma_f64 v[94:95], -v[38:39], v[40:41], 1.0
	s_delay_alu instid0(VALU_DEP_1) | instskip(NEXT) | instid1(VALU_DEP_1)
	v_fmac_f64_e32 v[40:41], v[40:41], v[94:95]
	v_fma_f64 v[94:95], -v[38:39], v[40:41], 1.0
	s_delay_alu instid0(VALU_DEP_1) | instskip(SKIP_1) | instid1(VALU_DEP_1)
	v_fmac_f64_e32 v[40:41], v[40:41], v[94:95]
	v_div_scale_f64 v[94:95], vcc_lo, 1.0, v[36:37], 1.0
	v_mul_f64_e32 v[96:97], v[94:95], v[40:41]
	s_delay_alu instid0(VALU_DEP_1) | instskip(NEXT) | instid1(VALU_DEP_1)
	v_fma_f64 v[38:39], -v[38:39], v[96:97], v[94:95]
	v_div_fmas_f64 v[38:39], v[38:39], v[40:41], v[96:97]
	s_delay_alu instid0(VALU_DEP_1)
	v_div_fixup_f64 v[36:37], v[38:39], v[36:37], 1.0
	ds_store_b64 v76, v[36:37]
.LBB143_1075:                           ;   in Loop: Header=BB143_3 Depth=1
	s_or_b32 exec_lo, exec_lo, s12
	s_and_not1_saveexec_b32 s10, s10
	s_cbranch_execz .LBB143_18
.LBB143_1076:                           ;   in Loop: Header=BB143_3 Depth=1
	v_lshl_add_u64 v[36:37], v[12:13], 3, v[34:35]
	flat_load_b64 v[36:37], v[36:37]
	s_wait_loadcnt_dscnt 0x0
	v_xor_b32_e32 v37, 0x80000000, v37
	ds_store_b64 v76, v[36:37]
	s_or_b32 exec_lo, exec_lo, s10
	s_and_saveexec_b32 s10, s8
	s_delay_alu instid0(SALU_CYCLE_1)
	s_xor_b32 s10, exec_lo, s10
	s_cbranch_execz .LBB143_19
.LBB143_1077:                           ;   in Loop: Header=BB143_3 Depth=1
	s_mov_b32 s12, exec_lo
	v_readlane_b32 s50, v100, 23
	s_and_b32 s50, s12, s50
	s_delay_alu instid0(SALU_CYCLE_1)
	s_xor_b32 s12, s50, s12
	s_mov_b32 exec_lo, s50
	s_cbranch_execz .LBB143_1081
; %bb.1078:                             ;   in Loop: Header=BB143_3 Depth=1
	s_mov_b32 s50, exec_lo
	v_readlane_b32 s51, v99, 31
	s_and_b32 s51, s50, s51
	s_delay_alu instid0(SALU_CYCLE_1)
	s_mov_b32 exec_lo, s51
; %bb.1079:                             ;   in Loop: Header=BB143_3 Depth=1
	ds_store_b64 v78, v[20:21]
; %bb.1080:                             ;   in Loop: Header=BB143_3 Depth=1
	s_or_b32 exec_lo, exec_lo, s50
.LBB143_1081:                           ;   in Loop: Header=BB143_3 Depth=1
	s_and_not1_saveexec_b32 s12, s12
	s_cbranch_execz .LBB143_1083
; %bb.1082:                             ;   in Loop: Header=BB143_3 Depth=1
	v_lshl_add_u64 v[36:37], v[14:15], 3, v[34:35]
	flat_load_b64 v[36:37], v[36:37]
	s_wait_loadcnt_dscnt 0x0
	v_div_scale_f64 v[38:39], null, v[36:37], v[36:37], 1.0
	s_delay_alu instid0(VALU_DEP_1) | instskip(SKIP_1) | instid1(TRANS32_DEP_1)
	v_rcp_f64_e32 v[40:41], v[38:39]
	v_nop
	v_fma_f64 v[94:95], -v[38:39], v[40:41], 1.0
	s_delay_alu instid0(VALU_DEP_1) | instskip(NEXT) | instid1(VALU_DEP_1)
	v_fmac_f64_e32 v[40:41], v[40:41], v[94:95]
	v_fma_f64 v[94:95], -v[38:39], v[40:41], 1.0
	s_delay_alu instid0(VALU_DEP_1) | instskip(SKIP_1) | instid1(VALU_DEP_1)
	v_fmac_f64_e32 v[40:41], v[40:41], v[94:95]
	v_div_scale_f64 v[94:95], vcc_lo, 1.0, v[36:37], 1.0
	v_mul_f64_e32 v[96:97], v[94:95], v[40:41]
	s_delay_alu instid0(VALU_DEP_1) | instskip(NEXT) | instid1(VALU_DEP_1)
	v_fma_f64 v[38:39], -v[38:39], v[96:97], v[94:95]
	v_div_fmas_f64 v[38:39], v[38:39], v[40:41], v[96:97]
	s_delay_alu instid0(VALU_DEP_1)
	v_div_fixup_f64 v[36:37], v[38:39], v[36:37], 1.0
	ds_store_b64 v78, v[36:37]
.LBB143_1083:                           ;   in Loop: Header=BB143_3 Depth=1
	s_or_b32 exec_lo, exec_lo, s12
	s_and_not1_saveexec_b32 s10, s10
	s_cbranch_execz .LBB143_20
.LBB143_1084:                           ;   in Loop: Header=BB143_3 Depth=1
	v_lshl_add_u64 v[36:37], v[14:15], 3, v[34:35]
	flat_load_b64 v[36:37], v[36:37]
	s_wait_loadcnt_dscnt 0x0
	v_xor_b32_e32 v37, 0x80000000, v37
	ds_store_b64 v78, v[36:37]
	s_or_b32 exec_lo, exec_lo, s10
	s_and_saveexec_b32 s10, s9
	s_delay_alu instid0(SALU_CYCLE_1)
	s_xor_b32 s10, exec_lo, s10
	s_cbranch_execz .LBB143_21
.LBB143_1085:                           ;   in Loop: Header=BB143_3 Depth=1
	s_mov_b32 s12, exec_lo
	v_readlane_b32 s50, v100, 25
	s_and_b32 s50, s12, s50
	s_delay_alu instid0(SALU_CYCLE_1)
	s_xor_b32 s12, s50, s12
	s_mov_b32 exec_lo, s50
	s_cbranch_execz .LBB143_1089
; %bb.1086:                             ;   in Loop: Header=BB143_3 Depth=1
	s_mov_b32 s50, exec_lo
	v_readlane_b32 s51, v98, 0
	s_and_b32 s51, s50, s51
	s_delay_alu instid0(SALU_CYCLE_1)
	s_mov_b32 exec_lo, s51
; %bb.1087:                             ;   in Loop: Header=BB143_3 Depth=1
	ds_store_b64 v80, v[20:21]
; %bb.1088:                             ;   in Loop: Header=BB143_3 Depth=1
	s_or_b32 exec_lo, exec_lo, s50
.LBB143_1089:                           ;   in Loop: Header=BB143_3 Depth=1
	s_and_not1_saveexec_b32 s12, s12
	s_cbranch_execz .LBB143_1091
; %bb.1090:                             ;   in Loop: Header=BB143_3 Depth=1
	v_lshl_add_u64 v[36:37], v[16:17], 3, v[34:35]
	flat_load_b64 v[36:37], v[36:37]
	s_wait_loadcnt_dscnt 0x0
	v_div_scale_f64 v[38:39], null, v[36:37], v[36:37], 1.0
	s_delay_alu instid0(VALU_DEP_1) | instskip(SKIP_1) | instid1(TRANS32_DEP_1)
	v_rcp_f64_e32 v[40:41], v[38:39]
	v_nop
	v_fma_f64 v[94:95], -v[38:39], v[40:41], 1.0
	s_delay_alu instid0(VALU_DEP_1) | instskip(NEXT) | instid1(VALU_DEP_1)
	v_fmac_f64_e32 v[40:41], v[40:41], v[94:95]
	v_fma_f64 v[94:95], -v[38:39], v[40:41], 1.0
	s_delay_alu instid0(VALU_DEP_1) | instskip(SKIP_1) | instid1(VALU_DEP_1)
	v_fmac_f64_e32 v[40:41], v[40:41], v[94:95]
	v_div_scale_f64 v[94:95], vcc_lo, 1.0, v[36:37], 1.0
	v_mul_f64_e32 v[96:97], v[94:95], v[40:41]
	s_delay_alu instid0(VALU_DEP_1) | instskip(NEXT) | instid1(VALU_DEP_1)
	v_fma_f64 v[38:39], -v[38:39], v[96:97], v[94:95]
	v_div_fmas_f64 v[38:39], v[38:39], v[40:41], v[96:97]
	s_delay_alu instid0(VALU_DEP_1)
	v_div_fixup_f64 v[36:37], v[38:39], v[36:37], 1.0
	ds_store_b64 v80, v[36:37]
.LBB143_1091:                           ;   in Loop: Header=BB143_3 Depth=1
	s_or_b32 exec_lo, exec_lo, s12
	s_and_not1_saveexec_b32 s10, s10
	s_cbranch_execnz .LBB143_22
	s_branch .LBB143_23
.LBB143_1092:                           ;   in Loop: Header=BB143_3 Depth=1
	ds_load_b64 v[30:31], v91
	ds_load_b64 v[36:37], v81
	s_wait_dscnt 0x0
	v_fma_f64 v[30:31], v[30:31], v[36:37], 0
	s_or_b32 exec_lo, exec_lo, s10
	s_and_saveexec_b32 s10, s7
	s_cbranch_execz .LBB143_1031
.LBB143_1093:                           ;   in Loop: Header=BB143_3 Depth=1
	ds_load_b64 v[36:37], v91 offset:8192
	ds_load_b64 v[38:39], v81 offset:128
	s_wait_dscnt 0x0
	v_fmac_f64_e32 v[30:31], v[36:37], v[38:39]
	s_or_b32 exec_lo, exec_lo, s10
	s_and_saveexec_b32 s10, s8
	s_cbranch_execz .LBB143_1032
.LBB143_1094:                           ;   in Loop: Header=BB143_3 Depth=1
	ds_load_b64 v[36:37], v91 offset:16384
	ds_load_b64 v[38:39], v81 offset:256
	s_wait_dscnt 0x0
	v_fmac_f64_e32 v[30:31], v[36:37], v[38:39]
	s_or_b32 exec_lo, exec_lo, s10
	s_and_saveexec_b32 s10, s9
	s_cbranch_execnz .LBB143_1033
	s_branch .LBB143_1034
.LBB143_1095:                           ;   in Loop: Header=BB143_3 Depth=1
	s_or_b32 exec_lo, exec_lo, s85
	s_delay_alu instid0(SALU_CYCLE_1)
	s_and_b32 vcc_lo, exec_lo, s10
	s_cbranch_vccnz .LBB143_1037
.LBB143_1096:                           ;   in Loop: Header=BB143_3 Depth=1
	s_delay_alu instid0(VALU_DEP_1)
	v_mov_b64_e32 v[34:35], v[36:37]
	s_and_saveexec_b32 s10, s84
	s_cbranch_execnz .LBB143_1058
	s_branch .LBB143_1059
.LBB143_1097:                           ;   in Loop: Header=BB143_3 Depth=1
	s_and_not1_b32 s12, s84, exec_lo
	s_and_b32 s50, s2, exec_lo
	s_delay_alu instid0(SALU_CYCLE_1)
	s_or_b32 s84, s12, s50
	s_cbranch_execnz .LBB143_1057
.LBB143_1098:                           ;   in Loop: Header=BB143_3 Depth=1
	v_readlane_b32 s12, v100, 10
	s_and_not1_b32 s10, s84, exec_lo
	s_and_b32 s12, s12, exec_lo
	s_delay_alu instid0(SALU_CYCLE_1) | instskip(NEXT) | instid1(SALU_CYCLE_1)
	s_or_b32 s84, s10, s12
	s_and_saveexec_b32 s10, s84
	s_cbranch_execnz .LBB143_1058
	s_branch .LBB143_1059
.LBB143_1099:                           ;   in Loop: Header=BB143_3 Depth=1
	ds_load_b64 v[36:37], v51 offset:544
	ds_load_b64 v[38:39], v46 offset:8
	s_wait_dscnt 0x0
	v_fmac_f64_e32 v[34:35], v[36:37], v[38:39]
	s_or_b32 exec_lo, exec_lo, s12
	s_and_saveexec_b32 s12, s17
	s_cbranch_execz .LBB143_88
.LBB143_1100:                           ;   in Loop: Header=BB143_3 Depth=1
	ds_load_b64 v[36:37], v50 offset:1056
	ds_load_b64 v[38:39], v46 offset:16
	s_wait_dscnt 0x0
	v_fmac_f64_e32 v[34:35], v[36:37], v[38:39]
	s_or_b32 exec_lo, exec_lo, s12
	s_and_saveexec_b32 s12, s1
	s_cbranch_execnz .LBB143_89
	s_branch .LBB143_90
.LBB143_1101:                           ;   in Loop: Header=BB143_3 Depth=1
	ds_load_b64 v[36:37], v60 offset:576
	ds_load_b64 v[38:39], v55 offset:8
	s_wait_dscnt 0x0
	v_fmac_f64_e32 v[34:35], v[36:37], v[38:39]
	s_or_b32 exec_lo, exec_lo, s12
	s_and_saveexec_b32 s12, s19
	s_cbranch_execz .LBB143_130
.LBB143_1102:                           ;   in Loop: Header=BB143_3 Depth=1
	ds_load_b64 v[36:37], v60 offset:1088
	ds_load_b64 v[38:39], v55 offset:16
	s_wait_dscnt 0x0
	v_fmac_f64_e32 v[34:35], v[36:37], v[38:39]
	s_or_b32 exec_lo, exec_lo, s12
	s_and_saveexec_b32 s12, s20
	s_cbranch_execz .LBB143_131
.LBB143_1103:                           ;   in Loop: Header=BB143_3 Depth=1
	ds_load_b64 v[36:37], v60 offset:1600
	ds_load_b64 v[38:39], v55 offset:24
	s_wait_dscnt 0x0
	v_fmac_f64_e32 v[34:35], v[36:37], v[38:39]
	s_or_b32 exec_lo, exec_lo, s12
	s_and_saveexec_b32 s12, s21
	s_cbranch_execz .LBB143_132
.LBB143_1104:                           ;   in Loop: Header=BB143_3 Depth=1
	ds_load_b64 v[36:37], v59 offset:2112
	ds_load_b64 v[38:39], v55 offset:32
	s_wait_dscnt 0x0
	v_fmac_f64_e32 v[34:35], v[36:37], v[38:39]
	s_or_b32 exec_lo, exec_lo, s12
	s_and_saveexec_b32 s12, s22
	s_cbranch_execz .LBB143_133
.LBB143_1105:                           ;   in Loop: Header=BB143_3 Depth=1
	ds_load_b64 v[36:37], v60 offset:2624
	ds_load_b64 v[38:39], v55 offset:40
	s_wait_dscnt 0x0
	v_fmac_f64_e32 v[34:35], v[36:37], v[38:39]
	s_or_b32 exec_lo, exec_lo, s12
	s_and_saveexec_b32 s12, s3
	s_cbranch_execz .LBB143_134
.LBB143_1106:                           ;   in Loop: Header=BB143_3 Depth=1
	ds_load_b64 v[36:37], v59 offset:3136
	ds_load_b64 v[38:39], v55 offset:48
	s_wait_dscnt 0x0
	v_fmac_f64_e32 v[34:35], v[36:37], v[38:39]
	s_or_b32 exec_lo, exec_lo, s12
	s_and_saveexec_b32 s12, s17
	s_cbranch_execnz .LBB143_135
	s_branch .LBB143_136
.LBB143_1107:                           ;   in Loop: Header=BB143_3 Depth=1
	ds_load_b64 v[36:37], v51 offset:4704
	ds_load_b64 v[38:39], v46 offset:4168
	s_wait_dscnt 0x0
	v_fmac_f64_e32 v[34:35], v[36:37], v[38:39]
	s_or_b32 exec_lo, exec_lo, s12
	s_and_saveexec_b32 s12, s17
	s_cbranch_execz .LBB143_192
.LBB143_1108:                           ;   in Loop: Header=BB143_3 Depth=1
	ds_load_b64 v[36:37], v50 offset:5216
	ds_load_b64 v[38:39], v46 offset:4176
	s_wait_dscnt 0x0
	v_fmac_f64_e32 v[34:35], v[36:37], v[38:39]
	s_or_b32 exec_lo, exec_lo, s12
	s_and_saveexec_b32 s12, s1
	s_cbranch_execnz .LBB143_193
	s_branch .LBB143_194
.LBB143_1109:                           ;   in Loop: Header=BB143_3 Depth=1
	ds_load_b64 v[36:37], v67 offset:5760
	ds_load_b64 v[38:39], v62 offset:88
	s_wait_dscnt 0x0
	v_fmac_f64_e32 v[34:35], v[36:37], v[38:39]
	s_or_b32 exec_lo, exec_lo, s10
	s_and_saveexec_b32 s10, s4
	s_cbranch_execz .LBB143_254
.LBB143_1110:                           ;   in Loop: Header=BB143_3 Depth=1
	ds_load_b64 v[36:37], v66 offset:6272
	ds_load_b64 v[38:39], v62 offset:96
	s_wait_dscnt 0x0
	v_fmac_f64_e32 v[34:35], v[36:37], v[38:39]
	s_or_b32 exec_lo, exec_lo, s10
	s_and_saveexec_b32 s10, s19
	s_cbranch_execz .LBB143_255
.LBB143_1111:                           ;   in Loop: Header=BB143_3 Depth=1
	ds_load_b64 v[36:37], v67 offset:6784
	ds_load_b64 v[38:39], v62 offset:104
	s_wait_dscnt 0x0
	v_fmac_f64_e32 v[34:35], v[36:37], v[38:39]
	s_or_b32 exec_lo, exec_lo, s10
	s_and_saveexec_b32 s10, s21
	s_cbranch_execz .LBB143_256
.LBB143_1112:                           ;   in Loop: Header=BB143_3 Depth=1
	ds_load_b64 v[36:37], v66 offset:7296
	ds_load_b64 v[38:39], v62 offset:112
	s_wait_dscnt 0x0
	v_fmac_f64_e32 v[34:35], v[36:37], v[38:39]
	s_or_b32 exec_lo, exec_lo, s10
	s_and_saveexec_b32 s10, s3
	s_cbranch_execnz .LBB143_257
	s_branch .LBB143_258
.LBB143_1113:                           ;   in Loop: Header=BB143_3 Depth=1
	ds_load_b64 v[36:37], v51 offset:8864
	ds_load_b64 v[38:39], v46 offset:8328
	s_wait_dscnt 0x0
	v_fmac_f64_e32 v[34:35], v[36:37], v[38:39]
	s_or_b32 exec_lo, exec_lo, s12
	s_and_saveexec_b32 s12, s17
	s_cbranch_execz .LBB143_346
.LBB143_1114:                           ;   in Loop: Header=BB143_3 Depth=1
	ds_load_b64 v[36:37], v50 offset:9376
	ds_load_b64 v[38:39], v46 offset:8336
	s_wait_dscnt 0x0
	v_fmac_f64_e32 v[34:35], v[36:37], v[38:39]
	s_or_b32 exec_lo, exec_lo, s12
	s_and_saveexec_b32 s12, s1
	s_cbranch_execnz .LBB143_347
	s_branch .LBB143_348
.LBB143_1115:                           ;   in Loop: Header=BB143_3 Depth=1
	ds_load_b64 v[36:37], v60 offset:8896
	ds_load_b64 v[38:39], v55 offset:8328
	s_wait_dscnt 0x0
	v_fmac_f64_e32 v[34:35], v[36:37], v[38:39]
	s_or_b32 exec_lo, exec_lo, s12
	s_and_saveexec_b32 s12, s19
	s_cbranch_execz .LBB143_388
.LBB143_1116:                           ;   in Loop: Header=BB143_3 Depth=1
	ds_load_b64 v[36:37], v60 offset:9408
	ds_load_b64 v[38:39], v55 offset:8336
	s_wait_dscnt 0x0
	v_fmac_f64_e32 v[34:35], v[36:37], v[38:39]
	s_or_b32 exec_lo, exec_lo, s12
	s_and_saveexec_b32 s12, s20
	s_cbranch_execz .LBB143_389
.LBB143_1117:                           ;   in Loop: Header=BB143_3 Depth=1
	ds_load_b64 v[36:37], v60 offset:9920
	ds_load_b64 v[38:39], v55 offset:8344
	s_wait_dscnt 0x0
	v_fmac_f64_e32 v[34:35], v[36:37], v[38:39]
	s_or_b32 exec_lo, exec_lo, s12
	s_and_saveexec_b32 s12, s21
	s_cbranch_execz .LBB143_390
.LBB143_1118:                           ;   in Loop: Header=BB143_3 Depth=1
	ds_load_b64 v[36:37], v59 offset:10432
	ds_load_b64 v[38:39], v55 offset:8352
	s_wait_dscnt 0x0
	v_fmac_f64_e32 v[34:35], v[36:37], v[38:39]
	s_or_b32 exec_lo, exec_lo, s12
	s_and_saveexec_b32 s12, s22
	s_cbranch_execz .LBB143_391
.LBB143_1119:                           ;   in Loop: Header=BB143_3 Depth=1
	ds_load_b64 v[36:37], v60 offset:10944
	ds_load_b64 v[38:39], v55 offset:8360
	s_wait_dscnt 0x0
	v_fmac_f64_e32 v[34:35], v[36:37], v[38:39]
	s_or_b32 exec_lo, exec_lo, s12
	s_and_saveexec_b32 s12, s3
	s_cbranch_execz .LBB143_392
.LBB143_1120:                           ;   in Loop: Header=BB143_3 Depth=1
	ds_load_b64 v[36:37], v59 offset:11456
	ds_load_b64 v[38:39], v55 offset:8368
	s_wait_dscnt 0x0
	v_fmac_f64_e32 v[34:35], v[36:37], v[38:39]
	s_or_b32 exec_lo, exec_lo, s12
	s_and_saveexec_b32 s12, s17
	s_cbranch_execnz .LBB143_393
	s_branch .LBB143_394
.LBB143_1121:                           ;   in Loop: Header=BB143_3 Depth=1
	ds_load_b64 v[36:37], v51 offset:13024
	ds_load_b64 v[38:39], v46 offset:12488
	s_wait_dscnt 0x0
	v_fmac_f64_e32 v[34:35], v[36:37], v[38:39]
	s_or_b32 exec_lo, exec_lo, s12
	s_and_saveexec_b32 s12, s17
	s_cbranch_execz .LBB143_450
.LBB143_1122:                           ;   in Loop: Header=BB143_3 Depth=1
	ds_load_b64 v[36:37], v50 offset:13536
	ds_load_b64 v[38:39], v46 offset:12496
	s_wait_dscnt 0x0
	v_fmac_f64_e32 v[34:35], v[36:37], v[38:39]
	s_or_b32 exec_lo, exec_lo, s12
	s_and_saveexec_b32 s12, s1
	s_cbranch_execnz .LBB143_451
	s_branch .LBB143_452
.LBB143_1123:                           ;   in Loop: Header=BB143_3 Depth=1
	ds_load_b64 v[38:39], v87 offset:15104
	ds_load_b64 v[40:41], v36 offset:232
	s_wait_dscnt 0x0
	v_fmac_f64_e32 v[34:35], v[38:39], v[40:41]
	s_or_b32 exec_lo, exec_lo, s10
	s_and_saveexec_b32 s10, s4
	s_cbranch_execz .LBB143_548
.LBB143_1124:                           ;   in Loop: Header=BB143_3 Depth=1
	ds_load_b64 v[38:39], v87 offset:15616
	ds_load_b64 v[36:37], v36 offset:240
	s_wait_dscnt 0x0
	v_fmac_f64_e32 v[34:35], v[38:39], v[36:37]
	s_or_b32 exec_lo, exec_lo, s10
	s_and_saveexec_b32 s10, s21
	s_cbranch_execnz .LBB143_549
	s_branch .LBB143_550
.LBB143_1125:                           ;   in Loop: Header=BB143_3 Depth=1
	ds_load_b64 v[36:37], v51 offset:17184
	ds_load_b64 v[38:39], v46 offset:16648
	s_wait_dscnt 0x0
	v_fmac_f64_e32 v[34:35], v[36:37], v[38:39]
	s_or_b32 exec_lo, exec_lo, s12
	s_and_saveexec_b32 s12, s17
	s_cbranch_execz .LBB143_594
.LBB143_1126:                           ;   in Loop: Header=BB143_3 Depth=1
	ds_load_b64 v[36:37], v50 offset:17696
	ds_load_b64 v[38:39], v46 offset:16656
	s_wait_dscnt 0x0
	v_fmac_f64_e32 v[34:35], v[36:37], v[38:39]
	s_or_b32 exec_lo, exec_lo, s12
	s_and_saveexec_b32 s12, s1
	s_cbranch_execnz .LBB143_595
	s_branch .LBB143_596
.LBB143_1127:                           ;   in Loop: Header=BB143_3 Depth=1
	ds_load_b64 v[36:37], v60 offset:17216
	ds_load_b64 v[38:39], v55 offset:16648
	s_wait_dscnt 0x0
	v_fmac_f64_e32 v[34:35], v[36:37], v[38:39]
	s_or_b32 exec_lo, exec_lo, s12
	s_and_saveexec_b32 s12, s19
	s_cbranch_execz .LBB143_636
.LBB143_1128:                           ;   in Loop: Header=BB143_3 Depth=1
	ds_load_b64 v[36:37], v60 offset:17728
	ds_load_b64 v[38:39], v55 offset:16656
	s_wait_dscnt 0x0
	v_fmac_f64_e32 v[34:35], v[36:37], v[38:39]
	s_or_b32 exec_lo, exec_lo, s12
	s_and_saveexec_b32 s12, s20
	s_cbranch_execz .LBB143_637
.LBB143_1129:                           ;   in Loop: Header=BB143_3 Depth=1
	ds_load_b64 v[36:37], v60 offset:18240
	ds_load_b64 v[38:39], v55 offset:16664
	s_wait_dscnt 0x0
	v_fmac_f64_e32 v[34:35], v[36:37], v[38:39]
	s_or_b32 exec_lo, exec_lo, s12
	s_and_saveexec_b32 s12, s21
	s_cbranch_execz .LBB143_638
.LBB143_1130:                           ;   in Loop: Header=BB143_3 Depth=1
	ds_load_b64 v[36:37], v59 offset:18752
	ds_load_b64 v[38:39], v55 offset:16672
	s_wait_dscnt 0x0
	v_fmac_f64_e32 v[34:35], v[36:37], v[38:39]
	s_or_b32 exec_lo, exec_lo, s12
	s_and_saveexec_b32 s12, s22
	s_cbranch_execz .LBB143_639
.LBB143_1131:                           ;   in Loop: Header=BB143_3 Depth=1
	ds_load_b64 v[36:37], v60 offset:19264
	ds_load_b64 v[38:39], v55 offset:16680
	s_wait_dscnt 0x0
	v_fmac_f64_e32 v[34:35], v[36:37], v[38:39]
	s_or_b32 exec_lo, exec_lo, s12
	s_and_saveexec_b32 s12, s3
	s_cbranch_execz .LBB143_640
.LBB143_1132:                           ;   in Loop: Header=BB143_3 Depth=1
	ds_load_b64 v[36:37], v59 offset:19776
	ds_load_b64 v[38:39], v55 offset:16688
	s_wait_dscnt 0x0
	v_fmac_f64_e32 v[34:35], v[36:37], v[38:39]
	s_or_b32 exec_lo, exec_lo, s12
	s_and_saveexec_b32 s12, s17
	s_cbranch_execnz .LBB143_641
	s_branch .LBB143_642
.LBB143_1133:                           ;   in Loop: Header=BB143_3 Depth=1
	ds_load_b64 v[36:37], v51 offset:21344
	ds_load_b64 v[38:39], v46 offset:20808
	s_wait_dscnt 0x0
	v_fmac_f64_e32 v[34:35], v[36:37], v[38:39]
	s_or_b32 exec_lo, exec_lo, s12
	s_and_saveexec_b32 s12, s17
	s_cbranch_execz .LBB143_698
.LBB143_1134:                           ;   in Loop: Header=BB143_3 Depth=1
	ds_load_b64 v[36:37], v50 offset:21856
	ds_load_b64 v[38:39], v46 offset:20816
	s_wait_dscnt 0x0
	v_fmac_f64_e32 v[34:35], v[36:37], v[38:39]
	s_or_b32 exec_lo, exec_lo, s12
	s_and_saveexec_b32 s12, s1
	s_cbranch_execnz .LBB143_699
	s_branch .LBB143_700
.LBB143_1135:                           ;   in Loop: Header=BB143_3 Depth=1
	ds_load_b64 v[36:37], v67 offset:22400
	ds_load_b64 v[38:39], v62 offset:16728
	s_wait_dscnt 0x0
	v_fmac_f64_e32 v[34:35], v[36:37], v[38:39]
	s_or_b32 exec_lo, exec_lo, s10
	s_and_saveexec_b32 s10, s4
	s_cbranch_execz .LBB143_760
.LBB143_1136:                           ;   in Loop: Header=BB143_3 Depth=1
	ds_load_b64 v[36:37], v66 offset:22912
	ds_load_b64 v[38:39], v62 offset:16736
	s_wait_dscnt 0x0
	v_fmac_f64_e32 v[34:35], v[36:37], v[38:39]
	s_or_b32 exec_lo, exec_lo, s10
	s_and_saveexec_b32 s10, s19
	s_cbranch_execz .LBB143_761
.LBB143_1137:                           ;   in Loop: Header=BB143_3 Depth=1
	ds_load_b64 v[36:37], v67 offset:23424
	ds_load_b64 v[38:39], v62 offset:16744
	s_wait_dscnt 0x0
	v_fmac_f64_e32 v[34:35], v[36:37], v[38:39]
	s_or_b32 exec_lo, exec_lo, s10
	s_and_saveexec_b32 s10, s21
	s_cbranch_execz .LBB143_762
.LBB143_1138:                           ;   in Loop: Header=BB143_3 Depth=1
	ds_load_b64 v[36:37], v66 offset:23936
	ds_load_b64 v[38:39], v62 offset:16752
	s_wait_dscnt 0x0
	v_fmac_f64_e32 v[34:35], v[36:37], v[38:39]
	s_or_b32 exec_lo, exec_lo, s10
	s_and_saveexec_b32 s10, s3
	s_cbranch_execnz .LBB143_763
	s_branch .LBB143_764
.LBB143_1139:                           ;   in Loop: Header=BB143_3 Depth=1
	ds_load_b64 v[36:37], v51 offset:25504
	ds_load_b64 v[38:39], v46 offset:24968
	s_wait_dscnt 0x0
	v_fmac_f64_e32 v[34:35], v[36:37], v[38:39]
	s_or_b32 exec_lo, exec_lo, s12
	s_and_saveexec_b32 s12, s17
	s_cbranch_execz .LBB143_852
.LBB143_1140:                           ;   in Loop: Header=BB143_3 Depth=1
	ds_load_b64 v[36:37], v50 offset:26016
	ds_load_b64 v[38:39], v46 offset:24976
	s_wait_dscnt 0x0
	v_fmac_f64_e32 v[34:35], v[36:37], v[38:39]
	s_or_b32 exec_lo, exec_lo, s12
	s_and_saveexec_b32 s12, s1
	s_cbranch_execnz .LBB143_853
	s_branch .LBB143_854
.LBB143_1141:                           ;   in Loop: Header=BB143_3 Depth=1
	ds_load_b64 v[36:37], v60 offset:25536
	ds_load_b64 v[38:39], v55 offset:24968
	s_wait_dscnt 0x0
	v_fmac_f64_e32 v[34:35], v[36:37], v[38:39]
	s_or_b32 exec_lo, exec_lo, s12
	s_and_saveexec_b32 s12, s19
	s_cbranch_execz .LBB143_894
.LBB143_1142:                           ;   in Loop: Header=BB143_3 Depth=1
	ds_load_b64 v[36:37], v60 offset:26048
	ds_load_b64 v[38:39], v55 offset:24976
	s_wait_dscnt 0x0
	v_fmac_f64_e32 v[34:35], v[36:37], v[38:39]
	s_or_b32 exec_lo, exec_lo, s12
	s_and_saveexec_b32 s12, s20
	s_cbranch_execz .LBB143_895
.LBB143_1143:                           ;   in Loop: Header=BB143_3 Depth=1
	ds_load_b64 v[36:37], v60 offset:26560
	ds_load_b64 v[38:39], v55 offset:24984
	s_wait_dscnt 0x0
	v_fmac_f64_e32 v[34:35], v[36:37], v[38:39]
	s_or_b32 exec_lo, exec_lo, s12
	s_and_saveexec_b32 s12, s21
	s_cbranch_execz .LBB143_896
.LBB143_1144:                           ;   in Loop: Header=BB143_3 Depth=1
	ds_load_b64 v[36:37], v59 offset:27072
	ds_load_b64 v[38:39], v55 offset:24992
	s_wait_dscnt 0x0
	v_fmac_f64_e32 v[34:35], v[36:37], v[38:39]
	s_or_b32 exec_lo, exec_lo, s12
	s_and_saveexec_b32 s12, s22
	s_cbranch_execz .LBB143_897
.LBB143_1145:                           ;   in Loop: Header=BB143_3 Depth=1
	ds_load_b64 v[36:37], v60 offset:27584
	ds_load_b64 v[38:39], v55 offset:25000
	s_wait_dscnt 0x0
	v_fmac_f64_e32 v[34:35], v[36:37], v[38:39]
	s_or_b32 exec_lo, exec_lo, s12
	s_and_saveexec_b32 s12, s3
	s_cbranch_execz .LBB143_898
.LBB143_1146:                           ;   in Loop: Header=BB143_3 Depth=1
	ds_load_b64 v[36:37], v59 offset:28096
	ds_load_b64 v[38:39], v55 offset:25008
	s_wait_dscnt 0x0
	v_fmac_f64_e32 v[34:35], v[36:37], v[38:39]
	s_or_b32 exec_lo, exec_lo, s12
	s_and_saveexec_b32 s12, s17
	s_cbranch_execnz .LBB143_899
	s_branch .LBB143_900
.LBB143_1147:                           ;   in Loop: Header=BB143_3 Depth=1
	ds_load_b64 v[36:37], v51 offset:29664
	ds_load_b64 v[38:39], v46 offset:29128
	s_wait_dscnt 0x0
	v_fmac_f64_e32 v[34:35], v[36:37], v[38:39]
	s_or_b32 exec_lo, exec_lo, s12
	s_and_saveexec_b32 s12, s17
	s_cbranch_execz .LBB143_956
.LBB143_1148:                           ;   in Loop: Header=BB143_3 Depth=1
	ds_load_b64 v[36:37], v50 offset:30176
	ds_load_b64 v[38:39], v46 offset:29136
	s_wait_dscnt 0x0
	v_fmac_f64_e32 v[34:35], v[36:37], v[38:39]
	s_or_b32 exec_lo, exec_lo, s12
	s_and_saveexec_b32 s12, s1
	s_cbranch_execnz .LBB143_957
	s_branch .LBB143_958
.LBB143_1149:
	s_endpgm
	.section	.rodata,"a",@progbits
	.p2align	6, 0x0
	.amdhsa_kernel _ZL19rocblas_trsv_deviceILi64ELi16ELb1ELb1ELb0ELb0EddPKPKdPKPdEviT7_lllT6_T8_lllPii
		.amdhsa_group_segment_fixed_size 41480
		.amdhsa_private_segment_fixed_size 0
		.amdhsa_kernarg_size 352
		.amdhsa_user_sgpr_count 2
		.amdhsa_user_sgpr_dispatch_ptr 0
		.amdhsa_user_sgpr_queue_ptr 0
		.amdhsa_user_sgpr_kernarg_segment_ptr 1
		.amdhsa_user_sgpr_dispatch_id 0
		.amdhsa_user_sgpr_kernarg_preload_length 0
		.amdhsa_user_sgpr_kernarg_preload_offset 0
		.amdhsa_user_sgpr_private_segment_size 0
		.amdhsa_wavefront_size32 1
		.amdhsa_uses_dynamic_stack 0
		.amdhsa_enable_private_segment 0
		.amdhsa_system_sgpr_workgroup_id_x 1
		.amdhsa_system_sgpr_workgroup_id_y 0
		.amdhsa_system_sgpr_workgroup_id_z 1
		.amdhsa_system_sgpr_workgroup_info 0
		.amdhsa_system_vgpr_workitem_id 1
		.amdhsa_next_free_vgpr 101
		.amdhsa_next_free_sgpr 105
		.amdhsa_named_barrier_count 0
		.amdhsa_reserve_vcc 1
		.amdhsa_float_round_mode_32 0
		.amdhsa_float_round_mode_16_64 0
		.amdhsa_float_denorm_mode_32 3
		.amdhsa_float_denorm_mode_16_64 3
		.amdhsa_fp16_overflow 0
		.amdhsa_memory_ordered 1
		.amdhsa_forward_progress 1
		.amdhsa_inst_pref_size 255
		.amdhsa_round_robin_scheduling 0
		.amdhsa_exception_fp_ieee_invalid_op 0
		.amdhsa_exception_fp_denorm_src 0
		.amdhsa_exception_fp_ieee_div_zero 0
		.amdhsa_exception_fp_ieee_overflow 0
		.amdhsa_exception_fp_ieee_underflow 0
		.amdhsa_exception_fp_ieee_inexact 0
		.amdhsa_exception_int_div_zero 0
	.end_amdhsa_kernel
	.section	.text._ZL19rocblas_trsv_deviceILi64ELi16ELb1ELb1ELb0ELb0EddPKPKdPKPdEviT7_lllT6_T8_lllPii,"axG",@progbits,_ZL19rocblas_trsv_deviceILi64ELi16ELb1ELb1ELb0ELb0EddPKPKdPKPdEviT7_lllT6_T8_lllPii,comdat
.Lfunc_end143:
	.size	_ZL19rocblas_trsv_deviceILi64ELi16ELb1ELb1ELb0ELb0EddPKPKdPKPdEviT7_lllT6_T8_lllPii, .Lfunc_end143-_ZL19rocblas_trsv_deviceILi64ELi16ELb1ELb1ELb0ELb0EddPKPKdPKPdEviT7_lllT6_T8_lllPii
                                        ; -- End function
	.set _ZL19rocblas_trsv_deviceILi64ELi16ELb1ELb1ELb0ELb0EddPKPKdPKPdEviT7_lllT6_T8_lllPii.num_vgpr, 101
	.set _ZL19rocblas_trsv_deviceILi64ELi16ELb1ELb1ELb0ELb0EddPKPKdPKPdEviT7_lllT6_T8_lllPii.num_agpr, 0
	.set _ZL19rocblas_trsv_deviceILi64ELi16ELb1ELb1ELb0ELb0EddPKPKdPKPdEviT7_lllT6_T8_lllPii.numbered_sgpr, 105
	.set _ZL19rocblas_trsv_deviceILi64ELi16ELb1ELb1ELb0ELb0EddPKPKdPKPdEviT7_lllT6_T8_lllPii.num_named_barrier, 0
	.set _ZL19rocblas_trsv_deviceILi64ELi16ELb1ELb1ELb0ELb0EddPKPKdPKPdEviT7_lllT6_T8_lllPii.private_seg_size, 0
	.set _ZL19rocblas_trsv_deviceILi64ELi16ELb1ELb1ELb0ELb0EddPKPKdPKPdEviT7_lllT6_T8_lllPii.uses_vcc, 1
	.set _ZL19rocblas_trsv_deviceILi64ELi16ELb1ELb1ELb0ELb0EddPKPKdPKPdEviT7_lllT6_T8_lllPii.uses_flat_scratch, 0
	.set _ZL19rocblas_trsv_deviceILi64ELi16ELb1ELb1ELb0ELb0EddPKPKdPKPdEviT7_lllT6_T8_lllPii.has_dyn_sized_stack, 0
	.set _ZL19rocblas_trsv_deviceILi64ELi16ELb1ELb1ELb0ELb0EddPKPKdPKPdEviT7_lllT6_T8_lllPii.has_recursion, 0
	.set _ZL19rocblas_trsv_deviceILi64ELi16ELb1ELb1ELb0ELb0EddPKPKdPKPdEviT7_lllT6_T8_lllPii.has_indirect_call, 0
	.section	.AMDGPU.csdata,"",@progbits
; Kernel info:
; codeLenInByte = 35700
; TotalNumSgprs: 107
; NumVgprs: 101
; ScratchSize: 0
; MemoryBound: 0
; FloatMode: 240
; IeeeMode: 1
; LDSByteSize: 41480 bytes/workgroup (compile time only)
; SGPRBlocks: 0
; VGPRBlocks: 6
; NumSGPRsForWavesPerEU: 107
; NumVGPRsForWavesPerEU: 101
; NamedBarCnt: 0
; Occupancy: 9
; WaveLimiterHint : 1
; COMPUTE_PGM_RSRC2:SCRATCH_EN: 0
; COMPUTE_PGM_RSRC2:USER_SGPR: 2
; COMPUTE_PGM_RSRC2:TRAP_HANDLER: 0
; COMPUTE_PGM_RSRC2:TGID_X_EN: 1
; COMPUTE_PGM_RSRC2:TGID_Y_EN: 0
; COMPUTE_PGM_RSRC2:TGID_Z_EN: 1
; COMPUTE_PGM_RSRC2:TIDIG_COMP_CNT: 1
	.section	.text._ZL19rocblas_trsv_deviceILi64ELi16ELb1ELb1ELb1ELb0EddPKPKdPKPdEviT7_lllT6_T8_lllPii,"axG",@progbits,_ZL19rocblas_trsv_deviceILi64ELi16ELb1ELb1ELb1ELb0EddPKPKdPKPdEviT7_lllT6_T8_lllPii,comdat
	.globl	_ZL19rocblas_trsv_deviceILi64ELi16ELb1ELb1ELb1ELb0EddPKPKdPKPdEviT7_lllT6_T8_lllPii ; -- Begin function _ZL19rocblas_trsv_deviceILi64ELi16ELb1ELb1ELb1ELb0EddPKPKdPKPdEviT7_lllT6_T8_lllPii
	.p2align	8
	.type	_ZL19rocblas_trsv_deviceILi64ELi16ELb1ELb1ELb1ELb0EddPKPKdPKPdEviT7_lllT6_T8_lllPii,@function
_ZL19rocblas_trsv_deviceILi64ELi16ELb1ELb1ELb1ELb0EddPKPKdPKPdEviT7_lllT6_T8_lllPii: ; @_ZL19rocblas_trsv_deviceILi64ELi16ELb1ELb1ELb1ELb0EddPKPKdPKPdEviT7_lllT6_T8_lllPii
; %bb.0:
	s_load_b32 s6, s[0:1], 0x58
	s_bfe_u32 s2, ttmp6, 0x40014
	s_lshr_b32 s3, ttmp7, 16
	s_add_co_i32 s2, s2, 1
	s_bfe_u32 s5, ttmp6, 0x40008
	s_mul_i32 s4, s3, s2
	s_getreg_b32 s2, hwreg(HW_REG_IB_STS2, 6, 4)
	s_add_co_i32 s5, s5, s4
	s_cmp_eq_u32 s2, 0
	s_mov_b32 s67, 0
	s_cselect_b32 s66, s3, s5
                                        ; implicit-def: $vgpr100 : SGPR spill to VGPR lane
	s_wait_kmcnt 0x0
	s_cmp_ge_u32 s66, s6
	v_writelane_b32 v100, s6, 0
	s_cbranch_scc1 .LBB144_1149
; %bb.1:
	s_clause 0x2
	s_load_b32 s3, s[0:1], 0x6c
	s_load_b32 s87, s[0:1], 0x60
	;; [unrolled: 1-line block ×3, first 2 shown]
	s_bfe_u32 s5, ttmp6, 0x4000c
	s_and_b32 s4, ttmp6, 15
	s_add_co_i32 s5, s5, 1
	s_clause 0x1
	s_load_b64 s[12:13], s[0:1], 0x18
	s_load_b256 s[68:75], s[0:1], 0x28
	s_mul_i32 s5, ttmp9, s5
	s_clause 0x1
	s_load_b64 s[82:83], s[0:1], 0x50
	s_load_b128 s[76:79], s[0:1], 0x8
	s_add_co_i32 s4, s4, s5
	s_cmp_eq_u32 s2, 0
	v_and_b32_e32 v2, 0x3ff, v0
	s_cselect_b32 s86, ttmp9, s4
	v_bfe_u32 v42, v0, 10, 10
	v_mov_b32_e32 v5, 0
                                        ; implicit-def: $vgpr99 : SGPR spill to VGPR lane
                                        ; implicit-def: $vgpr98 : SGPR spill to VGPR lane
	s_delay_alu instid0(VALU_DEP_3) | instskip(SKIP_1) | instid1(VALU_DEP_4)
	v_dual_lshlrev_b32 v21, 6, v2 :: v_dual_bitop2_b32 v68, 31, v0 bitop3:0x40
	v_lshlrev_b32_e32 v45, 3, v2
	v_lshl_add_u32 v30, v42, 6, v2
	s_wait_kmcnt 0x0
	s_and_b32 s0, s3, 0xffff
	s_add_co_i32 s87, s87, -1
	s_add_co_i32 s1, s80, -1
	s_ashr_i32 s81, s80, 31
	s_ashr_i32 s2, s1, 31
	s_lshr_b32 s3, s81, 26
	s_lshr_b32 s2, s2, 26
	s_add_co_i32 s3, s80, s3
	s_add_co_i32 s1, s1, s2
	s_and_not1_b32 s3, s3, 63
	s_sub_co_i32 s49, s87, s86
	s_ashr_i32 s1, s1, 6
	s_sub_co_i32 s15, s80, s3
	s_cmp_eq_u32 s1, s49
	v_dual_mov_b32 v3, v5 :: v_dual_add_nc_u32 v20, 16, v42
	s_cselect_b32 s1, -1, 0
	s_cmp_lg_u32 s15, 0
	v_cmp_gt_u32_e64 s4, 2, v2
	s_cselect_b32 s2, -1, 0
	v_add_nc_u32_e32 v12, v20, v21
	s_and_b32 s18, s2, s1
	s_add_nc_u64 s[2:3], s[12:13], 1
	s_xor_b32 s88, s18, -1
	s_cmp_lg_u32 s86, 0
	v_cmp_le_i32_e64 s14, s15, v2
	s_cselect_b32 s1, -1, 0
	s_lshl_b32 s16, s49, 6
	s_delay_alu instid0(SALU_CYCLE_1)
	v_dual_add_nc_u32 v1, v42, v21 :: v_dual_add_nc_u32 v22, s16, v42
	s_cmp_lt_i32 s86, 5
	v_mad_nc_u64_u32 v[16:17], s2, s16, v[2:3]
	s_cselect_b32 vcc_lo, -1, 0
	v_add_nc_u32_e32 v10, s16, v2
	v_dual_cndmask_b32 v23, v30, v1 :: v_dual_add_nc_u32 v6, 64, v22
	v_and_b32_e32 v1, 1, v0
	v_lshl_add_u32 v3, v20, 6, v2
	s_ashr_i32 s17, s16, 31
	s_delay_alu instid0(VALU_DEP_3)
	v_ashrrev_i32_e32 v7, 31, v6
	v_writelane_b32 v100, s1, 1
	s_or_b32 vcc_lo, vcc_lo, s18
	s_mul_i32 s1, s2, s17
	s_mul_i32 s2, s3, s16
	v_cmp_eq_u32_e64 s3, 1, v1
	v_dual_cndmask_b32 v24, v3, v12 :: v_dual_ashrrev_i32 v11, 31, v10
	v_dual_lshrrev_b32 v3, 10, v0 :: v_dual_lshrrev_b32 v12, 1, v30
	v_add3_u32 v17, s1, s2, v17
	v_lshlrev_b32_e32 v13, 3, v1
	v_cmp_gt_u32_e64 s1, 4, v30
	s_xor_b32 s2, s3, -1
	v_bitop3_b32 v31, v0, v3, 0x3ff bitop3:0xa8
	v_lshl_add_u32 v3, v12, 3, 0x8000
	v_lshl_or_b32 v43, v12, 9, v13
	v_mul_u32_u24_e32 v44, 0x208, v12
	s_and_b32 s91, s2, s1
	v_dual_lshrrev_b32 v1, 2, v30 :: v_dual_bitop2_b32 v12, 3, v0 bitop3:0x40
	v_cmp_eq_u32_e64 s2, 0, v42
	s_and_b32 s92, s3, s1
	v_cmp_gt_u32_e64 s3, 16, v30
	v_dual_lshlrev_b32 v13, 3, v1 :: v_dual_lshlrev_b32 v47, 3, v12
	v_mul_u32_u24_e32 v46, 0x208, v1
	s_and_b32 s93, s2, s4
	v_cmp_eq_u32_e64 s4, 0, v12
	v_cmp_ne_u32_e64 s5, 0, v12
	v_lshl_or_b32 v50, v1, 9, v47
	v_dual_sub_nc_u32 v14, v46, v13 :: v_dual_lshrrev_b32 v1, 3, v30
	s_and_b32 s94, s4, s3
	v_cmp_eq_u32_e64 s4, 1, v12
	v_cmp_lt_u32_e64 s6, 1, v12
	s_delay_alu instid0(VALU_DEP_3)
	v_add_nc_u32_e32 v51, v14, v47
	v_cmp_eq_u32_e64 s8, 2, v12
	s_and_b32 s95, s5, s3
	v_cmp_eq_u32_e64 s5, 3, v12
	s_and_b32 s96, s4, s3
	v_cmp_gt_u32_e64 s4, 4, v2
	v_and_b32_e32 v12, 7, v0
	s_and_b32 s97, s6, s3
	s_and_b32 s99, s5, s3
	;; [unrolled: 1-line block ×4, first 2 shown]
	v_cmp_gt_u32_e64 s4, 64, v30
	v_cmp_eq_u32_e64 s5, 0, v12
	v_cmp_ne_u32_e64 s6, 0, v12
	v_cmp_eq_u32_e64 s8, 1, v12
	v_dual_lshlrev_b32 v56, 3, v12 :: v_dual_bitop2_b32 v14, -8, v30 bitop3:0x40
	s_and_b32 s101, s5, s4
	s_and_b32 s102, s6, s4
	v_cmp_lt_u32_e64 s5, 1, v12
	v_cmp_eq_u32_e64 s6, 2, v12
	v_mul_u32_u24_e32 v55, 0x208, v1
	s_and_b32 s103, s8, s4
	v_cmp_lt_u32_e64 s8, 2, v12
	s_and_b32 s104, s5, s4
	v_cmp_lt_u32_e64 s5, 3, v12
	s_and_b32 vcc_hi, s6, s4
	v_cmp_eq_u32_e64 s6, 4, v12
	v_cmp_eq_u32_e64 s9, 3, v12
	v_sub_nc_u32_e32 v15, v55, v14
	s_and_b32 s38, s5, s4
	v_cmp_lt_u32_e64 s5, 4, v12
	s_and_b32 s39, s6, s4
	v_cmp_eq_u32_e64 s6, 6, v12
	s_and_b32 s36, s8, s4
	s_and_b32 s37, s9, s4
	v_cmp_eq_u32_e64 s8, 5, v12
	v_cmp_lt_u32_e64 s9, 5, v12
	s_and_b32 s40, s5, s4
	s_and_b32 s43, s6, s4
	v_cmp_eq_u32_e64 s5, 7, v12
	v_cmp_gt_u32_e64 s6, 8, v2
	v_and_b32_e32 v12, 15, v0
	s_and_b32 s41, s8, s4
	s_and_b32 s42, s9, s4
	;; [unrolled: 1-line block ×4, first 2 shown]
	v_cmp_gt_u32_e64 s5, 0x100, v30
	v_cmp_eq_u32_e64 s6, 0, v12
	v_cmp_ne_u32_e64 s8, 0, v12
	v_cmp_eq_u32_e64 s9, 1, v12
	v_cmp_eq_u32_e64 s10, 2, v12
	s_and_b32 s46, s14, s18
	s_and_b32 s6, s6, s5
	;; [unrolled: 1-line block ×3, first 2 shown]
	v_writelane_b32 v100, s6, 2
	v_cmp_lt_u32_e64 s6, 1, v12
	v_cmp_gt_i32_e64 s7, s15, v2
	v_dual_add_nc_u32 v26, 32, v42 :: v_dual_add_nc_u32 v27, 48, v42
	v_writelane_b32 v100, s8, 3
	s_and_b32 s8, s9, s5
	s_and_b32 s6, s6, s5
	v_cmp_lt_u32_e64 s9, 3, v12
	v_add_nc_u32_e32 v29, 0x50, v22
	v_writelane_b32 v100, s8, 4
	v_cmp_lt_u32_e64 s8, 2, v12
	s_xor_b32 s90, vcc_lo, -1
	s_and_b32 s53, s9, s5
	v_cmp_eq_u32_e64 s9, 6, v12
	v_writelane_b32 v100, s6, 5
	s_and_b32 s6, s10, s5
	s_and_b32 s8, s8, s5
	v_cmp_lt_u32_e64 s10, 4, v12
	s_and_b32 s58, s9, s5
	v_writelane_b32 v100, s6, 6
	v_cmp_eq_u32_e64 s6, 3, v12
	v_cmp_lt_u32_e64 s9, 8, v12
	s_and_b32 s55, s10, s5
	v_cmp_eq_u32_e64 s10, 7, v12
	v_writelane_b32 v100, s8, 7
	s_and_b32 s6, s6, s5
	v_cmp_eq_u32_e64 s8, 4, v12
	s_and_b32 s11, s9, s5
	s_and_b32 s62, s10, s5
	v_writelane_b32 v100, s6, 8
	v_cmp_eq_u32_e64 s6, 5, v12
	s_and_b32 s54, s8, s5
	v_cmp_lt_u32_e64 s8, 5, v12
	v_cmp_lt_u32_e64 s10, 9, v12
	v_cmp_eq_u32_e64 s9, 11, v12
	s_and_b32 s56, s6, s5
	v_cmp_lt_u32_e64 s6, 6, v12
	s_and_b32 s57, s8, s5
	v_cmp_lt_u32_e64 s8, 7, v12
	s_and_b32 s25, s10, s5
	v_cmp_eq_u32_e64 s10, 12, v12
	s_and_b32 s61, s6, s5
	v_cmp_eq_u32_e64 s6, 8, v12
	;; [unrolled: 2-line block ×3, first 2 shown]
	s_and_b32 s31, s9, s5
	s_and_b32 s24, s10, s5
	;; [unrolled: 1-line block ×3, first 2 shown]
	v_cmp_eq_u32_e64 s6, 10, v12
	s_and_b32 s23, s8, s5
	v_cmp_lt_u32_e64 s8, 10, v12
	v_cmp_lt_u32_e64 s9, 13, v12
	v_cmp_eq_u32_e64 s10, 15, v12
	s_and_b32 s27, s6, s5
	v_cmp_lt_u32_e64 s6, 11, v12
	s_and_b32 s29, s8, s5
	v_cmp_lt_u32_e64 s8, 12, v12
	s_and_b32 s30, s9, s5
	s_and_b32 s89, s10, s5
	;; [unrolled: 1-line block ×3, first 2 shown]
	v_cmp_eq_u32_e64 s6, 13, v12
	s_and_b32 s26, s8, s5
	v_cmp_eq_u32_e64 s8, 14, v12
	v_mad_u32_u24 v4, v42, s0, v2
	v_cmp_gt_i32_e64 s0, s80, v10
	s_and_b32 s28, s6, s5
	v_cmp_gt_u32_e64 s6, 16, v2
	s_and_b32 s33, s8, s5
	s_xor_b32 s8, s46, -1
	v_add_nc_u32_e32 v32, 0x60, v22
	s_and_b32 s47, s2, s8
	s_and_b32 s65, s2, s6
	v_cmp_gt_u32_e64 s6, 32, v2
	v_cmp_gt_i32_e64 s8, s80, v29
	v_lshl_add_u32 v29, v26, 6, v2
	v_add_nc_u32_e32 v49, 0x8000, v13
	v_mul_i32_i24_e32 v13, 0xfffffe08, v2
	s_and_b32 s6, s2, s6
	s_cmp_gt_i32 s86, 0
	v_writelane_b32 v100, s6, 9
	s_cselect_b32 s48, -1, 0
	s_and_b32 s7, s2, s7
	v_mul_lo_u32 v28, v13, 6
	v_mul_u32_u24_e32 v25, 0x1f8, v2
	v_writelane_b32 v100, s7, 10
	v_cmp_gt_i32_e64 s7, s80, v6
	v_add_nc_u32_e32 v22, 0x70, v22
	v_cmp_gt_i32_e64 s9, s80, v32
	v_lshl_or_b32 v59, v1, 9, v56
	v_dual_add_nc_u32 v60, v15, v56 :: v_dual_lshrrev_b32 v1, 4, v30
	s_and_b32 s7, s7, s0
	v_lshl_add_u32 v32, v27, 6, v2
	v_writelane_b32 v100, s7, 11
	s_and_b32 s7, s8, s0
	v_mad_u32 v25, v25, 7, v28
	v_dual_add_nc_u32 v28, v26, v21 :: v_dual_add_nc_u32 v21, v27, v21
	v_writelane_b32 v100, s7, 12
	v_cmp_gt_i32_e64 s10, s80, v22
	s_and_b32 s7, s9, s0
	v_dual_cndmask_b32 v21, v32, v21 :: v_dual_add_nc_u32 v58, 0x8000, v14
	v_writelane_b32 v100, s7, 13
	v_dual_lshlrev_b32 v14, 3, v1 :: v_dual_lshlrev_b32 v64, 3, v12
	v_mul_u32_u24_e32 v62, 0x208, v1
	v_cndmask_b32_e32 v22, v29, v28, vcc_lo
	s_and_b32 s7, s10, s0
	v_cmp_le_i32_e32 vcc_lo, s15, v42
	v_cmp_le_u32_e64 s6, v2, v42
	v_writelane_b32 v100, s7, 14
	v_cmp_le_i32_e64 s7, s15, v20
	v_sub_nc_u32_e32 v15, v62, v14
	s_or_b32 s8, vcc_lo, s14
	v_lshl_or_b32 v66, v1, 9, v64
	s_or_b32 s8, s8, s6
	s_or_b32 s10, s7, s14
	v_cmp_le_u32_e64 s7, v2, v20
	v_writelane_b32 v100, s8, 15
	v_dual_add_nc_u32 v67, v15, v64 :: v_dual_lshrrev_b32 v1, 5, v30
	v_cmp_le_i32_e32 vcc_lo, s15, v26
	v_cmp_le_u32_e64 s8, v2, v26
	s_or_b32 s10, s10, s7
	v_cmp_le_i32_e64 s9, s15, v27
	v_writelane_b32 v100, s10, 16
	v_mul_u64_e32 v[8:9], s[12:13], v[10:11]
	v_add_nc_u32_e32 v65, 0x8000, v14
	v_dual_lshlrev_b32 v69, 3, v1 :: v_dual_lshlrev_b32 v70, 9, v1
	v_mul_u64_e32 v[0:1], s[74:75], v[10:11]
	v_mad_nc_u64_u32 v[10:11], s12, v42, v[16:17]
	v_mad_nc_u64_u32 v[12:13], s12, v20, v[16:17]
	;; [unrolled: 1-line block ×4, first 2 shown]
	s_or_b32 s12, vcc_lo, s14
	v_cmp_ne_u32_e64 s15, v2, v27
	s_or_b32 s10, s12, s8
	v_cmp_ne_u32_e64 s12, v2, v20
	v_writelane_b32 v100, s10, 17
	s_or_b32 s10, s9, s14
	v_cmp_le_u32_e64 s9, v2, v27
	v_mad_u32 v11, s13, v42, v11
	v_mad_u32 v13, s13, v20, v13
	;; [unrolled: 1-line block ×4, first 2 shown]
	s_or_b32 s10, s10, s9
	v_cmp_ne_u32_e64 s13, v2, v26
	v_writelane_b32 v100, s10, 18
	v_cmp_ne_u32_e64 s10, v2, v42
	v_mad_u32_u24 v48, 0x1f8, v2, v45
	v_add_nc_u64_e32 v[18:19], s[16:17], v[4:5]
	v_dual_lshlrev_b32 v76, 3, v24 :: v_dual_lshlrev_b32 v78, 3, v22
	s_delay_alu instid0(VALU_DEP_4)
	v_writelane_b32 v100, s10, 19
	s_or_b32 s10, s14, s10
	v_mad_i32_i24 v52, 0xfffffe08, v2, v48
	v_dual_lshlrev_b32 v22, 3, v42 :: v_dual_lshlrev_b32 v80, 3, v21
	v_writelane_b32 v100, s10, 20
	s_or_b32 s10, s14, s12
	s_delay_alu instid0(VALU_DEP_3)
	v_mad_u32_u24 v53, 0x1f8, v2, v52
	v_mul_u64_e32 v[18:19], s[74:75], v[18:19]
	v_mul_u32_u24_e32 v83, 0x208, v68
	v_writelane_b32 v100, s12, 21
	v_lshlrev_b32_e32 v21, 9, v68
	v_mad_i32_i24 v54, 0xfffffe08, v2, v53
	v_mul_u32_u24_e32 v33, 0x1f0, v2
	v_or_b32_e32 v32, v20, v2
	v_writelane_b32 v100, s10, 22
	s_or_b32 s10, s14, s13
	v_mad_u32_u24 v57, 0x1f8, v2, v54
	v_sub_nc_u32_e32 v21, v83, v21
	v_dual_sub_nc_u32 v25, v25, v33 :: v_dual_lshlrev_b32 v75, 3, v23
	v_writelane_b32 v100, s13, 23
	s_delay_alu instid0(VALU_DEP_4)
	v_mad_i32_i24 v61, 0xfffffe08, v2, v57
	v_or_b32_e32 v81, 0xa000, v22
	v_or_b32_e32 v33, v26, v2
	;; [unrolled: 1-line block ×3, first 2 shown]
	v_writelane_b32 v100, s10, 24
	s_or_b32 s10, s14, s15
	v_mad_u32_u24 v63, 0x1f8, v2, v61
	v_add_nc_u32_e32 v92, v81, v45
	v_add_nc_u32_e32 v84, 0x4100, v21
	v_writelane_b32 v100, s15, 25
	v_cmp_lt_u32_e32 vcc_lo, 0x3ff, v30
	v_mad_i32_i24 v71, 0xfffffe08, v2, v63
	v_mov_b64_e32 v[20:21], 0
	v_add_nc_u32_e32 v85, 0x7800, v25
	v_writelane_b32 v100, s10, 26
	v_cmp_gt_u32_e64 s10, 0xf0, v30
	v_mad_u32_u24 v72, 0x1f8, v2, v71
	v_add_nc_u32_e32 v86, 0x8000, v69
	v_lshl_or_b32 v87, v68, 3, v70
	v_lshl_add_u32 v88, v4, 3, 0xa000
	v_writelane_b32 v100, s10, 27
	v_cmp_gt_u32_e64 s10, 0xe0, v30
	v_mad_i32_i24 v73, 0xfffffe08, v2, v72
	v_lshl_add_u32 v89, v30, 3, 0x8000
	v_add_nc_u32_e32 v90, 0x8000, v45
	v_subrev_nc_u32_e32 v93, 63, v2
	v_writelane_b32 v100, s10, 28
	v_cmp_gt_u32_e64 s10, 0xd0, v30
	v_mad_u32_u24 v74, 0x1f8, v2, v73
	v_lshl_add_u32 v91, v42, 9, v73
	v_cmp_eq_u32_e64 s14, 0, v31
	v_cmp_gt_u32_e64 s15, 2, v30
	v_writelane_b32 v100, s10, 29
	v_cmp_gt_u32_e64 s10, 0xc0, v30
	v_mad_i32_i24 v77, 0xfffffe08, v2, v74
	v_cmp_gt_u32_e64 s16, 12, v30
	v_cmp_gt_u32_e64 s17, 8, v30
	;; [unrolled: 1-line block ×3, first 2 shown]
	v_writelane_b32 v100, s10, 30
	v_cmp_gt_u32_e64 s10, 0xb0, v30
	v_mad_u32_u24 v79, 0x1f8, v2, v77
	v_cmp_gt_u32_e64 s19, 48, v30
	v_cmp_gt_u32_e64 s20, 40, v30
	;; [unrolled: 1-line block ×3, first 2 shown]
	v_writelane_b32 v100, s10, 31
	v_cmp_gt_u32_e64 s10, 0xa0, v30
	v_add_nc_u32_e32 v82, v79, v22
	v_cmp_gt_u32_e64 s22, 24, v30
	v_cmp_gt_u32_e64 s35, 0x400, v30
	v_cmp_eq_u32_e64 s59, 0, v4
	v_writelane_b32 v99, s10, 0
	v_cmp_gt_u32_e64 s10, 0x90, v30
	v_cmp_gt_u32_e64 s60, 64, v4
	s_add_co_i32 s49, s49, 1
	s_xor_b32 s13, vcc_lo, -1
	s_lshl_b64 s[78:79], s[78:79], 3
	v_writelane_b32 v99, s10, 1
	v_cmp_gt_u32_e64 s10, 0x80, v30
	s_lshl_b64 s[72:73], s[72:73], 3
                                        ; implicit-def: $vgpr22_vgpr23
                                        ; implicit-def: $vgpr24_vgpr25
                                        ; implicit-def: $vgpr26_vgpr27
                                        ; implicit-def: $vgpr28_vgpr29
	v_writelane_b32 v99, s10, 2
	v_cmp_gt_u32_e64 s10, 0x70, v30
	s_delay_alu instid0(VALU_DEP_1) | instskip(SKIP_1) | instid1(VALU_DEP_1)
	v_writelane_b32 v99, s10, 3
	v_cmp_gt_u32_e64 s10, 0x60, v30
	v_writelane_b32 v99, s10, 4
	v_cmp_gt_u32_e64 s10, 0x50, v30
	s_delay_alu instid0(VALU_DEP_1) | instskip(SKIP_1) | instid1(VALU_DEP_1)
	v_writelane_b32 v99, s10, 5
	v_cmp_gt_u32_e64 s10, 0x3e0, v30
	;; [unrolled: 5-line block ×15, first 2 shown]
	v_writelane_b32 v98, s10, 0
	s_branch .LBB144_3
.LBB144_2:                              ;   in Loop: Header=BB144_3 Depth=1
	s_wait_xcnt 0x0
	s_or_b32 exec_lo, exec_lo, s10
	v_readlane_b32 s10, v100, 0
	s_add_co_i32 s66, s66, 0x10000
	global_wb scope:SCOPE_DEV
	s_wait_storecnt 0x0
	global_inv scope:SCOPE_DEV
	s_cmp_lt_u32 s66, s10
	s_cbranch_scc0 .LBB144_1149
.LBB144_3:                              ; =>This Loop Header: Depth=1
                                        ;     Child Loop BB144_553 Depth 2
                                        ;     Child Loop BB144_1002 Depth 2
                                        ;       Child Loop BB144_1004 Depth 3
                                        ;     Child Loop BB144_1039 Depth 2
	v_mov_b32_e32 v32, s66
	v_readlane_b32 s10, v100, 1
	s_clause 0x1
	global_load_b64 v[30:31], v32, s[76:77] scale_offset
	global_load_b64 v[32:33], v32, s[70:71] scale_offset
	s_and_not1_b32 vcc_lo, exec_lo, s10
	s_wait_loadcnt 0x1
	v_add_nc_u64_e32 v[34:35], s[78:79], v[30:31]
	s_delay_alu instid0(VALU_DEP_1)
	v_lshl_add_u64 v[30:31], v[8:9], 3, v[34:35]
	s_cbranch_vccnz .LBB144_13
; %bb.4:                                ;   in Loop: Header=BB144_3 Depth=1
	v_mov_b64_e32 v[24:25], 0
	v_mov_b64_e32 v[22:23], 0
	s_delay_alu instid0(VALU_DEP_3)
	v_lshl_add_u64 v[36:37], v[6:7], 3, v[30:31]
	s_wait_loadcnt 0x0
	s_barrier_signal -1
	s_barrier_wait -1
	s_wait_xcnt 0x0
	s_mov_b32 s10, exec_lo
	v_readlane_b32 s12, v100, 11
	s_and_b32 s12, s10, s12
	s_delay_alu instid0(SALU_CYCLE_1)
	s_mov_b32 exec_lo, s12
	s_cbranch_execz .LBB144_6
; %bb.5:                                ;   in Loop: Header=BB144_3 Depth=1
	flat_load_b64 v[22:23], v[36:37]
.LBB144_6:                              ;   in Loop: Header=BB144_3 Depth=1
	s_wait_xcnt 0x0
	s_or_b32 exec_lo, exec_lo, s10
	s_wait_loadcnt_dscnt 0x0
	s_barrier_signal -1
	s_barrier_wait -1
	s_mov_b32 s10, exec_lo
	v_readlane_b32 s12, v100, 12
	s_and_b32 s12, s10, s12
	s_delay_alu instid0(SALU_CYCLE_1)
	s_mov_b32 exec_lo, s12
	s_cbranch_execz .LBB144_8
; %bb.7:                                ;   in Loop: Header=BB144_3 Depth=1
	flat_load_b64 v[24:25], v[36:37] offset:128
.LBB144_8:                              ;   in Loop: Header=BB144_3 Depth=1
	s_wait_xcnt 0x0
	s_or_b32 exec_lo, exec_lo, s10
	v_mov_b64_e32 v[28:29], 0
	v_mov_b64_e32 v[26:27], 0
	s_wait_loadcnt_dscnt 0x0
	s_barrier_signal -1
	s_barrier_wait -1
	s_mov_b32 s10, exec_lo
	v_readlane_b32 s12, v100, 13
	s_and_b32 s12, s10, s12
	s_delay_alu instid0(SALU_CYCLE_1)
	s_mov_b32 exec_lo, s12
	s_cbranch_execz .LBB144_10
; %bb.9:                                ;   in Loop: Header=BB144_3 Depth=1
	flat_load_b64 v[26:27], v[36:37] offset:256
.LBB144_10:                             ;   in Loop: Header=BB144_3 Depth=1
	s_wait_xcnt 0x0
	s_or_b32 exec_lo, exec_lo, s10
	s_wait_loadcnt_dscnt 0x0
	s_barrier_signal -1
	s_barrier_wait -1
	s_mov_b32 s10, exec_lo
	v_readlane_b32 s12, v100, 14
	s_and_b32 s12, s10, s12
	s_delay_alu instid0(SALU_CYCLE_1)
	s_mov_b32 exec_lo, s12
	s_cbranch_execz .LBB144_12
; %bb.11:                               ;   in Loop: Header=BB144_3 Depth=1
	flat_load_b64 v[28:29], v[36:37] offset:384
.LBB144_12:                             ;   in Loop: Header=BB144_3 Depth=1
	s_wait_xcnt 0x0
	s_or_b32 exec_lo, exec_lo, s10
.LBB144_13:                             ;   in Loop: Header=BB144_3 Depth=1
	s_delay_alu instid0(SALU_CYCLE_1)
	s_and_not1_b32 vcc_lo, exec_lo, s88
	s_mov_b32 s10, -1
	s_cbranch_vccnz .LBB144_24
; %bb.14:                               ;   in Loop: Header=BB144_3 Depth=1
	s_wait_xcnt 0x0
	s_and_saveexec_b32 s10, s6
	s_delay_alu instid0(SALU_CYCLE_1)
	s_xor_b32 s10, exec_lo, s10
	s_cbranch_execnz .LBB144_1061
; %bb.15:                               ;   in Loop: Header=BB144_3 Depth=1
	s_and_not1_saveexec_b32 s10, s10
	s_cbranch_execnz .LBB144_1068
.LBB144_16:                             ;   in Loop: Header=BB144_3 Depth=1
	s_or_b32 exec_lo, exec_lo, s10
	s_and_saveexec_b32 s10, s7
	s_delay_alu instid0(SALU_CYCLE_1)
	s_xor_b32 s10, exec_lo, s10
	s_cbranch_execnz .LBB144_1069
.LBB144_17:                             ;   in Loop: Header=BB144_3 Depth=1
	s_and_not1_saveexec_b32 s10, s10
	s_cbranch_execnz .LBB144_1076
.LBB144_18:                             ;   in Loop: Header=BB144_3 Depth=1
	s_or_b32 exec_lo, exec_lo, s10
	s_and_saveexec_b32 s10, s8
	s_delay_alu instid0(SALU_CYCLE_1)
	s_xor_b32 s10, exec_lo, s10
	s_cbranch_execnz .LBB144_1077
.LBB144_19:                             ;   in Loop: Header=BB144_3 Depth=1
	s_and_not1_saveexec_b32 s10, s10
	s_cbranch_execnz .LBB144_1084
.LBB144_20:                             ;   in Loop: Header=BB144_3 Depth=1
	s_or_b32 exec_lo, exec_lo, s10
	s_and_saveexec_b32 s10, s9
	s_delay_alu instid0(SALU_CYCLE_1)
	s_xor_b32 s10, exec_lo, s10
	s_cbranch_execnz .LBB144_1085
.LBB144_21:                             ;   in Loop: Header=BB144_3 Depth=1
	s_and_not1_saveexec_b32 s10, s10
	s_cbranch_execz .LBB144_23
.LBB144_22:                             ;   in Loop: Header=BB144_3 Depth=1
	v_lshl_add_u64 v[36:37], v[16:17], 3, v[34:35]
	flat_load_b64 v[36:37], v[36:37]
	s_wait_loadcnt_dscnt 0x0
	v_xor_b32_e32 v37, 0x80000000, v37
	ds_store_b64 v80, v[36:37]
.LBB144_23:                             ;   in Loop: Header=BB144_3 Depth=1
	s_or_b32 exec_lo, exec_lo, s10
	s_mov_b32 s10, 0
.LBB144_24:                             ;   in Loop: Header=BB144_3 Depth=1
	s_delay_alu instid0(SALU_CYCLE_1)
	s_and_b32 vcc_lo, exec_lo, s10
	s_cbranch_vccz .LBB144_66
; %bb.25:                               ;   in Loop: Header=BB144_3 Depth=1
	s_wait_xcnt 0x0
	s_mov_b32 s10, exec_lo
	v_readlane_b32 s12, v100, 15
	s_and_b32 s12, s10, s12
	s_delay_alu instid0(SALU_CYCLE_1)
	s_xor_b32 s10, s12, s10
	s_mov_b32 exec_lo, s12
	s_cbranch_execz .LBB144_33
; %bb.26:                               ;   in Loop: Header=BB144_3 Depth=1
	s_mov_b32 s12, exec_lo
	v_readlane_b32 s50, v100, 20
	s_and_b32 s50, s12, s50
	s_delay_alu instid0(SALU_CYCLE_1)
	s_xor_b32 s12, s50, s12
	s_mov_b32 exec_lo, s50
	s_cbranch_execz .LBB144_30
; %bb.27:                               ;   in Loop: Header=BB144_3 Depth=1
	s_mov_b32 s50, exec_lo
	v_readlane_b32 s51, v99, 29
	s_and_b32 s51, s50, s51
	s_delay_alu instid0(SALU_CYCLE_1)
	s_mov_b32 exec_lo, s51
; %bb.28:                               ;   in Loop: Header=BB144_3 Depth=1
	ds_store_b64 v82, v[20:21]
; %bb.29:                               ;   in Loop: Header=BB144_3 Depth=1
	s_or_b32 exec_lo, exec_lo, s50
.LBB144_30:                             ;   in Loop: Header=BB144_3 Depth=1
	s_and_not1_saveexec_b32 s12, s12
	s_cbranch_execz .LBB144_32
; %bb.31:                               ;   in Loop: Header=BB144_3 Depth=1
	v_lshl_add_u64 v[36:37], v[10:11], 3, v[34:35]
	flat_load_b64 v[36:37], v[36:37]
	s_wait_loadcnt_dscnt 0x0
	v_div_scale_f64 v[38:39], null, v[36:37], v[36:37], 1.0
	s_delay_alu instid0(VALU_DEP_1) | instskip(SKIP_1) | instid1(TRANS32_DEP_1)
	v_rcp_f64_e32 v[40:41], v[38:39]
	v_nop
	v_fma_f64 v[94:95], -v[38:39], v[40:41], 1.0
	s_delay_alu instid0(VALU_DEP_1) | instskip(NEXT) | instid1(VALU_DEP_1)
	v_fmac_f64_e32 v[40:41], v[40:41], v[94:95]
	v_fma_f64 v[94:95], -v[38:39], v[40:41], 1.0
	s_delay_alu instid0(VALU_DEP_1) | instskip(SKIP_1) | instid1(VALU_DEP_1)
	v_fmac_f64_e32 v[40:41], v[40:41], v[94:95]
	v_div_scale_f64 v[94:95], vcc_lo, 1.0, v[36:37], 1.0
	v_mul_f64_e32 v[96:97], v[94:95], v[40:41]
	s_delay_alu instid0(VALU_DEP_1) | instskip(NEXT) | instid1(VALU_DEP_1)
	v_fma_f64 v[38:39], -v[38:39], v[96:97], v[94:95]
	v_div_fmas_f64 v[38:39], v[38:39], v[40:41], v[96:97]
	s_delay_alu instid0(VALU_DEP_1)
	v_div_fixup_f64 v[36:37], v[38:39], v[36:37], 1.0
	ds_store_b64 v82, v[36:37]
.LBB144_32:                             ;   in Loop: Header=BB144_3 Depth=1
	s_or_b32 exec_lo, exec_lo, s12
.LBB144_33:                             ;   in Loop: Header=BB144_3 Depth=1
	s_and_not1_saveexec_b32 s10, s10
	s_cbranch_execz .LBB144_35
; %bb.34:                               ;   in Loop: Header=BB144_3 Depth=1
	v_lshl_add_u64 v[36:37], v[10:11], 3, v[34:35]
	flat_load_b64 v[36:37], v[36:37]
	s_wait_loadcnt_dscnt 0x0
	v_xor_b32_e32 v37, 0x80000000, v37
	ds_store_b64 v82, v[36:37]
.LBB144_35:                             ;   in Loop: Header=BB144_3 Depth=1
	s_or_b32 exec_lo, exec_lo, s10
	s_delay_alu instid0(SALU_CYCLE_1) | instskip(SKIP_2) | instid1(SALU_CYCLE_1)
	s_mov_b32 s10, exec_lo
	v_readlane_b32 s12, v100, 16
	s_and_b32 s12, s10, s12
	s_xor_b32 s10, s12, s10
	s_mov_b32 exec_lo, s12
	s_cbranch_execz .LBB144_43
; %bb.36:                               ;   in Loop: Header=BB144_3 Depth=1
	s_mov_b32 s12, exec_lo
	v_readlane_b32 s50, v100, 22
	s_and_b32 s50, s12, s50
	s_delay_alu instid0(SALU_CYCLE_1)
	s_xor_b32 s12, s50, s12
	s_mov_b32 exec_lo, s50
	s_cbranch_execz .LBB144_40
; %bb.37:                               ;   in Loop: Header=BB144_3 Depth=1
	s_mov_b32 s50, exec_lo
	v_readlane_b32 s51, v99, 30
	s_and_b32 s51, s50, s51
	s_delay_alu instid0(SALU_CYCLE_1)
	s_mov_b32 exec_lo, s51
; %bb.38:                               ;   in Loop: Header=BB144_3 Depth=1
	ds_store_b64 v76, v[20:21]
; %bb.39:                               ;   in Loop: Header=BB144_3 Depth=1
	s_or_b32 exec_lo, exec_lo, s50
.LBB144_40:                             ;   in Loop: Header=BB144_3 Depth=1
	s_and_not1_saveexec_b32 s12, s12
	s_cbranch_execz .LBB144_42
; %bb.41:                               ;   in Loop: Header=BB144_3 Depth=1
	v_lshl_add_u64 v[36:37], v[12:13], 3, v[34:35]
	flat_load_b64 v[36:37], v[36:37]
	s_wait_loadcnt_dscnt 0x0
	v_div_scale_f64 v[38:39], null, v[36:37], v[36:37], 1.0
	s_delay_alu instid0(VALU_DEP_1) | instskip(SKIP_1) | instid1(TRANS32_DEP_1)
	v_rcp_f64_e32 v[40:41], v[38:39]
	v_nop
	v_fma_f64 v[94:95], -v[38:39], v[40:41], 1.0
	s_delay_alu instid0(VALU_DEP_1) | instskip(NEXT) | instid1(VALU_DEP_1)
	v_fmac_f64_e32 v[40:41], v[40:41], v[94:95]
	v_fma_f64 v[94:95], -v[38:39], v[40:41], 1.0
	s_delay_alu instid0(VALU_DEP_1) | instskip(SKIP_1) | instid1(VALU_DEP_1)
	v_fmac_f64_e32 v[40:41], v[40:41], v[94:95]
	v_div_scale_f64 v[94:95], vcc_lo, 1.0, v[36:37], 1.0
	v_mul_f64_e32 v[96:97], v[94:95], v[40:41]
	s_delay_alu instid0(VALU_DEP_1) | instskip(NEXT) | instid1(VALU_DEP_1)
	v_fma_f64 v[38:39], -v[38:39], v[96:97], v[94:95]
	v_div_fmas_f64 v[38:39], v[38:39], v[40:41], v[96:97]
	s_delay_alu instid0(VALU_DEP_1)
	v_div_fixup_f64 v[36:37], v[38:39], v[36:37], 1.0
	ds_store_b64 v76, v[36:37]
.LBB144_42:                             ;   in Loop: Header=BB144_3 Depth=1
	s_or_b32 exec_lo, exec_lo, s12
.LBB144_43:                             ;   in Loop: Header=BB144_3 Depth=1
	s_and_not1_saveexec_b32 s10, s10
	s_cbranch_execz .LBB144_45
; %bb.44:                               ;   in Loop: Header=BB144_3 Depth=1
	v_lshl_add_u64 v[36:37], v[12:13], 3, v[34:35]
	flat_load_b64 v[36:37], v[36:37]
	s_wait_loadcnt_dscnt 0x0
	v_xor_b32_e32 v37, 0x80000000, v37
	ds_store_b64 v76, v[36:37]
.LBB144_45:                             ;   in Loop: Header=BB144_3 Depth=1
	s_or_b32 exec_lo, exec_lo, s10
	s_delay_alu instid0(SALU_CYCLE_1) | instskip(SKIP_2) | instid1(SALU_CYCLE_1)
	s_mov_b32 s10, exec_lo
	v_readlane_b32 s12, v100, 17
	s_and_b32 s12, s10, s12
	;; [unrolled: 63-line block ×3, first 2 shown]
	s_xor_b32 s10, s12, s10
	s_mov_b32 exec_lo, s12
	s_cbranch_execz .LBB144_63
; %bb.56:                               ;   in Loop: Header=BB144_3 Depth=1
	s_mov_b32 s12, exec_lo
	v_readlane_b32 s50, v100, 26
	s_and_b32 s50, s12, s50
	s_delay_alu instid0(SALU_CYCLE_1)
	s_xor_b32 s12, s50, s12
	s_mov_b32 exec_lo, s50
	s_cbranch_execz .LBB144_60
; %bb.57:                               ;   in Loop: Header=BB144_3 Depth=1
	s_mov_b32 s50, exec_lo
	v_readlane_b32 s51, v98, 0
	s_and_b32 s51, s50, s51
	s_delay_alu instid0(SALU_CYCLE_1)
	s_mov_b32 exec_lo, s51
; %bb.58:                               ;   in Loop: Header=BB144_3 Depth=1
	ds_store_b64 v80, v[20:21]
; %bb.59:                               ;   in Loop: Header=BB144_3 Depth=1
	s_or_b32 exec_lo, exec_lo, s50
                                        ; implicit-def: $vgpr34_vgpr35
.LBB144_60:                             ;   in Loop: Header=BB144_3 Depth=1
	s_and_not1_saveexec_b32 s12, s12
	s_cbranch_execz .LBB144_62
; %bb.61:                               ;   in Loop: Header=BB144_3 Depth=1
	v_lshl_add_u64 v[34:35], v[16:17], 3, v[34:35]
	flat_load_b64 v[34:35], v[34:35]
	s_wait_loadcnt_dscnt 0x0
	v_div_scale_f64 v[36:37], null, v[34:35], v[34:35], 1.0
	s_delay_alu instid0(VALU_DEP_1) | instskip(SKIP_1) | instid1(TRANS32_DEP_1)
	v_rcp_f64_e32 v[38:39], v[36:37]
	v_nop
	v_fma_f64 v[40:41], -v[36:37], v[38:39], 1.0
	s_delay_alu instid0(VALU_DEP_1) | instskip(NEXT) | instid1(VALU_DEP_1)
	v_fmac_f64_e32 v[38:39], v[38:39], v[40:41]
	v_fma_f64 v[40:41], -v[36:37], v[38:39], 1.0
	s_delay_alu instid0(VALU_DEP_1) | instskip(SKIP_1) | instid1(VALU_DEP_1)
	v_fmac_f64_e32 v[38:39], v[38:39], v[40:41]
	v_div_scale_f64 v[40:41], vcc_lo, 1.0, v[34:35], 1.0
	v_mul_f64_e32 v[94:95], v[40:41], v[38:39]
	s_delay_alu instid0(VALU_DEP_1) | instskip(NEXT) | instid1(VALU_DEP_1)
	v_fma_f64 v[36:37], -v[36:37], v[94:95], v[40:41]
	v_div_fmas_f64 v[36:37], v[36:37], v[38:39], v[94:95]
	s_delay_alu instid0(VALU_DEP_1)
	v_div_fixup_f64 v[34:35], v[36:37], v[34:35], 1.0
	ds_store_b64 v80, v[34:35]
.LBB144_62:                             ;   in Loop: Header=BB144_3 Depth=1
	s_or_b32 exec_lo, exec_lo, s12
                                        ; implicit-def: $vgpr34_vgpr35
.LBB144_63:                             ;   in Loop: Header=BB144_3 Depth=1
	s_and_not1_saveexec_b32 s10, s10
	s_cbranch_execz .LBB144_65
; %bb.64:                               ;   in Loop: Header=BB144_3 Depth=1
	v_lshl_add_u64 v[34:35], v[16:17], 3, v[34:35]
	flat_load_b64 v[34:35], v[34:35]
	s_wait_loadcnt_dscnt 0x0
	v_xor_b32_e32 v35, 0x80000000, v35
	ds_store_b64 v80, v[34:35]
.LBB144_65:                             ;   in Loop: Header=BB144_3 Depth=1
	s_or_b32 exec_lo, exec_lo, s10
.LBB144_66:                             ;   in Loop: Header=BB144_3 Depth=1
	s_delay_alu instid0(SALU_CYCLE_1)
	s_and_not1_b32 vcc_lo, exec_lo, s90
	s_wait_loadcnt_dscnt 0x0
	s_barrier_signal -1
	s_barrier_wait -1
	s_cbranch_vccnz .LBB144_996
; %bb.67:                               ;   in Loop: Header=BB144_3 Depth=1
	s_and_saveexec_b32 s10, s14
	s_cbranch_execz .LBB144_69
; %bb.68:                               ;   in Loop: Header=BB144_3 Depth=1
	ds_load_b128 v[34:37], v5
	ds_load_b64 v[38:39], v5 offset:520
	s_wait_dscnt 0x0
	v_mul_f64_e32 v[34:35], v[34:35], v[38:39]
	s_delay_alu instid0(VALU_DEP_1)
	v_mul_f64_e32 v[34:35], v[36:37], v[34:35]
	ds_store_2addr_b64 v5, v[34:35], v[34:35] offset0:1 offset1:64
.LBB144_69:                             ;   in Loop: Header=BB144_3 Depth=1
	s_or_b32 exec_lo, exec_lo, s10
	v_mov_b64_e32 v[34:35], 0
	s_wait_dscnt 0x0
	s_barrier_signal -1
	s_barrier_wait -1
	s_and_saveexec_b32 s10, s1
	s_cbranch_execz .LBB144_73
; %bb.70:                               ;   in Loop: Header=BB144_3 Depth=1
	ds_load_b64 v[34:35], v43 offset:16
	ds_load_b64 v[36:37], v44
	s_wait_dscnt 0x0
	v_fma_f64 v[34:35], v[34:35], v[36:37], 0
	s_and_saveexec_b32 s12, s15
	s_cbranch_execz .LBB144_72
; %bb.71:                               ;   in Loop: Header=BB144_3 Depth=1
	ds_load_b64 v[36:37], v45 offset:528
	ds_load_b64 v[38:39], v5 offset:8
	s_wait_dscnt 0x0
	v_fmac_f64_e32 v[34:35], v[36:37], v[38:39]
.LBB144_72:                             ;   in Loop: Header=BB144_3 Depth=1
	s_or_b32 exec_lo, exec_lo, s12
	s_delay_alu instid0(VALU_DEP_1)
	v_xor_b32_e32 v35, 0x80000000, v35
.LBB144_73:                             ;   in Loop: Header=BB144_3 Depth=1
	s_or_b32 exec_lo, exec_lo, s10
	s_and_saveexec_b32 s10, s91
	s_cbranch_execz .LBB144_75
; %bb.74:                               ;   in Loop: Header=BB144_3 Depth=1
	ds_load_b64 v[36:37], v5 offset:1040
	s_wait_dscnt 0x0
	v_mul_f64_e32 v[34:35], v[34:35], v[36:37]
	ds_store_b64 v3, v[34:35]
.LBB144_75:                             ;   in Loop: Header=BB144_3 Depth=1
	s_or_b32 exec_lo, exec_lo, s10
	s_wait_dscnt 0x0
	s_barrier_signal -1
	s_barrier_wait -1
	s_and_saveexec_b32 s10, s92
	s_cbranch_execz .LBB144_77
; %bb.76:                               ;   in Loop: Header=BB144_3 Depth=1
	ds_load_b64 v[36:37], v5 offset:1048
	ds_load_b64 v[38:39], v3
	s_wait_dscnt 0x0
	v_fmac_f64_e32 v[34:35], v[36:37], v[38:39]
.LBB144_77:                             ;   in Loop: Header=BB144_3 Depth=1
	s_or_b32 exec_lo, exec_lo, s10
	s_barrier_signal -1
	s_barrier_wait -1
	s_and_saveexec_b32 s10, s92
	s_cbranch_execz .LBB144_79
; %bb.78:                               ;   in Loop: Header=BB144_3 Depth=1
	ds_load_b64 v[36:37], v5 offset:1560
	s_wait_dscnt 0x0
	v_mul_f64_e32 v[34:35], v[34:35], v[36:37]
	ds_store_b64 v3, v[34:35]
.LBB144_79:                             ;   in Loop: Header=BB144_3 Depth=1
	s_or_b32 exec_lo, exec_lo, s10
	s_wait_dscnt 0x0
	s_barrier_signal -1
	s_barrier_wait -1
	s_barrier_signal -1
	s_barrier_wait -1
	s_and_saveexec_b32 s10, s1
; %bb.80:                               ;   in Loop: Header=BB144_3 Depth=1
	s_delay_alu instid0(VALU_DEP_1)
	v_xor_b32_e32 v35, 0x80000000, v35
	ds_store_b64 v43, v[34:35] offset:16
; %bb.81:                               ;   in Loop: Header=BB144_3 Depth=1
	s_or_b32 exec_lo, exec_lo, s10
	s_wait_dscnt 0x0
	s_barrier_signal -1
	s_barrier_wait -1
	s_barrier_signal -1
	s_barrier_wait -1
	s_and_saveexec_b32 s10, s93
	s_cbranch_execz .LBB144_83
; %bb.82:                               ;   in Loop: Header=BB144_3 Depth=1
	ds_load_b64 v[34:35], v48 offset:16
	s_wait_dscnt 0x0
	ds_store_b64 v45, v[34:35] offset:1024
	ds_load_b64 v[34:35], v48 offset:24
	s_wait_dscnt 0x0
	ds_store_b64 v45, v[34:35] offset:1536
.LBB144_83:                             ;   in Loop: Header=BB144_3 Depth=1
	s_or_b32 exec_lo, exec_lo, s10
	s_wait_dscnt 0x0
	s_barrier_signal -1
	s_barrier_wait -1
	s_and_saveexec_b32 s10, s14
	s_cbranch_execz .LBB144_85
; %bb.84:                               ;   in Loop: Header=BB144_3 Depth=1
	ds_load_b128 v[34:37], v5 offset:1040
	ds_load_b64 v[38:39], v5 offset:1560
	s_wait_dscnt 0x0
	v_mul_f64_e32 v[34:35], v[34:35], v[38:39]
	s_delay_alu instid0(VALU_DEP_1)
	v_mul_f64_e32 v[34:35], v[36:37], v[34:35]
	ds_store_2addr_b64 v5, v[34:35], v[34:35] offset0:131 offset1:194
.LBB144_85:                             ;   in Loop: Header=BB144_3 Depth=1
	s_or_b32 exec_lo, exec_lo, s10
	v_mov_b64_e32 v[34:35], 0
	s_wait_dscnt 0x0
	s_barrier_signal -1
	s_barrier_wait -1
	s_and_saveexec_b32 s10, s3
	s_cbranch_execz .LBB144_91
; %bb.86:                               ;   in Loop: Header=BB144_3 Depth=1
	ds_load_b64 v[34:35], v50 offset:32
	ds_load_b64 v[36:37], v46
	s_wait_dscnt 0x0
	v_fma_f64 v[34:35], v[34:35], v[36:37], 0
	s_and_saveexec_b32 s12, s16
	s_cbranch_execnz .LBB144_1099
; %bb.87:                               ;   in Loop: Header=BB144_3 Depth=1
	s_or_b32 exec_lo, exec_lo, s12
	s_and_saveexec_b32 s12, s17
	s_cbranch_execnz .LBB144_1100
.LBB144_88:                             ;   in Loop: Header=BB144_3 Depth=1
	s_or_b32 exec_lo, exec_lo, s12
	s_and_saveexec_b32 s12, s1
	s_cbranch_execz .LBB144_90
.LBB144_89:                             ;   in Loop: Header=BB144_3 Depth=1
	ds_load_b64 v[36:37], v52 offset:1568
	ds_load_b64 v[38:39], v5 offset:24
	s_wait_dscnt 0x0
	v_fmac_f64_e32 v[34:35], v[36:37], v[38:39]
.LBB144_90:                             ;   in Loop: Header=BB144_3 Depth=1
	s_or_b32 exec_lo, exec_lo, s12
	s_delay_alu instid0(VALU_DEP_1)
	v_xor_b32_e32 v35, 0x80000000, v35
.LBB144_91:                             ;   in Loop: Header=BB144_3 Depth=1
	s_or_b32 exec_lo, exec_lo, s10
	s_and_saveexec_b32 s10, s94
	s_cbranch_execz .LBB144_93
; %bb.92:                               ;   in Loop: Header=BB144_3 Depth=1
	ds_load_b64 v[36:37], v5 offset:2080
	s_wait_dscnt 0x0
	v_mul_f64_e32 v[34:35], v[34:35], v[36:37]
	ds_store_b64 v49, v[34:35]
.LBB144_93:                             ;   in Loop: Header=BB144_3 Depth=1
	s_or_b32 exec_lo, exec_lo, s10
	s_wait_dscnt 0x0
	s_barrier_signal -1
	s_barrier_wait -1
	s_and_saveexec_b32 s10, s95
	s_cbranch_execz .LBB144_95
; %bb.94:                               ;   in Loop: Header=BB144_3 Depth=1
	ds_load_b64 v[36:37], v47 offset:2080
	ds_load_b64 v[38:39], v49
	s_wait_dscnt 0x0
	v_fmac_f64_e32 v[34:35], v[36:37], v[38:39]
.LBB144_95:                             ;   in Loop: Header=BB144_3 Depth=1
	s_or_b32 exec_lo, exec_lo, s10
	s_barrier_signal -1
	s_barrier_wait -1
	s_and_saveexec_b32 s10, s96
	s_cbranch_execz .LBB144_97
; %bb.96:                               ;   in Loop: Header=BB144_3 Depth=1
	ds_load_b64 v[36:37], v5 offset:2600
	s_wait_dscnt 0x0
	v_mul_f64_e32 v[34:35], v[34:35], v[36:37]
	ds_store_b64 v49, v[34:35]
.LBB144_97:                             ;   in Loop: Header=BB144_3 Depth=1
	s_or_b32 exec_lo, exec_lo, s10
	s_wait_dscnt 0x0
	s_barrier_signal -1
	s_barrier_wait -1
	s_and_saveexec_b32 s10, s97
	s_cbranch_execz .LBB144_99
; %bb.98:                               ;   in Loop: Header=BB144_3 Depth=1
	ds_load_b64 v[36:37], v47 offset:2592
	ds_load_b64 v[38:39], v49
	s_wait_dscnt 0x0
	v_fmac_f64_e32 v[34:35], v[36:37], v[38:39]
.LBB144_99:                             ;   in Loop: Header=BB144_3 Depth=1
	s_or_b32 exec_lo, exec_lo, s10
	s_barrier_signal -1
	s_barrier_wait -1
	s_and_saveexec_b32 s10, s98
	s_cbranch_execz .LBB144_101
; %bb.100:                              ;   in Loop: Header=BB144_3 Depth=1
	ds_load_b64 v[36:37], v5 offset:3120
	s_wait_dscnt 0x0
	v_mul_f64_e32 v[34:35], v[34:35], v[36:37]
	ds_store_b64 v49, v[34:35]
.LBB144_101:                            ;   in Loop: Header=BB144_3 Depth=1
	s_or_b32 exec_lo, exec_lo, s10
	s_wait_dscnt 0x0
	s_barrier_signal -1
	s_barrier_wait -1
	s_and_saveexec_b32 s10, s99
	s_cbranch_execz .LBB144_103
; %bb.102:                              ;   in Loop: Header=BB144_3 Depth=1
	ds_load_b64 v[36:37], v5 offset:3128
	ds_load_b64 v[38:39], v49
	s_wait_dscnt 0x0
	v_fmac_f64_e32 v[34:35], v[36:37], v[38:39]
.LBB144_103:                            ;   in Loop: Header=BB144_3 Depth=1
	s_or_b32 exec_lo, exec_lo, s10
	s_barrier_signal -1
	s_barrier_wait -1
	s_and_saveexec_b32 s10, s99
	s_cbranch_execz .LBB144_105
; %bb.104:                              ;   in Loop: Header=BB144_3 Depth=1
	ds_load_b64 v[36:37], v5 offset:3640
	s_wait_dscnt 0x0
	v_mul_f64_e32 v[34:35], v[34:35], v[36:37]
	ds_store_b64 v49, v[34:35]
.LBB144_105:                            ;   in Loop: Header=BB144_3 Depth=1
	s_or_b32 exec_lo, exec_lo, s10
	s_wait_dscnt 0x0
	s_barrier_signal -1
	s_barrier_wait -1
	s_barrier_signal -1
	s_barrier_wait -1
	s_and_saveexec_b32 s10, s3
; %bb.106:                              ;   in Loop: Header=BB144_3 Depth=1
	s_delay_alu instid0(VALU_DEP_1)
	v_xor_b32_e32 v35, 0x80000000, v35
	ds_store_b64 v50, v[34:35] offset:32
; %bb.107:                              ;   in Loop: Header=BB144_3 Depth=1
	s_or_b32 exec_lo, exec_lo, s10
	s_wait_dscnt 0x0
	s_barrier_signal -1
	s_barrier_wait -1
	s_barrier_signal -1
	s_barrier_wait -1
	s_and_saveexec_b32 s10, s100
	s_cbranch_execz .LBB144_109
; %bb.108:                              ;   in Loop: Header=BB144_3 Depth=1
	ds_load_b64 v[34:35], v53 offset:32
	s_wait_dscnt 0x0
	ds_store_b64 v54, v[34:35] offset:2048
	ds_load_b64 v[34:35], v53 offset:40
	s_wait_dscnt 0x0
	ds_store_b64 v54, v[34:35] offset:2560
	;; [unrolled: 3-line block ×4, first 2 shown]
.LBB144_109:                            ;   in Loop: Header=BB144_3 Depth=1
	s_or_b32 exec_lo, exec_lo, s10
	s_wait_dscnt 0x0
	s_barrier_signal -1
	s_barrier_wait -1
	s_and_saveexec_b32 s10, s14
	s_cbranch_execz .LBB144_111
; %bb.110:                              ;   in Loop: Header=BB144_3 Depth=1
	ds_load_b128 v[34:37], v5 offset:2080
	ds_load_b64 v[38:39], v5 offset:2600
	s_wait_dscnt 0x0
	v_mul_f64_e32 v[34:35], v[34:35], v[38:39]
	s_delay_alu instid0(VALU_DEP_1)
	v_mul_f64_e32 v[34:35], v[36:37], v[34:35]
	v_add_nc_u32_e64 v36, 0x800, 0
	ds_store_2addr_b64 v36, v[34:35], v[34:35] offset0:5 offset1:68
.LBB144_111:                            ;   in Loop: Header=BB144_3 Depth=1
	s_or_b32 exec_lo, exec_lo, s10
	v_mov_b64_e32 v[34:35], 0
	s_wait_dscnt 0x0
	s_barrier_signal -1
	s_barrier_wait -1
	s_and_saveexec_b32 s10, s1
	s_cbranch_execz .LBB144_115
; %bb.112:                              ;   in Loop: Header=BB144_3 Depth=1
	ds_load_b64 v[34:35], v43 offset:2096
	ds_load_b64 v[36:37], v44 offset:2080
	s_wait_dscnt 0x0
	v_fma_f64 v[34:35], v[34:35], v[36:37], 0
	s_and_saveexec_b32 s12, s15
	s_cbranch_execz .LBB144_114
; %bb.113:                              ;   in Loop: Header=BB144_3 Depth=1
	ds_load_b64 v[36:37], v54 offset:2608
	ds_load_b64 v[38:39], v5 offset:2088
	s_wait_dscnt 0x0
	v_fmac_f64_e32 v[34:35], v[36:37], v[38:39]
.LBB144_114:                            ;   in Loop: Header=BB144_3 Depth=1
	s_or_b32 exec_lo, exec_lo, s12
	s_delay_alu instid0(VALU_DEP_1)
	v_xor_b32_e32 v35, 0x80000000, v35
.LBB144_115:                            ;   in Loop: Header=BB144_3 Depth=1
	s_or_b32 exec_lo, exec_lo, s10
	s_and_saveexec_b32 s10, s91
	s_cbranch_execz .LBB144_117
; %bb.116:                              ;   in Loop: Header=BB144_3 Depth=1
	ds_load_b64 v[36:37], v5 offset:3120
	s_wait_dscnt 0x0
	v_mul_f64_e32 v[34:35], v[34:35], v[36:37]
	ds_store_b64 v3, v[34:35]
.LBB144_117:                            ;   in Loop: Header=BB144_3 Depth=1
	s_or_b32 exec_lo, exec_lo, s10
	s_wait_dscnt 0x0
	s_barrier_signal -1
	s_barrier_wait -1
	s_and_saveexec_b32 s10, s92
	s_cbranch_execz .LBB144_119
; %bb.118:                              ;   in Loop: Header=BB144_3 Depth=1
	ds_load_b64 v[36:37], v5 offset:3128
	ds_load_b64 v[38:39], v3
	s_wait_dscnt 0x0
	v_fmac_f64_e32 v[34:35], v[36:37], v[38:39]
.LBB144_119:                            ;   in Loop: Header=BB144_3 Depth=1
	s_or_b32 exec_lo, exec_lo, s10
	s_barrier_signal -1
	s_barrier_wait -1
	s_and_saveexec_b32 s10, s92
	s_cbranch_execz .LBB144_121
; %bb.120:                              ;   in Loop: Header=BB144_3 Depth=1
	ds_load_b64 v[36:37], v5 offset:3640
	s_wait_dscnt 0x0
	v_mul_f64_e32 v[34:35], v[34:35], v[36:37]
	ds_store_b64 v3, v[34:35]
.LBB144_121:                            ;   in Loop: Header=BB144_3 Depth=1
	s_or_b32 exec_lo, exec_lo, s10
	s_wait_dscnt 0x0
	s_barrier_signal -1
	s_barrier_wait -1
	s_barrier_signal -1
	s_barrier_wait -1
	s_and_saveexec_b32 s10, s1
; %bb.122:                              ;   in Loop: Header=BB144_3 Depth=1
	s_delay_alu instid0(VALU_DEP_1)
	v_xor_b32_e32 v35, 0x80000000, v35
	ds_store_b64 v43, v[34:35] offset:2096
; %bb.123:                              ;   in Loop: Header=BB144_3 Depth=1
	s_or_b32 exec_lo, exec_lo, s10
	s_wait_dscnt 0x0
	s_barrier_signal -1
	s_barrier_wait -1
	s_barrier_signal -1
	s_barrier_wait -1
	s_and_saveexec_b32 s10, s93
	s_cbranch_execz .LBB144_125
; %bb.124:                              ;   in Loop: Header=BB144_3 Depth=1
	ds_load_b64 v[34:35], v57 offset:2096
	s_wait_dscnt 0x0
	ds_store_b64 v54, v[34:35] offset:3104
	ds_load_b64 v[34:35], v57 offset:2104
	s_wait_dscnt 0x0
	ds_store_b64 v54, v[34:35] offset:3616
.LBB144_125:                            ;   in Loop: Header=BB144_3 Depth=1
	s_or_b32 exec_lo, exec_lo, s10
	s_wait_dscnt 0x0
	s_barrier_signal -1
	s_barrier_wait -1
	s_and_saveexec_b32 s10, s14
	s_cbranch_execz .LBB144_127
; %bb.126:                              ;   in Loop: Header=BB144_3 Depth=1
	ds_load_b128 v[34:37], v5 offset:3120
	ds_load_b64 v[38:39], v5 offset:3640
	s_wait_dscnt 0x0
	v_mul_f64_e32 v[34:35], v[34:35], v[38:39]
	s_delay_alu instid0(VALU_DEP_1)
	v_mul_f64_e32 v[34:35], v[36:37], v[34:35]
	v_add_nc_u32_e64 v36, 0x800, 0
	ds_store_2addr_b64 v36, v[34:35], v[34:35] offset0:135 offset1:198
.LBB144_127:                            ;   in Loop: Header=BB144_3 Depth=1
	s_or_b32 exec_lo, exec_lo, s10
	v_mov_b64_e32 v[34:35], 0
	s_wait_dscnt 0x0
	s_barrier_signal -1
	s_barrier_wait -1
	s_and_saveexec_b32 s10, s4
	s_cbranch_execz .LBB144_137
; %bb.128:                              ;   in Loop: Header=BB144_3 Depth=1
	ds_load_b64 v[34:35], v59 offset:64
	ds_load_b64 v[36:37], v55
	s_wait_dscnt 0x0
	v_fma_f64 v[34:35], v[34:35], v[36:37], 0
	s_and_saveexec_b32 s12, s18
	s_cbranch_execnz .LBB144_1101
; %bb.129:                              ;   in Loop: Header=BB144_3 Depth=1
	s_or_b32 exec_lo, exec_lo, s12
	s_and_saveexec_b32 s12, s19
	s_cbranch_execnz .LBB144_1102
.LBB144_130:                            ;   in Loop: Header=BB144_3 Depth=1
	s_or_b32 exec_lo, exec_lo, s12
	s_and_saveexec_b32 s12, s20
	s_cbranch_execnz .LBB144_1103
.LBB144_131:                            ;   in Loop: Header=BB144_3 Depth=1
	s_or_b32 exec_lo, exec_lo, s12
	s_and_saveexec_b32 s12, s21
	s_cbranch_execnz .LBB144_1104
.LBB144_132:                            ;   in Loop: Header=BB144_3 Depth=1
	s_or_b32 exec_lo, exec_lo, s12
	s_and_saveexec_b32 s12, s22
	s_cbranch_execnz .LBB144_1105
.LBB144_133:                            ;   in Loop: Header=BB144_3 Depth=1
	s_or_b32 exec_lo, exec_lo, s12
	s_and_saveexec_b32 s12, s3
	s_cbranch_execnz .LBB144_1106
.LBB144_134:                            ;   in Loop: Header=BB144_3 Depth=1
	s_or_b32 exec_lo, exec_lo, s12
	s_and_saveexec_b32 s12, s17
	s_cbranch_execz .LBB144_136
.LBB144_135:                            ;   in Loop: Header=BB144_3 Depth=1
	ds_load_b64 v[36:37], v61 offset:3648
	ds_load_b64 v[38:39], v5 offset:56
	s_wait_dscnt 0x0
	v_fmac_f64_e32 v[34:35], v[36:37], v[38:39]
.LBB144_136:                            ;   in Loop: Header=BB144_3 Depth=1
	s_or_b32 exec_lo, exec_lo, s12
	s_delay_alu instid0(VALU_DEP_1)
	v_xor_b32_e32 v35, 0x80000000, v35
.LBB144_137:                            ;   in Loop: Header=BB144_3 Depth=1
	s_or_b32 exec_lo, exec_lo, s10
	s_and_saveexec_b32 s10, s101
	s_cbranch_execz .LBB144_139
; %bb.138:                              ;   in Loop: Header=BB144_3 Depth=1
	ds_load_b64 v[36:37], v5 offset:4160
	s_wait_dscnt 0x0
	v_mul_f64_e32 v[34:35], v[34:35], v[36:37]
	ds_store_b64 v58, v[34:35]
.LBB144_139:                            ;   in Loop: Header=BB144_3 Depth=1
	s_or_b32 exec_lo, exec_lo, s10
	s_wait_dscnt 0x0
	s_barrier_signal -1
	s_barrier_wait -1
	s_and_saveexec_b32 s10, s102
	s_cbranch_execz .LBB144_141
; %bb.140:                              ;   in Loop: Header=BB144_3 Depth=1
	ds_load_b64 v[36:37], v56 offset:4160
	ds_load_b64 v[38:39], v58
	s_wait_dscnt 0x0
	v_fmac_f64_e32 v[34:35], v[36:37], v[38:39]
.LBB144_141:                            ;   in Loop: Header=BB144_3 Depth=1
	s_or_b32 exec_lo, exec_lo, s10
	s_barrier_signal -1
	s_barrier_wait -1
	s_and_saveexec_b32 s10, s103
	s_cbranch_execz .LBB144_143
; %bb.142:                              ;   in Loop: Header=BB144_3 Depth=1
	ds_load_b64 v[36:37], v5 offset:4680
	s_wait_dscnt 0x0
	v_mul_f64_e32 v[34:35], v[34:35], v[36:37]
	ds_store_b64 v58, v[34:35]
.LBB144_143:                            ;   in Loop: Header=BB144_3 Depth=1
	s_or_b32 exec_lo, exec_lo, s10
	s_wait_dscnt 0x0
	s_barrier_signal -1
	s_barrier_wait -1
	s_and_saveexec_b32 s10, s104
	s_cbranch_execz .LBB144_145
; %bb.144:                              ;   in Loop: Header=BB144_3 Depth=1
	ds_load_b64 v[36:37], v56 offset:4672
	ds_load_b64 v[38:39], v58
	s_wait_dscnt 0x0
	v_fmac_f64_e32 v[34:35], v[36:37], v[38:39]
.LBB144_145:                            ;   in Loop: Header=BB144_3 Depth=1
	s_or_b32 exec_lo, exec_lo, s10
	s_barrier_signal -1
	s_barrier_wait -1
	s_and_saveexec_b32 s10, vcc_hi
	s_cbranch_execz .LBB144_147
; %bb.146:                              ;   in Loop: Header=BB144_3 Depth=1
	ds_load_b64 v[36:37], v5 offset:5200
	s_wait_dscnt 0x0
	v_mul_f64_e32 v[34:35], v[34:35], v[36:37]
	ds_store_b64 v58, v[34:35]
.LBB144_147:                            ;   in Loop: Header=BB144_3 Depth=1
	s_or_b32 exec_lo, exec_lo, s10
	s_wait_dscnt 0x0
	s_barrier_signal -1
	s_barrier_wait -1
	s_and_saveexec_b32 s10, s36
	s_cbranch_execz .LBB144_149
; %bb.148:                              ;   in Loop: Header=BB144_3 Depth=1
	ds_load_b64 v[36:37], v56 offset:5184
	ds_load_b64 v[38:39], v58
	s_wait_dscnt 0x0
	v_fmac_f64_e32 v[34:35], v[36:37], v[38:39]
.LBB144_149:                            ;   in Loop: Header=BB144_3 Depth=1
	s_or_b32 exec_lo, exec_lo, s10
	s_barrier_signal -1
	s_barrier_wait -1
	s_and_saveexec_b32 s10, s37
	s_cbranch_execz .LBB144_151
; %bb.150:                              ;   in Loop: Header=BB144_3 Depth=1
	ds_load_b64 v[36:37], v5 offset:5720
	s_wait_dscnt 0x0
	v_mul_f64_e32 v[34:35], v[34:35], v[36:37]
	ds_store_b64 v58, v[34:35]
.LBB144_151:                            ;   in Loop: Header=BB144_3 Depth=1
	s_or_b32 exec_lo, exec_lo, s10
	s_wait_dscnt 0x0
	s_barrier_signal -1
	s_barrier_wait -1
	s_and_saveexec_b32 s10, s38
	s_cbranch_execz .LBB144_153
; %bb.152:                              ;   in Loop: Header=BB144_3 Depth=1
	ds_load_b64 v[36:37], v56 offset:5696
	ds_load_b64 v[38:39], v58
	s_wait_dscnt 0x0
	v_fmac_f64_e32 v[34:35], v[36:37], v[38:39]
.LBB144_153:                            ;   in Loop: Header=BB144_3 Depth=1
	s_or_b32 exec_lo, exec_lo, s10
	s_barrier_signal -1
	s_barrier_wait -1
	s_and_saveexec_b32 s10, s39
	;; [unrolled: 23-line block ×5, first 2 shown]
	s_cbranch_execz .LBB144_167
; %bb.166:                              ;   in Loop: Header=BB144_3 Depth=1
	ds_load_b64 v[36:37], v5 offset:7800
	s_wait_dscnt 0x0
	v_mul_f64_e32 v[34:35], v[34:35], v[36:37]
	ds_store_b64 v58, v[34:35]
.LBB144_167:                            ;   in Loop: Header=BB144_3 Depth=1
	s_or_b32 exec_lo, exec_lo, s10
	s_wait_dscnt 0x0
	s_barrier_signal -1
	s_barrier_wait -1
	s_barrier_signal -1
	s_barrier_wait -1
	s_and_saveexec_b32 s10, s4
; %bb.168:                              ;   in Loop: Header=BB144_3 Depth=1
	s_delay_alu instid0(VALU_DEP_1)
	v_xor_b32_e32 v35, 0x80000000, v35
	ds_store_b64 v59, v[34:35] offset:64
; %bb.169:                              ;   in Loop: Header=BB144_3 Depth=1
	s_or_b32 exec_lo, exec_lo, s10
	s_wait_dscnt 0x0
	s_barrier_signal -1
	s_barrier_wait -1
	s_barrier_signal -1
	s_barrier_wait -1
	s_and_saveexec_b32 s10, s45
	s_cbranch_execz .LBB144_171
; %bb.170:                              ;   in Loop: Header=BB144_3 Depth=1
	ds_load_b64 v[34:35], v63 offset:64
	s_wait_dscnt 0x0
	ds_store_b64 v71, v[34:35] offset:4096
	ds_load_b64 v[34:35], v63 offset:72
	s_wait_dscnt 0x0
	ds_store_b64 v71, v[34:35] offset:4608
	ds_load_b64 v[34:35], v63 offset:80
	s_wait_dscnt 0x0
	ds_store_b64 v71, v[34:35] offset:5120
	ds_load_b64 v[34:35], v63 offset:88
	s_wait_dscnt 0x0
	ds_store_b64 v71, v[34:35] offset:5632
	ds_load_b64 v[34:35], v63 offset:96
	s_wait_dscnt 0x0
	ds_store_b64 v71, v[34:35] offset:6144
	ds_load_b64 v[34:35], v63 offset:104
	s_wait_dscnt 0x0
	ds_store_b64 v71, v[34:35] offset:6656
	ds_load_b64 v[34:35], v63 offset:112
	s_wait_dscnt 0x0
	ds_store_b64 v71, v[34:35] offset:7168
	ds_load_b64 v[34:35], v63 offset:120
	s_wait_dscnt 0x0
	ds_store_b64 v71, v[34:35] offset:7680
.LBB144_171:                            ;   in Loop: Header=BB144_3 Depth=1
	s_or_b32 exec_lo, exec_lo, s10
	s_wait_dscnt 0x0
	s_barrier_signal -1
	s_barrier_wait -1
	s_and_saveexec_b32 s10, s14
	s_cbranch_execz .LBB144_173
; %bb.172:                              ;   in Loop: Header=BB144_3 Depth=1
	ds_load_b128 v[34:37], v5 offset:4160
	ds_load_b64 v[38:39], v5 offset:4680
	s_wait_dscnt 0x0
	v_mul_f64_e32 v[34:35], v[34:35], v[38:39]
	s_delay_alu instid0(VALU_DEP_1)
	v_mul_f64_e32 v[34:35], v[36:37], v[34:35]
	v_add_nc_u32_e64 v36, 0x1000, 0
	ds_store_2addr_b64 v36, v[34:35], v[34:35] offset0:9 offset1:72
.LBB144_173:                            ;   in Loop: Header=BB144_3 Depth=1
	s_or_b32 exec_lo, exec_lo, s10
	v_mov_b64_e32 v[34:35], 0
	s_wait_dscnt 0x0
	s_barrier_signal -1
	s_barrier_wait -1
	s_and_saveexec_b32 s10, s1
	s_cbranch_execz .LBB144_177
; %bb.174:                              ;   in Loop: Header=BB144_3 Depth=1
	ds_load_b64 v[34:35], v43 offset:4176
	ds_load_b64 v[36:37], v44 offset:4160
	s_wait_dscnt 0x0
	v_fma_f64 v[34:35], v[34:35], v[36:37], 0
	s_and_saveexec_b32 s12, s15
	s_cbranch_execz .LBB144_176
; %bb.175:                              ;   in Loop: Header=BB144_3 Depth=1
	ds_load_b64 v[36:37], v71 offset:4688
	ds_load_b64 v[38:39], v5 offset:4168
	s_wait_dscnt 0x0
	v_fmac_f64_e32 v[34:35], v[36:37], v[38:39]
.LBB144_176:                            ;   in Loop: Header=BB144_3 Depth=1
	s_or_b32 exec_lo, exec_lo, s12
	s_delay_alu instid0(VALU_DEP_1)
	v_xor_b32_e32 v35, 0x80000000, v35
.LBB144_177:                            ;   in Loop: Header=BB144_3 Depth=1
	s_or_b32 exec_lo, exec_lo, s10
	s_and_saveexec_b32 s10, s91
	s_cbranch_execz .LBB144_179
; %bb.178:                              ;   in Loop: Header=BB144_3 Depth=1
	ds_load_b64 v[36:37], v5 offset:5200
	s_wait_dscnt 0x0
	v_mul_f64_e32 v[34:35], v[34:35], v[36:37]
	ds_store_b64 v3, v[34:35]
.LBB144_179:                            ;   in Loop: Header=BB144_3 Depth=1
	s_or_b32 exec_lo, exec_lo, s10
	s_wait_dscnt 0x0
	s_barrier_signal -1
	s_barrier_wait -1
	s_and_saveexec_b32 s10, s92
	s_cbranch_execz .LBB144_181
; %bb.180:                              ;   in Loop: Header=BB144_3 Depth=1
	ds_load_b64 v[36:37], v5 offset:5208
	ds_load_b64 v[38:39], v3
	s_wait_dscnt 0x0
	v_fmac_f64_e32 v[34:35], v[36:37], v[38:39]
.LBB144_181:                            ;   in Loop: Header=BB144_3 Depth=1
	s_or_b32 exec_lo, exec_lo, s10
	s_barrier_signal -1
	s_barrier_wait -1
	s_and_saveexec_b32 s10, s92
	s_cbranch_execz .LBB144_183
; %bb.182:                              ;   in Loop: Header=BB144_3 Depth=1
	ds_load_b64 v[36:37], v5 offset:5720
	s_wait_dscnt 0x0
	v_mul_f64_e32 v[34:35], v[34:35], v[36:37]
	ds_store_b64 v3, v[34:35]
.LBB144_183:                            ;   in Loop: Header=BB144_3 Depth=1
	s_or_b32 exec_lo, exec_lo, s10
	s_wait_dscnt 0x0
	s_barrier_signal -1
	s_barrier_wait -1
	s_barrier_signal -1
	s_barrier_wait -1
	s_and_saveexec_b32 s10, s1
; %bb.184:                              ;   in Loop: Header=BB144_3 Depth=1
	s_delay_alu instid0(VALU_DEP_1)
	v_xor_b32_e32 v35, 0x80000000, v35
	ds_store_b64 v43, v[34:35] offset:4176
; %bb.185:                              ;   in Loop: Header=BB144_3 Depth=1
	s_or_b32 exec_lo, exec_lo, s10
	s_wait_dscnt 0x0
	s_barrier_signal -1
	s_barrier_wait -1
	s_barrier_signal -1
	s_barrier_wait -1
	s_and_saveexec_b32 s10, s93
	s_cbranch_execz .LBB144_187
; %bb.186:                              ;   in Loop: Header=BB144_3 Depth=1
	ds_load_b64 v[34:35], v72 offset:4176
	s_wait_dscnt 0x0
	ds_store_b64 v71, v[34:35] offset:5184
	ds_load_b64 v[34:35], v72 offset:4184
	s_wait_dscnt 0x0
	ds_store_b64 v71, v[34:35] offset:5696
.LBB144_187:                            ;   in Loop: Header=BB144_3 Depth=1
	s_or_b32 exec_lo, exec_lo, s10
	s_wait_dscnt 0x0
	s_barrier_signal -1
	s_barrier_wait -1
	s_and_saveexec_b32 s10, s14
	s_cbranch_execz .LBB144_189
; %bb.188:                              ;   in Loop: Header=BB144_3 Depth=1
	ds_load_b128 v[34:37], v5 offset:5200
	ds_load_b64 v[38:39], v5 offset:5720
	s_wait_dscnt 0x0
	v_mul_f64_e32 v[34:35], v[34:35], v[38:39]
	s_delay_alu instid0(VALU_DEP_1)
	v_mul_f64_e32 v[34:35], v[36:37], v[34:35]
	v_add_nc_u32_e64 v36, 0x1000, 0
	ds_store_2addr_b64 v36, v[34:35], v[34:35] offset0:139 offset1:202
.LBB144_189:                            ;   in Loop: Header=BB144_3 Depth=1
	s_or_b32 exec_lo, exec_lo, s10
	v_mov_b64_e32 v[34:35], 0
	s_wait_dscnt 0x0
	s_barrier_signal -1
	s_barrier_wait -1
	s_and_saveexec_b32 s10, s3
	s_cbranch_execz .LBB144_195
; %bb.190:                              ;   in Loop: Header=BB144_3 Depth=1
	ds_load_b64 v[34:35], v50 offset:4192
	ds_load_b64 v[36:37], v46 offset:4160
	s_wait_dscnt 0x0
	v_fma_f64 v[34:35], v[34:35], v[36:37], 0
	s_and_saveexec_b32 s12, s16
	s_cbranch_execnz .LBB144_1107
; %bb.191:                              ;   in Loop: Header=BB144_3 Depth=1
	s_or_b32 exec_lo, exec_lo, s12
	s_and_saveexec_b32 s12, s17
	s_cbranch_execnz .LBB144_1108
.LBB144_192:                            ;   in Loop: Header=BB144_3 Depth=1
	s_or_b32 exec_lo, exec_lo, s12
	s_and_saveexec_b32 s12, s1
	s_cbranch_execz .LBB144_194
.LBB144_193:                            ;   in Loop: Header=BB144_3 Depth=1
	ds_load_b64 v[36:37], v73 offset:5728
	ds_load_b64 v[38:39], v5 offset:4184
	s_wait_dscnt 0x0
	v_fmac_f64_e32 v[34:35], v[36:37], v[38:39]
.LBB144_194:                            ;   in Loop: Header=BB144_3 Depth=1
	s_or_b32 exec_lo, exec_lo, s12
	s_delay_alu instid0(VALU_DEP_1)
	v_xor_b32_e32 v35, 0x80000000, v35
.LBB144_195:                            ;   in Loop: Header=BB144_3 Depth=1
	s_or_b32 exec_lo, exec_lo, s10
	s_and_saveexec_b32 s10, s94
	s_cbranch_execz .LBB144_197
; %bb.196:                              ;   in Loop: Header=BB144_3 Depth=1
	ds_load_b64 v[36:37], v5 offset:6240
	s_wait_dscnt 0x0
	v_mul_f64_e32 v[34:35], v[34:35], v[36:37]
	ds_store_b64 v49, v[34:35]
.LBB144_197:                            ;   in Loop: Header=BB144_3 Depth=1
	s_or_b32 exec_lo, exec_lo, s10
	s_wait_dscnt 0x0
	s_barrier_signal -1
	s_barrier_wait -1
	s_and_saveexec_b32 s10, s95
	s_cbranch_execz .LBB144_199
; %bb.198:                              ;   in Loop: Header=BB144_3 Depth=1
	ds_load_b64 v[36:37], v47 offset:6240
	ds_load_b64 v[38:39], v49
	s_wait_dscnt 0x0
	v_fmac_f64_e32 v[34:35], v[36:37], v[38:39]
.LBB144_199:                            ;   in Loop: Header=BB144_3 Depth=1
	s_or_b32 exec_lo, exec_lo, s10
	s_barrier_signal -1
	s_barrier_wait -1
	s_and_saveexec_b32 s10, s96
	s_cbranch_execz .LBB144_201
; %bb.200:                              ;   in Loop: Header=BB144_3 Depth=1
	ds_load_b64 v[36:37], v5 offset:6760
	s_wait_dscnt 0x0
	v_mul_f64_e32 v[34:35], v[34:35], v[36:37]
	ds_store_b64 v49, v[34:35]
.LBB144_201:                            ;   in Loop: Header=BB144_3 Depth=1
	s_or_b32 exec_lo, exec_lo, s10
	s_wait_dscnt 0x0
	s_barrier_signal -1
	s_barrier_wait -1
	s_and_saveexec_b32 s10, s97
	s_cbranch_execz .LBB144_203
; %bb.202:                              ;   in Loop: Header=BB144_3 Depth=1
	ds_load_b64 v[36:37], v47 offset:6752
	ds_load_b64 v[38:39], v49
	s_wait_dscnt 0x0
	v_fmac_f64_e32 v[34:35], v[36:37], v[38:39]
.LBB144_203:                            ;   in Loop: Header=BB144_3 Depth=1
	s_or_b32 exec_lo, exec_lo, s10
	s_barrier_signal -1
	s_barrier_wait -1
	;; [unrolled: 23-line block ×3, first 2 shown]
	s_and_saveexec_b32 s10, s99
	s_cbranch_execz .LBB144_209
; %bb.208:                              ;   in Loop: Header=BB144_3 Depth=1
	ds_load_b64 v[36:37], v5 offset:7800
	s_wait_dscnt 0x0
	v_mul_f64_e32 v[34:35], v[34:35], v[36:37]
	ds_store_b64 v49, v[34:35]
.LBB144_209:                            ;   in Loop: Header=BB144_3 Depth=1
	s_or_b32 exec_lo, exec_lo, s10
	s_wait_dscnt 0x0
	s_barrier_signal -1
	s_barrier_wait -1
	s_barrier_signal -1
	s_barrier_wait -1
	s_and_saveexec_b32 s10, s3
; %bb.210:                              ;   in Loop: Header=BB144_3 Depth=1
	s_delay_alu instid0(VALU_DEP_1)
	v_xor_b32_e32 v35, 0x80000000, v35
	ds_store_b64 v50, v[34:35] offset:4192
; %bb.211:                              ;   in Loop: Header=BB144_3 Depth=1
	s_or_b32 exec_lo, exec_lo, s10
	s_wait_dscnt 0x0
	s_barrier_signal -1
	s_barrier_wait -1
	s_barrier_signal -1
	s_barrier_wait -1
	s_and_saveexec_b32 s10, s100
	s_cbranch_execz .LBB144_213
; %bb.212:                              ;   in Loop: Header=BB144_3 Depth=1
	ds_load_b64 v[34:35], v74 offset:4192
	s_wait_dscnt 0x0
	ds_store_b64 v77, v[34:35] offset:6208
	ds_load_b64 v[34:35], v74 offset:4200
	s_wait_dscnt 0x0
	ds_store_b64 v77, v[34:35] offset:6720
	;; [unrolled: 3-line block ×4, first 2 shown]
.LBB144_213:                            ;   in Loop: Header=BB144_3 Depth=1
	s_or_b32 exec_lo, exec_lo, s10
	s_wait_dscnt 0x0
	s_barrier_signal -1
	s_barrier_wait -1
	s_and_saveexec_b32 s10, s14
	s_cbranch_execz .LBB144_215
; %bb.214:                              ;   in Loop: Header=BB144_3 Depth=1
	ds_load_b128 v[34:37], v5 offset:6240
	ds_load_b64 v[38:39], v5 offset:6760
	s_wait_dscnt 0x0
	v_mul_f64_e32 v[34:35], v[34:35], v[38:39]
	s_delay_alu instid0(VALU_DEP_1)
	v_mul_f64_e32 v[34:35], v[36:37], v[34:35]
	v_add_nc_u32_e64 v36, 0x1800, 0
	ds_store_2addr_b64 v36, v[34:35], v[34:35] offset0:13 offset1:76
.LBB144_215:                            ;   in Loop: Header=BB144_3 Depth=1
	s_or_b32 exec_lo, exec_lo, s10
	v_mov_b64_e32 v[34:35], 0
	s_wait_dscnt 0x0
	s_barrier_signal -1
	s_barrier_wait -1
	s_and_saveexec_b32 s10, s1
	s_cbranch_execz .LBB144_219
; %bb.216:                              ;   in Loop: Header=BB144_3 Depth=1
	ds_load_b64 v[34:35], v43 offset:6256
	ds_load_b64 v[36:37], v44 offset:6240
	s_wait_dscnt 0x0
	v_fma_f64 v[34:35], v[34:35], v[36:37], 0
	s_and_saveexec_b32 s12, s15
	s_cbranch_execz .LBB144_218
; %bb.217:                              ;   in Loop: Header=BB144_3 Depth=1
	ds_load_b64 v[36:37], v77 offset:6768
	ds_load_b64 v[38:39], v5 offset:6248
	s_wait_dscnt 0x0
	v_fmac_f64_e32 v[34:35], v[36:37], v[38:39]
.LBB144_218:                            ;   in Loop: Header=BB144_3 Depth=1
	s_or_b32 exec_lo, exec_lo, s12
	s_delay_alu instid0(VALU_DEP_1)
	v_xor_b32_e32 v35, 0x80000000, v35
.LBB144_219:                            ;   in Loop: Header=BB144_3 Depth=1
	s_or_b32 exec_lo, exec_lo, s10
	s_and_saveexec_b32 s10, s91
	s_cbranch_execz .LBB144_221
; %bb.220:                              ;   in Loop: Header=BB144_3 Depth=1
	ds_load_b64 v[36:37], v5 offset:7280
	s_wait_dscnt 0x0
	v_mul_f64_e32 v[34:35], v[34:35], v[36:37]
	ds_store_b64 v3, v[34:35]
.LBB144_221:                            ;   in Loop: Header=BB144_3 Depth=1
	s_or_b32 exec_lo, exec_lo, s10
	s_wait_dscnt 0x0
	s_barrier_signal -1
	s_barrier_wait -1
	s_and_saveexec_b32 s10, s92
	s_cbranch_execz .LBB144_223
; %bb.222:                              ;   in Loop: Header=BB144_3 Depth=1
	ds_load_b64 v[36:37], v5 offset:7288
	ds_load_b64 v[38:39], v3
	s_wait_dscnt 0x0
	v_fmac_f64_e32 v[34:35], v[36:37], v[38:39]
.LBB144_223:                            ;   in Loop: Header=BB144_3 Depth=1
	s_or_b32 exec_lo, exec_lo, s10
	s_barrier_signal -1
	s_barrier_wait -1
	s_and_saveexec_b32 s10, s92
	s_cbranch_execz .LBB144_225
; %bb.224:                              ;   in Loop: Header=BB144_3 Depth=1
	ds_load_b64 v[36:37], v5 offset:7800
	s_wait_dscnt 0x0
	v_mul_f64_e32 v[34:35], v[34:35], v[36:37]
	ds_store_b64 v3, v[34:35]
.LBB144_225:                            ;   in Loop: Header=BB144_3 Depth=1
	s_or_b32 exec_lo, exec_lo, s10
	s_wait_dscnt 0x0
	s_barrier_signal -1
	s_barrier_wait -1
	s_barrier_signal -1
	s_barrier_wait -1
	s_and_saveexec_b32 s10, s1
; %bb.226:                              ;   in Loop: Header=BB144_3 Depth=1
	s_delay_alu instid0(VALU_DEP_1)
	v_xor_b32_e32 v35, 0x80000000, v35
	ds_store_b64 v43, v[34:35] offset:6256
; %bb.227:                              ;   in Loop: Header=BB144_3 Depth=1
	s_or_b32 exec_lo, exec_lo, s10
	s_wait_dscnt 0x0
	s_barrier_signal -1
	s_barrier_wait -1
	s_barrier_signal -1
	s_barrier_wait -1
	s_and_saveexec_b32 s10, s93
	s_cbranch_execz .LBB144_229
; %bb.228:                              ;   in Loop: Header=BB144_3 Depth=1
	ds_load_b64 v[34:35], v79 offset:6256
	s_wait_dscnt 0x0
	ds_store_b64 v77, v[34:35] offset:7264
	ds_load_b64 v[34:35], v79 offset:6264
	s_wait_dscnt 0x0
	ds_store_b64 v77, v[34:35] offset:7776
.LBB144_229:                            ;   in Loop: Header=BB144_3 Depth=1
	s_or_b32 exec_lo, exec_lo, s10
	s_wait_dscnt 0x0
	s_barrier_signal -1
	s_barrier_wait -1
	s_and_saveexec_b32 s10, s14
	s_cbranch_execz .LBB144_231
; %bb.230:                              ;   in Loop: Header=BB144_3 Depth=1
	ds_load_b128 v[34:37], v5 offset:7280
	ds_load_b64 v[38:39], v5 offset:7800
	s_wait_dscnt 0x0
	v_mul_f64_e32 v[34:35], v[34:35], v[38:39]
	s_delay_alu instid0(VALU_DEP_1)
	v_mul_f64_e32 v[34:35], v[36:37], v[34:35]
	v_add_nc_u32_e64 v36, 0x1800, 0
	ds_store_2addr_b64 v36, v[34:35], v[34:35] offset0:143 offset1:206
.LBB144_231:                            ;   in Loop: Header=BB144_3 Depth=1
	s_or_b32 exec_lo, exec_lo, s10
	v_mov_b64_e32 v[34:35], 0
	s_wait_dscnt 0x0
	s_barrier_signal -1
	s_barrier_wait -1
	s_and_saveexec_b32 s84, s5
	s_cbranch_execz .LBB144_259
; %bb.232:                              ;   in Loop: Header=BB144_3 Depth=1
	ds_load_b64 v[34:35], v66 offset:128
	ds_load_b64 v[36:37], v62
	s_wait_dscnt 0x0
	v_fma_f64 v[34:35], v[34:35], v[36:37], 0
	s_mov_b32 s10, exec_lo
	v_readlane_b32 s12, v100, 27
	s_and_b32 s12, s10, s12
	s_delay_alu instid0(SALU_CYCLE_1)
	s_mov_b32 exec_lo, s12
	s_cbranch_execz .LBB144_234
; %bb.233:                              ;   in Loop: Header=BB144_3 Depth=1
	ds_load_b64 v[36:37], v67 offset:640
	ds_load_b64 v[38:39], v62 offset:8
	s_wait_dscnt 0x0
	v_fmac_f64_e32 v[34:35], v[36:37], v[38:39]
.LBB144_234:                            ;   in Loop: Header=BB144_3 Depth=1
	s_or_b32 exec_lo, exec_lo, s10
	s_delay_alu instid0(SALU_CYCLE_1) | instskip(SKIP_2) | instid1(SALU_CYCLE_1)
	s_mov_b32 s10, exec_lo
	v_readlane_b32 s12, v100, 28
	s_and_b32 s12, s10, s12
	s_mov_b32 exec_lo, s12
	s_cbranch_execz .LBB144_236
; %bb.235:                              ;   in Loop: Header=BB144_3 Depth=1
	ds_load_b64 v[36:37], v67 offset:1152
	ds_load_b64 v[38:39], v62 offset:16
	s_wait_dscnt 0x0
	v_fmac_f64_e32 v[34:35], v[36:37], v[38:39]
.LBB144_236:                            ;   in Loop: Header=BB144_3 Depth=1
	s_or_b32 exec_lo, exec_lo, s10
	s_delay_alu instid0(SALU_CYCLE_1) | instskip(SKIP_2) | instid1(SALU_CYCLE_1)
	s_mov_b32 s10, exec_lo
	v_readlane_b32 s12, v100, 29
	s_and_b32 s12, s10, s12
	;; [unrolled: 13-line block ×10, first 2 shown]
	s_mov_b32 exec_lo, s12
	s_cbranch_execnz .LBB144_1109
; %bb.253:                              ;   in Loop: Header=BB144_3 Depth=1
	s_or_b32 exec_lo, exec_lo, s10
	s_and_saveexec_b32 s10, s4
	s_cbranch_execnz .LBB144_1110
.LBB144_254:                            ;   in Loop: Header=BB144_3 Depth=1
	s_or_b32 exec_lo, exec_lo, s10
	s_and_saveexec_b32 s10, s19
	s_cbranch_execnz .LBB144_1111
.LBB144_255:                            ;   in Loop: Header=BB144_3 Depth=1
	s_or_b32 exec_lo, exec_lo, s10
	s_and_saveexec_b32 s10, s21
	s_cbranch_execnz .LBB144_1112
.LBB144_256:                            ;   in Loop: Header=BB144_3 Depth=1
	s_or_b32 exec_lo, exec_lo, s10
	s_and_saveexec_b32 s10, s3
	s_cbranch_execz .LBB144_258
.LBB144_257:                            ;   in Loop: Header=BB144_3 Depth=1
	ds_load_b64 v[36:37], v45 offset:7808
	ds_load_b64 v[38:39], v5 offset:120
	s_wait_dscnt 0x0
	v_fmac_f64_e32 v[34:35], v[36:37], v[38:39]
.LBB144_258:                            ;   in Loop: Header=BB144_3 Depth=1
	s_or_b32 exec_lo, exec_lo, s10
	s_delay_alu instid0(VALU_DEP_1)
	v_xor_b32_e32 v35, 0x80000000, v35
.LBB144_259:                            ;   in Loop: Header=BB144_3 Depth=1
	s_or_b32 exec_lo, exec_lo, s84
	s_delay_alu instid0(SALU_CYCLE_1) | instskip(SKIP_2) | instid1(SALU_CYCLE_1)
	s_mov_b32 s10, exec_lo
	v_readlane_b32 s12, v100, 2
	s_and_b32 s12, s10, s12
	s_mov_b32 exec_lo, s12
	s_cbranch_execz .LBB144_261
; %bb.260:                              ;   in Loop: Header=BB144_3 Depth=1
	ds_load_b64 v[36:37], v5 offset:8320
	s_wait_dscnt 0x0
	v_mul_f64_e32 v[34:35], v[34:35], v[36:37]
	ds_store_b64 v65, v[34:35]
.LBB144_261:                            ;   in Loop: Header=BB144_3 Depth=1
	s_or_b32 exec_lo, exec_lo, s10
	s_wait_dscnt 0x0
	s_barrier_signal -1
	s_barrier_wait -1
	s_mov_b32 s10, exec_lo
	v_readlane_b32 s12, v100, 3
	s_and_b32 s12, s10, s12
	s_delay_alu instid0(SALU_CYCLE_1)
	s_mov_b32 exec_lo, s12
	s_cbranch_execz .LBB144_263
; %bb.262:                              ;   in Loop: Header=BB144_3 Depth=1
	ds_load_b64 v[36:37], v64 offset:8320
	ds_load_b64 v[38:39], v65
	s_wait_dscnt 0x0
	v_fmac_f64_e32 v[34:35], v[36:37], v[38:39]
.LBB144_263:                            ;   in Loop: Header=BB144_3 Depth=1
	s_or_b32 exec_lo, exec_lo, s10
	s_barrier_signal -1
	s_barrier_wait -1
	s_mov_b32 s10, exec_lo
	v_readlane_b32 s12, v100, 4
	s_and_b32 s12, s10, s12
	s_delay_alu instid0(SALU_CYCLE_1)
	s_mov_b32 exec_lo, s12
	s_cbranch_execz .LBB144_265
; %bb.264:                              ;   in Loop: Header=BB144_3 Depth=1
	ds_load_b64 v[36:37], v5 offset:8840
	s_wait_dscnt 0x0
	v_mul_f64_e32 v[34:35], v[34:35], v[36:37]
	ds_store_b64 v65, v[34:35]
.LBB144_265:                            ;   in Loop: Header=BB144_3 Depth=1
	s_or_b32 exec_lo, exec_lo, s10
	s_wait_dscnt 0x0
	s_barrier_signal -1
	s_barrier_wait -1
	s_mov_b32 s10, exec_lo
	v_readlane_b32 s12, v100, 5
	s_and_b32 s12, s10, s12
	s_delay_alu instid0(SALU_CYCLE_1)
	s_mov_b32 exec_lo, s12
	s_cbranch_execz .LBB144_267
; %bb.266:                              ;   in Loop: Header=BB144_3 Depth=1
	ds_load_b64 v[36:37], v64 offset:8832
	ds_load_b64 v[38:39], v65
	s_wait_dscnt 0x0
	v_fmac_f64_e32 v[34:35], v[36:37], v[38:39]
.LBB144_267:                            ;   in Loop: Header=BB144_3 Depth=1
	s_or_b32 exec_lo, exec_lo, s10
	s_barrier_signal -1
	s_barrier_wait -1
	s_mov_b32 s10, exec_lo
	v_readlane_b32 s12, v100, 6
	s_and_b32 s12, s10, s12
	s_delay_alu instid0(SALU_CYCLE_1)
	;; [unrolled: 31-line block ×3, first 2 shown]
	s_mov_b32 exec_lo, s12
	s_cbranch_execz .LBB144_273
; %bb.272:                              ;   in Loop: Header=BB144_3 Depth=1
	ds_load_b64 v[36:37], v5 offset:9880
	s_wait_dscnt 0x0
	v_mul_f64_e32 v[34:35], v[34:35], v[36:37]
	ds_store_b64 v65, v[34:35]
.LBB144_273:                            ;   in Loop: Header=BB144_3 Depth=1
	s_or_b32 exec_lo, exec_lo, s10
	s_wait_dscnt 0x0
	s_barrier_signal -1
	s_barrier_wait -1
	s_and_saveexec_b32 s10, s53
	s_cbranch_execz .LBB144_275
; %bb.274:                              ;   in Loop: Header=BB144_3 Depth=1
	ds_load_b64 v[36:37], v64 offset:9856
	ds_load_b64 v[38:39], v65
	s_wait_dscnt 0x0
	v_fmac_f64_e32 v[34:35], v[36:37], v[38:39]
.LBB144_275:                            ;   in Loop: Header=BB144_3 Depth=1
	s_or_b32 exec_lo, exec_lo, s10
	s_barrier_signal -1
	s_barrier_wait -1
	s_and_saveexec_b32 s10, s54
	s_cbranch_execz .LBB144_277
; %bb.276:                              ;   in Loop: Header=BB144_3 Depth=1
	ds_load_b64 v[36:37], v5 offset:10400
	s_wait_dscnt 0x0
	v_mul_f64_e32 v[34:35], v[34:35], v[36:37]
	ds_store_b64 v65, v[34:35]
.LBB144_277:                            ;   in Loop: Header=BB144_3 Depth=1
	s_or_b32 exec_lo, exec_lo, s10
	s_wait_dscnt 0x0
	s_barrier_signal -1
	s_barrier_wait -1
	s_and_saveexec_b32 s10, s55
	s_cbranch_execz .LBB144_279
; %bb.278:                              ;   in Loop: Header=BB144_3 Depth=1
	ds_load_b64 v[36:37], v64 offset:10368
	ds_load_b64 v[38:39], v65
	s_wait_dscnt 0x0
	v_fmac_f64_e32 v[34:35], v[36:37], v[38:39]
.LBB144_279:                            ;   in Loop: Header=BB144_3 Depth=1
	s_or_b32 exec_lo, exec_lo, s10
	s_barrier_signal -1
	s_barrier_wait -1
	s_and_saveexec_b32 s10, s56
	;; [unrolled: 23-line block ×12, first 2 shown]
	s_cbranch_execz .LBB144_321
; %bb.320:                              ;   in Loop: Header=BB144_3 Depth=1
	ds_load_b64 v[36:37], v5 offset:16120
	s_wait_dscnt 0x0
	v_mul_f64_e32 v[34:35], v[34:35], v[36:37]
	ds_store_b64 v65, v[34:35]
.LBB144_321:                            ;   in Loop: Header=BB144_3 Depth=1
	s_or_b32 exec_lo, exec_lo, s10
	s_wait_dscnt 0x0
	s_barrier_signal -1
	s_barrier_wait -1
	s_barrier_signal -1
	s_barrier_wait -1
	s_and_saveexec_b32 s10, s5
; %bb.322:                              ;   in Loop: Header=BB144_3 Depth=1
	s_delay_alu instid0(VALU_DEP_1)
	v_xor_b32_e32 v35, 0x80000000, v35
	ds_store_b64 v66, v[34:35] offset:128
; %bb.323:                              ;   in Loop: Header=BB144_3 Depth=1
	s_or_b32 exec_lo, exec_lo, s10
	s_wait_dscnt 0x0
	s_barrier_signal -1
	s_barrier_wait -1
	s_barrier_signal -1
	s_barrier_wait -1
	s_and_saveexec_b32 s10, s65
	s_cbranch_execz .LBB144_325
; %bb.324:                              ;   in Loop: Header=BB144_3 Depth=1
	ds_load_b64 v[34:35], v48 offset:128
	s_wait_dscnt 0x0
	ds_store_b64 v52, v[34:35] offset:8192
	ds_load_b64 v[34:35], v48 offset:136
	s_wait_dscnt 0x0
	ds_store_b64 v52, v[34:35] offset:8704
	;; [unrolled: 3-line block ×16, first 2 shown]
.LBB144_325:                            ;   in Loop: Header=BB144_3 Depth=1
	s_or_b32 exec_lo, exec_lo, s10
	s_wait_dscnt 0x0
	s_barrier_signal -1
	s_barrier_wait -1
	s_and_saveexec_b32 s10, s14
	s_cbranch_execz .LBB144_327
; %bb.326:                              ;   in Loop: Header=BB144_3 Depth=1
	ds_load_b128 v[34:37], v5 offset:8320
	ds_load_b64 v[38:39], v5 offset:8840
	s_wait_dscnt 0x0
	v_mul_f64_e32 v[34:35], v[34:35], v[38:39]
	s_delay_alu instid0(VALU_DEP_1)
	v_mul_f64_e32 v[34:35], v[36:37], v[34:35]
	v_add_nc_u32_e64 v36, 0x2000, 0
	ds_store_2addr_b64 v36, v[34:35], v[34:35] offset0:17 offset1:80
.LBB144_327:                            ;   in Loop: Header=BB144_3 Depth=1
	s_or_b32 exec_lo, exec_lo, s10
	v_mov_b64_e32 v[34:35], 0
	s_wait_dscnt 0x0
	s_barrier_signal -1
	s_barrier_wait -1
	s_and_saveexec_b32 s10, s1
	s_cbranch_execz .LBB144_331
; %bb.328:                              ;   in Loop: Header=BB144_3 Depth=1
	ds_load_b64 v[34:35], v43 offset:8336
	ds_load_b64 v[36:37], v44 offset:8320
	s_wait_dscnt 0x0
	v_fma_f64 v[34:35], v[34:35], v[36:37], 0
	s_and_saveexec_b32 s12, s15
	s_cbranch_execz .LBB144_330
; %bb.329:                              ;   in Loop: Header=BB144_3 Depth=1
	ds_load_b64 v[36:37], v45 offset:8848
	ds_load_b64 v[38:39], v5 offset:8328
	s_wait_dscnt 0x0
	v_fmac_f64_e32 v[34:35], v[36:37], v[38:39]
.LBB144_330:                            ;   in Loop: Header=BB144_3 Depth=1
	s_or_b32 exec_lo, exec_lo, s12
	s_delay_alu instid0(VALU_DEP_1)
	v_xor_b32_e32 v35, 0x80000000, v35
.LBB144_331:                            ;   in Loop: Header=BB144_3 Depth=1
	s_or_b32 exec_lo, exec_lo, s10
	s_and_saveexec_b32 s10, s91
	s_cbranch_execz .LBB144_333
; %bb.332:                              ;   in Loop: Header=BB144_3 Depth=1
	ds_load_b64 v[36:37], v5 offset:9360
	s_wait_dscnt 0x0
	v_mul_f64_e32 v[34:35], v[34:35], v[36:37]
	ds_store_b64 v3, v[34:35]
.LBB144_333:                            ;   in Loop: Header=BB144_3 Depth=1
	s_or_b32 exec_lo, exec_lo, s10
	s_wait_dscnt 0x0
	s_barrier_signal -1
	s_barrier_wait -1
	s_and_saveexec_b32 s10, s92
	s_cbranch_execz .LBB144_335
; %bb.334:                              ;   in Loop: Header=BB144_3 Depth=1
	ds_load_b64 v[36:37], v5 offset:9368
	ds_load_b64 v[38:39], v3
	s_wait_dscnt 0x0
	v_fmac_f64_e32 v[34:35], v[36:37], v[38:39]
.LBB144_335:                            ;   in Loop: Header=BB144_3 Depth=1
	s_or_b32 exec_lo, exec_lo, s10
	s_barrier_signal -1
	s_barrier_wait -1
	s_and_saveexec_b32 s10, s92
	s_cbranch_execz .LBB144_337
; %bb.336:                              ;   in Loop: Header=BB144_3 Depth=1
	ds_load_b64 v[36:37], v5 offset:9880
	s_wait_dscnt 0x0
	v_mul_f64_e32 v[34:35], v[34:35], v[36:37]
	ds_store_b64 v3, v[34:35]
.LBB144_337:                            ;   in Loop: Header=BB144_3 Depth=1
	s_or_b32 exec_lo, exec_lo, s10
	s_wait_dscnt 0x0
	s_barrier_signal -1
	s_barrier_wait -1
	s_barrier_signal -1
	s_barrier_wait -1
	s_and_saveexec_b32 s10, s1
; %bb.338:                              ;   in Loop: Header=BB144_3 Depth=1
	s_delay_alu instid0(VALU_DEP_1)
	v_xor_b32_e32 v35, 0x80000000, v35
	ds_store_b64 v43, v[34:35] offset:8336
; %bb.339:                              ;   in Loop: Header=BB144_3 Depth=1
	s_or_b32 exec_lo, exec_lo, s10
	s_wait_dscnt 0x0
	s_barrier_signal -1
	s_barrier_wait -1
	s_barrier_signal -1
	s_barrier_wait -1
	s_and_saveexec_b32 s10, s93
	s_cbranch_execz .LBB144_341
; %bb.340:                              ;   in Loop: Header=BB144_3 Depth=1
	ds_load_b64 v[34:35], v48 offset:8336
	s_wait_dscnt 0x0
	ds_store_b64 v45, v[34:35] offset:9344
	ds_load_b64 v[34:35], v48 offset:8344
	s_wait_dscnt 0x0
	ds_store_b64 v45, v[34:35] offset:9856
.LBB144_341:                            ;   in Loop: Header=BB144_3 Depth=1
	s_or_b32 exec_lo, exec_lo, s10
	s_wait_dscnt 0x0
	s_barrier_signal -1
	s_barrier_wait -1
	s_and_saveexec_b32 s10, s14
	s_cbranch_execz .LBB144_343
; %bb.342:                              ;   in Loop: Header=BB144_3 Depth=1
	ds_load_b128 v[34:37], v5 offset:9360
	ds_load_b64 v[38:39], v5 offset:9880
	s_wait_dscnt 0x0
	v_mul_f64_e32 v[34:35], v[34:35], v[38:39]
	s_delay_alu instid0(VALU_DEP_1)
	v_mul_f64_e32 v[34:35], v[36:37], v[34:35]
	v_add_nc_u32_e64 v36, 0x2000, 0
	ds_store_2addr_b64 v36, v[34:35], v[34:35] offset0:147 offset1:210
.LBB144_343:                            ;   in Loop: Header=BB144_3 Depth=1
	s_or_b32 exec_lo, exec_lo, s10
	v_mov_b64_e32 v[34:35], 0
	s_wait_dscnt 0x0
	s_barrier_signal -1
	s_barrier_wait -1
	s_and_saveexec_b32 s10, s3
	s_cbranch_execz .LBB144_349
; %bb.344:                              ;   in Loop: Header=BB144_3 Depth=1
	ds_load_b64 v[34:35], v50 offset:8352
	ds_load_b64 v[36:37], v46 offset:8320
	s_wait_dscnt 0x0
	v_fma_f64 v[34:35], v[34:35], v[36:37], 0
	s_and_saveexec_b32 s12, s16
	s_cbranch_execnz .LBB144_1113
; %bb.345:                              ;   in Loop: Header=BB144_3 Depth=1
	s_or_b32 exec_lo, exec_lo, s12
	s_and_saveexec_b32 s12, s17
	s_cbranch_execnz .LBB144_1114
.LBB144_346:                            ;   in Loop: Header=BB144_3 Depth=1
	s_or_b32 exec_lo, exec_lo, s12
	s_and_saveexec_b32 s12, s1
	s_cbranch_execz .LBB144_348
.LBB144_347:                            ;   in Loop: Header=BB144_3 Depth=1
	ds_load_b64 v[36:37], v52 offset:9888
	ds_load_b64 v[38:39], v5 offset:8344
	s_wait_dscnt 0x0
	v_fmac_f64_e32 v[34:35], v[36:37], v[38:39]
.LBB144_348:                            ;   in Loop: Header=BB144_3 Depth=1
	s_or_b32 exec_lo, exec_lo, s12
	s_delay_alu instid0(VALU_DEP_1)
	v_xor_b32_e32 v35, 0x80000000, v35
.LBB144_349:                            ;   in Loop: Header=BB144_3 Depth=1
	s_or_b32 exec_lo, exec_lo, s10
	s_and_saveexec_b32 s10, s94
	s_cbranch_execz .LBB144_351
; %bb.350:                              ;   in Loop: Header=BB144_3 Depth=1
	ds_load_b64 v[36:37], v5 offset:10400
	s_wait_dscnt 0x0
	v_mul_f64_e32 v[34:35], v[34:35], v[36:37]
	ds_store_b64 v49, v[34:35]
.LBB144_351:                            ;   in Loop: Header=BB144_3 Depth=1
	s_or_b32 exec_lo, exec_lo, s10
	s_wait_dscnt 0x0
	s_barrier_signal -1
	s_barrier_wait -1
	s_and_saveexec_b32 s10, s95
	s_cbranch_execz .LBB144_353
; %bb.352:                              ;   in Loop: Header=BB144_3 Depth=1
	ds_load_b64 v[36:37], v47 offset:10400
	ds_load_b64 v[38:39], v49
	s_wait_dscnt 0x0
	v_fmac_f64_e32 v[34:35], v[36:37], v[38:39]
.LBB144_353:                            ;   in Loop: Header=BB144_3 Depth=1
	s_or_b32 exec_lo, exec_lo, s10
	s_barrier_signal -1
	s_barrier_wait -1
	s_and_saveexec_b32 s10, s96
	s_cbranch_execz .LBB144_355
; %bb.354:                              ;   in Loop: Header=BB144_3 Depth=1
	ds_load_b64 v[36:37], v5 offset:10920
	s_wait_dscnt 0x0
	v_mul_f64_e32 v[34:35], v[34:35], v[36:37]
	ds_store_b64 v49, v[34:35]
.LBB144_355:                            ;   in Loop: Header=BB144_3 Depth=1
	s_or_b32 exec_lo, exec_lo, s10
	s_wait_dscnt 0x0
	s_barrier_signal -1
	s_barrier_wait -1
	s_and_saveexec_b32 s10, s97
	s_cbranch_execz .LBB144_357
; %bb.356:                              ;   in Loop: Header=BB144_3 Depth=1
	ds_load_b64 v[36:37], v47 offset:10912
	ds_load_b64 v[38:39], v49
	s_wait_dscnt 0x0
	v_fmac_f64_e32 v[34:35], v[36:37], v[38:39]
.LBB144_357:                            ;   in Loop: Header=BB144_3 Depth=1
	s_or_b32 exec_lo, exec_lo, s10
	s_barrier_signal -1
	s_barrier_wait -1
	;; [unrolled: 23-line block ×3, first 2 shown]
	s_and_saveexec_b32 s10, s99
	s_cbranch_execz .LBB144_363
; %bb.362:                              ;   in Loop: Header=BB144_3 Depth=1
	ds_load_b64 v[36:37], v5 offset:11960
	s_wait_dscnt 0x0
	v_mul_f64_e32 v[34:35], v[34:35], v[36:37]
	ds_store_b64 v49, v[34:35]
.LBB144_363:                            ;   in Loop: Header=BB144_3 Depth=1
	s_or_b32 exec_lo, exec_lo, s10
	s_wait_dscnt 0x0
	s_barrier_signal -1
	s_barrier_wait -1
	s_barrier_signal -1
	s_barrier_wait -1
	s_and_saveexec_b32 s10, s3
; %bb.364:                              ;   in Loop: Header=BB144_3 Depth=1
	s_delay_alu instid0(VALU_DEP_1)
	v_xor_b32_e32 v35, 0x80000000, v35
	ds_store_b64 v50, v[34:35] offset:8352
; %bb.365:                              ;   in Loop: Header=BB144_3 Depth=1
	s_or_b32 exec_lo, exec_lo, s10
	s_wait_dscnt 0x0
	s_barrier_signal -1
	s_barrier_wait -1
	s_barrier_signal -1
	s_barrier_wait -1
	s_and_saveexec_b32 s10, s100
	s_cbranch_execz .LBB144_367
; %bb.366:                              ;   in Loop: Header=BB144_3 Depth=1
	ds_load_b64 v[34:35], v53 offset:8352
	s_wait_dscnt 0x0
	ds_store_b64 v54, v[34:35] offset:10368
	ds_load_b64 v[34:35], v53 offset:8360
	s_wait_dscnt 0x0
	ds_store_b64 v54, v[34:35] offset:10880
	;; [unrolled: 3-line block ×4, first 2 shown]
.LBB144_367:                            ;   in Loop: Header=BB144_3 Depth=1
	s_or_b32 exec_lo, exec_lo, s10
	s_wait_dscnt 0x0
	s_barrier_signal -1
	s_barrier_wait -1
	s_and_saveexec_b32 s10, s14
	s_cbranch_execz .LBB144_369
; %bb.368:                              ;   in Loop: Header=BB144_3 Depth=1
	ds_load_b128 v[34:37], v5 offset:10400
	ds_load_b64 v[38:39], v5 offset:10920
	s_wait_dscnt 0x0
	v_mul_f64_e32 v[34:35], v[34:35], v[38:39]
	s_delay_alu instid0(VALU_DEP_1)
	v_mul_f64_e32 v[34:35], v[36:37], v[34:35]
	v_add_nc_u32_e64 v36, 0x2800, 0
	ds_store_2addr_b64 v36, v[34:35], v[34:35] offset0:21 offset1:84
.LBB144_369:                            ;   in Loop: Header=BB144_3 Depth=1
	s_or_b32 exec_lo, exec_lo, s10
	v_mov_b64_e32 v[34:35], 0
	s_wait_dscnt 0x0
	s_barrier_signal -1
	s_barrier_wait -1
	s_and_saveexec_b32 s10, s1
	s_cbranch_execz .LBB144_373
; %bb.370:                              ;   in Loop: Header=BB144_3 Depth=1
	ds_load_b64 v[34:35], v43 offset:10416
	ds_load_b64 v[36:37], v44 offset:10400
	s_wait_dscnt 0x0
	v_fma_f64 v[34:35], v[34:35], v[36:37], 0
	s_and_saveexec_b32 s12, s15
	s_cbranch_execz .LBB144_372
; %bb.371:                              ;   in Loop: Header=BB144_3 Depth=1
	ds_load_b64 v[36:37], v54 offset:10928
	ds_load_b64 v[38:39], v5 offset:10408
	s_wait_dscnt 0x0
	v_fmac_f64_e32 v[34:35], v[36:37], v[38:39]
.LBB144_372:                            ;   in Loop: Header=BB144_3 Depth=1
	s_or_b32 exec_lo, exec_lo, s12
	s_delay_alu instid0(VALU_DEP_1)
	v_xor_b32_e32 v35, 0x80000000, v35
.LBB144_373:                            ;   in Loop: Header=BB144_3 Depth=1
	s_or_b32 exec_lo, exec_lo, s10
	s_and_saveexec_b32 s10, s91
	s_cbranch_execz .LBB144_375
; %bb.374:                              ;   in Loop: Header=BB144_3 Depth=1
	ds_load_b64 v[36:37], v5 offset:11440
	s_wait_dscnt 0x0
	v_mul_f64_e32 v[34:35], v[34:35], v[36:37]
	ds_store_b64 v3, v[34:35]
.LBB144_375:                            ;   in Loop: Header=BB144_3 Depth=1
	s_or_b32 exec_lo, exec_lo, s10
	s_wait_dscnt 0x0
	s_barrier_signal -1
	s_barrier_wait -1
	s_and_saveexec_b32 s10, s92
	s_cbranch_execz .LBB144_377
; %bb.376:                              ;   in Loop: Header=BB144_3 Depth=1
	ds_load_b64 v[36:37], v5 offset:11448
	ds_load_b64 v[38:39], v3
	s_wait_dscnt 0x0
	v_fmac_f64_e32 v[34:35], v[36:37], v[38:39]
.LBB144_377:                            ;   in Loop: Header=BB144_3 Depth=1
	s_or_b32 exec_lo, exec_lo, s10
	s_barrier_signal -1
	s_barrier_wait -1
	s_and_saveexec_b32 s10, s92
	s_cbranch_execz .LBB144_379
; %bb.378:                              ;   in Loop: Header=BB144_3 Depth=1
	ds_load_b64 v[36:37], v5 offset:11960
	s_wait_dscnt 0x0
	v_mul_f64_e32 v[34:35], v[34:35], v[36:37]
	ds_store_b64 v3, v[34:35]
.LBB144_379:                            ;   in Loop: Header=BB144_3 Depth=1
	s_or_b32 exec_lo, exec_lo, s10
	s_wait_dscnt 0x0
	s_barrier_signal -1
	s_barrier_wait -1
	s_barrier_signal -1
	s_barrier_wait -1
	s_and_saveexec_b32 s10, s1
; %bb.380:                              ;   in Loop: Header=BB144_3 Depth=1
	s_delay_alu instid0(VALU_DEP_1)
	v_xor_b32_e32 v35, 0x80000000, v35
	ds_store_b64 v43, v[34:35] offset:10416
; %bb.381:                              ;   in Loop: Header=BB144_3 Depth=1
	s_or_b32 exec_lo, exec_lo, s10
	s_wait_dscnt 0x0
	s_barrier_signal -1
	s_barrier_wait -1
	s_barrier_signal -1
	s_barrier_wait -1
	s_and_saveexec_b32 s10, s93
	s_cbranch_execz .LBB144_383
; %bb.382:                              ;   in Loop: Header=BB144_3 Depth=1
	ds_load_b64 v[34:35], v57 offset:10416
	s_wait_dscnt 0x0
	ds_store_b64 v54, v[34:35] offset:11424
	ds_load_b64 v[34:35], v57 offset:10424
	s_wait_dscnt 0x0
	ds_store_b64 v54, v[34:35] offset:11936
.LBB144_383:                            ;   in Loop: Header=BB144_3 Depth=1
	s_or_b32 exec_lo, exec_lo, s10
	s_wait_dscnt 0x0
	s_barrier_signal -1
	s_barrier_wait -1
	s_and_saveexec_b32 s10, s14
	s_cbranch_execz .LBB144_385
; %bb.384:                              ;   in Loop: Header=BB144_3 Depth=1
	ds_load_b128 v[34:37], v5 offset:11440
	ds_load_b64 v[38:39], v5 offset:11960
	s_wait_dscnt 0x0
	v_mul_f64_e32 v[34:35], v[34:35], v[38:39]
	s_delay_alu instid0(VALU_DEP_1)
	v_mul_f64_e32 v[34:35], v[36:37], v[34:35]
	v_add_nc_u32_e64 v36, 0x2800, 0
	ds_store_2addr_b64 v36, v[34:35], v[34:35] offset0:151 offset1:214
.LBB144_385:                            ;   in Loop: Header=BB144_3 Depth=1
	s_or_b32 exec_lo, exec_lo, s10
	v_mov_b64_e32 v[34:35], 0
	s_wait_dscnt 0x0
	s_barrier_signal -1
	s_barrier_wait -1
	s_and_saveexec_b32 s10, s4
	s_cbranch_execz .LBB144_395
; %bb.386:                              ;   in Loop: Header=BB144_3 Depth=1
	ds_load_b64 v[34:35], v59 offset:8384
	ds_load_b64 v[36:37], v55 offset:8320
	s_wait_dscnt 0x0
	v_fma_f64 v[34:35], v[34:35], v[36:37], 0
	s_and_saveexec_b32 s12, s18
	s_cbranch_execnz .LBB144_1115
; %bb.387:                              ;   in Loop: Header=BB144_3 Depth=1
	s_or_b32 exec_lo, exec_lo, s12
	s_and_saveexec_b32 s12, s19
	s_cbranch_execnz .LBB144_1116
.LBB144_388:                            ;   in Loop: Header=BB144_3 Depth=1
	s_or_b32 exec_lo, exec_lo, s12
	s_and_saveexec_b32 s12, s20
	s_cbranch_execnz .LBB144_1117
.LBB144_389:                            ;   in Loop: Header=BB144_3 Depth=1
	s_or_b32 exec_lo, exec_lo, s12
	s_and_saveexec_b32 s12, s21
	s_cbranch_execnz .LBB144_1118
.LBB144_390:                            ;   in Loop: Header=BB144_3 Depth=1
	s_or_b32 exec_lo, exec_lo, s12
	s_and_saveexec_b32 s12, s22
	s_cbranch_execnz .LBB144_1119
.LBB144_391:                            ;   in Loop: Header=BB144_3 Depth=1
	s_or_b32 exec_lo, exec_lo, s12
	s_and_saveexec_b32 s12, s3
	s_cbranch_execnz .LBB144_1120
.LBB144_392:                            ;   in Loop: Header=BB144_3 Depth=1
	s_or_b32 exec_lo, exec_lo, s12
	s_and_saveexec_b32 s12, s17
	s_cbranch_execz .LBB144_394
.LBB144_393:                            ;   in Loop: Header=BB144_3 Depth=1
	ds_load_b64 v[36:37], v61 offset:11968
	ds_load_b64 v[38:39], v5 offset:8376
	s_wait_dscnt 0x0
	v_fmac_f64_e32 v[34:35], v[36:37], v[38:39]
.LBB144_394:                            ;   in Loop: Header=BB144_3 Depth=1
	s_or_b32 exec_lo, exec_lo, s12
	s_delay_alu instid0(VALU_DEP_1)
	v_xor_b32_e32 v35, 0x80000000, v35
.LBB144_395:                            ;   in Loop: Header=BB144_3 Depth=1
	s_or_b32 exec_lo, exec_lo, s10
	s_and_saveexec_b32 s10, s101
	s_cbranch_execz .LBB144_397
; %bb.396:                              ;   in Loop: Header=BB144_3 Depth=1
	ds_load_b64 v[36:37], v5 offset:12480
	s_wait_dscnt 0x0
	v_mul_f64_e32 v[34:35], v[34:35], v[36:37]
	ds_store_b64 v58, v[34:35]
.LBB144_397:                            ;   in Loop: Header=BB144_3 Depth=1
	s_or_b32 exec_lo, exec_lo, s10
	s_wait_dscnt 0x0
	s_barrier_signal -1
	s_barrier_wait -1
	s_and_saveexec_b32 s10, s102
	s_cbranch_execz .LBB144_399
; %bb.398:                              ;   in Loop: Header=BB144_3 Depth=1
	ds_load_b64 v[36:37], v56 offset:12480
	ds_load_b64 v[38:39], v58
	s_wait_dscnt 0x0
	v_fmac_f64_e32 v[34:35], v[36:37], v[38:39]
.LBB144_399:                            ;   in Loop: Header=BB144_3 Depth=1
	s_or_b32 exec_lo, exec_lo, s10
	s_barrier_signal -1
	s_barrier_wait -1
	s_and_saveexec_b32 s10, s103
	s_cbranch_execz .LBB144_401
; %bb.400:                              ;   in Loop: Header=BB144_3 Depth=1
	ds_load_b64 v[36:37], v5 offset:13000
	s_wait_dscnt 0x0
	v_mul_f64_e32 v[34:35], v[34:35], v[36:37]
	ds_store_b64 v58, v[34:35]
.LBB144_401:                            ;   in Loop: Header=BB144_3 Depth=1
	s_or_b32 exec_lo, exec_lo, s10
	s_wait_dscnt 0x0
	s_barrier_signal -1
	s_barrier_wait -1
	s_and_saveexec_b32 s10, s104
	s_cbranch_execz .LBB144_403
; %bb.402:                              ;   in Loop: Header=BB144_3 Depth=1
	ds_load_b64 v[36:37], v56 offset:12992
	ds_load_b64 v[38:39], v58
	s_wait_dscnt 0x0
	v_fmac_f64_e32 v[34:35], v[36:37], v[38:39]
.LBB144_403:                            ;   in Loop: Header=BB144_3 Depth=1
	s_or_b32 exec_lo, exec_lo, s10
	s_barrier_signal -1
	s_barrier_wait -1
	s_and_saveexec_b32 s10, vcc_hi
	s_cbranch_execz .LBB144_405
; %bb.404:                              ;   in Loop: Header=BB144_3 Depth=1
	ds_load_b64 v[36:37], v5 offset:13520
	s_wait_dscnt 0x0
	v_mul_f64_e32 v[34:35], v[34:35], v[36:37]
	ds_store_b64 v58, v[34:35]
.LBB144_405:                            ;   in Loop: Header=BB144_3 Depth=1
	s_or_b32 exec_lo, exec_lo, s10
	s_wait_dscnt 0x0
	s_barrier_signal -1
	s_barrier_wait -1
	s_and_saveexec_b32 s10, s36
	s_cbranch_execz .LBB144_407
; %bb.406:                              ;   in Loop: Header=BB144_3 Depth=1
	ds_load_b64 v[36:37], v56 offset:13504
	ds_load_b64 v[38:39], v58
	s_wait_dscnt 0x0
	v_fmac_f64_e32 v[34:35], v[36:37], v[38:39]
.LBB144_407:                            ;   in Loop: Header=BB144_3 Depth=1
	s_or_b32 exec_lo, exec_lo, s10
	s_barrier_signal -1
	s_barrier_wait -1
	s_and_saveexec_b32 s10, s37
	s_cbranch_execz .LBB144_409
; %bb.408:                              ;   in Loop: Header=BB144_3 Depth=1
	ds_load_b64 v[36:37], v5 offset:14040
	s_wait_dscnt 0x0
	v_mul_f64_e32 v[34:35], v[34:35], v[36:37]
	ds_store_b64 v58, v[34:35]
.LBB144_409:                            ;   in Loop: Header=BB144_3 Depth=1
	s_or_b32 exec_lo, exec_lo, s10
	s_wait_dscnt 0x0
	s_barrier_signal -1
	s_barrier_wait -1
	s_and_saveexec_b32 s10, s38
	s_cbranch_execz .LBB144_411
; %bb.410:                              ;   in Loop: Header=BB144_3 Depth=1
	ds_load_b64 v[36:37], v56 offset:14016
	ds_load_b64 v[38:39], v58
	s_wait_dscnt 0x0
	v_fmac_f64_e32 v[34:35], v[36:37], v[38:39]
.LBB144_411:                            ;   in Loop: Header=BB144_3 Depth=1
	s_or_b32 exec_lo, exec_lo, s10
	s_barrier_signal -1
	s_barrier_wait -1
	s_and_saveexec_b32 s10, s39
	;; [unrolled: 23-line block ×5, first 2 shown]
	s_cbranch_execz .LBB144_425
; %bb.424:                              ;   in Loop: Header=BB144_3 Depth=1
	ds_load_b64 v[36:37], v5 offset:16120
	s_wait_dscnt 0x0
	v_mul_f64_e32 v[34:35], v[34:35], v[36:37]
	ds_store_b64 v58, v[34:35]
.LBB144_425:                            ;   in Loop: Header=BB144_3 Depth=1
	s_or_b32 exec_lo, exec_lo, s10
	s_wait_dscnt 0x0
	s_barrier_signal -1
	s_barrier_wait -1
	s_barrier_signal -1
	s_barrier_wait -1
	s_and_saveexec_b32 s10, s4
; %bb.426:                              ;   in Loop: Header=BB144_3 Depth=1
	s_delay_alu instid0(VALU_DEP_1)
	v_xor_b32_e32 v35, 0x80000000, v35
	ds_store_b64 v59, v[34:35] offset:8384
; %bb.427:                              ;   in Loop: Header=BB144_3 Depth=1
	s_or_b32 exec_lo, exec_lo, s10
	s_wait_dscnt 0x0
	s_barrier_signal -1
	s_barrier_wait -1
	s_barrier_signal -1
	s_barrier_wait -1
	s_and_saveexec_b32 s10, s45
	s_cbranch_execz .LBB144_429
; %bb.428:                              ;   in Loop: Header=BB144_3 Depth=1
	ds_load_b64 v[34:35], v63 offset:8384
	s_wait_dscnt 0x0
	ds_store_b64 v71, v[34:35] offset:12416
	ds_load_b64 v[34:35], v63 offset:8392
	s_wait_dscnt 0x0
	ds_store_b64 v71, v[34:35] offset:12928
	;; [unrolled: 3-line block ×8, first 2 shown]
.LBB144_429:                            ;   in Loop: Header=BB144_3 Depth=1
	s_or_b32 exec_lo, exec_lo, s10
	s_wait_dscnt 0x0
	s_barrier_signal -1
	s_barrier_wait -1
	s_and_saveexec_b32 s10, s14
	s_cbranch_execz .LBB144_431
; %bb.430:                              ;   in Loop: Header=BB144_3 Depth=1
	ds_load_b128 v[34:37], v5 offset:12480
	ds_load_b64 v[38:39], v5 offset:13000
	s_wait_dscnt 0x0
	v_mul_f64_e32 v[34:35], v[34:35], v[38:39]
	s_delay_alu instid0(VALU_DEP_1)
	v_mul_f64_e32 v[34:35], v[36:37], v[34:35]
	v_add_nc_u32_e64 v36, 0x3000, 0
	ds_store_2addr_b64 v36, v[34:35], v[34:35] offset0:25 offset1:88
.LBB144_431:                            ;   in Loop: Header=BB144_3 Depth=1
	s_or_b32 exec_lo, exec_lo, s10
	v_mov_b64_e32 v[34:35], 0
	s_wait_dscnt 0x0
	s_barrier_signal -1
	s_barrier_wait -1
	s_and_saveexec_b32 s10, s1
	s_cbranch_execz .LBB144_435
; %bb.432:                              ;   in Loop: Header=BB144_3 Depth=1
	ds_load_b64 v[34:35], v43 offset:12496
	ds_load_b64 v[36:37], v44 offset:12480
	s_wait_dscnt 0x0
	v_fma_f64 v[34:35], v[34:35], v[36:37], 0
	s_and_saveexec_b32 s12, s15
	s_cbranch_execz .LBB144_434
; %bb.433:                              ;   in Loop: Header=BB144_3 Depth=1
	ds_load_b64 v[36:37], v71 offset:13008
	ds_load_b64 v[38:39], v5 offset:12488
	s_wait_dscnt 0x0
	v_fmac_f64_e32 v[34:35], v[36:37], v[38:39]
.LBB144_434:                            ;   in Loop: Header=BB144_3 Depth=1
	s_or_b32 exec_lo, exec_lo, s12
	s_delay_alu instid0(VALU_DEP_1)
	v_xor_b32_e32 v35, 0x80000000, v35
.LBB144_435:                            ;   in Loop: Header=BB144_3 Depth=1
	s_or_b32 exec_lo, exec_lo, s10
	s_and_saveexec_b32 s10, s91
	s_cbranch_execz .LBB144_437
; %bb.436:                              ;   in Loop: Header=BB144_3 Depth=1
	ds_load_b64 v[36:37], v5 offset:13520
	s_wait_dscnt 0x0
	v_mul_f64_e32 v[34:35], v[34:35], v[36:37]
	ds_store_b64 v3, v[34:35]
.LBB144_437:                            ;   in Loop: Header=BB144_3 Depth=1
	s_or_b32 exec_lo, exec_lo, s10
	s_wait_dscnt 0x0
	s_barrier_signal -1
	s_barrier_wait -1
	s_and_saveexec_b32 s10, s92
	s_cbranch_execz .LBB144_439
; %bb.438:                              ;   in Loop: Header=BB144_3 Depth=1
	ds_load_b64 v[36:37], v5 offset:13528
	ds_load_b64 v[38:39], v3
	s_wait_dscnt 0x0
	v_fmac_f64_e32 v[34:35], v[36:37], v[38:39]
.LBB144_439:                            ;   in Loop: Header=BB144_3 Depth=1
	s_or_b32 exec_lo, exec_lo, s10
	s_barrier_signal -1
	s_barrier_wait -1
	s_and_saveexec_b32 s10, s92
	s_cbranch_execz .LBB144_441
; %bb.440:                              ;   in Loop: Header=BB144_3 Depth=1
	ds_load_b64 v[36:37], v5 offset:14040
	s_wait_dscnt 0x0
	v_mul_f64_e32 v[34:35], v[34:35], v[36:37]
	ds_store_b64 v3, v[34:35]
.LBB144_441:                            ;   in Loop: Header=BB144_3 Depth=1
	s_or_b32 exec_lo, exec_lo, s10
	s_wait_dscnt 0x0
	s_barrier_signal -1
	s_barrier_wait -1
	s_barrier_signal -1
	s_barrier_wait -1
	s_and_saveexec_b32 s10, s1
; %bb.442:                              ;   in Loop: Header=BB144_3 Depth=1
	s_delay_alu instid0(VALU_DEP_1)
	v_xor_b32_e32 v35, 0x80000000, v35
	ds_store_b64 v43, v[34:35] offset:12496
; %bb.443:                              ;   in Loop: Header=BB144_3 Depth=1
	s_or_b32 exec_lo, exec_lo, s10
	s_wait_dscnt 0x0
	s_barrier_signal -1
	s_barrier_wait -1
	s_barrier_signal -1
	s_barrier_wait -1
	s_and_saveexec_b32 s10, s93
	s_cbranch_execz .LBB144_445
; %bb.444:                              ;   in Loop: Header=BB144_3 Depth=1
	ds_load_b64 v[34:35], v72 offset:12496
	s_wait_dscnt 0x0
	ds_store_b64 v71, v[34:35] offset:13504
	ds_load_b64 v[34:35], v72 offset:12504
	s_wait_dscnt 0x0
	ds_store_b64 v71, v[34:35] offset:14016
.LBB144_445:                            ;   in Loop: Header=BB144_3 Depth=1
	s_or_b32 exec_lo, exec_lo, s10
	s_wait_dscnt 0x0
	s_barrier_signal -1
	s_barrier_wait -1
	s_and_saveexec_b32 s10, s14
	s_cbranch_execz .LBB144_447
; %bb.446:                              ;   in Loop: Header=BB144_3 Depth=1
	ds_load_b128 v[34:37], v5 offset:13520
	ds_load_b64 v[38:39], v5 offset:14040
	s_wait_dscnt 0x0
	v_mul_f64_e32 v[34:35], v[34:35], v[38:39]
	s_delay_alu instid0(VALU_DEP_1)
	v_mul_f64_e32 v[34:35], v[36:37], v[34:35]
	v_add_nc_u32_e64 v36, 0x3000, 0
	ds_store_2addr_b64 v36, v[34:35], v[34:35] offset0:155 offset1:218
.LBB144_447:                            ;   in Loop: Header=BB144_3 Depth=1
	s_or_b32 exec_lo, exec_lo, s10
	v_mov_b64_e32 v[34:35], 0
	s_wait_dscnt 0x0
	s_barrier_signal -1
	s_barrier_wait -1
	s_and_saveexec_b32 s10, s3
	s_cbranch_execz .LBB144_453
; %bb.448:                              ;   in Loop: Header=BB144_3 Depth=1
	ds_load_b64 v[34:35], v50 offset:12512
	ds_load_b64 v[36:37], v46 offset:12480
	s_wait_dscnt 0x0
	v_fma_f64 v[34:35], v[34:35], v[36:37], 0
	s_and_saveexec_b32 s12, s16
	s_cbranch_execnz .LBB144_1121
; %bb.449:                              ;   in Loop: Header=BB144_3 Depth=1
	s_or_b32 exec_lo, exec_lo, s12
	s_and_saveexec_b32 s12, s17
	s_cbranch_execnz .LBB144_1122
.LBB144_450:                            ;   in Loop: Header=BB144_3 Depth=1
	s_or_b32 exec_lo, exec_lo, s12
	s_and_saveexec_b32 s12, s1
	s_cbranch_execz .LBB144_452
.LBB144_451:                            ;   in Loop: Header=BB144_3 Depth=1
	ds_load_b64 v[36:37], v73 offset:14048
	ds_load_b64 v[38:39], v5 offset:12504
	s_wait_dscnt 0x0
	v_fmac_f64_e32 v[34:35], v[36:37], v[38:39]
.LBB144_452:                            ;   in Loop: Header=BB144_3 Depth=1
	s_or_b32 exec_lo, exec_lo, s12
	s_delay_alu instid0(VALU_DEP_1)
	v_xor_b32_e32 v35, 0x80000000, v35
.LBB144_453:                            ;   in Loop: Header=BB144_3 Depth=1
	s_or_b32 exec_lo, exec_lo, s10
	s_and_saveexec_b32 s10, s94
	s_cbranch_execz .LBB144_455
; %bb.454:                              ;   in Loop: Header=BB144_3 Depth=1
	ds_load_b64 v[36:37], v5 offset:14560
	s_wait_dscnt 0x0
	v_mul_f64_e32 v[34:35], v[34:35], v[36:37]
	ds_store_b64 v49, v[34:35]
.LBB144_455:                            ;   in Loop: Header=BB144_3 Depth=1
	s_or_b32 exec_lo, exec_lo, s10
	s_wait_dscnt 0x0
	s_barrier_signal -1
	s_barrier_wait -1
	s_and_saveexec_b32 s10, s95
	s_cbranch_execz .LBB144_457
; %bb.456:                              ;   in Loop: Header=BB144_3 Depth=1
	ds_load_b64 v[36:37], v47 offset:14560
	ds_load_b64 v[38:39], v49
	s_wait_dscnt 0x0
	v_fmac_f64_e32 v[34:35], v[36:37], v[38:39]
.LBB144_457:                            ;   in Loop: Header=BB144_3 Depth=1
	s_or_b32 exec_lo, exec_lo, s10
	s_barrier_signal -1
	s_barrier_wait -1
	s_and_saveexec_b32 s10, s96
	s_cbranch_execz .LBB144_459
; %bb.458:                              ;   in Loop: Header=BB144_3 Depth=1
	ds_load_b64 v[36:37], v5 offset:15080
	s_wait_dscnt 0x0
	v_mul_f64_e32 v[34:35], v[34:35], v[36:37]
	ds_store_b64 v49, v[34:35]
.LBB144_459:                            ;   in Loop: Header=BB144_3 Depth=1
	s_or_b32 exec_lo, exec_lo, s10
	s_wait_dscnt 0x0
	s_barrier_signal -1
	s_barrier_wait -1
	s_and_saveexec_b32 s10, s97
	s_cbranch_execz .LBB144_461
; %bb.460:                              ;   in Loop: Header=BB144_3 Depth=1
	ds_load_b64 v[36:37], v47 offset:15072
	ds_load_b64 v[38:39], v49
	s_wait_dscnt 0x0
	v_fmac_f64_e32 v[34:35], v[36:37], v[38:39]
.LBB144_461:                            ;   in Loop: Header=BB144_3 Depth=1
	s_or_b32 exec_lo, exec_lo, s10
	s_barrier_signal -1
	s_barrier_wait -1
	;; [unrolled: 23-line block ×3, first 2 shown]
	s_and_saveexec_b32 s10, s99
	s_cbranch_execz .LBB144_467
; %bb.466:                              ;   in Loop: Header=BB144_3 Depth=1
	ds_load_b64 v[36:37], v5 offset:16120
	s_wait_dscnt 0x0
	v_mul_f64_e32 v[34:35], v[34:35], v[36:37]
	ds_store_b64 v49, v[34:35]
.LBB144_467:                            ;   in Loop: Header=BB144_3 Depth=1
	s_or_b32 exec_lo, exec_lo, s10
	s_wait_dscnt 0x0
	s_barrier_signal -1
	s_barrier_wait -1
	s_barrier_signal -1
	s_barrier_wait -1
	s_and_saveexec_b32 s10, s3
; %bb.468:                              ;   in Loop: Header=BB144_3 Depth=1
	s_delay_alu instid0(VALU_DEP_1)
	v_xor_b32_e32 v35, 0x80000000, v35
	ds_store_b64 v50, v[34:35] offset:12512
; %bb.469:                              ;   in Loop: Header=BB144_3 Depth=1
	s_or_b32 exec_lo, exec_lo, s10
	s_wait_dscnt 0x0
	s_barrier_signal -1
	s_barrier_wait -1
	s_barrier_signal -1
	s_barrier_wait -1
	s_and_saveexec_b32 s10, s100
	s_cbranch_execz .LBB144_471
; %bb.470:                              ;   in Loop: Header=BB144_3 Depth=1
	ds_load_b64 v[34:35], v74 offset:12512
	s_wait_dscnt 0x0
	ds_store_b64 v77, v[34:35] offset:14528
	ds_load_b64 v[34:35], v74 offset:12520
	s_wait_dscnt 0x0
	ds_store_b64 v77, v[34:35] offset:15040
	;; [unrolled: 3-line block ×4, first 2 shown]
.LBB144_471:                            ;   in Loop: Header=BB144_3 Depth=1
	s_or_b32 exec_lo, exec_lo, s10
	s_wait_dscnt 0x0
	s_barrier_signal -1
	s_barrier_wait -1
	s_and_saveexec_b32 s10, s14
	s_cbranch_execz .LBB144_473
; %bb.472:                              ;   in Loop: Header=BB144_3 Depth=1
	ds_load_b128 v[34:37], v5 offset:14560
	ds_load_b64 v[38:39], v5 offset:15080
	s_wait_dscnt 0x0
	v_mul_f64_e32 v[34:35], v[34:35], v[38:39]
	s_delay_alu instid0(VALU_DEP_1)
	v_mul_f64_e32 v[34:35], v[36:37], v[34:35]
	v_add_nc_u32_e64 v36, 0x3800, 0
	ds_store_2addr_b64 v36, v[34:35], v[34:35] offset0:29 offset1:92
.LBB144_473:                            ;   in Loop: Header=BB144_3 Depth=1
	s_or_b32 exec_lo, exec_lo, s10
	v_mov_b64_e32 v[34:35], 0
	s_wait_dscnt 0x0
	s_barrier_signal -1
	s_barrier_wait -1
	s_and_saveexec_b32 s10, s1
	s_cbranch_execz .LBB144_477
; %bb.474:                              ;   in Loop: Header=BB144_3 Depth=1
	ds_load_b64 v[34:35], v43 offset:14576
	ds_load_b64 v[36:37], v44 offset:14560
	s_wait_dscnt 0x0
	v_fma_f64 v[34:35], v[34:35], v[36:37], 0
	s_and_saveexec_b32 s12, s15
	s_cbranch_execz .LBB144_476
; %bb.475:                              ;   in Loop: Header=BB144_3 Depth=1
	ds_load_b64 v[36:37], v77 offset:15088
	ds_load_b64 v[38:39], v5 offset:14568
	s_wait_dscnt 0x0
	v_fmac_f64_e32 v[34:35], v[36:37], v[38:39]
.LBB144_476:                            ;   in Loop: Header=BB144_3 Depth=1
	s_or_b32 exec_lo, exec_lo, s12
	s_delay_alu instid0(VALU_DEP_1)
	v_xor_b32_e32 v35, 0x80000000, v35
.LBB144_477:                            ;   in Loop: Header=BB144_3 Depth=1
	s_or_b32 exec_lo, exec_lo, s10
	s_and_saveexec_b32 s10, s91
	s_cbranch_execz .LBB144_479
; %bb.478:                              ;   in Loop: Header=BB144_3 Depth=1
	ds_load_b64 v[36:37], v5 offset:15600
	s_wait_dscnt 0x0
	v_mul_f64_e32 v[34:35], v[34:35], v[36:37]
	ds_store_b64 v3, v[34:35]
.LBB144_479:                            ;   in Loop: Header=BB144_3 Depth=1
	s_or_b32 exec_lo, exec_lo, s10
	s_wait_dscnt 0x0
	s_barrier_signal -1
	s_barrier_wait -1
	s_and_saveexec_b32 s10, s92
	s_cbranch_execz .LBB144_481
; %bb.480:                              ;   in Loop: Header=BB144_3 Depth=1
	ds_load_b64 v[36:37], v5 offset:15608
	ds_load_b64 v[38:39], v3
	s_wait_dscnt 0x0
	v_fmac_f64_e32 v[34:35], v[36:37], v[38:39]
.LBB144_481:                            ;   in Loop: Header=BB144_3 Depth=1
	s_or_b32 exec_lo, exec_lo, s10
	s_barrier_signal -1
	s_barrier_wait -1
	s_and_saveexec_b32 s10, s92
	s_cbranch_execz .LBB144_483
; %bb.482:                              ;   in Loop: Header=BB144_3 Depth=1
	ds_load_b64 v[36:37], v5 offset:16120
	s_wait_dscnt 0x0
	v_mul_f64_e32 v[34:35], v[34:35], v[36:37]
	ds_store_b64 v3, v[34:35]
.LBB144_483:                            ;   in Loop: Header=BB144_3 Depth=1
	s_or_b32 exec_lo, exec_lo, s10
	s_wait_dscnt 0x0
	s_barrier_signal -1
	s_barrier_wait -1
	s_barrier_signal -1
	s_barrier_wait -1
	s_and_saveexec_b32 s10, s1
; %bb.484:                              ;   in Loop: Header=BB144_3 Depth=1
	s_delay_alu instid0(VALU_DEP_1)
	v_xor_b32_e32 v35, 0x80000000, v35
	ds_store_b64 v43, v[34:35] offset:14576
; %bb.485:                              ;   in Loop: Header=BB144_3 Depth=1
	s_or_b32 exec_lo, exec_lo, s10
	s_wait_dscnt 0x0
	s_barrier_signal -1
	s_barrier_wait -1
	s_barrier_signal -1
	s_barrier_wait -1
	s_and_saveexec_b32 s10, s93
	s_cbranch_execz .LBB144_487
; %bb.486:                              ;   in Loop: Header=BB144_3 Depth=1
	ds_load_b64 v[34:35], v79 offset:14576
	s_wait_dscnt 0x0
	ds_store_b64 v77, v[34:35] offset:15584
	ds_load_b64 v[34:35], v79 offset:14584
	s_wait_dscnt 0x0
	ds_store_b64 v77, v[34:35] offset:16096
.LBB144_487:                            ;   in Loop: Header=BB144_3 Depth=1
	s_or_b32 exec_lo, exec_lo, s10
	s_wait_dscnt 0x0
	s_barrier_signal -1
	s_barrier_wait -1
	s_and_saveexec_b32 s10, s14
	s_cbranch_execz .LBB144_489
; %bb.488:                              ;   in Loop: Header=BB144_3 Depth=1
	ds_load_b128 v[34:37], v5 offset:15600
	ds_load_b64 v[38:39], v5 offset:16120
	s_wait_dscnt 0x0
	v_mul_f64_e32 v[34:35], v[34:35], v[38:39]
	s_delay_alu instid0(VALU_DEP_1)
	v_mul_f64_e32 v[34:35], v[36:37], v[34:35]
	v_add_nc_u32_e64 v36, 0x3800, 0
	ds_store_2addr_b64 v36, v[34:35], v[34:35] offset0:159 offset1:222
.LBB144_489:                            ;   in Loop: Header=BB144_3 Depth=1
	s_or_b32 exec_lo, exec_lo, s10
	v_mov_b64_e32 v[34:35], 0
	s_wait_dscnt 0x0
	s_barrier_signal -1
	s_barrier_wait -1
	s_and_saveexec_b32 s84, s35
	s_cbranch_execz .LBB144_551
; %bb.490:                              ;   in Loop: Header=BB144_3 Depth=1
	v_add_nc_u32_e32 v36, v70, v69
	ds_load_b64 v[34:35], v87 offset:256
	ds_load_b64 v[38:39], v36
	s_wait_dscnt 0x0
	v_fma_f64 v[34:35], v[34:35], v[38:39], 0
	s_mov_b32 s10, exec_lo
	v_readlane_b32 s12, v99, 6
	s_and_b32 s12, s10, s12
	s_delay_alu instid0(SALU_CYCLE_1)
	s_mov_b32 exec_lo, s12
	s_cbranch_execz .LBB144_492
; %bb.491:                              ;   in Loop: Header=BB144_3 Depth=1
	ds_load_b64 v[38:39], v87 offset:768
	ds_load_b64 v[40:41], v36 offset:8
	s_wait_dscnt 0x0
	v_fmac_f64_e32 v[34:35], v[38:39], v[40:41]
.LBB144_492:                            ;   in Loop: Header=BB144_3 Depth=1
	s_or_b32 exec_lo, exec_lo, s10
	s_delay_alu instid0(SALU_CYCLE_1) | instskip(SKIP_2) | instid1(SALU_CYCLE_1)
	s_mov_b32 s10, exec_lo
	v_readlane_b32 s12, v99, 7
	s_and_b32 s12, s10, s12
	s_mov_b32 exec_lo, s12
	s_cbranch_execz .LBB144_494
; %bb.493:                              ;   in Loop: Header=BB144_3 Depth=1
	ds_load_b64 v[38:39], v87 offset:1280
	ds_load_b64 v[40:41], v36 offset:16
	s_wait_dscnt 0x0
	v_fmac_f64_e32 v[34:35], v[38:39], v[40:41]
.LBB144_494:                            ;   in Loop: Header=BB144_3 Depth=1
	s_or_b32 exec_lo, exec_lo, s10
	s_delay_alu instid0(SALU_CYCLE_1) | instskip(SKIP_2) | instid1(SALU_CYCLE_1)
	s_mov_b32 s10, exec_lo
	v_readlane_b32 s12, v99, 8
	s_and_b32 s12, s10, s12
	;; [unrolled: 13-line block ×22, first 2 shown]
	s_mov_b32 exec_lo, s12
	s_cbranch_execz .LBB144_536
; %bb.535:                              ;   in Loop: Header=BB144_3 Depth=1
	ds_load_b64 v[38:39], v87 offset:12032
	ds_load_b64 v[40:41], v36 offset:184
	s_wait_dscnt 0x0
	v_fmac_f64_e32 v[34:35], v[38:39], v[40:41]
.LBB144_536:                            ;   in Loop: Header=BB144_3 Depth=1
	s_or_b32 exec_lo, exec_lo, s10
	s_and_saveexec_b32 s10, s5
	s_cbranch_execz .LBB144_538
; %bb.537:                              ;   in Loop: Header=BB144_3 Depth=1
	ds_load_b64 v[38:39], v87 offset:12544
	ds_load_b64 v[40:41], v36 offset:192
	s_wait_dscnt 0x0
	v_fmac_f64_e32 v[34:35], v[38:39], v[40:41]
.LBB144_538:                            ;   in Loop: Header=BB144_3 Depth=1
	s_or_b32 exec_lo, exec_lo, s10
	s_delay_alu instid0(SALU_CYCLE_1) | instskip(SKIP_2) | instid1(SALU_CYCLE_1)
	s_mov_b32 s10, exec_lo
	v_readlane_b32 s12, v100, 28
	s_and_b32 s12, s10, s12
	s_mov_b32 exec_lo, s12
	s_cbranch_execz .LBB144_540
; %bb.539:                              ;   in Loop: Header=BB144_3 Depth=1
	ds_load_b64 v[38:39], v87 offset:13056
	ds_load_b64 v[40:41], v36 offset:200
	s_wait_dscnt 0x0
	v_fmac_f64_e32 v[34:35], v[38:39], v[40:41]
.LBB144_540:                            ;   in Loop: Header=BB144_3 Depth=1
	s_or_b32 exec_lo, exec_lo, s10
	s_delay_alu instid0(SALU_CYCLE_1) | instskip(SKIP_2) | instid1(SALU_CYCLE_1)
	s_mov_b32 s10, exec_lo
	v_readlane_b32 s12, v100, 30
	s_and_b32 s12, s10, s12
	s_mov_b32 exec_lo, s12
	;; [unrolled: 13-line block ×5, first 2 shown]
	s_cbranch_execnz .LBB144_1123
; %bb.547:                              ;   in Loop: Header=BB144_3 Depth=1
	s_or_b32 exec_lo, exec_lo, s10
	s_and_saveexec_b32 s10, s4
	s_cbranch_execnz .LBB144_1124
.LBB144_548:                            ;   in Loop: Header=BB144_3 Depth=1
	s_or_b32 exec_lo, exec_lo, s10
	s_and_saveexec_b32 s10, s21
	s_cbranch_execz .LBB144_550
.LBB144_549:                            ;   in Loop: Header=BB144_3 Depth=1
	ds_load_b64 v[36:37], v45 offset:16128
	ds_load_b64 v[38:39], v5 offset:248
	s_wait_dscnt 0x0
	v_fmac_f64_e32 v[34:35], v[36:37], v[38:39]
.LBB144_550:                            ;   in Loop: Header=BB144_3 Depth=1
	s_or_b32 exec_lo, exec_lo, s10
	s_delay_alu instid0(VALU_DEP_1)
	v_xor_b32_e32 v35, 0x80000000, v35
.LBB144_551:                            ;   in Loop: Header=BB144_3 Depth=1
	s_or_b32 exec_lo, exec_lo, s84
	v_dual_mov_b32 v36, v68 :: v_dual_mov_b32 v37, v84
	s_mov_b32 s10, 0
	s_branch .LBB144_553
.LBB144_552:                            ;   in Loop: Header=BB144_553 Depth=2
	s_or_b32 exec_lo, exec_lo, s12
	v_add_nc_u32_e32 v37, 0x800, v37
	v_add_nc_u32_e32 v36, -4, v36
	s_add_co_i32 s10, s10, 4
	s_delay_alu instid0(SALU_CYCLE_1)
	s_cmp_eq_u32 s10, 32
	s_barrier_signal -1
	s_barrier_wait -1
	s_cbranch_scc1 .LBB144_569
.LBB144_553:                            ;   Parent Loop BB144_3 Depth=1
                                        ; =>  This Inner Loop Header: Depth=2
	s_delay_alu instid0(VALU_DEP_1) | instskip(SKIP_1) | instid1(SALU_CYCLE_1)
	v_cmp_eq_u32_e32 vcc_lo, 0, v36
	s_and_b32 s50, s13, vcc_lo
	s_and_saveexec_b32 s12, s50
	s_cbranch_execz .LBB144_555
; %bb.554:                              ;   in Loop: Header=BB144_553 Depth=2
	ds_load_b64 v[38:39], v83 offset:16640
	s_wait_dscnt 0x0
	v_mul_f64_e32 v[34:35], v[34:35], v[38:39]
	ds_store_b64 v86, v[34:35]
.LBB144_555:                            ;   in Loop: Header=BB144_553 Depth=2
	s_or_b32 exec_lo, exec_lo, s12
	v_cmp_lt_u32_e32 vcc_lo, s10, v68
	s_wait_dscnt 0x0
	s_barrier_signal -1
	s_barrier_wait -1
	s_and_b32 s50, s13, vcc_lo
	s_delay_alu instid0(SALU_CYCLE_1)
	s_and_saveexec_b32 s12, s50
	s_cbranch_execz .LBB144_557
; %bb.556:                              ;   in Loop: Header=BB144_553 Depth=2
	ds_load_b64 v[38:39], v37
	ds_load_b64 v[40:41], v86
	s_wait_dscnt 0x0
	v_fmac_f64_e32 v[34:35], v[38:39], v[40:41]
.LBB144_557:                            ;   in Loop: Header=BB144_553 Depth=2
	s_or_b32 exec_lo, exec_lo, s12
	s_or_b32 s12, s10, 1
	s_delay_alu instid0(SALU_CYCLE_1) | instskip(SKIP_3) | instid1(SALU_CYCLE_1)
	v_cmp_eq_u32_e32 vcc_lo, s12, v68
	s_barrier_signal -1
	s_barrier_wait -1
	s_and_b32 s51, s13, vcc_lo
	s_and_saveexec_b32 s50, s51
	s_cbranch_execz .LBB144_559
; %bb.558:                              ;   in Loop: Header=BB144_553 Depth=2
	ds_load_b64 v[38:39], v83 offset:16640
	s_wait_dscnt 0x0
	v_mul_f64_e32 v[34:35], v[34:35], v[38:39]
	ds_store_b64 v86, v[34:35]
.LBB144_559:                            ;   in Loop: Header=BB144_553 Depth=2
	s_or_b32 exec_lo, exec_lo, s50
	v_cmp_lt_u32_e32 vcc_lo, s12, v68
	s_wait_dscnt 0x0
	s_barrier_signal -1
	s_barrier_wait -1
	s_and_b32 s50, s13, vcc_lo
	s_delay_alu instid0(SALU_CYCLE_1)
	s_and_saveexec_b32 s12, s50
	s_cbranch_execz .LBB144_561
; %bb.560:                              ;   in Loop: Header=BB144_553 Depth=2
	ds_load_b64 v[38:39], v37 offset:512
	ds_load_b64 v[40:41], v86
	s_wait_dscnt 0x0
	v_fmac_f64_e32 v[34:35], v[38:39], v[40:41]
.LBB144_561:                            ;   in Loop: Header=BB144_553 Depth=2
	s_or_b32 exec_lo, exec_lo, s12
	s_or_b32 s12, s10, 2
	s_delay_alu instid0(SALU_CYCLE_1) | instskip(SKIP_3) | instid1(SALU_CYCLE_1)
	v_cmp_eq_u32_e32 vcc_lo, s12, v68
	s_barrier_signal -1
	s_barrier_wait -1
	s_and_b32 s51, s13, vcc_lo
	s_and_saveexec_b32 s50, s51
	s_cbranch_execz .LBB144_563
; %bb.562:                              ;   in Loop: Header=BB144_553 Depth=2
	ds_load_b64 v[38:39], v83 offset:16640
	s_wait_dscnt 0x0
	v_mul_f64_e32 v[34:35], v[34:35], v[38:39]
	ds_store_b64 v86, v[34:35]
.LBB144_563:                            ;   in Loop: Header=BB144_553 Depth=2
	s_or_b32 exec_lo, exec_lo, s50
	v_cmp_lt_u32_e32 vcc_lo, s12, v68
	s_wait_dscnt 0x0
	s_barrier_signal -1
	s_barrier_wait -1
	s_and_b32 s50, s13, vcc_lo
	s_delay_alu instid0(SALU_CYCLE_1)
	s_and_saveexec_b32 s12, s50
	s_cbranch_execz .LBB144_565
; %bb.564:                              ;   in Loop: Header=BB144_553 Depth=2
	ds_load_b64 v[38:39], v37 offset:1024
	ds_load_b64 v[40:41], v86
	s_wait_dscnt 0x0
	v_fmac_f64_e32 v[34:35], v[38:39], v[40:41]
.LBB144_565:                            ;   in Loop: Header=BB144_553 Depth=2
	s_or_b32 exec_lo, exec_lo, s12
	s_or_b32 s12, s10, 3
	s_delay_alu instid0(SALU_CYCLE_1) | instskip(SKIP_3) | instid1(SALU_CYCLE_1)
	v_cmp_eq_u32_e32 vcc_lo, s12, v68
	s_barrier_signal -1
	s_barrier_wait -1
	s_and_b32 s51, s13, vcc_lo
	s_and_saveexec_b32 s50, s51
	s_cbranch_execz .LBB144_567
; %bb.566:                              ;   in Loop: Header=BB144_553 Depth=2
	ds_load_b64 v[38:39], v83 offset:16640
	s_wait_dscnt 0x0
	v_mul_f64_e32 v[34:35], v[34:35], v[38:39]
	ds_store_b64 v86, v[34:35]
.LBB144_567:                            ;   in Loop: Header=BB144_553 Depth=2
	s_or_b32 exec_lo, exec_lo, s50
	v_cmp_lt_u32_e32 vcc_lo, s12, v68
	s_wait_dscnt 0x0
	s_barrier_signal -1
	s_barrier_wait -1
	s_and_b32 s50, s13, vcc_lo
	s_delay_alu instid0(SALU_CYCLE_1)
	s_and_saveexec_b32 s12, s50
	s_cbranch_execz .LBB144_552
; %bb.568:                              ;   in Loop: Header=BB144_553 Depth=2
	ds_load_b64 v[38:39], v37 offset:1536
	ds_load_b64 v[40:41], v86
	s_wait_dscnt 0x0
	v_fmac_f64_e32 v[34:35], v[38:39], v[40:41]
	s_branch .LBB144_552
.LBB144_569:                            ;   in Loop: Header=BB144_3 Depth=1
	s_and_saveexec_b32 s10, s35
; %bb.570:                              ;   in Loop: Header=BB144_3 Depth=1
	s_delay_alu instid0(VALU_DEP_3)
	v_xor_b32_e32 v35, 0x80000000, v35
	ds_store_b64 v87, v[34:35] offset:256
; %bb.571:                              ;   in Loop: Header=BB144_3 Depth=1
	s_or_b32 exec_lo, exec_lo, s10
	s_wait_dscnt 0x0
	s_barrier_signal -1
	s_barrier_wait -1
	s_barrier_signal -1
	s_barrier_wait -1
	s_mov_b32 s10, exec_lo
	v_readlane_b32 s12, v100, 9
	s_and_b32 s12, s10, s12
	s_delay_alu instid0(SALU_CYCLE_1)
	s_mov_b32 exec_lo, s12
	s_cbranch_execz .LBB144_573
; %bb.572:                              ;   in Loop: Header=BB144_3 Depth=1
	ds_load_b64 v[34:35], v48 offset:256
	s_wait_dscnt 0x0
	ds_store_b64 v52, v[34:35] offset:16384
	ds_load_b64 v[34:35], v48 offset:264
	s_wait_dscnt 0x0
	ds_store_b64 v52, v[34:35] offset:16896
	;; [unrolled: 3-line block ×32, first 2 shown]
.LBB144_573:                            ;   in Loop: Header=BB144_3 Depth=1
	s_or_b32 exec_lo, exec_lo, s10
	s_wait_dscnt 0x0
	s_barrier_signal -1
	s_barrier_wait -1
	s_and_saveexec_b32 s10, s14
	s_cbranch_execz .LBB144_575
; %bb.574:                              ;   in Loop: Header=BB144_3 Depth=1
	ds_load_b128 v[34:37], v5 offset:16640
	ds_load_b64 v[38:39], v5 offset:17160
	s_wait_dscnt 0x0
	v_mul_f64_e32 v[34:35], v[34:35], v[38:39]
	s_delay_alu instid0(VALU_DEP_1)
	v_mul_f64_e32 v[34:35], v[36:37], v[34:35]
	v_add_nc_u32_e64 v36, 0x4000, 0
	ds_store_2addr_b64 v36, v[34:35], v[34:35] offset0:33 offset1:96
.LBB144_575:                            ;   in Loop: Header=BB144_3 Depth=1
	s_or_b32 exec_lo, exec_lo, s10
	v_mov_b64_e32 v[34:35], 0
	s_wait_dscnt 0x0
	s_barrier_signal -1
	s_barrier_wait -1
	s_and_saveexec_b32 s10, s1
	s_cbranch_execz .LBB144_579
; %bb.576:                              ;   in Loop: Header=BB144_3 Depth=1
	ds_load_b64 v[34:35], v43 offset:16656
	ds_load_b64 v[36:37], v44 offset:16640
	s_wait_dscnt 0x0
	v_fma_f64 v[34:35], v[34:35], v[36:37], 0
	s_and_saveexec_b32 s12, s15
	s_cbranch_execz .LBB144_578
; %bb.577:                              ;   in Loop: Header=BB144_3 Depth=1
	ds_load_b64 v[36:37], v45 offset:17168
	ds_load_b64 v[38:39], v5 offset:16648
	s_wait_dscnt 0x0
	v_fmac_f64_e32 v[34:35], v[36:37], v[38:39]
.LBB144_578:                            ;   in Loop: Header=BB144_3 Depth=1
	s_or_b32 exec_lo, exec_lo, s12
	s_delay_alu instid0(VALU_DEP_1)
	v_xor_b32_e32 v35, 0x80000000, v35
.LBB144_579:                            ;   in Loop: Header=BB144_3 Depth=1
	s_or_b32 exec_lo, exec_lo, s10
	s_and_saveexec_b32 s10, s91
	s_cbranch_execz .LBB144_581
; %bb.580:                              ;   in Loop: Header=BB144_3 Depth=1
	ds_load_b64 v[36:37], v5 offset:17680
	s_wait_dscnt 0x0
	v_mul_f64_e32 v[34:35], v[34:35], v[36:37]
	ds_store_b64 v3, v[34:35]
.LBB144_581:                            ;   in Loop: Header=BB144_3 Depth=1
	s_or_b32 exec_lo, exec_lo, s10
	s_wait_dscnt 0x0
	s_barrier_signal -1
	s_barrier_wait -1
	s_and_saveexec_b32 s10, s92
	s_cbranch_execz .LBB144_583
; %bb.582:                              ;   in Loop: Header=BB144_3 Depth=1
	ds_load_b64 v[36:37], v5 offset:17688
	ds_load_b64 v[38:39], v3
	s_wait_dscnt 0x0
	v_fmac_f64_e32 v[34:35], v[36:37], v[38:39]
.LBB144_583:                            ;   in Loop: Header=BB144_3 Depth=1
	s_or_b32 exec_lo, exec_lo, s10
	s_barrier_signal -1
	s_barrier_wait -1
	s_and_saveexec_b32 s10, s92
	s_cbranch_execz .LBB144_585
; %bb.584:                              ;   in Loop: Header=BB144_3 Depth=1
	ds_load_b64 v[36:37], v5 offset:18200
	s_wait_dscnt 0x0
	v_mul_f64_e32 v[34:35], v[34:35], v[36:37]
	ds_store_b64 v3, v[34:35]
.LBB144_585:                            ;   in Loop: Header=BB144_3 Depth=1
	s_or_b32 exec_lo, exec_lo, s10
	s_wait_dscnt 0x0
	s_barrier_signal -1
	s_barrier_wait -1
	s_barrier_signal -1
	s_barrier_wait -1
	s_and_saveexec_b32 s10, s1
; %bb.586:                              ;   in Loop: Header=BB144_3 Depth=1
	s_delay_alu instid0(VALU_DEP_1)
	v_xor_b32_e32 v35, 0x80000000, v35
	ds_store_b64 v43, v[34:35] offset:16656
; %bb.587:                              ;   in Loop: Header=BB144_3 Depth=1
	s_or_b32 exec_lo, exec_lo, s10
	s_wait_dscnt 0x0
	s_barrier_signal -1
	s_barrier_wait -1
	s_barrier_signal -1
	s_barrier_wait -1
	s_and_saveexec_b32 s10, s93
	s_cbranch_execz .LBB144_589
; %bb.588:                              ;   in Loop: Header=BB144_3 Depth=1
	ds_load_b64 v[34:35], v48 offset:16656
	s_wait_dscnt 0x0
	ds_store_b64 v45, v[34:35] offset:17664
	ds_load_b64 v[34:35], v48 offset:16664
	s_wait_dscnt 0x0
	ds_store_b64 v45, v[34:35] offset:18176
.LBB144_589:                            ;   in Loop: Header=BB144_3 Depth=1
	s_or_b32 exec_lo, exec_lo, s10
	s_wait_dscnt 0x0
	s_barrier_signal -1
	s_barrier_wait -1
	s_and_saveexec_b32 s10, s14
	s_cbranch_execz .LBB144_591
; %bb.590:                              ;   in Loop: Header=BB144_3 Depth=1
	ds_load_b128 v[34:37], v5 offset:17680
	ds_load_b64 v[38:39], v5 offset:18200
	s_wait_dscnt 0x0
	v_mul_f64_e32 v[34:35], v[34:35], v[38:39]
	s_delay_alu instid0(VALU_DEP_1)
	v_mul_f64_e32 v[34:35], v[36:37], v[34:35]
	v_add_nc_u32_e64 v36, 0x4000, 0
	ds_store_2addr_b64 v36, v[34:35], v[34:35] offset0:163 offset1:226
.LBB144_591:                            ;   in Loop: Header=BB144_3 Depth=1
	s_or_b32 exec_lo, exec_lo, s10
	v_mov_b64_e32 v[34:35], 0
	s_wait_dscnt 0x0
	s_barrier_signal -1
	s_barrier_wait -1
	s_and_saveexec_b32 s10, s3
	s_cbranch_execz .LBB144_597
; %bb.592:                              ;   in Loop: Header=BB144_3 Depth=1
	ds_load_b64 v[34:35], v50 offset:16672
	ds_load_b64 v[36:37], v46 offset:16640
	s_wait_dscnt 0x0
	v_fma_f64 v[34:35], v[34:35], v[36:37], 0
	s_and_saveexec_b32 s12, s16
	s_cbranch_execnz .LBB144_1125
; %bb.593:                              ;   in Loop: Header=BB144_3 Depth=1
	s_or_b32 exec_lo, exec_lo, s12
	s_and_saveexec_b32 s12, s17
	s_cbranch_execnz .LBB144_1126
.LBB144_594:                            ;   in Loop: Header=BB144_3 Depth=1
	s_or_b32 exec_lo, exec_lo, s12
	s_and_saveexec_b32 s12, s1
	s_cbranch_execz .LBB144_596
.LBB144_595:                            ;   in Loop: Header=BB144_3 Depth=1
	ds_load_b64 v[36:37], v52 offset:18208
	ds_load_b64 v[38:39], v5 offset:16664
	s_wait_dscnt 0x0
	v_fmac_f64_e32 v[34:35], v[36:37], v[38:39]
.LBB144_596:                            ;   in Loop: Header=BB144_3 Depth=1
	s_or_b32 exec_lo, exec_lo, s12
	s_delay_alu instid0(VALU_DEP_1)
	v_xor_b32_e32 v35, 0x80000000, v35
.LBB144_597:                            ;   in Loop: Header=BB144_3 Depth=1
	s_or_b32 exec_lo, exec_lo, s10
	s_and_saveexec_b32 s10, s94
	s_cbranch_execz .LBB144_599
; %bb.598:                              ;   in Loop: Header=BB144_3 Depth=1
	ds_load_b64 v[36:37], v5 offset:18720
	s_wait_dscnt 0x0
	v_mul_f64_e32 v[34:35], v[34:35], v[36:37]
	ds_store_b64 v49, v[34:35]
.LBB144_599:                            ;   in Loop: Header=BB144_3 Depth=1
	s_or_b32 exec_lo, exec_lo, s10
	s_wait_dscnt 0x0
	s_barrier_signal -1
	s_barrier_wait -1
	s_and_saveexec_b32 s10, s95
	s_cbranch_execz .LBB144_601
; %bb.600:                              ;   in Loop: Header=BB144_3 Depth=1
	ds_load_b64 v[36:37], v47 offset:18720
	ds_load_b64 v[38:39], v49
	s_wait_dscnt 0x0
	v_fmac_f64_e32 v[34:35], v[36:37], v[38:39]
.LBB144_601:                            ;   in Loop: Header=BB144_3 Depth=1
	s_or_b32 exec_lo, exec_lo, s10
	s_barrier_signal -1
	s_barrier_wait -1
	s_and_saveexec_b32 s10, s96
	s_cbranch_execz .LBB144_603
; %bb.602:                              ;   in Loop: Header=BB144_3 Depth=1
	ds_load_b64 v[36:37], v5 offset:19240
	s_wait_dscnt 0x0
	v_mul_f64_e32 v[34:35], v[34:35], v[36:37]
	ds_store_b64 v49, v[34:35]
.LBB144_603:                            ;   in Loop: Header=BB144_3 Depth=1
	s_or_b32 exec_lo, exec_lo, s10
	s_wait_dscnt 0x0
	s_barrier_signal -1
	s_barrier_wait -1
	s_and_saveexec_b32 s10, s97
	s_cbranch_execz .LBB144_605
; %bb.604:                              ;   in Loop: Header=BB144_3 Depth=1
	ds_load_b64 v[36:37], v47 offset:19232
	ds_load_b64 v[38:39], v49
	s_wait_dscnt 0x0
	v_fmac_f64_e32 v[34:35], v[36:37], v[38:39]
.LBB144_605:                            ;   in Loop: Header=BB144_3 Depth=1
	s_or_b32 exec_lo, exec_lo, s10
	s_barrier_signal -1
	s_barrier_wait -1
	;; [unrolled: 23-line block ×3, first 2 shown]
	s_and_saveexec_b32 s10, s99
	s_cbranch_execz .LBB144_611
; %bb.610:                              ;   in Loop: Header=BB144_3 Depth=1
	ds_load_b64 v[36:37], v5 offset:20280
	s_wait_dscnt 0x0
	v_mul_f64_e32 v[34:35], v[34:35], v[36:37]
	ds_store_b64 v49, v[34:35]
.LBB144_611:                            ;   in Loop: Header=BB144_3 Depth=1
	s_or_b32 exec_lo, exec_lo, s10
	s_wait_dscnt 0x0
	s_barrier_signal -1
	s_barrier_wait -1
	s_barrier_signal -1
	s_barrier_wait -1
	s_and_saveexec_b32 s10, s3
; %bb.612:                              ;   in Loop: Header=BB144_3 Depth=1
	s_delay_alu instid0(VALU_DEP_1)
	v_xor_b32_e32 v35, 0x80000000, v35
	ds_store_b64 v50, v[34:35] offset:16672
; %bb.613:                              ;   in Loop: Header=BB144_3 Depth=1
	s_or_b32 exec_lo, exec_lo, s10
	s_wait_dscnt 0x0
	s_barrier_signal -1
	s_barrier_wait -1
	s_barrier_signal -1
	s_barrier_wait -1
	s_and_saveexec_b32 s10, s100
	s_cbranch_execz .LBB144_615
; %bb.614:                              ;   in Loop: Header=BB144_3 Depth=1
	ds_load_b64 v[34:35], v53 offset:16672
	s_wait_dscnt 0x0
	ds_store_b64 v54, v[34:35] offset:18688
	ds_load_b64 v[34:35], v53 offset:16680
	s_wait_dscnt 0x0
	ds_store_b64 v54, v[34:35] offset:19200
	;; [unrolled: 3-line block ×4, first 2 shown]
.LBB144_615:                            ;   in Loop: Header=BB144_3 Depth=1
	s_or_b32 exec_lo, exec_lo, s10
	s_wait_dscnt 0x0
	s_barrier_signal -1
	s_barrier_wait -1
	s_and_saveexec_b32 s10, s14
	s_cbranch_execz .LBB144_617
; %bb.616:                              ;   in Loop: Header=BB144_3 Depth=1
	ds_load_b128 v[34:37], v5 offset:18720
	ds_load_b64 v[38:39], v5 offset:19240
	s_wait_dscnt 0x0
	v_mul_f64_e32 v[34:35], v[34:35], v[38:39]
	s_delay_alu instid0(VALU_DEP_1)
	v_mul_f64_e32 v[34:35], v[36:37], v[34:35]
	v_add_nc_u32_e64 v36, 0x4800, 0
	ds_store_2addr_b64 v36, v[34:35], v[34:35] offset0:37 offset1:100
.LBB144_617:                            ;   in Loop: Header=BB144_3 Depth=1
	s_or_b32 exec_lo, exec_lo, s10
	v_mov_b64_e32 v[34:35], 0
	s_wait_dscnt 0x0
	s_barrier_signal -1
	s_barrier_wait -1
	s_and_saveexec_b32 s10, s1
	s_cbranch_execz .LBB144_621
; %bb.618:                              ;   in Loop: Header=BB144_3 Depth=1
	ds_load_b64 v[34:35], v43 offset:18736
	ds_load_b64 v[36:37], v44 offset:18720
	s_wait_dscnt 0x0
	v_fma_f64 v[34:35], v[34:35], v[36:37], 0
	s_and_saveexec_b32 s12, s15
	s_cbranch_execz .LBB144_620
; %bb.619:                              ;   in Loop: Header=BB144_3 Depth=1
	ds_load_b64 v[36:37], v54 offset:19248
	ds_load_b64 v[38:39], v5 offset:18728
	s_wait_dscnt 0x0
	v_fmac_f64_e32 v[34:35], v[36:37], v[38:39]
.LBB144_620:                            ;   in Loop: Header=BB144_3 Depth=1
	s_or_b32 exec_lo, exec_lo, s12
	s_delay_alu instid0(VALU_DEP_1)
	v_xor_b32_e32 v35, 0x80000000, v35
.LBB144_621:                            ;   in Loop: Header=BB144_3 Depth=1
	s_or_b32 exec_lo, exec_lo, s10
	s_and_saveexec_b32 s10, s91
	s_cbranch_execz .LBB144_623
; %bb.622:                              ;   in Loop: Header=BB144_3 Depth=1
	ds_load_b64 v[36:37], v5 offset:19760
	s_wait_dscnt 0x0
	v_mul_f64_e32 v[34:35], v[34:35], v[36:37]
	ds_store_b64 v3, v[34:35]
.LBB144_623:                            ;   in Loop: Header=BB144_3 Depth=1
	s_or_b32 exec_lo, exec_lo, s10
	s_wait_dscnt 0x0
	s_barrier_signal -1
	s_barrier_wait -1
	s_and_saveexec_b32 s10, s92
	s_cbranch_execz .LBB144_625
; %bb.624:                              ;   in Loop: Header=BB144_3 Depth=1
	ds_load_b64 v[36:37], v5 offset:19768
	ds_load_b64 v[38:39], v3
	s_wait_dscnt 0x0
	v_fmac_f64_e32 v[34:35], v[36:37], v[38:39]
.LBB144_625:                            ;   in Loop: Header=BB144_3 Depth=1
	s_or_b32 exec_lo, exec_lo, s10
	s_barrier_signal -1
	s_barrier_wait -1
	s_and_saveexec_b32 s10, s92
	s_cbranch_execz .LBB144_627
; %bb.626:                              ;   in Loop: Header=BB144_3 Depth=1
	ds_load_b64 v[36:37], v5 offset:20280
	s_wait_dscnt 0x0
	v_mul_f64_e32 v[34:35], v[34:35], v[36:37]
	ds_store_b64 v3, v[34:35]
.LBB144_627:                            ;   in Loop: Header=BB144_3 Depth=1
	s_or_b32 exec_lo, exec_lo, s10
	s_wait_dscnt 0x0
	s_barrier_signal -1
	s_barrier_wait -1
	s_barrier_signal -1
	s_barrier_wait -1
	s_and_saveexec_b32 s10, s1
; %bb.628:                              ;   in Loop: Header=BB144_3 Depth=1
	s_delay_alu instid0(VALU_DEP_1)
	v_xor_b32_e32 v35, 0x80000000, v35
	ds_store_b64 v43, v[34:35] offset:18736
; %bb.629:                              ;   in Loop: Header=BB144_3 Depth=1
	s_or_b32 exec_lo, exec_lo, s10
	s_wait_dscnt 0x0
	s_barrier_signal -1
	s_barrier_wait -1
	s_barrier_signal -1
	s_barrier_wait -1
	s_and_saveexec_b32 s10, s93
	s_cbranch_execz .LBB144_631
; %bb.630:                              ;   in Loop: Header=BB144_3 Depth=1
	ds_load_b64 v[34:35], v57 offset:18736
	s_wait_dscnt 0x0
	ds_store_b64 v54, v[34:35] offset:19744
	ds_load_b64 v[34:35], v57 offset:18744
	s_wait_dscnt 0x0
	ds_store_b64 v54, v[34:35] offset:20256
.LBB144_631:                            ;   in Loop: Header=BB144_3 Depth=1
	s_or_b32 exec_lo, exec_lo, s10
	s_wait_dscnt 0x0
	s_barrier_signal -1
	s_barrier_wait -1
	s_and_saveexec_b32 s10, s14
	s_cbranch_execz .LBB144_633
; %bb.632:                              ;   in Loop: Header=BB144_3 Depth=1
	ds_load_b128 v[34:37], v5 offset:19760
	ds_load_b64 v[38:39], v5 offset:20280
	s_wait_dscnt 0x0
	v_mul_f64_e32 v[34:35], v[34:35], v[38:39]
	s_delay_alu instid0(VALU_DEP_1)
	v_mul_f64_e32 v[34:35], v[36:37], v[34:35]
	v_add_nc_u32_e64 v36, 0x4800, 0
	ds_store_2addr_b64 v36, v[34:35], v[34:35] offset0:167 offset1:230
.LBB144_633:                            ;   in Loop: Header=BB144_3 Depth=1
	s_or_b32 exec_lo, exec_lo, s10
	v_mov_b64_e32 v[34:35], 0
	s_wait_dscnt 0x0
	s_barrier_signal -1
	s_barrier_wait -1
	s_and_saveexec_b32 s10, s4
	s_cbranch_execz .LBB144_643
; %bb.634:                              ;   in Loop: Header=BB144_3 Depth=1
	ds_load_b64 v[34:35], v59 offset:16704
	ds_load_b64 v[36:37], v55 offset:16640
	s_wait_dscnt 0x0
	v_fma_f64 v[34:35], v[34:35], v[36:37], 0
	s_and_saveexec_b32 s12, s18
	s_cbranch_execnz .LBB144_1127
; %bb.635:                              ;   in Loop: Header=BB144_3 Depth=1
	s_or_b32 exec_lo, exec_lo, s12
	s_and_saveexec_b32 s12, s19
	s_cbranch_execnz .LBB144_1128
.LBB144_636:                            ;   in Loop: Header=BB144_3 Depth=1
	s_or_b32 exec_lo, exec_lo, s12
	s_and_saveexec_b32 s12, s20
	s_cbranch_execnz .LBB144_1129
.LBB144_637:                            ;   in Loop: Header=BB144_3 Depth=1
	s_or_b32 exec_lo, exec_lo, s12
	s_and_saveexec_b32 s12, s21
	s_cbranch_execnz .LBB144_1130
.LBB144_638:                            ;   in Loop: Header=BB144_3 Depth=1
	s_or_b32 exec_lo, exec_lo, s12
	s_and_saveexec_b32 s12, s22
	s_cbranch_execnz .LBB144_1131
.LBB144_639:                            ;   in Loop: Header=BB144_3 Depth=1
	s_or_b32 exec_lo, exec_lo, s12
	s_and_saveexec_b32 s12, s3
	s_cbranch_execnz .LBB144_1132
.LBB144_640:                            ;   in Loop: Header=BB144_3 Depth=1
	s_or_b32 exec_lo, exec_lo, s12
	s_and_saveexec_b32 s12, s17
	s_cbranch_execz .LBB144_642
.LBB144_641:                            ;   in Loop: Header=BB144_3 Depth=1
	ds_load_b64 v[36:37], v61 offset:20288
	ds_load_b64 v[38:39], v5 offset:16696
	s_wait_dscnt 0x0
	v_fmac_f64_e32 v[34:35], v[36:37], v[38:39]
.LBB144_642:                            ;   in Loop: Header=BB144_3 Depth=1
	s_or_b32 exec_lo, exec_lo, s12
	s_delay_alu instid0(VALU_DEP_1)
	v_xor_b32_e32 v35, 0x80000000, v35
.LBB144_643:                            ;   in Loop: Header=BB144_3 Depth=1
	s_or_b32 exec_lo, exec_lo, s10
	s_and_saveexec_b32 s10, s101
	s_cbranch_execz .LBB144_645
; %bb.644:                              ;   in Loop: Header=BB144_3 Depth=1
	ds_load_b64 v[36:37], v5 offset:20800
	s_wait_dscnt 0x0
	v_mul_f64_e32 v[34:35], v[34:35], v[36:37]
	ds_store_b64 v58, v[34:35]
.LBB144_645:                            ;   in Loop: Header=BB144_3 Depth=1
	s_or_b32 exec_lo, exec_lo, s10
	s_wait_dscnt 0x0
	s_barrier_signal -1
	s_barrier_wait -1
	s_and_saveexec_b32 s10, s102
	s_cbranch_execz .LBB144_647
; %bb.646:                              ;   in Loop: Header=BB144_3 Depth=1
	ds_load_b64 v[36:37], v56 offset:20800
	ds_load_b64 v[38:39], v58
	s_wait_dscnt 0x0
	v_fmac_f64_e32 v[34:35], v[36:37], v[38:39]
.LBB144_647:                            ;   in Loop: Header=BB144_3 Depth=1
	s_or_b32 exec_lo, exec_lo, s10
	s_barrier_signal -1
	s_barrier_wait -1
	s_and_saveexec_b32 s10, s103
	s_cbranch_execz .LBB144_649
; %bb.648:                              ;   in Loop: Header=BB144_3 Depth=1
	ds_load_b64 v[36:37], v5 offset:21320
	s_wait_dscnt 0x0
	v_mul_f64_e32 v[34:35], v[34:35], v[36:37]
	ds_store_b64 v58, v[34:35]
.LBB144_649:                            ;   in Loop: Header=BB144_3 Depth=1
	s_or_b32 exec_lo, exec_lo, s10
	s_wait_dscnt 0x0
	s_barrier_signal -1
	s_barrier_wait -1
	s_and_saveexec_b32 s10, s104
	s_cbranch_execz .LBB144_651
; %bb.650:                              ;   in Loop: Header=BB144_3 Depth=1
	ds_load_b64 v[36:37], v56 offset:21312
	ds_load_b64 v[38:39], v58
	s_wait_dscnt 0x0
	v_fmac_f64_e32 v[34:35], v[36:37], v[38:39]
.LBB144_651:                            ;   in Loop: Header=BB144_3 Depth=1
	s_or_b32 exec_lo, exec_lo, s10
	s_barrier_signal -1
	s_barrier_wait -1
	s_and_saveexec_b32 s10, vcc_hi
	s_cbranch_execz .LBB144_653
; %bb.652:                              ;   in Loop: Header=BB144_3 Depth=1
	ds_load_b64 v[36:37], v5 offset:21840
	s_wait_dscnt 0x0
	v_mul_f64_e32 v[34:35], v[34:35], v[36:37]
	ds_store_b64 v58, v[34:35]
.LBB144_653:                            ;   in Loop: Header=BB144_3 Depth=1
	s_or_b32 exec_lo, exec_lo, s10
	s_wait_dscnt 0x0
	s_barrier_signal -1
	s_barrier_wait -1
	s_and_saveexec_b32 s10, s36
	s_cbranch_execz .LBB144_655
; %bb.654:                              ;   in Loop: Header=BB144_3 Depth=1
	ds_load_b64 v[36:37], v56 offset:21824
	ds_load_b64 v[38:39], v58
	s_wait_dscnt 0x0
	v_fmac_f64_e32 v[34:35], v[36:37], v[38:39]
.LBB144_655:                            ;   in Loop: Header=BB144_3 Depth=1
	s_or_b32 exec_lo, exec_lo, s10
	s_barrier_signal -1
	s_barrier_wait -1
	s_and_saveexec_b32 s10, s37
	s_cbranch_execz .LBB144_657
; %bb.656:                              ;   in Loop: Header=BB144_3 Depth=1
	ds_load_b64 v[36:37], v5 offset:22360
	s_wait_dscnt 0x0
	v_mul_f64_e32 v[34:35], v[34:35], v[36:37]
	ds_store_b64 v58, v[34:35]
.LBB144_657:                            ;   in Loop: Header=BB144_3 Depth=1
	s_or_b32 exec_lo, exec_lo, s10
	s_wait_dscnt 0x0
	s_barrier_signal -1
	s_barrier_wait -1
	s_and_saveexec_b32 s10, s38
	s_cbranch_execz .LBB144_659
; %bb.658:                              ;   in Loop: Header=BB144_3 Depth=1
	ds_load_b64 v[36:37], v56 offset:22336
	ds_load_b64 v[38:39], v58
	s_wait_dscnt 0x0
	v_fmac_f64_e32 v[34:35], v[36:37], v[38:39]
.LBB144_659:                            ;   in Loop: Header=BB144_3 Depth=1
	s_or_b32 exec_lo, exec_lo, s10
	s_barrier_signal -1
	s_barrier_wait -1
	s_and_saveexec_b32 s10, s39
	;; [unrolled: 23-line block ×5, first 2 shown]
	s_cbranch_execz .LBB144_673
; %bb.672:                              ;   in Loop: Header=BB144_3 Depth=1
	ds_load_b64 v[36:37], v5 offset:24440
	s_wait_dscnt 0x0
	v_mul_f64_e32 v[34:35], v[34:35], v[36:37]
	ds_store_b64 v58, v[34:35]
.LBB144_673:                            ;   in Loop: Header=BB144_3 Depth=1
	s_or_b32 exec_lo, exec_lo, s10
	s_wait_dscnt 0x0
	s_barrier_signal -1
	s_barrier_wait -1
	s_barrier_signal -1
	s_barrier_wait -1
	s_and_saveexec_b32 s10, s4
; %bb.674:                              ;   in Loop: Header=BB144_3 Depth=1
	s_delay_alu instid0(VALU_DEP_1)
	v_xor_b32_e32 v35, 0x80000000, v35
	ds_store_b64 v59, v[34:35] offset:16704
; %bb.675:                              ;   in Loop: Header=BB144_3 Depth=1
	s_or_b32 exec_lo, exec_lo, s10
	s_wait_dscnt 0x0
	s_barrier_signal -1
	s_barrier_wait -1
	s_barrier_signal -1
	s_barrier_wait -1
	s_and_saveexec_b32 s10, s45
	s_cbranch_execz .LBB144_677
; %bb.676:                              ;   in Loop: Header=BB144_3 Depth=1
	ds_load_b64 v[34:35], v63 offset:16704
	s_wait_dscnt 0x0
	ds_store_b64 v71, v[34:35] offset:20736
	ds_load_b64 v[34:35], v63 offset:16712
	s_wait_dscnt 0x0
	ds_store_b64 v71, v[34:35] offset:21248
	;; [unrolled: 3-line block ×8, first 2 shown]
.LBB144_677:                            ;   in Loop: Header=BB144_3 Depth=1
	s_or_b32 exec_lo, exec_lo, s10
	s_wait_dscnt 0x0
	s_barrier_signal -1
	s_barrier_wait -1
	s_and_saveexec_b32 s10, s14
	s_cbranch_execz .LBB144_679
; %bb.678:                              ;   in Loop: Header=BB144_3 Depth=1
	ds_load_b128 v[34:37], v5 offset:20800
	ds_load_b64 v[38:39], v5 offset:21320
	s_wait_dscnt 0x0
	v_mul_f64_e32 v[34:35], v[34:35], v[38:39]
	s_delay_alu instid0(VALU_DEP_1)
	v_mul_f64_e32 v[34:35], v[36:37], v[34:35]
	v_add_nc_u32_e64 v36, 0x5000, 0
	ds_store_2addr_b64 v36, v[34:35], v[34:35] offset0:41 offset1:104
.LBB144_679:                            ;   in Loop: Header=BB144_3 Depth=1
	s_or_b32 exec_lo, exec_lo, s10
	v_mov_b64_e32 v[34:35], 0
	s_wait_dscnt 0x0
	s_barrier_signal -1
	s_barrier_wait -1
	s_and_saveexec_b32 s10, s1
	s_cbranch_execz .LBB144_683
; %bb.680:                              ;   in Loop: Header=BB144_3 Depth=1
	ds_load_b64 v[34:35], v43 offset:20816
	ds_load_b64 v[36:37], v44 offset:20800
	s_wait_dscnt 0x0
	v_fma_f64 v[34:35], v[34:35], v[36:37], 0
	s_and_saveexec_b32 s12, s15
	s_cbranch_execz .LBB144_682
; %bb.681:                              ;   in Loop: Header=BB144_3 Depth=1
	ds_load_b64 v[36:37], v71 offset:21328
	ds_load_b64 v[38:39], v5 offset:20808
	s_wait_dscnt 0x0
	v_fmac_f64_e32 v[34:35], v[36:37], v[38:39]
.LBB144_682:                            ;   in Loop: Header=BB144_3 Depth=1
	s_or_b32 exec_lo, exec_lo, s12
	s_delay_alu instid0(VALU_DEP_1)
	v_xor_b32_e32 v35, 0x80000000, v35
.LBB144_683:                            ;   in Loop: Header=BB144_3 Depth=1
	s_or_b32 exec_lo, exec_lo, s10
	s_and_saveexec_b32 s10, s91
	s_cbranch_execz .LBB144_685
; %bb.684:                              ;   in Loop: Header=BB144_3 Depth=1
	ds_load_b64 v[36:37], v5 offset:21840
	s_wait_dscnt 0x0
	v_mul_f64_e32 v[34:35], v[34:35], v[36:37]
	ds_store_b64 v3, v[34:35]
.LBB144_685:                            ;   in Loop: Header=BB144_3 Depth=1
	s_or_b32 exec_lo, exec_lo, s10
	s_wait_dscnt 0x0
	s_barrier_signal -1
	s_barrier_wait -1
	s_and_saveexec_b32 s10, s92
	s_cbranch_execz .LBB144_687
; %bb.686:                              ;   in Loop: Header=BB144_3 Depth=1
	ds_load_b64 v[36:37], v5 offset:21848
	ds_load_b64 v[38:39], v3
	s_wait_dscnt 0x0
	v_fmac_f64_e32 v[34:35], v[36:37], v[38:39]
.LBB144_687:                            ;   in Loop: Header=BB144_3 Depth=1
	s_or_b32 exec_lo, exec_lo, s10
	s_barrier_signal -1
	s_barrier_wait -1
	s_and_saveexec_b32 s10, s92
	s_cbranch_execz .LBB144_689
; %bb.688:                              ;   in Loop: Header=BB144_3 Depth=1
	ds_load_b64 v[36:37], v5 offset:22360
	s_wait_dscnt 0x0
	v_mul_f64_e32 v[34:35], v[34:35], v[36:37]
	ds_store_b64 v3, v[34:35]
.LBB144_689:                            ;   in Loop: Header=BB144_3 Depth=1
	s_or_b32 exec_lo, exec_lo, s10
	s_wait_dscnt 0x0
	s_barrier_signal -1
	s_barrier_wait -1
	s_barrier_signal -1
	s_barrier_wait -1
	s_and_saveexec_b32 s10, s1
; %bb.690:                              ;   in Loop: Header=BB144_3 Depth=1
	s_delay_alu instid0(VALU_DEP_1)
	v_xor_b32_e32 v35, 0x80000000, v35
	ds_store_b64 v43, v[34:35] offset:20816
; %bb.691:                              ;   in Loop: Header=BB144_3 Depth=1
	s_or_b32 exec_lo, exec_lo, s10
	s_wait_dscnt 0x0
	s_barrier_signal -1
	s_barrier_wait -1
	s_barrier_signal -1
	s_barrier_wait -1
	s_and_saveexec_b32 s10, s93
	s_cbranch_execz .LBB144_693
; %bb.692:                              ;   in Loop: Header=BB144_3 Depth=1
	ds_load_b64 v[34:35], v72 offset:20816
	s_wait_dscnt 0x0
	ds_store_b64 v71, v[34:35] offset:21824
	ds_load_b64 v[34:35], v72 offset:20824
	s_wait_dscnt 0x0
	ds_store_b64 v71, v[34:35] offset:22336
.LBB144_693:                            ;   in Loop: Header=BB144_3 Depth=1
	s_or_b32 exec_lo, exec_lo, s10
	s_wait_dscnt 0x0
	s_barrier_signal -1
	s_barrier_wait -1
	s_and_saveexec_b32 s10, s14
	s_cbranch_execz .LBB144_695
; %bb.694:                              ;   in Loop: Header=BB144_3 Depth=1
	ds_load_b128 v[34:37], v5 offset:21840
	ds_load_b64 v[38:39], v5 offset:22360
	s_wait_dscnt 0x0
	v_mul_f64_e32 v[34:35], v[34:35], v[38:39]
	s_delay_alu instid0(VALU_DEP_1)
	v_mul_f64_e32 v[34:35], v[36:37], v[34:35]
	v_add_nc_u32_e64 v36, 0x5000, 0
	ds_store_2addr_b64 v36, v[34:35], v[34:35] offset0:171 offset1:234
.LBB144_695:                            ;   in Loop: Header=BB144_3 Depth=1
	s_or_b32 exec_lo, exec_lo, s10
	v_mov_b64_e32 v[34:35], 0
	s_wait_dscnt 0x0
	s_barrier_signal -1
	s_barrier_wait -1
	s_and_saveexec_b32 s10, s3
	s_cbranch_execz .LBB144_701
; %bb.696:                              ;   in Loop: Header=BB144_3 Depth=1
	ds_load_b64 v[34:35], v50 offset:20832
	ds_load_b64 v[36:37], v46 offset:20800
	s_wait_dscnt 0x0
	v_fma_f64 v[34:35], v[34:35], v[36:37], 0
	s_and_saveexec_b32 s12, s16
	s_cbranch_execnz .LBB144_1133
; %bb.697:                              ;   in Loop: Header=BB144_3 Depth=1
	s_or_b32 exec_lo, exec_lo, s12
	s_and_saveexec_b32 s12, s17
	s_cbranch_execnz .LBB144_1134
.LBB144_698:                            ;   in Loop: Header=BB144_3 Depth=1
	s_or_b32 exec_lo, exec_lo, s12
	s_and_saveexec_b32 s12, s1
	s_cbranch_execz .LBB144_700
.LBB144_699:                            ;   in Loop: Header=BB144_3 Depth=1
	ds_load_b64 v[36:37], v73 offset:22368
	ds_load_b64 v[38:39], v5 offset:20824
	s_wait_dscnt 0x0
	v_fmac_f64_e32 v[34:35], v[36:37], v[38:39]
.LBB144_700:                            ;   in Loop: Header=BB144_3 Depth=1
	s_or_b32 exec_lo, exec_lo, s12
	s_delay_alu instid0(VALU_DEP_1)
	v_xor_b32_e32 v35, 0x80000000, v35
.LBB144_701:                            ;   in Loop: Header=BB144_3 Depth=1
	s_or_b32 exec_lo, exec_lo, s10
	s_and_saveexec_b32 s10, s94
	s_cbranch_execz .LBB144_703
; %bb.702:                              ;   in Loop: Header=BB144_3 Depth=1
	ds_load_b64 v[36:37], v5 offset:22880
	s_wait_dscnt 0x0
	v_mul_f64_e32 v[34:35], v[34:35], v[36:37]
	ds_store_b64 v49, v[34:35]
.LBB144_703:                            ;   in Loop: Header=BB144_3 Depth=1
	s_or_b32 exec_lo, exec_lo, s10
	s_wait_dscnt 0x0
	s_barrier_signal -1
	s_barrier_wait -1
	s_and_saveexec_b32 s10, s95
	s_cbranch_execz .LBB144_705
; %bb.704:                              ;   in Loop: Header=BB144_3 Depth=1
	ds_load_b64 v[36:37], v47 offset:22880
	ds_load_b64 v[38:39], v49
	s_wait_dscnt 0x0
	v_fmac_f64_e32 v[34:35], v[36:37], v[38:39]
.LBB144_705:                            ;   in Loop: Header=BB144_3 Depth=1
	s_or_b32 exec_lo, exec_lo, s10
	s_barrier_signal -1
	s_barrier_wait -1
	s_and_saveexec_b32 s10, s96
	s_cbranch_execz .LBB144_707
; %bb.706:                              ;   in Loop: Header=BB144_3 Depth=1
	ds_load_b64 v[36:37], v5 offset:23400
	s_wait_dscnt 0x0
	v_mul_f64_e32 v[34:35], v[34:35], v[36:37]
	ds_store_b64 v49, v[34:35]
.LBB144_707:                            ;   in Loop: Header=BB144_3 Depth=1
	s_or_b32 exec_lo, exec_lo, s10
	s_wait_dscnt 0x0
	s_barrier_signal -1
	s_barrier_wait -1
	s_and_saveexec_b32 s10, s97
	s_cbranch_execz .LBB144_709
; %bb.708:                              ;   in Loop: Header=BB144_3 Depth=1
	ds_load_b64 v[36:37], v47 offset:23392
	ds_load_b64 v[38:39], v49
	s_wait_dscnt 0x0
	v_fmac_f64_e32 v[34:35], v[36:37], v[38:39]
.LBB144_709:                            ;   in Loop: Header=BB144_3 Depth=1
	s_or_b32 exec_lo, exec_lo, s10
	s_barrier_signal -1
	s_barrier_wait -1
	;; [unrolled: 23-line block ×3, first 2 shown]
	s_and_saveexec_b32 s10, s99
	s_cbranch_execz .LBB144_715
; %bb.714:                              ;   in Loop: Header=BB144_3 Depth=1
	ds_load_b64 v[36:37], v5 offset:24440
	s_wait_dscnt 0x0
	v_mul_f64_e32 v[34:35], v[34:35], v[36:37]
	ds_store_b64 v49, v[34:35]
.LBB144_715:                            ;   in Loop: Header=BB144_3 Depth=1
	s_or_b32 exec_lo, exec_lo, s10
	s_wait_dscnt 0x0
	s_barrier_signal -1
	s_barrier_wait -1
	s_barrier_signal -1
	s_barrier_wait -1
	s_and_saveexec_b32 s10, s3
; %bb.716:                              ;   in Loop: Header=BB144_3 Depth=1
	s_delay_alu instid0(VALU_DEP_1)
	v_xor_b32_e32 v35, 0x80000000, v35
	ds_store_b64 v50, v[34:35] offset:20832
; %bb.717:                              ;   in Loop: Header=BB144_3 Depth=1
	s_or_b32 exec_lo, exec_lo, s10
	s_wait_dscnt 0x0
	s_barrier_signal -1
	s_barrier_wait -1
	s_barrier_signal -1
	s_barrier_wait -1
	s_and_saveexec_b32 s10, s100
	s_cbranch_execz .LBB144_719
; %bb.718:                              ;   in Loop: Header=BB144_3 Depth=1
	ds_load_b64 v[34:35], v74 offset:20832
	s_wait_dscnt 0x0
	ds_store_b64 v77, v[34:35] offset:22848
	ds_load_b64 v[34:35], v74 offset:20840
	s_wait_dscnt 0x0
	ds_store_b64 v77, v[34:35] offset:23360
	;; [unrolled: 3-line block ×4, first 2 shown]
.LBB144_719:                            ;   in Loop: Header=BB144_3 Depth=1
	s_or_b32 exec_lo, exec_lo, s10
	s_wait_dscnt 0x0
	s_barrier_signal -1
	s_barrier_wait -1
	s_and_saveexec_b32 s10, s14
	s_cbranch_execz .LBB144_721
; %bb.720:                              ;   in Loop: Header=BB144_3 Depth=1
	ds_load_b128 v[34:37], v5 offset:22880
	ds_load_b64 v[38:39], v5 offset:23400
	s_wait_dscnt 0x0
	v_mul_f64_e32 v[34:35], v[34:35], v[38:39]
	s_delay_alu instid0(VALU_DEP_1)
	v_mul_f64_e32 v[34:35], v[36:37], v[34:35]
	v_add_nc_u32_e64 v36, 0x5800, 0
	ds_store_2addr_b64 v36, v[34:35], v[34:35] offset0:45 offset1:108
.LBB144_721:                            ;   in Loop: Header=BB144_3 Depth=1
	s_or_b32 exec_lo, exec_lo, s10
	v_mov_b64_e32 v[34:35], 0
	s_wait_dscnt 0x0
	s_barrier_signal -1
	s_barrier_wait -1
	s_and_saveexec_b32 s10, s1
	s_cbranch_execz .LBB144_725
; %bb.722:                              ;   in Loop: Header=BB144_3 Depth=1
	ds_load_b64 v[34:35], v43 offset:22896
	ds_load_b64 v[36:37], v44 offset:22880
	s_wait_dscnt 0x0
	v_fma_f64 v[34:35], v[34:35], v[36:37], 0
	s_and_saveexec_b32 s12, s15
	s_cbranch_execz .LBB144_724
; %bb.723:                              ;   in Loop: Header=BB144_3 Depth=1
	ds_load_b64 v[36:37], v77 offset:23408
	ds_load_b64 v[38:39], v5 offset:22888
	s_wait_dscnt 0x0
	v_fmac_f64_e32 v[34:35], v[36:37], v[38:39]
.LBB144_724:                            ;   in Loop: Header=BB144_3 Depth=1
	s_or_b32 exec_lo, exec_lo, s12
	s_delay_alu instid0(VALU_DEP_1)
	v_xor_b32_e32 v35, 0x80000000, v35
.LBB144_725:                            ;   in Loop: Header=BB144_3 Depth=1
	s_or_b32 exec_lo, exec_lo, s10
	s_and_saveexec_b32 s10, s91
	s_cbranch_execz .LBB144_727
; %bb.726:                              ;   in Loop: Header=BB144_3 Depth=1
	ds_load_b64 v[36:37], v5 offset:23920
	s_wait_dscnt 0x0
	v_mul_f64_e32 v[34:35], v[34:35], v[36:37]
	ds_store_b64 v3, v[34:35]
.LBB144_727:                            ;   in Loop: Header=BB144_3 Depth=1
	s_or_b32 exec_lo, exec_lo, s10
	s_wait_dscnt 0x0
	s_barrier_signal -1
	s_barrier_wait -1
	s_and_saveexec_b32 s10, s92
	s_cbranch_execz .LBB144_729
; %bb.728:                              ;   in Loop: Header=BB144_3 Depth=1
	ds_load_b64 v[36:37], v5 offset:23928
	ds_load_b64 v[38:39], v3
	s_wait_dscnt 0x0
	v_fmac_f64_e32 v[34:35], v[36:37], v[38:39]
.LBB144_729:                            ;   in Loop: Header=BB144_3 Depth=1
	s_or_b32 exec_lo, exec_lo, s10
	s_barrier_signal -1
	s_barrier_wait -1
	s_and_saveexec_b32 s10, s92
	s_cbranch_execz .LBB144_731
; %bb.730:                              ;   in Loop: Header=BB144_3 Depth=1
	ds_load_b64 v[36:37], v5 offset:24440
	s_wait_dscnt 0x0
	v_mul_f64_e32 v[34:35], v[34:35], v[36:37]
	ds_store_b64 v3, v[34:35]
.LBB144_731:                            ;   in Loop: Header=BB144_3 Depth=1
	s_or_b32 exec_lo, exec_lo, s10
	s_wait_dscnt 0x0
	s_barrier_signal -1
	s_barrier_wait -1
	s_barrier_signal -1
	s_barrier_wait -1
	s_and_saveexec_b32 s10, s1
; %bb.732:                              ;   in Loop: Header=BB144_3 Depth=1
	s_delay_alu instid0(VALU_DEP_1)
	v_xor_b32_e32 v35, 0x80000000, v35
	ds_store_b64 v43, v[34:35] offset:22896
; %bb.733:                              ;   in Loop: Header=BB144_3 Depth=1
	s_or_b32 exec_lo, exec_lo, s10
	s_wait_dscnt 0x0
	s_barrier_signal -1
	s_barrier_wait -1
	s_barrier_signal -1
	s_barrier_wait -1
	s_and_saveexec_b32 s10, s93
	s_cbranch_execz .LBB144_735
; %bb.734:                              ;   in Loop: Header=BB144_3 Depth=1
	ds_load_b64 v[34:35], v79 offset:22896
	s_wait_dscnt 0x0
	ds_store_b64 v77, v[34:35] offset:23904
	ds_load_b64 v[34:35], v79 offset:22904
	s_wait_dscnt 0x0
	ds_store_b64 v77, v[34:35] offset:24416
.LBB144_735:                            ;   in Loop: Header=BB144_3 Depth=1
	s_or_b32 exec_lo, exec_lo, s10
	s_wait_dscnt 0x0
	s_barrier_signal -1
	s_barrier_wait -1
	s_and_saveexec_b32 s10, s14
	s_cbranch_execz .LBB144_737
; %bb.736:                              ;   in Loop: Header=BB144_3 Depth=1
	ds_load_b128 v[34:37], v5 offset:23920
	ds_load_b64 v[38:39], v5 offset:24440
	s_wait_dscnt 0x0
	v_mul_f64_e32 v[34:35], v[34:35], v[38:39]
	s_delay_alu instid0(VALU_DEP_1)
	v_mul_f64_e32 v[34:35], v[36:37], v[34:35]
	v_add_nc_u32_e64 v36, 0x5800, 0
	ds_store_2addr_b64 v36, v[34:35], v[34:35] offset0:175 offset1:238
.LBB144_737:                            ;   in Loop: Header=BB144_3 Depth=1
	s_or_b32 exec_lo, exec_lo, s10
	v_mov_b64_e32 v[34:35], 0
	s_wait_dscnt 0x0
	s_barrier_signal -1
	s_barrier_wait -1
	s_and_saveexec_b32 s84, s5
	s_cbranch_execz .LBB144_765
; %bb.738:                              ;   in Loop: Header=BB144_3 Depth=1
	ds_load_b64 v[34:35], v66 offset:16768
	ds_load_b64 v[36:37], v62 offset:16640
	s_wait_dscnt 0x0
	v_fma_f64 v[34:35], v[34:35], v[36:37], 0
	s_mov_b32 s10, exec_lo
	v_readlane_b32 s12, v100, 27
	s_and_b32 s12, s10, s12
	s_delay_alu instid0(SALU_CYCLE_1)
	s_mov_b32 exec_lo, s12
	s_cbranch_execz .LBB144_740
; %bb.739:                              ;   in Loop: Header=BB144_3 Depth=1
	ds_load_b64 v[36:37], v67 offset:17280
	ds_load_b64 v[38:39], v62 offset:16648
	s_wait_dscnt 0x0
	v_fmac_f64_e32 v[34:35], v[36:37], v[38:39]
.LBB144_740:                            ;   in Loop: Header=BB144_3 Depth=1
	s_or_b32 exec_lo, exec_lo, s10
	s_delay_alu instid0(SALU_CYCLE_1) | instskip(SKIP_2) | instid1(SALU_CYCLE_1)
	s_mov_b32 s10, exec_lo
	v_readlane_b32 s12, v100, 28
	s_and_b32 s12, s10, s12
	s_mov_b32 exec_lo, s12
	s_cbranch_execz .LBB144_742
; %bb.741:                              ;   in Loop: Header=BB144_3 Depth=1
	ds_load_b64 v[36:37], v67 offset:17792
	ds_load_b64 v[38:39], v62 offset:16656
	s_wait_dscnt 0x0
	v_fmac_f64_e32 v[34:35], v[36:37], v[38:39]
.LBB144_742:                            ;   in Loop: Header=BB144_3 Depth=1
	s_or_b32 exec_lo, exec_lo, s10
	s_delay_alu instid0(SALU_CYCLE_1) | instskip(SKIP_2) | instid1(SALU_CYCLE_1)
	s_mov_b32 s10, exec_lo
	v_readlane_b32 s12, v100, 29
	s_and_b32 s12, s10, s12
	;; [unrolled: 13-line block ×10, first 2 shown]
	s_mov_b32 exec_lo, s12
	s_cbranch_execnz .LBB144_1135
; %bb.759:                              ;   in Loop: Header=BB144_3 Depth=1
	s_or_b32 exec_lo, exec_lo, s10
	s_and_saveexec_b32 s10, s4
	s_cbranch_execnz .LBB144_1136
.LBB144_760:                            ;   in Loop: Header=BB144_3 Depth=1
	s_or_b32 exec_lo, exec_lo, s10
	s_and_saveexec_b32 s10, s19
	s_cbranch_execnz .LBB144_1137
.LBB144_761:                            ;   in Loop: Header=BB144_3 Depth=1
	s_or_b32 exec_lo, exec_lo, s10
	s_and_saveexec_b32 s10, s21
	s_cbranch_execnz .LBB144_1138
.LBB144_762:                            ;   in Loop: Header=BB144_3 Depth=1
	s_or_b32 exec_lo, exec_lo, s10
	s_and_saveexec_b32 s10, s3
	s_cbranch_execz .LBB144_764
.LBB144_763:                            ;   in Loop: Header=BB144_3 Depth=1
	ds_load_b64 v[36:37], v45 offset:24448
	ds_load_b64 v[38:39], v5 offset:16760
	s_wait_dscnt 0x0
	v_fmac_f64_e32 v[34:35], v[36:37], v[38:39]
.LBB144_764:                            ;   in Loop: Header=BB144_3 Depth=1
	s_or_b32 exec_lo, exec_lo, s10
	s_delay_alu instid0(VALU_DEP_1)
	v_xor_b32_e32 v35, 0x80000000, v35
.LBB144_765:                            ;   in Loop: Header=BB144_3 Depth=1
	s_or_b32 exec_lo, exec_lo, s84
	s_delay_alu instid0(SALU_CYCLE_1) | instskip(SKIP_2) | instid1(SALU_CYCLE_1)
	s_mov_b32 s10, exec_lo
	v_readlane_b32 s12, v100, 2
	s_and_b32 s12, s10, s12
	s_mov_b32 exec_lo, s12
	s_cbranch_execz .LBB144_767
; %bb.766:                              ;   in Loop: Header=BB144_3 Depth=1
	ds_load_b64 v[36:37], v5 offset:24960
	s_wait_dscnt 0x0
	v_mul_f64_e32 v[34:35], v[34:35], v[36:37]
	ds_store_b64 v65, v[34:35]
.LBB144_767:                            ;   in Loop: Header=BB144_3 Depth=1
	s_or_b32 exec_lo, exec_lo, s10
	s_wait_dscnt 0x0
	s_barrier_signal -1
	s_barrier_wait -1
	s_mov_b32 s10, exec_lo
	v_readlane_b32 s12, v100, 3
	s_and_b32 s12, s10, s12
	s_delay_alu instid0(SALU_CYCLE_1)
	s_mov_b32 exec_lo, s12
	s_cbranch_execz .LBB144_769
; %bb.768:                              ;   in Loop: Header=BB144_3 Depth=1
	ds_load_b64 v[36:37], v64 offset:24960
	ds_load_b64 v[38:39], v65
	s_wait_dscnt 0x0
	v_fmac_f64_e32 v[34:35], v[36:37], v[38:39]
.LBB144_769:                            ;   in Loop: Header=BB144_3 Depth=1
	s_or_b32 exec_lo, exec_lo, s10
	s_barrier_signal -1
	s_barrier_wait -1
	s_mov_b32 s10, exec_lo
	v_readlane_b32 s12, v100, 4
	s_and_b32 s12, s10, s12
	s_delay_alu instid0(SALU_CYCLE_1)
	s_mov_b32 exec_lo, s12
	s_cbranch_execz .LBB144_771
; %bb.770:                              ;   in Loop: Header=BB144_3 Depth=1
	ds_load_b64 v[36:37], v5 offset:25480
	s_wait_dscnt 0x0
	v_mul_f64_e32 v[34:35], v[34:35], v[36:37]
	ds_store_b64 v65, v[34:35]
.LBB144_771:                            ;   in Loop: Header=BB144_3 Depth=1
	s_or_b32 exec_lo, exec_lo, s10
	s_wait_dscnt 0x0
	s_barrier_signal -1
	s_barrier_wait -1
	s_mov_b32 s10, exec_lo
	v_readlane_b32 s12, v100, 5
	s_and_b32 s12, s10, s12
	s_delay_alu instid0(SALU_CYCLE_1)
	s_mov_b32 exec_lo, s12
	s_cbranch_execz .LBB144_773
; %bb.772:                              ;   in Loop: Header=BB144_3 Depth=1
	ds_load_b64 v[36:37], v64 offset:25472
	ds_load_b64 v[38:39], v65
	s_wait_dscnt 0x0
	v_fmac_f64_e32 v[34:35], v[36:37], v[38:39]
.LBB144_773:                            ;   in Loop: Header=BB144_3 Depth=1
	s_or_b32 exec_lo, exec_lo, s10
	s_barrier_signal -1
	s_barrier_wait -1
	s_mov_b32 s10, exec_lo
	v_readlane_b32 s12, v100, 6
	s_and_b32 s12, s10, s12
	s_delay_alu instid0(SALU_CYCLE_1)
	;; [unrolled: 31-line block ×3, first 2 shown]
	s_mov_b32 exec_lo, s12
	s_cbranch_execz .LBB144_779
; %bb.778:                              ;   in Loop: Header=BB144_3 Depth=1
	ds_load_b64 v[36:37], v5 offset:26520
	s_wait_dscnt 0x0
	v_mul_f64_e32 v[34:35], v[34:35], v[36:37]
	ds_store_b64 v65, v[34:35]
.LBB144_779:                            ;   in Loop: Header=BB144_3 Depth=1
	s_or_b32 exec_lo, exec_lo, s10
	s_wait_dscnt 0x0
	s_barrier_signal -1
	s_barrier_wait -1
	s_and_saveexec_b32 s10, s53
	s_cbranch_execz .LBB144_781
; %bb.780:                              ;   in Loop: Header=BB144_3 Depth=1
	ds_load_b64 v[36:37], v64 offset:26496
	ds_load_b64 v[38:39], v65
	s_wait_dscnt 0x0
	v_fmac_f64_e32 v[34:35], v[36:37], v[38:39]
.LBB144_781:                            ;   in Loop: Header=BB144_3 Depth=1
	s_or_b32 exec_lo, exec_lo, s10
	s_barrier_signal -1
	s_barrier_wait -1
	s_and_saveexec_b32 s10, s54
	s_cbranch_execz .LBB144_783
; %bb.782:                              ;   in Loop: Header=BB144_3 Depth=1
	ds_load_b64 v[36:37], v5 offset:27040
	s_wait_dscnt 0x0
	v_mul_f64_e32 v[34:35], v[34:35], v[36:37]
	ds_store_b64 v65, v[34:35]
.LBB144_783:                            ;   in Loop: Header=BB144_3 Depth=1
	s_or_b32 exec_lo, exec_lo, s10
	s_wait_dscnt 0x0
	s_barrier_signal -1
	s_barrier_wait -1
	s_and_saveexec_b32 s10, s55
	s_cbranch_execz .LBB144_785
; %bb.784:                              ;   in Loop: Header=BB144_3 Depth=1
	ds_load_b64 v[36:37], v64 offset:27008
	ds_load_b64 v[38:39], v65
	s_wait_dscnt 0x0
	v_fmac_f64_e32 v[34:35], v[36:37], v[38:39]
.LBB144_785:                            ;   in Loop: Header=BB144_3 Depth=1
	s_or_b32 exec_lo, exec_lo, s10
	s_barrier_signal -1
	s_barrier_wait -1
	s_and_saveexec_b32 s10, s56
	;; [unrolled: 23-line block ×12, first 2 shown]
	s_cbranch_execz .LBB144_827
; %bb.826:                              ;   in Loop: Header=BB144_3 Depth=1
	ds_load_b64 v[36:37], v5 offset:32760
	s_wait_dscnt 0x0
	v_mul_f64_e32 v[34:35], v[34:35], v[36:37]
	ds_store_b64 v65, v[34:35]
.LBB144_827:                            ;   in Loop: Header=BB144_3 Depth=1
	s_or_b32 exec_lo, exec_lo, s10
	s_wait_dscnt 0x0
	s_barrier_signal -1
	s_barrier_wait -1
	s_barrier_signal -1
	s_barrier_wait -1
	s_and_saveexec_b32 s10, s5
; %bb.828:                              ;   in Loop: Header=BB144_3 Depth=1
	s_delay_alu instid0(VALU_DEP_1)
	v_xor_b32_e32 v35, 0x80000000, v35
	ds_store_b64 v66, v[34:35] offset:16768
; %bb.829:                              ;   in Loop: Header=BB144_3 Depth=1
	s_or_b32 exec_lo, exec_lo, s10
	s_wait_dscnt 0x0
	s_barrier_signal -1
	s_barrier_wait -1
	s_barrier_signal -1
	s_barrier_wait -1
	s_and_saveexec_b32 s10, s65
	s_cbranch_execz .LBB144_831
; %bb.830:                              ;   in Loop: Header=BB144_3 Depth=1
	ds_load_b64 v[34:35], v48 offset:16768
	s_wait_dscnt 0x0
	ds_store_b64 v52, v[34:35] offset:24832
	ds_load_b64 v[34:35], v48 offset:16776
	s_wait_dscnt 0x0
	ds_store_b64 v52, v[34:35] offset:25344
	;; [unrolled: 3-line block ×16, first 2 shown]
.LBB144_831:                            ;   in Loop: Header=BB144_3 Depth=1
	s_or_b32 exec_lo, exec_lo, s10
	s_wait_dscnt 0x0
	s_barrier_signal -1
	s_barrier_wait -1
	s_and_saveexec_b32 s10, s14
	s_cbranch_execz .LBB144_833
; %bb.832:                              ;   in Loop: Header=BB144_3 Depth=1
	ds_load_b128 v[34:37], v5 offset:24960
	ds_load_b64 v[38:39], v5 offset:25480
	s_wait_dscnt 0x0
	v_mul_f64_e32 v[34:35], v[34:35], v[38:39]
	s_delay_alu instid0(VALU_DEP_1)
	v_mul_f64_e32 v[34:35], v[36:37], v[34:35]
	v_add_nc_u32_e64 v36, 0x6000, 0
	ds_store_2addr_b64 v36, v[34:35], v[34:35] offset0:49 offset1:112
.LBB144_833:                            ;   in Loop: Header=BB144_3 Depth=1
	s_or_b32 exec_lo, exec_lo, s10
	v_mov_b64_e32 v[34:35], 0
	s_wait_dscnt 0x0
	s_barrier_signal -1
	s_barrier_wait -1
	s_and_saveexec_b32 s10, s1
	s_cbranch_execz .LBB144_837
; %bb.834:                              ;   in Loop: Header=BB144_3 Depth=1
	ds_load_b64 v[34:35], v43 offset:24976
	ds_load_b64 v[36:37], v44 offset:24960
	s_wait_dscnt 0x0
	v_fma_f64 v[34:35], v[34:35], v[36:37], 0
	s_and_saveexec_b32 s12, s15
	s_cbranch_execz .LBB144_836
; %bb.835:                              ;   in Loop: Header=BB144_3 Depth=1
	ds_load_b64 v[36:37], v45 offset:25488
	ds_load_b64 v[38:39], v5 offset:24968
	s_wait_dscnt 0x0
	v_fmac_f64_e32 v[34:35], v[36:37], v[38:39]
.LBB144_836:                            ;   in Loop: Header=BB144_3 Depth=1
	s_or_b32 exec_lo, exec_lo, s12
	s_delay_alu instid0(VALU_DEP_1)
	v_xor_b32_e32 v35, 0x80000000, v35
.LBB144_837:                            ;   in Loop: Header=BB144_3 Depth=1
	s_or_b32 exec_lo, exec_lo, s10
	s_and_saveexec_b32 s10, s91
	s_cbranch_execz .LBB144_839
; %bb.838:                              ;   in Loop: Header=BB144_3 Depth=1
	ds_load_b64 v[36:37], v5 offset:26000
	s_wait_dscnt 0x0
	v_mul_f64_e32 v[34:35], v[34:35], v[36:37]
	ds_store_b64 v3, v[34:35]
.LBB144_839:                            ;   in Loop: Header=BB144_3 Depth=1
	s_or_b32 exec_lo, exec_lo, s10
	s_wait_dscnt 0x0
	s_barrier_signal -1
	s_barrier_wait -1
	s_and_saveexec_b32 s10, s92
	s_cbranch_execz .LBB144_841
; %bb.840:                              ;   in Loop: Header=BB144_3 Depth=1
	ds_load_b64 v[36:37], v5 offset:26008
	ds_load_b64 v[38:39], v3
	s_wait_dscnt 0x0
	v_fmac_f64_e32 v[34:35], v[36:37], v[38:39]
.LBB144_841:                            ;   in Loop: Header=BB144_3 Depth=1
	s_or_b32 exec_lo, exec_lo, s10
	s_barrier_signal -1
	s_barrier_wait -1
	s_and_saveexec_b32 s10, s92
	s_cbranch_execz .LBB144_843
; %bb.842:                              ;   in Loop: Header=BB144_3 Depth=1
	ds_load_b64 v[36:37], v5 offset:26520
	s_wait_dscnt 0x0
	v_mul_f64_e32 v[34:35], v[34:35], v[36:37]
	ds_store_b64 v3, v[34:35]
.LBB144_843:                            ;   in Loop: Header=BB144_3 Depth=1
	s_or_b32 exec_lo, exec_lo, s10
	s_wait_dscnt 0x0
	s_barrier_signal -1
	s_barrier_wait -1
	s_barrier_signal -1
	s_barrier_wait -1
	s_and_saveexec_b32 s10, s1
; %bb.844:                              ;   in Loop: Header=BB144_3 Depth=1
	s_delay_alu instid0(VALU_DEP_1)
	v_xor_b32_e32 v35, 0x80000000, v35
	ds_store_b64 v43, v[34:35] offset:24976
; %bb.845:                              ;   in Loop: Header=BB144_3 Depth=1
	s_or_b32 exec_lo, exec_lo, s10
	s_wait_dscnt 0x0
	s_barrier_signal -1
	s_barrier_wait -1
	s_barrier_signal -1
	s_barrier_wait -1
	s_and_saveexec_b32 s10, s93
	s_cbranch_execz .LBB144_847
; %bb.846:                              ;   in Loop: Header=BB144_3 Depth=1
	ds_load_b64 v[34:35], v48 offset:24976
	s_wait_dscnt 0x0
	ds_store_b64 v45, v[34:35] offset:25984
	ds_load_b64 v[34:35], v48 offset:24984
	s_wait_dscnt 0x0
	ds_store_b64 v45, v[34:35] offset:26496
.LBB144_847:                            ;   in Loop: Header=BB144_3 Depth=1
	s_or_b32 exec_lo, exec_lo, s10
	s_wait_dscnt 0x0
	s_barrier_signal -1
	s_barrier_wait -1
	s_and_saveexec_b32 s10, s14
	s_cbranch_execz .LBB144_849
; %bb.848:                              ;   in Loop: Header=BB144_3 Depth=1
	ds_load_b128 v[34:37], v5 offset:26000
	ds_load_b64 v[38:39], v5 offset:26520
	s_wait_dscnt 0x0
	v_mul_f64_e32 v[34:35], v[34:35], v[38:39]
	s_delay_alu instid0(VALU_DEP_1)
	v_mul_f64_e32 v[34:35], v[36:37], v[34:35]
	v_add_nc_u32_e64 v36, 0x6000, 0
	ds_store_2addr_b64 v36, v[34:35], v[34:35] offset0:179 offset1:242
.LBB144_849:                            ;   in Loop: Header=BB144_3 Depth=1
	s_or_b32 exec_lo, exec_lo, s10
	v_mov_b64_e32 v[34:35], 0
	s_wait_dscnt 0x0
	s_barrier_signal -1
	s_barrier_wait -1
	s_and_saveexec_b32 s10, s3
	s_cbranch_execz .LBB144_855
; %bb.850:                              ;   in Loop: Header=BB144_3 Depth=1
	ds_load_b64 v[34:35], v50 offset:24992
	ds_load_b64 v[36:37], v46 offset:24960
	s_wait_dscnt 0x0
	v_fma_f64 v[34:35], v[34:35], v[36:37], 0
	s_and_saveexec_b32 s12, s16
	s_cbranch_execnz .LBB144_1139
; %bb.851:                              ;   in Loop: Header=BB144_3 Depth=1
	s_or_b32 exec_lo, exec_lo, s12
	s_and_saveexec_b32 s12, s17
	s_cbranch_execnz .LBB144_1140
.LBB144_852:                            ;   in Loop: Header=BB144_3 Depth=1
	s_or_b32 exec_lo, exec_lo, s12
	s_and_saveexec_b32 s12, s1
	s_cbranch_execz .LBB144_854
.LBB144_853:                            ;   in Loop: Header=BB144_3 Depth=1
	ds_load_b64 v[36:37], v52 offset:26528
	ds_load_b64 v[38:39], v5 offset:24984
	s_wait_dscnt 0x0
	v_fmac_f64_e32 v[34:35], v[36:37], v[38:39]
.LBB144_854:                            ;   in Loop: Header=BB144_3 Depth=1
	s_or_b32 exec_lo, exec_lo, s12
	s_delay_alu instid0(VALU_DEP_1)
	v_xor_b32_e32 v35, 0x80000000, v35
.LBB144_855:                            ;   in Loop: Header=BB144_3 Depth=1
	s_or_b32 exec_lo, exec_lo, s10
	s_and_saveexec_b32 s10, s94
	s_cbranch_execz .LBB144_857
; %bb.856:                              ;   in Loop: Header=BB144_3 Depth=1
	ds_load_b64 v[36:37], v5 offset:27040
	s_wait_dscnt 0x0
	v_mul_f64_e32 v[34:35], v[34:35], v[36:37]
	ds_store_b64 v49, v[34:35]
.LBB144_857:                            ;   in Loop: Header=BB144_3 Depth=1
	s_or_b32 exec_lo, exec_lo, s10
	s_wait_dscnt 0x0
	s_barrier_signal -1
	s_barrier_wait -1
	s_and_saveexec_b32 s10, s95
	s_cbranch_execz .LBB144_859
; %bb.858:                              ;   in Loop: Header=BB144_3 Depth=1
	ds_load_b64 v[36:37], v47 offset:27040
	ds_load_b64 v[38:39], v49
	s_wait_dscnt 0x0
	v_fmac_f64_e32 v[34:35], v[36:37], v[38:39]
.LBB144_859:                            ;   in Loop: Header=BB144_3 Depth=1
	s_or_b32 exec_lo, exec_lo, s10
	s_barrier_signal -1
	s_barrier_wait -1
	s_and_saveexec_b32 s10, s96
	s_cbranch_execz .LBB144_861
; %bb.860:                              ;   in Loop: Header=BB144_3 Depth=1
	ds_load_b64 v[36:37], v5 offset:27560
	s_wait_dscnt 0x0
	v_mul_f64_e32 v[34:35], v[34:35], v[36:37]
	ds_store_b64 v49, v[34:35]
.LBB144_861:                            ;   in Loop: Header=BB144_3 Depth=1
	s_or_b32 exec_lo, exec_lo, s10
	s_wait_dscnt 0x0
	s_barrier_signal -1
	s_barrier_wait -1
	s_and_saveexec_b32 s10, s97
	s_cbranch_execz .LBB144_863
; %bb.862:                              ;   in Loop: Header=BB144_3 Depth=1
	ds_load_b64 v[36:37], v47 offset:27552
	ds_load_b64 v[38:39], v49
	s_wait_dscnt 0x0
	v_fmac_f64_e32 v[34:35], v[36:37], v[38:39]
.LBB144_863:                            ;   in Loop: Header=BB144_3 Depth=1
	s_or_b32 exec_lo, exec_lo, s10
	s_barrier_signal -1
	s_barrier_wait -1
	;; [unrolled: 23-line block ×3, first 2 shown]
	s_and_saveexec_b32 s10, s99
	s_cbranch_execz .LBB144_869
; %bb.868:                              ;   in Loop: Header=BB144_3 Depth=1
	ds_load_b64 v[36:37], v5 offset:28600
	s_wait_dscnt 0x0
	v_mul_f64_e32 v[34:35], v[34:35], v[36:37]
	ds_store_b64 v49, v[34:35]
.LBB144_869:                            ;   in Loop: Header=BB144_3 Depth=1
	s_or_b32 exec_lo, exec_lo, s10
	s_wait_dscnt 0x0
	s_barrier_signal -1
	s_barrier_wait -1
	s_barrier_signal -1
	s_barrier_wait -1
	s_and_saveexec_b32 s10, s3
; %bb.870:                              ;   in Loop: Header=BB144_3 Depth=1
	s_delay_alu instid0(VALU_DEP_1)
	v_xor_b32_e32 v35, 0x80000000, v35
	ds_store_b64 v50, v[34:35] offset:24992
; %bb.871:                              ;   in Loop: Header=BB144_3 Depth=1
	s_or_b32 exec_lo, exec_lo, s10
	s_wait_dscnt 0x0
	s_barrier_signal -1
	s_barrier_wait -1
	s_barrier_signal -1
	s_barrier_wait -1
	s_and_saveexec_b32 s10, s100
	s_cbranch_execz .LBB144_873
; %bb.872:                              ;   in Loop: Header=BB144_3 Depth=1
	ds_load_b64 v[34:35], v53 offset:24992
	s_wait_dscnt 0x0
	ds_store_b64 v54, v[34:35] offset:27008
	ds_load_b64 v[34:35], v53 offset:25000
	s_wait_dscnt 0x0
	ds_store_b64 v54, v[34:35] offset:27520
	;; [unrolled: 3-line block ×4, first 2 shown]
.LBB144_873:                            ;   in Loop: Header=BB144_3 Depth=1
	s_or_b32 exec_lo, exec_lo, s10
	s_wait_dscnt 0x0
	s_barrier_signal -1
	s_barrier_wait -1
	s_and_saveexec_b32 s10, s14
	s_cbranch_execz .LBB144_875
; %bb.874:                              ;   in Loop: Header=BB144_3 Depth=1
	ds_load_b128 v[34:37], v5 offset:27040
	ds_load_b64 v[38:39], v5 offset:27560
	s_wait_dscnt 0x0
	v_mul_f64_e32 v[34:35], v[34:35], v[38:39]
	s_delay_alu instid0(VALU_DEP_1)
	v_mul_f64_e32 v[34:35], v[36:37], v[34:35]
	v_add_nc_u32_e64 v36, 0x6800, 0
	ds_store_2addr_b64 v36, v[34:35], v[34:35] offset0:53 offset1:116
.LBB144_875:                            ;   in Loop: Header=BB144_3 Depth=1
	s_or_b32 exec_lo, exec_lo, s10
	v_mov_b64_e32 v[34:35], 0
	s_wait_dscnt 0x0
	s_barrier_signal -1
	s_barrier_wait -1
	s_and_saveexec_b32 s10, s1
	s_cbranch_execz .LBB144_879
; %bb.876:                              ;   in Loop: Header=BB144_3 Depth=1
	ds_load_b64 v[34:35], v43 offset:27056
	ds_load_b64 v[36:37], v44 offset:27040
	s_wait_dscnt 0x0
	v_fma_f64 v[34:35], v[34:35], v[36:37], 0
	s_and_saveexec_b32 s12, s15
	s_cbranch_execz .LBB144_878
; %bb.877:                              ;   in Loop: Header=BB144_3 Depth=1
	ds_load_b64 v[36:37], v54 offset:27568
	ds_load_b64 v[38:39], v5 offset:27048
	s_wait_dscnt 0x0
	v_fmac_f64_e32 v[34:35], v[36:37], v[38:39]
.LBB144_878:                            ;   in Loop: Header=BB144_3 Depth=1
	s_or_b32 exec_lo, exec_lo, s12
	s_delay_alu instid0(VALU_DEP_1)
	v_xor_b32_e32 v35, 0x80000000, v35
.LBB144_879:                            ;   in Loop: Header=BB144_3 Depth=1
	s_or_b32 exec_lo, exec_lo, s10
	s_and_saveexec_b32 s10, s91
	s_cbranch_execz .LBB144_881
; %bb.880:                              ;   in Loop: Header=BB144_3 Depth=1
	ds_load_b64 v[36:37], v5 offset:28080
	s_wait_dscnt 0x0
	v_mul_f64_e32 v[34:35], v[34:35], v[36:37]
	ds_store_b64 v3, v[34:35]
.LBB144_881:                            ;   in Loop: Header=BB144_3 Depth=1
	s_or_b32 exec_lo, exec_lo, s10
	s_wait_dscnt 0x0
	s_barrier_signal -1
	s_barrier_wait -1
	s_and_saveexec_b32 s10, s92
	s_cbranch_execz .LBB144_883
; %bb.882:                              ;   in Loop: Header=BB144_3 Depth=1
	ds_load_b64 v[36:37], v5 offset:28088
	ds_load_b64 v[38:39], v3
	s_wait_dscnt 0x0
	v_fmac_f64_e32 v[34:35], v[36:37], v[38:39]
.LBB144_883:                            ;   in Loop: Header=BB144_3 Depth=1
	s_or_b32 exec_lo, exec_lo, s10
	s_barrier_signal -1
	s_barrier_wait -1
	s_and_saveexec_b32 s10, s92
	s_cbranch_execz .LBB144_885
; %bb.884:                              ;   in Loop: Header=BB144_3 Depth=1
	ds_load_b64 v[36:37], v5 offset:28600
	s_wait_dscnt 0x0
	v_mul_f64_e32 v[34:35], v[34:35], v[36:37]
	ds_store_b64 v3, v[34:35]
.LBB144_885:                            ;   in Loop: Header=BB144_3 Depth=1
	s_or_b32 exec_lo, exec_lo, s10
	s_wait_dscnt 0x0
	s_barrier_signal -1
	s_barrier_wait -1
	s_barrier_signal -1
	s_barrier_wait -1
	s_and_saveexec_b32 s10, s1
; %bb.886:                              ;   in Loop: Header=BB144_3 Depth=1
	s_delay_alu instid0(VALU_DEP_1)
	v_xor_b32_e32 v35, 0x80000000, v35
	ds_store_b64 v43, v[34:35] offset:27056
; %bb.887:                              ;   in Loop: Header=BB144_3 Depth=1
	s_or_b32 exec_lo, exec_lo, s10
	s_wait_dscnt 0x0
	s_barrier_signal -1
	s_barrier_wait -1
	s_barrier_signal -1
	s_barrier_wait -1
	s_and_saveexec_b32 s10, s93
	s_cbranch_execz .LBB144_889
; %bb.888:                              ;   in Loop: Header=BB144_3 Depth=1
	ds_load_b64 v[34:35], v57 offset:27056
	s_wait_dscnt 0x0
	ds_store_b64 v54, v[34:35] offset:28064
	ds_load_b64 v[34:35], v57 offset:27064
	s_wait_dscnt 0x0
	ds_store_b64 v54, v[34:35] offset:28576
.LBB144_889:                            ;   in Loop: Header=BB144_3 Depth=1
	s_or_b32 exec_lo, exec_lo, s10
	s_wait_dscnt 0x0
	s_barrier_signal -1
	s_barrier_wait -1
	s_and_saveexec_b32 s10, s14
	s_cbranch_execz .LBB144_891
; %bb.890:                              ;   in Loop: Header=BB144_3 Depth=1
	ds_load_b128 v[34:37], v5 offset:28080
	ds_load_b64 v[38:39], v5 offset:28600
	s_wait_dscnt 0x0
	v_mul_f64_e32 v[34:35], v[34:35], v[38:39]
	s_delay_alu instid0(VALU_DEP_1)
	v_mul_f64_e32 v[34:35], v[36:37], v[34:35]
	v_add_nc_u32_e64 v36, 0x6800, 0
	ds_store_2addr_b64 v36, v[34:35], v[34:35] offset0:183 offset1:246
.LBB144_891:                            ;   in Loop: Header=BB144_3 Depth=1
	s_or_b32 exec_lo, exec_lo, s10
	v_mov_b64_e32 v[34:35], 0
	s_wait_dscnt 0x0
	s_barrier_signal -1
	s_barrier_wait -1
	s_and_saveexec_b32 s10, s4
	s_cbranch_execz .LBB144_901
; %bb.892:                              ;   in Loop: Header=BB144_3 Depth=1
	ds_load_b64 v[34:35], v59 offset:25024
	ds_load_b64 v[36:37], v55 offset:24960
	s_wait_dscnt 0x0
	v_fma_f64 v[34:35], v[34:35], v[36:37], 0
	s_and_saveexec_b32 s12, s18
	s_cbranch_execnz .LBB144_1141
; %bb.893:                              ;   in Loop: Header=BB144_3 Depth=1
	s_or_b32 exec_lo, exec_lo, s12
	s_and_saveexec_b32 s12, s19
	s_cbranch_execnz .LBB144_1142
.LBB144_894:                            ;   in Loop: Header=BB144_3 Depth=1
	s_or_b32 exec_lo, exec_lo, s12
	s_and_saveexec_b32 s12, s20
	s_cbranch_execnz .LBB144_1143
.LBB144_895:                            ;   in Loop: Header=BB144_3 Depth=1
	s_or_b32 exec_lo, exec_lo, s12
	s_and_saveexec_b32 s12, s21
	s_cbranch_execnz .LBB144_1144
.LBB144_896:                            ;   in Loop: Header=BB144_3 Depth=1
	s_or_b32 exec_lo, exec_lo, s12
	s_and_saveexec_b32 s12, s22
	s_cbranch_execnz .LBB144_1145
.LBB144_897:                            ;   in Loop: Header=BB144_3 Depth=1
	s_or_b32 exec_lo, exec_lo, s12
	s_and_saveexec_b32 s12, s3
	s_cbranch_execnz .LBB144_1146
.LBB144_898:                            ;   in Loop: Header=BB144_3 Depth=1
	s_or_b32 exec_lo, exec_lo, s12
	s_and_saveexec_b32 s12, s17
	s_cbranch_execz .LBB144_900
.LBB144_899:                            ;   in Loop: Header=BB144_3 Depth=1
	ds_load_b64 v[36:37], v61 offset:28608
	ds_load_b64 v[38:39], v5 offset:25016
	s_wait_dscnt 0x0
	v_fmac_f64_e32 v[34:35], v[36:37], v[38:39]
.LBB144_900:                            ;   in Loop: Header=BB144_3 Depth=1
	s_or_b32 exec_lo, exec_lo, s12
	s_delay_alu instid0(VALU_DEP_1)
	v_xor_b32_e32 v35, 0x80000000, v35
.LBB144_901:                            ;   in Loop: Header=BB144_3 Depth=1
	s_or_b32 exec_lo, exec_lo, s10
	s_and_saveexec_b32 s10, s101
	s_cbranch_execz .LBB144_903
; %bb.902:                              ;   in Loop: Header=BB144_3 Depth=1
	ds_load_b64 v[36:37], v5 offset:29120
	s_wait_dscnt 0x0
	v_mul_f64_e32 v[34:35], v[34:35], v[36:37]
	ds_store_b64 v58, v[34:35]
.LBB144_903:                            ;   in Loop: Header=BB144_3 Depth=1
	s_or_b32 exec_lo, exec_lo, s10
	s_wait_dscnt 0x0
	s_barrier_signal -1
	s_barrier_wait -1
	s_and_saveexec_b32 s10, s102
	s_cbranch_execz .LBB144_905
; %bb.904:                              ;   in Loop: Header=BB144_3 Depth=1
	ds_load_b64 v[36:37], v56 offset:29120
	ds_load_b64 v[38:39], v58
	s_wait_dscnt 0x0
	v_fmac_f64_e32 v[34:35], v[36:37], v[38:39]
.LBB144_905:                            ;   in Loop: Header=BB144_3 Depth=1
	s_or_b32 exec_lo, exec_lo, s10
	s_barrier_signal -1
	s_barrier_wait -1
	s_and_saveexec_b32 s10, s103
	s_cbranch_execz .LBB144_907
; %bb.906:                              ;   in Loop: Header=BB144_3 Depth=1
	ds_load_b64 v[36:37], v5 offset:29640
	s_wait_dscnt 0x0
	v_mul_f64_e32 v[34:35], v[34:35], v[36:37]
	ds_store_b64 v58, v[34:35]
.LBB144_907:                            ;   in Loop: Header=BB144_3 Depth=1
	s_or_b32 exec_lo, exec_lo, s10
	s_wait_dscnt 0x0
	s_barrier_signal -1
	s_barrier_wait -1
	s_and_saveexec_b32 s10, s104
	s_cbranch_execz .LBB144_909
; %bb.908:                              ;   in Loop: Header=BB144_3 Depth=1
	ds_load_b64 v[36:37], v56 offset:29632
	ds_load_b64 v[38:39], v58
	s_wait_dscnt 0x0
	v_fmac_f64_e32 v[34:35], v[36:37], v[38:39]
.LBB144_909:                            ;   in Loop: Header=BB144_3 Depth=1
	s_or_b32 exec_lo, exec_lo, s10
	s_barrier_signal -1
	s_barrier_wait -1
	s_and_saveexec_b32 s10, vcc_hi
	s_cbranch_execz .LBB144_911
; %bb.910:                              ;   in Loop: Header=BB144_3 Depth=1
	ds_load_b64 v[36:37], v5 offset:30160
	s_wait_dscnt 0x0
	v_mul_f64_e32 v[34:35], v[34:35], v[36:37]
	ds_store_b64 v58, v[34:35]
.LBB144_911:                            ;   in Loop: Header=BB144_3 Depth=1
	s_or_b32 exec_lo, exec_lo, s10
	s_wait_dscnt 0x0
	s_barrier_signal -1
	s_barrier_wait -1
	s_and_saveexec_b32 s10, s36
	s_cbranch_execz .LBB144_913
; %bb.912:                              ;   in Loop: Header=BB144_3 Depth=1
	ds_load_b64 v[36:37], v56 offset:30144
	ds_load_b64 v[38:39], v58
	s_wait_dscnt 0x0
	v_fmac_f64_e32 v[34:35], v[36:37], v[38:39]
.LBB144_913:                            ;   in Loop: Header=BB144_3 Depth=1
	s_or_b32 exec_lo, exec_lo, s10
	s_barrier_signal -1
	s_barrier_wait -1
	s_and_saveexec_b32 s10, s37
	s_cbranch_execz .LBB144_915
; %bb.914:                              ;   in Loop: Header=BB144_3 Depth=1
	ds_load_b64 v[36:37], v5 offset:30680
	s_wait_dscnt 0x0
	v_mul_f64_e32 v[34:35], v[34:35], v[36:37]
	ds_store_b64 v58, v[34:35]
.LBB144_915:                            ;   in Loop: Header=BB144_3 Depth=1
	s_or_b32 exec_lo, exec_lo, s10
	s_wait_dscnt 0x0
	s_barrier_signal -1
	s_barrier_wait -1
	s_and_saveexec_b32 s10, s38
	s_cbranch_execz .LBB144_917
; %bb.916:                              ;   in Loop: Header=BB144_3 Depth=1
	ds_load_b64 v[36:37], v56 offset:30656
	ds_load_b64 v[38:39], v58
	s_wait_dscnt 0x0
	v_fmac_f64_e32 v[34:35], v[36:37], v[38:39]
.LBB144_917:                            ;   in Loop: Header=BB144_3 Depth=1
	s_or_b32 exec_lo, exec_lo, s10
	s_barrier_signal -1
	s_barrier_wait -1
	s_and_saveexec_b32 s10, s39
	s_cbranch_execz .LBB144_919
; %bb.918:                              ;   in Loop: Header=BB144_3 Depth=1
	ds_load_b64 v[36:37], v5 offset:31200
	s_wait_dscnt 0x0
	v_mul_f64_e32 v[34:35], v[34:35], v[36:37]
	ds_store_b64 v58, v[34:35]
.LBB144_919:                            ;   in Loop: Header=BB144_3 Depth=1
	s_or_b32 exec_lo, exec_lo, s10
	s_wait_dscnt 0x0
	s_barrier_signal -1
	s_barrier_wait -1
	s_and_saveexec_b32 s10, s40
	s_cbranch_execz .LBB144_921
; %bb.920:                              ;   in Loop: Header=BB144_3 Depth=1
	ds_load_b64 v[36:37], v56 offset:31168
	ds_load_b64 v[38:39], v58
	s_wait_dscnt 0x0
	v_fmac_f64_e32 v[34:35], v[36:37], v[38:39]
.LBB144_921:                            ;   in Loop: Header=BB144_3 Depth=1
	s_or_b32 exec_lo, exec_lo, s10
	s_barrier_signal -1
	s_barrier_wait -1
	s_and_saveexec_b32 s10, s41
	s_cbranch_execz .LBB144_923
; %bb.922:                              ;   in Loop: Header=BB144_3 Depth=1
	ds_load_b64 v[36:37], v5 offset:31720
	s_wait_dscnt 0x0
	v_mul_f64_e32 v[34:35], v[34:35], v[36:37]
	ds_store_b64 v58, v[34:35]
.LBB144_923:                            ;   in Loop: Header=BB144_3 Depth=1
	s_or_b32 exec_lo, exec_lo, s10
	s_wait_dscnt 0x0
	s_barrier_signal -1
	s_barrier_wait -1
	s_and_saveexec_b32 s10, s42
	s_cbranch_execz .LBB144_925
; %bb.924:                              ;   in Loop: Header=BB144_3 Depth=1
	ds_load_b64 v[36:37], v56 offset:31680
	ds_load_b64 v[38:39], v58
	s_wait_dscnt 0x0
	v_fmac_f64_e32 v[34:35], v[36:37], v[38:39]
.LBB144_925:                            ;   in Loop: Header=BB144_3 Depth=1
	s_or_b32 exec_lo, exec_lo, s10
	s_barrier_signal -1
	s_barrier_wait -1
	s_and_saveexec_b32 s10, s43
	s_cbranch_execz .LBB144_927
; %bb.926:                              ;   in Loop: Header=BB144_3 Depth=1
	ds_load_b64 v[36:37], v5 offset:32240
	s_wait_dscnt 0x0
	v_mul_f64_e32 v[34:35], v[34:35], v[36:37]
	ds_store_b64 v58, v[34:35]
.LBB144_927:                            ;   in Loop: Header=BB144_3 Depth=1
	s_or_b32 exec_lo, exec_lo, s10
	s_wait_dscnt 0x0
	s_barrier_signal -1
	s_barrier_wait -1
	s_and_saveexec_b32 s10, s44
	s_cbranch_execz .LBB144_929
; %bb.928:                              ;   in Loop: Header=BB144_3 Depth=1
	ds_load_b64 v[36:37], v5 offset:32248
	ds_load_b64 v[38:39], v58
	s_wait_dscnt 0x0
	v_fmac_f64_e32 v[34:35], v[36:37], v[38:39]
.LBB144_929:                            ;   in Loop: Header=BB144_3 Depth=1
	s_or_b32 exec_lo, exec_lo, s10
	s_barrier_signal -1
	s_barrier_wait -1
	s_and_saveexec_b32 s10, s44
	s_cbranch_execz .LBB144_931
; %bb.930:                              ;   in Loop: Header=BB144_3 Depth=1
	ds_load_b64 v[36:37], v5 offset:32760
	s_wait_dscnt 0x0
	v_mul_f64_e32 v[34:35], v[34:35], v[36:37]
	ds_store_b64 v58, v[34:35]
.LBB144_931:                            ;   in Loop: Header=BB144_3 Depth=1
	s_or_b32 exec_lo, exec_lo, s10
	s_wait_dscnt 0x0
	s_barrier_signal -1
	s_barrier_wait -1
	s_barrier_signal -1
	s_barrier_wait -1
	s_and_saveexec_b32 s10, s4
; %bb.932:                              ;   in Loop: Header=BB144_3 Depth=1
	s_delay_alu instid0(VALU_DEP_1)
	v_xor_b32_e32 v35, 0x80000000, v35
	ds_store_b64 v59, v[34:35] offset:25024
; %bb.933:                              ;   in Loop: Header=BB144_3 Depth=1
	s_or_b32 exec_lo, exec_lo, s10
	s_wait_dscnt 0x0
	s_barrier_signal -1
	s_barrier_wait -1
	s_barrier_signal -1
	s_barrier_wait -1
	s_and_saveexec_b32 s10, s45
	s_cbranch_execz .LBB144_935
; %bb.934:                              ;   in Loop: Header=BB144_3 Depth=1
	ds_load_b64 v[34:35], v63 offset:25024
	s_wait_dscnt 0x0
	ds_store_b64 v71, v[34:35] offset:29056
	ds_load_b64 v[34:35], v63 offset:25032
	s_wait_dscnt 0x0
	ds_store_b64 v71, v[34:35] offset:29568
	;; [unrolled: 3-line block ×8, first 2 shown]
.LBB144_935:                            ;   in Loop: Header=BB144_3 Depth=1
	s_or_b32 exec_lo, exec_lo, s10
	s_wait_dscnt 0x0
	s_barrier_signal -1
	s_barrier_wait -1
	s_and_saveexec_b32 s10, s14
	s_cbranch_execz .LBB144_937
; %bb.936:                              ;   in Loop: Header=BB144_3 Depth=1
	ds_load_b128 v[34:37], v5 offset:29120
	ds_load_b64 v[38:39], v5 offset:29640
	s_wait_dscnt 0x0
	v_mul_f64_e32 v[34:35], v[34:35], v[38:39]
	s_delay_alu instid0(VALU_DEP_1)
	v_mul_f64_e32 v[34:35], v[36:37], v[34:35]
	v_add_nc_u32_e64 v36, 0x7000, 0
	ds_store_2addr_b64 v36, v[34:35], v[34:35] offset0:57 offset1:120
.LBB144_937:                            ;   in Loop: Header=BB144_3 Depth=1
	s_or_b32 exec_lo, exec_lo, s10
	v_mov_b64_e32 v[34:35], 0
	s_wait_dscnt 0x0
	s_barrier_signal -1
	s_barrier_wait -1
	s_and_saveexec_b32 s10, s1
	s_cbranch_execz .LBB144_941
; %bb.938:                              ;   in Loop: Header=BB144_3 Depth=1
	ds_load_b64 v[34:35], v43 offset:29136
	ds_load_b64 v[36:37], v44 offset:29120
	s_wait_dscnt 0x0
	v_fma_f64 v[34:35], v[34:35], v[36:37], 0
	s_and_saveexec_b32 s12, s15
	s_cbranch_execz .LBB144_940
; %bb.939:                              ;   in Loop: Header=BB144_3 Depth=1
	ds_load_b64 v[36:37], v71 offset:29648
	ds_load_b64 v[38:39], v5 offset:29128
	s_wait_dscnt 0x0
	v_fmac_f64_e32 v[34:35], v[36:37], v[38:39]
.LBB144_940:                            ;   in Loop: Header=BB144_3 Depth=1
	s_or_b32 exec_lo, exec_lo, s12
	s_delay_alu instid0(VALU_DEP_1)
	v_xor_b32_e32 v35, 0x80000000, v35
.LBB144_941:                            ;   in Loop: Header=BB144_3 Depth=1
	s_or_b32 exec_lo, exec_lo, s10
	s_and_saveexec_b32 s10, s91
	s_cbranch_execz .LBB144_943
; %bb.942:                              ;   in Loop: Header=BB144_3 Depth=1
	ds_load_b64 v[36:37], v5 offset:30160
	s_wait_dscnt 0x0
	v_mul_f64_e32 v[34:35], v[34:35], v[36:37]
	ds_store_b64 v3, v[34:35]
.LBB144_943:                            ;   in Loop: Header=BB144_3 Depth=1
	s_or_b32 exec_lo, exec_lo, s10
	s_wait_dscnt 0x0
	s_barrier_signal -1
	s_barrier_wait -1
	s_and_saveexec_b32 s10, s92
	s_cbranch_execz .LBB144_945
; %bb.944:                              ;   in Loop: Header=BB144_3 Depth=1
	ds_load_b64 v[36:37], v5 offset:30168
	ds_load_b64 v[38:39], v3
	s_wait_dscnt 0x0
	v_fmac_f64_e32 v[34:35], v[36:37], v[38:39]
.LBB144_945:                            ;   in Loop: Header=BB144_3 Depth=1
	s_or_b32 exec_lo, exec_lo, s10
	s_barrier_signal -1
	s_barrier_wait -1
	s_and_saveexec_b32 s10, s92
	s_cbranch_execz .LBB144_947
; %bb.946:                              ;   in Loop: Header=BB144_3 Depth=1
	ds_load_b64 v[36:37], v5 offset:30680
	s_wait_dscnt 0x0
	v_mul_f64_e32 v[34:35], v[34:35], v[36:37]
	ds_store_b64 v3, v[34:35]
.LBB144_947:                            ;   in Loop: Header=BB144_3 Depth=1
	s_or_b32 exec_lo, exec_lo, s10
	s_wait_dscnt 0x0
	s_barrier_signal -1
	s_barrier_wait -1
	s_barrier_signal -1
	s_barrier_wait -1
	s_and_saveexec_b32 s10, s1
; %bb.948:                              ;   in Loop: Header=BB144_3 Depth=1
	s_delay_alu instid0(VALU_DEP_1)
	v_xor_b32_e32 v35, 0x80000000, v35
	ds_store_b64 v43, v[34:35] offset:29136
; %bb.949:                              ;   in Loop: Header=BB144_3 Depth=1
	s_or_b32 exec_lo, exec_lo, s10
	s_wait_dscnt 0x0
	s_barrier_signal -1
	s_barrier_wait -1
	s_barrier_signal -1
	s_barrier_wait -1
	s_and_saveexec_b32 s10, s93
	s_cbranch_execz .LBB144_951
; %bb.950:                              ;   in Loop: Header=BB144_3 Depth=1
	ds_load_b64 v[34:35], v72 offset:29136
	s_wait_dscnt 0x0
	ds_store_b64 v71, v[34:35] offset:30144
	ds_load_b64 v[34:35], v72 offset:29144
	s_wait_dscnt 0x0
	ds_store_b64 v71, v[34:35] offset:30656
.LBB144_951:                            ;   in Loop: Header=BB144_3 Depth=1
	s_or_b32 exec_lo, exec_lo, s10
	s_wait_dscnt 0x0
	s_barrier_signal -1
	s_barrier_wait -1
	s_and_saveexec_b32 s10, s14
	s_cbranch_execz .LBB144_953
; %bb.952:                              ;   in Loop: Header=BB144_3 Depth=1
	ds_load_b128 v[34:37], v5 offset:30160
	ds_load_b64 v[38:39], v5 offset:30680
	s_wait_dscnt 0x0
	v_mul_f64_e32 v[34:35], v[34:35], v[38:39]
	s_delay_alu instid0(VALU_DEP_1)
	v_mul_f64_e32 v[34:35], v[36:37], v[34:35]
	v_add_nc_u32_e64 v36, 0x7000, 0
	ds_store_2addr_b64 v36, v[34:35], v[34:35] offset0:187 offset1:250
.LBB144_953:                            ;   in Loop: Header=BB144_3 Depth=1
	s_or_b32 exec_lo, exec_lo, s10
	v_mov_b64_e32 v[34:35], 0
	s_wait_dscnt 0x0
	s_barrier_signal -1
	s_barrier_wait -1
	s_and_saveexec_b32 s10, s3
	s_cbranch_execz .LBB144_959
; %bb.954:                              ;   in Loop: Header=BB144_3 Depth=1
	ds_load_b64 v[34:35], v50 offset:29152
	ds_load_b64 v[36:37], v46 offset:29120
	s_wait_dscnt 0x0
	v_fma_f64 v[34:35], v[34:35], v[36:37], 0
	s_and_saveexec_b32 s12, s16
	s_cbranch_execnz .LBB144_1147
; %bb.955:                              ;   in Loop: Header=BB144_3 Depth=1
	s_or_b32 exec_lo, exec_lo, s12
	s_and_saveexec_b32 s12, s17
	s_cbranch_execnz .LBB144_1148
.LBB144_956:                            ;   in Loop: Header=BB144_3 Depth=1
	s_or_b32 exec_lo, exec_lo, s12
	s_and_saveexec_b32 s12, s1
	s_cbranch_execz .LBB144_958
.LBB144_957:                            ;   in Loop: Header=BB144_3 Depth=1
	ds_load_b64 v[36:37], v73 offset:30688
	ds_load_b64 v[38:39], v5 offset:29144
	s_wait_dscnt 0x0
	v_fmac_f64_e32 v[34:35], v[36:37], v[38:39]
.LBB144_958:                            ;   in Loop: Header=BB144_3 Depth=1
	s_or_b32 exec_lo, exec_lo, s12
	s_delay_alu instid0(VALU_DEP_1)
	v_xor_b32_e32 v35, 0x80000000, v35
.LBB144_959:                            ;   in Loop: Header=BB144_3 Depth=1
	s_or_b32 exec_lo, exec_lo, s10
	s_and_saveexec_b32 s10, s94
	s_cbranch_execz .LBB144_961
; %bb.960:                              ;   in Loop: Header=BB144_3 Depth=1
	ds_load_b64 v[36:37], v5 offset:31200
	s_wait_dscnt 0x0
	v_mul_f64_e32 v[34:35], v[34:35], v[36:37]
	ds_store_b64 v49, v[34:35]
.LBB144_961:                            ;   in Loop: Header=BB144_3 Depth=1
	s_or_b32 exec_lo, exec_lo, s10
	s_wait_dscnt 0x0
	s_barrier_signal -1
	s_barrier_wait -1
	s_and_saveexec_b32 s10, s95
	s_cbranch_execz .LBB144_963
; %bb.962:                              ;   in Loop: Header=BB144_3 Depth=1
	ds_load_b64 v[36:37], v47 offset:31200
	ds_load_b64 v[38:39], v49
	s_wait_dscnt 0x0
	v_fmac_f64_e32 v[34:35], v[36:37], v[38:39]
.LBB144_963:                            ;   in Loop: Header=BB144_3 Depth=1
	s_or_b32 exec_lo, exec_lo, s10
	s_barrier_signal -1
	s_barrier_wait -1
	s_and_saveexec_b32 s10, s96
	s_cbranch_execz .LBB144_965
; %bb.964:                              ;   in Loop: Header=BB144_3 Depth=1
	ds_load_b64 v[36:37], v5 offset:31720
	s_wait_dscnt 0x0
	v_mul_f64_e32 v[34:35], v[34:35], v[36:37]
	ds_store_b64 v49, v[34:35]
.LBB144_965:                            ;   in Loop: Header=BB144_3 Depth=1
	s_or_b32 exec_lo, exec_lo, s10
	s_wait_dscnt 0x0
	s_barrier_signal -1
	s_barrier_wait -1
	s_and_saveexec_b32 s10, s97
	s_cbranch_execz .LBB144_967
; %bb.966:                              ;   in Loop: Header=BB144_3 Depth=1
	ds_load_b64 v[36:37], v47 offset:31712
	ds_load_b64 v[38:39], v49
	s_wait_dscnt 0x0
	v_fmac_f64_e32 v[34:35], v[36:37], v[38:39]
.LBB144_967:                            ;   in Loop: Header=BB144_3 Depth=1
	s_or_b32 exec_lo, exec_lo, s10
	s_barrier_signal -1
	s_barrier_wait -1
	;; [unrolled: 23-line block ×3, first 2 shown]
	s_and_saveexec_b32 s10, s99
	s_cbranch_execz .LBB144_973
; %bb.972:                              ;   in Loop: Header=BB144_3 Depth=1
	ds_load_b64 v[36:37], v5 offset:32760
	s_wait_dscnt 0x0
	v_mul_f64_e32 v[34:35], v[34:35], v[36:37]
	ds_store_b64 v49, v[34:35]
.LBB144_973:                            ;   in Loop: Header=BB144_3 Depth=1
	s_or_b32 exec_lo, exec_lo, s10
	s_wait_dscnt 0x0
	s_barrier_signal -1
	s_barrier_wait -1
	s_barrier_signal -1
	s_barrier_wait -1
	s_and_saveexec_b32 s10, s3
; %bb.974:                              ;   in Loop: Header=BB144_3 Depth=1
	s_delay_alu instid0(VALU_DEP_1)
	v_xor_b32_e32 v35, 0x80000000, v35
	ds_store_b64 v50, v[34:35] offset:29152
; %bb.975:                              ;   in Loop: Header=BB144_3 Depth=1
	s_or_b32 exec_lo, exec_lo, s10
	s_wait_dscnt 0x0
	s_barrier_signal -1
	s_barrier_wait -1
	s_barrier_signal -1
	s_barrier_wait -1
	s_and_saveexec_b32 s10, s100
	s_cbranch_execz .LBB144_977
; %bb.976:                              ;   in Loop: Header=BB144_3 Depth=1
	ds_load_b64 v[34:35], v74 offset:29152
	s_wait_dscnt 0x0
	ds_store_b64 v77, v[34:35] offset:31168
	ds_load_b64 v[34:35], v74 offset:29160
	s_wait_dscnt 0x0
	ds_store_b64 v77, v[34:35] offset:31680
	;; [unrolled: 3-line block ×4, first 2 shown]
.LBB144_977:                            ;   in Loop: Header=BB144_3 Depth=1
	s_or_b32 exec_lo, exec_lo, s10
	s_wait_dscnt 0x0
	s_barrier_signal -1
	s_barrier_wait -1
	s_and_saveexec_b32 s10, s14
	s_cbranch_execz .LBB144_979
; %bb.978:                              ;   in Loop: Header=BB144_3 Depth=1
	ds_load_b128 v[34:37], v5 offset:31200
	ds_load_b64 v[38:39], v5 offset:31720
	s_wait_dscnt 0x0
	v_mul_f64_e32 v[34:35], v[34:35], v[38:39]
	s_delay_alu instid0(VALU_DEP_1)
	v_mul_f64_e32 v[34:35], v[36:37], v[34:35]
	v_add_nc_u32_e64 v36, 0x7800, 0
	ds_store_2addr_b64 v36, v[34:35], v[34:35] offset0:61 offset1:124
.LBB144_979:                            ;   in Loop: Header=BB144_3 Depth=1
	s_or_b32 exec_lo, exec_lo, s10
	v_mov_b64_e32 v[34:35], 0
	s_wait_dscnt 0x0
	s_barrier_signal -1
	s_barrier_wait -1
	s_and_saveexec_b32 s10, s1
	s_cbranch_execz .LBB144_983
; %bb.980:                              ;   in Loop: Header=BB144_3 Depth=1
	ds_load_b64 v[34:35], v43 offset:31216
	ds_load_b64 v[36:37], v44 offset:31200
	s_wait_dscnt 0x0
	v_fma_f64 v[34:35], v[34:35], v[36:37], 0
	s_and_saveexec_b32 s12, s15
	s_cbranch_execz .LBB144_982
; %bb.981:                              ;   in Loop: Header=BB144_3 Depth=1
	ds_load_b64 v[36:37], v77 offset:31728
	ds_load_b64 v[38:39], v5 offset:31208
	s_wait_dscnt 0x0
	v_fmac_f64_e32 v[34:35], v[36:37], v[38:39]
.LBB144_982:                            ;   in Loop: Header=BB144_3 Depth=1
	s_or_b32 exec_lo, exec_lo, s12
	s_delay_alu instid0(VALU_DEP_1)
	v_xor_b32_e32 v35, 0x80000000, v35
.LBB144_983:                            ;   in Loop: Header=BB144_3 Depth=1
	s_or_b32 exec_lo, exec_lo, s10
	s_and_saveexec_b32 s10, s91
	s_cbranch_execz .LBB144_985
; %bb.984:                              ;   in Loop: Header=BB144_3 Depth=1
	ds_load_b64 v[36:37], v5 offset:32240
	s_wait_dscnt 0x0
	v_mul_f64_e32 v[34:35], v[34:35], v[36:37]
	ds_store_b64 v3, v[34:35]
.LBB144_985:                            ;   in Loop: Header=BB144_3 Depth=1
	s_or_b32 exec_lo, exec_lo, s10
	s_wait_dscnt 0x0
	s_barrier_signal -1
	s_barrier_wait -1
	s_and_saveexec_b32 s10, s92
	s_cbranch_execz .LBB144_987
; %bb.986:                              ;   in Loop: Header=BB144_3 Depth=1
	ds_load_b64 v[36:37], v5 offset:32248
	ds_load_b64 v[38:39], v3
	s_wait_dscnt 0x0
	v_fmac_f64_e32 v[34:35], v[36:37], v[38:39]
.LBB144_987:                            ;   in Loop: Header=BB144_3 Depth=1
	s_or_b32 exec_lo, exec_lo, s10
	s_barrier_signal -1
	s_barrier_wait -1
	s_and_saveexec_b32 s10, s92
	s_cbranch_execz .LBB144_989
; %bb.988:                              ;   in Loop: Header=BB144_3 Depth=1
	ds_load_b64 v[36:37], v5 offset:32760
	s_wait_dscnt 0x0
	v_mul_f64_e32 v[34:35], v[34:35], v[36:37]
	ds_store_b64 v3, v[34:35]
.LBB144_989:                            ;   in Loop: Header=BB144_3 Depth=1
	s_or_b32 exec_lo, exec_lo, s10
	s_wait_dscnt 0x0
	s_barrier_signal -1
	s_barrier_wait -1
	s_barrier_signal -1
	s_barrier_wait -1
	s_and_saveexec_b32 s10, s1
; %bb.990:                              ;   in Loop: Header=BB144_3 Depth=1
	s_delay_alu instid0(VALU_DEP_1)
	v_xor_b32_e32 v35, 0x80000000, v35
	ds_store_b64 v43, v[34:35] offset:31216
; %bb.991:                              ;   in Loop: Header=BB144_3 Depth=1
	s_or_b32 exec_lo, exec_lo, s10
	s_wait_dscnt 0x0
	s_barrier_signal -1
	s_barrier_wait -1
	s_barrier_signal -1
	s_barrier_wait -1
	s_and_saveexec_b32 s10, s93
	s_cbranch_execz .LBB144_993
; %bb.992:                              ;   in Loop: Header=BB144_3 Depth=1
	ds_load_b64 v[34:35], v79 offset:31216
	s_wait_dscnt 0x0
	ds_store_b64 v77, v[34:35] offset:32224
	ds_load_b64 v[34:35], v79 offset:31224
	s_wait_dscnt 0x0
	ds_store_b64 v77, v[34:35] offset:32736
.LBB144_993:                            ;   in Loop: Header=BB144_3 Depth=1
	s_or_b32 exec_lo, exec_lo, s10
	s_wait_dscnt 0x0
	s_barrier_signal -1
	s_barrier_wait -1
	s_and_saveexec_b32 s10, s14
	s_cbranch_execz .LBB144_995
; %bb.994:                              ;   in Loop: Header=BB144_3 Depth=1
	ds_load_b128 v[34:37], v5 offset:32240
	ds_load_b64 v[38:39], v5 offset:32760
	s_wait_dscnt 0x0
	v_mul_f64_e32 v[34:35], v[34:35], v[38:39]
	s_delay_alu instid0(VALU_DEP_1)
	v_mul_f64_e32 v[34:35], v[36:37], v[34:35]
	v_add_nc_u32_e64 v36, 0x7800, 0
	ds_store_2addr_b64 v36, v[34:35], v[34:35] offset0:191 offset1:254
.LBB144_995:                            ;   in Loop: Header=BB144_3 Depth=1
	s_or_b32 exec_lo, exec_lo, s10
.LBB144_996:                            ;   in Loop: Header=BB144_3 Depth=1
	v_add_nc_u64_e32 v[32:33], s[72:73], v[32:33]
	v_mov_b64_e32 v[34:35], 0
	s_wait_dscnt 0x0
	s_barrier_signal -1
	s_barrier_wait -1
	s_and_saveexec_b32 s10, s47
	s_cbranch_execz .LBB144_998
; %bb.997:                              ;   in Loop: Header=BB144_3 Depth=1
	v_lshl_add_u64 v[34:35], v[0:1], 3, v[32:33]
	flat_load_b64 v[34:35], v[34:35]
	s_wait_loadcnt_dscnt 0x0
	v_mul_f64_e64 v[34:35], v[34:35], -s[68:69]
.LBB144_998:                            ;   in Loop: Header=BB144_3 Depth=1
	s_or_b32 exec_lo, exec_lo, s10
	s_delay_alu instid0(SALU_CYCLE_1)
	s_and_not1_b32 vcc_lo, exec_lo, s48
	s_cbranch_vccnz .LBB144_1024
; %bb.999:                              ;   in Loop: Header=BB144_3 Depth=1
	v_mov_b32_e32 v94, -1
	s_lshl_b64 s[50:51], s[66:67], 2
	s_mov_b32 s10, 0
	s_add_nc_u64 s[84:85], s[82:83], s[50:51]
	s_branch .LBB144_1002
.LBB144_1000:                           ;   in Loop: Header=BB144_1002 Depth=2
	s_wait_xcnt 0x0
	ds_load_b64 v[36:37], v81 offset:384
	s_wait_loadcnt_dscnt 0x0
	v_fmac_f64_e32 v[34:35], v[38:39], v[36:37]
.LBB144_1001:                           ;   in Loop: Header=BB144_1002 Depth=2
	s_or_b32 exec_lo, exec_lo, s12
	s_add_co_i32 s10, s10, 1
	s_delay_alu instid0(SALU_CYCLE_1)
	s_cmp_eq_u32 s10, s86
	s_cbranch_scc1 .LBB144_1024
.LBB144_1002:                           ;   Parent Loop BB144_3 Depth=1
                                        ; =>  This Loop Header: Depth=2
                                        ;       Child Loop BB144_1004 Depth 3
	v_cmp_gt_i32_e32 vcc_lo, s10, v94
	s_and_b32 s50, s59, vcc_lo
	s_delay_alu instid0(SALU_CYCLE_1)
	s_and_saveexec_b32 s12, s50
	s_cbranch_execz .LBB144_1005
; %bb.1003:                             ;   in Loop: Header=BB144_1002 Depth=2
	global_load_b32 v94, v5, s[84:85]
	s_wait_loadcnt 0x0
	v_cmp_le_i32_e32 vcc_lo, s10, v94
	s_cbranch_vccnz .LBB144_1005
.LBB144_1004:                           ;   Parent Loop BB144_3 Depth=1
                                        ;     Parent Loop BB144_1002 Depth=2
                                        ; =>    This Inner Loop Header: Depth=3
	global_wb scope:SCOPE_DEV
	s_wait_storecnt 0x0
	global_inv scope:SCOPE_DEV
	global_load_b32 v94, v5, s[84:85]
	s_wait_loadcnt 0x0
	v_cmp_gt_i32_e32 vcc_lo, s10, v94
	s_cbranch_vccnz .LBB144_1004
.LBB144_1005:                           ;   in Loop: Header=BB144_1002 Depth=2
	s_or_b32 exec_lo, exec_lo, s12
	s_sub_co_i32 s12, s87, s10
	global_wb scope:SCOPE_DEV
	s_wait_storecnt 0x0
	global_inv scope:SCOPE_DEV
	s_lshl_b32 s50, s12, 6
	s_wait_loadcnt 0x0
	s_barrier_signal -1
	s_barrier_wait -1
	s_and_saveexec_b32 s51, s60
	s_cbranch_execz .LBB144_1009
; %bb.1006:                             ;   in Loop: Header=BB144_1002 Depth=2
	s_ashr_i32 s52, s50, 31
	v_mov_b64_e32 v[38:39], 0
	v_dual_mov_b32 v37, s52 :: v_dual_bitop2_b32 v36, s50, v4 bitop3:0x54
	s_mov_b32 s52, exec_lo
	s_delay_alu instid0(VALU_DEP_1)
	v_cmpx_gt_i64_e64 s[80:81], v[36:37]
	s_cbranch_execz .LBB144_1008
; %bb.1007:                             ;   in Loop: Header=BB144_1002 Depth=2
	v_mul_u64_e32 v[36:37], s[74:75], v[36:37]
	s_delay_alu instid0(VALU_DEP_1)
	v_lshl_add_u64 v[36:37], v[36:37], 3, v[32:33]
	flat_load_b64 v[38:39], v[36:37]
.LBB144_1008:                           ;   in Loop: Header=BB144_1002 Depth=2
	s_wait_xcnt 0x0
	s_or_b32 exec_lo, exec_lo, s52
	s_wait_loadcnt_dscnt 0x0
	ds_store_b64 v88, v[38:39]
.LBB144_1009:                           ;   in Loop: Header=BB144_1002 Depth=2
	s_or_b32 exec_lo, exec_lo, s51
	v_add_nc_u32_e32 v38, s50, v42
	s_cmp_lg_u32 s12, s49
	s_wait_dscnt 0x0
	s_cselect_b32 s50, -1, 0
	s_barrier_signal -1
	v_ashrrev_i32_e32 v39, 31, v38
	v_cmp_gt_i32_e32 vcc_lo, s80, v38
	s_barrier_wait -1
	s_delay_alu instid0(VALU_DEP_2) | instskip(SKIP_2) | instid1(SALU_CYCLE_1)
	v_lshl_add_u64 v[36:37], v[38:39], 3, v[30:31]
	v_cndmask_b32_e64 v39, 0, 1, s50
	s_and_b32 s51, vcc_lo, s0
	s_and_saveexec_b32 s12, s51
	s_cbranch_execz .LBB144_1013
; %bb.1010:                             ;   in Loop: Header=BB144_1002 Depth=2
	v_mov_b64_e32 v[40:41], v[22:23]
	s_and_not1_b32 vcc_lo, exec_lo, s50
	s_cbranch_vccnz .LBB144_1012
; %bb.1011:                             ;   in Loop: Header=BB144_1002 Depth=2
	flat_load_b64 v[40:41], v[36:37]
.LBB144_1012:                           ;   in Loop: Header=BB144_1002 Depth=2
	ds_load_b64 v[96:97], v81
	s_wait_loadcnt_dscnt 0x0
	v_fmac_f64_e32 v[34:35], v[40:41], v[96:97]
.LBB144_1013:                           ;   in Loop: Header=BB144_1002 Depth=2
	s_or_b32 exec_lo, exec_lo, s12
	v_add_nc_u32_e32 v40, 16, v38
	s_delay_alu instid0(VALU_DEP_1) | instskip(SKIP_1) | instid1(SALU_CYCLE_1)
	v_cmp_gt_i32_e32 vcc_lo, s80, v40
	s_and_b32 s50, vcc_lo, s0
	s_and_saveexec_b32 s12, s50
	s_cbranch_execz .LBB144_1017
; %bb.1014:                             ;   in Loop: Header=BB144_1002 Depth=2
	v_cmp_ne_u32_e32 vcc_lo, 1, v39
	v_mov_b64_e32 v[40:41], v[24:25]
	s_cbranch_vccnz .LBB144_1016
; %bb.1015:                             ;   in Loop: Header=BB144_1002 Depth=2
	flat_load_b64 v[40:41], v[36:37] offset:128
.LBB144_1016:                           ;   in Loop: Header=BB144_1002 Depth=2
	ds_load_b64 v[96:97], v81 offset:128
	s_wait_loadcnt_dscnt 0x0
	v_fmac_f64_e32 v[34:35], v[40:41], v[96:97]
.LBB144_1017:                           ;   in Loop: Header=BB144_1002 Depth=2
	s_or_b32 exec_lo, exec_lo, s12
	v_add_nc_u32_e32 v40, 32, v38
	s_delay_alu instid0(VALU_DEP_1) | instskip(SKIP_1) | instid1(SALU_CYCLE_1)
	v_cmp_gt_i32_e32 vcc_lo, s80, v40
	s_and_b32 s50, vcc_lo, s0
	s_and_saveexec_b32 s12, s50
	s_cbranch_execz .LBB144_1021
; %bb.1018:                             ;   in Loop: Header=BB144_1002 Depth=2
	v_cmp_ne_u32_e32 vcc_lo, 1, v39
	v_mov_b64_e32 v[40:41], v[26:27]
	s_cbranch_vccnz .LBB144_1020
; %bb.1019:                             ;   in Loop: Header=BB144_1002 Depth=2
	flat_load_b64 v[40:41], v[36:37] offset:256
.LBB144_1020:                           ;   in Loop: Header=BB144_1002 Depth=2
	ds_load_b64 v[96:97], v81 offset:256
	s_wait_loadcnt_dscnt 0x0
	v_fmac_f64_e32 v[34:35], v[40:41], v[96:97]
.LBB144_1021:                           ;   in Loop: Header=BB144_1002 Depth=2
	s_or_b32 exec_lo, exec_lo, s12
	v_add_nc_u32_e32 v38, 48, v38
	s_delay_alu instid0(VALU_DEP_1) | instskip(SKIP_1) | instid1(SALU_CYCLE_1)
	v_cmp_gt_i32_e32 vcc_lo, s80, v38
	s_and_b32 s50, vcc_lo, s0
	s_and_saveexec_b32 s12, s50
	s_cbranch_execz .LBB144_1001
; %bb.1022:                             ;   in Loop: Header=BB144_1002 Depth=2
	v_cmp_ne_u32_e32 vcc_lo, 1, v39
	v_mov_b64_e32 v[38:39], v[28:29]
	s_cbranch_vccnz .LBB144_1000
; %bb.1023:                             ;   in Loop: Header=BB144_1002 Depth=2
	flat_load_b64 v[38:39], v[36:37] offset:384
	s_branch .LBB144_1000
.LBB144_1024:                           ;   in Loop: Header=BB144_3 Depth=1
	ds_store_b64 v89, v[34:35]
	s_wait_dscnt 0x0
	s_barrier_signal -1
	s_barrier_wait -1
	s_and_saveexec_b32 s10, s2
	s_cbranch_execz .LBB144_1026
; %bb.1025:                             ;   in Loop: Header=BB144_3 Depth=1
	ds_load_2addr_stride64_b64 v[36:39], v90 offset0:1 offset1:2
	ds_load_2addr_stride64_b64 v[94:97], v90 offset0:3 offset1:4
	s_wait_dscnt 0x1
	v_add_f64_e32 v[30:31], v[34:35], v[36:37]
	s_delay_alu instid0(VALU_DEP_1) | instskip(SKIP_4) | instid1(VALU_DEP_1)
	v_add_f64_e32 v[30:31], v[30:31], v[38:39]
	ds_load_2addr_stride64_b64 v[34:37], v90 offset0:5 offset1:6
	ds_load_2addr_stride64_b64 v[38:41], v90 offset0:7 offset1:8
	s_wait_dscnt 0x2
	v_add_f64_e32 v[30:31], v[30:31], v[94:95]
	v_add_f64_e32 v[30:31], v[30:31], v[96:97]
	s_wait_dscnt 0x1
	s_delay_alu instid0(VALU_DEP_1) | instskip(NEXT) | instid1(VALU_DEP_1)
	v_add_f64_e32 v[30:31], v[30:31], v[34:35]
	v_add_f64_e32 v[30:31], v[30:31], v[36:37]
	s_wait_dscnt 0x0
	s_delay_alu instid0(VALU_DEP_1) | instskip(NEXT) | instid1(VALU_DEP_1)
	v_add_f64_e32 v[30:31], v[30:31], v[38:39]
	v_add_f64_e32 v[30:31], v[30:31], v[40:41]
	ds_load_2addr_stride64_b64 v[34:37], v90 offset0:9 offset1:10
	ds_load_2addr_stride64_b64 v[38:41], v90 offset0:11 offset1:12
	s_wait_dscnt 0x1
	v_add_f64_e32 v[30:31], v[30:31], v[34:35]
	s_delay_alu instid0(VALU_DEP_1) | instskip(SKIP_1) | instid1(VALU_DEP_1)
	v_add_f64_e32 v[30:31], v[30:31], v[36:37]
	s_wait_dscnt 0x0
	v_add_f64_e32 v[30:31], v[30:31], v[38:39]
	ds_load_2addr_stride64_b64 v[34:37], v90 offset0:13 offset1:14
	ds_load_b64 v[38:39], v90 offset:7680
	v_add_f64_e32 v[30:31], v[30:31], v[40:41]
	s_wait_dscnt 0x1
	s_delay_alu instid0(VALU_DEP_1) | instskip(NEXT) | instid1(VALU_DEP_1)
	v_add_f64_e32 v[30:31], v[30:31], v[34:35]
	v_add_f64_e32 v[30:31], v[30:31], v[36:37]
	s_wait_dscnt 0x0
	s_delay_alu instid0(VALU_DEP_1) | instskip(NEXT) | instid1(VALU_DEP_1)
	v_add_f64_e32 v[30:31], v[30:31], v[38:39]
	v_xor_b32_e32 v31, 0x80000000, v31
	s_delay_alu instid0(VALU_DEP_2) | instskip(NEXT) | instid1(VALU_DEP_2)
	v_cndmask_b32_e64 v34, v30, 0, s46
	v_cndmask_b32_e64 v35, v31, 0, s46
.LBB144_1026:                           ;   in Loop: Header=BB144_3 Depth=1
	s_or_b32 exec_lo, exec_lo, s10
	s_delay_alu instid0(SALU_CYCLE_1)
	s_and_not1_b32 vcc_lo, exec_lo, s90
	s_cbranch_vccnz .LBB144_1036
; %bb.1027:                             ;   in Loop: Header=BB144_3 Depth=1
	s_and_saveexec_b32 s10, s2
; %bb.1028:                             ;   in Loop: Header=BB144_3 Depth=1
	ds_store_b64 v92, v[34:35]
; %bb.1029:                             ;   in Loop: Header=BB144_3 Depth=1
	s_or_b32 exec_lo, exec_lo, s10
	v_mov_b64_e32 v[30:31], 0
	s_wait_dscnt 0x0
	s_barrier_signal -1
	s_barrier_wait -1
	s_and_saveexec_b32 s10, s6
	s_cbranch_execnz .LBB144_1092
; %bb.1030:                             ;   in Loop: Header=BB144_3 Depth=1
	s_or_b32 exec_lo, exec_lo, s10
	s_and_saveexec_b32 s10, s7
	s_cbranch_execnz .LBB144_1093
.LBB144_1031:                           ;   in Loop: Header=BB144_3 Depth=1
	s_or_b32 exec_lo, exec_lo, s10
	s_and_saveexec_b32 s10, s8
	s_cbranch_execnz .LBB144_1094
.LBB144_1032:                           ;   in Loop: Header=BB144_3 Depth=1
	s_or_b32 exec_lo, exec_lo, s10
	s_and_saveexec_b32 s10, s9
	s_cbranch_execz .LBB144_1034
.LBB144_1033:                           ;   in Loop: Header=BB144_3 Depth=1
	ds_load_b64 v[36:37], v91 offset:24576
	ds_load_b64 v[38:39], v81 offset:384
	s_wait_dscnt 0x0
	v_fmac_f64_e32 v[30:31], v[36:37], v[38:39]
.LBB144_1034:                           ;   in Loop: Header=BB144_3 Depth=1
	s_or_b32 exec_lo, exec_lo, s10
	s_mov_b32 s10, 0
	s_mov_b32 s84, 0
	ds_store_b64 v89, v[30:31]
	s_wait_dscnt 0x0
	s_barrier_signal -1
	s_barrier_wait -1
                                        ; implicit-def: $vgpr36_vgpr37
	s_and_saveexec_b32 s85, s2
	s_cbranch_execz .LBB144_1095
; %bb.1035:                             ;   in Loop: Header=BB144_3 Depth=1
	ds_load_2addr_stride64_b64 v[36:39], v90 offset0:1 offset1:2
	ds_load_2addr_stride64_b64 v[94:97], v90 offset0:3 offset1:4
	s_mov_b32 s84, exec_lo
	s_wait_dscnt 0x1
	v_add_f64_e32 v[30:31], v[30:31], v[36:37]
	s_delay_alu instid0(VALU_DEP_1) | instskip(SKIP_1) | instid1(VALU_DEP_1)
	v_add_f64_e32 v[30:31], v[38:39], v[30:31]
	s_wait_dscnt 0x0
	v_add_f64_e32 v[30:31], v[94:95], v[30:31]
	s_delay_alu instid0(VALU_DEP_1) | instskip(SKIP_4) | instid1(VALU_DEP_1)
	v_add_f64_e32 v[30:31], v[96:97], v[30:31]
	ds_load_2addr_stride64_b64 v[36:39], v90 offset0:5 offset1:6
	ds_load_2addr_stride64_b64 v[94:97], v90 offset0:7 offset1:8
	s_wait_dscnt 0x1
	v_add_f64_e32 v[30:31], v[36:37], v[30:31]
	v_add_f64_e32 v[30:31], v[38:39], v[30:31]
	s_wait_dscnt 0x0
	s_delay_alu instid0(VALU_DEP_1) | instskip(NEXT) | instid1(VALU_DEP_1)
	v_add_f64_e32 v[30:31], v[94:95], v[30:31]
	v_add_f64_e32 v[30:31], v[96:97], v[30:31]
	ds_load_2addr_stride64_b64 v[36:39], v90 offset0:9 offset1:10
	ds_load_2addr_stride64_b64 v[94:97], v90 offset0:11 offset1:12
	s_wait_dscnt 0x1
	v_add_f64_e32 v[30:31], v[36:37], v[30:31]
	s_delay_alu instid0(VALU_DEP_1) | instskip(SKIP_4) | instid1(VALU_DEP_1)
	v_add_f64_e32 v[30:31], v[38:39], v[30:31]
	ds_load_2addr_stride64_b64 v[36:39], v90 offset0:13 offset1:14
	ds_load_b64 v[40:41], v90 offset:7680
	s_wait_dscnt 0x2
	v_add_f64_e32 v[30:31], v[94:95], v[30:31]
	v_add_f64_e32 v[30:31], v[96:97], v[30:31]
	s_wait_dscnt 0x1
	s_delay_alu instid0(VALU_DEP_1) | instskip(NEXT) | instid1(VALU_DEP_1)
	v_add_f64_e32 v[30:31], v[36:37], v[30:31]
	v_add_f64_e32 v[30:31], v[38:39], v[30:31]
	s_wait_dscnt 0x0
	s_delay_alu instid0(VALU_DEP_1) | instskip(SKIP_1) | instid1(SALU_CYCLE_1)
	v_add_f64_e32 v[36:37], v[40:41], v[30:31]
	s_or_b32 exec_lo, exec_lo, s85
	s_and_b32 vcc_lo, exec_lo, s10
	s_cbranch_vccnz .LBB144_1037
	s_branch .LBB144_1096
.LBB144_1036:                           ;   in Loop: Header=BB144_3 Depth=1
	s_mov_b32 s84, 0
                                        ; implicit-def: $vgpr36_vgpr37
	s_cbranch_execz .LBB144_1096
.LBB144_1037:                           ;   in Loop: Header=BB144_3 Depth=1
	v_dual_mov_b32 v30, v93 :: v_dual_mov_b32 v31, v85
	s_mov_b32 s10, 63
	s_branch .LBB144_1039
.LBB144_1038:                           ;   in Loop: Header=BB144_1039 Depth=2
	s_or_b32 exec_lo, exec_lo, s12
	v_add_nc_u32_e32 v31, 0xfffff800, v31
	v_add_nc_u32_e32 v30, 4, v30
	s_add_co_i32 s10, s10, -4
	s_cmp_lg_u32 s85, 0
	s_barrier_signal -1
	s_barrier_wait -1
	s_cbranch_scc0 .LBB144_1055
.LBB144_1039:                           ;   Parent Loop BB144_3 Depth=1
                                        ; =>  This Inner Loop Header: Depth=2
	s_delay_alu instid0(VALU_DEP_1) | instskip(SKIP_2) | instid1(SALU_CYCLE_1)
	v_cmp_eq_u32_e32 vcc_lo, 0, v30
	v_add_nc_u32_e32 v36, v79, v45
	s_and_b32 s50, s2, vcc_lo
	s_and_saveexec_b32 s12, s50
	s_cbranch_execz .LBB144_1041
; %bb.1040:                             ;   in Loop: Header=BB144_1039 Depth=2
	ds_load_b64 v[38:39], v36
	s_wait_dscnt 0x0
	v_mul_f64_e32 v[34:35], v[34:35], v[38:39]
	ds_store_b64 v5, v[34:35] offset:41472
.LBB144_1041:                           ;   in Loop: Header=BB144_1039 Depth=2
	s_or_b32 exec_lo, exec_lo, s12
	v_cmp_gt_u32_e32 vcc_lo, s10, v2
	s_wait_dscnt 0x0
	s_barrier_signal -1
	s_barrier_wait -1
	s_and_b32 s50, s2, vcc_lo
	s_delay_alu instid0(SALU_CYCLE_1)
	s_and_saveexec_b32 s12, s50
	s_cbranch_execz .LBB144_1043
; %bb.1042:                             ;   in Loop: Header=BB144_1039 Depth=2
	ds_load_b64 v[38:39], v31 offset:1536
	ds_load_b64 v[40:41], v5 offset:41472
	s_wait_dscnt 0x0
	v_fmac_f64_e32 v[34:35], v[38:39], v[40:41]
.LBB144_1043:                           ;   in Loop: Header=BB144_1039 Depth=2
	s_or_b32 exec_lo, exec_lo, s12
	s_add_co_i32 s12, s10, -1
	s_delay_alu instid0(SALU_CYCLE_1) | instskip(SKIP_3) | instid1(SALU_CYCLE_1)
	v_cmp_eq_u32_e32 vcc_lo, s12, v2
	s_barrier_signal -1
	s_barrier_wait -1
	s_and_b32 s51, s2, vcc_lo
	s_and_saveexec_b32 s50, s51
	s_cbranch_execz .LBB144_1045
; %bb.1044:                             ;   in Loop: Header=BB144_1039 Depth=2
	ds_load_b64 v[38:39], v36
	s_wait_dscnt 0x0
	v_mul_f64_e32 v[34:35], v[34:35], v[38:39]
	ds_store_b64 v5, v[34:35] offset:41472
.LBB144_1045:                           ;   in Loop: Header=BB144_1039 Depth=2
	s_or_b32 exec_lo, exec_lo, s50
	v_cmp_gt_u32_e32 vcc_lo, s12, v2
	s_wait_dscnt 0x0
	s_barrier_signal -1
	s_barrier_wait -1
	s_and_b32 s50, s2, vcc_lo
	s_delay_alu instid0(SALU_CYCLE_1)
	s_and_saveexec_b32 s12, s50
	s_cbranch_execz .LBB144_1047
; %bb.1046:                             ;   in Loop: Header=BB144_1039 Depth=2
	ds_load_b64 v[38:39], v31 offset:1024
	ds_load_b64 v[40:41], v5 offset:41472
	s_wait_dscnt 0x0
	v_fmac_f64_e32 v[34:35], v[38:39], v[40:41]
.LBB144_1047:                           ;   in Loop: Header=BB144_1039 Depth=2
	s_or_b32 exec_lo, exec_lo, s12
	s_add_co_i32 s12, s10, -2
	s_delay_alu instid0(SALU_CYCLE_1) | instskip(SKIP_3) | instid1(SALU_CYCLE_1)
	v_cmp_eq_u32_e32 vcc_lo, s12, v2
	s_barrier_signal -1
	s_barrier_wait -1
	;; [unrolled: 30-line block ×3, first 2 shown]
	s_and_b32 s50, s2, vcc_lo
	s_and_saveexec_b32 s12, s50
	s_cbranch_execz .LBB144_1053
; %bb.1052:                             ;   in Loop: Header=BB144_1039 Depth=2
	ds_load_b64 v[36:37], v36
	s_wait_dscnt 0x0
	v_mul_f64_e32 v[34:35], v[34:35], v[36:37]
	ds_store_b64 v5, v[34:35] offset:41472
.LBB144_1053:                           ;   in Loop: Header=BB144_1039 Depth=2
	s_or_b32 exec_lo, exec_lo, s12
	v_cmp_gt_u32_e32 vcc_lo, s85, v2
	s_wait_dscnt 0x0
	s_barrier_signal -1
	s_barrier_wait -1
	s_and_b32 s50, s2, vcc_lo
	s_delay_alu instid0(SALU_CYCLE_1)
	s_and_saveexec_b32 s12, s50
	s_cbranch_execz .LBB144_1038
; %bb.1054:                             ;   in Loop: Header=BB144_1039 Depth=2
	ds_load_b64 v[36:37], v31
	ds_load_b64 v[38:39], v5 offset:41472
	s_wait_dscnt 0x0
	v_fmac_f64_e32 v[34:35], v[36:37], v[38:39]
	s_branch .LBB144_1038
.LBB144_1055:                           ;   in Loop: Header=BB144_3 Depth=1
	s_and_b32 vcc_lo, exec_lo, s88
	s_mov_b32 s10, -1
	s_cbranch_vccnz .LBB144_1097
; %bb.1056:                             ;   in Loop: Header=BB144_3 Depth=1
	s_and_not1_b32 vcc_lo, exec_lo, s10
	s_cbranch_vccz .LBB144_1098
.LBB144_1057:                           ;   in Loop: Header=BB144_3 Depth=1
	s_and_saveexec_b32 s10, s84
	s_cbranch_execz .LBB144_1059
.LBB144_1058:                           ;   in Loop: Header=BB144_3 Depth=1
	v_lshl_add_u64 v[30:31], v[18:19], 3, v[32:33]
	flat_store_b64 v[30:31], v[34:35]
.LBB144_1059:                           ;   in Loop: Header=BB144_3 Depth=1
	s_wait_xcnt 0x0
	s_or_b32 exec_lo, exec_lo, s10
	global_wb scope:SCOPE_DEV
	s_wait_storecnt_dscnt 0x0
	global_inv scope:SCOPE_DEV
	s_wait_loadcnt 0x0
	s_barrier_signal -1
	s_barrier_wait -1
	s_and_saveexec_b32 s10, s59
	s_cbranch_execz .LBB144_2
; %bb.1060:                             ;   in Loop: Header=BB144_3 Depth=1
	s_lshl_b64 s[50:51], s[66:67], 2
	s_delay_alu instid0(SALU_CYCLE_1)
	s_add_nc_u64 s[50:51], s[82:83], s[50:51]
	global_load_b32 v30, v5, s[50:51]
	s_wait_loadcnt 0x0
	v_add_nc_u32_e32 v30, 1, v30
	global_store_b32 v5, v30, s[50:51]
	s_branch .LBB144_2
.LBB144_1061:                           ;   in Loop: Header=BB144_3 Depth=1
	s_mov_b32 s12, exec_lo
	v_readlane_b32 s50, v100, 19
	s_and_b32 s50, s12, s50
	s_delay_alu instid0(SALU_CYCLE_1)
	s_xor_b32 s12, s50, s12
	s_mov_b32 exec_lo, s50
	s_cbranch_execz .LBB144_1065
; %bb.1062:                             ;   in Loop: Header=BB144_3 Depth=1
	s_mov_b32 s50, exec_lo
	v_readlane_b32 s51, v99, 29
	s_and_b32 s51, s50, s51
	s_delay_alu instid0(SALU_CYCLE_1)
	s_mov_b32 exec_lo, s51
; %bb.1063:                             ;   in Loop: Header=BB144_3 Depth=1
	ds_store_b64 v75, v[20:21]
; %bb.1064:                             ;   in Loop: Header=BB144_3 Depth=1
	s_or_b32 exec_lo, exec_lo, s50
.LBB144_1065:                           ;   in Loop: Header=BB144_3 Depth=1
	s_and_not1_saveexec_b32 s12, s12
	s_cbranch_execz .LBB144_1067
; %bb.1066:                             ;   in Loop: Header=BB144_3 Depth=1
	v_lshl_add_u64 v[36:37], v[10:11], 3, v[34:35]
	flat_load_b64 v[36:37], v[36:37]
	s_wait_loadcnt_dscnt 0x0
	v_div_scale_f64 v[38:39], null, v[36:37], v[36:37], 1.0
	s_delay_alu instid0(VALU_DEP_1) | instskip(SKIP_1) | instid1(TRANS32_DEP_1)
	v_rcp_f64_e32 v[40:41], v[38:39]
	v_nop
	v_fma_f64 v[94:95], -v[38:39], v[40:41], 1.0
	s_delay_alu instid0(VALU_DEP_1) | instskip(NEXT) | instid1(VALU_DEP_1)
	v_fmac_f64_e32 v[40:41], v[40:41], v[94:95]
	v_fma_f64 v[94:95], -v[38:39], v[40:41], 1.0
	s_delay_alu instid0(VALU_DEP_1) | instskip(SKIP_1) | instid1(VALU_DEP_1)
	v_fmac_f64_e32 v[40:41], v[40:41], v[94:95]
	v_div_scale_f64 v[94:95], vcc_lo, 1.0, v[36:37], 1.0
	v_mul_f64_e32 v[96:97], v[94:95], v[40:41]
	s_delay_alu instid0(VALU_DEP_1) | instskip(NEXT) | instid1(VALU_DEP_1)
	v_fma_f64 v[38:39], -v[38:39], v[96:97], v[94:95]
	v_div_fmas_f64 v[38:39], v[38:39], v[40:41], v[96:97]
	s_delay_alu instid0(VALU_DEP_1)
	v_div_fixup_f64 v[36:37], v[38:39], v[36:37], 1.0
	ds_store_b64 v75, v[36:37]
.LBB144_1067:                           ;   in Loop: Header=BB144_3 Depth=1
	s_or_b32 exec_lo, exec_lo, s12
	s_and_not1_saveexec_b32 s10, s10
	s_cbranch_execz .LBB144_16
.LBB144_1068:                           ;   in Loop: Header=BB144_3 Depth=1
	v_lshl_add_u64 v[36:37], v[10:11], 3, v[34:35]
	flat_load_b64 v[36:37], v[36:37]
	s_wait_loadcnt_dscnt 0x0
	v_xor_b32_e32 v37, 0x80000000, v37
	ds_store_b64 v75, v[36:37]
	s_or_b32 exec_lo, exec_lo, s10
	s_and_saveexec_b32 s10, s7
	s_delay_alu instid0(SALU_CYCLE_1)
	s_xor_b32 s10, exec_lo, s10
	s_cbranch_execz .LBB144_17
.LBB144_1069:                           ;   in Loop: Header=BB144_3 Depth=1
	s_mov_b32 s12, exec_lo
	v_readlane_b32 s50, v100, 21
	s_and_b32 s50, s12, s50
	s_delay_alu instid0(SALU_CYCLE_1)
	s_xor_b32 s12, s50, s12
	s_mov_b32 exec_lo, s50
	s_cbranch_execz .LBB144_1073
; %bb.1070:                             ;   in Loop: Header=BB144_3 Depth=1
	s_mov_b32 s50, exec_lo
	v_readlane_b32 s51, v99, 30
	s_and_b32 s51, s50, s51
	s_delay_alu instid0(SALU_CYCLE_1)
	s_mov_b32 exec_lo, s51
; %bb.1071:                             ;   in Loop: Header=BB144_3 Depth=1
	ds_store_b64 v76, v[20:21]
; %bb.1072:                             ;   in Loop: Header=BB144_3 Depth=1
	s_or_b32 exec_lo, exec_lo, s50
.LBB144_1073:                           ;   in Loop: Header=BB144_3 Depth=1
	s_and_not1_saveexec_b32 s12, s12
	s_cbranch_execz .LBB144_1075
; %bb.1074:                             ;   in Loop: Header=BB144_3 Depth=1
	v_lshl_add_u64 v[36:37], v[12:13], 3, v[34:35]
	flat_load_b64 v[36:37], v[36:37]
	s_wait_loadcnt_dscnt 0x0
	v_div_scale_f64 v[38:39], null, v[36:37], v[36:37], 1.0
	s_delay_alu instid0(VALU_DEP_1) | instskip(SKIP_1) | instid1(TRANS32_DEP_1)
	v_rcp_f64_e32 v[40:41], v[38:39]
	v_nop
	v_fma_f64 v[94:95], -v[38:39], v[40:41], 1.0
	s_delay_alu instid0(VALU_DEP_1) | instskip(NEXT) | instid1(VALU_DEP_1)
	v_fmac_f64_e32 v[40:41], v[40:41], v[94:95]
	v_fma_f64 v[94:95], -v[38:39], v[40:41], 1.0
	s_delay_alu instid0(VALU_DEP_1) | instskip(SKIP_1) | instid1(VALU_DEP_1)
	v_fmac_f64_e32 v[40:41], v[40:41], v[94:95]
	v_div_scale_f64 v[94:95], vcc_lo, 1.0, v[36:37], 1.0
	v_mul_f64_e32 v[96:97], v[94:95], v[40:41]
	s_delay_alu instid0(VALU_DEP_1) | instskip(NEXT) | instid1(VALU_DEP_1)
	v_fma_f64 v[38:39], -v[38:39], v[96:97], v[94:95]
	v_div_fmas_f64 v[38:39], v[38:39], v[40:41], v[96:97]
	s_delay_alu instid0(VALU_DEP_1)
	v_div_fixup_f64 v[36:37], v[38:39], v[36:37], 1.0
	ds_store_b64 v76, v[36:37]
.LBB144_1075:                           ;   in Loop: Header=BB144_3 Depth=1
	s_or_b32 exec_lo, exec_lo, s12
	s_and_not1_saveexec_b32 s10, s10
	s_cbranch_execz .LBB144_18
.LBB144_1076:                           ;   in Loop: Header=BB144_3 Depth=1
	v_lshl_add_u64 v[36:37], v[12:13], 3, v[34:35]
	flat_load_b64 v[36:37], v[36:37]
	s_wait_loadcnt_dscnt 0x0
	v_xor_b32_e32 v37, 0x80000000, v37
	ds_store_b64 v76, v[36:37]
	s_or_b32 exec_lo, exec_lo, s10
	s_and_saveexec_b32 s10, s8
	s_delay_alu instid0(SALU_CYCLE_1)
	s_xor_b32 s10, exec_lo, s10
	s_cbranch_execz .LBB144_19
.LBB144_1077:                           ;   in Loop: Header=BB144_3 Depth=1
	s_mov_b32 s12, exec_lo
	v_readlane_b32 s50, v100, 23
	s_and_b32 s50, s12, s50
	s_delay_alu instid0(SALU_CYCLE_1)
	s_xor_b32 s12, s50, s12
	s_mov_b32 exec_lo, s50
	s_cbranch_execz .LBB144_1081
; %bb.1078:                             ;   in Loop: Header=BB144_3 Depth=1
	s_mov_b32 s50, exec_lo
	v_readlane_b32 s51, v99, 31
	s_and_b32 s51, s50, s51
	s_delay_alu instid0(SALU_CYCLE_1)
	s_mov_b32 exec_lo, s51
; %bb.1079:                             ;   in Loop: Header=BB144_3 Depth=1
	ds_store_b64 v78, v[20:21]
; %bb.1080:                             ;   in Loop: Header=BB144_3 Depth=1
	s_or_b32 exec_lo, exec_lo, s50
.LBB144_1081:                           ;   in Loop: Header=BB144_3 Depth=1
	s_and_not1_saveexec_b32 s12, s12
	s_cbranch_execz .LBB144_1083
; %bb.1082:                             ;   in Loop: Header=BB144_3 Depth=1
	v_lshl_add_u64 v[36:37], v[14:15], 3, v[34:35]
	flat_load_b64 v[36:37], v[36:37]
	s_wait_loadcnt_dscnt 0x0
	v_div_scale_f64 v[38:39], null, v[36:37], v[36:37], 1.0
	s_delay_alu instid0(VALU_DEP_1) | instskip(SKIP_1) | instid1(TRANS32_DEP_1)
	v_rcp_f64_e32 v[40:41], v[38:39]
	v_nop
	v_fma_f64 v[94:95], -v[38:39], v[40:41], 1.0
	s_delay_alu instid0(VALU_DEP_1) | instskip(NEXT) | instid1(VALU_DEP_1)
	v_fmac_f64_e32 v[40:41], v[40:41], v[94:95]
	v_fma_f64 v[94:95], -v[38:39], v[40:41], 1.0
	s_delay_alu instid0(VALU_DEP_1) | instskip(SKIP_1) | instid1(VALU_DEP_1)
	v_fmac_f64_e32 v[40:41], v[40:41], v[94:95]
	v_div_scale_f64 v[94:95], vcc_lo, 1.0, v[36:37], 1.0
	v_mul_f64_e32 v[96:97], v[94:95], v[40:41]
	s_delay_alu instid0(VALU_DEP_1) | instskip(NEXT) | instid1(VALU_DEP_1)
	v_fma_f64 v[38:39], -v[38:39], v[96:97], v[94:95]
	v_div_fmas_f64 v[38:39], v[38:39], v[40:41], v[96:97]
	s_delay_alu instid0(VALU_DEP_1)
	v_div_fixup_f64 v[36:37], v[38:39], v[36:37], 1.0
	ds_store_b64 v78, v[36:37]
.LBB144_1083:                           ;   in Loop: Header=BB144_3 Depth=1
	s_or_b32 exec_lo, exec_lo, s12
	s_and_not1_saveexec_b32 s10, s10
	s_cbranch_execz .LBB144_20
.LBB144_1084:                           ;   in Loop: Header=BB144_3 Depth=1
	v_lshl_add_u64 v[36:37], v[14:15], 3, v[34:35]
	flat_load_b64 v[36:37], v[36:37]
	s_wait_loadcnt_dscnt 0x0
	v_xor_b32_e32 v37, 0x80000000, v37
	ds_store_b64 v78, v[36:37]
	s_or_b32 exec_lo, exec_lo, s10
	s_and_saveexec_b32 s10, s9
	s_delay_alu instid0(SALU_CYCLE_1)
	s_xor_b32 s10, exec_lo, s10
	s_cbranch_execz .LBB144_21
.LBB144_1085:                           ;   in Loop: Header=BB144_3 Depth=1
	s_mov_b32 s12, exec_lo
	v_readlane_b32 s50, v100, 25
	s_and_b32 s50, s12, s50
	s_delay_alu instid0(SALU_CYCLE_1)
	s_xor_b32 s12, s50, s12
	s_mov_b32 exec_lo, s50
	s_cbranch_execz .LBB144_1089
; %bb.1086:                             ;   in Loop: Header=BB144_3 Depth=1
	s_mov_b32 s50, exec_lo
	v_readlane_b32 s51, v98, 0
	s_and_b32 s51, s50, s51
	s_delay_alu instid0(SALU_CYCLE_1)
	s_mov_b32 exec_lo, s51
; %bb.1087:                             ;   in Loop: Header=BB144_3 Depth=1
	ds_store_b64 v80, v[20:21]
; %bb.1088:                             ;   in Loop: Header=BB144_3 Depth=1
	s_or_b32 exec_lo, exec_lo, s50
.LBB144_1089:                           ;   in Loop: Header=BB144_3 Depth=1
	s_and_not1_saveexec_b32 s12, s12
	s_cbranch_execz .LBB144_1091
; %bb.1090:                             ;   in Loop: Header=BB144_3 Depth=1
	v_lshl_add_u64 v[36:37], v[16:17], 3, v[34:35]
	flat_load_b64 v[36:37], v[36:37]
	s_wait_loadcnt_dscnt 0x0
	v_div_scale_f64 v[38:39], null, v[36:37], v[36:37], 1.0
	s_delay_alu instid0(VALU_DEP_1) | instskip(SKIP_1) | instid1(TRANS32_DEP_1)
	v_rcp_f64_e32 v[40:41], v[38:39]
	v_nop
	v_fma_f64 v[94:95], -v[38:39], v[40:41], 1.0
	s_delay_alu instid0(VALU_DEP_1) | instskip(NEXT) | instid1(VALU_DEP_1)
	v_fmac_f64_e32 v[40:41], v[40:41], v[94:95]
	v_fma_f64 v[94:95], -v[38:39], v[40:41], 1.0
	s_delay_alu instid0(VALU_DEP_1) | instskip(SKIP_1) | instid1(VALU_DEP_1)
	v_fmac_f64_e32 v[40:41], v[40:41], v[94:95]
	v_div_scale_f64 v[94:95], vcc_lo, 1.0, v[36:37], 1.0
	v_mul_f64_e32 v[96:97], v[94:95], v[40:41]
	s_delay_alu instid0(VALU_DEP_1) | instskip(NEXT) | instid1(VALU_DEP_1)
	v_fma_f64 v[38:39], -v[38:39], v[96:97], v[94:95]
	v_div_fmas_f64 v[38:39], v[38:39], v[40:41], v[96:97]
	s_delay_alu instid0(VALU_DEP_1)
	v_div_fixup_f64 v[36:37], v[38:39], v[36:37], 1.0
	ds_store_b64 v80, v[36:37]
.LBB144_1091:                           ;   in Loop: Header=BB144_3 Depth=1
	s_or_b32 exec_lo, exec_lo, s12
	s_and_not1_saveexec_b32 s10, s10
	s_cbranch_execnz .LBB144_22
	s_branch .LBB144_23
.LBB144_1092:                           ;   in Loop: Header=BB144_3 Depth=1
	ds_load_b64 v[30:31], v91
	ds_load_b64 v[36:37], v81
	s_wait_dscnt 0x0
	v_fma_f64 v[30:31], v[30:31], v[36:37], 0
	s_or_b32 exec_lo, exec_lo, s10
	s_and_saveexec_b32 s10, s7
	s_cbranch_execz .LBB144_1031
.LBB144_1093:                           ;   in Loop: Header=BB144_3 Depth=1
	ds_load_b64 v[36:37], v91 offset:8192
	ds_load_b64 v[38:39], v81 offset:128
	s_wait_dscnt 0x0
	v_fmac_f64_e32 v[30:31], v[36:37], v[38:39]
	s_or_b32 exec_lo, exec_lo, s10
	s_and_saveexec_b32 s10, s8
	s_cbranch_execz .LBB144_1032
.LBB144_1094:                           ;   in Loop: Header=BB144_3 Depth=1
	ds_load_b64 v[36:37], v91 offset:16384
	ds_load_b64 v[38:39], v81 offset:256
	s_wait_dscnt 0x0
	v_fmac_f64_e32 v[30:31], v[36:37], v[38:39]
	s_or_b32 exec_lo, exec_lo, s10
	s_and_saveexec_b32 s10, s9
	s_cbranch_execnz .LBB144_1033
	s_branch .LBB144_1034
.LBB144_1095:                           ;   in Loop: Header=BB144_3 Depth=1
	s_or_b32 exec_lo, exec_lo, s85
	s_delay_alu instid0(SALU_CYCLE_1)
	s_and_b32 vcc_lo, exec_lo, s10
	s_cbranch_vccnz .LBB144_1037
.LBB144_1096:                           ;   in Loop: Header=BB144_3 Depth=1
	s_delay_alu instid0(VALU_DEP_1)
	v_mov_b64_e32 v[34:35], v[36:37]
	s_and_saveexec_b32 s10, s84
	s_cbranch_execnz .LBB144_1058
	s_branch .LBB144_1059
.LBB144_1097:                           ;   in Loop: Header=BB144_3 Depth=1
	s_and_not1_b32 s12, s84, exec_lo
	s_and_b32 s50, s2, exec_lo
	s_delay_alu instid0(SALU_CYCLE_1)
	s_or_b32 s84, s12, s50
	s_cbranch_execnz .LBB144_1057
.LBB144_1098:                           ;   in Loop: Header=BB144_3 Depth=1
	v_readlane_b32 s12, v100, 10
	s_and_not1_b32 s10, s84, exec_lo
	s_and_b32 s12, s12, exec_lo
	s_delay_alu instid0(SALU_CYCLE_1) | instskip(NEXT) | instid1(SALU_CYCLE_1)
	s_or_b32 s84, s10, s12
	s_and_saveexec_b32 s10, s84
	s_cbranch_execnz .LBB144_1058
	s_branch .LBB144_1059
.LBB144_1099:                           ;   in Loop: Header=BB144_3 Depth=1
	ds_load_b64 v[36:37], v51 offset:544
	ds_load_b64 v[38:39], v46 offset:8
	s_wait_dscnt 0x0
	v_fmac_f64_e32 v[34:35], v[36:37], v[38:39]
	s_or_b32 exec_lo, exec_lo, s12
	s_and_saveexec_b32 s12, s17
	s_cbranch_execz .LBB144_88
.LBB144_1100:                           ;   in Loop: Header=BB144_3 Depth=1
	ds_load_b64 v[36:37], v50 offset:1056
	ds_load_b64 v[38:39], v46 offset:16
	s_wait_dscnt 0x0
	v_fmac_f64_e32 v[34:35], v[36:37], v[38:39]
	s_or_b32 exec_lo, exec_lo, s12
	s_and_saveexec_b32 s12, s1
	s_cbranch_execnz .LBB144_89
	s_branch .LBB144_90
.LBB144_1101:                           ;   in Loop: Header=BB144_3 Depth=1
	ds_load_b64 v[36:37], v60 offset:576
	ds_load_b64 v[38:39], v55 offset:8
	s_wait_dscnt 0x0
	v_fmac_f64_e32 v[34:35], v[36:37], v[38:39]
	s_or_b32 exec_lo, exec_lo, s12
	s_and_saveexec_b32 s12, s19
	s_cbranch_execz .LBB144_130
.LBB144_1102:                           ;   in Loop: Header=BB144_3 Depth=1
	ds_load_b64 v[36:37], v60 offset:1088
	ds_load_b64 v[38:39], v55 offset:16
	s_wait_dscnt 0x0
	v_fmac_f64_e32 v[34:35], v[36:37], v[38:39]
	s_or_b32 exec_lo, exec_lo, s12
	s_and_saveexec_b32 s12, s20
	s_cbranch_execz .LBB144_131
.LBB144_1103:                           ;   in Loop: Header=BB144_3 Depth=1
	ds_load_b64 v[36:37], v60 offset:1600
	ds_load_b64 v[38:39], v55 offset:24
	s_wait_dscnt 0x0
	v_fmac_f64_e32 v[34:35], v[36:37], v[38:39]
	s_or_b32 exec_lo, exec_lo, s12
	s_and_saveexec_b32 s12, s21
	s_cbranch_execz .LBB144_132
.LBB144_1104:                           ;   in Loop: Header=BB144_3 Depth=1
	ds_load_b64 v[36:37], v59 offset:2112
	ds_load_b64 v[38:39], v55 offset:32
	s_wait_dscnt 0x0
	v_fmac_f64_e32 v[34:35], v[36:37], v[38:39]
	s_or_b32 exec_lo, exec_lo, s12
	s_and_saveexec_b32 s12, s22
	s_cbranch_execz .LBB144_133
.LBB144_1105:                           ;   in Loop: Header=BB144_3 Depth=1
	ds_load_b64 v[36:37], v60 offset:2624
	ds_load_b64 v[38:39], v55 offset:40
	s_wait_dscnt 0x0
	v_fmac_f64_e32 v[34:35], v[36:37], v[38:39]
	s_or_b32 exec_lo, exec_lo, s12
	s_and_saveexec_b32 s12, s3
	s_cbranch_execz .LBB144_134
.LBB144_1106:                           ;   in Loop: Header=BB144_3 Depth=1
	ds_load_b64 v[36:37], v59 offset:3136
	ds_load_b64 v[38:39], v55 offset:48
	s_wait_dscnt 0x0
	v_fmac_f64_e32 v[34:35], v[36:37], v[38:39]
	s_or_b32 exec_lo, exec_lo, s12
	s_and_saveexec_b32 s12, s17
	s_cbranch_execnz .LBB144_135
	s_branch .LBB144_136
.LBB144_1107:                           ;   in Loop: Header=BB144_3 Depth=1
	ds_load_b64 v[36:37], v51 offset:4704
	ds_load_b64 v[38:39], v46 offset:4168
	s_wait_dscnt 0x0
	v_fmac_f64_e32 v[34:35], v[36:37], v[38:39]
	s_or_b32 exec_lo, exec_lo, s12
	s_and_saveexec_b32 s12, s17
	s_cbranch_execz .LBB144_192
.LBB144_1108:                           ;   in Loop: Header=BB144_3 Depth=1
	ds_load_b64 v[36:37], v50 offset:5216
	ds_load_b64 v[38:39], v46 offset:4176
	s_wait_dscnt 0x0
	v_fmac_f64_e32 v[34:35], v[36:37], v[38:39]
	s_or_b32 exec_lo, exec_lo, s12
	s_and_saveexec_b32 s12, s1
	s_cbranch_execnz .LBB144_193
	s_branch .LBB144_194
.LBB144_1109:                           ;   in Loop: Header=BB144_3 Depth=1
	ds_load_b64 v[36:37], v67 offset:5760
	ds_load_b64 v[38:39], v62 offset:88
	s_wait_dscnt 0x0
	v_fmac_f64_e32 v[34:35], v[36:37], v[38:39]
	s_or_b32 exec_lo, exec_lo, s10
	s_and_saveexec_b32 s10, s4
	s_cbranch_execz .LBB144_254
.LBB144_1110:                           ;   in Loop: Header=BB144_3 Depth=1
	ds_load_b64 v[36:37], v66 offset:6272
	ds_load_b64 v[38:39], v62 offset:96
	s_wait_dscnt 0x0
	v_fmac_f64_e32 v[34:35], v[36:37], v[38:39]
	s_or_b32 exec_lo, exec_lo, s10
	s_and_saveexec_b32 s10, s19
	s_cbranch_execz .LBB144_255
.LBB144_1111:                           ;   in Loop: Header=BB144_3 Depth=1
	ds_load_b64 v[36:37], v67 offset:6784
	ds_load_b64 v[38:39], v62 offset:104
	s_wait_dscnt 0x0
	v_fmac_f64_e32 v[34:35], v[36:37], v[38:39]
	s_or_b32 exec_lo, exec_lo, s10
	s_and_saveexec_b32 s10, s21
	s_cbranch_execz .LBB144_256
.LBB144_1112:                           ;   in Loop: Header=BB144_3 Depth=1
	ds_load_b64 v[36:37], v66 offset:7296
	ds_load_b64 v[38:39], v62 offset:112
	s_wait_dscnt 0x0
	v_fmac_f64_e32 v[34:35], v[36:37], v[38:39]
	s_or_b32 exec_lo, exec_lo, s10
	s_and_saveexec_b32 s10, s3
	s_cbranch_execnz .LBB144_257
	s_branch .LBB144_258
.LBB144_1113:                           ;   in Loop: Header=BB144_3 Depth=1
	ds_load_b64 v[36:37], v51 offset:8864
	ds_load_b64 v[38:39], v46 offset:8328
	s_wait_dscnt 0x0
	v_fmac_f64_e32 v[34:35], v[36:37], v[38:39]
	s_or_b32 exec_lo, exec_lo, s12
	s_and_saveexec_b32 s12, s17
	s_cbranch_execz .LBB144_346
.LBB144_1114:                           ;   in Loop: Header=BB144_3 Depth=1
	ds_load_b64 v[36:37], v50 offset:9376
	ds_load_b64 v[38:39], v46 offset:8336
	s_wait_dscnt 0x0
	v_fmac_f64_e32 v[34:35], v[36:37], v[38:39]
	s_or_b32 exec_lo, exec_lo, s12
	s_and_saveexec_b32 s12, s1
	s_cbranch_execnz .LBB144_347
	s_branch .LBB144_348
.LBB144_1115:                           ;   in Loop: Header=BB144_3 Depth=1
	ds_load_b64 v[36:37], v60 offset:8896
	ds_load_b64 v[38:39], v55 offset:8328
	s_wait_dscnt 0x0
	v_fmac_f64_e32 v[34:35], v[36:37], v[38:39]
	s_or_b32 exec_lo, exec_lo, s12
	s_and_saveexec_b32 s12, s19
	s_cbranch_execz .LBB144_388
.LBB144_1116:                           ;   in Loop: Header=BB144_3 Depth=1
	ds_load_b64 v[36:37], v60 offset:9408
	ds_load_b64 v[38:39], v55 offset:8336
	s_wait_dscnt 0x0
	v_fmac_f64_e32 v[34:35], v[36:37], v[38:39]
	s_or_b32 exec_lo, exec_lo, s12
	s_and_saveexec_b32 s12, s20
	s_cbranch_execz .LBB144_389
.LBB144_1117:                           ;   in Loop: Header=BB144_3 Depth=1
	ds_load_b64 v[36:37], v60 offset:9920
	ds_load_b64 v[38:39], v55 offset:8344
	s_wait_dscnt 0x0
	v_fmac_f64_e32 v[34:35], v[36:37], v[38:39]
	s_or_b32 exec_lo, exec_lo, s12
	s_and_saveexec_b32 s12, s21
	s_cbranch_execz .LBB144_390
.LBB144_1118:                           ;   in Loop: Header=BB144_3 Depth=1
	ds_load_b64 v[36:37], v59 offset:10432
	ds_load_b64 v[38:39], v55 offset:8352
	s_wait_dscnt 0x0
	v_fmac_f64_e32 v[34:35], v[36:37], v[38:39]
	s_or_b32 exec_lo, exec_lo, s12
	s_and_saveexec_b32 s12, s22
	s_cbranch_execz .LBB144_391
.LBB144_1119:                           ;   in Loop: Header=BB144_3 Depth=1
	ds_load_b64 v[36:37], v60 offset:10944
	ds_load_b64 v[38:39], v55 offset:8360
	s_wait_dscnt 0x0
	v_fmac_f64_e32 v[34:35], v[36:37], v[38:39]
	s_or_b32 exec_lo, exec_lo, s12
	s_and_saveexec_b32 s12, s3
	s_cbranch_execz .LBB144_392
.LBB144_1120:                           ;   in Loop: Header=BB144_3 Depth=1
	ds_load_b64 v[36:37], v59 offset:11456
	ds_load_b64 v[38:39], v55 offset:8368
	s_wait_dscnt 0x0
	v_fmac_f64_e32 v[34:35], v[36:37], v[38:39]
	s_or_b32 exec_lo, exec_lo, s12
	s_and_saveexec_b32 s12, s17
	s_cbranch_execnz .LBB144_393
	s_branch .LBB144_394
.LBB144_1121:                           ;   in Loop: Header=BB144_3 Depth=1
	ds_load_b64 v[36:37], v51 offset:13024
	ds_load_b64 v[38:39], v46 offset:12488
	s_wait_dscnt 0x0
	v_fmac_f64_e32 v[34:35], v[36:37], v[38:39]
	s_or_b32 exec_lo, exec_lo, s12
	s_and_saveexec_b32 s12, s17
	s_cbranch_execz .LBB144_450
.LBB144_1122:                           ;   in Loop: Header=BB144_3 Depth=1
	ds_load_b64 v[36:37], v50 offset:13536
	ds_load_b64 v[38:39], v46 offset:12496
	s_wait_dscnt 0x0
	v_fmac_f64_e32 v[34:35], v[36:37], v[38:39]
	s_or_b32 exec_lo, exec_lo, s12
	s_and_saveexec_b32 s12, s1
	s_cbranch_execnz .LBB144_451
	s_branch .LBB144_452
.LBB144_1123:                           ;   in Loop: Header=BB144_3 Depth=1
	ds_load_b64 v[38:39], v87 offset:15104
	ds_load_b64 v[40:41], v36 offset:232
	s_wait_dscnt 0x0
	v_fmac_f64_e32 v[34:35], v[38:39], v[40:41]
	s_or_b32 exec_lo, exec_lo, s10
	s_and_saveexec_b32 s10, s4
	s_cbranch_execz .LBB144_548
.LBB144_1124:                           ;   in Loop: Header=BB144_3 Depth=1
	ds_load_b64 v[38:39], v87 offset:15616
	ds_load_b64 v[36:37], v36 offset:240
	s_wait_dscnt 0x0
	v_fmac_f64_e32 v[34:35], v[38:39], v[36:37]
	s_or_b32 exec_lo, exec_lo, s10
	s_and_saveexec_b32 s10, s21
	s_cbranch_execnz .LBB144_549
	s_branch .LBB144_550
.LBB144_1125:                           ;   in Loop: Header=BB144_3 Depth=1
	ds_load_b64 v[36:37], v51 offset:17184
	ds_load_b64 v[38:39], v46 offset:16648
	s_wait_dscnt 0x0
	v_fmac_f64_e32 v[34:35], v[36:37], v[38:39]
	s_or_b32 exec_lo, exec_lo, s12
	s_and_saveexec_b32 s12, s17
	s_cbranch_execz .LBB144_594
.LBB144_1126:                           ;   in Loop: Header=BB144_3 Depth=1
	ds_load_b64 v[36:37], v50 offset:17696
	ds_load_b64 v[38:39], v46 offset:16656
	s_wait_dscnt 0x0
	v_fmac_f64_e32 v[34:35], v[36:37], v[38:39]
	s_or_b32 exec_lo, exec_lo, s12
	s_and_saveexec_b32 s12, s1
	s_cbranch_execnz .LBB144_595
	s_branch .LBB144_596
.LBB144_1127:                           ;   in Loop: Header=BB144_3 Depth=1
	ds_load_b64 v[36:37], v60 offset:17216
	ds_load_b64 v[38:39], v55 offset:16648
	s_wait_dscnt 0x0
	v_fmac_f64_e32 v[34:35], v[36:37], v[38:39]
	s_or_b32 exec_lo, exec_lo, s12
	s_and_saveexec_b32 s12, s19
	s_cbranch_execz .LBB144_636
.LBB144_1128:                           ;   in Loop: Header=BB144_3 Depth=1
	ds_load_b64 v[36:37], v60 offset:17728
	ds_load_b64 v[38:39], v55 offset:16656
	s_wait_dscnt 0x0
	v_fmac_f64_e32 v[34:35], v[36:37], v[38:39]
	s_or_b32 exec_lo, exec_lo, s12
	s_and_saveexec_b32 s12, s20
	s_cbranch_execz .LBB144_637
.LBB144_1129:                           ;   in Loop: Header=BB144_3 Depth=1
	ds_load_b64 v[36:37], v60 offset:18240
	ds_load_b64 v[38:39], v55 offset:16664
	s_wait_dscnt 0x0
	v_fmac_f64_e32 v[34:35], v[36:37], v[38:39]
	s_or_b32 exec_lo, exec_lo, s12
	s_and_saveexec_b32 s12, s21
	s_cbranch_execz .LBB144_638
.LBB144_1130:                           ;   in Loop: Header=BB144_3 Depth=1
	ds_load_b64 v[36:37], v59 offset:18752
	ds_load_b64 v[38:39], v55 offset:16672
	s_wait_dscnt 0x0
	v_fmac_f64_e32 v[34:35], v[36:37], v[38:39]
	s_or_b32 exec_lo, exec_lo, s12
	s_and_saveexec_b32 s12, s22
	s_cbranch_execz .LBB144_639
.LBB144_1131:                           ;   in Loop: Header=BB144_3 Depth=1
	ds_load_b64 v[36:37], v60 offset:19264
	ds_load_b64 v[38:39], v55 offset:16680
	s_wait_dscnt 0x0
	v_fmac_f64_e32 v[34:35], v[36:37], v[38:39]
	s_or_b32 exec_lo, exec_lo, s12
	s_and_saveexec_b32 s12, s3
	s_cbranch_execz .LBB144_640
.LBB144_1132:                           ;   in Loop: Header=BB144_3 Depth=1
	ds_load_b64 v[36:37], v59 offset:19776
	ds_load_b64 v[38:39], v55 offset:16688
	s_wait_dscnt 0x0
	v_fmac_f64_e32 v[34:35], v[36:37], v[38:39]
	s_or_b32 exec_lo, exec_lo, s12
	s_and_saveexec_b32 s12, s17
	s_cbranch_execnz .LBB144_641
	s_branch .LBB144_642
.LBB144_1133:                           ;   in Loop: Header=BB144_3 Depth=1
	ds_load_b64 v[36:37], v51 offset:21344
	ds_load_b64 v[38:39], v46 offset:20808
	s_wait_dscnt 0x0
	v_fmac_f64_e32 v[34:35], v[36:37], v[38:39]
	s_or_b32 exec_lo, exec_lo, s12
	s_and_saveexec_b32 s12, s17
	s_cbranch_execz .LBB144_698
.LBB144_1134:                           ;   in Loop: Header=BB144_3 Depth=1
	ds_load_b64 v[36:37], v50 offset:21856
	ds_load_b64 v[38:39], v46 offset:20816
	s_wait_dscnt 0x0
	v_fmac_f64_e32 v[34:35], v[36:37], v[38:39]
	s_or_b32 exec_lo, exec_lo, s12
	s_and_saveexec_b32 s12, s1
	s_cbranch_execnz .LBB144_699
	s_branch .LBB144_700
.LBB144_1135:                           ;   in Loop: Header=BB144_3 Depth=1
	ds_load_b64 v[36:37], v67 offset:22400
	ds_load_b64 v[38:39], v62 offset:16728
	s_wait_dscnt 0x0
	v_fmac_f64_e32 v[34:35], v[36:37], v[38:39]
	s_or_b32 exec_lo, exec_lo, s10
	s_and_saveexec_b32 s10, s4
	s_cbranch_execz .LBB144_760
.LBB144_1136:                           ;   in Loop: Header=BB144_3 Depth=1
	ds_load_b64 v[36:37], v66 offset:22912
	ds_load_b64 v[38:39], v62 offset:16736
	s_wait_dscnt 0x0
	v_fmac_f64_e32 v[34:35], v[36:37], v[38:39]
	s_or_b32 exec_lo, exec_lo, s10
	s_and_saveexec_b32 s10, s19
	s_cbranch_execz .LBB144_761
.LBB144_1137:                           ;   in Loop: Header=BB144_3 Depth=1
	ds_load_b64 v[36:37], v67 offset:23424
	ds_load_b64 v[38:39], v62 offset:16744
	s_wait_dscnt 0x0
	v_fmac_f64_e32 v[34:35], v[36:37], v[38:39]
	s_or_b32 exec_lo, exec_lo, s10
	s_and_saveexec_b32 s10, s21
	s_cbranch_execz .LBB144_762
.LBB144_1138:                           ;   in Loop: Header=BB144_3 Depth=1
	ds_load_b64 v[36:37], v66 offset:23936
	ds_load_b64 v[38:39], v62 offset:16752
	s_wait_dscnt 0x0
	v_fmac_f64_e32 v[34:35], v[36:37], v[38:39]
	s_or_b32 exec_lo, exec_lo, s10
	s_and_saveexec_b32 s10, s3
	s_cbranch_execnz .LBB144_763
	s_branch .LBB144_764
.LBB144_1139:                           ;   in Loop: Header=BB144_3 Depth=1
	ds_load_b64 v[36:37], v51 offset:25504
	ds_load_b64 v[38:39], v46 offset:24968
	s_wait_dscnt 0x0
	v_fmac_f64_e32 v[34:35], v[36:37], v[38:39]
	s_or_b32 exec_lo, exec_lo, s12
	s_and_saveexec_b32 s12, s17
	s_cbranch_execz .LBB144_852
.LBB144_1140:                           ;   in Loop: Header=BB144_3 Depth=1
	ds_load_b64 v[36:37], v50 offset:26016
	ds_load_b64 v[38:39], v46 offset:24976
	s_wait_dscnt 0x0
	v_fmac_f64_e32 v[34:35], v[36:37], v[38:39]
	s_or_b32 exec_lo, exec_lo, s12
	s_and_saveexec_b32 s12, s1
	s_cbranch_execnz .LBB144_853
	s_branch .LBB144_854
.LBB144_1141:                           ;   in Loop: Header=BB144_3 Depth=1
	ds_load_b64 v[36:37], v60 offset:25536
	ds_load_b64 v[38:39], v55 offset:24968
	s_wait_dscnt 0x0
	v_fmac_f64_e32 v[34:35], v[36:37], v[38:39]
	s_or_b32 exec_lo, exec_lo, s12
	s_and_saveexec_b32 s12, s19
	s_cbranch_execz .LBB144_894
.LBB144_1142:                           ;   in Loop: Header=BB144_3 Depth=1
	ds_load_b64 v[36:37], v60 offset:26048
	ds_load_b64 v[38:39], v55 offset:24976
	s_wait_dscnt 0x0
	v_fmac_f64_e32 v[34:35], v[36:37], v[38:39]
	s_or_b32 exec_lo, exec_lo, s12
	s_and_saveexec_b32 s12, s20
	s_cbranch_execz .LBB144_895
.LBB144_1143:                           ;   in Loop: Header=BB144_3 Depth=1
	ds_load_b64 v[36:37], v60 offset:26560
	ds_load_b64 v[38:39], v55 offset:24984
	s_wait_dscnt 0x0
	v_fmac_f64_e32 v[34:35], v[36:37], v[38:39]
	s_or_b32 exec_lo, exec_lo, s12
	s_and_saveexec_b32 s12, s21
	s_cbranch_execz .LBB144_896
.LBB144_1144:                           ;   in Loop: Header=BB144_3 Depth=1
	ds_load_b64 v[36:37], v59 offset:27072
	ds_load_b64 v[38:39], v55 offset:24992
	s_wait_dscnt 0x0
	v_fmac_f64_e32 v[34:35], v[36:37], v[38:39]
	s_or_b32 exec_lo, exec_lo, s12
	s_and_saveexec_b32 s12, s22
	s_cbranch_execz .LBB144_897
.LBB144_1145:                           ;   in Loop: Header=BB144_3 Depth=1
	ds_load_b64 v[36:37], v60 offset:27584
	ds_load_b64 v[38:39], v55 offset:25000
	s_wait_dscnt 0x0
	v_fmac_f64_e32 v[34:35], v[36:37], v[38:39]
	s_or_b32 exec_lo, exec_lo, s12
	s_and_saveexec_b32 s12, s3
	s_cbranch_execz .LBB144_898
.LBB144_1146:                           ;   in Loop: Header=BB144_3 Depth=1
	ds_load_b64 v[36:37], v59 offset:28096
	ds_load_b64 v[38:39], v55 offset:25008
	s_wait_dscnt 0x0
	v_fmac_f64_e32 v[34:35], v[36:37], v[38:39]
	s_or_b32 exec_lo, exec_lo, s12
	s_and_saveexec_b32 s12, s17
	s_cbranch_execnz .LBB144_899
	s_branch .LBB144_900
.LBB144_1147:                           ;   in Loop: Header=BB144_3 Depth=1
	ds_load_b64 v[36:37], v51 offset:29664
	ds_load_b64 v[38:39], v46 offset:29128
	s_wait_dscnt 0x0
	v_fmac_f64_e32 v[34:35], v[36:37], v[38:39]
	s_or_b32 exec_lo, exec_lo, s12
	s_and_saveexec_b32 s12, s17
	s_cbranch_execz .LBB144_956
.LBB144_1148:                           ;   in Loop: Header=BB144_3 Depth=1
	ds_load_b64 v[36:37], v50 offset:30176
	ds_load_b64 v[38:39], v46 offset:29136
	s_wait_dscnt 0x0
	v_fmac_f64_e32 v[34:35], v[36:37], v[38:39]
	s_or_b32 exec_lo, exec_lo, s12
	s_and_saveexec_b32 s12, s1
	s_cbranch_execnz .LBB144_957
	s_branch .LBB144_958
.LBB144_1149:
	s_endpgm
	.section	.rodata,"a",@progbits
	.p2align	6, 0x0
	.amdhsa_kernel _ZL19rocblas_trsv_deviceILi64ELi16ELb1ELb1ELb1ELb0EddPKPKdPKPdEviT7_lllT6_T8_lllPii
		.amdhsa_group_segment_fixed_size 41480
		.amdhsa_private_segment_fixed_size 0
		.amdhsa_kernarg_size 352
		.amdhsa_user_sgpr_count 2
		.amdhsa_user_sgpr_dispatch_ptr 0
		.amdhsa_user_sgpr_queue_ptr 0
		.amdhsa_user_sgpr_kernarg_segment_ptr 1
		.amdhsa_user_sgpr_dispatch_id 0
		.amdhsa_user_sgpr_kernarg_preload_length 0
		.amdhsa_user_sgpr_kernarg_preload_offset 0
		.amdhsa_user_sgpr_private_segment_size 0
		.amdhsa_wavefront_size32 1
		.amdhsa_uses_dynamic_stack 0
		.amdhsa_enable_private_segment 0
		.amdhsa_system_sgpr_workgroup_id_x 1
		.amdhsa_system_sgpr_workgroup_id_y 0
		.amdhsa_system_sgpr_workgroup_id_z 1
		.amdhsa_system_sgpr_workgroup_info 0
		.amdhsa_system_vgpr_workitem_id 1
		.amdhsa_next_free_vgpr 101
		.amdhsa_next_free_sgpr 105
		.amdhsa_named_barrier_count 0
		.amdhsa_reserve_vcc 1
		.amdhsa_float_round_mode_32 0
		.amdhsa_float_round_mode_16_64 0
		.amdhsa_float_denorm_mode_32 3
		.amdhsa_float_denorm_mode_16_64 3
		.amdhsa_fp16_overflow 0
		.amdhsa_memory_ordered 1
		.amdhsa_forward_progress 1
		.amdhsa_inst_pref_size 255
		.amdhsa_round_robin_scheduling 0
		.amdhsa_exception_fp_ieee_invalid_op 0
		.amdhsa_exception_fp_denorm_src 0
		.amdhsa_exception_fp_ieee_div_zero 0
		.amdhsa_exception_fp_ieee_overflow 0
		.amdhsa_exception_fp_ieee_underflow 0
		.amdhsa_exception_fp_ieee_inexact 0
		.amdhsa_exception_int_div_zero 0
	.end_amdhsa_kernel
	.section	.text._ZL19rocblas_trsv_deviceILi64ELi16ELb1ELb1ELb1ELb0EddPKPKdPKPdEviT7_lllT6_T8_lllPii,"axG",@progbits,_ZL19rocblas_trsv_deviceILi64ELi16ELb1ELb1ELb1ELb0EddPKPKdPKPdEviT7_lllT6_T8_lllPii,comdat
.Lfunc_end144:
	.size	_ZL19rocblas_trsv_deviceILi64ELi16ELb1ELb1ELb1ELb0EddPKPKdPKPdEviT7_lllT6_T8_lllPii, .Lfunc_end144-_ZL19rocblas_trsv_deviceILi64ELi16ELb1ELb1ELb1ELb0EddPKPKdPKPdEviT7_lllT6_T8_lllPii
                                        ; -- End function
	.set _ZL19rocblas_trsv_deviceILi64ELi16ELb1ELb1ELb1ELb0EddPKPKdPKPdEviT7_lllT6_T8_lllPii.num_vgpr, 101
	.set _ZL19rocblas_trsv_deviceILi64ELi16ELb1ELb1ELb1ELb0EddPKPKdPKPdEviT7_lllT6_T8_lllPii.num_agpr, 0
	.set _ZL19rocblas_trsv_deviceILi64ELi16ELb1ELb1ELb1ELb0EddPKPKdPKPdEviT7_lllT6_T8_lllPii.numbered_sgpr, 105
	.set _ZL19rocblas_trsv_deviceILi64ELi16ELb1ELb1ELb1ELb0EddPKPKdPKPdEviT7_lllT6_T8_lllPii.num_named_barrier, 0
	.set _ZL19rocblas_trsv_deviceILi64ELi16ELb1ELb1ELb1ELb0EddPKPKdPKPdEviT7_lllT6_T8_lllPii.private_seg_size, 0
	.set _ZL19rocblas_trsv_deviceILi64ELi16ELb1ELb1ELb1ELb0EddPKPKdPKPdEviT7_lllT6_T8_lllPii.uses_vcc, 1
	.set _ZL19rocblas_trsv_deviceILi64ELi16ELb1ELb1ELb1ELb0EddPKPKdPKPdEviT7_lllT6_T8_lllPii.uses_flat_scratch, 0
	.set _ZL19rocblas_trsv_deviceILi64ELi16ELb1ELb1ELb1ELb0EddPKPKdPKPdEviT7_lllT6_T8_lllPii.has_dyn_sized_stack, 0
	.set _ZL19rocblas_trsv_deviceILi64ELi16ELb1ELb1ELb1ELb0EddPKPKdPKPdEviT7_lllT6_T8_lllPii.has_recursion, 0
	.set _ZL19rocblas_trsv_deviceILi64ELi16ELb1ELb1ELb1ELb0EddPKPKdPKPdEviT7_lllT6_T8_lllPii.has_indirect_call, 0
	.section	.AMDGPU.csdata,"",@progbits
; Kernel info:
; codeLenInByte = 35700
; TotalNumSgprs: 107
; NumVgprs: 101
; ScratchSize: 0
; MemoryBound: 0
; FloatMode: 240
; IeeeMode: 1
; LDSByteSize: 41480 bytes/workgroup (compile time only)
; SGPRBlocks: 0
; VGPRBlocks: 6
; NumSGPRsForWavesPerEU: 107
; NumVGPRsForWavesPerEU: 101
; NamedBarCnt: 0
; Occupancy: 9
; WaveLimiterHint : 1
; COMPUTE_PGM_RSRC2:SCRATCH_EN: 0
; COMPUTE_PGM_RSRC2:USER_SGPR: 2
; COMPUTE_PGM_RSRC2:TRAP_HANDLER: 0
; COMPUTE_PGM_RSRC2:TGID_X_EN: 1
; COMPUTE_PGM_RSRC2:TGID_Y_EN: 0
; COMPUTE_PGM_RSRC2:TGID_Z_EN: 1
; COMPUTE_PGM_RSRC2:TIDIG_COMP_CNT: 1
	.section	.text._ZL19rocblas_trsv_deviceILi64ELi16ELb0ELb0ELb0ELb1E19rocblas_complex_numIfEPKS1_PKS3_PKPS1_EviT7_lllT6_T8_lllPii,"axG",@progbits,_ZL19rocblas_trsv_deviceILi64ELi16ELb0ELb0ELb0ELb1E19rocblas_complex_numIfEPKS1_PKS3_PKPS1_EviT7_lllT6_T8_lllPii,comdat
	.globl	_ZL19rocblas_trsv_deviceILi64ELi16ELb0ELb0ELb0ELb1E19rocblas_complex_numIfEPKS1_PKS3_PKPS1_EviT7_lllT6_T8_lllPii ; -- Begin function _ZL19rocblas_trsv_deviceILi64ELi16ELb0ELb0ELb0ELb1E19rocblas_complex_numIfEPKS1_PKS3_PKPS1_EviT7_lllT6_T8_lllPii
	.p2align	8
	.type	_ZL19rocblas_trsv_deviceILi64ELi16ELb0ELb0ELb0ELb1E19rocblas_complex_numIfEPKS1_PKS3_PKPS1_EviT7_lllT6_T8_lllPii,@function
_ZL19rocblas_trsv_deviceILi64ELi16ELb0ELb0ELb0ELb1E19rocblas_complex_numIfEPKS1_PKS3_PKPS1_EviT7_lllT6_T8_lllPii: ; @_ZL19rocblas_trsv_deviceILi64ELi16ELb0ELb0ELb0ELb1E19rocblas_complex_numIfEPKS1_PKS3_PKPS1_EviT7_lllT6_T8_lllPii
; %bb.0:
	s_load_b32 s67, s[0:1], 0x58
	s_bfe_u32 s2, ttmp6, 0x40014
	s_lshr_b32 s3, ttmp7, 16
	s_add_co_i32 s2, s2, 1
	s_bfe_u32 s5, ttmp6, 0x40008
	s_mul_i32 s4, s3, s2
	s_getreg_b32 s2, hwreg(HW_REG_IB_STS2, 6, 4)
	s_add_co_i32 s5, s5, s4
	s_cmp_eq_u32 s2, 0
	s_mov_b32 s81, 0
	s_cselect_b32 s80, s3, s5
	s_wait_kmcnt 0x0
	s_cmp_ge_u32 s80, s67
	s_cbranch_scc1 .LBB145_1050
; %bb.1:
	s_clause 0x2
	s_load_b32 s3, s[0:1], 0x6c
	s_load_b32 s99, s[0:1], 0x60
	;; [unrolled: 1-line block ×3, first 2 shown]
	s_bfe_u32 s5, ttmp6, 0x4000c
	s_and_b32 s4, ttmp6, 15
	s_add_co_i32 s5, s5, 1
	s_clause 0x1
	s_load_b64 s[84:85], s[0:1], 0x18
	s_load_b128 s[76:79], s[0:1], 0x8
	s_mul_i32 s5, ttmp9, s5
	s_load_b256 s[68:75], s[0:1], 0x28
	s_add_co_i32 s4, s4, s5
	s_cmp_eq_u32 s2, 0
	s_load_b64 s[86:87], s[0:1], 0x50
	s_cselect_b32 s98, ttmp9, s4
	v_bfe_u32 v2, v0, 10, 10
	v_and_b32_e32 v4, 0x3ff, v0
	v_dual_mov_b32 v7, 0 :: v_dual_lshrrev_b32 v1, 10, v0
                                        ; implicit-def: $vgpr93 : SGPR spill to VGPR lane
                                        ; implicit-def: $vgpr92 : SGPR spill to VGPR lane
                                        ; implicit-def: $vgpr83 : SGPR spill to VGPR lane
	v_mov_b64_e32 v[32:33], 0
	s_delay_alu instid0(VALU_DEP_4)
	v_lshl_add_u32 v70, v2, 3, 0xa000
	s_wait_kmcnt 0x0
	s_and_b32 s2, s3, 0xffff
	s_add_co_i32 s99, s99, -1
	s_add_co_i32 s0, s82, -1
	s_ashr_i32 s83, s82, 31
	s_ashr_i32 s1, s0, 31
	s_lshr_b32 s3, s83, 26
	s_lshr_b32 s1, s1, 26
	s_add_co_i32 s3, s82, s3
	s_add_co_i32 s0, s0, s1
	s_and_not1_b32 s3, s3, 63
	s_sub_co_i32 s29, s99, s98
	s_ashr_i32 s0, s0, 6
	s_sub_co_i32 s14, s82, s3
	s_cmp_eq_u32 s0, s29
	v_lshl_add_u32 v36, v2, 6, v4
	s_cselect_b32 s0, -1, 0
	s_cmp_lg_u32 s14, 0
	v_bitop3_b32 v37, v0, v1, 0x3ff bitop3:0xa8
	s_cselect_b32 s1, -1, 0
	v_mad_u32_u24 v6, v2, s2, v4
	s_and_b32 s9, s1, s0
	v_cmp_gt_i32_e32 vcc_lo, s14, v4
	s_xor_b32 s100, s9, -1
	s_cmp_lg_u32 s98, 0
	v_dual_add_nc_u32 v38, 16, v2 :: v_dual_add_nc_u32 v40, 32, v2
	s_cselect_b32 s0, -1, 0
	s_lshl_b32 s10, s29, 6
	s_delay_alu instid0(SALU_CYCLE_1)
	v_dual_add_nc_u32 v15, s10, v2 :: v_dual_bitop2_b32 v3, 1, v0 bitop3:0x40
	v_lshrrev_b32_e32 v14, 1, v36
	s_ashr_i32 s11, s10, 31
	v_writelane_b32 v93, s0, 0
	s_add_nc_u64 s[0:1], s[84:85], 1
	v_add_nc_u32_e32 v12, 64, v15
	s_cmp_gt_i32 s98, 4
	s_mul_u64 s[12:13], s[0:1], s[10:11]
	s_cselect_b32 s1, -1, 0
	v_dual_add_nc_u32 v8, s10, v4 :: v_dual_lshlrev_b32 v1, 9, v14
	v_dual_ashrrev_i32 v13, 31, v12 :: v_dual_lshlrev_b32 v48, 3, v3
	s_and_b32 s102, s1, s100
	v_cmp_gt_u32_e64 s1, 4, v36
	v_cmp_eq_u32_e64 s2, 1, v3
	s_delay_alu instid0(VALU_DEP_3)
	v_mul_u64_e32 v[10:11], s[84:85], v[12:13]
	v_cmp_eq_u32_e64 s3, 0, v3
	v_and_b32_e32 v13, 3, v0
	v_lshrrev_b32_e32 v3, 2, v36
	v_dual_ashrrev_i32 v9, 31, v8 :: v_dual_sub_nc_u32 v49, 0, v1
	v_dual_lshlrev_b32 v50, 3, v4 :: v_dual_sub_nc_u32 v51, v48, v1
	s_and_b32 s103, s2, s1
	s_and_b32 s104, s3, s1
	v_cmp_gt_u32_e64 s2, 16, v36
	v_dual_lshlrev_b32 v53, 3, v13 :: v_dual_lshlrev_b32 v1, 9, v3
	v_cmp_eq_u32_e64 s3, 3, v13
	v_cmp_ne_u32_e64 s4, 3, v13
	v_lshl_add_u32 v5, v14, 3, 0x8000
	v_cmp_eq_u32_e64 s5, 2, v13
	v_dual_sub_nc_u32 v55, v53, v1 :: v_dual_bitop2_b32 v14, 7, v0 bitop3:0x40
	s_and_b32 vcc_hi, s3, s2
	v_cmp_gt_u32_e64 s3, 2, v13
	s_and_b32 s43, s4, s2
	v_cmp_eq_u32_e64 s4, 0, v13
	s_and_b32 s44, s5, s2
	v_cmp_ne_u32_e64 s5, 7, v14
	s_and_b32 s45, s3, s2
	v_cmp_gt_u32_e64 s3, 64, v36
	s_and_b32 s47, s4, s2
	v_cmp_eq_u32_e64 s4, 7, v14
	v_sub_nc_u32_e32 v54, 0, v1
	v_cmp_eq_u32_e64 s6, 1, v13
	v_lshlrev_b32_e32 v13, 6, v36
	s_and_b32 s49, s5, s3
	s_and_b32 s48, s4, s3
	v_cmp_eq_u32_e64 s4, 5, v14
	v_cmp_gt_u32_e64 s5, 5, v14
	v_lshl_add_u32 v52, v3, 3, 0x8000
	s_and_b32 s46, s6, s2
	v_and_b32_e32 v3, 0x1fff8, v36
	v_and_b32_e32 v1, 0xfffffe00, v13
	v_cmp_eq_u32_e64 s6, 6, v14
	s_and_b32 s52, s4, s3
	v_cmp_gt_u32_e64 s4, 4, v14
	s_and_b32 s53, s5, s3
	v_cmp_gt_u32_e64 s5, 3, v14
	v_add_nc_u32_e32 v56, 0x8000, v3
	v_dual_lshlrev_b32 v57, 3, v14 :: v_dual_sub_nc_u32 v58, 0, v1
	v_cmp_gt_u32_e64 s7, 6, v14
	s_and_b32 s50, s6, s3
	v_cmp_eq_u32_e64 s6, 4, v14
	s_and_b32 s55, s4, s3
	v_cmp_eq_u32_e64 s4, 2, v14
	s_and_b32 s57, s5, s3
	v_cmp_eq_u32_e64 s5, 1, v14
	v_dual_lshrrev_b32 v3, 4, v36 :: v_dual_sub_nc_u32 v59, v57, v1
	v_and_b32_e32 v13, 15, v0
	s_and_b32 s51, s7, s3
	v_cmp_eq_u32_e64 s7, 3, v14
	s_and_b32 s54, s6, s3
	v_cmp_gt_u32_e64 s6, 2, v14
	s_and_b32 s58, s4, s3
	s_and_b32 s60, s5, s3
	v_lshlrev_b32_e32 v1, 9, v3
	v_cmp_gt_u32_e64 s4, 0x100, v36
	v_cmp_eq_u32_e64 s5, 15, v13
	s_and_b32 s56, s7, s3
	v_cmp_eq_u32_e64 s7, 0, v14
	s_and_b32 s59, s6, s3
	v_cmp_ne_u32_e64 s6, 15, v13
	s_and_b32 s5, s5, s4
	v_cmp_gt_u32_e64 s8, 14, v13
	v_writelane_b32 v93, s5, 1
	s_and_b32 s61, s7, s3
	v_cmp_eq_u32_e64 s7, 14, v13
	s_and_b32 s6, s6, s4
	v_cmp_eq_u32_e64 s5, 13, v13
	v_writelane_b32 v93, s6, 2
	v_lshl_add_u32 v60, v3, 3, 0x8000
	s_and_b32 s6, s7, s4
	v_cmp_gt_u32_e64 s7, 12, v13
	s_and_b32 s5, s5, s4
	v_writelane_b32 v93, s6, 3
	s_and_b32 s6, s8, s4
	v_cmp_eq_u32_e64 s8, 11, v13
	v_dual_lshlrev_b32 v61, 3, v13 :: v_dual_lshrrev_b32 v3, 5, v36
	v_writelane_b32 v93, s6, 4
	v_cmp_gt_u32_e64 s6, 13, v13
	v_and_b32_e32 v64, 31, v0
	v_cmp_gt_i32_e64 s0, s82, v8
	v_lshlrev_b32_e32 v0, 9, v3
	v_writelane_b32 v93, s5, 5
	v_cmp_eq_u32_e64 s5, 12, v13
	s_and_b32 s6, s6, s4
	v_dual_lshlrev_b32 v66, 3, v64 :: v_dual_add_nc_u32 v74, v70, v50
	v_writelane_b32 v93, s6, 6
	s_and_b32 s5, s5, s4
	v_cmp_gt_u32_e64 s6, 11, v13
	v_dual_sub_nc_u32 v62, 0, v1 :: v_dual_sub_nc_u32 v63, v61, v1
	v_writelane_b32 v93, s5, 7
	s_and_b32 s5, s7, s4
	s_and_b32 s6, s6, s4
	v_cmp_eq_u32_e64 s7, 9, v13
	v_lshl_add_u32 v65, v3, 3, 0x8000
	v_writelane_b32 v93, s5, 8
	s_and_b32 s5, s8, s4
	v_cmp_gt_u32_e64 s8, 9, v13
	s_and_b32 s37, s7, s4
	v_cmp_gt_u32_e64 s7, 7, v13
	v_writelane_b32 v93, s5, 9
	v_cmp_eq_u32_e64 s5, 10, v13
	s_and_b32 s39, s8, s4
	v_cmp_eq_u32_e64 s8, 6, v13
	s_and_b32 s38, s7, s4
	v_writelane_b32 v93, s6, 10
	v_cmp_gt_u32_e64 s6, 10, v13
	s_and_b32 s5, s5, s4
	v_cmp_eq_u32_e64 s7, 4, v13
	s_and_b32 s21, s8, s4
	v_writelane_b32 v93, s5, 11
	v_cmp_eq_u32_e64 s5, 8, v13
	s_and_b32 s36, s6, s4
	v_cmp_gt_u32_e64 s6, 8, v13
	s_and_b32 s30, s7, s4
	v_cmp_gt_u32_e64 s7, 2, v13
	s_and_b32 s40, s5, s4
	v_cmp_eq_u32_e64 s5, 7, v13
	s_and_b32 s41, s6, s4
	v_cmp_gt_u32_e64 s6, 6, v13
	v_cmp_gt_u32_e64 s8, 4, v13
	s_and_b32 s65, s7, s4
	s_and_b32 s42, s5, s4
	v_cmp_eq_u32_e64 s5, 5, v13
	s_and_b32 s23, s6, s4
	v_cmp_gt_u32_e64 s6, 5, v13
	v_cmp_le_i32_e64 s7, s14, v4
	s_and_b32 s101, s8, s4
	s_and_b32 s26, s5, s4
	v_cmp_eq_u32_e64 s5, 3, v13
	s_and_b32 s28, s6, s4
	v_cmp_gt_u32_e64 s6, 3, v13
	v_cmp_eq_u32_e64 s8, 1, v13
	s_and_b32 s24, s7, s9
	s_and_b32 s62, s5, s4
	v_cmp_eq_u32_e64 s5, 2, v13
	s_and_b32 s63, s6, s4
	v_cmp_eq_u32_e64 s6, 0, v13
	s_and_b32 s20, s8, s4
	v_dual_sub_nc_u32 v67, 0, v0 :: v_dual_sub_nc_u32 v68, v66, v0
	s_and_b32 s64, s5, s4
	v_cmp_eq_u32_e64 s5, 0, v2
	s_and_b32 s22, s6, s4
	s_xor_b32 s6, s24, -1
	v_add_nc_u64_e32 v[0:1], s[10:11], v[6:7]
	v_dual_mov_b32 v18, 0 :: v_dual_add_nc_u32 v3, 0x50, v15
	s_and_b32 s25, s5, s6
	s_cmp_gt_i32 s98, 0
	v_cmp_gt_i32_e64 s6, s82, v12
	s_cselect_b32 s27, -1, 0
	s_and_b32 s10, s5, vcc_lo
	v_add_nc_u32_e32 v13, 0x60, v15
	v_writelane_b32 v93, s10, 12
	v_cmp_gt_i32_e64 s8, s82, v3
	s_and_b32 s6, s0, s6
	v_mbcnt_lo_u32_b32 v3, -1, 0
	v_cmp_gt_i32_e64 s9, s82, v13
	v_writelane_b32 v93, s6, 13
	s_and_b32 s6, s0, s8
	v_dual_add_nc_u32 v42, 48, v2 :: v_dual_lshlrev_b32 v19, 20, v3
	v_cmp_le_u32_e64 s11, v2, v4
	v_writelane_b32 v93, s6, 14
	s_and_b32 s6, s0, s9
	v_cmp_le_i32_e32 vcc_lo, s14, v2
	v_cmp_le_i32_e64 s8, s14, v38
	v_cmp_le_i32_e64 s9, s14, v40
	v_writelane_b32 v93, s6, 15
	v_cmp_le_i32_e64 s10, s14, v42
	s_or_b32 s6, vcc_lo, s7
	s_or_b32 s8, s8, s7
	s_or_b32 s6, s6, s11
	v_writelane_b32 v93, s11, 16
	s_or_b32 s9, s9, s7
	s_or_b32 s7, s10, s7
	v_cmp_le_u32_e64 s10, v38, v4
	v_cmp_le_u32_e64 s14, v40, v4
	v_writelane_b32 v93, s6, 17
	v_cmp_le_u32_e64 s15, v42, v4
	v_add_max_i32_e64 v44, 0x70, v15, v8
	s_or_b32 s6, s8, s10
	v_or_b32_e32 v45, v38, v4
	v_writelane_b32 v93, s10, 18
	v_or_b32_e32 v46, v40, v4
	v_or_b32_e32 v47, v42, v4
	v_add_nc_u64_e32 v[12:13], src_flat_scratch_base_lo, v[18:19]
	v_mov_b32_e32 v18, 8
	v_writelane_b32 v93, s6, 19
	s_or_b32 s6, s9, s14
	v_dual_mov_b32 v39, v7 :: v_dual_add_nc_u32 v72, 0x8000, v50
	v_mov_b32_e32 v3, v7
	v_writelane_b32 v93, s14, 20
	v_add_nc_u64_e32 v[14:15], src_flat_scratch_base_lo, v[18:19]
	v_dual_mov_b32 v18, 16 :: v_dual_mov_b32 v41, v7
	v_mov_b32_e32 v43, v7
	v_writelane_b32 v93, s6, 21
	s_or_b32 s6, s7, s15
	v_cmp_le_u32_e64 s7, v4, v38
	v_mul_u64_e32 v[0:1], s[74:75], v[0:1]
	v_add_nc_u64_e32 v[16:17], src_flat_scratch_base_lo, v[18:19]
	v_writelane_b32 v93, s15, 22
	v_mov_b32_e32 v18, 24
	v_mul_u64_e32 v[22:23], s[84:85], v[38:39]
	v_mul_u64_e32 v[24:25], s[84:85], v[40:41]
	;; [unrolled: 1-line block ×3, first 2 shown]
	v_writelane_b32 v93, s6, 23
	v_mul_u64_e32 v[28:29], s[84:85], v[2:3]
	v_mul_u64_e32 v[30:31], s[84:85], v[42:43]
	v_add_nc_u64_e32 v[18:19], src_flat_scratch_base_lo, v[18:19]
	v_cmp_lt_u32_e32 vcc_lo, 0x3ff, v36
	v_writelane_b32 v93, s7, 24
	v_cmp_gt_u32_e64 s7, 0xf0, v36
	v_mov_b64_e32 v[34:35], 0x3f800000
	v_lshl_add_u32 v69, v6, 3, 0xa000
	v_lshl_add_u32 v71, v36, 3, 0x8000
	;; [unrolled: 1-line block ×3, first 2 shown]
	v_writelane_b32 v93, s7, 25
	v_cmp_gt_u32_e64 s7, 0xe0, v36
	s_lshl_b64 s[88:89], s[12:13], 3
	v_dual_mov_b32 v21, v7 :: v_dual_lshlrev_b32 v20, 3, v4
	v_lshl_add_u32 v75, v38, 9, v50
	v_writelane_b32 v93, s7, 26
	v_cmp_gt_u32_e64 s7, 0xd0, v36
	v_lshl_add_u32 v76, v40, 9, v50
	v_lshl_add_u32 v77, v42, 9, v50
	v_or_b32_e32 v78, 0x3800, v66
	v_subrev_nc_u32_e32 v79, 31, v64
	v_writelane_b32 v93, s7, 27
	v_cmp_gt_u32_e64 s7, 0xc0, v36
	v_add_nc_u32_e32 v80, 0x7800, v50
	v_subrev_nc_u32_e32 v81, 63, v4
	v_add_nc_u32_e64 v82, 0x7800, 0
	v_cmp_eq_u32_e64 s11, 0, v37
	v_writelane_b32 v93, s7, 28
	v_cmp_gt_u32_e64 s7, 0xb0, v36
	v_cmp_gt_u32_e64 s12, 2, v36
	;; [unrolled: 1-line block ×5, first 2 shown]
	v_writelane_b32 v93, s7, 29
	v_cmp_le_u32_e64 s7, v4, v40
	v_cmp_gt_u32_e64 s16, 48, v36
	v_cmp_gt_u32_e64 s17, 40, v36
	;; [unrolled: 1-line block ×4, first 2 shown]
	v_writelane_b32 v93, s7, 30
	v_cmp_gt_u32_e64 s7, 0xa0, v36
	v_cmp_gt_u32_e64 s33, 0x400, v36
	v_cmp_eq_u32_e64 s34, 0, v6
	v_cmp_gt_u32_e64 s35, 64, v6
	s_add_co_i32 s29, s29, 1
	v_writelane_b32 v93, s7, 31
	v_cmp_gt_u32_e64 s7, 0x90, v36
	s_xor_b32 s6, vcc_lo, -1
	s_lshl_b64 s[90:91], s[84:85], 7
	s_lshl_b64 s[92:93], s[84:85], 8
	s_mul_u64 s[94:95], s[84:85], 0x180
	v_writelane_b32 v92, s7, 0
	v_cmp_gt_u32_e64 s7, 0x80, v36
	s_lshl_b64 s[78:79], s[78:79], 3
	s_lshl_b64 s[72:73], s[72:73], 3
	v_writelane_b32 v92, s7, 1
	v_cmp_gt_u32_e64 s7, 0x70, v36
	s_delay_alu instid0(VALU_DEP_1) | instskip(SKIP_1) | instid1(VALU_DEP_1)
	v_writelane_b32 v92, s7, 2
	v_cmp_gt_u32_e64 s7, 0x60, v36
	v_writelane_b32 v92, s7, 3
	v_cmp_gt_u32_e64 s7, 0x50, v36
	s_delay_alu instid0(VALU_DEP_1) | instskip(SKIP_1) | instid1(VALU_DEP_1)
	v_writelane_b32 v92, s7, 4
	v_cmp_le_u32_e64 s7, v4, v2
	v_writelane_b32 v92, s7, 5
	v_cmp_le_u32_e64 s7, v4, v42
	s_delay_alu instid0(VALU_DEP_1) | instskip(SKIP_1) | instid1(VALU_DEP_1)
	v_writelane_b32 v92, s7, 6
	v_cmp_le_i32_e64 s7, s82, v44
	v_writelane_b32 v92, s7, 7
	v_cmp_gt_u32_e64 s7, 64, v37
	s_delay_alu instid0(VALU_DEP_1) | instskip(SKIP_1) | instid1(VALU_DEP_1)
	v_writelane_b32 v92, s7, 8
	v_cmp_gt_u32_e64 s7, 64, v45
	v_writelane_b32 v92, s7, 9
	v_cmp_gt_u32_e64 s7, 64, v46
	s_delay_alu instid0(VALU_DEP_1) | instskip(SKIP_1) | instid1(VALU_DEP_1)
	v_writelane_b32 v92, s7, 10
	v_cmp_gt_u32_e64 s7, 64, v47
	;; [unrolled: 5-line block ×13, first 2 shown]
	v_writelane_b32 v83, s7, 1
	v_cmp_gt_u32_e64 s7, 0x120, v36
	s_delay_alu instid0(VALU_DEP_1)
	v_writelane_b32 v83, s7, 2
	s_branch .LBB145_3
.LBB145_2:                              ;   in Loop: Header=BB145_3 Depth=1
	s_wait_xcnt 0x0
	s_or_b32 exec_lo, exec_lo, s7
	s_add_co_i32 s80, s80, 0x10000
	global_wb scope:SCOPE_DEV
	s_wait_storecnt 0x0
	global_inv scope:SCOPE_DEV
	s_cmp_lt_u32 s80, s67
	s_cbranch_scc0 .LBB145_1050
.LBB145_3:                              ; =>This Loop Header: Depth=1
                                        ;     Child Loop BB145_524 Depth 2
                                        ;     Child Loop BB145_940 Depth 2
                                        ;       Child Loop BB145_942 Depth 3
                                        ;     Child Loop BB145_974 Depth 2
	v_mov_b32_e32 v3, s80
	v_readlane_b32 s7, v93, 0
	s_clause 0x1
	global_load_b64 v[36:37], v3, s[76:77] scale_offset
	global_load_b64 v[40:41], v3, s[70:71] scale_offset
	global_load_b64 v[38:39], v7, s[68:69]
	s_and_not1_b32 vcc_lo, exec_lo, s7
	s_wait_loadcnt 0x2
	v_add_nc_u64_e32 v[36:37], s[78:79], v[36:37]
	s_cbranch_vccnz .LBB145_15
; %bb.4:                                ;   in Loop: Header=BB145_3 Depth=1
	s_delay_alu instid0(VALU_DEP_1) | instskip(SKIP_3) | instid1(VALU_DEP_3)
	v_lshl_add_u64 v[42:43], v[10:11], 3, v[36:37]
	v_dual_mov_b32 v44, 0 :: v_dual_mov_b32 v46, 0
	v_mov_b32_e32 v47, 0
	s_wait_loadcnt 0x0
	v_lshl_add_u64 v[42:43], v[8:9], 3, v[42:43]
	s_barrier_signal -1
	s_barrier_wait -1
	s_wait_xcnt 0x0
	s_mov_b32 s7, exec_lo
	v_readlane_b32 s8, v93, 13
	s_and_b32 s8, s7, s8
	s_delay_alu instid0(SALU_CYCLE_1)
	s_mov_b32 exec_lo, s8
	s_cbranch_execz .LBB145_6
; %bb.5:                                ;   in Loop: Header=BB145_3 Depth=1
	flat_load_b64 v[46:47], v[42:43]
.LBB145_6:                              ;   in Loop: Header=BB145_3 Depth=1
	s_wait_xcnt 0x0
	s_or_b32 exec_lo, exec_lo, s7
	v_mov_b32_e32 v45, 0
	s_wait_loadcnt_dscnt 0x0
	scratch_store_b64 off, v[46:47], off
	s_wait_storecnt 0x0
	s_barrier_signal -1
	s_barrier_wait -1
	s_wait_xcnt 0x0
	s_mov_b32 s7, exec_lo
	v_readlane_b32 s8, v93, 14
	s_and_b32 s8, s7, s8
	s_delay_alu instid0(SALU_CYCLE_1)
	s_mov_b32 exec_lo, s8
	s_cbranch_execz .LBB145_8
; %bb.7:                                ;   in Loop: Header=BB145_3 Depth=1
	v_add_nc_u64_e32 v[44:45], s[90:91], v[42:43]
	flat_load_b64 v[44:45], v[44:45]
.LBB145_8:                              ;   in Loop: Header=BB145_3 Depth=1
	s_wait_xcnt 0x0
	s_or_b32 exec_lo, exec_lo, s7
	s_wait_loadcnt_dscnt 0x0
	scratch_store_b64 off, v[44:45], off offset:8
	s_wait_xcnt 0x0
	v_dual_mov_b32 v44, 0 :: v_dual_mov_b32 v45, 0
	s_wait_storecnt 0x0
	s_barrier_signal -1
	s_barrier_wait -1
	s_mov_b32 s7, exec_lo
	v_readlane_b32 s8, v93, 15
	s_and_b32 s8, s7, s8
	s_delay_alu instid0(SALU_CYCLE_1)
	s_mov_b32 exec_lo, s8
	s_cbranch_execz .LBB145_10
; %bb.9:                                ;   in Loop: Header=BB145_3 Depth=1
	v_add_nc_u64_e32 v[44:45], s[92:93], v[42:43]
	flat_load_b64 v[44:45], v[44:45]
.LBB145_10:                             ;   in Loop: Header=BB145_3 Depth=1
	s_wait_xcnt 0x0
	s_or_b32 exec_lo, exec_lo, s7
	s_wait_loadcnt_dscnt 0x0
	scratch_store_b64 off, v[44:45], off offset:16
	s_wait_storecnt 0x0
	s_barrier_signal -1
	s_barrier_wait -1
	s_wait_xcnt 0x0
	s_mov_b32 s7, exec_lo
	v_readlane_b32 s8, v92, 7
	s_and_b32 s8, s7, s8
	s_delay_alu instid0(SALU_CYCLE_1)
	s_xor_b32 s7, s8, s7
	s_mov_b32 exec_lo, s8
	s_cbranch_execz .LBB145_12
; %bb.11:                               ;   in Loop: Header=BB145_3 Depth=1
	scratch_store_b64 off, v[32:33], off offset:24
                                        ; implicit-def: $vgpr42_vgpr43
.LBB145_12:                             ;   in Loop: Header=BB145_3 Depth=1
	s_wait_xcnt 0x0
	s_and_not1_saveexec_b32 s7, s7
	s_cbranch_execz .LBB145_14
; %bb.13:                               ;   in Loop: Header=BB145_3 Depth=1
	v_add_nc_u64_e32 v[42:43], s[94:95], v[42:43]
	flat_load_b64 v[42:43], v[42:43]
	s_wait_loadcnt_dscnt 0x0
	scratch_store_b64 off, v[42:43], off offset:24
.LBB145_14:                             ;   in Loop: Header=BB145_3 Depth=1
	s_wait_xcnt 0x0
	s_or_b32 exec_lo, exec_lo, s7
.LBB145_15:                             ;   in Loop: Header=BB145_3 Depth=1
	s_delay_alu instid0(VALU_DEP_1) | instskip(SKIP_2) | instid1(VALU_DEP_1)
	v_add_nc_u64_e32 v[42:43], s[88:89], v[36:37]
	s_and_not1_b32 vcc_lo, exec_lo, s100
	s_mov_b32 s7, -1
	v_add_nc_u64_e32 v[42:43], v[42:43], v[20:21]
	s_cbranch_vccnz .LBB145_41
; %bb.16:                               ;   in Loop: Header=BB145_3 Depth=1
	s_wait_xcnt 0x0
	s_mov_b32 s7, exec_lo
	v_readlane_b32 s8, v93, 16
	s_and_b32 s8, s7, s8
	s_delay_alu instid0(SALU_CYCLE_1)
	s_xor_b32 s7, s8, s7
	s_mov_b32 exec_lo, s8
	s_cbranch_execz .LBB145_20
; %bb.17:                               ;   in Loop: Header=BB145_3 Depth=1
	s_mov_b32 s8, exec_lo
	v_readlane_b32 s9, v92, 8
	s_and_b32 s9, s8, s9
	s_delay_alu instid0(SALU_CYCLE_1)
	s_mov_b32 exec_lo, s9
; %bb.18:                               ;   in Loop: Header=BB145_3 Depth=1
	ds_store_b64 v73, v[32:33]
; %bb.19:                               ;   in Loop: Header=BB145_3 Depth=1
	s_or_b32 exec_lo, exec_lo, s8
.LBB145_20:                             ;   in Loop: Header=BB145_3 Depth=1
	s_and_not1_saveexec_b32 s7, s7
	s_cbranch_execz .LBB145_22
; %bb.21:                               ;   in Loop: Header=BB145_3 Depth=1
	v_lshl_add_u64 v[44:45], v[28:29], 3, v[42:43]
	flat_load_b64 v[44:45], v[44:45]
	s_wait_loadcnt_dscnt 0x0
	v_pk_add_f32 v[44:45], v[44:45], 0 neg_lo:[1,1] neg_hi:[1,1]
	ds_store_b64 v73, v[44:45]
.LBB145_22:                             ;   in Loop: Header=BB145_3 Depth=1
	s_or_b32 exec_lo, exec_lo, s7
	s_delay_alu instid0(SALU_CYCLE_1) | instskip(SKIP_2) | instid1(SALU_CYCLE_1)
	s_mov_b32 s7, exec_lo
	v_readlane_b32 s8, v93, 18
	s_and_b32 s8, s7, s8
	s_xor_b32 s7, s8, s7
	s_mov_b32 exec_lo, s8
	s_cbranch_execz .LBB145_26
; %bb.23:                               ;   in Loop: Header=BB145_3 Depth=1
	s_mov_b32 s8, exec_lo
	v_readlane_b32 s9, v92, 9
	s_and_b32 s9, s8, s9
	s_delay_alu instid0(SALU_CYCLE_1)
	s_mov_b32 exec_lo, s9
; %bb.24:                               ;   in Loop: Header=BB145_3 Depth=1
	ds_store_b64 v75, v[32:33]
; %bb.25:                               ;   in Loop: Header=BB145_3 Depth=1
	s_or_b32 exec_lo, exec_lo, s8
.LBB145_26:                             ;   in Loop: Header=BB145_3 Depth=1
	s_and_not1_saveexec_b32 s7, s7
	s_cbranch_execz .LBB145_28
; %bb.27:                               ;   in Loop: Header=BB145_3 Depth=1
	v_lshl_add_u64 v[44:45], v[22:23], 3, v[42:43]
	flat_load_b64 v[44:45], v[44:45]
	s_wait_loadcnt_dscnt 0x0
	v_pk_add_f32 v[44:45], v[44:45], 0 neg_lo:[1,1] neg_hi:[1,1]
	ds_store_b64 v75, v[44:45]
.LBB145_28:                             ;   in Loop: Header=BB145_3 Depth=1
	s_or_b32 exec_lo, exec_lo, s7
	s_delay_alu instid0(SALU_CYCLE_1) | instskip(SKIP_2) | instid1(SALU_CYCLE_1)
	s_mov_b32 s7, exec_lo
	v_readlane_b32 s8, v93, 20
	s_and_b32 s8, s7, s8
	;; [unrolled: 28-line block ×3, first 2 shown]
	s_xor_b32 s7, s8, s7
	s_mov_b32 exec_lo, s8
	s_cbranch_execz .LBB145_38
; %bb.35:                               ;   in Loop: Header=BB145_3 Depth=1
	s_mov_b32 s8, exec_lo
	v_readlane_b32 s9, v92, 11
	s_and_b32 s9, s8, s9
	s_delay_alu instid0(SALU_CYCLE_1)
	s_mov_b32 exec_lo, s9
; %bb.36:                               ;   in Loop: Header=BB145_3 Depth=1
	ds_store_b64 v77, v[32:33]
; %bb.37:                               ;   in Loop: Header=BB145_3 Depth=1
	s_or_b32 exec_lo, exec_lo, s8
.LBB145_38:                             ;   in Loop: Header=BB145_3 Depth=1
	s_and_not1_saveexec_b32 s7, s7
	s_cbranch_execz .LBB145_40
; %bb.39:                               ;   in Loop: Header=BB145_3 Depth=1
	v_lshl_add_u64 v[44:45], v[30:31], 3, v[42:43]
	flat_load_b64 v[44:45], v[44:45]
	s_wait_loadcnt_dscnt 0x0
	v_pk_add_f32 v[44:45], v[44:45], 0 neg_lo:[1,1] neg_hi:[1,1]
	ds_store_b64 v77, v[44:45]
.LBB145_40:                             ;   in Loop: Header=BB145_3 Depth=1
	s_or_b32 exec_lo, exec_lo, s7
	s_mov_b32 s7, 0
.LBB145_41:                             ;   in Loop: Header=BB145_3 Depth=1
	s_delay_alu instid0(SALU_CYCLE_1)
	s_and_b32 vcc_lo, exec_lo, s7
	s_cbranch_vccz .LBB145_67
; %bb.42:                               ;   in Loop: Header=BB145_3 Depth=1
	s_wait_xcnt 0x0
	s_mov_b32 s7, exec_lo
	v_readlane_b32 s8, v93, 17
	s_and_b32 s8, s7, s8
	s_delay_alu instid0(SALU_CYCLE_1)
	s_xor_b32 s7, s8, s7
	s_mov_b32 exec_lo, s8
	s_cbranch_execz .LBB145_46
; %bb.43:                               ;   in Loop: Header=BB145_3 Depth=1
	s_mov_b32 s8, exec_lo
	v_readlane_b32 s9, v92, 8
	s_and_b32 s9, s8, s9
	s_delay_alu instid0(SALU_CYCLE_1)
	s_mov_b32 exec_lo, s9
; %bb.44:                               ;   in Loop: Header=BB145_3 Depth=1
	ds_store_b64 v73, v[32:33]
; %bb.45:                               ;   in Loop: Header=BB145_3 Depth=1
	s_or_b32 exec_lo, exec_lo, s8
.LBB145_46:                             ;   in Loop: Header=BB145_3 Depth=1
	s_and_not1_saveexec_b32 s7, s7
	s_cbranch_execz .LBB145_48
; %bb.47:                               ;   in Loop: Header=BB145_3 Depth=1
	v_lshl_add_u64 v[44:45], v[28:29], 3, v[42:43]
	flat_load_b64 v[44:45], v[44:45]
	s_wait_loadcnt_dscnt 0x0
	v_pk_add_f32 v[44:45], v[44:45], 0 neg_lo:[1,1] neg_hi:[1,1]
	ds_store_b64 v73, v[44:45]
.LBB145_48:                             ;   in Loop: Header=BB145_3 Depth=1
	s_or_b32 exec_lo, exec_lo, s7
	s_delay_alu instid0(SALU_CYCLE_1) | instskip(SKIP_2) | instid1(SALU_CYCLE_1)
	s_mov_b32 s7, exec_lo
	v_readlane_b32 s8, v93, 19
	s_and_b32 s8, s7, s8
	s_xor_b32 s7, s8, s7
	s_mov_b32 exec_lo, s8
	s_cbranch_execz .LBB145_52
; %bb.49:                               ;   in Loop: Header=BB145_3 Depth=1
	s_mov_b32 s8, exec_lo
	v_readlane_b32 s9, v92, 9
	s_and_b32 s9, s8, s9
	s_delay_alu instid0(SALU_CYCLE_1)
	s_mov_b32 exec_lo, s9
; %bb.50:                               ;   in Loop: Header=BB145_3 Depth=1
	ds_store_b64 v75, v[32:33]
; %bb.51:                               ;   in Loop: Header=BB145_3 Depth=1
	s_or_b32 exec_lo, exec_lo, s8
.LBB145_52:                             ;   in Loop: Header=BB145_3 Depth=1
	s_and_not1_saveexec_b32 s7, s7
	s_cbranch_execz .LBB145_54
; %bb.53:                               ;   in Loop: Header=BB145_3 Depth=1
	v_lshl_add_u64 v[44:45], v[22:23], 3, v[42:43]
	flat_load_b64 v[44:45], v[44:45]
	s_wait_loadcnt_dscnt 0x0
	v_pk_add_f32 v[44:45], v[44:45], 0 neg_lo:[1,1] neg_hi:[1,1]
	ds_store_b64 v75, v[44:45]
.LBB145_54:                             ;   in Loop: Header=BB145_3 Depth=1
	s_or_b32 exec_lo, exec_lo, s7
	s_delay_alu instid0(SALU_CYCLE_1) | instskip(SKIP_2) | instid1(SALU_CYCLE_1)
	s_mov_b32 s7, exec_lo
	v_readlane_b32 s8, v93, 21
	s_and_b32 s8, s7, s8
	;; [unrolled: 28-line block ×3, first 2 shown]
	s_xor_b32 s7, s8, s7
	s_mov_b32 exec_lo, s8
	s_cbranch_execz .LBB145_64
; %bb.61:                               ;   in Loop: Header=BB145_3 Depth=1
	s_mov_b32 s8, exec_lo
	v_readlane_b32 s9, v92, 11
	s_and_b32 s9, s8, s9
	s_delay_alu instid0(SALU_CYCLE_1)
	s_mov_b32 exec_lo, s9
; %bb.62:                               ;   in Loop: Header=BB145_3 Depth=1
	ds_store_b64 v77, v[32:33]
; %bb.63:                               ;   in Loop: Header=BB145_3 Depth=1
	s_or_b32 exec_lo, exec_lo, s8
                                        ; implicit-def: $vgpr42_vgpr43
.LBB145_64:                             ;   in Loop: Header=BB145_3 Depth=1
	s_and_not1_saveexec_b32 s7, s7
	s_cbranch_execz .LBB145_66
; %bb.65:                               ;   in Loop: Header=BB145_3 Depth=1
	v_lshl_add_u64 v[42:43], v[30:31], 3, v[42:43]
	flat_load_b64 v[42:43], v[42:43]
	s_wait_loadcnt_dscnt 0x0
	v_pk_add_f32 v[42:43], v[42:43], 0 neg_lo:[1,1] neg_hi:[1,1]
	ds_store_b64 v77, v[42:43]
.LBB145_66:                             ;   in Loop: Header=BB145_3 Depth=1
	s_or_b32 exec_lo, exec_lo, s7
.LBB145_67:                             ;   in Loop: Header=BB145_3 Depth=1
	s_delay_alu instid0(SALU_CYCLE_1)
	s_and_not1_b32 vcc_lo, exec_lo, s102
	s_wait_storecnt 0x0
	s_wait_loadcnt_dscnt 0x0
	s_barrier_signal -1
	s_barrier_wait -1
	s_cbranch_vccnz .LBB145_935
; %bb.68:                               ;   in Loop: Header=BB145_3 Depth=1
	s_wait_xcnt 0x0
	s_and_saveexec_b32 s7, s11
; %bb.69:                               ;   in Loop: Header=BB145_3 Depth=1
	ds_store_2addr_b64 v82, v[34:35], v[34:35] offset0:190 offset1:255
; %bb.70:                               ;   in Loop: Header=BB145_3 Depth=1
	s_or_b32 exec_lo, exec_lo, s7
	v_dual_mov_b32 v42, 0 :: v_dual_mov_b32 v43, 0
	s_wait_dscnt 0x0
	s_barrier_signal -1
	s_barrier_wait -1
	global_wb scope:SCOPE_DEV
	s_wait_storecnt 0x0
	global_inv scope:SCOPE_DEV
	s_and_saveexec_b32 s7, s1
	s_cbranch_execz .LBB145_74
; %bb.71:                               ;   in Loop: Header=BB145_3 Depth=1
	ds_load_b64 v[42:43], v48 offset:32224
	ds_load_b64 v[44:45], v49 offset:32752
	s_wait_dscnt 0x0
	v_pk_mul_f32 v[46:47], v[44:45], v[42:43] op_sel:[1,1] op_sel_hi:[0,1]
	s_delay_alu instid0(VALU_DEP_1) | instskip(SKIP_1) | instid1(VALU_DEP_2)
	v_pk_fma_f32 v[84:85], v[44:45], v[42:43], v[46:47] op_sel_hi:[1,0,1]
	v_pk_fma_f32 v[42:43], v[44:45], v[42:43], v[46:47] neg_lo:[0,0,1] neg_hi:[0,0,1]
	v_mov_b32_e32 v43, v85
	s_delay_alu instid0(VALU_DEP_1)
	v_pk_add_f32 v[42:43], v[42:43], 0 op_sel_hi:[1,0]
	s_and_saveexec_b32 s8, s12
	s_cbranch_execz .LBB145_73
; %bb.72:                               ;   in Loop: Header=BB145_3 Depth=1
	ds_load_b64 v[44:45], v50 offset:32736
	ds_load_b64 v[46:47], v7 offset:32760
	s_wait_dscnt 0x0
	v_pk_mul_f32 v[84:85], v[46:47], v[44:45] op_sel:[1,1] op_sel_hi:[0,1]
	s_delay_alu instid0(VALU_DEP_1) | instskip(SKIP_1) | instid1(VALU_DEP_2)
	v_pk_fma_f32 v[86:87], v[46:47], v[44:45], v[84:85] op_sel_hi:[1,0,1]
	v_pk_fma_f32 v[44:45], v[46:47], v[44:45], v[84:85] neg_lo:[0,0,1] neg_hi:[0,0,1]
	v_mov_b32_e32 v45, v87
	s_delay_alu instid0(VALU_DEP_1)
	v_pk_add_f32 v[42:43], v[42:43], v[44:45]
.LBB145_73:                             ;   in Loop: Header=BB145_3 Depth=1
	s_or_b32 exec_lo, exec_lo, s8
.LBB145_74:                             ;   in Loop: Header=BB145_3 Depth=1
	s_delay_alu instid0(SALU_CYCLE_1)
	s_or_b32 exec_lo, exec_lo, s7
	s_and_saveexec_b32 s7, s103
; %bb.75:                               ;   in Loop: Header=BB145_3 Depth=1
	s_delay_alu instid0(VALU_DEP_1)
	v_pk_add_f32 v[44:45], v[42:43], 0 neg_lo:[1,1] neg_hi:[1,1]
	ds_store_b64 v5, v[44:45]
; %bb.76:                               ;   in Loop: Header=BB145_3 Depth=1
	s_or_b32 exec_lo, exec_lo, s7
	s_wait_loadcnt_dscnt 0x0
	s_barrier_signal -1
	s_barrier_wait -1
	s_and_saveexec_b32 s7, s104
	s_cbranch_execz .LBB145_78
; %bb.77:                               ;   in Loop: Header=BB145_3 Depth=1
	ds_load_b64 v[44:45], v7 offset:31712
	ds_load_b64 v[46:47], v5
	s_wait_dscnt 0x0
	v_pk_mul_f32 v[84:85], v[46:47], v[44:45] op_sel_hi:[1,0]
	s_delay_alu instid0(VALU_DEP_1) | instskip(SKIP_1) | instid1(VALU_DEP_2)
	v_pk_fma_f32 v[86:87], v[46:47], v[44:45], v[84:85] op_sel:[1,1,0] op_sel_hi:[0,1,1]
	v_pk_fma_f32 v[44:45], v[46:47], v[44:45], v[84:85] op_sel:[1,1,0] op_sel_hi:[0,1,1] neg_lo:[0,0,1] neg_hi:[0,0,1]
	v_pk_add_f32 v[46:47], v[42:43], v[86:87] neg_lo:[0,1] neg_hi:[0,1]
	s_delay_alu instid0(VALU_DEP_2) | instskip(NEXT) | instid1(VALU_DEP_2)
	v_pk_add_f32 v[42:43], v[42:43], v[44:45]
	v_mov_b32_e32 v43, v47
.LBB145_78:                             ;   in Loop: Header=BB145_3 Depth=1
	s_or_b32 exec_lo, exec_lo, s7
	s_barrier_signal -1
	s_barrier_wait -1
	s_and_saveexec_b32 s7, s104
; %bb.79:                               ;   in Loop: Header=BB145_3 Depth=1
	v_pk_add_f32 v[44:45], v[42:43], 0 neg_lo:[1,1] neg_hi:[1,1]
	ds_store_b64 v5, v[44:45]
; %bb.80:                               ;   in Loop: Header=BB145_3 Depth=1
	s_or_b32 exec_lo, exec_lo, s7
	s_wait_dscnt 0x0
	s_barrier_signal -1
	s_barrier_wait -1
	s_barrier_signal -1
	s_barrier_wait -1
	s_and_saveexec_b32 s7, s1
; %bb.81:                               ;   in Loop: Header=BB145_3 Depth=1
	ds_store_b64 v51, v[42:43] offset:32736
; %bb.82:                               ;   in Loop: Header=BB145_3 Depth=1
	s_or_b32 exec_lo, exec_lo, s7
	s_wait_dscnt 0x0
	s_barrier_signal -1
	s_barrier_wait -1
	s_barrier_signal -1
	s_barrier_wait -1
	s_and_saveexec_b32 s7, s11
; %bb.83:                               ;   in Loop: Header=BB145_3 Depth=1
	ds_store_2addr_b64 v82, v[34:35], v[34:35] offset0:60 offset1:125
; %bb.84:                               ;   in Loop: Header=BB145_3 Depth=1
	s_or_b32 exec_lo, exec_lo, s7
	v_mov_b64_e32 v[42:43], 0
	s_wait_dscnt 0x0
	s_barrier_signal -1
	s_barrier_wait -1
	global_wb scope:SCOPE_DEV
	s_wait_storecnt 0x0
	global_inv scope:SCOPE_DEV
	s_and_saveexec_b32 s7, s2
	s_cbranch_execz .LBB145_90
; %bb.85:                               ;   in Loop: Header=BB145_3 Depth=1
	ds_load_b64 v[42:43], v53 offset:31168
	ds_load_b64 v[44:45], v54 offset:32736
	s_wait_dscnt 0x0
	v_dual_mul_f32 v3, v45, v43 :: v_dual_mul_f32 v43, v44, v43
	s_delay_alu instid0(VALU_DEP_1) | instskip(NEXT) | instid1(VALU_DEP_1)
	v_fmac_f32_e32 v43, v45, v42
	v_dual_fma_f32 v3, v44, v42, -v3 :: v_dual_add_f32 v43, 0, v43
	s_delay_alu instid0(VALU_DEP_1)
	v_add_f32_e32 v42, 0, v3
	s_and_saveexec_b32 s8, s13
	s_cbranch_execnz .LBB145_1000
; %bb.86:                               ;   in Loop: Header=BB145_3 Depth=1
	s_or_b32 exec_lo, exec_lo, s8
	s_and_saveexec_b32 s8, s14
	s_cbranch_execnz .LBB145_1001
.LBB145_87:                             ;   in Loop: Header=BB145_3 Depth=1
	s_or_b32 exec_lo, exec_lo, s8
	s_and_saveexec_b32 s8, s1
	s_cbranch_execz .LBB145_89
.LBB145_88:                             ;   in Loop: Header=BB145_3 Depth=1
	ds_load_b64 v[44:45], v50 offset:32704
	ds_load_b64 v[46:47], v7 offset:32760
	s_wait_dscnt 0x0
	v_pk_mul_f32 v[84:85], v[46:47], v[44:45] op_sel:[1,1] op_sel_hi:[0,1]
	s_delay_alu instid0(VALU_DEP_1) | instskip(SKIP_1) | instid1(VALU_DEP_2)
	v_pk_fma_f32 v[86:87], v[46:47], v[44:45], v[84:85] op_sel_hi:[1,0,1]
	v_pk_fma_f32 v[44:45], v[46:47], v[44:45], v[84:85] neg_lo:[0,0,1] neg_hi:[0,0,1]
	v_mov_b32_e32 v45, v87
	s_delay_alu instid0(VALU_DEP_1)
	v_pk_add_f32 v[42:43], v[42:43], v[44:45]
.LBB145_89:                             ;   in Loop: Header=BB145_3 Depth=1
	s_or_b32 exec_lo, exec_lo, s8
.LBB145_90:                             ;   in Loop: Header=BB145_3 Depth=1
	s_delay_alu instid0(SALU_CYCLE_1)
	s_or_b32 exec_lo, exec_lo, s7
	s_and_saveexec_b32 s7, vcc_hi
; %bb.91:                               ;   in Loop: Header=BB145_3 Depth=1
	s_delay_alu instid0(VALU_DEP_1)
	v_pk_add_f32 v[44:45], v[42:43], 0 neg_lo:[1,1] neg_hi:[1,1]
	ds_store_b64 v52, v[44:45]
; %bb.92:                               ;   in Loop: Header=BB145_3 Depth=1
	s_or_b32 exec_lo, exec_lo, s7
	s_wait_loadcnt_dscnt 0x0
	s_barrier_signal -1
	s_barrier_wait -1
	s_and_saveexec_b32 s7, s43
	s_cbranch_execz .LBB145_94
; %bb.93:                               ;   in Loop: Header=BB145_3 Depth=1
	ds_load_b64 v[44:45], v53 offset:30656
	ds_load_b64 v[46:47], v52
	s_wait_dscnt 0x0
	v_pk_mul_f32 v[84:85], v[46:47], v[44:45] op_sel:[1,1] op_sel_hi:[0,1]
	s_delay_alu instid0(VALU_DEP_1) | instskip(SKIP_1) | instid1(VALU_DEP_2)
	v_pk_fma_f32 v[86:87], v[46:47], v[44:45], v[84:85] op_sel_hi:[1,0,1]
	v_pk_fma_f32 v[44:45], v[46:47], v[44:45], v[84:85] neg_lo:[0,0,1] neg_hi:[0,0,1]
	v_mov_b32_e32 v45, v87
	s_delay_alu instid0(VALU_DEP_1)
	v_pk_add_f32 v[42:43], v[42:43], v[44:45] neg_lo:[0,1] neg_hi:[0,1]
.LBB145_94:                             ;   in Loop: Header=BB145_3 Depth=1
	s_or_b32 exec_lo, exec_lo, s7
	s_barrier_signal -1
	s_barrier_wait -1
	s_and_saveexec_b32 s7, s44
; %bb.95:                               ;   in Loop: Header=BB145_3 Depth=1
	v_pk_add_f32 v[44:45], v[42:43], 0 neg_lo:[1,1] neg_hi:[1,1]
	ds_store_b64 v52, v[44:45]
; %bb.96:                               ;   in Loop: Header=BB145_3 Depth=1
	s_or_b32 exec_lo, exec_lo, s7
	s_wait_dscnt 0x0
	s_barrier_signal -1
	s_barrier_wait -1
	s_and_saveexec_b32 s7, s45
	s_cbranch_execz .LBB145_98
; %bb.97:                               ;   in Loop: Header=BB145_3 Depth=1
	ds_load_b64 v[44:45], v53 offset:30144
	ds_load_b64 v[46:47], v52
	s_wait_dscnt 0x0
	v_pk_mul_f32 v[84:85], v[46:47], v[44:45] op_sel:[1,1] op_sel_hi:[0,1]
	s_delay_alu instid0(VALU_DEP_1) | instskip(SKIP_1) | instid1(VALU_DEP_2)
	v_pk_fma_f32 v[86:87], v[46:47], v[44:45], v[84:85] op_sel_hi:[1,0,1]
	v_pk_fma_f32 v[44:45], v[46:47], v[44:45], v[84:85] neg_lo:[0,0,1] neg_hi:[0,0,1]
	v_mov_b32_e32 v45, v87
	s_delay_alu instid0(VALU_DEP_1)
	v_pk_add_f32 v[42:43], v[42:43], v[44:45] neg_lo:[0,1] neg_hi:[0,1]
.LBB145_98:                             ;   in Loop: Header=BB145_3 Depth=1
	s_or_b32 exec_lo, exec_lo, s7
	s_barrier_signal -1
	s_barrier_wait -1
	s_and_saveexec_b32 s7, s46
; %bb.99:                               ;   in Loop: Header=BB145_3 Depth=1
	v_pk_add_f32 v[44:45], v[42:43], 0 neg_lo:[1,1] neg_hi:[1,1]
	ds_store_b64 v52, v[44:45]
; %bb.100:                              ;   in Loop: Header=BB145_3 Depth=1
	s_or_b32 exec_lo, exec_lo, s7
	s_wait_dscnt 0x0
	s_barrier_signal -1
	s_barrier_wait -1
	s_and_saveexec_b32 s7, s47
	s_cbranch_execz .LBB145_102
; %bb.101:                              ;   in Loop: Header=BB145_3 Depth=1
	ds_load_b64 v[44:45], v7 offset:29632
	ds_load_b64 v[46:47], v52
	s_wait_dscnt 0x0
	v_pk_mul_f32 v[84:85], v[46:47], v[44:45] op_sel:[1,1] op_sel_hi:[0,1]
	s_delay_alu instid0(VALU_DEP_1) | instskip(SKIP_1) | instid1(VALU_DEP_2)
	v_pk_fma_f32 v[86:87], v[46:47], v[44:45], v[84:85] op_sel_hi:[1,0,1]
	v_pk_fma_f32 v[44:45], v[46:47], v[44:45], v[84:85] neg_lo:[0,0,1] neg_hi:[0,0,1]
	v_mov_b32_e32 v45, v87
	s_delay_alu instid0(VALU_DEP_1)
	v_pk_add_f32 v[42:43], v[42:43], v[44:45] neg_lo:[0,1] neg_hi:[0,1]
.LBB145_102:                            ;   in Loop: Header=BB145_3 Depth=1
	s_or_b32 exec_lo, exec_lo, s7
	s_barrier_signal -1
	s_barrier_wait -1
	s_and_saveexec_b32 s7, s47
; %bb.103:                              ;   in Loop: Header=BB145_3 Depth=1
	v_pk_add_f32 v[44:45], v[42:43], 0 neg_lo:[1,1] neg_hi:[1,1]
	ds_store_b64 v52, v[44:45]
; %bb.104:                              ;   in Loop: Header=BB145_3 Depth=1
	s_or_b32 exec_lo, exec_lo, s7
	s_wait_dscnt 0x0
	s_barrier_signal -1
	s_barrier_wait -1
	s_barrier_signal -1
	s_barrier_wait -1
	s_and_saveexec_b32 s7, s2
; %bb.105:                              ;   in Loop: Header=BB145_3 Depth=1
	ds_store_b64 v55, v[42:43] offset:32704
; %bb.106:                              ;   in Loop: Header=BB145_3 Depth=1
	s_or_b32 exec_lo, exec_lo, s7
	s_wait_dscnt 0x0
	s_barrier_signal -1
	s_barrier_wait -1
	s_barrier_signal -1
	s_barrier_wait -1
	s_and_saveexec_b32 s7, s11
; %bb.107:                              ;   in Loop: Header=BB145_3 Depth=1
	v_add_nc_u32_e64 v3, 0x7000, 0
	ds_store_2addr_b64 v3, v[34:35], v[34:35] offset0:186 offset1:251
; %bb.108:                              ;   in Loop: Header=BB145_3 Depth=1
	s_or_b32 exec_lo, exec_lo, s7
	v_dual_mov_b32 v42, 0 :: v_dual_mov_b32 v43, 0
	s_wait_dscnt 0x0
	s_barrier_signal -1
	s_barrier_wait -1
	global_wb scope:SCOPE_DEV
	s_wait_storecnt 0x0
	global_inv scope:SCOPE_DEV
	s_and_saveexec_b32 s7, s1
	s_cbranch_execz .LBB145_112
; %bb.109:                              ;   in Loop: Header=BB145_3 Depth=1
	ds_load_b64 v[42:43], v48 offset:30144
	ds_load_b64 v[44:45], v49 offset:30672
	s_wait_dscnt 0x0
	v_pk_mul_f32 v[46:47], v[44:45], v[42:43] op_sel:[1,1] op_sel_hi:[0,1]
	s_delay_alu instid0(VALU_DEP_1) | instskip(SKIP_1) | instid1(VALU_DEP_2)
	v_pk_fma_f32 v[84:85], v[44:45], v[42:43], v[46:47] op_sel_hi:[1,0,1]
	v_pk_fma_f32 v[42:43], v[44:45], v[42:43], v[46:47] neg_lo:[0,0,1] neg_hi:[0,0,1]
	v_mov_b32_e32 v43, v85
	s_delay_alu instid0(VALU_DEP_1)
	v_pk_add_f32 v[42:43], v[42:43], 0 op_sel_hi:[1,0]
	s_and_saveexec_b32 s8, s12
	s_cbranch_execz .LBB145_111
; %bb.110:                              ;   in Loop: Header=BB145_3 Depth=1
	ds_load_b64 v[44:45], v50 offset:30656
	ds_load_b64 v[46:47], v7 offset:30680
	s_wait_dscnt 0x0
	v_pk_mul_f32 v[84:85], v[46:47], v[44:45] op_sel:[1,1] op_sel_hi:[0,1]
	s_delay_alu instid0(VALU_DEP_1) | instskip(SKIP_1) | instid1(VALU_DEP_2)
	v_pk_fma_f32 v[86:87], v[46:47], v[44:45], v[84:85] op_sel_hi:[1,0,1]
	v_pk_fma_f32 v[44:45], v[46:47], v[44:45], v[84:85] neg_lo:[0,0,1] neg_hi:[0,0,1]
	v_mov_b32_e32 v45, v87
	s_delay_alu instid0(VALU_DEP_1)
	v_pk_add_f32 v[42:43], v[42:43], v[44:45]
.LBB145_111:                            ;   in Loop: Header=BB145_3 Depth=1
	s_or_b32 exec_lo, exec_lo, s8
.LBB145_112:                            ;   in Loop: Header=BB145_3 Depth=1
	s_delay_alu instid0(SALU_CYCLE_1)
	s_or_b32 exec_lo, exec_lo, s7
	s_and_saveexec_b32 s7, s103
; %bb.113:                              ;   in Loop: Header=BB145_3 Depth=1
	s_delay_alu instid0(VALU_DEP_1)
	v_pk_add_f32 v[44:45], v[42:43], 0 neg_lo:[1,1] neg_hi:[1,1]
	ds_store_b64 v5, v[44:45]
; %bb.114:                              ;   in Loop: Header=BB145_3 Depth=1
	s_or_b32 exec_lo, exec_lo, s7
	s_wait_loadcnt_dscnt 0x0
	s_barrier_signal -1
	s_barrier_wait -1
	s_and_saveexec_b32 s7, s104
	s_cbranch_execz .LBB145_116
; %bb.115:                              ;   in Loop: Header=BB145_3 Depth=1
	ds_load_b64 v[44:45], v7 offset:29632
	ds_load_b64 v[46:47], v5
	s_wait_dscnt 0x0
	v_pk_mul_f32 v[84:85], v[46:47], v[44:45] op_sel_hi:[1,0]
	s_delay_alu instid0(VALU_DEP_1) | instskip(SKIP_1) | instid1(VALU_DEP_2)
	v_pk_fma_f32 v[86:87], v[46:47], v[44:45], v[84:85] op_sel:[1,1,0] op_sel_hi:[0,1,1]
	v_pk_fma_f32 v[44:45], v[46:47], v[44:45], v[84:85] op_sel:[1,1,0] op_sel_hi:[0,1,1] neg_lo:[0,0,1] neg_hi:[0,0,1]
	v_pk_add_f32 v[46:47], v[42:43], v[86:87] neg_lo:[0,1] neg_hi:[0,1]
	s_delay_alu instid0(VALU_DEP_2) | instskip(NEXT) | instid1(VALU_DEP_2)
	v_pk_add_f32 v[42:43], v[42:43], v[44:45]
	v_mov_b32_e32 v43, v47
.LBB145_116:                            ;   in Loop: Header=BB145_3 Depth=1
	s_or_b32 exec_lo, exec_lo, s7
	s_barrier_signal -1
	s_barrier_wait -1
	s_and_saveexec_b32 s7, s104
; %bb.117:                              ;   in Loop: Header=BB145_3 Depth=1
	v_pk_add_f32 v[44:45], v[42:43], 0 neg_lo:[1,1] neg_hi:[1,1]
	ds_store_b64 v5, v[44:45]
; %bb.118:                              ;   in Loop: Header=BB145_3 Depth=1
	s_or_b32 exec_lo, exec_lo, s7
	s_wait_dscnt 0x0
	s_barrier_signal -1
	s_barrier_wait -1
	s_barrier_signal -1
	s_barrier_wait -1
	s_and_saveexec_b32 s7, s1
; %bb.119:                              ;   in Loop: Header=BB145_3 Depth=1
	ds_store_b64 v51, v[42:43] offset:30656
; %bb.120:                              ;   in Loop: Header=BB145_3 Depth=1
	s_or_b32 exec_lo, exec_lo, s7
	s_wait_dscnt 0x0
	s_barrier_signal -1
	s_barrier_wait -1
	s_barrier_signal -1
	s_barrier_wait -1
	s_and_saveexec_b32 s7, s11
; %bb.121:                              ;   in Loop: Header=BB145_3 Depth=1
	v_add_nc_u32_e64 v3, 0x7000, 0
	ds_store_2addr_b64 v3, v[34:35], v[34:35] offset0:56 offset1:121
; %bb.122:                              ;   in Loop: Header=BB145_3 Depth=1
	s_or_b32 exec_lo, exec_lo, s7
	v_mov_b64_e32 v[42:43], 0
	s_wait_dscnt 0x0
	s_barrier_signal -1
	s_barrier_wait -1
	global_wb scope:SCOPE_DEV
	s_wait_storecnt 0x0
	global_inv scope:SCOPE_DEV
	s_and_saveexec_b32 s7, s3
	s_cbranch_execz .LBB145_132
; %bb.123:                              ;   in Loop: Header=BB145_3 Depth=1
	ds_load_b64 v[42:43], v57 offset:29056
	ds_load_b64 v[44:45], v58 offset:32704
	s_wait_dscnt 0x0
	v_dual_mul_f32 v3, v45, v43 :: v_dual_mul_f32 v43, v44, v43
	s_delay_alu instid0(VALU_DEP_1) | instskip(NEXT) | instid1(VALU_DEP_1)
	v_fmac_f32_e32 v43, v45, v42
	v_dual_fma_f32 v3, v44, v42, -v3 :: v_dual_add_f32 v43, 0, v43
	s_delay_alu instid0(VALU_DEP_1)
	v_add_f32_e32 v42, 0, v3
	s_and_saveexec_b32 s8, s15
	s_cbranch_execnz .LBB145_1002
; %bb.124:                              ;   in Loop: Header=BB145_3 Depth=1
	s_or_b32 exec_lo, exec_lo, s8
	s_and_saveexec_b32 s8, s16
	s_cbranch_execnz .LBB145_1003
.LBB145_125:                            ;   in Loop: Header=BB145_3 Depth=1
	s_or_b32 exec_lo, exec_lo, s8
	s_and_saveexec_b32 s8, s17
	s_cbranch_execnz .LBB145_1004
.LBB145_126:                            ;   in Loop: Header=BB145_3 Depth=1
	s_or_b32 exec_lo, exec_lo, s8
	s_and_saveexec_b32 s8, s18
	s_cbranch_execnz .LBB145_1005
.LBB145_127:                            ;   in Loop: Header=BB145_3 Depth=1
	s_or_b32 exec_lo, exec_lo, s8
	s_and_saveexec_b32 s8, s19
	s_cbranch_execnz .LBB145_1006
.LBB145_128:                            ;   in Loop: Header=BB145_3 Depth=1
	s_or_b32 exec_lo, exec_lo, s8
	s_and_saveexec_b32 s8, s2
	s_cbranch_execnz .LBB145_1007
.LBB145_129:                            ;   in Loop: Header=BB145_3 Depth=1
	s_or_b32 exec_lo, exec_lo, s8
	s_and_saveexec_b32 s8, s14
	s_cbranch_execz .LBB145_131
.LBB145_130:                            ;   in Loop: Header=BB145_3 Depth=1
	ds_load_b64 v[44:45], v50 offset:32640
	ds_load_b64 v[46:47], v7 offset:32760
	s_wait_dscnt 0x0
	v_pk_mul_f32 v[84:85], v[46:47], v[44:45] op_sel:[1,1] op_sel_hi:[0,1]
	s_delay_alu instid0(VALU_DEP_1) | instskip(SKIP_1) | instid1(VALU_DEP_2)
	v_pk_fma_f32 v[86:87], v[46:47], v[44:45], v[84:85] op_sel_hi:[1,0,1]
	v_pk_fma_f32 v[44:45], v[46:47], v[44:45], v[84:85] neg_lo:[0,0,1] neg_hi:[0,0,1]
	v_mov_b32_e32 v45, v87
	s_delay_alu instid0(VALU_DEP_1)
	v_pk_add_f32 v[42:43], v[42:43], v[44:45]
.LBB145_131:                            ;   in Loop: Header=BB145_3 Depth=1
	s_or_b32 exec_lo, exec_lo, s8
.LBB145_132:                            ;   in Loop: Header=BB145_3 Depth=1
	s_delay_alu instid0(SALU_CYCLE_1)
	s_or_b32 exec_lo, exec_lo, s7
	s_and_saveexec_b32 s7, s48
; %bb.133:                              ;   in Loop: Header=BB145_3 Depth=1
	s_delay_alu instid0(VALU_DEP_1)
	v_pk_add_f32 v[44:45], v[42:43], 0 neg_lo:[1,1] neg_hi:[1,1]
	ds_store_b64 v56, v[44:45]
; %bb.134:                              ;   in Loop: Header=BB145_3 Depth=1
	s_or_b32 exec_lo, exec_lo, s7
	s_wait_loadcnt_dscnt 0x0
	s_barrier_signal -1
	s_barrier_wait -1
	s_and_saveexec_b32 s7, s49
	s_cbranch_execz .LBB145_136
; %bb.135:                              ;   in Loop: Header=BB145_3 Depth=1
	ds_load_b64 v[44:45], v57 offset:28544
	ds_load_b64 v[46:47], v56
	s_wait_dscnt 0x0
	v_pk_mul_f32 v[84:85], v[46:47], v[44:45] op_sel:[1,1] op_sel_hi:[0,1]
	s_delay_alu instid0(VALU_DEP_1) | instskip(SKIP_1) | instid1(VALU_DEP_2)
	v_pk_fma_f32 v[86:87], v[46:47], v[44:45], v[84:85] op_sel_hi:[1,0,1]
	v_pk_fma_f32 v[44:45], v[46:47], v[44:45], v[84:85] neg_lo:[0,0,1] neg_hi:[0,0,1]
	v_mov_b32_e32 v45, v87
	s_delay_alu instid0(VALU_DEP_1)
	v_pk_add_f32 v[42:43], v[42:43], v[44:45] neg_lo:[0,1] neg_hi:[0,1]
.LBB145_136:                            ;   in Loop: Header=BB145_3 Depth=1
	s_or_b32 exec_lo, exec_lo, s7
	s_barrier_signal -1
	s_barrier_wait -1
	s_and_saveexec_b32 s7, s50
; %bb.137:                              ;   in Loop: Header=BB145_3 Depth=1
	v_pk_add_f32 v[44:45], v[42:43], 0 neg_lo:[1,1] neg_hi:[1,1]
	ds_store_b64 v56, v[44:45]
; %bb.138:                              ;   in Loop: Header=BB145_3 Depth=1
	s_or_b32 exec_lo, exec_lo, s7
	s_wait_dscnt 0x0
	s_barrier_signal -1
	s_barrier_wait -1
	s_and_saveexec_b32 s7, s51
	s_cbranch_execz .LBB145_140
; %bb.139:                              ;   in Loop: Header=BB145_3 Depth=1
	ds_load_b64 v[44:45], v57 offset:28032
	ds_load_b64 v[46:47], v56
	s_wait_dscnt 0x0
	v_dual_mul_f32 v3, v47, v45 :: v_dual_mul_f32 v45, v46, v45
	s_delay_alu instid0(VALU_DEP_1) | instskip(NEXT) | instid1(VALU_DEP_1)
	v_dual_fma_f32 v3, v46, v44, -v3 :: v_dual_fmac_f32 v45, v47, v44
	v_dual_sub_f32 v42, v42, v3 :: v_dual_sub_f32 v43, v43, v45
.LBB145_140:                            ;   in Loop: Header=BB145_3 Depth=1
	s_or_b32 exec_lo, exec_lo, s7
	s_barrier_signal -1
	s_barrier_wait -1
	s_and_saveexec_b32 s7, s52
; %bb.141:                              ;   in Loop: Header=BB145_3 Depth=1
	v_pk_add_f32 v[44:45], v[42:43], 0 neg_lo:[1,1] neg_hi:[1,1]
	ds_store_b64 v56, v[44:45]
; %bb.142:                              ;   in Loop: Header=BB145_3 Depth=1
	s_or_b32 exec_lo, exec_lo, s7
	s_wait_dscnt 0x0
	s_barrier_signal -1
	s_barrier_wait -1
	s_and_saveexec_b32 s7, s53
	s_cbranch_execz .LBB145_144
; %bb.143:                              ;   in Loop: Header=BB145_3 Depth=1
	ds_load_b64 v[44:45], v57 offset:27520
	ds_load_b64 v[46:47], v56
	s_wait_dscnt 0x0
	v_dual_mul_f32 v3, v47, v45 :: v_dual_mul_f32 v85, v46, v45
	s_delay_alu instid0(VALU_DEP_1) | instskip(NEXT) | instid1(VALU_DEP_1)
	v_dual_fma_f32 v84, v46, v44, -v3 :: v_dual_fmac_f32 v85, v47, v44
	v_pk_add_f32 v[42:43], v[42:43], v[84:85] neg_lo:[0,1] neg_hi:[0,1]
.LBB145_144:                            ;   in Loop: Header=BB145_3 Depth=1
	s_or_b32 exec_lo, exec_lo, s7
	s_barrier_signal -1
	s_barrier_wait -1
	s_and_saveexec_b32 s7, s54
; %bb.145:                              ;   in Loop: Header=BB145_3 Depth=1
	v_pk_add_f32 v[44:45], v[42:43], 0 neg_lo:[1,1] neg_hi:[1,1]
	ds_store_b64 v56, v[44:45]
; %bb.146:                              ;   in Loop: Header=BB145_3 Depth=1
	s_or_b32 exec_lo, exec_lo, s7
	s_wait_dscnt 0x0
	s_barrier_signal -1
	s_barrier_wait -1
	s_and_saveexec_b32 s7, s55
	s_cbranch_execz .LBB145_148
; %bb.147:                              ;   in Loop: Header=BB145_3 Depth=1
	ds_load_b64 v[44:45], v57 offset:27008
	ds_load_b64 v[46:47], v56
	s_wait_dscnt 0x0
	v_pk_mul_f32 v[84:85], v[46:47], v[44:45] op_sel:[1,1] op_sel_hi:[0,1]
	s_delay_alu instid0(VALU_DEP_1) | instskip(SKIP_1) | instid1(VALU_DEP_2)
	v_pk_fma_f32 v[86:87], v[46:47], v[44:45], v[84:85] op_sel_hi:[1,0,1]
	v_pk_fma_f32 v[44:45], v[46:47], v[44:45], v[84:85] neg_lo:[0,0,1] neg_hi:[0,0,1]
	v_mov_b32_e32 v45, v87
	s_delay_alu instid0(VALU_DEP_1)
	v_pk_add_f32 v[42:43], v[42:43], v[44:45] neg_lo:[0,1] neg_hi:[0,1]
.LBB145_148:                            ;   in Loop: Header=BB145_3 Depth=1
	s_or_b32 exec_lo, exec_lo, s7
	s_barrier_signal -1
	s_barrier_wait -1
	s_and_saveexec_b32 s7, s56
; %bb.149:                              ;   in Loop: Header=BB145_3 Depth=1
	v_pk_add_f32 v[44:45], v[42:43], 0 neg_lo:[1,1] neg_hi:[1,1]
	ds_store_b64 v56, v[44:45]
; %bb.150:                              ;   in Loop: Header=BB145_3 Depth=1
	s_or_b32 exec_lo, exec_lo, s7
	s_wait_dscnt 0x0
	s_barrier_signal -1
	s_barrier_wait -1
	s_and_saveexec_b32 s7, s57
	s_cbranch_execz .LBB145_152
; %bb.151:                              ;   in Loop: Header=BB145_3 Depth=1
	ds_load_b64 v[44:45], v57 offset:26496
	ds_load_b64 v[46:47], v56
	s_wait_dscnt 0x0
	v_pk_mul_f32 v[84:85], v[46:47], v[44:45] op_sel:[1,1] op_sel_hi:[0,1]
	s_delay_alu instid0(VALU_DEP_1) | instskip(SKIP_1) | instid1(VALU_DEP_2)
	v_pk_fma_f32 v[86:87], v[46:47], v[44:45], v[84:85] op_sel_hi:[1,0,1]
	v_pk_fma_f32 v[44:45], v[46:47], v[44:45], v[84:85] neg_lo:[0,0,1] neg_hi:[0,0,1]
	v_mov_b32_e32 v45, v87
	s_delay_alu instid0(VALU_DEP_1)
	v_pk_add_f32 v[42:43], v[42:43], v[44:45] neg_lo:[0,1] neg_hi:[0,1]
.LBB145_152:                            ;   in Loop: Header=BB145_3 Depth=1
	;; [unrolled: 26-line block ×4, first 2 shown]
	s_or_b32 exec_lo, exec_lo, s7
	s_barrier_signal -1
	s_barrier_wait -1
	s_and_saveexec_b32 s7, s61
; %bb.161:                              ;   in Loop: Header=BB145_3 Depth=1
	v_pk_add_f32 v[44:45], v[42:43], 0 neg_lo:[1,1] neg_hi:[1,1]
	ds_store_b64 v56, v[44:45]
; %bb.162:                              ;   in Loop: Header=BB145_3 Depth=1
	s_or_b32 exec_lo, exec_lo, s7
	s_wait_dscnt 0x0
	s_barrier_signal -1
	s_barrier_wait -1
	s_barrier_signal -1
	s_barrier_wait -1
	s_and_saveexec_b32 s7, s3
; %bb.163:                              ;   in Loop: Header=BB145_3 Depth=1
	ds_store_b64 v59, v[42:43] offset:32640
; %bb.164:                              ;   in Loop: Header=BB145_3 Depth=1
	s_or_b32 exec_lo, exec_lo, s7
	s_wait_dscnt 0x0
	s_barrier_signal -1
	s_barrier_wait -1
	s_barrier_signal -1
	s_barrier_wait -1
	s_and_saveexec_b32 s7, s11
; %bb.165:                              ;   in Loop: Header=BB145_3 Depth=1
	v_add_nc_u32_e64 v3, 0x6800, 0
	ds_store_2addr_b64 v3, v[34:35], v[34:35] offset0:182 offset1:247
; %bb.166:                              ;   in Loop: Header=BB145_3 Depth=1
	s_or_b32 exec_lo, exec_lo, s7
	v_dual_mov_b32 v42, 0 :: v_dual_mov_b32 v43, 0
	s_wait_dscnt 0x0
	s_barrier_signal -1
	s_barrier_wait -1
	global_wb scope:SCOPE_DEV
	s_wait_storecnt 0x0
	global_inv scope:SCOPE_DEV
	s_and_saveexec_b32 s7, s1
	s_cbranch_execz .LBB145_170
; %bb.167:                              ;   in Loop: Header=BB145_3 Depth=1
	ds_load_b64 v[42:43], v48 offset:28064
	ds_load_b64 v[44:45], v49 offset:28592
	s_wait_dscnt 0x0
	v_pk_mul_f32 v[46:47], v[44:45], v[42:43] op_sel:[1,1] op_sel_hi:[0,1]
	s_delay_alu instid0(VALU_DEP_1) | instskip(SKIP_1) | instid1(VALU_DEP_2)
	v_pk_fma_f32 v[84:85], v[44:45], v[42:43], v[46:47] op_sel_hi:[1,0,1]
	v_pk_fma_f32 v[42:43], v[44:45], v[42:43], v[46:47] neg_lo:[0,0,1] neg_hi:[0,0,1]
	v_mov_b32_e32 v43, v85
	s_delay_alu instid0(VALU_DEP_1)
	v_pk_add_f32 v[42:43], v[42:43], 0 op_sel_hi:[1,0]
	s_and_saveexec_b32 s8, s12
	s_cbranch_execz .LBB145_169
; %bb.168:                              ;   in Loop: Header=BB145_3 Depth=1
	ds_load_b64 v[44:45], v50 offset:28576
	ds_load_b64 v[46:47], v7 offset:28600
	s_wait_dscnt 0x0
	v_pk_mul_f32 v[84:85], v[46:47], v[44:45] op_sel:[1,1] op_sel_hi:[0,1]
	s_delay_alu instid0(VALU_DEP_1) | instskip(SKIP_1) | instid1(VALU_DEP_2)
	v_pk_fma_f32 v[86:87], v[46:47], v[44:45], v[84:85] op_sel_hi:[1,0,1]
	v_pk_fma_f32 v[44:45], v[46:47], v[44:45], v[84:85] neg_lo:[0,0,1] neg_hi:[0,0,1]
	v_mov_b32_e32 v45, v87
	s_delay_alu instid0(VALU_DEP_1)
	v_pk_add_f32 v[42:43], v[42:43], v[44:45]
.LBB145_169:                            ;   in Loop: Header=BB145_3 Depth=1
	s_or_b32 exec_lo, exec_lo, s8
.LBB145_170:                            ;   in Loop: Header=BB145_3 Depth=1
	s_delay_alu instid0(SALU_CYCLE_1)
	s_or_b32 exec_lo, exec_lo, s7
	s_and_saveexec_b32 s7, s103
; %bb.171:                              ;   in Loop: Header=BB145_3 Depth=1
	s_delay_alu instid0(VALU_DEP_1)
	v_pk_add_f32 v[44:45], v[42:43], 0 neg_lo:[1,1] neg_hi:[1,1]
	ds_store_b64 v5, v[44:45]
; %bb.172:                              ;   in Loop: Header=BB145_3 Depth=1
	s_or_b32 exec_lo, exec_lo, s7
	s_wait_loadcnt_dscnt 0x0
	s_barrier_signal -1
	s_barrier_wait -1
	s_and_saveexec_b32 s7, s104
	s_cbranch_execz .LBB145_174
; %bb.173:                              ;   in Loop: Header=BB145_3 Depth=1
	ds_load_b64 v[44:45], v7 offset:27552
	ds_load_b64 v[46:47], v5
	s_wait_dscnt 0x0
	v_pk_mul_f32 v[84:85], v[46:47], v[44:45] op_sel_hi:[1,0]
	s_delay_alu instid0(VALU_DEP_1) | instskip(SKIP_1) | instid1(VALU_DEP_2)
	v_pk_fma_f32 v[86:87], v[46:47], v[44:45], v[84:85] op_sel:[1,1,0] op_sel_hi:[0,1,1]
	v_pk_fma_f32 v[44:45], v[46:47], v[44:45], v[84:85] op_sel:[1,1,0] op_sel_hi:[0,1,1] neg_lo:[0,0,1] neg_hi:[0,0,1]
	v_pk_add_f32 v[46:47], v[42:43], v[86:87] neg_lo:[0,1] neg_hi:[0,1]
	s_delay_alu instid0(VALU_DEP_2) | instskip(NEXT) | instid1(VALU_DEP_2)
	v_pk_add_f32 v[42:43], v[42:43], v[44:45]
	v_mov_b32_e32 v43, v47
.LBB145_174:                            ;   in Loop: Header=BB145_3 Depth=1
	s_or_b32 exec_lo, exec_lo, s7
	s_barrier_signal -1
	s_barrier_wait -1
	s_and_saveexec_b32 s7, s104
; %bb.175:                              ;   in Loop: Header=BB145_3 Depth=1
	v_pk_add_f32 v[44:45], v[42:43], 0 neg_lo:[1,1] neg_hi:[1,1]
	ds_store_b64 v5, v[44:45]
; %bb.176:                              ;   in Loop: Header=BB145_3 Depth=1
	s_or_b32 exec_lo, exec_lo, s7
	s_wait_dscnt 0x0
	s_barrier_signal -1
	s_barrier_wait -1
	s_barrier_signal -1
	s_barrier_wait -1
	s_and_saveexec_b32 s7, s1
; %bb.177:                              ;   in Loop: Header=BB145_3 Depth=1
	ds_store_b64 v51, v[42:43] offset:28576
; %bb.178:                              ;   in Loop: Header=BB145_3 Depth=1
	s_or_b32 exec_lo, exec_lo, s7
	s_wait_dscnt 0x0
	s_barrier_signal -1
	s_barrier_wait -1
	s_barrier_signal -1
	s_barrier_wait -1
	s_and_saveexec_b32 s7, s11
; %bb.179:                              ;   in Loop: Header=BB145_3 Depth=1
	v_add_nc_u32_e64 v3, 0x6800, 0
	ds_store_2addr_b64 v3, v[34:35], v[34:35] offset0:52 offset1:117
; %bb.180:                              ;   in Loop: Header=BB145_3 Depth=1
	s_or_b32 exec_lo, exec_lo, s7
	v_mov_b64_e32 v[42:43], 0
	s_wait_dscnt 0x0
	s_barrier_signal -1
	s_barrier_wait -1
	global_wb scope:SCOPE_DEV
	s_wait_storecnt 0x0
	global_inv scope:SCOPE_DEV
	s_and_saveexec_b32 s7, s2
	s_cbranch_execz .LBB145_186
; %bb.181:                              ;   in Loop: Header=BB145_3 Depth=1
	ds_load_b64 v[42:43], v53 offset:27008
	ds_load_b64 v[44:45], v54 offset:28576
	s_wait_dscnt 0x0
	v_dual_mul_f32 v3, v45, v43 :: v_dual_mul_f32 v43, v44, v43
	s_delay_alu instid0(VALU_DEP_1) | instskip(NEXT) | instid1(VALU_DEP_1)
	v_fmac_f32_e32 v43, v45, v42
	v_dual_fma_f32 v3, v44, v42, -v3 :: v_dual_add_f32 v43, 0, v43
	s_delay_alu instid0(VALU_DEP_1)
	v_add_f32_e32 v42, 0, v3
	s_and_saveexec_b32 s8, s13
	s_cbranch_execnz .LBB145_1008
; %bb.182:                              ;   in Loop: Header=BB145_3 Depth=1
	s_or_b32 exec_lo, exec_lo, s8
	s_and_saveexec_b32 s8, s14
	s_cbranch_execnz .LBB145_1009
.LBB145_183:                            ;   in Loop: Header=BB145_3 Depth=1
	s_or_b32 exec_lo, exec_lo, s8
	s_and_saveexec_b32 s8, s1
	s_cbranch_execz .LBB145_185
.LBB145_184:                            ;   in Loop: Header=BB145_3 Depth=1
	ds_load_b64 v[44:45], v50 offset:28544
	ds_load_b64 v[46:47], v7 offset:28600
	s_wait_dscnt 0x0
	v_pk_mul_f32 v[84:85], v[46:47], v[44:45] op_sel:[1,1] op_sel_hi:[0,1]
	s_delay_alu instid0(VALU_DEP_1) | instskip(SKIP_1) | instid1(VALU_DEP_2)
	v_pk_fma_f32 v[86:87], v[46:47], v[44:45], v[84:85] op_sel_hi:[1,0,1]
	v_pk_fma_f32 v[44:45], v[46:47], v[44:45], v[84:85] neg_lo:[0,0,1] neg_hi:[0,0,1]
	v_mov_b32_e32 v45, v87
	s_delay_alu instid0(VALU_DEP_1)
	v_pk_add_f32 v[42:43], v[42:43], v[44:45]
.LBB145_185:                            ;   in Loop: Header=BB145_3 Depth=1
	s_or_b32 exec_lo, exec_lo, s8
.LBB145_186:                            ;   in Loop: Header=BB145_3 Depth=1
	s_delay_alu instid0(SALU_CYCLE_1)
	s_or_b32 exec_lo, exec_lo, s7
	s_and_saveexec_b32 s7, vcc_hi
; %bb.187:                              ;   in Loop: Header=BB145_3 Depth=1
	s_delay_alu instid0(VALU_DEP_1)
	v_pk_add_f32 v[44:45], v[42:43], 0 neg_lo:[1,1] neg_hi:[1,1]
	ds_store_b64 v52, v[44:45]
; %bb.188:                              ;   in Loop: Header=BB145_3 Depth=1
	s_or_b32 exec_lo, exec_lo, s7
	s_wait_loadcnt_dscnt 0x0
	s_barrier_signal -1
	s_barrier_wait -1
	s_and_saveexec_b32 s7, s43
	s_cbranch_execz .LBB145_190
; %bb.189:                              ;   in Loop: Header=BB145_3 Depth=1
	ds_load_b64 v[44:45], v53 offset:26496
	ds_load_b64 v[46:47], v52
	s_wait_dscnt 0x0
	v_pk_mul_f32 v[84:85], v[46:47], v[44:45] op_sel:[1,1] op_sel_hi:[0,1]
	s_delay_alu instid0(VALU_DEP_1) | instskip(SKIP_1) | instid1(VALU_DEP_2)
	v_pk_fma_f32 v[86:87], v[46:47], v[44:45], v[84:85] op_sel_hi:[1,0,1]
	v_pk_fma_f32 v[44:45], v[46:47], v[44:45], v[84:85] neg_lo:[0,0,1] neg_hi:[0,0,1]
	v_mov_b32_e32 v45, v87
	s_delay_alu instid0(VALU_DEP_1)
	v_pk_add_f32 v[42:43], v[42:43], v[44:45] neg_lo:[0,1] neg_hi:[0,1]
.LBB145_190:                            ;   in Loop: Header=BB145_3 Depth=1
	s_or_b32 exec_lo, exec_lo, s7
	s_barrier_signal -1
	s_barrier_wait -1
	s_and_saveexec_b32 s7, s44
; %bb.191:                              ;   in Loop: Header=BB145_3 Depth=1
	v_pk_add_f32 v[44:45], v[42:43], 0 neg_lo:[1,1] neg_hi:[1,1]
	ds_store_b64 v52, v[44:45]
; %bb.192:                              ;   in Loop: Header=BB145_3 Depth=1
	s_or_b32 exec_lo, exec_lo, s7
	s_wait_dscnt 0x0
	s_barrier_signal -1
	s_barrier_wait -1
	s_and_saveexec_b32 s7, s45
	s_cbranch_execz .LBB145_194
; %bb.193:                              ;   in Loop: Header=BB145_3 Depth=1
	ds_load_b64 v[44:45], v53 offset:25984
	ds_load_b64 v[46:47], v52
	s_wait_dscnt 0x0
	v_pk_mul_f32 v[84:85], v[46:47], v[44:45] op_sel:[1,1] op_sel_hi:[0,1]
	s_delay_alu instid0(VALU_DEP_1) | instskip(SKIP_1) | instid1(VALU_DEP_2)
	v_pk_fma_f32 v[86:87], v[46:47], v[44:45], v[84:85] op_sel_hi:[1,0,1]
	v_pk_fma_f32 v[44:45], v[46:47], v[44:45], v[84:85] neg_lo:[0,0,1] neg_hi:[0,0,1]
	v_mov_b32_e32 v45, v87
	s_delay_alu instid0(VALU_DEP_1)
	v_pk_add_f32 v[42:43], v[42:43], v[44:45] neg_lo:[0,1] neg_hi:[0,1]
.LBB145_194:                            ;   in Loop: Header=BB145_3 Depth=1
	s_or_b32 exec_lo, exec_lo, s7
	s_barrier_signal -1
	s_barrier_wait -1
	s_and_saveexec_b32 s7, s46
; %bb.195:                              ;   in Loop: Header=BB145_3 Depth=1
	v_pk_add_f32 v[44:45], v[42:43], 0 neg_lo:[1,1] neg_hi:[1,1]
	ds_store_b64 v52, v[44:45]
; %bb.196:                              ;   in Loop: Header=BB145_3 Depth=1
	s_or_b32 exec_lo, exec_lo, s7
	s_wait_dscnt 0x0
	;; [unrolled: 26-line block ×3, first 2 shown]
	s_barrier_signal -1
	s_barrier_wait -1
	s_barrier_signal -1
	s_barrier_wait -1
	s_and_saveexec_b32 s7, s2
; %bb.201:                              ;   in Loop: Header=BB145_3 Depth=1
	ds_store_b64 v55, v[42:43] offset:28544
; %bb.202:                              ;   in Loop: Header=BB145_3 Depth=1
	s_or_b32 exec_lo, exec_lo, s7
	s_wait_dscnt 0x0
	s_barrier_signal -1
	s_barrier_wait -1
	s_barrier_signal -1
	s_barrier_wait -1
	s_and_saveexec_b32 s7, s11
; %bb.203:                              ;   in Loop: Header=BB145_3 Depth=1
	v_add_nc_u32_e64 v3, 0x6000, 0
	ds_store_2addr_b64 v3, v[34:35], v[34:35] offset0:178 offset1:243
; %bb.204:                              ;   in Loop: Header=BB145_3 Depth=1
	s_or_b32 exec_lo, exec_lo, s7
	v_dual_mov_b32 v42, 0 :: v_dual_mov_b32 v43, 0
	s_wait_dscnt 0x0
	s_barrier_signal -1
	s_barrier_wait -1
	global_wb scope:SCOPE_DEV
	s_wait_storecnt 0x0
	global_inv scope:SCOPE_DEV
	s_and_saveexec_b32 s7, s1
	s_cbranch_execz .LBB145_208
; %bb.205:                              ;   in Loop: Header=BB145_3 Depth=1
	ds_load_b64 v[42:43], v48 offset:25984
	ds_load_b64 v[44:45], v49 offset:26512
	s_wait_dscnt 0x0
	v_pk_mul_f32 v[46:47], v[44:45], v[42:43] op_sel:[1,1] op_sel_hi:[0,1]
	s_delay_alu instid0(VALU_DEP_1) | instskip(SKIP_1) | instid1(VALU_DEP_2)
	v_pk_fma_f32 v[84:85], v[44:45], v[42:43], v[46:47] op_sel_hi:[1,0,1]
	v_pk_fma_f32 v[42:43], v[44:45], v[42:43], v[46:47] neg_lo:[0,0,1] neg_hi:[0,0,1]
	v_mov_b32_e32 v43, v85
	s_delay_alu instid0(VALU_DEP_1)
	v_pk_add_f32 v[42:43], v[42:43], 0 op_sel_hi:[1,0]
	s_and_saveexec_b32 s8, s12
	s_cbranch_execz .LBB145_207
; %bb.206:                              ;   in Loop: Header=BB145_3 Depth=1
	ds_load_b64 v[44:45], v50 offset:26496
	ds_load_b64 v[46:47], v7 offset:26520
	s_wait_dscnt 0x0
	v_pk_mul_f32 v[84:85], v[46:47], v[44:45] op_sel:[1,1] op_sel_hi:[0,1]
	s_delay_alu instid0(VALU_DEP_1) | instskip(SKIP_1) | instid1(VALU_DEP_2)
	v_pk_fma_f32 v[86:87], v[46:47], v[44:45], v[84:85] op_sel_hi:[1,0,1]
	v_pk_fma_f32 v[44:45], v[46:47], v[44:45], v[84:85] neg_lo:[0,0,1] neg_hi:[0,0,1]
	v_mov_b32_e32 v45, v87
	s_delay_alu instid0(VALU_DEP_1)
	v_pk_add_f32 v[42:43], v[42:43], v[44:45]
.LBB145_207:                            ;   in Loop: Header=BB145_3 Depth=1
	s_or_b32 exec_lo, exec_lo, s8
.LBB145_208:                            ;   in Loop: Header=BB145_3 Depth=1
	s_delay_alu instid0(SALU_CYCLE_1)
	s_or_b32 exec_lo, exec_lo, s7
	s_and_saveexec_b32 s7, s103
; %bb.209:                              ;   in Loop: Header=BB145_3 Depth=1
	s_delay_alu instid0(VALU_DEP_1)
	v_pk_add_f32 v[44:45], v[42:43], 0 neg_lo:[1,1] neg_hi:[1,1]
	ds_store_b64 v5, v[44:45]
; %bb.210:                              ;   in Loop: Header=BB145_3 Depth=1
	s_or_b32 exec_lo, exec_lo, s7
	s_wait_loadcnt_dscnt 0x0
	s_barrier_signal -1
	s_barrier_wait -1
	s_and_saveexec_b32 s7, s104
	s_cbranch_execz .LBB145_212
; %bb.211:                              ;   in Loop: Header=BB145_3 Depth=1
	ds_load_b64 v[44:45], v7 offset:25472
	ds_load_b64 v[46:47], v5
	s_wait_dscnt 0x0
	v_pk_mul_f32 v[84:85], v[46:47], v[44:45] op_sel_hi:[1,0]
	s_delay_alu instid0(VALU_DEP_1) | instskip(SKIP_1) | instid1(VALU_DEP_2)
	v_pk_fma_f32 v[86:87], v[46:47], v[44:45], v[84:85] op_sel:[1,1,0] op_sel_hi:[0,1,1]
	v_pk_fma_f32 v[44:45], v[46:47], v[44:45], v[84:85] op_sel:[1,1,0] op_sel_hi:[0,1,1] neg_lo:[0,0,1] neg_hi:[0,0,1]
	v_pk_add_f32 v[46:47], v[42:43], v[86:87] neg_lo:[0,1] neg_hi:[0,1]
	s_delay_alu instid0(VALU_DEP_2) | instskip(NEXT) | instid1(VALU_DEP_2)
	v_pk_add_f32 v[42:43], v[42:43], v[44:45]
	v_mov_b32_e32 v43, v47
.LBB145_212:                            ;   in Loop: Header=BB145_3 Depth=1
	s_or_b32 exec_lo, exec_lo, s7
	s_barrier_signal -1
	s_barrier_wait -1
	s_and_saveexec_b32 s7, s104
; %bb.213:                              ;   in Loop: Header=BB145_3 Depth=1
	v_pk_add_f32 v[44:45], v[42:43], 0 neg_lo:[1,1] neg_hi:[1,1]
	ds_store_b64 v5, v[44:45]
; %bb.214:                              ;   in Loop: Header=BB145_3 Depth=1
	s_or_b32 exec_lo, exec_lo, s7
	s_wait_dscnt 0x0
	s_barrier_signal -1
	s_barrier_wait -1
	s_barrier_signal -1
	s_barrier_wait -1
	s_and_saveexec_b32 s7, s1
; %bb.215:                              ;   in Loop: Header=BB145_3 Depth=1
	ds_store_b64 v51, v[42:43] offset:26496
; %bb.216:                              ;   in Loop: Header=BB145_3 Depth=1
	s_or_b32 exec_lo, exec_lo, s7
	s_wait_dscnt 0x0
	s_barrier_signal -1
	s_barrier_wait -1
	s_barrier_signal -1
	s_barrier_wait -1
	s_and_saveexec_b32 s7, s11
; %bb.217:                              ;   in Loop: Header=BB145_3 Depth=1
	v_add_nc_u32_e64 v3, 0x6000, 0
	ds_store_2addr_b64 v3, v[34:35], v[34:35] offset0:48 offset1:113
; %bb.218:                              ;   in Loop: Header=BB145_3 Depth=1
	s_or_b32 exec_lo, exec_lo, s7
	v_mov_b64_e32 v[42:43], 0
	s_wait_dscnt 0x0
	s_barrier_signal -1
	s_barrier_wait -1
	global_wb scope:SCOPE_DEV
	s_wait_storecnt 0x0
	global_inv scope:SCOPE_DEV
	s_and_saveexec_b32 s66, s4
	s_cbranch_execz .LBB145_246
; %bb.219:                              ;   in Loop: Header=BB145_3 Depth=1
	ds_load_b64 v[42:43], v61 offset:24832
	ds_load_b64 v[44:45], v62 offset:32640
	s_wait_dscnt 0x0
	v_dual_mul_f32 v3, v45, v43 :: v_dual_mul_f32 v43, v44, v43
	s_delay_alu instid0(VALU_DEP_1) | instskip(NEXT) | instid1(VALU_DEP_1)
	v_fmac_f32_e32 v43, v45, v42
	v_dual_fma_f32 v3, v44, v42, -v3 :: v_dual_add_f32 v43, 0, v43
	s_delay_alu instid0(VALU_DEP_1) | instskip(SKIP_3) | instid1(SALU_CYCLE_1)
	v_add_f32_e32 v42, 0, v3
	s_mov_b32 s7, exec_lo
	v_readlane_b32 s8, v93, 25
	s_and_b32 s8, s7, s8
	s_mov_b32 exec_lo, s8
	s_cbranch_execz .LBB145_221
; %bb.220:                              ;   in Loop: Header=BB145_3 Depth=1
	ds_load_b64 v[44:45], v61 offset:25344
	ds_load_b64 v[46:47], v62 offset:32648
	s_wait_dscnt 0x0
	v_dual_mul_f32 v3, v47, v45 :: v_dual_mul_f32 v45, v46, v45
	s_delay_alu instid0(VALU_DEP_1) | instskip(NEXT) | instid1(VALU_DEP_1)
	v_dual_fma_f32 v3, v46, v44, -v3 :: v_dual_fmac_f32 v45, v47, v44
	v_dual_add_f32 v42, v42, v3 :: v_dual_add_f32 v43, v43, v45
.LBB145_221:                            ;   in Loop: Header=BB145_3 Depth=1
	s_or_b32 exec_lo, exec_lo, s7
	s_delay_alu instid0(SALU_CYCLE_1) | instskip(SKIP_2) | instid1(SALU_CYCLE_1)
	s_mov_b32 s7, exec_lo
	v_readlane_b32 s8, v93, 26
	s_and_b32 s8, s7, s8
	s_mov_b32 exec_lo, s8
	s_cbranch_execz .LBB145_223
; %bb.222:                              ;   in Loop: Header=BB145_3 Depth=1
	ds_load_b64 v[44:45], v61 offset:25856
	ds_load_b64 v[46:47], v62 offset:32656
	s_wait_dscnt 0x0
	v_dual_mul_f32 v3, v47, v45 :: v_dual_mul_f32 v45, v46, v45
	s_delay_alu instid0(VALU_DEP_1) | instskip(NEXT) | instid1(VALU_DEP_1)
	v_dual_fma_f32 v3, v46, v44, -v3 :: v_dual_fmac_f32 v45, v47, v44
	v_dual_add_f32 v42, v42, v3 :: v_dual_add_f32 v43, v43, v45
.LBB145_223:                            ;   in Loop: Header=BB145_3 Depth=1
	s_or_b32 exec_lo, exec_lo, s7
	s_delay_alu instid0(SALU_CYCLE_1) | instskip(SKIP_2) | instid1(SALU_CYCLE_1)
	;; [unrolled: 16-line block ×10, first 2 shown]
	s_mov_b32 s7, exec_lo
	v_readlane_b32 s8, v92, 4
	s_and_b32 s8, s7, s8
	s_mov_b32 exec_lo, s8
	s_cbranch_execnz .LBB145_1010
; %bb.240:                              ;   in Loop: Header=BB145_3 Depth=1
	s_or_b32 exec_lo, exec_lo, s7
	s_and_saveexec_b32 s7, s3
	s_cbranch_execnz .LBB145_1011
.LBB145_241:                            ;   in Loop: Header=BB145_3 Depth=1
	s_or_b32 exec_lo, exec_lo, s7
	s_and_saveexec_b32 s7, s16
	s_cbranch_execnz .LBB145_1012
.LBB145_242:                            ;   in Loop: Header=BB145_3 Depth=1
	s_or_b32 exec_lo, exec_lo, s7
	s_and_saveexec_b32 s7, s18
	s_cbranch_execnz .LBB145_1013
.LBB145_243:                            ;   in Loop: Header=BB145_3 Depth=1
	s_or_b32 exec_lo, exec_lo, s7
	s_and_saveexec_b32 s7, s2
	s_cbranch_execz .LBB145_245
.LBB145_244:                            ;   in Loop: Header=BB145_3 Depth=1
	ds_load_b64 v[44:45], v50 offset:32512
	ds_load_b64 v[46:47], v7 offset:32760
	s_wait_dscnt 0x0
	v_pk_mul_f32 v[84:85], v[46:47], v[44:45] op_sel:[1,1] op_sel_hi:[0,1]
	s_delay_alu instid0(VALU_DEP_1) | instskip(SKIP_1) | instid1(VALU_DEP_2)
	v_pk_fma_f32 v[86:87], v[46:47], v[44:45], v[84:85] op_sel_hi:[1,0,1]
	v_pk_fma_f32 v[44:45], v[46:47], v[44:45], v[84:85] neg_lo:[0,0,1] neg_hi:[0,0,1]
	v_mov_b32_e32 v45, v87
	s_delay_alu instid0(VALU_DEP_1)
	v_pk_add_f32 v[42:43], v[42:43], v[44:45]
.LBB145_245:                            ;   in Loop: Header=BB145_3 Depth=1
	s_or_b32 exec_lo, exec_lo, s7
.LBB145_246:                            ;   in Loop: Header=BB145_3 Depth=1
	s_delay_alu instid0(SALU_CYCLE_1) | instskip(NEXT) | instid1(SALU_CYCLE_1)
	s_or_b32 exec_lo, exec_lo, s66
	s_mov_b32 s7, exec_lo
	v_readlane_b32 s8, v93, 1
	s_and_b32 s8, s7, s8
	s_delay_alu instid0(SALU_CYCLE_1)
	s_mov_b32 exec_lo, s8
; %bb.247:                              ;   in Loop: Header=BB145_3 Depth=1
	v_pk_add_f32 v[44:45], v[42:43], 0 neg_lo:[1,1] neg_hi:[1,1]
	ds_store_b64 v60, v[44:45]
; %bb.248:                              ;   in Loop: Header=BB145_3 Depth=1
	s_or_b32 exec_lo, exec_lo, s7
	s_wait_loadcnt_dscnt 0x0
	s_barrier_signal -1
	s_barrier_wait -1
	s_mov_b32 s7, exec_lo
	v_readlane_b32 s8, v93, 2
	s_and_b32 s8, s7, s8
	s_delay_alu instid0(SALU_CYCLE_1)
	s_mov_b32 exec_lo, s8
	s_cbranch_execz .LBB145_250
; %bb.249:                              ;   in Loop: Header=BB145_3 Depth=1
	ds_load_b64 v[44:45], v61 offset:24320
	ds_load_b64 v[46:47], v60
	s_wait_dscnt 0x0
	v_pk_mul_f32 v[84:85], v[46:47], v[44:45] op_sel:[1,1] op_sel_hi:[0,1]
	s_delay_alu instid0(VALU_DEP_1) | instskip(SKIP_1) | instid1(VALU_DEP_2)
	v_pk_fma_f32 v[86:87], v[46:47], v[44:45], v[84:85] op_sel_hi:[1,0,1]
	v_pk_fma_f32 v[44:45], v[46:47], v[44:45], v[84:85] neg_lo:[0,0,1] neg_hi:[0,0,1]
	v_mov_b32_e32 v45, v87
	s_delay_alu instid0(VALU_DEP_1)
	v_pk_add_f32 v[42:43], v[42:43], v[44:45] neg_lo:[0,1] neg_hi:[0,1]
.LBB145_250:                            ;   in Loop: Header=BB145_3 Depth=1
	s_or_b32 exec_lo, exec_lo, s7
	s_barrier_signal -1
	s_barrier_wait -1
	s_mov_b32 s7, exec_lo
	v_readlane_b32 s8, v93, 3
	s_and_b32 s8, s7, s8
	s_delay_alu instid0(SALU_CYCLE_1)
	s_mov_b32 exec_lo, s8
; %bb.251:                              ;   in Loop: Header=BB145_3 Depth=1
	v_pk_add_f32 v[44:45], v[42:43], 0 neg_lo:[1,1] neg_hi:[1,1]
	ds_store_b64 v60, v[44:45]
; %bb.252:                              ;   in Loop: Header=BB145_3 Depth=1
	s_or_b32 exec_lo, exec_lo, s7
	s_wait_dscnt 0x0
	s_barrier_signal -1
	s_barrier_wait -1
	s_mov_b32 s7, exec_lo
	v_readlane_b32 s8, v93, 4
	s_and_b32 s8, s7, s8
	s_delay_alu instid0(SALU_CYCLE_1)
	s_mov_b32 exec_lo, s8
	s_cbranch_execz .LBB145_254
; %bb.253:                              ;   in Loop: Header=BB145_3 Depth=1
	ds_load_b64 v[44:45], v61 offset:23808
	ds_load_b64 v[46:47], v60
	s_wait_dscnt 0x0
	v_pk_mul_f32 v[84:85], v[46:47], v[44:45] op_sel:[1,1] op_sel_hi:[0,1]
	s_delay_alu instid0(VALU_DEP_1) | instskip(SKIP_1) | instid1(VALU_DEP_2)
	v_pk_fma_f32 v[86:87], v[46:47], v[44:45], v[84:85] op_sel_hi:[1,0,1]
	v_pk_fma_f32 v[44:45], v[46:47], v[44:45], v[84:85] neg_lo:[0,0,1] neg_hi:[0,0,1]
	v_mov_b32_e32 v45, v87
	s_delay_alu instid0(VALU_DEP_1)
	v_pk_add_f32 v[42:43], v[42:43], v[44:45] neg_lo:[0,1] neg_hi:[0,1]
.LBB145_254:                            ;   in Loop: Header=BB145_3 Depth=1
	s_or_b32 exec_lo, exec_lo, s7
	s_barrier_signal -1
	s_barrier_wait -1
	s_mov_b32 s7, exec_lo
	v_readlane_b32 s8, v93, 5
	s_and_b32 s8, s7, s8
	s_delay_alu instid0(SALU_CYCLE_1)
	s_mov_b32 exec_lo, s8
; %bb.255:                              ;   in Loop: Header=BB145_3 Depth=1
	v_pk_add_f32 v[44:45], v[42:43], 0 neg_lo:[1,1] neg_hi:[1,1]
	ds_store_b64 v60, v[44:45]
; %bb.256:                              ;   in Loop: Header=BB145_3 Depth=1
	s_or_b32 exec_lo, exec_lo, s7
	s_wait_dscnt 0x0
	;; [unrolled: 34-line block ×3, first 2 shown]
	s_barrier_signal -1
	s_barrier_wait -1
	s_mov_b32 s7, exec_lo
	v_readlane_b32 s8, v93, 8
	s_and_b32 s8, s7, s8
	s_delay_alu instid0(SALU_CYCLE_1)
	s_mov_b32 exec_lo, s8
	s_cbranch_execz .LBB145_262
; %bb.261:                              ;   in Loop: Header=BB145_3 Depth=1
	ds_load_b64 v[44:45], v61 offset:22784
	ds_load_b64 v[46:47], v60
	s_wait_dscnt 0x0
	v_dual_mul_f32 v3, v47, v45 :: v_dual_mul_f32 v45, v46, v45
	s_delay_alu instid0(VALU_DEP_1) | instskip(NEXT) | instid1(VALU_DEP_1)
	v_dual_fma_f32 v3, v46, v44, -v3 :: v_dual_fmac_f32 v45, v47, v44
	v_dual_sub_f32 v42, v42, v3 :: v_dual_sub_f32 v43, v43, v45
.LBB145_262:                            ;   in Loop: Header=BB145_3 Depth=1
	s_or_b32 exec_lo, exec_lo, s7
	s_barrier_signal -1
	s_barrier_wait -1
	s_mov_b32 s7, exec_lo
	v_readlane_b32 s8, v93, 9
	s_and_b32 s8, s7, s8
	s_delay_alu instid0(SALU_CYCLE_1)
	s_mov_b32 exec_lo, s8
; %bb.263:                              ;   in Loop: Header=BB145_3 Depth=1
	v_pk_add_f32 v[44:45], v[42:43], 0 neg_lo:[1,1] neg_hi:[1,1]
	ds_store_b64 v60, v[44:45]
; %bb.264:                              ;   in Loop: Header=BB145_3 Depth=1
	s_or_b32 exec_lo, exec_lo, s7
	s_wait_dscnt 0x0
	s_barrier_signal -1
	s_barrier_wait -1
	s_mov_b32 s7, exec_lo
	v_readlane_b32 s8, v93, 10
	s_and_b32 s8, s7, s8
	s_delay_alu instid0(SALU_CYCLE_1)
	s_mov_b32 exec_lo, s8
	s_cbranch_execz .LBB145_266
; %bb.265:                              ;   in Loop: Header=BB145_3 Depth=1
	ds_load_b64 v[44:45], v61 offset:22272
	ds_load_b64 v[46:47], v60
	s_wait_dscnt 0x0
	v_dual_mul_f32 v3, v47, v45 :: v_dual_mul_f32 v85, v46, v45
	s_delay_alu instid0(VALU_DEP_1) | instskip(NEXT) | instid1(VALU_DEP_1)
	v_dual_fma_f32 v84, v46, v44, -v3 :: v_dual_fmac_f32 v85, v47, v44
	v_pk_add_f32 v[42:43], v[42:43], v[84:85] neg_lo:[0,1] neg_hi:[0,1]
.LBB145_266:                            ;   in Loop: Header=BB145_3 Depth=1
	s_or_b32 exec_lo, exec_lo, s7
	s_barrier_signal -1
	s_barrier_wait -1
	s_mov_b32 s7, exec_lo
	v_readlane_b32 s8, v93, 11
	s_and_b32 s8, s7, s8
	s_delay_alu instid0(SALU_CYCLE_1)
	s_mov_b32 exec_lo, s8
; %bb.267:                              ;   in Loop: Header=BB145_3 Depth=1
	v_pk_add_f32 v[44:45], v[42:43], 0 neg_lo:[1,1] neg_hi:[1,1]
	ds_store_b64 v60, v[44:45]
; %bb.268:                              ;   in Loop: Header=BB145_3 Depth=1
	s_or_b32 exec_lo, exec_lo, s7
	s_wait_dscnt 0x0
	s_barrier_signal -1
	s_barrier_wait -1
	s_and_saveexec_b32 s7, s36
	s_cbranch_execz .LBB145_270
; %bb.269:                              ;   in Loop: Header=BB145_3 Depth=1
	ds_load_b64 v[44:45], v61 offset:21760
	ds_load_b64 v[46:47], v60
	s_wait_dscnt 0x0
	v_pk_mul_f32 v[84:85], v[46:47], v[44:45] op_sel:[1,1] op_sel_hi:[0,1]
	s_delay_alu instid0(VALU_DEP_1) | instskip(SKIP_1) | instid1(VALU_DEP_2)
	v_pk_fma_f32 v[86:87], v[46:47], v[44:45], v[84:85] op_sel_hi:[1,0,1]
	v_pk_fma_f32 v[44:45], v[46:47], v[44:45], v[84:85] neg_lo:[0,0,1] neg_hi:[0,0,1]
	v_mov_b32_e32 v45, v87
	s_delay_alu instid0(VALU_DEP_1)
	v_pk_add_f32 v[42:43], v[42:43], v[44:45] neg_lo:[0,1] neg_hi:[0,1]
.LBB145_270:                            ;   in Loop: Header=BB145_3 Depth=1
	s_or_b32 exec_lo, exec_lo, s7
	s_barrier_signal -1
	s_barrier_wait -1
	s_and_saveexec_b32 s7, s37
; %bb.271:                              ;   in Loop: Header=BB145_3 Depth=1
	v_pk_add_f32 v[44:45], v[42:43], 0 neg_lo:[1,1] neg_hi:[1,1]
	ds_store_b64 v60, v[44:45]
; %bb.272:                              ;   in Loop: Header=BB145_3 Depth=1
	s_or_b32 exec_lo, exec_lo, s7
	s_wait_dscnt 0x0
	s_barrier_signal -1
	s_barrier_wait -1
	s_and_saveexec_b32 s7, s39
	s_cbranch_execz .LBB145_274
; %bb.273:                              ;   in Loop: Header=BB145_3 Depth=1
	ds_load_b64 v[44:45], v61 offset:21248
	ds_load_b64 v[46:47], v60
	s_wait_dscnt 0x0
	v_pk_mul_f32 v[84:85], v[46:47], v[44:45] op_sel:[1,1] op_sel_hi:[0,1]
	s_delay_alu instid0(VALU_DEP_1) | instskip(SKIP_1) | instid1(VALU_DEP_2)
	v_pk_fma_f32 v[86:87], v[46:47], v[44:45], v[84:85] op_sel_hi:[1,0,1]
	v_pk_fma_f32 v[44:45], v[46:47], v[44:45], v[84:85] neg_lo:[0,0,1] neg_hi:[0,0,1]
	v_mov_b32_e32 v45, v87
	s_delay_alu instid0(VALU_DEP_1)
	v_pk_add_f32 v[42:43], v[42:43], v[44:45] neg_lo:[0,1] neg_hi:[0,1]
.LBB145_274:                            ;   in Loop: Header=BB145_3 Depth=1
	s_or_b32 exec_lo, exec_lo, s7
	s_barrier_signal -1
	s_barrier_wait -1
	s_and_saveexec_b32 s7, s40
	;; [unrolled: 26-line block ×4, first 2 shown]
; %bb.283:                              ;   in Loop: Header=BB145_3 Depth=1
	v_pk_add_f32 v[44:45], v[42:43], 0 neg_lo:[1,1] neg_hi:[1,1]
	ds_store_b64 v60, v[44:45]
; %bb.284:                              ;   in Loop: Header=BB145_3 Depth=1
	s_or_b32 exec_lo, exec_lo, s7
	s_wait_dscnt 0x0
	s_barrier_signal -1
	s_barrier_wait -1
	s_and_saveexec_b32 s7, s23
	s_cbranch_execz .LBB145_286
; %bb.285:                              ;   in Loop: Header=BB145_3 Depth=1
	ds_load_b64 v[44:45], v61 offset:19712
	ds_load_b64 v[46:47], v60
	s_wait_dscnt 0x0
	v_dual_mul_f32 v3, v47, v45 :: v_dual_mul_f32 v45, v46, v45
	s_delay_alu instid0(VALU_DEP_1) | instskip(NEXT) | instid1(VALU_DEP_1)
	v_dual_fma_f32 v3, v46, v44, -v3 :: v_dual_fmac_f32 v45, v47, v44
	v_dual_sub_f32 v42, v42, v3 :: v_dual_sub_f32 v43, v43, v45
.LBB145_286:                            ;   in Loop: Header=BB145_3 Depth=1
	s_or_b32 exec_lo, exec_lo, s7
	s_barrier_signal -1
	s_barrier_wait -1
	s_and_saveexec_b32 s7, s26
; %bb.287:                              ;   in Loop: Header=BB145_3 Depth=1
	v_pk_add_f32 v[44:45], v[42:43], 0 neg_lo:[1,1] neg_hi:[1,1]
	ds_store_b64 v60, v[44:45]
; %bb.288:                              ;   in Loop: Header=BB145_3 Depth=1
	s_or_b32 exec_lo, exec_lo, s7
	s_wait_dscnt 0x0
	s_barrier_signal -1
	s_barrier_wait -1
	s_and_saveexec_b32 s7, s28
	s_cbranch_execz .LBB145_290
; %bb.289:                              ;   in Loop: Header=BB145_3 Depth=1
	ds_load_b64 v[44:45], v61 offset:19200
	ds_load_b64 v[46:47], v60
	s_wait_dscnt 0x0
	v_dual_mul_f32 v3, v47, v45 :: v_dual_mul_f32 v85, v46, v45
	s_delay_alu instid0(VALU_DEP_1) | instskip(NEXT) | instid1(VALU_DEP_1)
	v_dual_fma_f32 v84, v46, v44, -v3 :: v_dual_fmac_f32 v85, v47, v44
	v_pk_add_f32 v[42:43], v[42:43], v[84:85] neg_lo:[0,1] neg_hi:[0,1]
.LBB145_290:                            ;   in Loop: Header=BB145_3 Depth=1
	s_or_b32 exec_lo, exec_lo, s7
	s_barrier_signal -1
	s_barrier_wait -1
	s_and_saveexec_b32 s7, s30
; %bb.291:                              ;   in Loop: Header=BB145_3 Depth=1
	v_pk_add_f32 v[44:45], v[42:43], 0 neg_lo:[1,1] neg_hi:[1,1]
	ds_store_b64 v60, v[44:45]
; %bb.292:                              ;   in Loop: Header=BB145_3 Depth=1
	s_or_b32 exec_lo, exec_lo, s7
	s_wait_dscnt 0x0
	s_barrier_signal -1
	s_barrier_wait -1
	s_and_saveexec_b32 s7, s101
	s_cbranch_execz .LBB145_294
; %bb.293:                              ;   in Loop: Header=BB145_3 Depth=1
	ds_load_b64 v[44:45], v61 offset:18688
	ds_load_b64 v[46:47], v60
	s_wait_dscnt 0x0
	v_pk_mul_f32 v[84:85], v[46:47], v[44:45] op_sel:[1,1] op_sel_hi:[0,1]
	s_delay_alu instid0(VALU_DEP_1) | instskip(SKIP_1) | instid1(VALU_DEP_2)
	v_pk_fma_f32 v[86:87], v[46:47], v[44:45], v[84:85] op_sel_hi:[1,0,1]
	v_pk_fma_f32 v[44:45], v[46:47], v[44:45], v[84:85] neg_lo:[0,0,1] neg_hi:[0,0,1]
	v_mov_b32_e32 v45, v87
	s_delay_alu instid0(VALU_DEP_1)
	v_pk_add_f32 v[42:43], v[42:43], v[44:45] neg_lo:[0,1] neg_hi:[0,1]
.LBB145_294:                            ;   in Loop: Header=BB145_3 Depth=1
	s_or_b32 exec_lo, exec_lo, s7
	s_barrier_signal -1
	s_barrier_wait -1
	s_and_saveexec_b32 s7, s62
; %bb.295:                              ;   in Loop: Header=BB145_3 Depth=1
	v_pk_add_f32 v[44:45], v[42:43], 0 neg_lo:[1,1] neg_hi:[1,1]
	ds_store_b64 v60, v[44:45]
; %bb.296:                              ;   in Loop: Header=BB145_3 Depth=1
	s_or_b32 exec_lo, exec_lo, s7
	s_wait_dscnt 0x0
	s_barrier_signal -1
	s_barrier_wait -1
	s_and_saveexec_b32 s7, s63
	s_cbranch_execz .LBB145_298
; %bb.297:                              ;   in Loop: Header=BB145_3 Depth=1
	ds_load_b64 v[44:45], v61 offset:18176
	ds_load_b64 v[46:47], v60
	s_wait_dscnt 0x0
	v_pk_mul_f32 v[84:85], v[46:47], v[44:45] op_sel:[1,1] op_sel_hi:[0,1]
	s_delay_alu instid0(VALU_DEP_1) | instskip(SKIP_1) | instid1(VALU_DEP_2)
	v_pk_fma_f32 v[86:87], v[46:47], v[44:45], v[84:85] op_sel_hi:[1,0,1]
	v_pk_fma_f32 v[44:45], v[46:47], v[44:45], v[84:85] neg_lo:[0,0,1] neg_hi:[0,0,1]
	v_mov_b32_e32 v45, v87
	s_delay_alu instid0(VALU_DEP_1)
	v_pk_add_f32 v[42:43], v[42:43], v[44:45] neg_lo:[0,1] neg_hi:[0,1]
.LBB145_298:                            ;   in Loop: Header=BB145_3 Depth=1
	s_or_b32 exec_lo, exec_lo, s7
	s_barrier_signal -1
	s_barrier_wait -1
	s_and_saveexec_b32 s7, s64
; %bb.299:                              ;   in Loop: Header=BB145_3 Depth=1
	v_pk_add_f32 v[44:45], v[42:43], 0 neg_lo:[1,1] neg_hi:[1,1]
	ds_store_b64 v60, v[44:45]
; %bb.300:                              ;   in Loop: Header=BB145_3 Depth=1
	s_or_b32 exec_lo, exec_lo, s7
	s_wait_dscnt 0x0
	s_barrier_signal -1
	s_barrier_wait -1
	s_and_saveexec_b32 s7, s65
	s_cbranch_execz .LBB145_302
; %bb.301:                              ;   in Loop: Header=BB145_3 Depth=1
	ds_load_b64 v[44:45], v61 offset:17664
	ds_load_b64 v[46:47], v60
	s_wait_dscnt 0x0
	v_pk_mul_f32 v[84:85], v[46:47], v[44:45] op_sel:[1,1] op_sel_hi:[0,1]
	s_delay_alu instid0(VALU_DEP_1) | instskip(SKIP_1) | instid1(VALU_DEP_2)
	v_pk_fma_f32 v[86:87], v[46:47], v[44:45], v[84:85] op_sel_hi:[1,0,1]
	v_pk_fma_f32 v[44:45], v[46:47], v[44:45], v[84:85] neg_lo:[0,0,1] neg_hi:[0,0,1]
	v_mov_b32_e32 v45, v87
	s_delay_alu instid0(VALU_DEP_1)
	v_pk_add_f32 v[42:43], v[42:43], v[44:45] neg_lo:[0,1] neg_hi:[0,1]
.LBB145_302:                            ;   in Loop: Header=BB145_3 Depth=1
	s_or_b32 exec_lo, exec_lo, s7
	s_barrier_signal -1
	s_barrier_wait -1
	s_and_saveexec_b32 s7, s20
; %bb.303:                              ;   in Loop: Header=BB145_3 Depth=1
	v_pk_add_f32 v[44:45], v[42:43], 0 neg_lo:[1,1] neg_hi:[1,1]
	ds_store_b64 v60, v[44:45]
; %bb.304:                              ;   in Loop: Header=BB145_3 Depth=1
	s_or_b32 exec_lo, exec_lo, s7
	s_wait_dscnt 0x0
	s_barrier_signal -1
	s_barrier_wait -1
	s_and_saveexec_b32 s7, s22
	s_cbranch_execz .LBB145_306
; %bb.305:                              ;   in Loop: Header=BB145_3 Depth=1
	ds_load_b64 v[44:45], v7 offset:17152
	ds_load_b64 v[46:47], v60
	s_wait_dscnt 0x0
	v_pk_mul_f32 v[84:85], v[46:47], v[44:45] op_sel:[1,1] op_sel_hi:[0,1]
	s_delay_alu instid0(VALU_DEP_1) | instskip(SKIP_1) | instid1(VALU_DEP_2)
	v_pk_fma_f32 v[86:87], v[46:47], v[44:45], v[84:85] op_sel_hi:[1,0,1]
	v_pk_fma_f32 v[44:45], v[46:47], v[44:45], v[84:85] neg_lo:[0,0,1] neg_hi:[0,0,1]
	v_mov_b32_e32 v45, v87
	s_delay_alu instid0(VALU_DEP_1)
	v_pk_add_f32 v[42:43], v[42:43], v[44:45] neg_lo:[0,1] neg_hi:[0,1]
.LBB145_306:                            ;   in Loop: Header=BB145_3 Depth=1
	s_or_b32 exec_lo, exec_lo, s7
	s_barrier_signal -1
	s_barrier_wait -1
	s_and_saveexec_b32 s7, s22
; %bb.307:                              ;   in Loop: Header=BB145_3 Depth=1
	v_pk_add_f32 v[44:45], v[42:43], 0 neg_lo:[1,1] neg_hi:[1,1]
	ds_store_b64 v60, v[44:45]
; %bb.308:                              ;   in Loop: Header=BB145_3 Depth=1
	s_or_b32 exec_lo, exec_lo, s7
	s_wait_dscnt 0x0
	s_barrier_signal -1
	s_barrier_wait -1
	s_barrier_signal -1
	s_barrier_wait -1
	s_and_saveexec_b32 s7, s4
; %bb.309:                              ;   in Loop: Header=BB145_3 Depth=1
	ds_store_b64 v63, v[42:43] offset:32512
; %bb.310:                              ;   in Loop: Header=BB145_3 Depth=1
	s_or_b32 exec_lo, exec_lo, s7
	s_wait_dscnt 0x0
	s_barrier_signal -1
	s_barrier_wait -1
	s_barrier_signal -1
	s_barrier_wait -1
	s_and_saveexec_b32 s7, s11
; %bb.311:                              ;   in Loop: Header=BB145_3 Depth=1
	v_add_nc_u32_e64 v3, 0x5800, 0
	ds_store_2addr_b64 v3, v[34:35], v[34:35] offset0:174 offset1:239
; %bb.312:                              ;   in Loop: Header=BB145_3 Depth=1
	s_or_b32 exec_lo, exec_lo, s7
	v_dual_mov_b32 v42, 0 :: v_dual_mov_b32 v43, 0
	s_wait_dscnt 0x0
	s_barrier_signal -1
	s_barrier_wait -1
	global_wb scope:SCOPE_DEV
	s_wait_storecnt 0x0
	global_inv scope:SCOPE_DEV
	s_and_saveexec_b32 s7, s1
	s_cbranch_execz .LBB145_316
; %bb.313:                              ;   in Loop: Header=BB145_3 Depth=1
	ds_load_b64 v[42:43], v48 offset:23904
	ds_load_b64 v[44:45], v49 offset:24432
	s_wait_dscnt 0x0
	v_pk_mul_f32 v[46:47], v[44:45], v[42:43] op_sel:[1,1] op_sel_hi:[0,1]
	s_delay_alu instid0(VALU_DEP_1) | instskip(SKIP_1) | instid1(VALU_DEP_2)
	v_pk_fma_f32 v[84:85], v[44:45], v[42:43], v[46:47] op_sel_hi:[1,0,1]
	v_pk_fma_f32 v[42:43], v[44:45], v[42:43], v[46:47] neg_lo:[0,0,1] neg_hi:[0,0,1]
	v_mov_b32_e32 v43, v85
	s_delay_alu instid0(VALU_DEP_1)
	v_pk_add_f32 v[42:43], v[42:43], 0 op_sel_hi:[1,0]
	s_and_saveexec_b32 s8, s12
	s_cbranch_execz .LBB145_315
; %bb.314:                              ;   in Loop: Header=BB145_3 Depth=1
	ds_load_b64 v[44:45], v50 offset:24416
	ds_load_b64 v[46:47], v7 offset:24440
	s_wait_dscnt 0x0
	v_pk_mul_f32 v[84:85], v[46:47], v[44:45] op_sel:[1,1] op_sel_hi:[0,1]
	s_delay_alu instid0(VALU_DEP_1) | instskip(SKIP_1) | instid1(VALU_DEP_2)
	v_pk_fma_f32 v[86:87], v[46:47], v[44:45], v[84:85] op_sel_hi:[1,0,1]
	v_pk_fma_f32 v[44:45], v[46:47], v[44:45], v[84:85] neg_lo:[0,0,1] neg_hi:[0,0,1]
	v_mov_b32_e32 v45, v87
	s_delay_alu instid0(VALU_DEP_1)
	v_pk_add_f32 v[42:43], v[42:43], v[44:45]
.LBB145_315:                            ;   in Loop: Header=BB145_3 Depth=1
	s_or_b32 exec_lo, exec_lo, s8
.LBB145_316:                            ;   in Loop: Header=BB145_3 Depth=1
	s_delay_alu instid0(SALU_CYCLE_1)
	s_or_b32 exec_lo, exec_lo, s7
	s_and_saveexec_b32 s7, s103
; %bb.317:                              ;   in Loop: Header=BB145_3 Depth=1
	s_delay_alu instid0(VALU_DEP_1)
	v_pk_add_f32 v[44:45], v[42:43], 0 neg_lo:[1,1] neg_hi:[1,1]
	ds_store_b64 v5, v[44:45]
; %bb.318:                              ;   in Loop: Header=BB145_3 Depth=1
	s_or_b32 exec_lo, exec_lo, s7
	s_wait_loadcnt_dscnt 0x0
	s_barrier_signal -1
	s_barrier_wait -1
	s_and_saveexec_b32 s7, s104
	s_cbranch_execz .LBB145_320
; %bb.319:                              ;   in Loop: Header=BB145_3 Depth=1
	ds_load_b64 v[44:45], v7 offset:23392
	ds_load_b64 v[46:47], v5
	s_wait_dscnt 0x0
	v_pk_mul_f32 v[84:85], v[46:47], v[44:45] op_sel_hi:[1,0]
	s_delay_alu instid0(VALU_DEP_1) | instskip(SKIP_1) | instid1(VALU_DEP_2)
	v_pk_fma_f32 v[86:87], v[46:47], v[44:45], v[84:85] op_sel:[1,1,0] op_sel_hi:[0,1,1]
	v_pk_fma_f32 v[44:45], v[46:47], v[44:45], v[84:85] op_sel:[1,1,0] op_sel_hi:[0,1,1] neg_lo:[0,0,1] neg_hi:[0,0,1]
	v_pk_add_f32 v[46:47], v[42:43], v[86:87] neg_lo:[0,1] neg_hi:[0,1]
	s_delay_alu instid0(VALU_DEP_2) | instskip(NEXT) | instid1(VALU_DEP_2)
	v_pk_add_f32 v[42:43], v[42:43], v[44:45]
	v_mov_b32_e32 v43, v47
.LBB145_320:                            ;   in Loop: Header=BB145_3 Depth=1
	s_or_b32 exec_lo, exec_lo, s7
	s_barrier_signal -1
	s_barrier_wait -1
	s_and_saveexec_b32 s7, s104
; %bb.321:                              ;   in Loop: Header=BB145_3 Depth=1
	v_pk_add_f32 v[44:45], v[42:43], 0 neg_lo:[1,1] neg_hi:[1,1]
	ds_store_b64 v5, v[44:45]
; %bb.322:                              ;   in Loop: Header=BB145_3 Depth=1
	s_or_b32 exec_lo, exec_lo, s7
	s_wait_dscnt 0x0
	s_barrier_signal -1
	s_barrier_wait -1
	s_barrier_signal -1
	s_barrier_wait -1
	s_and_saveexec_b32 s7, s1
; %bb.323:                              ;   in Loop: Header=BB145_3 Depth=1
	ds_store_b64 v51, v[42:43] offset:24416
; %bb.324:                              ;   in Loop: Header=BB145_3 Depth=1
	s_or_b32 exec_lo, exec_lo, s7
	s_wait_dscnt 0x0
	s_barrier_signal -1
	s_barrier_wait -1
	s_barrier_signal -1
	s_barrier_wait -1
	s_and_saveexec_b32 s7, s11
; %bb.325:                              ;   in Loop: Header=BB145_3 Depth=1
	v_add_nc_u32_e64 v3, 0x5800, 0
	ds_store_2addr_b64 v3, v[34:35], v[34:35] offset0:44 offset1:109
; %bb.326:                              ;   in Loop: Header=BB145_3 Depth=1
	s_or_b32 exec_lo, exec_lo, s7
	v_mov_b64_e32 v[42:43], 0
	s_wait_dscnt 0x0
	s_barrier_signal -1
	s_barrier_wait -1
	global_wb scope:SCOPE_DEV
	s_wait_storecnt 0x0
	global_inv scope:SCOPE_DEV
	s_and_saveexec_b32 s7, s2
	s_cbranch_execz .LBB145_332
; %bb.327:                              ;   in Loop: Header=BB145_3 Depth=1
	ds_load_b64 v[42:43], v53 offset:22848
	ds_load_b64 v[44:45], v54 offset:24416
	s_wait_dscnt 0x0
	v_dual_mul_f32 v3, v45, v43 :: v_dual_mul_f32 v43, v44, v43
	s_delay_alu instid0(VALU_DEP_1) | instskip(NEXT) | instid1(VALU_DEP_1)
	v_fmac_f32_e32 v43, v45, v42
	v_dual_fma_f32 v3, v44, v42, -v3 :: v_dual_add_f32 v43, 0, v43
	s_delay_alu instid0(VALU_DEP_1)
	v_add_f32_e32 v42, 0, v3
	s_and_saveexec_b32 s8, s13
	s_cbranch_execnz .LBB145_1014
; %bb.328:                              ;   in Loop: Header=BB145_3 Depth=1
	s_or_b32 exec_lo, exec_lo, s8
	s_and_saveexec_b32 s8, s14
	s_cbranch_execnz .LBB145_1015
.LBB145_329:                            ;   in Loop: Header=BB145_3 Depth=1
	s_or_b32 exec_lo, exec_lo, s8
	s_and_saveexec_b32 s8, s1
	s_cbranch_execz .LBB145_331
.LBB145_330:                            ;   in Loop: Header=BB145_3 Depth=1
	ds_load_b64 v[44:45], v50 offset:24384
	ds_load_b64 v[46:47], v7 offset:24440
	s_wait_dscnt 0x0
	v_pk_mul_f32 v[84:85], v[46:47], v[44:45] op_sel:[1,1] op_sel_hi:[0,1]
	s_delay_alu instid0(VALU_DEP_1) | instskip(SKIP_1) | instid1(VALU_DEP_2)
	v_pk_fma_f32 v[86:87], v[46:47], v[44:45], v[84:85] op_sel_hi:[1,0,1]
	v_pk_fma_f32 v[44:45], v[46:47], v[44:45], v[84:85] neg_lo:[0,0,1] neg_hi:[0,0,1]
	v_mov_b32_e32 v45, v87
	s_delay_alu instid0(VALU_DEP_1)
	v_pk_add_f32 v[42:43], v[42:43], v[44:45]
.LBB145_331:                            ;   in Loop: Header=BB145_3 Depth=1
	s_or_b32 exec_lo, exec_lo, s8
.LBB145_332:                            ;   in Loop: Header=BB145_3 Depth=1
	s_delay_alu instid0(SALU_CYCLE_1)
	s_or_b32 exec_lo, exec_lo, s7
	s_and_saveexec_b32 s7, vcc_hi
; %bb.333:                              ;   in Loop: Header=BB145_3 Depth=1
	s_delay_alu instid0(VALU_DEP_1)
	v_pk_add_f32 v[44:45], v[42:43], 0 neg_lo:[1,1] neg_hi:[1,1]
	ds_store_b64 v52, v[44:45]
; %bb.334:                              ;   in Loop: Header=BB145_3 Depth=1
	s_or_b32 exec_lo, exec_lo, s7
	s_wait_loadcnt_dscnt 0x0
	s_barrier_signal -1
	s_barrier_wait -1
	s_and_saveexec_b32 s7, s43
	s_cbranch_execz .LBB145_336
; %bb.335:                              ;   in Loop: Header=BB145_3 Depth=1
	ds_load_b64 v[44:45], v53 offset:22336
	ds_load_b64 v[46:47], v52
	s_wait_dscnt 0x0
	v_pk_mul_f32 v[84:85], v[46:47], v[44:45] op_sel:[1,1] op_sel_hi:[0,1]
	s_delay_alu instid0(VALU_DEP_1) | instskip(SKIP_1) | instid1(VALU_DEP_2)
	v_pk_fma_f32 v[86:87], v[46:47], v[44:45], v[84:85] op_sel_hi:[1,0,1]
	v_pk_fma_f32 v[44:45], v[46:47], v[44:45], v[84:85] neg_lo:[0,0,1] neg_hi:[0,0,1]
	v_mov_b32_e32 v45, v87
	s_delay_alu instid0(VALU_DEP_1)
	v_pk_add_f32 v[42:43], v[42:43], v[44:45] neg_lo:[0,1] neg_hi:[0,1]
.LBB145_336:                            ;   in Loop: Header=BB145_3 Depth=1
	s_or_b32 exec_lo, exec_lo, s7
	s_barrier_signal -1
	s_barrier_wait -1
	s_and_saveexec_b32 s7, s44
; %bb.337:                              ;   in Loop: Header=BB145_3 Depth=1
	v_pk_add_f32 v[44:45], v[42:43], 0 neg_lo:[1,1] neg_hi:[1,1]
	ds_store_b64 v52, v[44:45]
; %bb.338:                              ;   in Loop: Header=BB145_3 Depth=1
	s_or_b32 exec_lo, exec_lo, s7
	s_wait_dscnt 0x0
	s_barrier_signal -1
	s_barrier_wait -1
	s_and_saveexec_b32 s7, s45
	s_cbranch_execz .LBB145_340
; %bb.339:                              ;   in Loop: Header=BB145_3 Depth=1
	ds_load_b64 v[44:45], v53 offset:21824
	ds_load_b64 v[46:47], v52
	s_wait_dscnt 0x0
	v_pk_mul_f32 v[84:85], v[46:47], v[44:45] op_sel:[1,1] op_sel_hi:[0,1]
	s_delay_alu instid0(VALU_DEP_1) | instskip(SKIP_1) | instid1(VALU_DEP_2)
	v_pk_fma_f32 v[86:87], v[46:47], v[44:45], v[84:85] op_sel_hi:[1,0,1]
	v_pk_fma_f32 v[44:45], v[46:47], v[44:45], v[84:85] neg_lo:[0,0,1] neg_hi:[0,0,1]
	v_mov_b32_e32 v45, v87
	s_delay_alu instid0(VALU_DEP_1)
	v_pk_add_f32 v[42:43], v[42:43], v[44:45] neg_lo:[0,1] neg_hi:[0,1]
.LBB145_340:                            ;   in Loop: Header=BB145_3 Depth=1
	s_or_b32 exec_lo, exec_lo, s7
	s_barrier_signal -1
	s_barrier_wait -1
	s_and_saveexec_b32 s7, s46
; %bb.341:                              ;   in Loop: Header=BB145_3 Depth=1
	v_pk_add_f32 v[44:45], v[42:43], 0 neg_lo:[1,1] neg_hi:[1,1]
	ds_store_b64 v52, v[44:45]
; %bb.342:                              ;   in Loop: Header=BB145_3 Depth=1
	s_or_b32 exec_lo, exec_lo, s7
	s_wait_dscnt 0x0
	;; [unrolled: 26-line block ×3, first 2 shown]
	s_barrier_signal -1
	s_barrier_wait -1
	s_barrier_signal -1
	s_barrier_wait -1
	s_and_saveexec_b32 s7, s2
; %bb.347:                              ;   in Loop: Header=BB145_3 Depth=1
	ds_store_b64 v55, v[42:43] offset:24384
; %bb.348:                              ;   in Loop: Header=BB145_3 Depth=1
	s_or_b32 exec_lo, exec_lo, s7
	s_wait_dscnt 0x0
	s_barrier_signal -1
	s_barrier_wait -1
	s_barrier_signal -1
	s_barrier_wait -1
	s_and_saveexec_b32 s7, s11
; %bb.349:                              ;   in Loop: Header=BB145_3 Depth=1
	v_add_nc_u32_e64 v3, 0x5000, 0
	ds_store_2addr_b64 v3, v[34:35], v[34:35] offset0:170 offset1:235
; %bb.350:                              ;   in Loop: Header=BB145_3 Depth=1
	s_or_b32 exec_lo, exec_lo, s7
	v_dual_mov_b32 v42, 0 :: v_dual_mov_b32 v43, 0
	s_wait_dscnt 0x0
	s_barrier_signal -1
	s_barrier_wait -1
	global_wb scope:SCOPE_DEV
	s_wait_storecnt 0x0
	global_inv scope:SCOPE_DEV
	s_and_saveexec_b32 s7, s1
	s_cbranch_execz .LBB145_354
; %bb.351:                              ;   in Loop: Header=BB145_3 Depth=1
	ds_load_b64 v[42:43], v48 offset:21824
	ds_load_b64 v[44:45], v49 offset:22352
	s_wait_dscnt 0x0
	v_pk_mul_f32 v[46:47], v[44:45], v[42:43] op_sel:[1,1] op_sel_hi:[0,1]
	s_delay_alu instid0(VALU_DEP_1) | instskip(SKIP_1) | instid1(VALU_DEP_2)
	v_pk_fma_f32 v[84:85], v[44:45], v[42:43], v[46:47] op_sel_hi:[1,0,1]
	v_pk_fma_f32 v[42:43], v[44:45], v[42:43], v[46:47] neg_lo:[0,0,1] neg_hi:[0,0,1]
	v_mov_b32_e32 v43, v85
	s_delay_alu instid0(VALU_DEP_1)
	v_pk_add_f32 v[42:43], v[42:43], 0 op_sel_hi:[1,0]
	s_and_saveexec_b32 s8, s12
	s_cbranch_execz .LBB145_353
; %bb.352:                              ;   in Loop: Header=BB145_3 Depth=1
	ds_load_b64 v[44:45], v50 offset:22336
	ds_load_b64 v[46:47], v7 offset:22360
	s_wait_dscnt 0x0
	v_pk_mul_f32 v[84:85], v[46:47], v[44:45] op_sel:[1,1] op_sel_hi:[0,1]
	s_delay_alu instid0(VALU_DEP_1) | instskip(SKIP_1) | instid1(VALU_DEP_2)
	v_pk_fma_f32 v[86:87], v[46:47], v[44:45], v[84:85] op_sel_hi:[1,0,1]
	v_pk_fma_f32 v[44:45], v[46:47], v[44:45], v[84:85] neg_lo:[0,0,1] neg_hi:[0,0,1]
	v_mov_b32_e32 v45, v87
	s_delay_alu instid0(VALU_DEP_1)
	v_pk_add_f32 v[42:43], v[42:43], v[44:45]
.LBB145_353:                            ;   in Loop: Header=BB145_3 Depth=1
	s_or_b32 exec_lo, exec_lo, s8
.LBB145_354:                            ;   in Loop: Header=BB145_3 Depth=1
	s_delay_alu instid0(SALU_CYCLE_1)
	s_or_b32 exec_lo, exec_lo, s7
	s_and_saveexec_b32 s7, s103
; %bb.355:                              ;   in Loop: Header=BB145_3 Depth=1
	s_delay_alu instid0(VALU_DEP_1)
	v_pk_add_f32 v[44:45], v[42:43], 0 neg_lo:[1,1] neg_hi:[1,1]
	ds_store_b64 v5, v[44:45]
; %bb.356:                              ;   in Loop: Header=BB145_3 Depth=1
	s_or_b32 exec_lo, exec_lo, s7
	s_wait_loadcnt_dscnt 0x0
	s_barrier_signal -1
	s_barrier_wait -1
	s_and_saveexec_b32 s7, s104
	s_cbranch_execz .LBB145_358
; %bb.357:                              ;   in Loop: Header=BB145_3 Depth=1
	ds_load_b64 v[44:45], v7 offset:21312
	ds_load_b64 v[46:47], v5
	s_wait_dscnt 0x0
	v_pk_mul_f32 v[84:85], v[46:47], v[44:45] op_sel_hi:[1,0]
	s_delay_alu instid0(VALU_DEP_1) | instskip(SKIP_1) | instid1(VALU_DEP_2)
	v_pk_fma_f32 v[86:87], v[46:47], v[44:45], v[84:85] op_sel:[1,1,0] op_sel_hi:[0,1,1]
	v_pk_fma_f32 v[44:45], v[46:47], v[44:45], v[84:85] op_sel:[1,1,0] op_sel_hi:[0,1,1] neg_lo:[0,0,1] neg_hi:[0,0,1]
	v_pk_add_f32 v[46:47], v[42:43], v[86:87] neg_lo:[0,1] neg_hi:[0,1]
	s_delay_alu instid0(VALU_DEP_2) | instskip(NEXT) | instid1(VALU_DEP_2)
	v_pk_add_f32 v[42:43], v[42:43], v[44:45]
	v_mov_b32_e32 v43, v47
.LBB145_358:                            ;   in Loop: Header=BB145_3 Depth=1
	s_or_b32 exec_lo, exec_lo, s7
	s_barrier_signal -1
	s_barrier_wait -1
	s_and_saveexec_b32 s7, s104
; %bb.359:                              ;   in Loop: Header=BB145_3 Depth=1
	v_pk_add_f32 v[44:45], v[42:43], 0 neg_lo:[1,1] neg_hi:[1,1]
	ds_store_b64 v5, v[44:45]
; %bb.360:                              ;   in Loop: Header=BB145_3 Depth=1
	s_or_b32 exec_lo, exec_lo, s7
	s_wait_dscnt 0x0
	s_barrier_signal -1
	s_barrier_wait -1
	s_barrier_signal -1
	s_barrier_wait -1
	s_and_saveexec_b32 s7, s1
; %bb.361:                              ;   in Loop: Header=BB145_3 Depth=1
	ds_store_b64 v51, v[42:43] offset:22336
; %bb.362:                              ;   in Loop: Header=BB145_3 Depth=1
	s_or_b32 exec_lo, exec_lo, s7
	s_wait_dscnt 0x0
	s_barrier_signal -1
	s_barrier_wait -1
	s_barrier_signal -1
	s_barrier_wait -1
	s_and_saveexec_b32 s7, s11
; %bb.363:                              ;   in Loop: Header=BB145_3 Depth=1
	v_add_nc_u32_e64 v3, 0x5000, 0
	ds_store_2addr_b64 v3, v[34:35], v[34:35] offset0:40 offset1:105
; %bb.364:                              ;   in Loop: Header=BB145_3 Depth=1
	s_or_b32 exec_lo, exec_lo, s7
	v_mov_b64_e32 v[42:43], 0
	s_wait_dscnt 0x0
	s_barrier_signal -1
	s_barrier_wait -1
	global_wb scope:SCOPE_DEV
	s_wait_storecnt 0x0
	global_inv scope:SCOPE_DEV
	s_and_saveexec_b32 s7, s3
	s_cbranch_execz .LBB145_374
; %bb.365:                              ;   in Loop: Header=BB145_3 Depth=1
	ds_load_b64 v[42:43], v57 offset:20736
	ds_load_b64 v[44:45], v58 offset:24384
	s_wait_dscnt 0x0
	v_dual_mul_f32 v3, v45, v43 :: v_dual_mul_f32 v43, v44, v43
	s_delay_alu instid0(VALU_DEP_1) | instskip(NEXT) | instid1(VALU_DEP_1)
	v_fmac_f32_e32 v43, v45, v42
	v_dual_fma_f32 v3, v44, v42, -v3 :: v_dual_add_f32 v43, 0, v43
	s_delay_alu instid0(VALU_DEP_1)
	v_add_f32_e32 v42, 0, v3
	s_and_saveexec_b32 s8, s15
	s_cbranch_execnz .LBB145_1016
; %bb.366:                              ;   in Loop: Header=BB145_3 Depth=1
	s_or_b32 exec_lo, exec_lo, s8
	s_and_saveexec_b32 s8, s16
	s_cbranch_execnz .LBB145_1017
.LBB145_367:                            ;   in Loop: Header=BB145_3 Depth=1
	s_or_b32 exec_lo, exec_lo, s8
	s_and_saveexec_b32 s8, s17
	s_cbranch_execnz .LBB145_1018
.LBB145_368:                            ;   in Loop: Header=BB145_3 Depth=1
	s_or_b32 exec_lo, exec_lo, s8
	s_and_saveexec_b32 s8, s18
	s_cbranch_execnz .LBB145_1019
.LBB145_369:                            ;   in Loop: Header=BB145_3 Depth=1
	s_or_b32 exec_lo, exec_lo, s8
	s_and_saveexec_b32 s8, s19
	s_cbranch_execnz .LBB145_1020
.LBB145_370:                            ;   in Loop: Header=BB145_3 Depth=1
	s_or_b32 exec_lo, exec_lo, s8
	s_and_saveexec_b32 s8, s2
	s_cbranch_execnz .LBB145_1021
.LBB145_371:                            ;   in Loop: Header=BB145_3 Depth=1
	s_or_b32 exec_lo, exec_lo, s8
	s_and_saveexec_b32 s8, s14
	s_cbranch_execz .LBB145_373
.LBB145_372:                            ;   in Loop: Header=BB145_3 Depth=1
	ds_load_b64 v[44:45], v50 offset:24320
	ds_load_b64 v[46:47], v7 offset:24440
	s_wait_dscnt 0x0
	v_pk_mul_f32 v[84:85], v[46:47], v[44:45] op_sel:[1,1] op_sel_hi:[0,1]
	s_delay_alu instid0(VALU_DEP_1) | instskip(SKIP_1) | instid1(VALU_DEP_2)
	v_pk_fma_f32 v[86:87], v[46:47], v[44:45], v[84:85] op_sel_hi:[1,0,1]
	v_pk_fma_f32 v[44:45], v[46:47], v[44:45], v[84:85] neg_lo:[0,0,1] neg_hi:[0,0,1]
	v_mov_b32_e32 v45, v87
	s_delay_alu instid0(VALU_DEP_1)
	v_pk_add_f32 v[42:43], v[42:43], v[44:45]
.LBB145_373:                            ;   in Loop: Header=BB145_3 Depth=1
	s_or_b32 exec_lo, exec_lo, s8
.LBB145_374:                            ;   in Loop: Header=BB145_3 Depth=1
	s_delay_alu instid0(SALU_CYCLE_1)
	s_or_b32 exec_lo, exec_lo, s7
	s_and_saveexec_b32 s7, s48
; %bb.375:                              ;   in Loop: Header=BB145_3 Depth=1
	s_delay_alu instid0(VALU_DEP_1)
	v_pk_add_f32 v[44:45], v[42:43], 0 neg_lo:[1,1] neg_hi:[1,1]
	ds_store_b64 v56, v[44:45]
; %bb.376:                              ;   in Loop: Header=BB145_3 Depth=1
	s_or_b32 exec_lo, exec_lo, s7
	s_wait_loadcnt_dscnt 0x0
	s_barrier_signal -1
	s_barrier_wait -1
	s_and_saveexec_b32 s7, s49
	s_cbranch_execz .LBB145_378
; %bb.377:                              ;   in Loop: Header=BB145_3 Depth=1
	ds_load_b64 v[44:45], v57 offset:20224
	ds_load_b64 v[46:47], v56
	s_wait_dscnt 0x0
	v_pk_mul_f32 v[84:85], v[46:47], v[44:45] op_sel:[1,1] op_sel_hi:[0,1]
	s_delay_alu instid0(VALU_DEP_1) | instskip(SKIP_1) | instid1(VALU_DEP_2)
	v_pk_fma_f32 v[86:87], v[46:47], v[44:45], v[84:85] op_sel_hi:[1,0,1]
	v_pk_fma_f32 v[44:45], v[46:47], v[44:45], v[84:85] neg_lo:[0,0,1] neg_hi:[0,0,1]
	v_mov_b32_e32 v45, v87
	s_delay_alu instid0(VALU_DEP_1)
	v_pk_add_f32 v[42:43], v[42:43], v[44:45] neg_lo:[0,1] neg_hi:[0,1]
.LBB145_378:                            ;   in Loop: Header=BB145_3 Depth=1
	s_or_b32 exec_lo, exec_lo, s7
	s_barrier_signal -1
	s_barrier_wait -1
	s_and_saveexec_b32 s7, s50
; %bb.379:                              ;   in Loop: Header=BB145_3 Depth=1
	v_pk_add_f32 v[44:45], v[42:43], 0 neg_lo:[1,1] neg_hi:[1,1]
	ds_store_b64 v56, v[44:45]
; %bb.380:                              ;   in Loop: Header=BB145_3 Depth=1
	s_or_b32 exec_lo, exec_lo, s7
	s_wait_dscnt 0x0
	s_barrier_signal -1
	s_barrier_wait -1
	s_and_saveexec_b32 s7, s51
	s_cbranch_execz .LBB145_382
; %bb.381:                              ;   in Loop: Header=BB145_3 Depth=1
	ds_load_b64 v[44:45], v57 offset:19712
	ds_load_b64 v[46:47], v56
	s_wait_dscnt 0x0
	v_dual_mul_f32 v3, v47, v45 :: v_dual_mul_f32 v45, v46, v45
	s_delay_alu instid0(VALU_DEP_1) | instskip(NEXT) | instid1(VALU_DEP_1)
	v_dual_fma_f32 v3, v46, v44, -v3 :: v_dual_fmac_f32 v45, v47, v44
	v_dual_sub_f32 v42, v42, v3 :: v_dual_sub_f32 v43, v43, v45
.LBB145_382:                            ;   in Loop: Header=BB145_3 Depth=1
	s_or_b32 exec_lo, exec_lo, s7
	s_barrier_signal -1
	s_barrier_wait -1
	s_and_saveexec_b32 s7, s52
; %bb.383:                              ;   in Loop: Header=BB145_3 Depth=1
	v_pk_add_f32 v[44:45], v[42:43], 0 neg_lo:[1,1] neg_hi:[1,1]
	ds_store_b64 v56, v[44:45]
; %bb.384:                              ;   in Loop: Header=BB145_3 Depth=1
	s_or_b32 exec_lo, exec_lo, s7
	s_wait_dscnt 0x0
	s_barrier_signal -1
	s_barrier_wait -1
	s_and_saveexec_b32 s7, s53
	s_cbranch_execz .LBB145_386
; %bb.385:                              ;   in Loop: Header=BB145_3 Depth=1
	ds_load_b64 v[44:45], v57 offset:19200
	ds_load_b64 v[46:47], v56
	s_wait_dscnt 0x0
	v_dual_mul_f32 v3, v47, v45 :: v_dual_mul_f32 v85, v46, v45
	s_delay_alu instid0(VALU_DEP_1) | instskip(NEXT) | instid1(VALU_DEP_1)
	v_dual_fma_f32 v84, v46, v44, -v3 :: v_dual_fmac_f32 v85, v47, v44
	v_pk_add_f32 v[42:43], v[42:43], v[84:85] neg_lo:[0,1] neg_hi:[0,1]
.LBB145_386:                            ;   in Loop: Header=BB145_3 Depth=1
	s_or_b32 exec_lo, exec_lo, s7
	s_barrier_signal -1
	s_barrier_wait -1
	s_and_saveexec_b32 s7, s54
; %bb.387:                              ;   in Loop: Header=BB145_3 Depth=1
	v_pk_add_f32 v[44:45], v[42:43], 0 neg_lo:[1,1] neg_hi:[1,1]
	ds_store_b64 v56, v[44:45]
; %bb.388:                              ;   in Loop: Header=BB145_3 Depth=1
	s_or_b32 exec_lo, exec_lo, s7
	s_wait_dscnt 0x0
	s_barrier_signal -1
	s_barrier_wait -1
	s_and_saveexec_b32 s7, s55
	s_cbranch_execz .LBB145_390
; %bb.389:                              ;   in Loop: Header=BB145_3 Depth=1
	ds_load_b64 v[44:45], v57 offset:18688
	ds_load_b64 v[46:47], v56
	s_wait_dscnt 0x0
	v_pk_mul_f32 v[84:85], v[46:47], v[44:45] op_sel:[1,1] op_sel_hi:[0,1]
	s_delay_alu instid0(VALU_DEP_1) | instskip(SKIP_1) | instid1(VALU_DEP_2)
	v_pk_fma_f32 v[86:87], v[46:47], v[44:45], v[84:85] op_sel_hi:[1,0,1]
	v_pk_fma_f32 v[44:45], v[46:47], v[44:45], v[84:85] neg_lo:[0,0,1] neg_hi:[0,0,1]
	v_mov_b32_e32 v45, v87
	s_delay_alu instid0(VALU_DEP_1)
	v_pk_add_f32 v[42:43], v[42:43], v[44:45] neg_lo:[0,1] neg_hi:[0,1]
.LBB145_390:                            ;   in Loop: Header=BB145_3 Depth=1
	s_or_b32 exec_lo, exec_lo, s7
	s_barrier_signal -1
	s_barrier_wait -1
	s_and_saveexec_b32 s7, s56
; %bb.391:                              ;   in Loop: Header=BB145_3 Depth=1
	v_pk_add_f32 v[44:45], v[42:43], 0 neg_lo:[1,1] neg_hi:[1,1]
	ds_store_b64 v56, v[44:45]
; %bb.392:                              ;   in Loop: Header=BB145_3 Depth=1
	s_or_b32 exec_lo, exec_lo, s7
	s_wait_dscnt 0x0
	s_barrier_signal -1
	s_barrier_wait -1
	s_and_saveexec_b32 s7, s57
	s_cbranch_execz .LBB145_394
; %bb.393:                              ;   in Loop: Header=BB145_3 Depth=1
	ds_load_b64 v[44:45], v57 offset:18176
	ds_load_b64 v[46:47], v56
	s_wait_dscnt 0x0
	v_pk_mul_f32 v[84:85], v[46:47], v[44:45] op_sel:[1,1] op_sel_hi:[0,1]
	s_delay_alu instid0(VALU_DEP_1) | instskip(SKIP_1) | instid1(VALU_DEP_2)
	v_pk_fma_f32 v[86:87], v[46:47], v[44:45], v[84:85] op_sel_hi:[1,0,1]
	v_pk_fma_f32 v[44:45], v[46:47], v[44:45], v[84:85] neg_lo:[0,0,1] neg_hi:[0,0,1]
	v_mov_b32_e32 v45, v87
	s_delay_alu instid0(VALU_DEP_1)
	v_pk_add_f32 v[42:43], v[42:43], v[44:45] neg_lo:[0,1] neg_hi:[0,1]
.LBB145_394:                            ;   in Loop: Header=BB145_3 Depth=1
	;; [unrolled: 26-line block ×4, first 2 shown]
	s_or_b32 exec_lo, exec_lo, s7
	s_barrier_signal -1
	s_barrier_wait -1
	s_and_saveexec_b32 s7, s61
; %bb.403:                              ;   in Loop: Header=BB145_3 Depth=1
	v_pk_add_f32 v[44:45], v[42:43], 0 neg_lo:[1,1] neg_hi:[1,1]
	ds_store_b64 v56, v[44:45]
; %bb.404:                              ;   in Loop: Header=BB145_3 Depth=1
	s_or_b32 exec_lo, exec_lo, s7
	s_wait_dscnt 0x0
	s_barrier_signal -1
	s_barrier_wait -1
	s_barrier_signal -1
	s_barrier_wait -1
	s_and_saveexec_b32 s7, s3
; %bb.405:                              ;   in Loop: Header=BB145_3 Depth=1
	ds_store_b64 v59, v[42:43] offset:24320
; %bb.406:                              ;   in Loop: Header=BB145_3 Depth=1
	s_or_b32 exec_lo, exec_lo, s7
	s_wait_dscnt 0x0
	s_barrier_signal -1
	s_barrier_wait -1
	s_barrier_signal -1
	s_barrier_wait -1
	s_and_saveexec_b32 s7, s11
; %bb.407:                              ;   in Loop: Header=BB145_3 Depth=1
	v_add_nc_u32_e64 v3, 0x4800, 0
	ds_store_2addr_b64 v3, v[34:35], v[34:35] offset0:166 offset1:231
; %bb.408:                              ;   in Loop: Header=BB145_3 Depth=1
	s_or_b32 exec_lo, exec_lo, s7
	v_dual_mov_b32 v42, 0 :: v_dual_mov_b32 v43, 0
	s_wait_dscnt 0x0
	s_barrier_signal -1
	s_barrier_wait -1
	global_wb scope:SCOPE_DEV
	s_wait_storecnt 0x0
	global_inv scope:SCOPE_DEV
	s_and_saveexec_b32 s7, s1
	s_cbranch_execz .LBB145_412
; %bb.409:                              ;   in Loop: Header=BB145_3 Depth=1
	ds_load_b64 v[42:43], v48 offset:19744
	ds_load_b64 v[44:45], v49 offset:20272
	s_wait_dscnt 0x0
	v_pk_mul_f32 v[46:47], v[44:45], v[42:43] op_sel:[1,1] op_sel_hi:[0,1]
	s_delay_alu instid0(VALU_DEP_1) | instskip(SKIP_1) | instid1(VALU_DEP_2)
	v_pk_fma_f32 v[84:85], v[44:45], v[42:43], v[46:47] op_sel_hi:[1,0,1]
	v_pk_fma_f32 v[42:43], v[44:45], v[42:43], v[46:47] neg_lo:[0,0,1] neg_hi:[0,0,1]
	v_mov_b32_e32 v43, v85
	s_delay_alu instid0(VALU_DEP_1)
	v_pk_add_f32 v[42:43], v[42:43], 0 op_sel_hi:[1,0]
	s_and_saveexec_b32 s8, s12
	s_cbranch_execz .LBB145_411
; %bb.410:                              ;   in Loop: Header=BB145_3 Depth=1
	ds_load_b64 v[44:45], v50 offset:20256
	ds_load_b64 v[46:47], v7 offset:20280
	s_wait_dscnt 0x0
	v_pk_mul_f32 v[84:85], v[46:47], v[44:45] op_sel:[1,1] op_sel_hi:[0,1]
	s_delay_alu instid0(VALU_DEP_1) | instskip(SKIP_1) | instid1(VALU_DEP_2)
	v_pk_fma_f32 v[86:87], v[46:47], v[44:45], v[84:85] op_sel_hi:[1,0,1]
	v_pk_fma_f32 v[44:45], v[46:47], v[44:45], v[84:85] neg_lo:[0,0,1] neg_hi:[0,0,1]
	v_mov_b32_e32 v45, v87
	s_delay_alu instid0(VALU_DEP_1)
	v_pk_add_f32 v[42:43], v[42:43], v[44:45]
.LBB145_411:                            ;   in Loop: Header=BB145_3 Depth=1
	s_or_b32 exec_lo, exec_lo, s8
.LBB145_412:                            ;   in Loop: Header=BB145_3 Depth=1
	s_delay_alu instid0(SALU_CYCLE_1)
	s_or_b32 exec_lo, exec_lo, s7
	s_and_saveexec_b32 s7, s103
; %bb.413:                              ;   in Loop: Header=BB145_3 Depth=1
	s_delay_alu instid0(VALU_DEP_1)
	v_pk_add_f32 v[44:45], v[42:43], 0 neg_lo:[1,1] neg_hi:[1,1]
	ds_store_b64 v5, v[44:45]
; %bb.414:                              ;   in Loop: Header=BB145_3 Depth=1
	s_or_b32 exec_lo, exec_lo, s7
	s_wait_loadcnt_dscnt 0x0
	s_barrier_signal -1
	s_barrier_wait -1
	s_and_saveexec_b32 s7, s104
	s_cbranch_execz .LBB145_416
; %bb.415:                              ;   in Loop: Header=BB145_3 Depth=1
	ds_load_b64 v[44:45], v7 offset:19232
	ds_load_b64 v[46:47], v5
	s_wait_dscnt 0x0
	v_pk_mul_f32 v[84:85], v[46:47], v[44:45] op_sel_hi:[1,0]
	s_delay_alu instid0(VALU_DEP_1) | instskip(SKIP_1) | instid1(VALU_DEP_2)
	v_pk_fma_f32 v[86:87], v[46:47], v[44:45], v[84:85] op_sel:[1,1,0] op_sel_hi:[0,1,1]
	v_pk_fma_f32 v[44:45], v[46:47], v[44:45], v[84:85] op_sel:[1,1,0] op_sel_hi:[0,1,1] neg_lo:[0,0,1] neg_hi:[0,0,1]
	v_pk_add_f32 v[46:47], v[42:43], v[86:87] neg_lo:[0,1] neg_hi:[0,1]
	s_delay_alu instid0(VALU_DEP_2) | instskip(NEXT) | instid1(VALU_DEP_2)
	v_pk_add_f32 v[42:43], v[42:43], v[44:45]
	v_mov_b32_e32 v43, v47
.LBB145_416:                            ;   in Loop: Header=BB145_3 Depth=1
	s_or_b32 exec_lo, exec_lo, s7
	s_barrier_signal -1
	s_barrier_wait -1
	s_and_saveexec_b32 s7, s104
; %bb.417:                              ;   in Loop: Header=BB145_3 Depth=1
	v_pk_add_f32 v[44:45], v[42:43], 0 neg_lo:[1,1] neg_hi:[1,1]
	ds_store_b64 v5, v[44:45]
; %bb.418:                              ;   in Loop: Header=BB145_3 Depth=1
	s_or_b32 exec_lo, exec_lo, s7
	s_wait_dscnt 0x0
	s_barrier_signal -1
	s_barrier_wait -1
	s_barrier_signal -1
	s_barrier_wait -1
	s_and_saveexec_b32 s7, s1
; %bb.419:                              ;   in Loop: Header=BB145_3 Depth=1
	ds_store_b64 v51, v[42:43] offset:20256
; %bb.420:                              ;   in Loop: Header=BB145_3 Depth=1
	s_or_b32 exec_lo, exec_lo, s7
	s_wait_dscnt 0x0
	s_barrier_signal -1
	s_barrier_wait -1
	s_barrier_signal -1
	s_barrier_wait -1
	s_and_saveexec_b32 s7, s11
; %bb.421:                              ;   in Loop: Header=BB145_3 Depth=1
	v_add_nc_u32_e64 v3, 0x4800, 0
	ds_store_2addr_b64 v3, v[34:35], v[34:35] offset0:36 offset1:101
; %bb.422:                              ;   in Loop: Header=BB145_3 Depth=1
	s_or_b32 exec_lo, exec_lo, s7
	v_mov_b64_e32 v[42:43], 0
	s_wait_dscnt 0x0
	s_barrier_signal -1
	s_barrier_wait -1
	global_wb scope:SCOPE_DEV
	s_wait_storecnt 0x0
	global_inv scope:SCOPE_DEV
	s_and_saveexec_b32 s7, s2
	s_cbranch_execz .LBB145_428
; %bb.423:                              ;   in Loop: Header=BB145_3 Depth=1
	ds_load_b64 v[42:43], v53 offset:18688
	ds_load_b64 v[44:45], v54 offset:20256
	s_wait_dscnt 0x0
	v_dual_mul_f32 v3, v45, v43 :: v_dual_mul_f32 v43, v44, v43
	s_delay_alu instid0(VALU_DEP_1) | instskip(NEXT) | instid1(VALU_DEP_1)
	v_fmac_f32_e32 v43, v45, v42
	v_dual_fma_f32 v3, v44, v42, -v3 :: v_dual_add_f32 v43, 0, v43
	s_delay_alu instid0(VALU_DEP_1)
	v_add_f32_e32 v42, 0, v3
	s_and_saveexec_b32 s8, s13
	s_cbranch_execnz .LBB145_1022
; %bb.424:                              ;   in Loop: Header=BB145_3 Depth=1
	s_or_b32 exec_lo, exec_lo, s8
	s_and_saveexec_b32 s8, s14
	s_cbranch_execnz .LBB145_1023
.LBB145_425:                            ;   in Loop: Header=BB145_3 Depth=1
	s_or_b32 exec_lo, exec_lo, s8
	s_and_saveexec_b32 s8, s1
	s_cbranch_execz .LBB145_427
.LBB145_426:                            ;   in Loop: Header=BB145_3 Depth=1
	ds_load_b64 v[44:45], v50 offset:20224
	ds_load_b64 v[46:47], v7 offset:20280
	s_wait_dscnt 0x0
	v_pk_mul_f32 v[84:85], v[46:47], v[44:45] op_sel:[1,1] op_sel_hi:[0,1]
	s_delay_alu instid0(VALU_DEP_1) | instskip(SKIP_1) | instid1(VALU_DEP_2)
	v_pk_fma_f32 v[86:87], v[46:47], v[44:45], v[84:85] op_sel_hi:[1,0,1]
	v_pk_fma_f32 v[44:45], v[46:47], v[44:45], v[84:85] neg_lo:[0,0,1] neg_hi:[0,0,1]
	v_mov_b32_e32 v45, v87
	s_delay_alu instid0(VALU_DEP_1)
	v_pk_add_f32 v[42:43], v[42:43], v[44:45]
.LBB145_427:                            ;   in Loop: Header=BB145_3 Depth=1
	s_or_b32 exec_lo, exec_lo, s8
.LBB145_428:                            ;   in Loop: Header=BB145_3 Depth=1
	s_delay_alu instid0(SALU_CYCLE_1)
	s_or_b32 exec_lo, exec_lo, s7
	s_and_saveexec_b32 s7, vcc_hi
; %bb.429:                              ;   in Loop: Header=BB145_3 Depth=1
	s_delay_alu instid0(VALU_DEP_1)
	v_pk_add_f32 v[44:45], v[42:43], 0 neg_lo:[1,1] neg_hi:[1,1]
	ds_store_b64 v52, v[44:45]
; %bb.430:                              ;   in Loop: Header=BB145_3 Depth=1
	s_or_b32 exec_lo, exec_lo, s7
	s_wait_loadcnt_dscnt 0x0
	s_barrier_signal -1
	s_barrier_wait -1
	s_and_saveexec_b32 s7, s43
	s_cbranch_execz .LBB145_432
; %bb.431:                              ;   in Loop: Header=BB145_3 Depth=1
	ds_load_b64 v[44:45], v53 offset:18176
	ds_load_b64 v[46:47], v52
	s_wait_dscnt 0x0
	v_pk_mul_f32 v[84:85], v[46:47], v[44:45] op_sel:[1,1] op_sel_hi:[0,1]
	s_delay_alu instid0(VALU_DEP_1) | instskip(SKIP_1) | instid1(VALU_DEP_2)
	v_pk_fma_f32 v[86:87], v[46:47], v[44:45], v[84:85] op_sel_hi:[1,0,1]
	v_pk_fma_f32 v[44:45], v[46:47], v[44:45], v[84:85] neg_lo:[0,0,1] neg_hi:[0,0,1]
	v_mov_b32_e32 v45, v87
	s_delay_alu instid0(VALU_DEP_1)
	v_pk_add_f32 v[42:43], v[42:43], v[44:45] neg_lo:[0,1] neg_hi:[0,1]
.LBB145_432:                            ;   in Loop: Header=BB145_3 Depth=1
	s_or_b32 exec_lo, exec_lo, s7
	s_barrier_signal -1
	s_barrier_wait -1
	s_and_saveexec_b32 s7, s44
; %bb.433:                              ;   in Loop: Header=BB145_3 Depth=1
	v_pk_add_f32 v[44:45], v[42:43], 0 neg_lo:[1,1] neg_hi:[1,1]
	ds_store_b64 v52, v[44:45]
; %bb.434:                              ;   in Loop: Header=BB145_3 Depth=1
	s_or_b32 exec_lo, exec_lo, s7
	s_wait_dscnt 0x0
	s_barrier_signal -1
	s_barrier_wait -1
	s_and_saveexec_b32 s7, s45
	s_cbranch_execz .LBB145_436
; %bb.435:                              ;   in Loop: Header=BB145_3 Depth=1
	ds_load_b64 v[44:45], v53 offset:17664
	ds_load_b64 v[46:47], v52
	s_wait_dscnt 0x0
	v_pk_mul_f32 v[84:85], v[46:47], v[44:45] op_sel:[1,1] op_sel_hi:[0,1]
	s_delay_alu instid0(VALU_DEP_1) | instskip(SKIP_1) | instid1(VALU_DEP_2)
	v_pk_fma_f32 v[86:87], v[46:47], v[44:45], v[84:85] op_sel_hi:[1,0,1]
	v_pk_fma_f32 v[44:45], v[46:47], v[44:45], v[84:85] neg_lo:[0,0,1] neg_hi:[0,0,1]
	v_mov_b32_e32 v45, v87
	s_delay_alu instid0(VALU_DEP_1)
	v_pk_add_f32 v[42:43], v[42:43], v[44:45] neg_lo:[0,1] neg_hi:[0,1]
.LBB145_436:                            ;   in Loop: Header=BB145_3 Depth=1
	s_or_b32 exec_lo, exec_lo, s7
	s_barrier_signal -1
	s_barrier_wait -1
	s_and_saveexec_b32 s7, s46
; %bb.437:                              ;   in Loop: Header=BB145_3 Depth=1
	v_pk_add_f32 v[44:45], v[42:43], 0 neg_lo:[1,1] neg_hi:[1,1]
	ds_store_b64 v52, v[44:45]
; %bb.438:                              ;   in Loop: Header=BB145_3 Depth=1
	s_or_b32 exec_lo, exec_lo, s7
	s_wait_dscnt 0x0
	;; [unrolled: 26-line block ×3, first 2 shown]
	s_barrier_signal -1
	s_barrier_wait -1
	s_barrier_signal -1
	s_barrier_wait -1
	s_and_saveexec_b32 s7, s2
; %bb.443:                              ;   in Loop: Header=BB145_3 Depth=1
	ds_store_b64 v55, v[42:43] offset:20224
; %bb.444:                              ;   in Loop: Header=BB145_3 Depth=1
	s_or_b32 exec_lo, exec_lo, s7
	s_wait_dscnt 0x0
	s_barrier_signal -1
	s_barrier_wait -1
	s_barrier_signal -1
	s_barrier_wait -1
	s_and_saveexec_b32 s7, s11
; %bb.445:                              ;   in Loop: Header=BB145_3 Depth=1
	v_add_nc_u32_e64 v3, 0x4000, 0
	ds_store_2addr_b64 v3, v[34:35], v[34:35] offset0:162 offset1:227
; %bb.446:                              ;   in Loop: Header=BB145_3 Depth=1
	s_or_b32 exec_lo, exec_lo, s7
	v_dual_mov_b32 v42, 0 :: v_dual_mov_b32 v43, 0
	s_wait_dscnt 0x0
	s_barrier_signal -1
	s_barrier_wait -1
	global_wb scope:SCOPE_DEV
	s_wait_storecnt 0x0
	global_inv scope:SCOPE_DEV
	s_and_saveexec_b32 s7, s1
	s_cbranch_execz .LBB145_450
; %bb.447:                              ;   in Loop: Header=BB145_3 Depth=1
	ds_load_b64 v[42:43], v48 offset:17664
	ds_load_b64 v[44:45], v49 offset:18192
	s_wait_dscnt 0x0
	v_pk_mul_f32 v[46:47], v[44:45], v[42:43] op_sel:[1,1] op_sel_hi:[0,1]
	s_delay_alu instid0(VALU_DEP_1) | instskip(SKIP_1) | instid1(VALU_DEP_2)
	v_pk_fma_f32 v[84:85], v[44:45], v[42:43], v[46:47] op_sel_hi:[1,0,1]
	v_pk_fma_f32 v[42:43], v[44:45], v[42:43], v[46:47] neg_lo:[0,0,1] neg_hi:[0,0,1]
	v_mov_b32_e32 v43, v85
	s_delay_alu instid0(VALU_DEP_1)
	v_pk_add_f32 v[42:43], v[42:43], 0 op_sel_hi:[1,0]
	s_and_saveexec_b32 s8, s12
	s_cbranch_execz .LBB145_449
; %bb.448:                              ;   in Loop: Header=BB145_3 Depth=1
	ds_load_b64 v[44:45], v50 offset:18176
	ds_load_b64 v[46:47], v7 offset:18200
	s_wait_dscnt 0x0
	v_pk_mul_f32 v[84:85], v[46:47], v[44:45] op_sel:[1,1] op_sel_hi:[0,1]
	s_delay_alu instid0(VALU_DEP_1) | instskip(SKIP_1) | instid1(VALU_DEP_2)
	v_pk_fma_f32 v[86:87], v[46:47], v[44:45], v[84:85] op_sel_hi:[1,0,1]
	v_pk_fma_f32 v[44:45], v[46:47], v[44:45], v[84:85] neg_lo:[0,0,1] neg_hi:[0,0,1]
	v_mov_b32_e32 v45, v87
	s_delay_alu instid0(VALU_DEP_1)
	v_pk_add_f32 v[42:43], v[42:43], v[44:45]
.LBB145_449:                            ;   in Loop: Header=BB145_3 Depth=1
	s_or_b32 exec_lo, exec_lo, s8
.LBB145_450:                            ;   in Loop: Header=BB145_3 Depth=1
	s_delay_alu instid0(SALU_CYCLE_1)
	s_or_b32 exec_lo, exec_lo, s7
	s_and_saveexec_b32 s7, s103
; %bb.451:                              ;   in Loop: Header=BB145_3 Depth=1
	s_delay_alu instid0(VALU_DEP_1)
	v_pk_add_f32 v[44:45], v[42:43], 0 neg_lo:[1,1] neg_hi:[1,1]
	ds_store_b64 v5, v[44:45]
; %bb.452:                              ;   in Loop: Header=BB145_3 Depth=1
	s_or_b32 exec_lo, exec_lo, s7
	s_wait_loadcnt_dscnt 0x0
	s_barrier_signal -1
	s_barrier_wait -1
	s_and_saveexec_b32 s7, s104
	s_cbranch_execz .LBB145_454
; %bb.453:                              ;   in Loop: Header=BB145_3 Depth=1
	ds_load_b64 v[44:45], v7 offset:17152
	ds_load_b64 v[46:47], v5
	s_wait_dscnt 0x0
	v_pk_mul_f32 v[84:85], v[46:47], v[44:45] op_sel_hi:[1,0]
	s_delay_alu instid0(VALU_DEP_1) | instskip(SKIP_1) | instid1(VALU_DEP_2)
	v_pk_fma_f32 v[86:87], v[46:47], v[44:45], v[84:85] op_sel:[1,1,0] op_sel_hi:[0,1,1]
	v_pk_fma_f32 v[44:45], v[46:47], v[44:45], v[84:85] op_sel:[1,1,0] op_sel_hi:[0,1,1] neg_lo:[0,0,1] neg_hi:[0,0,1]
	v_pk_add_f32 v[46:47], v[42:43], v[86:87] neg_lo:[0,1] neg_hi:[0,1]
	s_delay_alu instid0(VALU_DEP_2) | instskip(NEXT) | instid1(VALU_DEP_2)
	v_pk_add_f32 v[42:43], v[42:43], v[44:45]
	v_mov_b32_e32 v43, v47
.LBB145_454:                            ;   in Loop: Header=BB145_3 Depth=1
	s_or_b32 exec_lo, exec_lo, s7
	s_barrier_signal -1
	s_barrier_wait -1
	s_and_saveexec_b32 s7, s104
; %bb.455:                              ;   in Loop: Header=BB145_3 Depth=1
	v_pk_add_f32 v[44:45], v[42:43], 0 neg_lo:[1,1] neg_hi:[1,1]
	ds_store_b64 v5, v[44:45]
; %bb.456:                              ;   in Loop: Header=BB145_3 Depth=1
	s_or_b32 exec_lo, exec_lo, s7
	s_wait_dscnt 0x0
	s_barrier_signal -1
	s_barrier_wait -1
	s_barrier_signal -1
	s_barrier_wait -1
	s_and_saveexec_b32 s7, s1
; %bb.457:                              ;   in Loop: Header=BB145_3 Depth=1
	ds_store_b64 v51, v[42:43] offset:18176
; %bb.458:                              ;   in Loop: Header=BB145_3 Depth=1
	s_or_b32 exec_lo, exec_lo, s7
	s_wait_dscnt 0x0
	s_barrier_signal -1
	s_barrier_wait -1
	s_barrier_signal -1
	s_barrier_wait -1
	s_and_saveexec_b32 s7, s11
; %bb.459:                              ;   in Loop: Header=BB145_3 Depth=1
	v_add_nc_u32_e64 v3, 0x4000, 0
	ds_store_2addr_b64 v3, v[34:35], v[34:35] offset0:32 offset1:97
; %bb.460:                              ;   in Loop: Header=BB145_3 Depth=1
	s_or_b32 exec_lo, exec_lo, s7
	v_mov_b64_e32 v[42:43], 0
	s_wait_dscnt 0x0
	s_barrier_signal -1
	s_barrier_wait -1
	global_wb scope:SCOPE_DEV
	s_wait_storecnt 0x0
	global_inv scope:SCOPE_DEV
	s_and_saveexec_b32 s66, s33
	s_cbranch_execz .LBB145_522
; %bb.461:                              ;   in Loop: Header=BB145_3 Depth=1
	ds_load_b64 v[42:43], v66 offset:16384
	ds_load_b64 v[44:45], v67 offset:32512
	s_wait_dscnt 0x0
	v_dual_mul_f32 v3, v45, v43 :: v_dual_mul_f32 v43, v44, v43
	s_delay_alu instid0(VALU_DEP_1) | instskip(NEXT) | instid1(VALU_DEP_1)
	v_fmac_f32_e32 v43, v45, v42
	v_dual_fma_f32 v3, v44, v42, -v3 :: v_dual_add_f32 v43, 0, v43
	s_delay_alu instid0(VALU_DEP_1) | instskip(SKIP_3) | instid1(SALU_CYCLE_1)
	v_add_f32_e32 v42, 0, v3
	s_mov_b32 s7, exec_lo
	v_readlane_b32 s8, v92, 12
	s_and_b32 s8, s7, s8
	s_mov_b32 exec_lo, s8
	s_cbranch_execz .LBB145_463
; %bb.462:                              ;   in Loop: Header=BB145_3 Depth=1
	ds_load_b64 v[44:45], v66 offset:16896
	ds_load_b64 v[46:47], v67 offset:32520
	s_wait_dscnt 0x0
	v_dual_mul_f32 v3, v47, v45 :: v_dual_mul_f32 v45, v46, v45
	s_delay_alu instid0(VALU_DEP_1) | instskip(NEXT) | instid1(VALU_DEP_1)
	v_dual_fma_f32 v3, v46, v44, -v3 :: v_dual_fmac_f32 v45, v47, v44
	v_dual_add_f32 v42, v42, v3 :: v_dual_add_f32 v43, v43, v45
.LBB145_463:                            ;   in Loop: Header=BB145_3 Depth=1
	s_or_b32 exec_lo, exec_lo, s7
	s_delay_alu instid0(SALU_CYCLE_1) | instskip(SKIP_2) | instid1(SALU_CYCLE_1)
	s_mov_b32 s7, exec_lo
	v_readlane_b32 s8, v92, 13
	s_and_b32 s8, s7, s8
	s_mov_b32 exec_lo, s8
	s_cbranch_execz .LBB145_465
; %bb.464:                              ;   in Loop: Header=BB145_3 Depth=1
	ds_load_b64 v[44:45], v66 offset:17408
	ds_load_b64 v[46:47], v67 offset:32528
	s_wait_dscnt 0x0
	v_dual_mul_f32 v3, v47, v45 :: v_dual_mul_f32 v45, v46, v45
	s_delay_alu instid0(VALU_DEP_1) | instskip(NEXT) | instid1(VALU_DEP_1)
	v_dual_fma_f32 v3, v46, v44, -v3 :: v_dual_fmac_f32 v45, v47, v44
	v_dual_add_f32 v42, v42, v3 :: v_dual_add_f32 v43, v43, v45
.LBB145_465:                            ;   in Loop: Header=BB145_3 Depth=1
	s_or_b32 exec_lo, exec_lo, s7
	s_delay_alu instid0(SALU_CYCLE_1) | instskip(SKIP_2) | instid1(SALU_CYCLE_1)
	;; [unrolled: 16-line block ×22, first 2 shown]
	s_mov_b32 s7, exec_lo
	v_readlane_b32 s8, v83, 2
	s_and_b32 s8, s7, s8
	s_mov_b32 exec_lo, s8
	s_cbranch_execz .LBB145_507
; %bb.506:                              ;   in Loop: Header=BB145_3 Depth=1
	ds_load_b64 v[44:45], v66 offset:28160
	ds_load_b64 v[46:47], v67 offset:32696
	s_wait_dscnt 0x0
	v_dual_mul_f32 v3, v47, v45 :: v_dual_mul_f32 v45, v46, v45
	s_delay_alu instid0(VALU_DEP_1) | instskip(NEXT) | instid1(VALU_DEP_1)
	v_dual_fma_f32 v3, v46, v44, -v3 :: v_dual_fmac_f32 v45, v47, v44
	v_dual_add_f32 v42, v42, v3 :: v_dual_add_f32 v43, v43, v45
.LBB145_507:                            ;   in Loop: Header=BB145_3 Depth=1
	s_or_b32 exec_lo, exec_lo, s7
	s_and_saveexec_b32 s7, s4
	s_cbranch_execz .LBB145_509
; %bb.508:                              ;   in Loop: Header=BB145_3 Depth=1
	ds_load_b64 v[44:45], v66 offset:28672
	ds_load_b64 v[46:47], v67 offset:32704
	s_wait_dscnt 0x0
	v_dual_mul_f32 v3, v47, v45 :: v_dual_mul_f32 v45, v46, v45
	s_delay_alu instid0(VALU_DEP_1) | instskip(NEXT) | instid1(VALU_DEP_1)
	v_dual_fma_f32 v3, v46, v44, -v3 :: v_dual_fmac_f32 v45, v47, v44
	v_dual_add_f32 v42, v42, v3 :: v_dual_add_f32 v43, v43, v45
.LBB145_509:                            ;   in Loop: Header=BB145_3 Depth=1
	s_or_b32 exec_lo, exec_lo, s7
	s_delay_alu instid0(SALU_CYCLE_1) | instskip(SKIP_2) | instid1(SALU_CYCLE_1)
	s_mov_b32 s7, exec_lo
	v_readlane_b32 s8, v93, 26
	s_and_b32 s8, s7, s8
	s_mov_b32 exec_lo, s8
	s_cbranch_execz .LBB145_511
; %bb.510:                              ;   in Loop: Header=BB145_3 Depth=1
	ds_load_b64 v[44:45], v66 offset:29184
	ds_load_b64 v[46:47], v67 offset:32712
	s_wait_dscnt 0x0
	v_dual_mul_f32 v3, v47, v45 :: v_dual_mul_f32 v45, v46, v45
	s_delay_alu instid0(VALU_DEP_1) | instskip(NEXT) | instid1(VALU_DEP_1)
	v_dual_fma_f32 v3, v46, v44, -v3 :: v_dual_fmac_f32 v45, v47, v44
	v_dual_add_f32 v42, v42, v3 :: v_dual_add_f32 v43, v43, v45
.LBB145_511:                            ;   in Loop: Header=BB145_3 Depth=1
	s_or_b32 exec_lo, exec_lo, s7
	s_delay_alu instid0(SALU_CYCLE_1) | instskip(SKIP_2) | instid1(SALU_CYCLE_1)
	s_mov_b32 s7, exec_lo
	v_readlane_b32 s8, v93, 28
	s_and_b32 s8, s7, s8
	s_mov_b32 exec_lo, s8
	s_cbranch_execz .LBB145_513
; %bb.512:                              ;   in Loop: Header=BB145_3 Depth=1
	ds_load_b64 v[44:45], v66 offset:29696
	ds_load_b64 v[46:47], v67 offset:32720
	s_wait_dscnt 0x0
	v_dual_mul_f32 v3, v47, v45 :: v_dual_mul_f32 v45, v46, v45
	s_delay_alu instid0(VALU_DEP_1) | instskip(NEXT) | instid1(VALU_DEP_1)
	v_dual_fma_f32 v3, v46, v44, -v3 :: v_dual_fmac_f32 v45, v47, v44
	v_dual_add_f32 v42, v42, v3 :: v_dual_add_f32 v43, v43, v45
.LBB145_513:                            ;   in Loop: Header=BB145_3 Depth=1
	s_or_b32 exec_lo, exec_lo, s7
	s_delay_alu instid0(SALU_CYCLE_1) | instskip(SKIP_2) | instid1(SALU_CYCLE_1)
	s_mov_b32 s7, exec_lo
	v_readlane_b32 s8, v93, 31
	s_and_b32 s8, s7, s8
	s_mov_b32 exec_lo, s8
	s_cbranch_execz .LBB145_515
; %bb.514:                              ;   in Loop: Header=BB145_3 Depth=1
	ds_load_b64 v[44:45], v66 offset:30208
	ds_load_b64 v[46:47], v67 offset:32728
	s_wait_dscnt 0x0
	v_dual_mul_f32 v3, v47, v45 :: v_dual_mul_f32 v45, v46, v45
	s_delay_alu instid0(VALU_DEP_1) | instskip(NEXT) | instid1(VALU_DEP_1)
	v_dual_fma_f32 v3, v46, v44, -v3 :: v_dual_fmac_f32 v45, v47, v44
	v_dual_add_f32 v42, v42, v3 :: v_dual_add_f32 v43, v43, v45
.LBB145_515:                            ;   in Loop: Header=BB145_3 Depth=1
	s_or_b32 exec_lo, exec_lo, s7
	s_delay_alu instid0(SALU_CYCLE_1) | instskip(SKIP_2) | instid1(SALU_CYCLE_1)
	s_mov_b32 s7, exec_lo
	v_readlane_b32 s8, v92, 1
	s_and_b32 s8, s7, s8
	s_mov_b32 exec_lo, s8
	s_cbranch_execz .LBB145_517
; %bb.516:                              ;   in Loop: Header=BB145_3 Depth=1
	ds_load_b64 v[44:45], v66 offset:30720
	ds_load_b64 v[46:47], v67 offset:32736
	s_wait_dscnt 0x0
	v_dual_mul_f32 v3, v47, v45 :: v_dual_mul_f32 v85, v46, v45
	s_delay_alu instid0(VALU_DEP_1) | instskip(NEXT) | instid1(VALU_DEP_1)
	v_dual_fma_f32 v84, v46, v44, -v3 :: v_dual_fmac_f32 v85, v47, v44
	v_pk_add_f32 v[42:43], v[42:43], v[84:85]
.LBB145_517:                            ;   in Loop: Header=BB145_3 Depth=1
	s_or_b32 exec_lo, exec_lo, s7
	s_delay_alu instid0(SALU_CYCLE_1) | instskip(SKIP_2) | instid1(SALU_CYCLE_1)
	s_mov_b32 s7, exec_lo
	v_readlane_b32 s8, v92, 3
	s_and_b32 s8, s7, s8
	s_mov_b32 exec_lo, s8
	s_cbranch_execnz .LBB145_1024
; %bb.518:                              ;   in Loop: Header=BB145_3 Depth=1
	s_or_b32 exec_lo, exec_lo, s7
	s_and_saveexec_b32 s7, s3
	s_cbranch_execnz .LBB145_1025
.LBB145_519:                            ;   in Loop: Header=BB145_3 Depth=1
	s_or_b32 exec_lo, exec_lo, s7
	s_and_saveexec_b32 s7, s18
	s_delay_alu instid0(SALU_CYCLE_1)
	s_xor_b32 s7, exec_lo, s7
	s_cbranch_execz .LBB145_521
.LBB145_520:                            ;   in Loop: Header=BB145_3 Depth=1
	ds_load_b64 v[44:45], v66 offset:32256
	ds_load_b64 v[46:47], v67 offset:32760
	s_wait_dscnt 0x0
	v_pk_mul_f32 v[84:85], v[46:47], v[44:45] op_sel:[1,1] op_sel_hi:[0,1]
	s_delay_alu instid0(VALU_DEP_1) | instskip(SKIP_1) | instid1(VALU_DEP_2)
	v_pk_fma_f32 v[86:87], v[46:47], v[44:45], v[84:85] op_sel_hi:[1,0,1]
	v_pk_fma_f32 v[44:45], v[46:47], v[44:45], v[84:85] neg_lo:[0,0,1] neg_hi:[0,0,1]
	v_mov_b32_e32 v45, v87
	s_delay_alu instid0(VALU_DEP_1)
	v_pk_add_f32 v[42:43], v[42:43], v[44:45]
.LBB145_521:                            ;   in Loop: Header=BB145_3 Depth=1
	s_or_b32 exec_lo, exec_lo, s7
.LBB145_522:                            ;   in Loop: Header=BB145_3 Depth=1
	s_delay_alu instid0(SALU_CYCLE_1)
	s_or_b32 exec_lo, exec_lo, s66
	v_dual_mov_b32 v3, v79 :: v_dual_mov_b32 v44, v78
	s_mov_b32 s7, 31
	s_branch .LBB145_524
.LBB145_523:                            ;   in Loop: Header=BB145_524 Depth=2
	s_or_b32 exec_lo, exec_lo, s9
	v_add_nc_u32_e32 v44, 0xfffff800, v44
	v_add_nc_u32_e32 v3, 4, v3
	s_add_co_i32 s7, s7, -4
	s_cmp_eq_u32 s8, 0
	s_barrier_signal -1
	s_barrier_wait -1
	s_cbranch_scc1 .LBB145_540
.LBB145_524:                            ;   Parent Loop BB145_3 Depth=1
                                        ; =>  This Inner Loop Header: Depth=2
	s_delay_alu instid0(VALU_DEP_1) | instskip(SKIP_1) | instid1(SALU_CYCLE_1)
	v_cmp_eq_u32_e32 vcc_lo, 0, v3
	s_and_b32 s9, s6, vcc_lo
	s_and_saveexec_b32 s8, s9
; %bb.525:                              ;   in Loop: Header=BB145_524 Depth=2
	v_pk_add_f32 v[46:47], v[42:43], 0 neg_lo:[1,1] neg_hi:[1,1]
	ds_store_b64 v65, v[46:47]
; %bb.526:                              ;   in Loop: Header=BB145_524 Depth=2
	s_or_b32 exec_lo, exec_lo, s8
	v_cmp_gt_u32_e32 vcc_lo, s7, v64
	s_wait_loadcnt_dscnt 0x0
	s_barrier_signal -1
	s_barrier_wait -1
	s_and_b32 s9, s6, vcc_lo
	s_delay_alu instid0(SALU_CYCLE_1)
	s_and_saveexec_b32 s8, s9
	s_cbranch_execz .LBB145_528
; %bb.527:                              ;   in Loop: Header=BB145_524 Depth=2
	ds_load_b64 v[46:47], v44 offset:1536
	ds_load_b64 v[84:85], v65
	s_wait_dscnt 0x0
	v_pk_mul_f32 v[86:87], v[84:85], v[46:47] op_sel:[1,1] op_sel_hi:[0,1]
	s_delay_alu instid0(VALU_DEP_1) | instskip(SKIP_1) | instid1(VALU_DEP_2)
	v_pk_fma_f32 v[88:89], v[84:85], v[46:47], v[86:87] op_sel_hi:[1,0,1]
	v_pk_fma_f32 v[46:47], v[84:85], v[46:47], v[86:87] neg_lo:[0,0,1] neg_hi:[0,0,1]
	v_mov_b32_e32 v47, v89
	s_delay_alu instid0(VALU_DEP_1)
	v_pk_add_f32 v[42:43], v[42:43], v[46:47] neg_lo:[0,1] neg_hi:[0,1]
.LBB145_528:                            ;   in Loop: Header=BB145_524 Depth=2
	s_or_b32 exec_lo, exec_lo, s8
	s_add_co_i32 s8, s7, -1
	s_delay_alu instid0(SALU_CYCLE_1) | instskip(SKIP_3) | instid1(SALU_CYCLE_1)
	v_cmp_eq_u32_e32 vcc_lo, s8, v64
	s_barrier_signal -1
	s_barrier_wait -1
	s_and_b32 s66, s6, vcc_lo
	s_and_saveexec_b32 s9, s66
; %bb.529:                              ;   in Loop: Header=BB145_524 Depth=2
	v_pk_add_f32 v[46:47], v[42:43], 0 neg_lo:[1,1] neg_hi:[1,1]
	ds_store_b64 v65, v[46:47]
; %bb.530:                              ;   in Loop: Header=BB145_524 Depth=2
	s_or_b32 exec_lo, exec_lo, s9
	v_cmp_gt_u32_e32 vcc_lo, s8, v64
	s_wait_dscnt 0x0
	s_barrier_signal -1
	s_barrier_wait -1
	s_and_b32 s9, s6, vcc_lo
	s_delay_alu instid0(SALU_CYCLE_1)
	s_and_saveexec_b32 s8, s9
	s_cbranch_execz .LBB145_532
; %bb.531:                              ;   in Loop: Header=BB145_524 Depth=2
	ds_load_b64 v[46:47], v44 offset:1024
	ds_load_b64 v[84:85], v65
	s_wait_dscnt 0x0
	v_pk_mul_f32 v[86:87], v[84:85], v[46:47] op_sel:[1,1] op_sel_hi:[0,1]
	s_delay_alu instid0(VALU_DEP_1) | instskip(SKIP_1) | instid1(VALU_DEP_2)
	v_pk_fma_f32 v[88:89], v[84:85], v[46:47], v[86:87] op_sel_hi:[1,0,1]
	v_pk_fma_f32 v[46:47], v[84:85], v[46:47], v[86:87] neg_lo:[0,0,1] neg_hi:[0,0,1]
	v_mov_b32_e32 v47, v89
	s_delay_alu instid0(VALU_DEP_1)
	v_pk_add_f32 v[42:43], v[42:43], v[46:47] neg_lo:[0,1] neg_hi:[0,1]
.LBB145_532:                            ;   in Loop: Header=BB145_524 Depth=2
	s_or_b32 exec_lo, exec_lo, s8
	s_add_co_i32 s8, s7, -2
	s_delay_alu instid0(SALU_CYCLE_1) | instskip(SKIP_3) | instid1(SALU_CYCLE_1)
	v_cmp_eq_u32_e32 vcc_lo, s8, v64
	s_barrier_signal -1
	s_barrier_wait -1
	s_and_b32 s66, s6, vcc_lo
	s_and_saveexec_b32 s9, s66
; %bb.533:                              ;   in Loop: Header=BB145_524 Depth=2
	v_pk_add_f32 v[46:47], v[42:43], 0 neg_lo:[1,1] neg_hi:[1,1]
	ds_store_b64 v65, v[46:47]
; %bb.534:                              ;   in Loop: Header=BB145_524 Depth=2
	s_or_b32 exec_lo, exec_lo, s9
	v_cmp_gt_u32_e32 vcc_lo, s8, v64
	s_wait_dscnt 0x0
	;; [unrolled: 33-line block ×3, first 2 shown]
	s_barrier_signal -1
	s_barrier_wait -1
	s_and_b32 s66, s6, vcc_lo
	s_delay_alu instid0(SALU_CYCLE_1)
	s_and_saveexec_b32 s9, s66
	s_cbranch_execz .LBB145_523
; %bb.539:                              ;   in Loop: Header=BB145_524 Depth=2
	ds_load_b64 v[46:47], v44
	ds_load_b64 v[84:85], v65
	s_wait_dscnt 0x0
	v_pk_mul_f32 v[86:87], v[84:85], v[46:47] op_sel:[1,1] op_sel_hi:[0,1]
	s_delay_alu instid0(VALU_DEP_1) | instskip(SKIP_1) | instid1(VALU_DEP_2)
	v_pk_fma_f32 v[88:89], v[84:85], v[46:47], v[86:87] op_sel_hi:[1,0,1]
	v_pk_fma_f32 v[46:47], v[84:85], v[46:47], v[86:87] neg_lo:[0,0,1] neg_hi:[0,0,1]
	v_mov_b32_e32 v47, v89
	s_delay_alu instid0(VALU_DEP_1)
	v_pk_add_f32 v[42:43], v[42:43], v[46:47] neg_lo:[0,1] neg_hi:[0,1]
	s_branch .LBB145_523
.LBB145_540:                            ;   in Loop: Header=BB145_3 Depth=1
	s_and_saveexec_b32 s7, s33
; %bb.541:                              ;   in Loop: Header=BB145_3 Depth=1
	ds_store_b64 v68, v[42:43] offset:32256
; %bb.542:                              ;   in Loop: Header=BB145_3 Depth=1
	s_or_b32 exec_lo, exec_lo, s7
	s_wait_dscnt 0x0
	s_barrier_signal -1
	s_barrier_wait -1
	s_barrier_signal -1
	s_barrier_wait -1
	s_and_saveexec_b32 s7, s11
; %bb.543:                              ;   in Loop: Header=BB145_3 Depth=1
	v_add_nc_u32_e64 v3, 0x3800, 0
	ds_store_2addr_b64 v3, v[34:35], v[34:35] offset0:158 offset1:223
; %bb.544:                              ;   in Loop: Header=BB145_3 Depth=1
	s_or_b32 exec_lo, exec_lo, s7
	v_dual_mov_b32 v42, 0 :: v_dual_mov_b32 v43, 0
	s_wait_dscnt 0x0
	s_barrier_signal -1
	s_barrier_wait -1
	global_wb scope:SCOPE_DEV
	s_wait_storecnt 0x0
	global_inv scope:SCOPE_DEV
	s_and_saveexec_b32 s7, s1
	s_cbranch_execz .LBB145_548
; %bb.545:                              ;   in Loop: Header=BB145_3 Depth=1
	ds_load_b64 v[42:43], v48 offset:15584
	ds_load_b64 v[44:45], v49 offset:16112
	s_wait_dscnt 0x0
	v_pk_mul_f32 v[46:47], v[44:45], v[42:43] op_sel:[1,1] op_sel_hi:[0,1]
	s_delay_alu instid0(VALU_DEP_1) | instskip(SKIP_1) | instid1(VALU_DEP_2)
	v_pk_fma_f32 v[84:85], v[44:45], v[42:43], v[46:47] op_sel_hi:[1,0,1]
	v_pk_fma_f32 v[42:43], v[44:45], v[42:43], v[46:47] neg_lo:[0,0,1] neg_hi:[0,0,1]
	v_mov_b32_e32 v43, v85
	s_delay_alu instid0(VALU_DEP_1)
	v_pk_add_f32 v[42:43], v[42:43], 0 op_sel_hi:[1,0]
	s_and_saveexec_b32 s8, s12
	s_cbranch_execz .LBB145_547
; %bb.546:                              ;   in Loop: Header=BB145_3 Depth=1
	ds_load_b64 v[44:45], v50 offset:16096
	ds_load_b64 v[46:47], v7 offset:16120
	s_wait_dscnt 0x0
	v_pk_mul_f32 v[84:85], v[46:47], v[44:45] op_sel:[1,1] op_sel_hi:[0,1]
	s_delay_alu instid0(VALU_DEP_1) | instskip(SKIP_1) | instid1(VALU_DEP_2)
	v_pk_fma_f32 v[86:87], v[46:47], v[44:45], v[84:85] op_sel_hi:[1,0,1]
	v_pk_fma_f32 v[44:45], v[46:47], v[44:45], v[84:85] neg_lo:[0,0,1] neg_hi:[0,0,1]
	v_mov_b32_e32 v45, v87
	s_delay_alu instid0(VALU_DEP_1)
	v_pk_add_f32 v[42:43], v[42:43], v[44:45]
.LBB145_547:                            ;   in Loop: Header=BB145_3 Depth=1
	s_or_b32 exec_lo, exec_lo, s8
.LBB145_548:                            ;   in Loop: Header=BB145_3 Depth=1
	s_delay_alu instid0(SALU_CYCLE_1)
	s_or_b32 exec_lo, exec_lo, s7
	s_and_saveexec_b32 s7, s103
; %bb.549:                              ;   in Loop: Header=BB145_3 Depth=1
	s_delay_alu instid0(VALU_DEP_1)
	v_pk_add_f32 v[44:45], v[42:43], 0 neg_lo:[1,1] neg_hi:[1,1]
	ds_store_b64 v5, v[44:45]
; %bb.550:                              ;   in Loop: Header=BB145_3 Depth=1
	s_or_b32 exec_lo, exec_lo, s7
	s_wait_loadcnt_dscnt 0x0
	s_barrier_signal -1
	s_barrier_wait -1
	s_and_saveexec_b32 s7, s104
	s_cbranch_execz .LBB145_552
; %bb.551:                              ;   in Loop: Header=BB145_3 Depth=1
	ds_load_b64 v[44:45], v7 offset:15072
	ds_load_b64 v[46:47], v5
	s_wait_dscnt 0x0
	v_pk_mul_f32 v[84:85], v[46:47], v[44:45] op_sel_hi:[1,0]
	s_delay_alu instid0(VALU_DEP_1) | instskip(SKIP_1) | instid1(VALU_DEP_2)
	v_pk_fma_f32 v[86:87], v[46:47], v[44:45], v[84:85] op_sel:[1,1,0] op_sel_hi:[0,1,1]
	v_pk_fma_f32 v[44:45], v[46:47], v[44:45], v[84:85] op_sel:[1,1,0] op_sel_hi:[0,1,1] neg_lo:[0,0,1] neg_hi:[0,0,1]
	v_pk_add_f32 v[46:47], v[42:43], v[86:87] neg_lo:[0,1] neg_hi:[0,1]
	s_delay_alu instid0(VALU_DEP_2) | instskip(NEXT) | instid1(VALU_DEP_2)
	v_pk_add_f32 v[42:43], v[42:43], v[44:45]
	v_mov_b32_e32 v43, v47
.LBB145_552:                            ;   in Loop: Header=BB145_3 Depth=1
	s_or_b32 exec_lo, exec_lo, s7
	s_barrier_signal -1
	s_barrier_wait -1
	s_and_saveexec_b32 s7, s104
; %bb.553:                              ;   in Loop: Header=BB145_3 Depth=1
	v_pk_add_f32 v[44:45], v[42:43], 0 neg_lo:[1,1] neg_hi:[1,1]
	ds_store_b64 v5, v[44:45]
; %bb.554:                              ;   in Loop: Header=BB145_3 Depth=1
	s_or_b32 exec_lo, exec_lo, s7
	s_wait_dscnt 0x0
	s_barrier_signal -1
	s_barrier_wait -1
	s_barrier_signal -1
	s_barrier_wait -1
	s_and_saveexec_b32 s7, s1
; %bb.555:                              ;   in Loop: Header=BB145_3 Depth=1
	ds_store_b64 v51, v[42:43] offset:16096
; %bb.556:                              ;   in Loop: Header=BB145_3 Depth=1
	s_or_b32 exec_lo, exec_lo, s7
	s_wait_dscnt 0x0
	s_barrier_signal -1
	s_barrier_wait -1
	s_barrier_signal -1
	s_barrier_wait -1
	s_and_saveexec_b32 s7, s11
; %bb.557:                              ;   in Loop: Header=BB145_3 Depth=1
	v_add_nc_u32_e64 v3, 0x3800, 0
	ds_store_2addr_b64 v3, v[34:35], v[34:35] offset0:28 offset1:93
; %bb.558:                              ;   in Loop: Header=BB145_3 Depth=1
	s_or_b32 exec_lo, exec_lo, s7
	v_mov_b64_e32 v[42:43], 0
	s_wait_dscnt 0x0
	s_barrier_signal -1
	s_barrier_wait -1
	global_wb scope:SCOPE_DEV
	s_wait_storecnt 0x0
	global_inv scope:SCOPE_DEV
	s_and_saveexec_b32 s7, s2
	s_cbranch_execz .LBB145_564
; %bb.559:                              ;   in Loop: Header=BB145_3 Depth=1
	ds_load_b64 v[42:43], v53 offset:14528
	ds_load_b64 v[44:45], v54 offset:16096
	s_wait_dscnt 0x0
	v_dual_mul_f32 v3, v45, v43 :: v_dual_mul_f32 v43, v44, v43
	s_delay_alu instid0(VALU_DEP_1) | instskip(NEXT) | instid1(VALU_DEP_1)
	v_fmac_f32_e32 v43, v45, v42
	v_dual_fma_f32 v3, v44, v42, -v3 :: v_dual_add_f32 v43, 0, v43
	s_delay_alu instid0(VALU_DEP_1)
	v_add_f32_e32 v42, 0, v3
	s_and_saveexec_b32 s8, s13
	s_cbranch_execnz .LBB145_1026
; %bb.560:                              ;   in Loop: Header=BB145_3 Depth=1
	s_or_b32 exec_lo, exec_lo, s8
	s_and_saveexec_b32 s8, s14
	s_cbranch_execnz .LBB145_1027
.LBB145_561:                            ;   in Loop: Header=BB145_3 Depth=1
	s_or_b32 exec_lo, exec_lo, s8
	s_and_saveexec_b32 s8, s1
	s_cbranch_execz .LBB145_563
.LBB145_562:                            ;   in Loop: Header=BB145_3 Depth=1
	ds_load_b64 v[44:45], v50 offset:16064
	ds_load_b64 v[46:47], v7 offset:16120
	s_wait_dscnt 0x0
	v_pk_mul_f32 v[84:85], v[46:47], v[44:45] op_sel:[1,1] op_sel_hi:[0,1]
	s_delay_alu instid0(VALU_DEP_1) | instskip(SKIP_1) | instid1(VALU_DEP_2)
	v_pk_fma_f32 v[86:87], v[46:47], v[44:45], v[84:85] op_sel_hi:[1,0,1]
	v_pk_fma_f32 v[44:45], v[46:47], v[44:45], v[84:85] neg_lo:[0,0,1] neg_hi:[0,0,1]
	v_mov_b32_e32 v45, v87
	s_delay_alu instid0(VALU_DEP_1)
	v_pk_add_f32 v[42:43], v[42:43], v[44:45]
.LBB145_563:                            ;   in Loop: Header=BB145_3 Depth=1
	s_or_b32 exec_lo, exec_lo, s8
.LBB145_564:                            ;   in Loop: Header=BB145_3 Depth=1
	s_delay_alu instid0(SALU_CYCLE_1)
	s_or_b32 exec_lo, exec_lo, s7
	s_and_saveexec_b32 s7, vcc_hi
; %bb.565:                              ;   in Loop: Header=BB145_3 Depth=1
	s_delay_alu instid0(VALU_DEP_1)
	v_pk_add_f32 v[44:45], v[42:43], 0 neg_lo:[1,1] neg_hi:[1,1]
	ds_store_b64 v52, v[44:45]
; %bb.566:                              ;   in Loop: Header=BB145_3 Depth=1
	s_or_b32 exec_lo, exec_lo, s7
	s_wait_loadcnt_dscnt 0x0
	s_barrier_signal -1
	s_barrier_wait -1
	s_and_saveexec_b32 s7, s43
	s_cbranch_execz .LBB145_568
; %bb.567:                              ;   in Loop: Header=BB145_3 Depth=1
	ds_load_b64 v[44:45], v53 offset:14016
	ds_load_b64 v[46:47], v52
	s_wait_dscnt 0x0
	v_pk_mul_f32 v[84:85], v[46:47], v[44:45] op_sel:[1,1] op_sel_hi:[0,1]
	s_delay_alu instid0(VALU_DEP_1) | instskip(SKIP_1) | instid1(VALU_DEP_2)
	v_pk_fma_f32 v[86:87], v[46:47], v[44:45], v[84:85] op_sel_hi:[1,0,1]
	v_pk_fma_f32 v[44:45], v[46:47], v[44:45], v[84:85] neg_lo:[0,0,1] neg_hi:[0,0,1]
	v_mov_b32_e32 v45, v87
	s_delay_alu instid0(VALU_DEP_1)
	v_pk_add_f32 v[42:43], v[42:43], v[44:45] neg_lo:[0,1] neg_hi:[0,1]
.LBB145_568:                            ;   in Loop: Header=BB145_3 Depth=1
	s_or_b32 exec_lo, exec_lo, s7
	s_barrier_signal -1
	s_barrier_wait -1
	s_and_saveexec_b32 s7, s44
; %bb.569:                              ;   in Loop: Header=BB145_3 Depth=1
	v_pk_add_f32 v[44:45], v[42:43], 0 neg_lo:[1,1] neg_hi:[1,1]
	ds_store_b64 v52, v[44:45]
; %bb.570:                              ;   in Loop: Header=BB145_3 Depth=1
	s_or_b32 exec_lo, exec_lo, s7
	s_wait_dscnt 0x0
	s_barrier_signal -1
	s_barrier_wait -1
	s_and_saveexec_b32 s7, s45
	s_cbranch_execz .LBB145_572
; %bb.571:                              ;   in Loop: Header=BB145_3 Depth=1
	ds_load_b64 v[44:45], v53 offset:13504
	ds_load_b64 v[46:47], v52
	s_wait_dscnt 0x0
	v_pk_mul_f32 v[84:85], v[46:47], v[44:45] op_sel:[1,1] op_sel_hi:[0,1]
	s_delay_alu instid0(VALU_DEP_1) | instskip(SKIP_1) | instid1(VALU_DEP_2)
	v_pk_fma_f32 v[86:87], v[46:47], v[44:45], v[84:85] op_sel_hi:[1,0,1]
	v_pk_fma_f32 v[44:45], v[46:47], v[44:45], v[84:85] neg_lo:[0,0,1] neg_hi:[0,0,1]
	v_mov_b32_e32 v45, v87
	s_delay_alu instid0(VALU_DEP_1)
	v_pk_add_f32 v[42:43], v[42:43], v[44:45] neg_lo:[0,1] neg_hi:[0,1]
.LBB145_572:                            ;   in Loop: Header=BB145_3 Depth=1
	s_or_b32 exec_lo, exec_lo, s7
	s_barrier_signal -1
	s_barrier_wait -1
	s_and_saveexec_b32 s7, s46
; %bb.573:                              ;   in Loop: Header=BB145_3 Depth=1
	v_pk_add_f32 v[44:45], v[42:43], 0 neg_lo:[1,1] neg_hi:[1,1]
	ds_store_b64 v52, v[44:45]
; %bb.574:                              ;   in Loop: Header=BB145_3 Depth=1
	s_or_b32 exec_lo, exec_lo, s7
	s_wait_dscnt 0x0
	;; [unrolled: 26-line block ×3, first 2 shown]
	s_barrier_signal -1
	s_barrier_wait -1
	s_barrier_signal -1
	s_barrier_wait -1
	s_and_saveexec_b32 s7, s2
; %bb.579:                              ;   in Loop: Header=BB145_3 Depth=1
	ds_store_b64 v55, v[42:43] offset:16064
; %bb.580:                              ;   in Loop: Header=BB145_3 Depth=1
	s_or_b32 exec_lo, exec_lo, s7
	s_wait_dscnt 0x0
	s_barrier_signal -1
	s_barrier_wait -1
	s_barrier_signal -1
	s_barrier_wait -1
	s_and_saveexec_b32 s7, s11
; %bb.581:                              ;   in Loop: Header=BB145_3 Depth=1
	v_add_nc_u32_e64 v3, 0x3000, 0
	ds_store_2addr_b64 v3, v[34:35], v[34:35] offset0:154 offset1:219
; %bb.582:                              ;   in Loop: Header=BB145_3 Depth=1
	s_or_b32 exec_lo, exec_lo, s7
	v_dual_mov_b32 v42, 0 :: v_dual_mov_b32 v43, 0
	s_wait_dscnt 0x0
	s_barrier_signal -1
	s_barrier_wait -1
	global_wb scope:SCOPE_DEV
	s_wait_storecnt 0x0
	global_inv scope:SCOPE_DEV
	s_and_saveexec_b32 s7, s1
	s_cbranch_execz .LBB145_586
; %bb.583:                              ;   in Loop: Header=BB145_3 Depth=1
	ds_load_b64 v[42:43], v48 offset:13504
	ds_load_b64 v[44:45], v49 offset:14032
	s_wait_dscnt 0x0
	v_pk_mul_f32 v[46:47], v[44:45], v[42:43] op_sel:[1,1] op_sel_hi:[0,1]
	s_delay_alu instid0(VALU_DEP_1) | instskip(SKIP_1) | instid1(VALU_DEP_2)
	v_pk_fma_f32 v[84:85], v[44:45], v[42:43], v[46:47] op_sel_hi:[1,0,1]
	v_pk_fma_f32 v[42:43], v[44:45], v[42:43], v[46:47] neg_lo:[0,0,1] neg_hi:[0,0,1]
	v_mov_b32_e32 v43, v85
	s_delay_alu instid0(VALU_DEP_1)
	v_pk_add_f32 v[42:43], v[42:43], 0 op_sel_hi:[1,0]
	s_and_saveexec_b32 s8, s12
	s_cbranch_execz .LBB145_585
; %bb.584:                              ;   in Loop: Header=BB145_3 Depth=1
	ds_load_b64 v[44:45], v50 offset:14016
	ds_load_b64 v[46:47], v7 offset:14040
	s_wait_dscnt 0x0
	v_pk_mul_f32 v[84:85], v[46:47], v[44:45] op_sel:[1,1] op_sel_hi:[0,1]
	s_delay_alu instid0(VALU_DEP_1) | instskip(SKIP_1) | instid1(VALU_DEP_2)
	v_pk_fma_f32 v[86:87], v[46:47], v[44:45], v[84:85] op_sel_hi:[1,0,1]
	v_pk_fma_f32 v[44:45], v[46:47], v[44:45], v[84:85] neg_lo:[0,0,1] neg_hi:[0,0,1]
	v_mov_b32_e32 v45, v87
	s_delay_alu instid0(VALU_DEP_1)
	v_pk_add_f32 v[42:43], v[42:43], v[44:45]
.LBB145_585:                            ;   in Loop: Header=BB145_3 Depth=1
	s_or_b32 exec_lo, exec_lo, s8
.LBB145_586:                            ;   in Loop: Header=BB145_3 Depth=1
	s_delay_alu instid0(SALU_CYCLE_1)
	s_or_b32 exec_lo, exec_lo, s7
	s_and_saveexec_b32 s7, s103
; %bb.587:                              ;   in Loop: Header=BB145_3 Depth=1
	s_delay_alu instid0(VALU_DEP_1)
	v_pk_add_f32 v[44:45], v[42:43], 0 neg_lo:[1,1] neg_hi:[1,1]
	ds_store_b64 v5, v[44:45]
; %bb.588:                              ;   in Loop: Header=BB145_3 Depth=1
	s_or_b32 exec_lo, exec_lo, s7
	s_wait_loadcnt_dscnt 0x0
	s_barrier_signal -1
	s_barrier_wait -1
	s_and_saveexec_b32 s7, s104
	s_cbranch_execz .LBB145_590
; %bb.589:                              ;   in Loop: Header=BB145_3 Depth=1
	ds_load_b64 v[44:45], v7 offset:12992
	ds_load_b64 v[46:47], v5
	s_wait_dscnt 0x0
	v_pk_mul_f32 v[84:85], v[46:47], v[44:45] op_sel_hi:[1,0]
	s_delay_alu instid0(VALU_DEP_1) | instskip(SKIP_1) | instid1(VALU_DEP_2)
	v_pk_fma_f32 v[86:87], v[46:47], v[44:45], v[84:85] op_sel:[1,1,0] op_sel_hi:[0,1,1]
	v_pk_fma_f32 v[44:45], v[46:47], v[44:45], v[84:85] op_sel:[1,1,0] op_sel_hi:[0,1,1] neg_lo:[0,0,1] neg_hi:[0,0,1]
	v_pk_add_f32 v[46:47], v[42:43], v[86:87] neg_lo:[0,1] neg_hi:[0,1]
	s_delay_alu instid0(VALU_DEP_2) | instskip(NEXT) | instid1(VALU_DEP_2)
	v_pk_add_f32 v[42:43], v[42:43], v[44:45]
	v_mov_b32_e32 v43, v47
.LBB145_590:                            ;   in Loop: Header=BB145_3 Depth=1
	s_or_b32 exec_lo, exec_lo, s7
	s_barrier_signal -1
	s_barrier_wait -1
	s_and_saveexec_b32 s7, s104
; %bb.591:                              ;   in Loop: Header=BB145_3 Depth=1
	v_pk_add_f32 v[44:45], v[42:43], 0 neg_lo:[1,1] neg_hi:[1,1]
	ds_store_b64 v5, v[44:45]
; %bb.592:                              ;   in Loop: Header=BB145_3 Depth=1
	s_or_b32 exec_lo, exec_lo, s7
	s_wait_dscnt 0x0
	s_barrier_signal -1
	s_barrier_wait -1
	s_barrier_signal -1
	s_barrier_wait -1
	s_and_saveexec_b32 s7, s1
; %bb.593:                              ;   in Loop: Header=BB145_3 Depth=1
	ds_store_b64 v51, v[42:43] offset:14016
; %bb.594:                              ;   in Loop: Header=BB145_3 Depth=1
	s_or_b32 exec_lo, exec_lo, s7
	s_wait_dscnt 0x0
	s_barrier_signal -1
	s_barrier_wait -1
	s_barrier_signal -1
	s_barrier_wait -1
	s_and_saveexec_b32 s7, s11
; %bb.595:                              ;   in Loop: Header=BB145_3 Depth=1
	v_add_nc_u32_e64 v3, 0x3000, 0
	ds_store_2addr_b64 v3, v[34:35], v[34:35] offset0:24 offset1:89
; %bb.596:                              ;   in Loop: Header=BB145_3 Depth=1
	s_or_b32 exec_lo, exec_lo, s7
	v_mov_b64_e32 v[42:43], 0
	s_wait_dscnt 0x0
	s_barrier_signal -1
	s_barrier_wait -1
	global_wb scope:SCOPE_DEV
	s_wait_storecnt 0x0
	global_inv scope:SCOPE_DEV
	s_and_saveexec_b32 s7, s3
	s_cbranch_execz .LBB145_606
; %bb.597:                              ;   in Loop: Header=BB145_3 Depth=1
	ds_load_b64 v[42:43], v57 offset:12416
	ds_load_b64 v[44:45], v58 offset:16064
	s_wait_dscnt 0x0
	v_dual_mul_f32 v3, v45, v43 :: v_dual_mul_f32 v43, v44, v43
	s_delay_alu instid0(VALU_DEP_1) | instskip(NEXT) | instid1(VALU_DEP_1)
	v_fmac_f32_e32 v43, v45, v42
	v_dual_fma_f32 v3, v44, v42, -v3 :: v_dual_add_f32 v43, 0, v43
	s_delay_alu instid0(VALU_DEP_1)
	v_add_f32_e32 v42, 0, v3
	s_and_saveexec_b32 s8, s15
	s_cbranch_execnz .LBB145_1028
; %bb.598:                              ;   in Loop: Header=BB145_3 Depth=1
	s_or_b32 exec_lo, exec_lo, s8
	s_and_saveexec_b32 s8, s16
	s_cbranch_execnz .LBB145_1029
.LBB145_599:                            ;   in Loop: Header=BB145_3 Depth=1
	s_or_b32 exec_lo, exec_lo, s8
	s_and_saveexec_b32 s8, s17
	s_cbranch_execnz .LBB145_1030
.LBB145_600:                            ;   in Loop: Header=BB145_3 Depth=1
	s_or_b32 exec_lo, exec_lo, s8
	s_and_saveexec_b32 s8, s18
	s_cbranch_execnz .LBB145_1031
.LBB145_601:                            ;   in Loop: Header=BB145_3 Depth=1
	s_or_b32 exec_lo, exec_lo, s8
	s_and_saveexec_b32 s8, s19
	s_cbranch_execnz .LBB145_1032
.LBB145_602:                            ;   in Loop: Header=BB145_3 Depth=1
	s_or_b32 exec_lo, exec_lo, s8
	s_and_saveexec_b32 s8, s2
	s_cbranch_execnz .LBB145_1033
.LBB145_603:                            ;   in Loop: Header=BB145_3 Depth=1
	s_or_b32 exec_lo, exec_lo, s8
	s_and_saveexec_b32 s8, s14
	s_cbranch_execz .LBB145_605
.LBB145_604:                            ;   in Loop: Header=BB145_3 Depth=1
	ds_load_b64 v[44:45], v50 offset:16000
	ds_load_b64 v[46:47], v7 offset:16120
	s_wait_dscnt 0x0
	v_pk_mul_f32 v[84:85], v[46:47], v[44:45] op_sel:[1,1] op_sel_hi:[0,1]
	s_delay_alu instid0(VALU_DEP_1) | instskip(SKIP_1) | instid1(VALU_DEP_2)
	v_pk_fma_f32 v[86:87], v[46:47], v[44:45], v[84:85] op_sel_hi:[1,0,1]
	v_pk_fma_f32 v[44:45], v[46:47], v[44:45], v[84:85] neg_lo:[0,0,1] neg_hi:[0,0,1]
	v_mov_b32_e32 v45, v87
	s_delay_alu instid0(VALU_DEP_1)
	v_pk_add_f32 v[42:43], v[42:43], v[44:45]
.LBB145_605:                            ;   in Loop: Header=BB145_3 Depth=1
	s_or_b32 exec_lo, exec_lo, s8
.LBB145_606:                            ;   in Loop: Header=BB145_3 Depth=1
	s_delay_alu instid0(SALU_CYCLE_1)
	s_or_b32 exec_lo, exec_lo, s7
	s_and_saveexec_b32 s7, s48
; %bb.607:                              ;   in Loop: Header=BB145_3 Depth=1
	s_delay_alu instid0(VALU_DEP_1)
	v_pk_add_f32 v[44:45], v[42:43], 0 neg_lo:[1,1] neg_hi:[1,1]
	ds_store_b64 v56, v[44:45]
; %bb.608:                              ;   in Loop: Header=BB145_3 Depth=1
	s_or_b32 exec_lo, exec_lo, s7
	s_wait_loadcnt_dscnt 0x0
	s_barrier_signal -1
	s_barrier_wait -1
	s_and_saveexec_b32 s7, s49
	s_cbranch_execz .LBB145_610
; %bb.609:                              ;   in Loop: Header=BB145_3 Depth=1
	ds_load_b64 v[44:45], v57 offset:11904
	ds_load_b64 v[46:47], v56
	s_wait_dscnt 0x0
	v_pk_mul_f32 v[84:85], v[46:47], v[44:45] op_sel:[1,1] op_sel_hi:[0,1]
	s_delay_alu instid0(VALU_DEP_1) | instskip(SKIP_1) | instid1(VALU_DEP_2)
	v_pk_fma_f32 v[86:87], v[46:47], v[44:45], v[84:85] op_sel_hi:[1,0,1]
	v_pk_fma_f32 v[44:45], v[46:47], v[44:45], v[84:85] neg_lo:[0,0,1] neg_hi:[0,0,1]
	v_mov_b32_e32 v45, v87
	s_delay_alu instid0(VALU_DEP_1)
	v_pk_add_f32 v[42:43], v[42:43], v[44:45] neg_lo:[0,1] neg_hi:[0,1]
.LBB145_610:                            ;   in Loop: Header=BB145_3 Depth=1
	s_or_b32 exec_lo, exec_lo, s7
	s_barrier_signal -1
	s_barrier_wait -1
	s_and_saveexec_b32 s7, s50
; %bb.611:                              ;   in Loop: Header=BB145_3 Depth=1
	v_pk_add_f32 v[44:45], v[42:43], 0 neg_lo:[1,1] neg_hi:[1,1]
	ds_store_b64 v56, v[44:45]
; %bb.612:                              ;   in Loop: Header=BB145_3 Depth=1
	s_or_b32 exec_lo, exec_lo, s7
	s_wait_dscnt 0x0
	s_barrier_signal -1
	s_barrier_wait -1
	s_and_saveexec_b32 s7, s51
	s_cbranch_execz .LBB145_614
; %bb.613:                              ;   in Loop: Header=BB145_3 Depth=1
	ds_load_b64 v[44:45], v57 offset:11392
	ds_load_b64 v[46:47], v56
	s_wait_dscnt 0x0
	v_dual_mul_f32 v3, v47, v45 :: v_dual_mul_f32 v45, v46, v45
	s_delay_alu instid0(VALU_DEP_1) | instskip(NEXT) | instid1(VALU_DEP_1)
	v_dual_fma_f32 v3, v46, v44, -v3 :: v_dual_fmac_f32 v45, v47, v44
	v_dual_sub_f32 v42, v42, v3 :: v_dual_sub_f32 v43, v43, v45
.LBB145_614:                            ;   in Loop: Header=BB145_3 Depth=1
	s_or_b32 exec_lo, exec_lo, s7
	s_barrier_signal -1
	s_barrier_wait -1
	s_and_saveexec_b32 s7, s52
; %bb.615:                              ;   in Loop: Header=BB145_3 Depth=1
	v_pk_add_f32 v[44:45], v[42:43], 0 neg_lo:[1,1] neg_hi:[1,1]
	ds_store_b64 v56, v[44:45]
; %bb.616:                              ;   in Loop: Header=BB145_3 Depth=1
	s_or_b32 exec_lo, exec_lo, s7
	s_wait_dscnt 0x0
	s_barrier_signal -1
	s_barrier_wait -1
	s_and_saveexec_b32 s7, s53
	s_cbranch_execz .LBB145_618
; %bb.617:                              ;   in Loop: Header=BB145_3 Depth=1
	ds_load_b64 v[44:45], v57 offset:10880
	ds_load_b64 v[46:47], v56
	s_wait_dscnt 0x0
	v_dual_mul_f32 v3, v47, v45 :: v_dual_mul_f32 v85, v46, v45
	s_delay_alu instid0(VALU_DEP_1) | instskip(NEXT) | instid1(VALU_DEP_1)
	v_dual_fma_f32 v84, v46, v44, -v3 :: v_dual_fmac_f32 v85, v47, v44
	v_pk_add_f32 v[42:43], v[42:43], v[84:85] neg_lo:[0,1] neg_hi:[0,1]
.LBB145_618:                            ;   in Loop: Header=BB145_3 Depth=1
	s_or_b32 exec_lo, exec_lo, s7
	s_barrier_signal -1
	s_barrier_wait -1
	s_and_saveexec_b32 s7, s54
; %bb.619:                              ;   in Loop: Header=BB145_3 Depth=1
	v_pk_add_f32 v[44:45], v[42:43], 0 neg_lo:[1,1] neg_hi:[1,1]
	ds_store_b64 v56, v[44:45]
; %bb.620:                              ;   in Loop: Header=BB145_3 Depth=1
	s_or_b32 exec_lo, exec_lo, s7
	s_wait_dscnt 0x0
	s_barrier_signal -1
	s_barrier_wait -1
	s_and_saveexec_b32 s7, s55
	s_cbranch_execz .LBB145_622
; %bb.621:                              ;   in Loop: Header=BB145_3 Depth=1
	ds_load_b64 v[44:45], v57 offset:10368
	ds_load_b64 v[46:47], v56
	s_wait_dscnt 0x0
	v_pk_mul_f32 v[84:85], v[46:47], v[44:45] op_sel:[1,1] op_sel_hi:[0,1]
	s_delay_alu instid0(VALU_DEP_1) | instskip(SKIP_1) | instid1(VALU_DEP_2)
	v_pk_fma_f32 v[86:87], v[46:47], v[44:45], v[84:85] op_sel_hi:[1,0,1]
	v_pk_fma_f32 v[44:45], v[46:47], v[44:45], v[84:85] neg_lo:[0,0,1] neg_hi:[0,0,1]
	v_mov_b32_e32 v45, v87
	s_delay_alu instid0(VALU_DEP_1)
	v_pk_add_f32 v[42:43], v[42:43], v[44:45] neg_lo:[0,1] neg_hi:[0,1]
.LBB145_622:                            ;   in Loop: Header=BB145_3 Depth=1
	s_or_b32 exec_lo, exec_lo, s7
	s_barrier_signal -1
	s_barrier_wait -1
	s_and_saveexec_b32 s7, s56
; %bb.623:                              ;   in Loop: Header=BB145_3 Depth=1
	v_pk_add_f32 v[44:45], v[42:43], 0 neg_lo:[1,1] neg_hi:[1,1]
	ds_store_b64 v56, v[44:45]
; %bb.624:                              ;   in Loop: Header=BB145_3 Depth=1
	s_or_b32 exec_lo, exec_lo, s7
	s_wait_dscnt 0x0
	s_barrier_signal -1
	s_barrier_wait -1
	s_and_saveexec_b32 s7, s57
	s_cbranch_execz .LBB145_626
; %bb.625:                              ;   in Loop: Header=BB145_3 Depth=1
	ds_load_b64 v[44:45], v57 offset:9856
	ds_load_b64 v[46:47], v56
	s_wait_dscnt 0x0
	v_pk_mul_f32 v[84:85], v[46:47], v[44:45] op_sel:[1,1] op_sel_hi:[0,1]
	s_delay_alu instid0(VALU_DEP_1) | instskip(SKIP_1) | instid1(VALU_DEP_2)
	v_pk_fma_f32 v[86:87], v[46:47], v[44:45], v[84:85] op_sel_hi:[1,0,1]
	v_pk_fma_f32 v[44:45], v[46:47], v[44:45], v[84:85] neg_lo:[0,0,1] neg_hi:[0,0,1]
	v_mov_b32_e32 v45, v87
	s_delay_alu instid0(VALU_DEP_1)
	v_pk_add_f32 v[42:43], v[42:43], v[44:45] neg_lo:[0,1] neg_hi:[0,1]
.LBB145_626:                            ;   in Loop: Header=BB145_3 Depth=1
	;; [unrolled: 26-line block ×4, first 2 shown]
	s_or_b32 exec_lo, exec_lo, s7
	s_barrier_signal -1
	s_barrier_wait -1
	s_and_saveexec_b32 s7, s61
; %bb.635:                              ;   in Loop: Header=BB145_3 Depth=1
	v_pk_add_f32 v[44:45], v[42:43], 0 neg_lo:[1,1] neg_hi:[1,1]
	ds_store_b64 v56, v[44:45]
; %bb.636:                              ;   in Loop: Header=BB145_3 Depth=1
	s_or_b32 exec_lo, exec_lo, s7
	s_wait_dscnt 0x0
	s_barrier_signal -1
	s_barrier_wait -1
	s_barrier_signal -1
	s_barrier_wait -1
	s_and_saveexec_b32 s7, s3
; %bb.637:                              ;   in Loop: Header=BB145_3 Depth=1
	ds_store_b64 v59, v[42:43] offset:16000
; %bb.638:                              ;   in Loop: Header=BB145_3 Depth=1
	s_or_b32 exec_lo, exec_lo, s7
	s_wait_dscnt 0x0
	s_barrier_signal -1
	s_barrier_wait -1
	s_barrier_signal -1
	s_barrier_wait -1
	s_and_saveexec_b32 s7, s11
; %bb.639:                              ;   in Loop: Header=BB145_3 Depth=1
	v_add_nc_u32_e64 v3, 0x2800, 0
	ds_store_2addr_b64 v3, v[34:35], v[34:35] offset0:150 offset1:215
; %bb.640:                              ;   in Loop: Header=BB145_3 Depth=1
	s_or_b32 exec_lo, exec_lo, s7
	v_dual_mov_b32 v42, 0 :: v_dual_mov_b32 v43, 0
	s_wait_dscnt 0x0
	s_barrier_signal -1
	s_barrier_wait -1
	global_wb scope:SCOPE_DEV
	s_wait_storecnt 0x0
	global_inv scope:SCOPE_DEV
	s_and_saveexec_b32 s7, s1
	s_cbranch_execz .LBB145_644
; %bb.641:                              ;   in Loop: Header=BB145_3 Depth=1
	ds_load_b64 v[42:43], v48 offset:11424
	ds_load_b64 v[44:45], v49 offset:11952
	s_wait_dscnt 0x0
	v_pk_mul_f32 v[46:47], v[44:45], v[42:43] op_sel:[1,1] op_sel_hi:[0,1]
	s_delay_alu instid0(VALU_DEP_1) | instskip(SKIP_1) | instid1(VALU_DEP_2)
	v_pk_fma_f32 v[84:85], v[44:45], v[42:43], v[46:47] op_sel_hi:[1,0,1]
	v_pk_fma_f32 v[42:43], v[44:45], v[42:43], v[46:47] neg_lo:[0,0,1] neg_hi:[0,0,1]
	v_mov_b32_e32 v43, v85
	s_delay_alu instid0(VALU_DEP_1)
	v_pk_add_f32 v[42:43], v[42:43], 0 op_sel_hi:[1,0]
	s_and_saveexec_b32 s8, s12
	s_cbranch_execz .LBB145_643
; %bb.642:                              ;   in Loop: Header=BB145_3 Depth=1
	ds_load_b64 v[44:45], v50 offset:11936
	ds_load_b64 v[46:47], v7 offset:11960
	s_wait_dscnt 0x0
	v_pk_mul_f32 v[84:85], v[46:47], v[44:45] op_sel:[1,1] op_sel_hi:[0,1]
	s_delay_alu instid0(VALU_DEP_1) | instskip(SKIP_1) | instid1(VALU_DEP_2)
	v_pk_fma_f32 v[86:87], v[46:47], v[44:45], v[84:85] op_sel_hi:[1,0,1]
	v_pk_fma_f32 v[44:45], v[46:47], v[44:45], v[84:85] neg_lo:[0,0,1] neg_hi:[0,0,1]
	v_mov_b32_e32 v45, v87
	s_delay_alu instid0(VALU_DEP_1)
	v_pk_add_f32 v[42:43], v[42:43], v[44:45]
.LBB145_643:                            ;   in Loop: Header=BB145_3 Depth=1
	s_or_b32 exec_lo, exec_lo, s8
.LBB145_644:                            ;   in Loop: Header=BB145_3 Depth=1
	s_delay_alu instid0(SALU_CYCLE_1)
	s_or_b32 exec_lo, exec_lo, s7
	s_and_saveexec_b32 s7, s103
; %bb.645:                              ;   in Loop: Header=BB145_3 Depth=1
	s_delay_alu instid0(VALU_DEP_1)
	v_pk_add_f32 v[44:45], v[42:43], 0 neg_lo:[1,1] neg_hi:[1,1]
	ds_store_b64 v5, v[44:45]
; %bb.646:                              ;   in Loop: Header=BB145_3 Depth=1
	s_or_b32 exec_lo, exec_lo, s7
	s_wait_loadcnt_dscnt 0x0
	s_barrier_signal -1
	s_barrier_wait -1
	s_and_saveexec_b32 s7, s104
	s_cbranch_execz .LBB145_648
; %bb.647:                              ;   in Loop: Header=BB145_3 Depth=1
	ds_load_b64 v[44:45], v7 offset:10912
	ds_load_b64 v[46:47], v5
	s_wait_dscnt 0x0
	v_pk_mul_f32 v[84:85], v[46:47], v[44:45] op_sel_hi:[1,0]
	s_delay_alu instid0(VALU_DEP_1) | instskip(SKIP_1) | instid1(VALU_DEP_2)
	v_pk_fma_f32 v[86:87], v[46:47], v[44:45], v[84:85] op_sel:[1,1,0] op_sel_hi:[0,1,1]
	v_pk_fma_f32 v[44:45], v[46:47], v[44:45], v[84:85] op_sel:[1,1,0] op_sel_hi:[0,1,1] neg_lo:[0,0,1] neg_hi:[0,0,1]
	v_pk_add_f32 v[46:47], v[42:43], v[86:87] neg_lo:[0,1] neg_hi:[0,1]
	s_delay_alu instid0(VALU_DEP_2) | instskip(NEXT) | instid1(VALU_DEP_2)
	v_pk_add_f32 v[42:43], v[42:43], v[44:45]
	v_mov_b32_e32 v43, v47
.LBB145_648:                            ;   in Loop: Header=BB145_3 Depth=1
	s_or_b32 exec_lo, exec_lo, s7
	s_barrier_signal -1
	s_barrier_wait -1
	s_and_saveexec_b32 s7, s104
; %bb.649:                              ;   in Loop: Header=BB145_3 Depth=1
	v_pk_add_f32 v[44:45], v[42:43], 0 neg_lo:[1,1] neg_hi:[1,1]
	ds_store_b64 v5, v[44:45]
; %bb.650:                              ;   in Loop: Header=BB145_3 Depth=1
	s_or_b32 exec_lo, exec_lo, s7
	s_wait_dscnt 0x0
	s_barrier_signal -1
	s_barrier_wait -1
	s_barrier_signal -1
	s_barrier_wait -1
	s_and_saveexec_b32 s7, s1
; %bb.651:                              ;   in Loop: Header=BB145_3 Depth=1
	ds_store_b64 v51, v[42:43] offset:11936
; %bb.652:                              ;   in Loop: Header=BB145_3 Depth=1
	s_or_b32 exec_lo, exec_lo, s7
	s_wait_dscnt 0x0
	s_barrier_signal -1
	s_barrier_wait -1
	s_barrier_signal -1
	s_barrier_wait -1
	s_and_saveexec_b32 s7, s11
; %bb.653:                              ;   in Loop: Header=BB145_3 Depth=1
	v_add_nc_u32_e64 v3, 0x2800, 0
	ds_store_2addr_b64 v3, v[34:35], v[34:35] offset0:20 offset1:85
; %bb.654:                              ;   in Loop: Header=BB145_3 Depth=1
	s_or_b32 exec_lo, exec_lo, s7
	v_mov_b64_e32 v[42:43], 0
	s_wait_dscnt 0x0
	s_barrier_signal -1
	s_barrier_wait -1
	global_wb scope:SCOPE_DEV
	s_wait_storecnt 0x0
	global_inv scope:SCOPE_DEV
	s_and_saveexec_b32 s7, s2
	s_cbranch_execz .LBB145_660
; %bb.655:                              ;   in Loop: Header=BB145_3 Depth=1
	ds_load_b64 v[42:43], v53 offset:10368
	ds_load_b64 v[44:45], v54 offset:11936
	s_wait_dscnt 0x0
	v_dual_mul_f32 v3, v45, v43 :: v_dual_mul_f32 v43, v44, v43
	s_delay_alu instid0(VALU_DEP_1) | instskip(NEXT) | instid1(VALU_DEP_1)
	v_fmac_f32_e32 v43, v45, v42
	v_dual_fma_f32 v3, v44, v42, -v3 :: v_dual_add_f32 v43, 0, v43
	s_delay_alu instid0(VALU_DEP_1)
	v_add_f32_e32 v42, 0, v3
	s_and_saveexec_b32 s8, s13
	s_cbranch_execnz .LBB145_1034
; %bb.656:                              ;   in Loop: Header=BB145_3 Depth=1
	s_or_b32 exec_lo, exec_lo, s8
	s_and_saveexec_b32 s8, s14
	s_cbranch_execnz .LBB145_1035
.LBB145_657:                            ;   in Loop: Header=BB145_3 Depth=1
	s_or_b32 exec_lo, exec_lo, s8
	s_and_saveexec_b32 s8, s1
	s_cbranch_execz .LBB145_659
.LBB145_658:                            ;   in Loop: Header=BB145_3 Depth=1
	ds_load_b64 v[44:45], v50 offset:11904
	ds_load_b64 v[46:47], v7 offset:11960
	s_wait_dscnt 0x0
	v_pk_mul_f32 v[84:85], v[46:47], v[44:45] op_sel:[1,1] op_sel_hi:[0,1]
	s_delay_alu instid0(VALU_DEP_1) | instskip(SKIP_1) | instid1(VALU_DEP_2)
	v_pk_fma_f32 v[86:87], v[46:47], v[44:45], v[84:85] op_sel_hi:[1,0,1]
	v_pk_fma_f32 v[44:45], v[46:47], v[44:45], v[84:85] neg_lo:[0,0,1] neg_hi:[0,0,1]
	v_mov_b32_e32 v45, v87
	s_delay_alu instid0(VALU_DEP_1)
	v_pk_add_f32 v[42:43], v[42:43], v[44:45]
.LBB145_659:                            ;   in Loop: Header=BB145_3 Depth=1
	s_or_b32 exec_lo, exec_lo, s8
.LBB145_660:                            ;   in Loop: Header=BB145_3 Depth=1
	s_delay_alu instid0(SALU_CYCLE_1)
	s_or_b32 exec_lo, exec_lo, s7
	s_and_saveexec_b32 s7, vcc_hi
; %bb.661:                              ;   in Loop: Header=BB145_3 Depth=1
	s_delay_alu instid0(VALU_DEP_1)
	v_pk_add_f32 v[44:45], v[42:43], 0 neg_lo:[1,1] neg_hi:[1,1]
	ds_store_b64 v52, v[44:45]
; %bb.662:                              ;   in Loop: Header=BB145_3 Depth=1
	s_or_b32 exec_lo, exec_lo, s7
	s_wait_loadcnt_dscnt 0x0
	s_barrier_signal -1
	s_barrier_wait -1
	s_and_saveexec_b32 s7, s43
	s_cbranch_execz .LBB145_664
; %bb.663:                              ;   in Loop: Header=BB145_3 Depth=1
	ds_load_b64 v[44:45], v53 offset:9856
	ds_load_b64 v[46:47], v52
	s_wait_dscnt 0x0
	v_pk_mul_f32 v[84:85], v[46:47], v[44:45] op_sel:[1,1] op_sel_hi:[0,1]
	s_delay_alu instid0(VALU_DEP_1) | instskip(SKIP_1) | instid1(VALU_DEP_2)
	v_pk_fma_f32 v[86:87], v[46:47], v[44:45], v[84:85] op_sel_hi:[1,0,1]
	v_pk_fma_f32 v[44:45], v[46:47], v[44:45], v[84:85] neg_lo:[0,0,1] neg_hi:[0,0,1]
	v_mov_b32_e32 v45, v87
	s_delay_alu instid0(VALU_DEP_1)
	v_pk_add_f32 v[42:43], v[42:43], v[44:45] neg_lo:[0,1] neg_hi:[0,1]
.LBB145_664:                            ;   in Loop: Header=BB145_3 Depth=1
	s_or_b32 exec_lo, exec_lo, s7
	s_barrier_signal -1
	s_barrier_wait -1
	s_and_saveexec_b32 s7, s44
; %bb.665:                              ;   in Loop: Header=BB145_3 Depth=1
	v_pk_add_f32 v[44:45], v[42:43], 0 neg_lo:[1,1] neg_hi:[1,1]
	ds_store_b64 v52, v[44:45]
; %bb.666:                              ;   in Loop: Header=BB145_3 Depth=1
	s_or_b32 exec_lo, exec_lo, s7
	s_wait_dscnt 0x0
	s_barrier_signal -1
	s_barrier_wait -1
	s_and_saveexec_b32 s7, s45
	s_cbranch_execz .LBB145_668
; %bb.667:                              ;   in Loop: Header=BB145_3 Depth=1
	ds_load_b64 v[44:45], v53 offset:9344
	ds_load_b64 v[46:47], v52
	s_wait_dscnt 0x0
	v_pk_mul_f32 v[84:85], v[46:47], v[44:45] op_sel:[1,1] op_sel_hi:[0,1]
	s_delay_alu instid0(VALU_DEP_1) | instskip(SKIP_1) | instid1(VALU_DEP_2)
	v_pk_fma_f32 v[86:87], v[46:47], v[44:45], v[84:85] op_sel_hi:[1,0,1]
	v_pk_fma_f32 v[44:45], v[46:47], v[44:45], v[84:85] neg_lo:[0,0,1] neg_hi:[0,0,1]
	v_mov_b32_e32 v45, v87
	s_delay_alu instid0(VALU_DEP_1)
	v_pk_add_f32 v[42:43], v[42:43], v[44:45] neg_lo:[0,1] neg_hi:[0,1]
.LBB145_668:                            ;   in Loop: Header=BB145_3 Depth=1
	s_or_b32 exec_lo, exec_lo, s7
	s_barrier_signal -1
	s_barrier_wait -1
	s_and_saveexec_b32 s7, s46
; %bb.669:                              ;   in Loop: Header=BB145_3 Depth=1
	v_pk_add_f32 v[44:45], v[42:43], 0 neg_lo:[1,1] neg_hi:[1,1]
	ds_store_b64 v52, v[44:45]
; %bb.670:                              ;   in Loop: Header=BB145_3 Depth=1
	s_or_b32 exec_lo, exec_lo, s7
	s_wait_dscnt 0x0
	;; [unrolled: 26-line block ×3, first 2 shown]
	s_barrier_signal -1
	s_barrier_wait -1
	s_barrier_signal -1
	s_barrier_wait -1
	s_and_saveexec_b32 s7, s2
; %bb.675:                              ;   in Loop: Header=BB145_3 Depth=1
	ds_store_b64 v55, v[42:43] offset:11904
; %bb.676:                              ;   in Loop: Header=BB145_3 Depth=1
	s_or_b32 exec_lo, exec_lo, s7
	s_wait_dscnt 0x0
	s_barrier_signal -1
	s_barrier_wait -1
	s_barrier_signal -1
	s_barrier_wait -1
	s_and_saveexec_b32 s7, s11
; %bb.677:                              ;   in Loop: Header=BB145_3 Depth=1
	v_add_nc_u32_e64 v3, 0x2000, 0
	ds_store_2addr_b64 v3, v[34:35], v[34:35] offset0:146 offset1:211
; %bb.678:                              ;   in Loop: Header=BB145_3 Depth=1
	s_or_b32 exec_lo, exec_lo, s7
	v_dual_mov_b32 v42, 0 :: v_dual_mov_b32 v43, 0
	s_wait_dscnt 0x0
	s_barrier_signal -1
	s_barrier_wait -1
	global_wb scope:SCOPE_DEV
	s_wait_storecnt 0x0
	global_inv scope:SCOPE_DEV
	s_and_saveexec_b32 s7, s1
	s_cbranch_execz .LBB145_682
; %bb.679:                              ;   in Loop: Header=BB145_3 Depth=1
	ds_load_b64 v[42:43], v48 offset:9344
	ds_load_b64 v[44:45], v49 offset:9872
	s_wait_dscnt 0x0
	v_pk_mul_f32 v[46:47], v[44:45], v[42:43] op_sel:[1,1] op_sel_hi:[0,1]
	s_delay_alu instid0(VALU_DEP_1) | instskip(SKIP_1) | instid1(VALU_DEP_2)
	v_pk_fma_f32 v[84:85], v[44:45], v[42:43], v[46:47] op_sel_hi:[1,0,1]
	v_pk_fma_f32 v[42:43], v[44:45], v[42:43], v[46:47] neg_lo:[0,0,1] neg_hi:[0,0,1]
	v_mov_b32_e32 v43, v85
	s_delay_alu instid0(VALU_DEP_1)
	v_pk_add_f32 v[42:43], v[42:43], 0 op_sel_hi:[1,0]
	s_and_saveexec_b32 s8, s12
	s_cbranch_execz .LBB145_681
; %bb.680:                              ;   in Loop: Header=BB145_3 Depth=1
	ds_load_b64 v[44:45], v50 offset:9856
	ds_load_b64 v[46:47], v7 offset:9880
	s_wait_dscnt 0x0
	v_pk_mul_f32 v[84:85], v[46:47], v[44:45] op_sel:[1,1] op_sel_hi:[0,1]
	s_delay_alu instid0(VALU_DEP_1) | instskip(SKIP_1) | instid1(VALU_DEP_2)
	v_pk_fma_f32 v[86:87], v[46:47], v[44:45], v[84:85] op_sel_hi:[1,0,1]
	v_pk_fma_f32 v[44:45], v[46:47], v[44:45], v[84:85] neg_lo:[0,0,1] neg_hi:[0,0,1]
	v_mov_b32_e32 v45, v87
	s_delay_alu instid0(VALU_DEP_1)
	v_pk_add_f32 v[42:43], v[42:43], v[44:45]
.LBB145_681:                            ;   in Loop: Header=BB145_3 Depth=1
	s_or_b32 exec_lo, exec_lo, s8
.LBB145_682:                            ;   in Loop: Header=BB145_3 Depth=1
	s_delay_alu instid0(SALU_CYCLE_1)
	s_or_b32 exec_lo, exec_lo, s7
	s_and_saveexec_b32 s7, s103
; %bb.683:                              ;   in Loop: Header=BB145_3 Depth=1
	s_delay_alu instid0(VALU_DEP_1)
	v_pk_add_f32 v[44:45], v[42:43], 0 neg_lo:[1,1] neg_hi:[1,1]
	ds_store_b64 v5, v[44:45]
; %bb.684:                              ;   in Loop: Header=BB145_3 Depth=1
	s_or_b32 exec_lo, exec_lo, s7
	s_wait_loadcnt_dscnt 0x0
	s_barrier_signal -1
	s_barrier_wait -1
	s_and_saveexec_b32 s7, s104
	s_cbranch_execz .LBB145_686
; %bb.685:                              ;   in Loop: Header=BB145_3 Depth=1
	ds_load_b64 v[44:45], v7 offset:8832
	ds_load_b64 v[46:47], v5
	s_wait_dscnt 0x0
	v_pk_mul_f32 v[84:85], v[46:47], v[44:45] op_sel_hi:[1,0]
	s_delay_alu instid0(VALU_DEP_1) | instskip(SKIP_1) | instid1(VALU_DEP_2)
	v_pk_fma_f32 v[86:87], v[46:47], v[44:45], v[84:85] op_sel:[1,1,0] op_sel_hi:[0,1,1]
	v_pk_fma_f32 v[44:45], v[46:47], v[44:45], v[84:85] op_sel:[1,1,0] op_sel_hi:[0,1,1] neg_lo:[0,0,1] neg_hi:[0,0,1]
	v_pk_add_f32 v[46:47], v[42:43], v[86:87] neg_lo:[0,1] neg_hi:[0,1]
	s_delay_alu instid0(VALU_DEP_2) | instskip(NEXT) | instid1(VALU_DEP_2)
	v_pk_add_f32 v[42:43], v[42:43], v[44:45]
	v_mov_b32_e32 v43, v47
.LBB145_686:                            ;   in Loop: Header=BB145_3 Depth=1
	s_or_b32 exec_lo, exec_lo, s7
	s_barrier_signal -1
	s_barrier_wait -1
	s_and_saveexec_b32 s7, s104
; %bb.687:                              ;   in Loop: Header=BB145_3 Depth=1
	v_pk_add_f32 v[44:45], v[42:43], 0 neg_lo:[1,1] neg_hi:[1,1]
	ds_store_b64 v5, v[44:45]
; %bb.688:                              ;   in Loop: Header=BB145_3 Depth=1
	s_or_b32 exec_lo, exec_lo, s7
	s_wait_dscnt 0x0
	s_barrier_signal -1
	s_barrier_wait -1
	s_barrier_signal -1
	s_barrier_wait -1
	s_and_saveexec_b32 s7, s1
; %bb.689:                              ;   in Loop: Header=BB145_3 Depth=1
	ds_store_b64 v51, v[42:43] offset:9856
; %bb.690:                              ;   in Loop: Header=BB145_3 Depth=1
	s_or_b32 exec_lo, exec_lo, s7
	s_wait_dscnt 0x0
	s_barrier_signal -1
	s_barrier_wait -1
	s_barrier_signal -1
	s_barrier_wait -1
	s_and_saveexec_b32 s7, s11
; %bb.691:                              ;   in Loop: Header=BB145_3 Depth=1
	v_add_nc_u32_e64 v3, 0x2000, 0
	ds_store_2addr_b64 v3, v[34:35], v[34:35] offset0:16 offset1:81
; %bb.692:                              ;   in Loop: Header=BB145_3 Depth=1
	s_or_b32 exec_lo, exec_lo, s7
	v_mov_b64_e32 v[42:43], 0
	s_wait_dscnt 0x0
	s_barrier_signal -1
	s_barrier_wait -1
	global_wb scope:SCOPE_DEV
	s_wait_storecnt 0x0
	global_inv scope:SCOPE_DEV
	s_and_saveexec_b32 s66, s4
	s_cbranch_execz .LBB145_720
; %bb.693:                              ;   in Loop: Header=BB145_3 Depth=1
	ds_load_b64 v[42:43], v61 offset:8192
	ds_load_b64 v[44:45], v62 offset:16000
	s_wait_dscnt 0x0
	v_dual_mul_f32 v3, v45, v43 :: v_dual_mul_f32 v43, v44, v43
	s_delay_alu instid0(VALU_DEP_1) | instskip(NEXT) | instid1(VALU_DEP_1)
	v_fmac_f32_e32 v43, v45, v42
	v_dual_fma_f32 v3, v44, v42, -v3 :: v_dual_add_f32 v43, 0, v43
	s_delay_alu instid0(VALU_DEP_1) | instskip(SKIP_3) | instid1(SALU_CYCLE_1)
	v_add_f32_e32 v42, 0, v3
	s_mov_b32 s7, exec_lo
	v_readlane_b32 s8, v93, 25
	s_and_b32 s8, s7, s8
	s_mov_b32 exec_lo, s8
	s_cbranch_execz .LBB145_695
; %bb.694:                              ;   in Loop: Header=BB145_3 Depth=1
	ds_load_b64 v[44:45], v61 offset:8704
	ds_load_b64 v[46:47], v62 offset:16008
	s_wait_dscnt 0x0
	v_dual_mul_f32 v3, v47, v45 :: v_dual_mul_f32 v45, v46, v45
	s_delay_alu instid0(VALU_DEP_1) | instskip(NEXT) | instid1(VALU_DEP_1)
	v_dual_fma_f32 v3, v46, v44, -v3 :: v_dual_fmac_f32 v45, v47, v44
	v_dual_add_f32 v42, v42, v3 :: v_dual_add_f32 v43, v43, v45
.LBB145_695:                            ;   in Loop: Header=BB145_3 Depth=1
	s_or_b32 exec_lo, exec_lo, s7
	s_delay_alu instid0(SALU_CYCLE_1) | instskip(SKIP_2) | instid1(SALU_CYCLE_1)
	s_mov_b32 s7, exec_lo
	v_readlane_b32 s8, v93, 26
	s_and_b32 s8, s7, s8
	s_mov_b32 exec_lo, s8
	s_cbranch_execz .LBB145_697
; %bb.696:                              ;   in Loop: Header=BB145_3 Depth=1
	ds_load_b64 v[44:45], v61 offset:9216
	ds_load_b64 v[46:47], v62 offset:16016
	s_wait_dscnt 0x0
	v_dual_mul_f32 v3, v47, v45 :: v_dual_mul_f32 v45, v46, v45
	s_delay_alu instid0(VALU_DEP_1) | instskip(NEXT) | instid1(VALU_DEP_1)
	v_dual_fma_f32 v3, v46, v44, -v3 :: v_dual_fmac_f32 v45, v47, v44
	v_dual_add_f32 v42, v42, v3 :: v_dual_add_f32 v43, v43, v45
.LBB145_697:                            ;   in Loop: Header=BB145_3 Depth=1
	s_or_b32 exec_lo, exec_lo, s7
	s_delay_alu instid0(SALU_CYCLE_1) | instskip(SKIP_2) | instid1(SALU_CYCLE_1)
	;; [unrolled: 16-line block ×10, first 2 shown]
	s_mov_b32 s7, exec_lo
	v_readlane_b32 s8, v92, 4
	s_and_b32 s8, s7, s8
	s_mov_b32 exec_lo, s8
	s_cbranch_execnz .LBB145_1036
; %bb.714:                              ;   in Loop: Header=BB145_3 Depth=1
	s_or_b32 exec_lo, exec_lo, s7
	s_and_saveexec_b32 s7, s3
	s_cbranch_execnz .LBB145_1037
.LBB145_715:                            ;   in Loop: Header=BB145_3 Depth=1
	s_or_b32 exec_lo, exec_lo, s7
	s_and_saveexec_b32 s7, s16
	s_cbranch_execnz .LBB145_1038
.LBB145_716:                            ;   in Loop: Header=BB145_3 Depth=1
	s_or_b32 exec_lo, exec_lo, s7
	s_and_saveexec_b32 s7, s18
	s_cbranch_execnz .LBB145_1039
.LBB145_717:                            ;   in Loop: Header=BB145_3 Depth=1
	s_or_b32 exec_lo, exec_lo, s7
	s_and_saveexec_b32 s7, s2
	s_cbranch_execz .LBB145_719
.LBB145_718:                            ;   in Loop: Header=BB145_3 Depth=1
	ds_load_b64 v[44:45], v50 offset:15872
	ds_load_b64 v[46:47], v7 offset:16120
	s_wait_dscnt 0x0
	v_pk_mul_f32 v[84:85], v[46:47], v[44:45] op_sel:[1,1] op_sel_hi:[0,1]
	s_delay_alu instid0(VALU_DEP_1) | instskip(SKIP_1) | instid1(VALU_DEP_2)
	v_pk_fma_f32 v[86:87], v[46:47], v[44:45], v[84:85] op_sel_hi:[1,0,1]
	v_pk_fma_f32 v[44:45], v[46:47], v[44:45], v[84:85] neg_lo:[0,0,1] neg_hi:[0,0,1]
	v_mov_b32_e32 v45, v87
	s_delay_alu instid0(VALU_DEP_1)
	v_pk_add_f32 v[42:43], v[42:43], v[44:45]
.LBB145_719:                            ;   in Loop: Header=BB145_3 Depth=1
	s_or_b32 exec_lo, exec_lo, s7
.LBB145_720:                            ;   in Loop: Header=BB145_3 Depth=1
	s_delay_alu instid0(SALU_CYCLE_1) | instskip(NEXT) | instid1(SALU_CYCLE_1)
	s_or_b32 exec_lo, exec_lo, s66
	s_mov_b32 s7, exec_lo
	v_readlane_b32 s8, v93, 1
	s_and_b32 s8, s7, s8
	s_delay_alu instid0(SALU_CYCLE_1)
	s_mov_b32 exec_lo, s8
; %bb.721:                              ;   in Loop: Header=BB145_3 Depth=1
	v_pk_add_f32 v[44:45], v[42:43], 0 neg_lo:[1,1] neg_hi:[1,1]
	ds_store_b64 v60, v[44:45]
; %bb.722:                              ;   in Loop: Header=BB145_3 Depth=1
	s_or_b32 exec_lo, exec_lo, s7
	s_wait_loadcnt_dscnt 0x0
	s_barrier_signal -1
	s_barrier_wait -1
	s_mov_b32 s7, exec_lo
	v_readlane_b32 s8, v93, 2
	s_and_b32 s8, s7, s8
	s_delay_alu instid0(SALU_CYCLE_1)
	s_mov_b32 exec_lo, s8
	s_cbranch_execz .LBB145_724
; %bb.723:                              ;   in Loop: Header=BB145_3 Depth=1
	ds_load_b64 v[44:45], v61 offset:7680
	ds_load_b64 v[46:47], v60
	s_wait_dscnt 0x0
	v_pk_mul_f32 v[84:85], v[46:47], v[44:45] op_sel:[1,1] op_sel_hi:[0,1]
	s_delay_alu instid0(VALU_DEP_1) | instskip(SKIP_1) | instid1(VALU_DEP_2)
	v_pk_fma_f32 v[86:87], v[46:47], v[44:45], v[84:85] op_sel_hi:[1,0,1]
	v_pk_fma_f32 v[44:45], v[46:47], v[44:45], v[84:85] neg_lo:[0,0,1] neg_hi:[0,0,1]
	v_mov_b32_e32 v45, v87
	s_delay_alu instid0(VALU_DEP_1)
	v_pk_add_f32 v[42:43], v[42:43], v[44:45] neg_lo:[0,1] neg_hi:[0,1]
.LBB145_724:                            ;   in Loop: Header=BB145_3 Depth=1
	s_or_b32 exec_lo, exec_lo, s7
	s_barrier_signal -1
	s_barrier_wait -1
	s_mov_b32 s7, exec_lo
	v_readlane_b32 s8, v93, 3
	s_and_b32 s8, s7, s8
	s_delay_alu instid0(SALU_CYCLE_1)
	s_mov_b32 exec_lo, s8
; %bb.725:                              ;   in Loop: Header=BB145_3 Depth=1
	v_pk_add_f32 v[44:45], v[42:43], 0 neg_lo:[1,1] neg_hi:[1,1]
	ds_store_b64 v60, v[44:45]
; %bb.726:                              ;   in Loop: Header=BB145_3 Depth=1
	s_or_b32 exec_lo, exec_lo, s7
	s_wait_dscnt 0x0
	s_barrier_signal -1
	s_barrier_wait -1
	s_mov_b32 s7, exec_lo
	v_readlane_b32 s8, v93, 4
	s_and_b32 s8, s7, s8
	s_delay_alu instid0(SALU_CYCLE_1)
	s_mov_b32 exec_lo, s8
	s_cbranch_execz .LBB145_728
; %bb.727:                              ;   in Loop: Header=BB145_3 Depth=1
	ds_load_b64 v[44:45], v61 offset:7168
	ds_load_b64 v[46:47], v60
	s_wait_dscnt 0x0
	v_pk_mul_f32 v[84:85], v[46:47], v[44:45] op_sel:[1,1] op_sel_hi:[0,1]
	s_delay_alu instid0(VALU_DEP_1) | instskip(SKIP_1) | instid1(VALU_DEP_2)
	v_pk_fma_f32 v[86:87], v[46:47], v[44:45], v[84:85] op_sel_hi:[1,0,1]
	v_pk_fma_f32 v[44:45], v[46:47], v[44:45], v[84:85] neg_lo:[0,0,1] neg_hi:[0,0,1]
	v_mov_b32_e32 v45, v87
	s_delay_alu instid0(VALU_DEP_1)
	v_pk_add_f32 v[42:43], v[42:43], v[44:45] neg_lo:[0,1] neg_hi:[0,1]
.LBB145_728:                            ;   in Loop: Header=BB145_3 Depth=1
	s_or_b32 exec_lo, exec_lo, s7
	s_barrier_signal -1
	s_barrier_wait -1
	s_mov_b32 s7, exec_lo
	v_readlane_b32 s8, v93, 5
	s_and_b32 s8, s7, s8
	s_delay_alu instid0(SALU_CYCLE_1)
	s_mov_b32 exec_lo, s8
; %bb.729:                              ;   in Loop: Header=BB145_3 Depth=1
	v_pk_add_f32 v[44:45], v[42:43], 0 neg_lo:[1,1] neg_hi:[1,1]
	ds_store_b64 v60, v[44:45]
; %bb.730:                              ;   in Loop: Header=BB145_3 Depth=1
	s_or_b32 exec_lo, exec_lo, s7
	s_wait_dscnt 0x0
	;; [unrolled: 34-line block ×3, first 2 shown]
	s_barrier_signal -1
	s_barrier_wait -1
	s_mov_b32 s7, exec_lo
	v_readlane_b32 s8, v93, 8
	s_and_b32 s8, s7, s8
	s_delay_alu instid0(SALU_CYCLE_1)
	s_mov_b32 exec_lo, s8
	s_cbranch_execz .LBB145_736
; %bb.735:                              ;   in Loop: Header=BB145_3 Depth=1
	ds_load_b64 v[44:45], v61 offset:6144
	ds_load_b64 v[46:47], v60
	s_wait_dscnt 0x0
	v_dual_mul_f32 v3, v47, v45 :: v_dual_mul_f32 v45, v46, v45
	s_delay_alu instid0(VALU_DEP_1) | instskip(NEXT) | instid1(VALU_DEP_1)
	v_dual_fma_f32 v3, v46, v44, -v3 :: v_dual_fmac_f32 v45, v47, v44
	v_dual_sub_f32 v42, v42, v3 :: v_dual_sub_f32 v43, v43, v45
.LBB145_736:                            ;   in Loop: Header=BB145_3 Depth=1
	s_or_b32 exec_lo, exec_lo, s7
	s_barrier_signal -1
	s_barrier_wait -1
	s_mov_b32 s7, exec_lo
	v_readlane_b32 s8, v93, 9
	s_and_b32 s8, s7, s8
	s_delay_alu instid0(SALU_CYCLE_1)
	s_mov_b32 exec_lo, s8
; %bb.737:                              ;   in Loop: Header=BB145_3 Depth=1
	v_pk_add_f32 v[44:45], v[42:43], 0 neg_lo:[1,1] neg_hi:[1,1]
	ds_store_b64 v60, v[44:45]
; %bb.738:                              ;   in Loop: Header=BB145_3 Depth=1
	s_or_b32 exec_lo, exec_lo, s7
	s_wait_dscnt 0x0
	s_barrier_signal -1
	s_barrier_wait -1
	s_mov_b32 s7, exec_lo
	v_readlane_b32 s8, v93, 10
	s_and_b32 s8, s7, s8
	s_delay_alu instid0(SALU_CYCLE_1)
	s_mov_b32 exec_lo, s8
	s_cbranch_execz .LBB145_740
; %bb.739:                              ;   in Loop: Header=BB145_3 Depth=1
	ds_load_b64 v[44:45], v61 offset:5632
	ds_load_b64 v[46:47], v60
	s_wait_dscnt 0x0
	v_dual_mul_f32 v3, v47, v45 :: v_dual_mul_f32 v85, v46, v45
	s_delay_alu instid0(VALU_DEP_1) | instskip(NEXT) | instid1(VALU_DEP_1)
	v_dual_fma_f32 v84, v46, v44, -v3 :: v_dual_fmac_f32 v85, v47, v44
	v_pk_add_f32 v[42:43], v[42:43], v[84:85] neg_lo:[0,1] neg_hi:[0,1]
.LBB145_740:                            ;   in Loop: Header=BB145_3 Depth=1
	s_or_b32 exec_lo, exec_lo, s7
	s_barrier_signal -1
	s_barrier_wait -1
	s_mov_b32 s7, exec_lo
	v_readlane_b32 s8, v93, 11
	s_and_b32 s8, s7, s8
	s_delay_alu instid0(SALU_CYCLE_1)
	s_mov_b32 exec_lo, s8
; %bb.741:                              ;   in Loop: Header=BB145_3 Depth=1
	v_pk_add_f32 v[44:45], v[42:43], 0 neg_lo:[1,1] neg_hi:[1,1]
	ds_store_b64 v60, v[44:45]
; %bb.742:                              ;   in Loop: Header=BB145_3 Depth=1
	s_or_b32 exec_lo, exec_lo, s7
	s_wait_dscnt 0x0
	s_barrier_signal -1
	s_barrier_wait -1
	s_and_saveexec_b32 s7, s36
	s_cbranch_execz .LBB145_744
; %bb.743:                              ;   in Loop: Header=BB145_3 Depth=1
	ds_load_b64 v[44:45], v61 offset:5120
	ds_load_b64 v[46:47], v60
	s_wait_dscnt 0x0
	v_pk_mul_f32 v[84:85], v[46:47], v[44:45] op_sel:[1,1] op_sel_hi:[0,1]
	s_delay_alu instid0(VALU_DEP_1) | instskip(SKIP_1) | instid1(VALU_DEP_2)
	v_pk_fma_f32 v[86:87], v[46:47], v[44:45], v[84:85] op_sel_hi:[1,0,1]
	v_pk_fma_f32 v[44:45], v[46:47], v[44:45], v[84:85] neg_lo:[0,0,1] neg_hi:[0,0,1]
	v_mov_b32_e32 v45, v87
	s_delay_alu instid0(VALU_DEP_1)
	v_pk_add_f32 v[42:43], v[42:43], v[44:45] neg_lo:[0,1] neg_hi:[0,1]
.LBB145_744:                            ;   in Loop: Header=BB145_3 Depth=1
	s_or_b32 exec_lo, exec_lo, s7
	s_barrier_signal -1
	s_barrier_wait -1
	s_and_saveexec_b32 s7, s37
; %bb.745:                              ;   in Loop: Header=BB145_3 Depth=1
	v_pk_add_f32 v[44:45], v[42:43], 0 neg_lo:[1,1] neg_hi:[1,1]
	ds_store_b64 v60, v[44:45]
; %bb.746:                              ;   in Loop: Header=BB145_3 Depth=1
	s_or_b32 exec_lo, exec_lo, s7
	s_wait_dscnt 0x0
	s_barrier_signal -1
	s_barrier_wait -1
	s_and_saveexec_b32 s7, s39
	s_cbranch_execz .LBB145_748
; %bb.747:                              ;   in Loop: Header=BB145_3 Depth=1
	ds_load_b64 v[44:45], v61 offset:4608
	ds_load_b64 v[46:47], v60
	s_wait_dscnt 0x0
	v_pk_mul_f32 v[84:85], v[46:47], v[44:45] op_sel:[1,1] op_sel_hi:[0,1]
	s_delay_alu instid0(VALU_DEP_1) | instskip(SKIP_1) | instid1(VALU_DEP_2)
	v_pk_fma_f32 v[86:87], v[46:47], v[44:45], v[84:85] op_sel_hi:[1,0,1]
	v_pk_fma_f32 v[44:45], v[46:47], v[44:45], v[84:85] neg_lo:[0,0,1] neg_hi:[0,0,1]
	v_mov_b32_e32 v45, v87
	s_delay_alu instid0(VALU_DEP_1)
	v_pk_add_f32 v[42:43], v[42:43], v[44:45] neg_lo:[0,1] neg_hi:[0,1]
.LBB145_748:                            ;   in Loop: Header=BB145_3 Depth=1
	s_or_b32 exec_lo, exec_lo, s7
	s_barrier_signal -1
	s_barrier_wait -1
	s_and_saveexec_b32 s7, s40
; %bb.749:                              ;   in Loop: Header=BB145_3 Depth=1
	v_pk_add_f32 v[44:45], v[42:43], 0 neg_lo:[1,1] neg_hi:[1,1]
	ds_store_b64 v60, v[44:45]
; %bb.750:                              ;   in Loop: Header=BB145_3 Depth=1
	s_or_b32 exec_lo, exec_lo, s7
	s_wait_dscnt 0x0
	s_barrier_signal -1
	s_barrier_wait -1
	s_and_saveexec_b32 s7, s41
	s_cbranch_execz .LBB145_752
; %bb.751:                              ;   in Loop: Header=BB145_3 Depth=1
	ds_load_b64 v[44:45], v61 offset:4096
	ds_load_b64 v[46:47], v60
	s_wait_dscnt 0x0
	v_pk_mul_f32 v[84:85], v[46:47], v[44:45] op_sel:[1,1] op_sel_hi:[0,1]
	s_delay_alu instid0(VALU_DEP_1) | instskip(SKIP_1) | instid1(VALU_DEP_2)
	v_pk_fma_f32 v[86:87], v[46:47], v[44:45], v[84:85] op_sel_hi:[1,0,1]
	v_pk_fma_f32 v[44:45], v[46:47], v[44:45], v[84:85] neg_lo:[0,0,1] neg_hi:[0,0,1]
	v_mov_b32_e32 v45, v87
	s_delay_alu instid0(VALU_DEP_1)
	v_pk_add_f32 v[42:43], v[42:43], v[44:45] neg_lo:[0,1] neg_hi:[0,1]
.LBB145_752:                            ;   in Loop: Header=BB145_3 Depth=1
	s_or_b32 exec_lo, exec_lo, s7
	s_barrier_signal -1
	s_barrier_wait -1
	s_and_saveexec_b32 s7, s42
; %bb.753:                              ;   in Loop: Header=BB145_3 Depth=1
	v_pk_add_f32 v[44:45], v[42:43], 0 neg_lo:[1,1] neg_hi:[1,1]
	ds_store_b64 v60, v[44:45]
; %bb.754:                              ;   in Loop: Header=BB145_3 Depth=1
	s_or_b32 exec_lo, exec_lo, s7
	s_wait_dscnt 0x0
	s_barrier_signal -1
	s_barrier_wait -1
	s_and_saveexec_b32 s7, s38
	s_cbranch_execz .LBB145_756
; %bb.755:                              ;   in Loop: Header=BB145_3 Depth=1
	ds_load_b64 v[44:45], v61 offset:3584
	ds_load_b64 v[46:47], v60
	s_wait_dscnt 0x0
	v_pk_mul_f32 v[84:85], v[46:47], v[44:45] op_sel:[1,1] op_sel_hi:[0,1]
	s_delay_alu instid0(VALU_DEP_1) | instskip(SKIP_1) | instid1(VALU_DEP_2)
	v_pk_fma_f32 v[86:87], v[46:47], v[44:45], v[84:85] op_sel_hi:[1,0,1]
	v_pk_fma_f32 v[44:45], v[46:47], v[44:45], v[84:85] neg_lo:[0,0,1] neg_hi:[0,0,1]
	v_mov_b32_e32 v45, v87
	s_delay_alu instid0(VALU_DEP_1)
	v_pk_add_f32 v[42:43], v[42:43], v[44:45] neg_lo:[0,1] neg_hi:[0,1]
.LBB145_756:                            ;   in Loop: Header=BB145_3 Depth=1
	s_or_b32 exec_lo, exec_lo, s7
	s_barrier_signal -1
	s_barrier_wait -1
	s_and_saveexec_b32 s7, s21
; %bb.757:                              ;   in Loop: Header=BB145_3 Depth=1
	v_pk_add_f32 v[44:45], v[42:43], 0 neg_lo:[1,1] neg_hi:[1,1]
	ds_store_b64 v60, v[44:45]
; %bb.758:                              ;   in Loop: Header=BB145_3 Depth=1
	s_or_b32 exec_lo, exec_lo, s7
	s_wait_dscnt 0x0
	s_barrier_signal -1
	s_barrier_wait -1
	s_and_saveexec_b32 s7, s23
	s_cbranch_execz .LBB145_760
; %bb.759:                              ;   in Loop: Header=BB145_3 Depth=1
	ds_load_b64 v[44:45], v61 offset:3072
	ds_load_b64 v[46:47], v60
	s_wait_dscnt 0x0
	v_dual_mul_f32 v3, v47, v45 :: v_dual_mul_f32 v45, v46, v45
	s_delay_alu instid0(VALU_DEP_1) | instskip(NEXT) | instid1(VALU_DEP_1)
	v_dual_fma_f32 v3, v46, v44, -v3 :: v_dual_fmac_f32 v45, v47, v44
	v_dual_sub_f32 v42, v42, v3 :: v_dual_sub_f32 v43, v43, v45
.LBB145_760:                            ;   in Loop: Header=BB145_3 Depth=1
	s_or_b32 exec_lo, exec_lo, s7
	s_barrier_signal -1
	s_barrier_wait -1
	s_and_saveexec_b32 s7, s26
; %bb.761:                              ;   in Loop: Header=BB145_3 Depth=1
	v_pk_add_f32 v[44:45], v[42:43], 0 neg_lo:[1,1] neg_hi:[1,1]
	ds_store_b64 v60, v[44:45]
; %bb.762:                              ;   in Loop: Header=BB145_3 Depth=1
	s_or_b32 exec_lo, exec_lo, s7
	s_wait_dscnt 0x0
	s_barrier_signal -1
	s_barrier_wait -1
	s_and_saveexec_b32 s7, s28
	s_cbranch_execz .LBB145_764
; %bb.763:                              ;   in Loop: Header=BB145_3 Depth=1
	ds_load_b64 v[44:45], v61 offset:2560
	ds_load_b64 v[46:47], v60
	s_wait_dscnt 0x0
	v_dual_mul_f32 v3, v47, v45 :: v_dual_mul_f32 v85, v46, v45
	s_delay_alu instid0(VALU_DEP_1) | instskip(NEXT) | instid1(VALU_DEP_1)
	v_dual_fma_f32 v84, v46, v44, -v3 :: v_dual_fmac_f32 v85, v47, v44
	v_pk_add_f32 v[42:43], v[42:43], v[84:85] neg_lo:[0,1] neg_hi:[0,1]
.LBB145_764:                            ;   in Loop: Header=BB145_3 Depth=1
	s_or_b32 exec_lo, exec_lo, s7
	s_barrier_signal -1
	s_barrier_wait -1
	s_and_saveexec_b32 s7, s30
; %bb.765:                              ;   in Loop: Header=BB145_3 Depth=1
	v_pk_add_f32 v[44:45], v[42:43], 0 neg_lo:[1,1] neg_hi:[1,1]
	ds_store_b64 v60, v[44:45]
; %bb.766:                              ;   in Loop: Header=BB145_3 Depth=1
	s_or_b32 exec_lo, exec_lo, s7
	s_wait_dscnt 0x0
	s_barrier_signal -1
	s_barrier_wait -1
	s_and_saveexec_b32 s7, s101
	s_cbranch_execz .LBB145_768
; %bb.767:                              ;   in Loop: Header=BB145_3 Depth=1
	ds_load_b64 v[44:45], v61 offset:2048
	ds_load_b64 v[46:47], v60
	s_wait_dscnt 0x0
	v_pk_mul_f32 v[84:85], v[46:47], v[44:45] op_sel:[1,1] op_sel_hi:[0,1]
	s_delay_alu instid0(VALU_DEP_1) | instskip(SKIP_1) | instid1(VALU_DEP_2)
	v_pk_fma_f32 v[86:87], v[46:47], v[44:45], v[84:85] op_sel_hi:[1,0,1]
	v_pk_fma_f32 v[44:45], v[46:47], v[44:45], v[84:85] neg_lo:[0,0,1] neg_hi:[0,0,1]
	v_mov_b32_e32 v45, v87
	s_delay_alu instid0(VALU_DEP_1)
	v_pk_add_f32 v[42:43], v[42:43], v[44:45] neg_lo:[0,1] neg_hi:[0,1]
.LBB145_768:                            ;   in Loop: Header=BB145_3 Depth=1
	s_or_b32 exec_lo, exec_lo, s7
	s_barrier_signal -1
	s_barrier_wait -1
	s_and_saveexec_b32 s7, s62
; %bb.769:                              ;   in Loop: Header=BB145_3 Depth=1
	v_pk_add_f32 v[44:45], v[42:43], 0 neg_lo:[1,1] neg_hi:[1,1]
	ds_store_b64 v60, v[44:45]
; %bb.770:                              ;   in Loop: Header=BB145_3 Depth=1
	s_or_b32 exec_lo, exec_lo, s7
	s_wait_dscnt 0x0
	s_barrier_signal -1
	s_barrier_wait -1
	s_and_saveexec_b32 s7, s63
	s_cbranch_execz .LBB145_772
; %bb.771:                              ;   in Loop: Header=BB145_3 Depth=1
	ds_load_b64 v[44:45], v61 offset:1536
	ds_load_b64 v[46:47], v60
	s_wait_dscnt 0x0
	v_pk_mul_f32 v[84:85], v[46:47], v[44:45] op_sel:[1,1] op_sel_hi:[0,1]
	s_delay_alu instid0(VALU_DEP_1) | instskip(SKIP_1) | instid1(VALU_DEP_2)
	v_pk_fma_f32 v[86:87], v[46:47], v[44:45], v[84:85] op_sel_hi:[1,0,1]
	v_pk_fma_f32 v[44:45], v[46:47], v[44:45], v[84:85] neg_lo:[0,0,1] neg_hi:[0,0,1]
	v_mov_b32_e32 v45, v87
	s_delay_alu instid0(VALU_DEP_1)
	v_pk_add_f32 v[42:43], v[42:43], v[44:45] neg_lo:[0,1] neg_hi:[0,1]
.LBB145_772:                            ;   in Loop: Header=BB145_3 Depth=1
	;; [unrolled: 26-line block ×4, first 2 shown]
	s_or_b32 exec_lo, exec_lo, s7
	s_barrier_signal -1
	s_barrier_wait -1
	s_and_saveexec_b32 s7, s22
; %bb.781:                              ;   in Loop: Header=BB145_3 Depth=1
	v_pk_add_f32 v[44:45], v[42:43], 0 neg_lo:[1,1] neg_hi:[1,1]
	ds_store_b64 v60, v[44:45]
; %bb.782:                              ;   in Loop: Header=BB145_3 Depth=1
	s_or_b32 exec_lo, exec_lo, s7
	s_wait_dscnt 0x0
	s_barrier_signal -1
	s_barrier_wait -1
	s_barrier_signal -1
	s_barrier_wait -1
	s_and_saveexec_b32 s7, s4
; %bb.783:                              ;   in Loop: Header=BB145_3 Depth=1
	ds_store_b64 v63, v[42:43] offset:15872
; %bb.784:                              ;   in Loop: Header=BB145_3 Depth=1
	s_or_b32 exec_lo, exec_lo, s7
	s_wait_dscnt 0x0
	s_barrier_signal -1
	s_barrier_wait -1
	s_barrier_signal -1
	s_barrier_wait -1
	s_and_saveexec_b32 s7, s11
; %bb.785:                              ;   in Loop: Header=BB145_3 Depth=1
	v_add_nc_u32_e64 v3, 0x1800, 0
	ds_store_2addr_b64 v3, v[34:35], v[34:35] offset0:142 offset1:207
; %bb.786:                              ;   in Loop: Header=BB145_3 Depth=1
	s_or_b32 exec_lo, exec_lo, s7
	v_dual_mov_b32 v42, 0 :: v_dual_mov_b32 v43, 0
	s_wait_dscnt 0x0
	s_barrier_signal -1
	s_barrier_wait -1
	global_wb scope:SCOPE_DEV
	s_wait_storecnt 0x0
	global_inv scope:SCOPE_DEV
	s_and_saveexec_b32 s7, s1
	s_cbranch_execz .LBB145_790
; %bb.787:                              ;   in Loop: Header=BB145_3 Depth=1
	ds_load_b64 v[42:43], v48 offset:7264
	ds_load_b64 v[44:45], v49 offset:7792
	s_wait_dscnt 0x0
	v_pk_mul_f32 v[46:47], v[44:45], v[42:43] op_sel:[1,1] op_sel_hi:[0,1]
	s_delay_alu instid0(VALU_DEP_1) | instskip(SKIP_1) | instid1(VALU_DEP_2)
	v_pk_fma_f32 v[84:85], v[44:45], v[42:43], v[46:47] op_sel_hi:[1,0,1]
	v_pk_fma_f32 v[42:43], v[44:45], v[42:43], v[46:47] neg_lo:[0,0,1] neg_hi:[0,0,1]
	v_mov_b32_e32 v43, v85
	s_delay_alu instid0(VALU_DEP_1)
	v_pk_add_f32 v[42:43], v[42:43], 0 op_sel_hi:[1,0]
	s_and_saveexec_b32 s8, s12
	s_cbranch_execz .LBB145_789
; %bb.788:                              ;   in Loop: Header=BB145_3 Depth=1
	ds_load_b64 v[44:45], v50 offset:7776
	ds_load_b64 v[46:47], v7 offset:7800
	s_wait_dscnt 0x0
	v_pk_mul_f32 v[84:85], v[46:47], v[44:45] op_sel:[1,1] op_sel_hi:[0,1]
	s_delay_alu instid0(VALU_DEP_1) | instskip(SKIP_1) | instid1(VALU_DEP_2)
	v_pk_fma_f32 v[86:87], v[46:47], v[44:45], v[84:85] op_sel_hi:[1,0,1]
	v_pk_fma_f32 v[44:45], v[46:47], v[44:45], v[84:85] neg_lo:[0,0,1] neg_hi:[0,0,1]
	v_mov_b32_e32 v45, v87
	s_delay_alu instid0(VALU_DEP_1)
	v_pk_add_f32 v[42:43], v[42:43], v[44:45]
.LBB145_789:                            ;   in Loop: Header=BB145_3 Depth=1
	s_or_b32 exec_lo, exec_lo, s8
.LBB145_790:                            ;   in Loop: Header=BB145_3 Depth=1
	s_delay_alu instid0(SALU_CYCLE_1)
	s_or_b32 exec_lo, exec_lo, s7
	s_and_saveexec_b32 s7, s103
; %bb.791:                              ;   in Loop: Header=BB145_3 Depth=1
	s_delay_alu instid0(VALU_DEP_1)
	v_pk_add_f32 v[44:45], v[42:43], 0 neg_lo:[1,1] neg_hi:[1,1]
	ds_store_b64 v5, v[44:45]
; %bb.792:                              ;   in Loop: Header=BB145_3 Depth=1
	s_or_b32 exec_lo, exec_lo, s7
	s_wait_loadcnt_dscnt 0x0
	s_barrier_signal -1
	s_barrier_wait -1
	s_and_saveexec_b32 s7, s104
	s_cbranch_execz .LBB145_794
; %bb.793:                              ;   in Loop: Header=BB145_3 Depth=1
	ds_load_b64 v[44:45], v7 offset:6752
	ds_load_b64 v[46:47], v5
	s_wait_dscnt 0x0
	v_pk_mul_f32 v[84:85], v[46:47], v[44:45] op_sel_hi:[1,0]
	s_delay_alu instid0(VALU_DEP_1) | instskip(SKIP_1) | instid1(VALU_DEP_2)
	v_pk_fma_f32 v[86:87], v[46:47], v[44:45], v[84:85] op_sel:[1,1,0] op_sel_hi:[0,1,1]
	v_pk_fma_f32 v[44:45], v[46:47], v[44:45], v[84:85] op_sel:[1,1,0] op_sel_hi:[0,1,1] neg_lo:[0,0,1] neg_hi:[0,0,1]
	v_pk_add_f32 v[46:47], v[42:43], v[86:87] neg_lo:[0,1] neg_hi:[0,1]
	s_delay_alu instid0(VALU_DEP_2) | instskip(NEXT) | instid1(VALU_DEP_2)
	v_pk_add_f32 v[42:43], v[42:43], v[44:45]
	v_mov_b32_e32 v43, v47
.LBB145_794:                            ;   in Loop: Header=BB145_3 Depth=1
	s_or_b32 exec_lo, exec_lo, s7
	s_barrier_signal -1
	s_barrier_wait -1
	s_and_saveexec_b32 s7, s104
; %bb.795:                              ;   in Loop: Header=BB145_3 Depth=1
	v_pk_add_f32 v[44:45], v[42:43], 0 neg_lo:[1,1] neg_hi:[1,1]
	ds_store_b64 v5, v[44:45]
; %bb.796:                              ;   in Loop: Header=BB145_3 Depth=1
	s_or_b32 exec_lo, exec_lo, s7
	s_wait_dscnt 0x0
	s_barrier_signal -1
	s_barrier_wait -1
	s_barrier_signal -1
	s_barrier_wait -1
	s_and_saveexec_b32 s7, s1
; %bb.797:                              ;   in Loop: Header=BB145_3 Depth=1
	ds_store_b64 v51, v[42:43] offset:7776
; %bb.798:                              ;   in Loop: Header=BB145_3 Depth=1
	s_or_b32 exec_lo, exec_lo, s7
	s_wait_dscnt 0x0
	s_barrier_signal -1
	s_barrier_wait -1
	s_barrier_signal -1
	s_barrier_wait -1
	s_and_saveexec_b32 s7, s11
; %bb.799:                              ;   in Loop: Header=BB145_3 Depth=1
	v_add_nc_u32_e64 v3, 0x1800, 0
	ds_store_2addr_b64 v3, v[34:35], v[34:35] offset0:12 offset1:77
; %bb.800:                              ;   in Loop: Header=BB145_3 Depth=1
	s_or_b32 exec_lo, exec_lo, s7
	v_mov_b64_e32 v[42:43], 0
	s_wait_dscnt 0x0
	s_barrier_signal -1
	s_barrier_wait -1
	global_wb scope:SCOPE_DEV
	s_wait_storecnt 0x0
	global_inv scope:SCOPE_DEV
	s_and_saveexec_b32 s7, s2
	s_cbranch_execz .LBB145_806
; %bb.801:                              ;   in Loop: Header=BB145_3 Depth=1
	ds_load_b64 v[42:43], v53 offset:6208
	ds_load_b64 v[44:45], v54 offset:7776
	s_wait_dscnt 0x0
	v_dual_mul_f32 v3, v45, v43 :: v_dual_mul_f32 v43, v44, v43
	s_delay_alu instid0(VALU_DEP_1) | instskip(NEXT) | instid1(VALU_DEP_1)
	v_fmac_f32_e32 v43, v45, v42
	v_dual_fma_f32 v3, v44, v42, -v3 :: v_dual_add_f32 v43, 0, v43
	s_delay_alu instid0(VALU_DEP_1)
	v_add_f32_e32 v42, 0, v3
	s_and_saveexec_b32 s8, s13
	s_cbranch_execnz .LBB145_1040
; %bb.802:                              ;   in Loop: Header=BB145_3 Depth=1
	s_or_b32 exec_lo, exec_lo, s8
	s_and_saveexec_b32 s8, s14
	s_cbranch_execnz .LBB145_1041
.LBB145_803:                            ;   in Loop: Header=BB145_3 Depth=1
	s_or_b32 exec_lo, exec_lo, s8
	s_and_saveexec_b32 s8, s1
	s_cbranch_execz .LBB145_805
.LBB145_804:                            ;   in Loop: Header=BB145_3 Depth=1
	ds_load_b64 v[44:45], v50 offset:7744
	ds_load_b64 v[46:47], v7 offset:7800
	s_wait_dscnt 0x0
	v_pk_mul_f32 v[84:85], v[46:47], v[44:45] op_sel:[1,1] op_sel_hi:[0,1]
	s_delay_alu instid0(VALU_DEP_1) | instskip(SKIP_1) | instid1(VALU_DEP_2)
	v_pk_fma_f32 v[86:87], v[46:47], v[44:45], v[84:85] op_sel_hi:[1,0,1]
	v_pk_fma_f32 v[44:45], v[46:47], v[44:45], v[84:85] neg_lo:[0,0,1] neg_hi:[0,0,1]
	v_mov_b32_e32 v45, v87
	s_delay_alu instid0(VALU_DEP_1)
	v_pk_add_f32 v[42:43], v[42:43], v[44:45]
.LBB145_805:                            ;   in Loop: Header=BB145_3 Depth=1
	s_or_b32 exec_lo, exec_lo, s8
.LBB145_806:                            ;   in Loop: Header=BB145_3 Depth=1
	s_delay_alu instid0(SALU_CYCLE_1)
	s_or_b32 exec_lo, exec_lo, s7
	s_and_saveexec_b32 s7, vcc_hi
; %bb.807:                              ;   in Loop: Header=BB145_3 Depth=1
	s_delay_alu instid0(VALU_DEP_1)
	v_pk_add_f32 v[44:45], v[42:43], 0 neg_lo:[1,1] neg_hi:[1,1]
	ds_store_b64 v52, v[44:45]
; %bb.808:                              ;   in Loop: Header=BB145_3 Depth=1
	s_or_b32 exec_lo, exec_lo, s7
	s_wait_loadcnt_dscnt 0x0
	s_barrier_signal -1
	s_barrier_wait -1
	s_and_saveexec_b32 s7, s43
	s_cbranch_execz .LBB145_810
; %bb.809:                              ;   in Loop: Header=BB145_3 Depth=1
	ds_load_b64 v[44:45], v53 offset:5696
	ds_load_b64 v[46:47], v52
	s_wait_dscnt 0x0
	v_pk_mul_f32 v[84:85], v[46:47], v[44:45] op_sel:[1,1] op_sel_hi:[0,1]
	s_delay_alu instid0(VALU_DEP_1) | instskip(SKIP_1) | instid1(VALU_DEP_2)
	v_pk_fma_f32 v[86:87], v[46:47], v[44:45], v[84:85] op_sel_hi:[1,0,1]
	v_pk_fma_f32 v[44:45], v[46:47], v[44:45], v[84:85] neg_lo:[0,0,1] neg_hi:[0,0,1]
	v_mov_b32_e32 v45, v87
	s_delay_alu instid0(VALU_DEP_1)
	v_pk_add_f32 v[42:43], v[42:43], v[44:45] neg_lo:[0,1] neg_hi:[0,1]
.LBB145_810:                            ;   in Loop: Header=BB145_3 Depth=1
	s_or_b32 exec_lo, exec_lo, s7
	s_barrier_signal -1
	s_barrier_wait -1
	s_and_saveexec_b32 s7, s44
; %bb.811:                              ;   in Loop: Header=BB145_3 Depth=1
	v_pk_add_f32 v[44:45], v[42:43], 0 neg_lo:[1,1] neg_hi:[1,1]
	ds_store_b64 v52, v[44:45]
; %bb.812:                              ;   in Loop: Header=BB145_3 Depth=1
	s_or_b32 exec_lo, exec_lo, s7
	s_wait_dscnt 0x0
	s_barrier_signal -1
	s_barrier_wait -1
	s_and_saveexec_b32 s7, s45
	s_cbranch_execz .LBB145_814
; %bb.813:                              ;   in Loop: Header=BB145_3 Depth=1
	ds_load_b64 v[44:45], v53 offset:5184
	ds_load_b64 v[46:47], v52
	s_wait_dscnt 0x0
	v_pk_mul_f32 v[84:85], v[46:47], v[44:45] op_sel:[1,1] op_sel_hi:[0,1]
	s_delay_alu instid0(VALU_DEP_1) | instskip(SKIP_1) | instid1(VALU_DEP_2)
	v_pk_fma_f32 v[86:87], v[46:47], v[44:45], v[84:85] op_sel_hi:[1,0,1]
	v_pk_fma_f32 v[44:45], v[46:47], v[44:45], v[84:85] neg_lo:[0,0,1] neg_hi:[0,0,1]
	v_mov_b32_e32 v45, v87
	s_delay_alu instid0(VALU_DEP_1)
	v_pk_add_f32 v[42:43], v[42:43], v[44:45] neg_lo:[0,1] neg_hi:[0,1]
.LBB145_814:                            ;   in Loop: Header=BB145_3 Depth=1
	s_or_b32 exec_lo, exec_lo, s7
	s_barrier_signal -1
	s_barrier_wait -1
	s_and_saveexec_b32 s7, s46
; %bb.815:                              ;   in Loop: Header=BB145_3 Depth=1
	v_pk_add_f32 v[44:45], v[42:43], 0 neg_lo:[1,1] neg_hi:[1,1]
	ds_store_b64 v52, v[44:45]
; %bb.816:                              ;   in Loop: Header=BB145_3 Depth=1
	s_or_b32 exec_lo, exec_lo, s7
	s_wait_dscnt 0x0
	;; [unrolled: 26-line block ×3, first 2 shown]
	s_barrier_signal -1
	s_barrier_wait -1
	s_barrier_signal -1
	s_barrier_wait -1
	s_and_saveexec_b32 s7, s2
; %bb.821:                              ;   in Loop: Header=BB145_3 Depth=1
	ds_store_b64 v55, v[42:43] offset:7744
; %bb.822:                              ;   in Loop: Header=BB145_3 Depth=1
	s_or_b32 exec_lo, exec_lo, s7
	s_wait_dscnt 0x0
	s_barrier_signal -1
	s_barrier_wait -1
	s_barrier_signal -1
	s_barrier_wait -1
	s_and_saveexec_b32 s7, s11
; %bb.823:                              ;   in Loop: Header=BB145_3 Depth=1
	v_add_nc_u32_e64 v3, 0x1000, 0
	ds_store_2addr_b64 v3, v[34:35], v[34:35] offset0:138 offset1:203
; %bb.824:                              ;   in Loop: Header=BB145_3 Depth=1
	s_or_b32 exec_lo, exec_lo, s7
	v_dual_mov_b32 v42, 0 :: v_dual_mov_b32 v43, 0
	s_wait_dscnt 0x0
	s_barrier_signal -1
	s_barrier_wait -1
	global_wb scope:SCOPE_DEV
	s_wait_storecnt 0x0
	global_inv scope:SCOPE_DEV
	s_and_saveexec_b32 s7, s1
	s_cbranch_execz .LBB145_828
; %bb.825:                              ;   in Loop: Header=BB145_3 Depth=1
	ds_load_b64 v[42:43], v48 offset:5184
	ds_load_b64 v[44:45], v49 offset:5712
	s_wait_dscnt 0x0
	v_pk_mul_f32 v[46:47], v[44:45], v[42:43] op_sel:[1,1] op_sel_hi:[0,1]
	s_delay_alu instid0(VALU_DEP_1) | instskip(SKIP_1) | instid1(VALU_DEP_2)
	v_pk_fma_f32 v[84:85], v[44:45], v[42:43], v[46:47] op_sel_hi:[1,0,1]
	v_pk_fma_f32 v[42:43], v[44:45], v[42:43], v[46:47] neg_lo:[0,0,1] neg_hi:[0,0,1]
	v_mov_b32_e32 v43, v85
	s_delay_alu instid0(VALU_DEP_1)
	v_pk_add_f32 v[42:43], v[42:43], 0 op_sel_hi:[1,0]
	s_and_saveexec_b32 s8, s12
	s_cbranch_execz .LBB145_827
; %bb.826:                              ;   in Loop: Header=BB145_3 Depth=1
	ds_load_b64 v[44:45], v50 offset:5696
	ds_load_b64 v[46:47], v7 offset:5720
	s_wait_dscnt 0x0
	v_pk_mul_f32 v[84:85], v[46:47], v[44:45] op_sel:[1,1] op_sel_hi:[0,1]
	s_delay_alu instid0(VALU_DEP_1) | instskip(SKIP_1) | instid1(VALU_DEP_2)
	v_pk_fma_f32 v[86:87], v[46:47], v[44:45], v[84:85] op_sel_hi:[1,0,1]
	v_pk_fma_f32 v[44:45], v[46:47], v[44:45], v[84:85] neg_lo:[0,0,1] neg_hi:[0,0,1]
	v_mov_b32_e32 v45, v87
	s_delay_alu instid0(VALU_DEP_1)
	v_pk_add_f32 v[42:43], v[42:43], v[44:45]
.LBB145_827:                            ;   in Loop: Header=BB145_3 Depth=1
	s_or_b32 exec_lo, exec_lo, s8
.LBB145_828:                            ;   in Loop: Header=BB145_3 Depth=1
	s_delay_alu instid0(SALU_CYCLE_1)
	s_or_b32 exec_lo, exec_lo, s7
	s_and_saveexec_b32 s7, s103
; %bb.829:                              ;   in Loop: Header=BB145_3 Depth=1
	s_delay_alu instid0(VALU_DEP_1)
	v_pk_add_f32 v[44:45], v[42:43], 0 neg_lo:[1,1] neg_hi:[1,1]
	ds_store_b64 v5, v[44:45]
; %bb.830:                              ;   in Loop: Header=BB145_3 Depth=1
	s_or_b32 exec_lo, exec_lo, s7
	s_wait_loadcnt_dscnt 0x0
	s_barrier_signal -1
	s_barrier_wait -1
	s_and_saveexec_b32 s7, s104
	s_cbranch_execz .LBB145_832
; %bb.831:                              ;   in Loop: Header=BB145_3 Depth=1
	ds_load_b64 v[44:45], v7 offset:4672
	ds_load_b64 v[46:47], v5
	s_wait_dscnt 0x0
	v_pk_mul_f32 v[84:85], v[46:47], v[44:45] op_sel_hi:[1,0]
	s_delay_alu instid0(VALU_DEP_1) | instskip(SKIP_1) | instid1(VALU_DEP_2)
	v_pk_fma_f32 v[86:87], v[46:47], v[44:45], v[84:85] op_sel:[1,1,0] op_sel_hi:[0,1,1]
	v_pk_fma_f32 v[44:45], v[46:47], v[44:45], v[84:85] op_sel:[1,1,0] op_sel_hi:[0,1,1] neg_lo:[0,0,1] neg_hi:[0,0,1]
	v_pk_add_f32 v[46:47], v[42:43], v[86:87] neg_lo:[0,1] neg_hi:[0,1]
	s_delay_alu instid0(VALU_DEP_2) | instskip(NEXT) | instid1(VALU_DEP_2)
	v_pk_add_f32 v[42:43], v[42:43], v[44:45]
	v_mov_b32_e32 v43, v47
.LBB145_832:                            ;   in Loop: Header=BB145_3 Depth=1
	s_or_b32 exec_lo, exec_lo, s7
	s_barrier_signal -1
	s_barrier_wait -1
	s_and_saveexec_b32 s7, s104
; %bb.833:                              ;   in Loop: Header=BB145_3 Depth=1
	v_pk_add_f32 v[44:45], v[42:43], 0 neg_lo:[1,1] neg_hi:[1,1]
	ds_store_b64 v5, v[44:45]
; %bb.834:                              ;   in Loop: Header=BB145_3 Depth=1
	s_or_b32 exec_lo, exec_lo, s7
	s_wait_dscnt 0x0
	s_barrier_signal -1
	s_barrier_wait -1
	s_barrier_signal -1
	s_barrier_wait -1
	s_and_saveexec_b32 s7, s1
; %bb.835:                              ;   in Loop: Header=BB145_3 Depth=1
	ds_store_b64 v51, v[42:43] offset:5696
; %bb.836:                              ;   in Loop: Header=BB145_3 Depth=1
	s_or_b32 exec_lo, exec_lo, s7
	s_wait_dscnt 0x0
	s_barrier_signal -1
	s_barrier_wait -1
	s_barrier_signal -1
	s_barrier_wait -1
	s_and_saveexec_b32 s7, s11
; %bb.837:                              ;   in Loop: Header=BB145_3 Depth=1
	v_add_nc_u32_e64 v3, 0x1000, 0
	ds_store_2addr_b64 v3, v[34:35], v[34:35] offset0:8 offset1:73
; %bb.838:                              ;   in Loop: Header=BB145_3 Depth=1
	s_or_b32 exec_lo, exec_lo, s7
	v_mov_b64_e32 v[42:43], 0
	s_wait_dscnt 0x0
	s_barrier_signal -1
	s_barrier_wait -1
	global_wb scope:SCOPE_DEV
	s_wait_storecnt 0x0
	global_inv scope:SCOPE_DEV
	s_and_saveexec_b32 s7, s3
	s_cbranch_execz .LBB145_848
; %bb.839:                              ;   in Loop: Header=BB145_3 Depth=1
	ds_load_b64 v[42:43], v57 offset:4096
	ds_load_b64 v[44:45], v58 offset:7744
	s_wait_dscnt 0x0
	v_dual_mul_f32 v3, v45, v43 :: v_dual_mul_f32 v43, v44, v43
	s_delay_alu instid0(VALU_DEP_1) | instskip(NEXT) | instid1(VALU_DEP_1)
	v_fmac_f32_e32 v43, v45, v42
	v_dual_fma_f32 v3, v44, v42, -v3 :: v_dual_add_f32 v43, 0, v43
	s_delay_alu instid0(VALU_DEP_1)
	v_add_f32_e32 v42, 0, v3
	s_and_saveexec_b32 s8, s15
	s_cbranch_execnz .LBB145_1042
; %bb.840:                              ;   in Loop: Header=BB145_3 Depth=1
	s_or_b32 exec_lo, exec_lo, s8
	s_and_saveexec_b32 s8, s16
	s_cbranch_execnz .LBB145_1043
.LBB145_841:                            ;   in Loop: Header=BB145_3 Depth=1
	s_or_b32 exec_lo, exec_lo, s8
	s_and_saveexec_b32 s8, s17
	s_cbranch_execnz .LBB145_1044
.LBB145_842:                            ;   in Loop: Header=BB145_3 Depth=1
	s_or_b32 exec_lo, exec_lo, s8
	s_and_saveexec_b32 s8, s18
	s_cbranch_execnz .LBB145_1045
.LBB145_843:                            ;   in Loop: Header=BB145_3 Depth=1
	s_or_b32 exec_lo, exec_lo, s8
	s_and_saveexec_b32 s8, s19
	s_cbranch_execnz .LBB145_1046
.LBB145_844:                            ;   in Loop: Header=BB145_3 Depth=1
	s_or_b32 exec_lo, exec_lo, s8
	s_and_saveexec_b32 s8, s2
	s_cbranch_execnz .LBB145_1047
.LBB145_845:                            ;   in Loop: Header=BB145_3 Depth=1
	s_or_b32 exec_lo, exec_lo, s8
	s_and_saveexec_b32 s8, s14
	s_cbranch_execz .LBB145_847
.LBB145_846:                            ;   in Loop: Header=BB145_3 Depth=1
	ds_load_b64 v[44:45], v50 offset:7680
	ds_load_b64 v[46:47], v7 offset:7800
	s_wait_dscnt 0x0
	v_pk_mul_f32 v[84:85], v[46:47], v[44:45] op_sel:[1,1] op_sel_hi:[0,1]
	s_delay_alu instid0(VALU_DEP_1) | instskip(SKIP_1) | instid1(VALU_DEP_2)
	v_pk_fma_f32 v[86:87], v[46:47], v[44:45], v[84:85] op_sel_hi:[1,0,1]
	v_pk_fma_f32 v[44:45], v[46:47], v[44:45], v[84:85] neg_lo:[0,0,1] neg_hi:[0,0,1]
	v_mov_b32_e32 v45, v87
	s_delay_alu instid0(VALU_DEP_1)
	v_pk_add_f32 v[42:43], v[42:43], v[44:45]
.LBB145_847:                            ;   in Loop: Header=BB145_3 Depth=1
	s_or_b32 exec_lo, exec_lo, s8
.LBB145_848:                            ;   in Loop: Header=BB145_3 Depth=1
	s_delay_alu instid0(SALU_CYCLE_1)
	s_or_b32 exec_lo, exec_lo, s7
	s_and_saveexec_b32 s7, s48
; %bb.849:                              ;   in Loop: Header=BB145_3 Depth=1
	s_delay_alu instid0(VALU_DEP_1)
	v_pk_add_f32 v[44:45], v[42:43], 0 neg_lo:[1,1] neg_hi:[1,1]
	ds_store_b64 v56, v[44:45]
; %bb.850:                              ;   in Loop: Header=BB145_3 Depth=1
	s_or_b32 exec_lo, exec_lo, s7
	s_wait_loadcnt_dscnt 0x0
	s_barrier_signal -1
	s_barrier_wait -1
	s_and_saveexec_b32 s7, s49
	s_cbranch_execz .LBB145_852
; %bb.851:                              ;   in Loop: Header=BB145_3 Depth=1
	ds_load_b64 v[44:45], v57 offset:3584
	ds_load_b64 v[46:47], v56
	s_wait_dscnt 0x0
	v_pk_mul_f32 v[84:85], v[46:47], v[44:45] op_sel:[1,1] op_sel_hi:[0,1]
	s_delay_alu instid0(VALU_DEP_1) | instskip(SKIP_1) | instid1(VALU_DEP_2)
	v_pk_fma_f32 v[86:87], v[46:47], v[44:45], v[84:85] op_sel_hi:[1,0,1]
	v_pk_fma_f32 v[44:45], v[46:47], v[44:45], v[84:85] neg_lo:[0,0,1] neg_hi:[0,0,1]
	v_mov_b32_e32 v45, v87
	s_delay_alu instid0(VALU_DEP_1)
	v_pk_add_f32 v[42:43], v[42:43], v[44:45] neg_lo:[0,1] neg_hi:[0,1]
.LBB145_852:                            ;   in Loop: Header=BB145_3 Depth=1
	s_or_b32 exec_lo, exec_lo, s7
	s_barrier_signal -1
	s_barrier_wait -1
	s_and_saveexec_b32 s7, s50
; %bb.853:                              ;   in Loop: Header=BB145_3 Depth=1
	v_pk_add_f32 v[44:45], v[42:43], 0 neg_lo:[1,1] neg_hi:[1,1]
	ds_store_b64 v56, v[44:45]
; %bb.854:                              ;   in Loop: Header=BB145_3 Depth=1
	s_or_b32 exec_lo, exec_lo, s7
	s_wait_dscnt 0x0
	s_barrier_signal -1
	s_barrier_wait -1
	s_and_saveexec_b32 s7, s51
	s_cbranch_execz .LBB145_856
; %bb.855:                              ;   in Loop: Header=BB145_3 Depth=1
	ds_load_b64 v[44:45], v57 offset:3072
	ds_load_b64 v[46:47], v56
	s_wait_dscnt 0x0
	v_dual_mul_f32 v3, v47, v45 :: v_dual_mul_f32 v45, v46, v45
	s_delay_alu instid0(VALU_DEP_1) | instskip(NEXT) | instid1(VALU_DEP_1)
	v_dual_fma_f32 v3, v46, v44, -v3 :: v_dual_fmac_f32 v45, v47, v44
	v_dual_sub_f32 v42, v42, v3 :: v_dual_sub_f32 v43, v43, v45
.LBB145_856:                            ;   in Loop: Header=BB145_3 Depth=1
	s_or_b32 exec_lo, exec_lo, s7
	s_barrier_signal -1
	s_barrier_wait -1
	s_and_saveexec_b32 s7, s52
; %bb.857:                              ;   in Loop: Header=BB145_3 Depth=1
	v_pk_add_f32 v[44:45], v[42:43], 0 neg_lo:[1,1] neg_hi:[1,1]
	ds_store_b64 v56, v[44:45]
; %bb.858:                              ;   in Loop: Header=BB145_3 Depth=1
	s_or_b32 exec_lo, exec_lo, s7
	s_wait_dscnt 0x0
	s_barrier_signal -1
	s_barrier_wait -1
	s_and_saveexec_b32 s7, s53
	s_cbranch_execz .LBB145_860
; %bb.859:                              ;   in Loop: Header=BB145_3 Depth=1
	ds_load_b64 v[44:45], v57 offset:2560
	ds_load_b64 v[46:47], v56
	s_wait_dscnt 0x0
	v_dual_mul_f32 v3, v47, v45 :: v_dual_mul_f32 v85, v46, v45
	s_delay_alu instid0(VALU_DEP_1) | instskip(NEXT) | instid1(VALU_DEP_1)
	v_dual_fma_f32 v84, v46, v44, -v3 :: v_dual_fmac_f32 v85, v47, v44
	v_pk_add_f32 v[42:43], v[42:43], v[84:85] neg_lo:[0,1] neg_hi:[0,1]
.LBB145_860:                            ;   in Loop: Header=BB145_3 Depth=1
	s_or_b32 exec_lo, exec_lo, s7
	s_barrier_signal -1
	s_barrier_wait -1
	s_and_saveexec_b32 s7, s54
; %bb.861:                              ;   in Loop: Header=BB145_3 Depth=1
	v_pk_add_f32 v[44:45], v[42:43], 0 neg_lo:[1,1] neg_hi:[1,1]
	ds_store_b64 v56, v[44:45]
; %bb.862:                              ;   in Loop: Header=BB145_3 Depth=1
	s_or_b32 exec_lo, exec_lo, s7
	s_wait_dscnt 0x0
	s_barrier_signal -1
	s_barrier_wait -1
	s_and_saveexec_b32 s7, s55
	s_cbranch_execz .LBB145_864
; %bb.863:                              ;   in Loop: Header=BB145_3 Depth=1
	ds_load_b64 v[44:45], v57 offset:2048
	ds_load_b64 v[46:47], v56
	s_wait_dscnt 0x0
	v_pk_mul_f32 v[84:85], v[46:47], v[44:45] op_sel:[1,1] op_sel_hi:[0,1]
	s_delay_alu instid0(VALU_DEP_1) | instskip(SKIP_1) | instid1(VALU_DEP_2)
	v_pk_fma_f32 v[86:87], v[46:47], v[44:45], v[84:85] op_sel_hi:[1,0,1]
	v_pk_fma_f32 v[44:45], v[46:47], v[44:45], v[84:85] neg_lo:[0,0,1] neg_hi:[0,0,1]
	v_mov_b32_e32 v45, v87
	s_delay_alu instid0(VALU_DEP_1)
	v_pk_add_f32 v[42:43], v[42:43], v[44:45] neg_lo:[0,1] neg_hi:[0,1]
.LBB145_864:                            ;   in Loop: Header=BB145_3 Depth=1
	s_or_b32 exec_lo, exec_lo, s7
	s_barrier_signal -1
	s_barrier_wait -1
	s_and_saveexec_b32 s7, s56
; %bb.865:                              ;   in Loop: Header=BB145_3 Depth=1
	v_pk_add_f32 v[44:45], v[42:43], 0 neg_lo:[1,1] neg_hi:[1,1]
	ds_store_b64 v56, v[44:45]
; %bb.866:                              ;   in Loop: Header=BB145_3 Depth=1
	s_or_b32 exec_lo, exec_lo, s7
	s_wait_dscnt 0x0
	s_barrier_signal -1
	s_barrier_wait -1
	s_and_saveexec_b32 s7, s57
	s_cbranch_execz .LBB145_868
; %bb.867:                              ;   in Loop: Header=BB145_3 Depth=1
	ds_load_b64 v[44:45], v57 offset:1536
	ds_load_b64 v[46:47], v56
	s_wait_dscnt 0x0
	v_pk_mul_f32 v[84:85], v[46:47], v[44:45] op_sel:[1,1] op_sel_hi:[0,1]
	s_delay_alu instid0(VALU_DEP_1) | instskip(SKIP_1) | instid1(VALU_DEP_2)
	v_pk_fma_f32 v[86:87], v[46:47], v[44:45], v[84:85] op_sel_hi:[1,0,1]
	v_pk_fma_f32 v[44:45], v[46:47], v[44:45], v[84:85] neg_lo:[0,0,1] neg_hi:[0,0,1]
	v_mov_b32_e32 v45, v87
	s_delay_alu instid0(VALU_DEP_1)
	v_pk_add_f32 v[42:43], v[42:43], v[44:45] neg_lo:[0,1] neg_hi:[0,1]
.LBB145_868:                            ;   in Loop: Header=BB145_3 Depth=1
	s_or_b32 exec_lo, exec_lo, s7
	s_barrier_signal -1
	s_barrier_wait -1
	s_and_saveexec_b32 s7, s58
; %bb.869:                              ;   in Loop: Header=BB145_3 Depth=1
	v_pk_add_f32 v[44:45], v[42:43], 0 neg_lo:[1,1] neg_hi:[1,1]
	ds_store_b64 v56, v[44:45]
; %bb.870:                              ;   in Loop: Header=BB145_3 Depth=1
	s_or_b32 exec_lo, exec_lo, s7
	s_wait_dscnt 0x0
	s_barrier_signal -1
	s_barrier_wait -1
	s_and_saveexec_b32 s7, s59
	s_cbranch_execz .LBB145_872
; %bb.871:                              ;   in Loop: Header=BB145_3 Depth=1
	ds_load_b64 v[44:45], v57 offset:1024
	ds_load_b64 v[46:47], v56
	s_wait_dscnt 0x0
	v_pk_mul_f32 v[84:85], v[46:47], v[44:45] op_sel:[1,1] op_sel_hi:[0,1]
	s_delay_alu instid0(VALU_DEP_1) | instskip(SKIP_1) | instid1(VALU_DEP_2)
	v_pk_fma_f32 v[86:87], v[46:47], v[44:45], v[84:85] op_sel_hi:[1,0,1]
	v_pk_fma_f32 v[44:45], v[46:47], v[44:45], v[84:85] neg_lo:[0,0,1] neg_hi:[0,0,1]
	v_mov_b32_e32 v45, v87
	s_delay_alu instid0(VALU_DEP_1)
	v_pk_add_f32 v[42:43], v[42:43], v[44:45] neg_lo:[0,1] neg_hi:[0,1]
.LBB145_872:                            ;   in Loop: Header=BB145_3 Depth=1
	s_or_b32 exec_lo, exec_lo, s7
	s_barrier_signal -1
	s_barrier_wait -1
	s_and_saveexec_b32 s7, s60
; %bb.873:                              ;   in Loop: Header=BB145_3 Depth=1
	v_pk_add_f32 v[44:45], v[42:43], 0 neg_lo:[1,1] neg_hi:[1,1]
	ds_store_b64 v56, v[44:45]
; %bb.874:                              ;   in Loop: Header=BB145_3 Depth=1
	s_or_b32 exec_lo, exec_lo, s7
	s_wait_dscnt 0x0
	s_barrier_signal -1
	s_barrier_wait -1
	s_and_saveexec_b32 s7, s61
	s_cbranch_execz .LBB145_876
; %bb.875:                              ;   in Loop: Header=BB145_3 Depth=1
	ds_load_b64 v[44:45], v7 offset:512
	ds_load_b64 v[46:47], v56
	s_wait_dscnt 0x0
	v_pk_mul_f32 v[84:85], v[46:47], v[44:45] op_sel:[1,1] op_sel_hi:[0,1]
	s_delay_alu instid0(VALU_DEP_1) | instskip(SKIP_1) | instid1(VALU_DEP_2)
	v_pk_fma_f32 v[86:87], v[46:47], v[44:45], v[84:85] op_sel_hi:[1,0,1]
	v_pk_fma_f32 v[44:45], v[46:47], v[44:45], v[84:85] neg_lo:[0,0,1] neg_hi:[0,0,1]
	v_mov_b32_e32 v45, v87
	s_delay_alu instid0(VALU_DEP_1)
	v_pk_add_f32 v[42:43], v[42:43], v[44:45] neg_lo:[0,1] neg_hi:[0,1]
.LBB145_876:                            ;   in Loop: Header=BB145_3 Depth=1
	s_or_b32 exec_lo, exec_lo, s7
	s_barrier_signal -1
	s_barrier_wait -1
	s_and_saveexec_b32 s7, s61
; %bb.877:                              ;   in Loop: Header=BB145_3 Depth=1
	v_pk_add_f32 v[44:45], v[42:43], 0 neg_lo:[1,1] neg_hi:[1,1]
	ds_store_b64 v56, v[44:45]
; %bb.878:                              ;   in Loop: Header=BB145_3 Depth=1
	s_or_b32 exec_lo, exec_lo, s7
	s_wait_dscnt 0x0
	s_barrier_signal -1
	s_barrier_wait -1
	s_barrier_signal -1
	s_barrier_wait -1
	s_and_saveexec_b32 s7, s3
; %bb.879:                              ;   in Loop: Header=BB145_3 Depth=1
	ds_store_b64 v59, v[42:43] offset:7680
; %bb.880:                              ;   in Loop: Header=BB145_3 Depth=1
	s_or_b32 exec_lo, exec_lo, s7
	s_wait_dscnt 0x0
	s_barrier_signal -1
	s_barrier_wait -1
	s_barrier_signal -1
	s_barrier_wait -1
	s_and_saveexec_b32 s7, s11
; %bb.881:                              ;   in Loop: Header=BB145_3 Depth=1
	v_add_nc_u32_e64 v3, 0x800, 0
	ds_store_2addr_b64 v3, v[34:35], v[34:35] offset0:134 offset1:199
; %bb.882:                              ;   in Loop: Header=BB145_3 Depth=1
	s_or_b32 exec_lo, exec_lo, s7
	v_dual_mov_b32 v42, 0 :: v_dual_mov_b32 v43, 0
	s_wait_dscnt 0x0
	s_barrier_signal -1
	s_barrier_wait -1
	global_wb scope:SCOPE_DEV
	s_wait_storecnt 0x0
	global_inv scope:SCOPE_DEV
	s_and_saveexec_b32 s7, s1
	s_cbranch_execz .LBB145_886
; %bb.883:                              ;   in Loop: Header=BB145_3 Depth=1
	ds_load_b64 v[42:43], v48 offset:3104
	ds_load_b64 v[44:45], v49 offset:3632
	s_wait_dscnt 0x0
	v_pk_mul_f32 v[46:47], v[44:45], v[42:43] op_sel:[1,1] op_sel_hi:[0,1]
	s_delay_alu instid0(VALU_DEP_1) | instskip(SKIP_1) | instid1(VALU_DEP_2)
	v_pk_fma_f32 v[84:85], v[44:45], v[42:43], v[46:47] op_sel_hi:[1,0,1]
	v_pk_fma_f32 v[42:43], v[44:45], v[42:43], v[46:47] neg_lo:[0,0,1] neg_hi:[0,0,1]
	v_mov_b32_e32 v43, v85
	s_delay_alu instid0(VALU_DEP_1)
	v_pk_add_f32 v[42:43], v[42:43], 0 op_sel_hi:[1,0]
	s_and_saveexec_b32 s8, s12
	s_cbranch_execz .LBB145_885
; %bb.884:                              ;   in Loop: Header=BB145_3 Depth=1
	ds_load_b64 v[44:45], v50 offset:3616
	ds_load_b64 v[46:47], v7 offset:3640
	s_wait_dscnt 0x0
	v_pk_mul_f32 v[84:85], v[46:47], v[44:45] op_sel:[1,1] op_sel_hi:[0,1]
	s_delay_alu instid0(VALU_DEP_1) | instskip(SKIP_1) | instid1(VALU_DEP_2)
	v_pk_fma_f32 v[86:87], v[46:47], v[44:45], v[84:85] op_sel_hi:[1,0,1]
	v_pk_fma_f32 v[44:45], v[46:47], v[44:45], v[84:85] neg_lo:[0,0,1] neg_hi:[0,0,1]
	v_mov_b32_e32 v45, v87
	s_delay_alu instid0(VALU_DEP_1)
	v_pk_add_f32 v[42:43], v[42:43], v[44:45]
.LBB145_885:                            ;   in Loop: Header=BB145_3 Depth=1
	s_or_b32 exec_lo, exec_lo, s8
.LBB145_886:                            ;   in Loop: Header=BB145_3 Depth=1
	s_delay_alu instid0(SALU_CYCLE_1)
	s_or_b32 exec_lo, exec_lo, s7
	s_and_saveexec_b32 s7, s103
; %bb.887:                              ;   in Loop: Header=BB145_3 Depth=1
	s_delay_alu instid0(VALU_DEP_1)
	v_pk_add_f32 v[44:45], v[42:43], 0 neg_lo:[1,1] neg_hi:[1,1]
	ds_store_b64 v5, v[44:45]
; %bb.888:                              ;   in Loop: Header=BB145_3 Depth=1
	s_or_b32 exec_lo, exec_lo, s7
	s_wait_loadcnt_dscnt 0x0
	s_barrier_signal -1
	s_barrier_wait -1
	s_and_saveexec_b32 s7, s104
	s_cbranch_execz .LBB145_890
; %bb.889:                              ;   in Loop: Header=BB145_3 Depth=1
	ds_load_b64 v[44:45], v7 offset:2592
	ds_load_b64 v[46:47], v5
	s_wait_dscnt 0x0
	v_pk_mul_f32 v[84:85], v[46:47], v[44:45] op_sel_hi:[1,0]
	s_delay_alu instid0(VALU_DEP_1) | instskip(SKIP_1) | instid1(VALU_DEP_2)
	v_pk_fma_f32 v[86:87], v[46:47], v[44:45], v[84:85] op_sel:[1,1,0] op_sel_hi:[0,1,1]
	v_pk_fma_f32 v[44:45], v[46:47], v[44:45], v[84:85] op_sel:[1,1,0] op_sel_hi:[0,1,1] neg_lo:[0,0,1] neg_hi:[0,0,1]
	v_pk_add_f32 v[46:47], v[42:43], v[86:87] neg_lo:[0,1] neg_hi:[0,1]
	s_delay_alu instid0(VALU_DEP_2) | instskip(NEXT) | instid1(VALU_DEP_2)
	v_pk_add_f32 v[42:43], v[42:43], v[44:45]
	v_mov_b32_e32 v43, v47
.LBB145_890:                            ;   in Loop: Header=BB145_3 Depth=1
	s_or_b32 exec_lo, exec_lo, s7
	s_barrier_signal -1
	s_barrier_wait -1
	s_and_saveexec_b32 s7, s104
; %bb.891:                              ;   in Loop: Header=BB145_3 Depth=1
	v_pk_add_f32 v[44:45], v[42:43], 0 neg_lo:[1,1] neg_hi:[1,1]
	ds_store_b64 v5, v[44:45]
; %bb.892:                              ;   in Loop: Header=BB145_3 Depth=1
	s_or_b32 exec_lo, exec_lo, s7
	s_wait_dscnt 0x0
	s_barrier_signal -1
	s_barrier_wait -1
	s_barrier_signal -1
	s_barrier_wait -1
	s_and_saveexec_b32 s7, s1
; %bb.893:                              ;   in Loop: Header=BB145_3 Depth=1
	ds_store_b64 v51, v[42:43] offset:3616
; %bb.894:                              ;   in Loop: Header=BB145_3 Depth=1
	s_or_b32 exec_lo, exec_lo, s7
	s_wait_dscnt 0x0
	s_barrier_signal -1
	s_barrier_wait -1
	s_barrier_signal -1
	s_barrier_wait -1
	s_and_saveexec_b32 s7, s11
; %bb.895:                              ;   in Loop: Header=BB145_3 Depth=1
	v_add_nc_u32_e64 v3, 0x800, 0
	ds_store_2addr_b64 v3, v[34:35], v[34:35] offset0:4 offset1:69
; %bb.896:                              ;   in Loop: Header=BB145_3 Depth=1
	s_or_b32 exec_lo, exec_lo, s7
	v_mov_b64_e32 v[42:43], 0
	s_wait_dscnt 0x0
	s_barrier_signal -1
	s_barrier_wait -1
	global_wb scope:SCOPE_DEV
	s_wait_storecnt 0x0
	global_inv scope:SCOPE_DEV
	s_and_saveexec_b32 s7, s2
	s_cbranch_execz .LBB145_902
; %bb.897:                              ;   in Loop: Header=BB145_3 Depth=1
	ds_load_b64 v[42:43], v53 offset:2048
	ds_load_b64 v[44:45], v54 offset:3616
	s_wait_dscnt 0x0
	v_dual_mul_f32 v3, v45, v43 :: v_dual_mul_f32 v43, v44, v43
	s_delay_alu instid0(VALU_DEP_1) | instskip(NEXT) | instid1(VALU_DEP_1)
	v_fmac_f32_e32 v43, v45, v42
	v_dual_fma_f32 v3, v44, v42, -v3 :: v_dual_add_f32 v43, 0, v43
	s_delay_alu instid0(VALU_DEP_1)
	v_add_f32_e32 v42, 0, v3
	s_and_saveexec_b32 s8, s13
	s_cbranch_execnz .LBB145_1048
; %bb.898:                              ;   in Loop: Header=BB145_3 Depth=1
	s_or_b32 exec_lo, exec_lo, s8
	s_and_saveexec_b32 s8, s14
	s_cbranch_execnz .LBB145_1049
.LBB145_899:                            ;   in Loop: Header=BB145_3 Depth=1
	s_or_b32 exec_lo, exec_lo, s8
	s_and_saveexec_b32 s8, s1
	s_cbranch_execz .LBB145_901
.LBB145_900:                            ;   in Loop: Header=BB145_3 Depth=1
	ds_load_b64 v[44:45], v50 offset:3584
	ds_load_b64 v[46:47], v7 offset:3640
	s_wait_dscnt 0x0
	v_pk_mul_f32 v[84:85], v[46:47], v[44:45] op_sel:[1,1] op_sel_hi:[0,1]
	s_delay_alu instid0(VALU_DEP_1) | instskip(SKIP_1) | instid1(VALU_DEP_2)
	v_pk_fma_f32 v[86:87], v[46:47], v[44:45], v[84:85] op_sel_hi:[1,0,1]
	v_pk_fma_f32 v[44:45], v[46:47], v[44:45], v[84:85] neg_lo:[0,0,1] neg_hi:[0,0,1]
	v_mov_b32_e32 v45, v87
	s_delay_alu instid0(VALU_DEP_1)
	v_pk_add_f32 v[42:43], v[42:43], v[44:45]
.LBB145_901:                            ;   in Loop: Header=BB145_3 Depth=1
	s_or_b32 exec_lo, exec_lo, s8
.LBB145_902:                            ;   in Loop: Header=BB145_3 Depth=1
	s_delay_alu instid0(SALU_CYCLE_1)
	s_or_b32 exec_lo, exec_lo, s7
	s_and_saveexec_b32 s7, vcc_hi
; %bb.903:                              ;   in Loop: Header=BB145_3 Depth=1
	s_delay_alu instid0(VALU_DEP_1)
	v_pk_add_f32 v[44:45], v[42:43], 0 neg_lo:[1,1] neg_hi:[1,1]
	ds_store_b64 v52, v[44:45]
; %bb.904:                              ;   in Loop: Header=BB145_3 Depth=1
	s_or_b32 exec_lo, exec_lo, s7
	s_wait_loadcnt_dscnt 0x0
	s_barrier_signal -1
	s_barrier_wait -1
	s_and_saveexec_b32 s7, s43
	s_cbranch_execz .LBB145_906
; %bb.905:                              ;   in Loop: Header=BB145_3 Depth=1
	ds_load_b64 v[44:45], v53 offset:1536
	ds_load_b64 v[46:47], v52
	s_wait_dscnt 0x0
	v_pk_mul_f32 v[84:85], v[46:47], v[44:45] op_sel:[1,1] op_sel_hi:[0,1]
	s_delay_alu instid0(VALU_DEP_1) | instskip(SKIP_1) | instid1(VALU_DEP_2)
	v_pk_fma_f32 v[86:87], v[46:47], v[44:45], v[84:85] op_sel_hi:[1,0,1]
	v_pk_fma_f32 v[44:45], v[46:47], v[44:45], v[84:85] neg_lo:[0,0,1] neg_hi:[0,0,1]
	v_mov_b32_e32 v45, v87
	s_delay_alu instid0(VALU_DEP_1)
	v_pk_add_f32 v[42:43], v[42:43], v[44:45] neg_lo:[0,1] neg_hi:[0,1]
.LBB145_906:                            ;   in Loop: Header=BB145_3 Depth=1
	s_or_b32 exec_lo, exec_lo, s7
	s_barrier_signal -1
	s_barrier_wait -1
	s_and_saveexec_b32 s7, s44
; %bb.907:                              ;   in Loop: Header=BB145_3 Depth=1
	v_pk_add_f32 v[44:45], v[42:43], 0 neg_lo:[1,1] neg_hi:[1,1]
	ds_store_b64 v52, v[44:45]
; %bb.908:                              ;   in Loop: Header=BB145_3 Depth=1
	s_or_b32 exec_lo, exec_lo, s7
	s_wait_dscnt 0x0
	s_barrier_signal -1
	s_barrier_wait -1
	s_and_saveexec_b32 s7, s45
	s_cbranch_execz .LBB145_910
; %bb.909:                              ;   in Loop: Header=BB145_3 Depth=1
	ds_load_b64 v[44:45], v53 offset:1024
	ds_load_b64 v[46:47], v52
	s_wait_dscnt 0x0
	v_pk_mul_f32 v[84:85], v[46:47], v[44:45] op_sel:[1,1] op_sel_hi:[0,1]
	s_delay_alu instid0(VALU_DEP_1) | instskip(SKIP_1) | instid1(VALU_DEP_2)
	v_pk_fma_f32 v[86:87], v[46:47], v[44:45], v[84:85] op_sel_hi:[1,0,1]
	v_pk_fma_f32 v[44:45], v[46:47], v[44:45], v[84:85] neg_lo:[0,0,1] neg_hi:[0,0,1]
	v_mov_b32_e32 v45, v87
	s_delay_alu instid0(VALU_DEP_1)
	v_pk_add_f32 v[42:43], v[42:43], v[44:45] neg_lo:[0,1] neg_hi:[0,1]
.LBB145_910:                            ;   in Loop: Header=BB145_3 Depth=1
	s_or_b32 exec_lo, exec_lo, s7
	s_barrier_signal -1
	s_barrier_wait -1
	s_and_saveexec_b32 s7, s46
; %bb.911:                              ;   in Loop: Header=BB145_3 Depth=1
	v_pk_add_f32 v[44:45], v[42:43], 0 neg_lo:[1,1] neg_hi:[1,1]
	ds_store_b64 v52, v[44:45]
; %bb.912:                              ;   in Loop: Header=BB145_3 Depth=1
	s_or_b32 exec_lo, exec_lo, s7
	s_wait_dscnt 0x0
	;; [unrolled: 26-line block ×3, first 2 shown]
	s_barrier_signal -1
	s_barrier_wait -1
	s_barrier_signal -1
	s_barrier_wait -1
	s_and_saveexec_b32 s7, s2
; %bb.917:                              ;   in Loop: Header=BB145_3 Depth=1
	ds_store_b64 v55, v[42:43] offset:3584
; %bb.918:                              ;   in Loop: Header=BB145_3 Depth=1
	s_or_b32 exec_lo, exec_lo, s7
	s_wait_dscnt 0x0
	s_barrier_signal -1
	s_barrier_wait -1
	s_barrier_signal -1
	s_barrier_wait -1
	s_and_saveexec_b32 s7, s11
; %bb.919:                              ;   in Loop: Header=BB145_3 Depth=1
	ds_store_2addr_b64 v7, v[34:35], v[34:35] offset0:130 offset1:195
; %bb.920:                              ;   in Loop: Header=BB145_3 Depth=1
	s_or_b32 exec_lo, exec_lo, s7
	v_dual_mov_b32 v42, 0 :: v_dual_mov_b32 v43, 0
	s_wait_dscnt 0x0
	s_barrier_signal -1
	s_barrier_wait -1
	global_wb scope:SCOPE_DEV
	s_wait_storecnt 0x0
	global_inv scope:SCOPE_DEV
	s_and_saveexec_b32 s7, s1
	s_cbranch_execz .LBB145_924
; %bb.921:                              ;   in Loop: Header=BB145_3 Depth=1
	ds_load_b64 v[42:43], v48 offset:1024
	ds_load_b64 v[44:45], v49 offset:1552
	s_wait_dscnt 0x0
	v_pk_mul_f32 v[46:47], v[44:45], v[42:43] op_sel:[1,1] op_sel_hi:[0,1]
	s_delay_alu instid0(VALU_DEP_1) | instskip(SKIP_1) | instid1(VALU_DEP_2)
	v_pk_fma_f32 v[84:85], v[44:45], v[42:43], v[46:47] op_sel_hi:[1,0,1]
	v_pk_fma_f32 v[42:43], v[44:45], v[42:43], v[46:47] neg_lo:[0,0,1] neg_hi:[0,0,1]
	v_mov_b32_e32 v43, v85
	s_delay_alu instid0(VALU_DEP_1)
	v_pk_add_f32 v[42:43], v[42:43], 0 op_sel_hi:[1,0]
	s_and_saveexec_b32 s8, s12
	s_cbranch_execz .LBB145_923
; %bb.922:                              ;   in Loop: Header=BB145_3 Depth=1
	ds_load_b64 v[44:45], v50 offset:1536
	ds_load_b64 v[46:47], v7 offset:1560
	s_wait_dscnt 0x0
	v_pk_mul_f32 v[84:85], v[46:47], v[44:45] op_sel:[1,1] op_sel_hi:[0,1]
	s_delay_alu instid0(VALU_DEP_1) | instskip(SKIP_1) | instid1(VALU_DEP_2)
	v_pk_fma_f32 v[86:87], v[46:47], v[44:45], v[84:85] op_sel_hi:[1,0,1]
	v_pk_fma_f32 v[44:45], v[46:47], v[44:45], v[84:85] neg_lo:[0,0,1] neg_hi:[0,0,1]
	v_mov_b32_e32 v45, v87
	s_delay_alu instid0(VALU_DEP_1)
	v_pk_add_f32 v[42:43], v[42:43], v[44:45]
.LBB145_923:                            ;   in Loop: Header=BB145_3 Depth=1
	s_or_b32 exec_lo, exec_lo, s8
.LBB145_924:                            ;   in Loop: Header=BB145_3 Depth=1
	s_delay_alu instid0(SALU_CYCLE_1)
	s_or_b32 exec_lo, exec_lo, s7
	s_and_saveexec_b32 s7, s103
; %bb.925:                              ;   in Loop: Header=BB145_3 Depth=1
	s_delay_alu instid0(VALU_DEP_1)
	v_pk_add_f32 v[44:45], v[42:43], 0 neg_lo:[1,1] neg_hi:[1,1]
	ds_store_b64 v5, v[44:45]
; %bb.926:                              ;   in Loop: Header=BB145_3 Depth=1
	s_or_b32 exec_lo, exec_lo, s7
	s_wait_loadcnt_dscnt 0x0
	s_barrier_signal -1
	s_barrier_wait -1
	s_and_saveexec_b32 s7, s104
	s_cbranch_execz .LBB145_928
; %bb.927:                              ;   in Loop: Header=BB145_3 Depth=1
	ds_load_b64 v[44:45], v7 offset:512
	ds_load_b64 v[46:47], v5
	s_wait_dscnt 0x0
	v_pk_mul_f32 v[84:85], v[46:47], v[44:45] op_sel_hi:[1,0]
	s_delay_alu instid0(VALU_DEP_1) | instskip(SKIP_1) | instid1(VALU_DEP_2)
	v_pk_fma_f32 v[86:87], v[46:47], v[44:45], v[84:85] op_sel:[1,1,0] op_sel_hi:[0,1,1]
	v_pk_fma_f32 v[44:45], v[46:47], v[44:45], v[84:85] op_sel:[1,1,0] op_sel_hi:[0,1,1] neg_lo:[0,0,1] neg_hi:[0,0,1]
	v_pk_add_f32 v[46:47], v[42:43], v[86:87] neg_lo:[0,1] neg_hi:[0,1]
	s_delay_alu instid0(VALU_DEP_2) | instskip(NEXT) | instid1(VALU_DEP_2)
	v_pk_add_f32 v[42:43], v[42:43], v[44:45]
	v_mov_b32_e32 v43, v47
.LBB145_928:                            ;   in Loop: Header=BB145_3 Depth=1
	s_or_b32 exec_lo, exec_lo, s7
	s_barrier_signal -1
	s_barrier_wait -1
	s_and_saveexec_b32 s7, s104
; %bb.929:                              ;   in Loop: Header=BB145_3 Depth=1
	v_pk_add_f32 v[44:45], v[42:43], 0 neg_lo:[1,1] neg_hi:[1,1]
	ds_store_b64 v5, v[44:45]
; %bb.930:                              ;   in Loop: Header=BB145_3 Depth=1
	s_or_b32 exec_lo, exec_lo, s7
	s_wait_dscnt 0x0
	s_barrier_signal -1
	s_barrier_wait -1
	s_barrier_signal -1
	s_barrier_wait -1
	s_and_saveexec_b32 s7, s1
; %bb.931:                              ;   in Loop: Header=BB145_3 Depth=1
	ds_store_b64 v51, v[42:43] offset:1536
; %bb.932:                              ;   in Loop: Header=BB145_3 Depth=1
	s_or_b32 exec_lo, exec_lo, s7
	s_wait_dscnt 0x0
	s_barrier_signal -1
	s_barrier_wait -1
	s_barrier_signal -1
	s_barrier_wait -1
	s_and_saveexec_b32 s7, s11
; %bb.933:                              ;   in Loop: Header=BB145_3 Depth=1
	ds_store_2addr_b64 v7, v[34:35], v[34:35] offset1:65
; %bb.934:                              ;   in Loop: Header=BB145_3 Depth=1
	s_or_b32 exec_lo, exec_lo, s7
.LBB145_935:                            ;   in Loop: Header=BB145_3 Depth=1
	v_add_nc_u64_e32 v[40:41], s[72:73], v[40:41]
	v_mov_b64_e32 v[42:43], 0
	s_wait_dscnt 0x0
	s_barrier_signal -1
	s_barrier_wait -1
	s_wait_xcnt 0x0
	s_and_saveexec_b32 s7, s25
	s_cbranch_execz .LBB145_937
; %bb.936:                              ;   in Loop: Header=BB145_3 Depth=1
	v_lshl_add_u64 v[42:43], v[26:27], 3, v[40:41]
	flat_load_b64 v[42:43], v[42:43]
	s_wait_loadcnt_dscnt 0x0
	v_pk_mul_f32 v[44:45], v[38:39], v[42:43] op_sel:[1,0] neg_lo:[1,0]
	s_delay_alu instid0(VALU_DEP_1)
	v_pk_fma_f32 v[42:43], v[38:39], v[42:43], v[44:45] op_sel:[0,0,1] op_sel_hi:[0,1,0] neg_lo:[1,0,0] neg_hi:[1,0,0]
.LBB145_937:                            ;   in Loop: Header=BB145_3 Depth=1
	s_or_b32 exec_lo, exec_lo, s7
	s_delay_alu instid0(SALU_CYCLE_1)
	s_and_not1_b32 vcc_lo, exec_lo, s27
	s_cbranch_vccnz .LBB145_956
; %bb.938:                              ;   in Loop: Header=BB145_3 Depth=1
	v_lshl_add_u64 v[36:37], v[8:9], 3, v[36:37]
	v_mov_b32_e32 v3, -1
	s_lshl_b64 s[8:9], s[80:81], 2
	s_mov_b32 s7, 0
	s_add_nc_u64 s[96:97], s[86:87], s[8:9]
	s_branch .LBB145_940
.LBB145_939:                            ;   in Loop: Header=BB145_940 Depth=2
	s_or_b32 exec_lo, exec_lo, s8
	s_add_co_i32 s7, s7, 1
	s_delay_alu instid0(SALU_CYCLE_1)
	s_cmp_eq_u32 s7, s98
	s_cbranch_scc1 .LBB145_956
.LBB145_940:                            ;   Parent Loop BB145_3 Depth=1
                                        ; =>  This Loop Header: Depth=2
                                        ;       Child Loop BB145_942 Depth 3
	v_cmp_gt_i32_e32 vcc_lo, s7, v3
	s_and_b32 s9, s34, vcc_lo
	s_delay_alu instid0(SALU_CYCLE_1)
	s_and_saveexec_b32 s8, s9
	s_cbranch_execz .LBB145_943
; %bb.941:                              ;   in Loop: Header=BB145_940 Depth=2
	global_load_b32 v3, v7, s[96:97]
	s_wait_loadcnt 0x0
	v_cmp_le_i32_e32 vcc_lo, s7, v3
	s_cbranch_vccnz .LBB145_943
.LBB145_942:                            ;   Parent Loop BB145_3 Depth=1
                                        ;     Parent Loop BB145_940 Depth=2
                                        ; =>    This Inner Loop Header: Depth=3
	global_wb scope:SCOPE_DEV
	s_wait_storecnt 0x0
	global_inv scope:SCOPE_DEV
	global_load_b32 v3, v7, s[96:97]
	s_wait_loadcnt 0x0
	v_cmp_gt_i32_e32 vcc_lo, s7, v3
	s_cbranch_vccnz .LBB145_942
.LBB145_943:                            ;   in Loop: Header=BB145_940 Depth=2
	s_or_b32 exec_lo, exec_lo, s8
	s_sub_co_i32 s8, s99, s7
	global_wb scope:SCOPE_DEV
	s_wait_storecnt 0x0
	global_inv scope:SCOPE_DEV
	s_lshl_b32 s66, s8, 6
	s_wait_loadcnt 0x0
	s_barrier_signal -1
	s_barrier_wait -1
	s_and_saveexec_b32 s9, s35
	s_cbranch_execz .LBB145_948
; %bb.944:                              ;   in Loop: Header=BB145_940 Depth=2
	s_ashr_i32 vcc_lo, s66, 31
	s_delay_alu instid0(SALU_CYCLE_1) | instskip(NEXT) | instid1(VALU_DEP_1)
	v_dual_mov_b32 v39, vcc_lo :: v_dual_bitop2_b32 v38, s66, v6 bitop3:0x54
	v_cmp_le_i64_e32 vcc_lo, s[82:83], v[38:39]
	s_and_saveexec_b32 s10, vcc_lo
	s_delay_alu instid0(SALU_CYCLE_1)
	s_xor_b32 vcc_lo, exec_lo, s10
; %bb.945:                              ;   in Loop: Header=BB145_940 Depth=2
	ds_store_b64 v69, v[32:33]
                                        ; implicit-def: $vgpr38_vgpr39
; %bb.946:                              ;   in Loop: Header=BB145_940 Depth=2
	s_and_not1_saveexec_b32 s10, vcc_lo
	s_cbranch_execz .LBB145_948
; %bb.947:                              ;   in Loop: Header=BB145_940 Depth=2
	v_mul_u64_e32 v[38:39], s[74:75], v[38:39]
	s_delay_alu instid0(VALU_DEP_1)
	v_lshl_add_u64 v[38:39], v[38:39], 3, v[40:41]
	flat_load_b64 v[38:39], v[38:39]
	s_wait_loadcnt_dscnt 0x0
	ds_store_b64 v69, v[38:39]
.LBB145_948:                            ;   in Loop: Header=BB145_940 Depth=2
	s_or_b32 exec_lo, exec_lo, s9
	v_add_nc_u32_e32 v38, s66, v2
	s_cmp_eq_u32 s8, s29
	s_wait_dscnt 0x0
	s_cselect_b32 vcc_lo, -1, 0
	s_barrier_signal -1
	v_ashrrev_i32_e32 v39, 31, v38
	v_cmp_gt_i32_e64 s66, s82, v38
	s_barrier_wait -1
	s_delay_alu instid0(VALU_DEP_2) | instskip(SKIP_1) | instid1(VALU_DEP_1)
	v_mul_u64_e32 v[44:45], s[84:85], v[38:39]
	s_and_b32 s9, s0, s66
	v_lshl_add_u64 v[44:45], v[44:45], 3, v[36:37]
	s_and_saveexec_b32 s8, s9
	s_cbranch_execz .LBB145_950
; %bb.949:                              ;   in Loop: Header=BB145_940 Depth=2
	s_delay_alu instid0(VALU_DEP_1) | instskip(SKIP_4) | instid1(VALU_DEP_1)
	v_dual_cndmask_b32 v47, v45, v13 :: v_dual_cndmask_b32 v46, v44, v12
	ds_load_b64 v[84:85], v70
	flat_load_b64 v[46:47], v[46:47]
	s_wait_loadcnt_dscnt 0x0
	v_dual_mul_f32 v39, v85, v47 :: v_dual_mul_f32 v47, v84, v47
	v_fmac_f32_e32 v47, v85, v46
	s_delay_alu instid0(VALU_DEP_1) | instskip(NEXT) | instid1(VALU_DEP_1)
	v_dual_fma_f32 v39, v84, v46, -v39 :: v_dual_add_f32 v43, v43, v47
	v_add_f32_e32 v42, v42, v39
.LBB145_950:                            ;   in Loop: Header=BB145_940 Depth=2
	s_or_b32 exec_lo, exec_lo, s8
	v_add_nc_u32_e32 v39, 16, v38
	s_delay_alu instid0(VALU_DEP_1) | instskip(SKIP_1) | instid1(SALU_CYCLE_1)
	v_cmp_gt_i32_e64 s66, s82, v39
	s_and_b32 s9, s0, s66
	s_and_saveexec_b32 s8, s9
	s_cbranch_execz .LBB145_952
; %bb.951:                              ;   in Loop: Header=BB145_940 Depth=2
	v_add_nc_u64_e32 v[46:47], s[90:91], v[44:45]
	ds_load_b64 v[84:85], v70 offset:128
	v_dual_cndmask_b32 v47, v47, v15 :: v_dual_cndmask_b32 v46, v46, v14
	flat_load_b64 v[46:47], v[46:47]
	s_wait_loadcnt_dscnt 0x0
	v_dual_mul_f32 v39, v85, v47 :: v_dual_mul_f32 v47, v84, v47
	s_delay_alu instid0(VALU_DEP_1) | instskip(NEXT) | instid1(VALU_DEP_1)
	v_fmac_f32_e32 v47, v85, v46
	v_dual_fma_f32 v39, v84, v46, -v39 :: v_dual_add_f32 v43, v43, v47
	s_delay_alu instid0(VALU_DEP_1)
	v_add_f32_e32 v42, v42, v39
.LBB145_952:                            ;   in Loop: Header=BB145_940 Depth=2
	s_or_b32 exec_lo, exec_lo, s8
	v_add_nc_u32_e32 v39, 32, v38
	s_delay_alu instid0(VALU_DEP_1) | instskip(SKIP_1) | instid1(SALU_CYCLE_1)
	v_cmp_gt_i32_e64 s66, s82, v39
	s_and_b32 s9, s0, s66
	s_and_saveexec_b32 s8, s9
	s_cbranch_execz .LBB145_954
; %bb.953:                              ;   in Loop: Header=BB145_940 Depth=2
	v_add_nc_u64_e32 v[46:47], s[92:93], v[44:45]
	ds_load_b64 v[84:85], v70 offset:256
	v_dual_cndmask_b32 v47, v47, v17 :: v_dual_cndmask_b32 v46, v46, v16
	flat_load_b64 v[46:47], v[46:47]
	s_wait_loadcnt_dscnt 0x0
	v_dual_mul_f32 v39, v85, v47 :: v_dual_mul_f32 v87, v84, v47
	s_delay_alu instid0(VALU_DEP_1) | instskip(NEXT) | instid1(VALU_DEP_2)
	v_fma_f32 v86, v84, v46, -v39
	v_fmac_f32_e32 v87, v85, v46
	s_delay_alu instid0(VALU_DEP_1)
	v_pk_add_f32 v[42:43], v[42:43], v[86:87]
.LBB145_954:                            ;   in Loop: Header=BB145_940 Depth=2
	s_or_b32 exec_lo, exec_lo, s8
	v_add_nc_u32_e32 v38, 48, v38
	s_delay_alu instid0(VALU_DEP_1) | instskip(SKIP_1) | instid1(SALU_CYCLE_1)
	v_cmp_gt_i32_e64 s66, s82, v38
	s_and_b32 s9, s0, s66
	s_and_saveexec_b32 s8, s9
	s_cbranch_execz .LBB145_939
; %bb.955:                              ;   in Loop: Header=BB145_940 Depth=2
	v_add_nc_u64_e32 v[38:39], s[94:95], v[44:45]
	ds_load_b64 v[44:45], v70 offset:384
	v_dual_cndmask_b32 v39, v39, v19 :: v_dual_cndmask_b32 v38, v38, v18
	flat_load_b64 v[38:39], v[38:39]
	s_wait_loadcnt_dscnt 0x0
	v_pk_mul_f32 v[46:47], v[44:45], v[38:39] op_sel:[1,1] op_sel_hi:[0,1]
	s_delay_alu instid0(VALU_DEP_1) | instskip(SKIP_1) | instid1(VALU_DEP_2)
	v_pk_fma_f32 v[84:85], v[44:45], v[38:39], v[46:47] op_sel_hi:[1,0,1]
	v_pk_fma_f32 v[38:39], v[44:45], v[38:39], v[46:47] neg_lo:[0,0,1] neg_hi:[0,0,1]
	v_mov_b32_e32 v39, v85
	s_delay_alu instid0(VALU_DEP_1)
	v_pk_add_f32 v[42:43], v[42:43], v[38:39]
	s_branch .LBB145_939
.LBB145_956:                            ;   in Loop: Header=BB145_3 Depth=1
	ds_store_b64 v71, v[42:43]
	s_wait_dscnt 0x0
	s_barrier_signal -1
	s_barrier_wait -1
	s_and_saveexec_b32 s7, s5
	s_cbranch_execz .LBB145_958
; %bb.957:                              ;   in Loop: Header=BB145_3 Depth=1
	ds_load_2addr_stride64_b64 v[36:39], v72 offset0:1 offset1:2
	ds_load_2addr_stride64_b64 v[44:47], v72 offset0:3 offset1:4
	;; [unrolled: 1-line block ×3, first 2 shown]
	s_wait_dscnt 0x2
	v_pk_add_f32 v[36:37], v[42:43], v[36:37]
	s_delay_alu instid0(VALU_DEP_1) | instskip(SKIP_3) | instid1(VALU_DEP_1)
	v_pk_add_f32 v[42:43], v[36:37], v[38:39]
	ds_load_2addr_stride64_b64 v[36:39], v72 offset0:7 offset1:8
	s_wait_dscnt 0x2
	v_pk_add_f32 v[42:43], v[42:43], v[44:45]
	v_pk_add_f32 v[46:47], v[42:43], v[46:47]
	ds_load_2addr_stride64_b64 v[42:45], v72 offset0:9 offset1:10
	s_wait_dscnt 0x2
	v_pk_add_f32 v[46:47], v[46:47], v[84:85]
	s_delay_alu instid0(VALU_DEP_1) | instskip(SKIP_3) | instid1(VALU_DEP_1)
	v_pk_add_f32 v[46:47], v[46:47], v[86:87]
	ds_load_2addr_stride64_b64 v[84:87], v72 offset0:11 offset1:12
	s_wait_dscnt 0x2
	v_pk_add_f32 v[36:37], v[46:47], v[36:37]
	v_pk_add_f32 v[46:47], v[36:37], v[38:39]
	ds_load_2addr_stride64_b64 v[36:39], v72 offset0:13 offset1:14
	s_wait_dscnt 0x2
	v_pk_add_f32 v[42:43], v[46:47], v[42:43]
	s_delay_alu instid0(VALU_DEP_1) | instskip(SKIP_3) | instid1(VALU_DEP_1)
	v_pk_add_f32 v[42:43], v[42:43], v[44:45]
	ds_load_b64 v[44:45], v72 offset:7680
	s_wait_dscnt 0x2
	v_pk_add_f32 v[42:43], v[42:43], v[84:85]
	v_pk_add_f32 v[42:43], v[42:43], v[86:87]
	s_wait_dscnt 0x1
	s_delay_alu instid0(VALU_DEP_1) | instskip(NEXT) | instid1(VALU_DEP_1)
	v_pk_add_f32 v[36:37], v[42:43], v[36:37]
	v_pk_add_f32 v[36:37], v[36:37], v[38:39]
	s_wait_dscnt 0x0
	s_delay_alu instid0(VALU_DEP_1) | instskip(NEXT) | instid1(VALU_DEP_1)
	v_pk_add_f32 v[36:37], v[36:37], v[44:45]
	v_cndmask_b32_e64 v43, -v37, 0, s24
	s_delay_alu instid0(VALU_DEP_2)
	v_cndmask_b32_e64 v42, -v36, 0, s24
.LBB145_958:                            ;   in Loop: Header=BB145_3 Depth=1
	s_or_b32 exec_lo, exec_lo, s7
	s_delay_alu instid0(SALU_CYCLE_1)
	s_and_not1_b32 vcc_lo, exec_lo, s102
	s_cbranch_vccnz .LBB145_971
; %bb.959:                              ;   in Loop: Header=BB145_3 Depth=1
	s_and_saveexec_b32 s7, s5
; %bb.960:                              ;   in Loop: Header=BB145_3 Depth=1
	ds_store_b64 v74, v[42:43]
; %bb.961:                              ;   in Loop: Header=BB145_3 Depth=1
	s_or_b32 exec_lo, exec_lo, s7
	v_mov_b64_e32 v[36:37], 0
	s_wait_dscnt 0x0
	s_barrier_signal -1
	s_barrier_wait -1
	s_mov_b32 s7, exec_lo
	v_readlane_b32 s8, v92, 5
	s_and_b32 s8, s7, s8
	s_delay_alu instid0(SALU_CYCLE_1)
	s_mov_b32 exec_lo, s8
	s_cbranch_execz .LBB145_963
; %bb.962:                              ;   in Loop: Header=BB145_3 Depth=1
	ds_load_b64 v[36:37], v73
	ds_load_b64 v[38:39], v70
	s_wait_dscnt 0x0
	v_dual_mul_f32 v3, v39, v37 :: v_dual_mul_f32 v37, v38, v37
	s_delay_alu instid0(VALU_DEP_1) | instskip(NEXT) | instid1(VALU_DEP_1)
	v_dual_fma_f32 v3, v38, v36, -v3 :: v_dual_fmac_f32 v37, v39, v36
	v_dual_add_f32 v36, 0, v3 :: v_dual_add_f32 v37, 0, v37
.LBB145_963:                            ;   in Loop: Header=BB145_3 Depth=1
	s_or_b32 exec_lo, exec_lo, s7
	s_delay_alu instid0(SALU_CYCLE_1) | instskip(SKIP_2) | instid1(SALU_CYCLE_1)
	s_mov_b32 s7, exec_lo
	v_readlane_b32 s8, v93, 24
	s_and_b32 s8, s7, s8
	s_mov_b32 exec_lo, s8
	s_cbranch_execz .LBB145_965
; %bb.964:                              ;   in Loop: Header=BB145_3 Depth=1
	ds_load_b64 v[38:39], v73 offset:8192
	ds_load_b64 v[44:45], v70 offset:128
	s_wait_dscnt 0x0
	v_dual_mul_f32 v3, v45, v39 :: v_dual_mul_f32 v47, v44, v39
	s_delay_alu instid0(VALU_DEP_1) | instskip(NEXT) | instid1(VALU_DEP_2)
	v_fma_f32 v46, v44, v38, -v3
	v_fmac_f32_e32 v47, v45, v38
	s_delay_alu instid0(VALU_DEP_1)
	v_pk_add_f32 v[36:37], v[36:37], v[46:47]
.LBB145_965:                            ;   in Loop: Header=BB145_3 Depth=1
	s_or_b32 exec_lo, exec_lo, s7
	s_delay_alu instid0(SALU_CYCLE_1) | instskip(SKIP_2) | instid1(SALU_CYCLE_1)
	s_mov_b32 s7, exec_lo
	v_readlane_b32 s8, v93, 30
	s_and_b32 s8, s7, s8
	s_mov_b32 exec_lo, s8
	s_cbranch_execz .LBB145_967
; %bb.966:                              ;   in Loop: Header=BB145_3 Depth=1
	ds_load_b64 v[38:39], v73 offset:16384
	ds_load_b64 v[44:45], v70 offset:256
	s_wait_dscnt 0x0
	v_pk_mul_f32 v[46:47], v[44:45], v[38:39] op_sel:[1,1] op_sel_hi:[0,1]
	s_delay_alu instid0(VALU_DEP_1) | instskip(SKIP_1) | instid1(VALU_DEP_2)
	v_pk_fma_f32 v[84:85], v[44:45], v[38:39], v[46:47] op_sel_hi:[1,0,1]
	v_pk_fma_f32 v[38:39], v[44:45], v[38:39], v[46:47] neg_lo:[0,0,1] neg_hi:[0,0,1]
	v_mov_b32_e32 v39, v85
	s_delay_alu instid0(VALU_DEP_1)
	v_pk_add_f32 v[36:37], v[36:37], v[38:39]
.LBB145_967:                            ;   in Loop: Header=BB145_3 Depth=1
	s_or_b32 exec_lo, exec_lo, s7
	s_delay_alu instid0(SALU_CYCLE_1) | instskip(SKIP_2) | instid1(SALU_CYCLE_1)
	s_mov_b32 s7, exec_lo
	v_readlane_b32 s8, v92, 6
	s_and_b32 s8, s7, s8
	s_mov_b32 exec_lo, s8
	s_cbranch_execz .LBB145_969
; %bb.968:                              ;   in Loop: Header=BB145_3 Depth=1
	ds_load_b64 v[38:39], v73 offset:24576
	ds_load_b64 v[44:45], v70 offset:384
	s_wait_dscnt 0x0
	v_pk_mul_f32 v[46:47], v[44:45], v[38:39] op_sel:[1,1] op_sel_hi:[0,1]
	s_delay_alu instid0(VALU_DEP_1) | instskip(SKIP_1) | instid1(VALU_DEP_2)
	v_pk_fma_f32 v[84:85], v[44:45], v[38:39], v[46:47] op_sel_hi:[1,0,1]
	v_pk_fma_f32 v[38:39], v[44:45], v[38:39], v[46:47] neg_lo:[0,0,1] neg_hi:[0,0,1]
	v_mov_b32_e32 v39, v85
	s_delay_alu instid0(VALU_DEP_1)
	v_pk_add_f32 v[36:37], v[36:37], v[38:39]
.LBB145_969:                            ;   in Loop: Header=BB145_3 Depth=1
	s_or_b32 exec_lo, exec_lo, s7
	s_mov_b32 s7, 0
	s_mov_b32 s66, 0
	ds_store_b64 v71, v[36:37]
	s_wait_dscnt 0x0
	s_barrier_signal -1
	s_barrier_wait -1
                                        ; implicit-def: $vgpr38_vgpr39
	s_and_saveexec_b32 s8, s5
	s_cbranch_execz .LBB145_996
; %bb.970:                              ;   in Loop: Header=BB145_3 Depth=1
	ds_load_2addr_stride64_b64 v[44:47], v72 offset0:1 offset1:2
	ds_load_2addr_stride64_b64 v[84:87], v72 offset0:3 offset1:4
	;; [unrolled: 1-line block ×3, first 2 shown]
	s_mov_b32 s66, exec_lo
	s_wait_dscnt 0x2
	v_pk_add_f32 v[36:37], v[36:37], v[44:45]
	s_delay_alu instid0(VALU_DEP_1) | instskip(SKIP_3) | instid1(VALU_DEP_1)
	v_pk_add_f32 v[44:45], v[36:37], v[46:47]
	ds_load_2addr_stride64_b64 v[36:39], v72 offset0:7 offset1:8
	s_wait_dscnt 0x2
	v_pk_add_f32 v[44:45], v[44:45], v[84:85]
	v_pk_add_f32 v[84:85], v[44:45], v[86:87]
	ds_load_2addr_stride64_b64 v[44:47], v72 offset0:9 offset1:10
	s_wait_dscnt 0x2
	v_pk_add_f32 v[84:85], v[84:85], v[88:89]
	s_delay_alu instid0(VALU_DEP_1) | instskip(SKIP_3) | instid1(VALU_DEP_1)
	v_pk_add_f32 v[88:89], v[84:85], v[90:91]
	ds_load_2addr_stride64_b64 v[84:87], v72 offset0:11 offset1:12
	s_wait_dscnt 0x2
	v_pk_add_f32 v[36:37], v[88:89], v[36:37]
	v_pk_add_f32 v[36:37], v[36:37], v[38:39]
	s_wait_dscnt 0x1
	s_delay_alu instid0(VALU_DEP_1)
	v_pk_add_f32 v[44:45], v[36:37], v[44:45]
	ds_load_2addr_stride64_b64 v[36:39], v72 offset0:13 offset1:14
	v_pk_add_f32 v[44:45], v[44:45], v[46:47]
	ds_load_b64 v[46:47], v72 offset:7680
	s_wait_dscnt 0x2
	v_pk_add_f32 v[44:45], v[44:45], v[84:85]
	s_delay_alu instid0(VALU_DEP_1) | instskip(SKIP_1) | instid1(VALU_DEP_1)
	v_pk_add_f32 v[44:45], v[44:45], v[86:87]
	s_wait_dscnt 0x1
	v_pk_add_f32 v[36:37], v[44:45], v[36:37]
	s_delay_alu instid0(VALU_DEP_1) | instskip(SKIP_1) | instid1(VALU_DEP_1)
	v_pk_add_f32 v[36:37], v[36:37], v[38:39]
	s_wait_dscnt 0x0
	v_pk_add_f32 v[38:39], v[36:37], v[46:47]
	s_or_b32 exec_lo, exec_lo, s8
	s_delay_alu instid0(SALU_CYCLE_1)
	s_and_b32 vcc_lo, exec_lo, s7
	s_cbranch_vccnz .LBB145_972
	s_branch .LBB145_997
.LBB145_971:                            ;   in Loop: Header=BB145_3 Depth=1
	s_mov_b32 s66, 0
                                        ; implicit-def: $vgpr38_vgpr39
	s_cbranch_execz .LBB145_997
.LBB145_972:                            ;   in Loop: Header=BB145_3 Depth=1
	v_dual_mov_b32 v3, v81 :: v_dual_mov_b32 v36, v80
	s_mov_b32 s7, 63
	s_branch .LBB145_974
.LBB145_973:                            ;   in Loop: Header=BB145_974 Depth=2
	s_or_b32 exec_lo, exec_lo, s9
	v_add_nc_u32_e32 v36, 0xfffff800, v36
	v_add_nc_u32_e32 v3, 4, v3
	s_add_co_i32 s7, s7, -4
	s_cmp_lg_u32 s8, 0
	s_barrier_signal -1
	s_barrier_wait -1
	s_cbranch_scc0 .LBB145_990
.LBB145_974:                            ;   Parent Loop BB145_3 Depth=1
                                        ; =>  This Inner Loop Header: Depth=2
	s_delay_alu instid0(VALU_DEP_1) | instskip(SKIP_1) | instid1(SALU_CYCLE_1)
	v_cmp_eq_u32_e32 vcc_lo, 0, v3
	s_and_b32 s9, s5, vcc_lo
	s_and_saveexec_b32 s8, s9
; %bb.975:                              ;   in Loop: Header=BB145_974 Depth=2
	ds_store_b64 v7, v[42:43] offset:41472
; %bb.976:                              ;   in Loop: Header=BB145_974 Depth=2
	s_or_b32 exec_lo, exec_lo, s8
	v_cmp_gt_u32_e32 vcc_lo, s7, v4
	s_wait_dscnt 0x0
	s_barrier_signal -1
	s_barrier_wait -1
	s_and_b32 s9, s5, vcc_lo
	s_delay_alu instid0(SALU_CYCLE_1)
	s_and_saveexec_b32 s8, s9
	s_cbranch_execz .LBB145_978
; %bb.977:                              ;   in Loop: Header=BB145_974 Depth=2
	ds_load_b64 v[38:39], v36 offset:1536
	ds_load_b64 v[44:45], v7 offset:41472
	s_wait_dscnt 0x0
	v_pk_mul_f32 v[46:47], v[44:45], v[38:39] op_sel:[1,1] op_sel_hi:[0,1]
	s_delay_alu instid0(VALU_DEP_1) | instskip(SKIP_1) | instid1(VALU_DEP_2)
	v_pk_fma_f32 v[84:85], v[44:45], v[38:39], v[46:47] op_sel_hi:[1,0,1]
	v_pk_fma_f32 v[38:39], v[44:45], v[38:39], v[46:47] neg_lo:[0,0,1] neg_hi:[0,0,1]
	v_mov_b32_e32 v39, v85
	s_delay_alu instid0(VALU_DEP_1)
	v_pk_add_f32 v[42:43], v[42:43], v[38:39]
.LBB145_978:                            ;   in Loop: Header=BB145_974 Depth=2
	s_or_b32 exec_lo, exec_lo, s8
	s_add_co_i32 s8, s7, -1
	s_delay_alu instid0(SALU_CYCLE_1) | instskip(SKIP_3) | instid1(SALU_CYCLE_1)
	v_cmp_eq_u32_e32 vcc_lo, s8, v4
	s_barrier_signal -1
	s_barrier_wait -1
	s_and_b32 s10, s5, vcc_lo
	s_and_saveexec_b32 s9, s10
; %bb.979:                              ;   in Loop: Header=BB145_974 Depth=2
	ds_store_b64 v7, v[42:43] offset:41472
; %bb.980:                              ;   in Loop: Header=BB145_974 Depth=2
	s_or_b32 exec_lo, exec_lo, s9
	v_cmp_gt_u32_e32 vcc_lo, s8, v4
	s_wait_dscnt 0x0
	s_barrier_signal -1
	s_barrier_wait -1
	s_and_b32 s9, s5, vcc_lo
	s_delay_alu instid0(SALU_CYCLE_1)
	s_and_saveexec_b32 s8, s9
	s_cbranch_execz .LBB145_982
; %bb.981:                              ;   in Loop: Header=BB145_974 Depth=2
	ds_load_b64 v[38:39], v36 offset:1024
	ds_load_b64 v[44:45], v7 offset:41472
	s_wait_dscnt 0x0
	v_pk_mul_f32 v[46:47], v[44:45], v[38:39] op_sel:[1,1] op_sel_hi:[0,1]
	s_delay_alu instid0(VALU_DEP_1) | instskip(SKIP_1) | instid1(VALU_DEP_2)
	v_pk_fma_f32 v[84:85], v[44:45], v[38:39], v[46:47] op_sel_hi:[1,0,1]
	v_pk_fma_f32 v[38:39], v[44:45], v[38:39], v[46:47] neg_lo:[0,0,1] neg_hi:[0,0,1]
	v_mov_b32_e32 v39, v85
	s_delay_alu instid0(VALU_DEP_1)
	v_pk_add_f32 v[42:43], v[42:43], v[38:39]
.LBB145_982:                            ;   in Loop: Header=BB145_974 Depth=2
	s_or_b32 exec_lo, exec_lo, s8
	s_add_co_i32 s8, s7, -2
	s_delay_alu instid0(SALU_CYCLE_1) | instskip(SKIP_3) | instid1(SALU_CYCLE_1)
	v_cmp_eq_u32_e32 vcc_lo, s8, v4
	s_barrier_signal -1
	s_barrier_wait -1
	;; [unrolled: 32-line block ×3, first 2 shown]
	s_and_b32 s10, s5, vcc_lo
	s_and_saveexec_b32 s9, s10
; %bb.987:                              ;   in Loop: Header=BB145_974 Depth=2
	ds_store_b64 v7, v[42:43] offset:41472
; %bb.988:                              ;   in Loop: Header=BB145_974 Depth=2
	s_or_b32 exec_lo, exec_lo, s9
	v_cmp_gt_u32_e32 vcc_lo, s8, v4
	s_wait_dscnt 0x0
	s_barrier_signal -1
	s_barrier_wait -1
	s_and_b32 s10, s5, vcc_lo
	s_delay_alu instid0(SALU_CYCLE_1)
	s_and_saveexec_b32 s9, s10
	s_cbranch_execz .LBB145_973
; %bb.989:                              ;   in Loop: Header=BB145_974 Depth=2
	ds_load_b64 v[38:39], v36
	ds_load_b64 v[44:45], v7 offset:41472
	s_wait_dscnt 0x0
	v_pk_mul_f32 v[46:47], v[44:45], v[38:39] op_sel:[1,1] op_sel_hi:[0,1]
	s_delay_alu instid0(VALU_DEP_1) | instskip(SKIP_1) | instid1(VALU_DEP_2)
	v_pk_fma_f32 v[84:85], v[44:45], v[38:39], v[46:47] op_sel_hi:[1,0,1]
	v_pk_fma_f32 v[38:39], v[44:45], v[38:39], v[46:47] neg_lo:[0,0,1] neg_hi:[0,0,1]
	v_mov_b32_e32 v39, v85
	s_delay_alu instid0(VALU_DEP_1)
	v_pk_add_f32 v[42:43], v[42:43], v[38:39]
	s_branch .LBB145_973
.LBB145_990:                            ;   in Loop: Header=BB145_3 Depth=1
	s_and_b32 vcc_lo, exec_lo, s100
	s_mov_b32 s7, -1
	s_cbranch_vccnz .LBB145_998
; %bb.991:                              ;   in Loop: Header=BB145_3 Depth=1
	s_and_not1_b32 vcc_lo, exec_lo, s7
	s_cbranch_vccz .LBB145_999
.LBB145_992:                            ;   in Loop: Header=BB145_3 Depth=1
	s_and_saveexec_b32 s7, s66
	s_cbranch_execz .LBB145_994
.LBB145_993:                            ;   in Loop: Header=BB145_3 Depth=1
	v_lshl_add_u64 v[36:37], v[0:1], 3, v[40:41]
	flat_store_b64 v[36:37], v[42:43]
.LBB145_994:                            ;   in Loop: Header=BB145_3 Depth=1
	s_wait_xcnt 0x0
	s_or_b32 exec_lo, exec_lo, s7
	global_wb scope:SCOPE_DEV
	s_wait_storecnt_dscnt 0x0
	global_inv scope:SCOPE_DEV
	s_wait_loadcnt 0x0
	s_barrier_signal -1
	s_barrier_wait -1
	s_and_saveexec_b32 s7, s34
	s_cbranch_execz .LBB145_2
; %bb.995:                              ;   in Loop: Header=BB145_3 Depth=1
	s_lshl_b64 s[8:9], s[80:81], 2
	s_delay_alu instid0(SALU_CYCLE_1)
	s_add_nc_u64 s[8:9], s[86:87], s[8:9]
	global_load_b32 v3, v7, s[8:9]
	s_wait_loadcnt 0x0
	v_add_nc_u32_e32 v3, 1, v3
	global_store_b32 v7, v3, s[8:9]
	s_branch .LBB145_2
.LBB145_996:                            ;   in Loop: Header=BB145_3 Depth=1
	s_or_b32 exec_lo, exec_lo, s8
	s_delay_alu instid0(SALU_CYCLE_1)
	s_and_b32 vcc_lo, exec_lo, s7
	s_cbranch_vccnz .LBB145_972
.LBB145_997:                            ;   in Loop: Header=BB145_3 Depth=1
	v_mov_b64_e32 v[42:43], v[38:39]
	s_and_saveexec_b32 s7, s66
	s_cbranch_execnz .LBB145_993
	s_branch .LBB145_994
.LBB145_998:                            ;   in Loop: Header=BB145_3 Depth=1
	s_and_not1_b32 s8, s66, exec_lo
	s_and_b32 s9, s5, exec_lo
	s_delay_alu instid0(SALU_CYCLE_1)
	s_or_b32 s66, s8, s9
	s_cbranch_execnz .LBB145_992
.LBB145_999:                            ;   in Loop: Header=BB145_3 Depth=1
	v_readlane_b32 s8, v93, 12
	s_and_not1_b32 s7, s66, exec_lo
	s_and_b32 s8, s8, exec_lo
	s_delay_alu instid0(SALU_CYCLE_1) | instskip(NEXT) | instid1(SALU_CYCLE_1)
	s_or_b32 s66, s7, s8
	s_and_saveexec_b32 s7, s66
	s_cbranch_execnz .LBB145_993
	s_branch .LBB145_994
.LBB145_1000:                           ;   in Loop: Header=BB145_3 Depth=1
	ds_load_b64 v[44:45], v53 offset:31680
	ds_load_b64 v[46:47], v54 offset:32744
	s_wait_dscnt 0x0
	v_dual_mul_f32 v3, v47, v45 :: v_dual_mul_f32 v45, v46, v45
	s_delay_alu instid0(VALU_DEP_1) | instskip(NEXT) | instid1(VALU_DEP_1)
	v_dual_fma_f32 v3, v46, v44, -v3 :: v_dual_fmac_f32 v45, v47, v44
	v_dual_add_f32 v42, v42, v3 :: v_dual_add_f32 v43, v43, v45
	s_or_b32 exec_lo, exec_lo, s8
	s_and_saveexec_b32 s8, s14
	s_cbranch_execz .LBB145_87
.LBB145_1001:                           ;   in Loop: Header=BB145_3 Depth=1
	ds_load_b64 v[44:45], v53 offset:32192
	ds_load_b64 v[46:47], v54 offset:32752
	s_wait_dscnt 0x0
	v_dual_mul_f32 v3, v47, v45 :: v_dual_mul_f32 v85, v46, v45
	s_delay_alu instid0(VALU_DEP_1) | instskip(NEXT) | instid1(VALU_DEP_1)
	v_dual_fma_f32 v84, v46, v44, -v3 :: v_dual_fmac_f32 v85, v47, v44
	v_pk_add_f32 v[42:43], v[42:43], v[84:85]
	s_or_b32 exec_lo, exec_lo, s8
	s_and_saveexec_b32 s8, s1
	s_cbranch_execnz .LBB145_88
	s_branch .LBB145_89
.LBB145_1002:                           ;   in Loop: Header=BB145_3 Depth=1
	ds_load_b64 v[44:45], v57 offset:29568
	ds_load_b64 v[46:47], v58 offset:32712
	s_wait_dscnt 0x0
	v_dual_mul_f32 v3, v47, v45 :: v_dual_mul_f32 v45, v46, v45
	s_delay_alu instid0(VALU_DEP_1) | instskip(NEXT) | instid1(VALU_DEP_1)
	v_dual_fma_f32 v3, v46, v44, -v3 :: v_dual_fmac_f32 v45, v47, v44
	v_dual_add_f32 v42, v42, v3 :: v_dual_add_f32 v43, v43, v45
	s_or_b32 exec_lo, exec_lo, s8
	s_and_saveexec_b32 s8, s16
	s_cbranch_execz .LBB145_125
.LBB145_1003:                           ;   in Loop: Header=BB145_3 Depth=1
	ds_load_b64 v[44:45], v57 offset:30080
	ds_load_b64 v[46:47], v58 offset:32720
	s_wait_dscnt 0x0
	v_dual_mul_f32 v3, v47, v45 :: v_dual_mul_f32 v45, v46, v45
	s_delay_alu instid0(VALU_DEP_1) | instskip(NEXT) | instid1(VALU_DEP_1)
	v_dual_fma_f32 v3, v46, v44, -v3 :: v_dual_fmac_f32 v45, v47, v44
	v_dual_add_f32 v42, v42, v3 :: v_dual_add_f32 v43, v43, v45
	s_or_b32 exec_lo, exec_lo, s8
	s_and_saveexec_b32 s8, s17
	s_cbranch_execz .LBB145_126
.LBB145_1004:                           ;   in Loop: Header=BB145_3 Depth=1
	ds_load_b64 v[44:45], v57 offset:30592
	ds_load_b64 v[46:47], v58 offset:32728
	s_wait_dscnt 0x0
	v_dual_mul_f32 v3, v47, v45 :: v_dual_mul_f32 v45, v46, v45
	s_delay_alu instid0(VALU_DEP_1) | instskip(NEXT) | instid1(VALU_DEP_1)
	v_dual_fma_f32 v3, v46, v44, -v3 :: v_dual_fmac_f32 v45, v47, v44
	v_dual_add_f32 v42, v42, v3 :: v_dual_add_f32 v43, v43, v45
	s_or_b32 exec_lo, exec_lo, s8
	s_and_saveexec_b32 s8, s18
	s_cbranch_execz .LBB145_127
.LBB145_1005:                           ;   in Loop: Header=BB145_3 Depth=1
	ds_load_b64 v[44:45], v57 offset:31104
	ds_load_b64 v[46:47], v58 offset:32736
	s_wait_dscnt 0x0
	v_dual_mul_f32 v3, v47, v45 :: v_dual_mul_f32 v85, v46, v45
	s_delay_alu instid0(VALU_DEP_1) | instskip(NEXT) | instid1(VALU_DEP_1)
	v_dual_fma_f32 v84, v46, v44, -v3 :: v_dual_fmac_f32 v85, v47, v44
	v_pk_add_f32 v[42:43], v[42:43], v[84:85]
	s_or_b32 exec_lo, exec_lo, s8
	s_and_saveexec_b32 s8, s19
	s_cbranch_execz .LBB145_128
.LBB145_1006:                           ;   in Loop: Header=BB145_3 Depth=1
	ds_load_b64 v[44:45], v57 offset:31616
	ds_load_b64 v[46:47], v58 offset:32744
	s_wait_dscnt 0x0
	v_pk_mul_f32 v[84:85], v[46:47], v[44:45] op_sel:[1,1] op_sel_hi:[0,1]
	s_delay_alu instid0(VALU_DEP_1) | instskip(SKIP_1) | instid1(VALU_DEP_2)
	v_pk_fma_f32 v[86:87], v[46:47], v[44:45], v[84:85] op_sel_hi:[1,0,1]
	v_pk_fma_f32 v[44:45], v[46:47], v[44:45], v[84:85] neg_lo:[0,0,1] neg_hi:[0,0,1]
	v_mov_b32_e32 v45, v87
	s_delay_alu instid0(VALU_DEP_1)
	v_pk_add_f32 v[42:43], v[42:43], v[44:45]
	s_or_b32 exec_lo, exec_lo, s8
	s_and_saveexec_b32 s8, s2
	s_cbranch_execz .LBB145_129
.LBB145_1007:                           ;   in Loop: Header=BB145_3 Depth=1
	ds_load_b64 v[44:45], v57 offset:32128
	ds_load_b64 v[46:47], v58 offset:32752
	s_wait_dscnt 0x0
	v_pk_mul_f32 v[84:85], v[46:47], v[44:45] op_sel:[1,1] op_sel_hi:[0,1]
	s_delay_alu instid0(VALU_DEP_1) | instskip(SKIP_1) | instid1(VALU_DEP_2)
	v_pk_fma_f32 v[86:87], v[46:47], v[44:45], v[84:85] op_sel_hi:[1,0,1]
	v_pk_fma_f32 v[44:45], v[46:47], v[44:45], v[84:85] neg_lo:[0,0,1] neg_hi:[0,0,1]
	v_mov_b32_e32 v45, v87
	s_delay_alu instid0(VALU_DEP_1)
	v_pk_add_f32 v[42:43], v[42:43], v[44:45]
	s_or_b32 exec_lo, exec_lo, s8
	s_and_saveexec_b32 s8, s14
	s_cbranch_execnz .LBB145_130
	s_branch .LBB145_131
.LBB145_1008:                           ;   in Loop: Header=BB145_3 Depth=1
	ds_load_b64 v[44:45], v53 offset:27520
	ds_load_b64 v[46:47], v54 offset:28584
	s_wait_dscnt 0x0
	v_dual_mul_f32 v3, v47, v45 :: v_dual_mul_f32 v45, v46, v45
	s_delay_alu instid0(VALU_DEP_1) | instskip(NEXT) | instid1(VALU_DEP_1)
	v_dual_fma_f32 v3, v46, v44, -v3 :: v_dual_fmac_f32 v45, v47, v44
	v_dual_add_f32 v42, v42, v3 :: v_dual_add_f32 v43, v43, v45
	s_or_b32 exec_lo, exec_lo, s8
	s_and_saveexec_b32 s8, s14
	s_cbranch_execz .LBB145_183
.LBB145_1009:                           ;   in Loop: Header=BB145_3 Depth=1
	ds_load_b64 v[44:45], v53 offset:28032
	ds_load_b64 v[46:47], v54 offset:28592
	s_wait_dscnt 0x0
	v_dual_mul_f32 v3, v47, v45 :: v_dual_mul_f32 v85, v46, v45
	s_delay_alu instid0(VALU_DEP_1) | instskip(NEXT) | instid1(VALU_DEP_1)
	v_dual_fma_f32 v84, v46, v44, -v3 :: v_dual_fmac_f32 v85, v47, v44
	v_pk_add_f32 v[42:43], v[42:43], v[84:85]
	s_or_b32 exec_lo, exec_lo, s8
	s_and_saveexec_b32 s8, s1
	s_cbranch_execnz .LBB145_184
	s_branch .LBB145_185
.LBB145_1010:                           ;   in Loop: Header=BB145_3 Depth=1
	ds_load_b64 v[44:45], v61 offset:30464
	ds_load_b64 v[46:47], v62 offset:32728
	s_wait_dscnt 0x0
	v_dual_mul_f32 v3, v47, v45 :: v_dual_mul_f32 v45, v46, v45
	s_delay_alu instid0(VALU_DEP_1) | instskip(NEXT) | instid1(VALU_DEP_1)
	v_dual_fma_f32 v3, v46, v44, -v3 :: v_dual_fmac_f32 v45, v47, v44
	v_dual_add_f32 v42, v42, v3 :: v_dual_add_f32 v43, v43, v45
	s_or_b32 exec_lo, exec_lo, s7
	s_and_saveexec_b32 s7, s3
	s_cbranch_execz .LBB145_241
.LBB145_1011:                           ;   in Loop: Header=BB145_3 Depth=1
	ds_load_b64 v[44:45], v61 offset:30976
	ds_load_b64 v[46:47], v62 offset:32736
	s_wait_dscnt 0x0
	v_dual_mul_f32 v3, v47, v45 :: v_dual_mul_f32 v45, v46, v45
	s_delay_alu instid0(VALU_DEP_1) | instskip(NEXT) | instid1(VALU_DEP_1)
	v_dual_fma_f32 v3, v46, v44, -v3 :: v_dual_fmac_f32 v45, v47, v44
	v_dual_add_f32 v42, v42, v3 :: v_dual_add_f32 v43, v43, v45
	s_or_b32 exec_lo, exec_lo, s7
	s_and_saveexec_b32 s7, s16
	s_cbranch_execz .LBB145_242
.LBB145_1012:                           ;   in Loop: Header=BB145_3 Depth=1
	ds_load_b64 v[44:45], v61 offset:31488
	ds_load_b64 v[46:47], v62 offset:32744
	s_wait_dscnt 0x0
	v_dual_mul_f32 v3, v47, v45 :: v_dual_mul_f32 v45, v46, v45
	s_delay_alu instid0(VALU_DEP_1) | instskip(NEXT) | instid1(VALU_DEP_1)
	v_dual_fma_f32 v3, v46, v44, -v3 :: v_dual_fmac_f32 v45, v47, v44
	v_dual_add_f32 v42, v42, v3 :: v_dual_add_f32 v43, v43, v45
	s_or_b32 exec_lo, exec_lo, s7
	s_and_saveexec_b32 s7, s18
	s_cbranch_execz .LBB145_243
.LBB145_1013:                           ;   in Loop: Header=BB145_3 Depth=1
	ds_load_b64 v[44:45], v61 offset:32000
	ds_load_b64 v[46:47], v62 offset:32752
	s_wait_dscnt 0x0
	v_dual_mul_f32 v3, v47, v45 :: v_dual_mul_f32 v85, v46, v45
	s_delay_alu instid0(VALU_DEP_1) | instskip(NEXT) | instid1(VALU_DEP_1)
	v_dual_fma_f32 v84, v46, v44, -v3 :: v_dual_fmac_f32 v85, v47, v44
	v_pk_add_f32 v[42:43], v[42:43], v[84:85]
	s_or_b32 exec_lo, exec_lo, s7
	s_and_saveexec_b32 s7, s2
	s_cbranch_execnz .LBB145_244
	s_branch .LBB145_245
.LBB145_1014:                           ;   in Loop: Header=BB145_3 Depth=1
	ds_load_b64 v[44:45], v53 offset:23360
	ds_load_b64 v[46:47], v54 offset:24424
	s_wait_dscnt 0x0
	v_dual_mul_f32 v3, v47, v45 :: v_dual_mul_f32 v45, v46, v45
	s_delay_alu instid0(VALU_DEP_1) | instskip(NEXT) | instid1(VALU_DEP_1)
	v_dual_fma_f32 v3, v46, v44, -v3 :: v_dual_fmac_f32 v45, v47, v44
	v_dual_add_f32 v42, v42, v3 :: v_dual_add_f32 v43, v43, v45
	s_or_b32 exec_lo, exec_lo, s8
	s_and_saveexec_b32 s8, s14
	s_cbranch_execz .LBB145_329
.LBB145_1015:                           ;   in Loop: Header=BB145_3 Depth=1
	ds_load_b64 v[44:45], v53 offset:23872
	ds_load_b64 v[46:47], v54 offset:24432
	s_wait_dscnt 0x0
	v_dual_mul_f32 v3, v47, v45 :: v_dual_mul_f32 v85, v46, v45
	s_delay_alu instid0(VALU_DEP_1) | instskip(NEXT) | instid1(VALU_DEP_1)
	v_dual_fma_f32 v84, v46, v44, -v3 :: v_dual_fmac_f32 v85, v47, v44
	v_pk_add_f32 v[42:43], v[42:43], v[84:85]
	s_or_b32 exec_lo, exec_lo, s8
	s_and_saveexec_b32 s8, s1
	s_cbranch_execnz .LBB145_330
	s_branch .LBB145_331
.LBB145_1016:                           ;   in Loop: Header=BB145_3 Depth=1
	ds_load_b64 v[44:45], v57 offset:21248
	ds_load_b64 v[46:47], v58 offset:24392
	s_wait_dscnt 0x0
	v_dual_mul_f32 v3, v47, v45 :: v_dual_mul_f32 v45, v46, v45
	s_delay_alu instid0(VALU_DEP_1) | instskip(NEXT) | instid1(VALU_DEP_1)
	v_dual_fma_f32 v3, v46, v44, -v3 :: v_dual_fmac_f32 v45, v47, v44
	v_dual_add_f32 v42, v42, v3 :: v_dual_add_f32 v43, v43, v45
	s_or_b32 exec_lo, exec_lo, s8
	s_and_saveexec_b32 s8, s16
	s_cbranch_execz .LBB145_367
.LBB145_1017:                           ;   in Loop: Header=BB145_3 Depth=1
	ds_load_b64 v[44:45], v57 offset:21760
	ds_load_b64 v[46:47], v58 offset:24400
	s_wait_dscnt 0x0
	v_dual_mul_f32 v3, v47, v45 :: v_dual_mul_f32 v45, v46, v45
	s_delay_alu instid0(VALU_DEP_1) | instskip(NEXT) | instid1(VALU_DEP_1)
	v_dual_fma_f32 v3, v46, v44, -v3 :: v_dual_fmac_f32 v45, v47, v44
	v_dual_add_f32 v42, v42, v3 :: v_dual_add_f32 v43, v43, v45
	s_or_b32 exec_lo, exec_lo, s8
	s_and_saveexec_b32 s8, s17
	s_cbranch_execz .LBB145_368
.LBB145_1018:                           ;   in Loop: Header=BB145_3 Depth=1
	ds_load_b64 v[44:45], v57 offset:22272
	ds_load_b64 v[46:47], v58 offset:24408
	s_wait_dscnt 0x0
	v_dual_mul_f32 v3, v47, v45 :: v_dual_mul_f32 v45, v46, v45
	s_delay_alu instid0(VALU_DEP_1) | instskip(NEXT) | instid1(VALU_DEP_1)
	v_dual_fma_f32 v3, v46, v44, -v3 :: v_dual_fmac_f32 v45, v47, v44
	v_dual_add_f32 v42, v42, v3 :: v_dual_add_f32 v43, v43, v45
	s_or_b32 exec_lo, exec_lo, s8
	s_and_saveexec_b32 s8, s18
	s_cbranch_execz .LBB145_369
.LBB145_1019:                           ;   in Loop: Header=BB145_3 Depth=1
	ds_load_b64 v[44:45], v57 offset:22784
	ds_load_b64 v[46:47], v58 offset:24416
	s_wait_dscnt 0x0
	v_dual_mul_f32 v3, v47, v45 :: v_dual_mul_f32 v85, v46, v45
	s_delay_alu instid0(VALU_DEP_1) | instskip(NEXT) | instid1(VALU_DEP_1)
	v_dual_fma_f32 v84, v46, v44, -v3 :: v_dual_fmac_f32 v85, v47, v44
	v_pk_add_f32 v[42:43], v[42:43], v[84:85]
	s_or_b32 exec_lo, exec_lo, s8
	s_and_saveexec_b32 s8, s19
	s_cbranch_execz .LBB145_370
.LBB145_1020:                           ;   in Loop: Header=BB145_3 Depth=1
	ds_load_b64 v[44:45], v57 offset:23296
	ds_load_b64 v[46:47], v58 offset:24424
	s_wait_dscnt 0x0
	v_pk_mul_f32 v[84:85], v[46:47], v[44:45] op_sel:[1,1] op_sel_hi:[0,1]
	s_delay_alu instid0(VALU_DEP_1) | instskip(SKIP_1) | instid1(VALU_DEP_2)
	v_pk_fma_f32 v[86:87], v[46:47], v[44:45], v[84:85] op_sel_hi:[1,0,1]
	v_pk_fma_f32 v[44:45], v[46:47], v[44:45], v[84:85] neg_lo:[0,0,1] neg_hi:[0,0,1]
	v_mov_b32_e32 v45, v87
	s_delay_alu instid0(VALU_DEP_1)
	v_pk_add_f32 v[42:43], v[42:43], v[44:45]
	s_or_b32 exec_lo, exec_lo, s8
	s_and_saveexec_b32 s8, s2
	s_cbranch_execz .LBB145_371
.LBB145_1021:                           ;   in Loop: Header=BB145_3 Depth=1
	ds_load_b64 v[44:45], v57 offset:23808
	ds_load_b64 v[46:47], v58 offset:24432
	s_wait_dscnt 0x0
	v_pk_mul_f32 v[84:85], v[46:47], v[44:45] op_sel:[1,1] op_sel_hi:[0,1]
	s_delay_alu instid0(VALU_DEP_1) | instskip(SKIP_1) | instid1(VALU_DEP_2)
	v_pk_fma_f32 v[86:87], v[46:47], v[44:45], v[84:85] op_sel_hi:[1,0,1]
	v_pk_fma_f32 v[44:45], v[46:47], v[44:45], v[84:85] neg_lo:[0,0,1] neg_hi:[0,0,1]
	v_mov_b32_e32 v45, v87
	s_delay_alu instid0(VALU_DEP_1)
	v_pk_add_f32 v[42:43], v[42:43], v[44:45]
	s_or_b32 exec_lo, exec_lo, s8
	s_and_saveexec_b32 s8, s14
	s_cbranch_execnz .LBB145_372
	s_branch .LBB145_373
.LBB145_1022:                           ;   in Loop: Header=BB145_3 Depth=1
	ds_load_b64 v[44:45], v53 offset:19200
	ds_load_b64 v[46:47], v54 offset:20264
	s_wait_dscnt 0x0
	v_dual_mul_f32 v3, v47, v45 :: v_dual_mul_f32 v45, v46, v45
	s_delay_alu instid0(VALU_DEP_1) | instskip(NEXT) | instid1(VALU_DEP_1)
	v_dual_fma_f32 v3, v46, v44, -v3 :: v_dual_fmac_f32 v45, v47, v44
	v_dual_add_f32 v42, v42, v3 :: v_dual_add_f32 v43, v43, v45
	s_or_b32 exec_lo, exec_lo, s8
	s_and_saveexec_b32 s8, s14
	s_cbranch_execz .LBB145_425
.LBB145_1023:                           ;   in Loop: Header=BB145_3 Depth=1
	ds_load_b64 v[44:45], v53 offset:19712
	ds_load_b64 v[46:47], v54 offset:20272
	s_wait_dscnt 0x0
	v_dual_mul_f32 v3, v47, v45 :: v_dual_mul_f32 v85, v46, v45
	s_delay_alu instid0(VALU_DEP_1) | instskip(NEXT) | instid1(VALU_DEP_1)
	v_dual_fma_f32 v84, v46, v44, -v3 :: v_dual_fmac_f32 v85, v47, v44
	v_pk_add_f32 v[42:43], v[42:43], v[84:85]
	s_or_b32 exec_lo, exec_lo, s8
	s_and_saveexec_b32 s8, s1
	s_cbranch_execnz .LBB145_426
	s_branch .LBB145_427
.LBB145_1024:                           ;   in Loop: Header=BB145_3 Depth=1
	ds_load_b64 v[44:45], v66 offset:31232
	ds_load_b64 v[46:47], v67 offset:32744
	s_wait_dscnt 0x0
	v_pk_mul_f32 v[84:85], v[46:47], v[44:45] op_sel:[1,1] op_sel_hi:[0,1]
	s_delay_alu instid0(VALU_DEP_1) | instskip(SKIP_1) | instid1(VALU_DEP_2)
	v_pk_fma_f32 v[86:87], v[46:47], v[44:45], v[84:85] op_sel_hi:[1,0,1]
	v_pk_fma_f32 v[44:45], v[46:47], v[44:45], v[84:85] neg_lo:[0,0,1] neg_hi:[0,0,1]
	v_mov_b32_e32 v45, v87
	s_delay_alu instid0(VALU_DEP_1)
	v_pk_add_f32 v[42:43], v[42:43], v[44:45]
	s_or_b32 exec_lo, exec_lo, s7
	s_and_saveexec_b32 s7, s3
	s_cbranch_execz .LBB145_519
.LBB145_1025:                           ;   in Loop: Header=BB145_3 Depth=1
	ds_load_b64 v[44:45], v66 offset:31744
	ds_load_b64 v[46:47], v67 offset:32752
	s_wait_dscnt 0x0
	v_pk_mul_f32 v[84:85], v[46:47], v[44:45] op_sel:[1,1] op_sel_hi:[0,1]
	s_delay_alu instid0(VALU_DEP_1) | instskip(SKIP_1) | instid1(VALU_DEP_2)
	v_pk_fma_f32 v[86:87], v[46:47], v[44:45], v[84:85] op_sel_hi:[1,0,1]
	v_pk_fma_f32 v[44:45], v[46:47], v[44:45], v[84:85] neg_lo:[0,0,1] neg_hi:[0,0,1]
	v_mov_b32_e32 v45, v87
	s_delay_alu instid0(VALU_DEP_1) | instskip(SKIP_2) | instid1(SALU_CYCLE_1)
	v_pk_add_f32 v[42:43], v[42:43], v[44:45]
	s_or_b32 exec_lo, exec_lo, s7
	s_and_saveexec_b32 s7, s18
	s_xor_b32 s7, exec_lo, s7
	s_cbranch_execnz .LBB145_520
	s_branch .LBB145_521
.LBB145_1026:                           ;   in Loop: Header=BB145_3 Depth=1
	ds_load_b64 v[44:45], v53 offset:15040
	ds_load_b64 v[46:47], v54 offset:16104
	s_wait_dscnt 0x0
	v_dual_mul_f32 v3, v47, v45 :: v_dual_mul_f32 v45, v46, v45
	s_delay_alu instid0(VALU_DEP_1) | instskip(NEXT) | instid1(VALU_DEP_1)
	v_dual_fma_f32 v3, v46, v44, -v3 :: v_dual_fmac_f32 v45, v47, v44
	v_dual_add_f32 v42, v42, v3 :: v_dual_add_f32 v43, v43, v45
	s_or_b32 exec_lo, exec_lo, s8
	s_and_saveexec_b32 s8, s14
	s_cbranch_execz .LBB145_561
.LBB145_1027:                           ;   in Loop: Header=BB145_3 Depth=1
	ds_load_b64 v[44:45], v53 offset:15552
	ds_load_b64 v[46:47], v54 offset:16112
	s_wait_dscnt 0x0
	v_dual_mul_f32 v3, v47, v45 :: v_dual_mul_f32 v85, v46, v45
	s_delay_alu instid0(VALU_DEP_1) | instskip(NEXT) | instid1(VALU_DEP_1)
	v_dual_fma_f32 v84, v46, v44, -v3 :: v_dual_fmac_f32 v85, v47, v44
	v_pk_add_f32 v[42:43], v[42:43], v[84:85]
	s_or_b32 exec_lo, exec_lo, s8
	s_and_saveexec_b32 s8, s1
	s_cbranch_execnz .LBB145_562
	s_branch .LBB145_563
.LBB145_1028:                           ;   in Loop: Header=BB145_3 Depth=1
	ds_load_b64 v[44:45], v57 offset:12928
	ds_load_b64 v[46:47], v58 offset:16072
	s_wait_dscnt 0x0
	v_dual_mul_f32 v3, v47, v45 :: v_dual_mul_f32 v45, v46, v45
	s_delay_alu instid0(VALU_DEP_1) | instskip(NEXT) | instid1(VALU_DEP_1)
	v_dual_fma_f32 v3, v46, v44, -v3 :: v_dual_fmac_f32 v45, v47, v44
	v_dual_add_f32 v42, v42, v3 :: v_dual_add_f32 v43, v43, v45
	s_or_b32 exec_lo, exec_lo, s8
	s_and_saveexec_b32 s8, s16
	s_cbranch_execz .LBB145_599
.LBB145_1029:                           ;   in Loop: Header=BB145_3 Depth=1
	ds_load_b64 v[44:45], v57 offset:13440
	ds_load_b64 v[46:47], v58 offset:16080
	s_wait_dscnt 0x0
	v_dual_mul_f32 v3, v47, v45 :: v_dual_mul_f32 v45, v46, v45
	s_delay_alu instid0(VALU_DEP_1) | instskip(NEXT) | instid1(VALU_DEP_1)
	v_dual_fma_f32 v3, v46, v44, -v3 :: v_dual_fmac_f32 v45, v47, v44
	v_dual_add_f32 v42, v42, v3 :: v_dual_add_f32 v43, v43, v45
	s_or_b32 exec_lo, exec_lo, s8
	s_and_saveexec_b32 s8, s17
	s_cbranch_execz .LBB145_600
.LBB145_1030:                           ;   in Loop: Header=BB145_3 Depth=1
	ds_load_b64 v[44:45], v57 offset:13952
	ds_load_b64 v[46:47], v58 offset:16088
	s_wait_dscnt 0x0
	v_dual_mul_f32 v3, v47, v45 :: v_dual_mul_f32 v45, v46, v45
	s_delay_alu instid0(VALU_DEP_1) | instskip(NEXT) | instid1(VALU_DEP_1)
	v_dual_fma_f32 v3, v46, v44, -v3 :: v_dual_fmac_f32 v45, v47, v44
	v_dual_add_f32 v42, v42, v3 :: v_dual_add_f32 v43, v43, v45
	s_or_b32 exec_lo, exec_lo, s8
	s_and_saveexec_b32 s8, s18
	s_cbranch_execz .LBB145_601
.LBB145_1031:                           ;   in Loop: Header=BB145_3 Depth=1
	ds_load_b64 v[44:45], v57 offset:14464
	ds_load_b64 v[46:47], v58 offset:16096
	s_wait_dscnt 0x0
	v_dual_mul_f32 v3, v47, v45 :: v_dual_mul_f32 v85, v46, v45
	s_delay_alu instid0(VALU_DEP_1) | instskip(NEXT) | instid1(VALU_DEP_1)
	v_dual_fma_f32 v84, v46, v44, -v3 :: v_dual_fmac_f32 v85, v47, v44
	v_pk_add_f32 v[42:43], v[42:43], v[84:85]
	s_or_b32 exec_lo, exec_lo, s8
	s_and_saveexec_b32 s8, s19
	s_cbranch_execz .LBB145_602
.LBB145_1032:                           ;   in Loop: Header=BB145_3 Depth=1
	ds_load_b64 v[44:45], v57 offset:14976
	ds_load_b64 v[46:47], v58 offset:16104
	s_wait_dscnt 0x0
	v_pk_mul_f32 v[84:85], v[46:47], v[44:45] op_sel:[1,1] op_sel_hi:[0,1]
	s_delay_alu instid0(VALU_DEP_1) | instskip(SKIP_1) | instid1(VALU_DEP_2)
	v_pk_fma_f32 v[86:87], v[46:47], v[44:45], v[84:85] op_sel_hi:[1,0,1]
	v_pk_fma_f32 v[44:45], v[46:47], v[44:45], v[84:85] neg_lo:[0,0,1] neg_hi:[0,0,1]
	v_mov_b32_e32 v45, v87
	s_delay_alu instid0(VALU_DEP_1)
	v_pk_add_f32 v[42:43], v[42:43], v[44:45]
	s_or_b32 exec_lo, exec_lo, s8
	s_and_saveexec_b32 s8, s2
	s_cbranch_execz .LBB145_603
.LBB145_1033:                           ;   in Loop: Header=BB145_3 Depth=1
	ds_load_b64 v[44:45], v57 offset:15488
	ds_load_b64 v[46:47], v58 offset:16112
	s_wait_dscnt 0x0
	v_pk_mul_f32 v[84:85], v[46:47], v[44:45] op_sel:[1,1] op_sel_hi:[0,1]
	s_delay_alu instid0(VALU_DEP_1) | instskip(SKIP_1) | instid1(VALU_DEP_2)
	v_pk_fma_f32 v[86:87], v[46:47], v[44:45], v[84:85] op_sel_hi:[1,0,1]
	v_pk_fma_f32 v[44:45], v[46:47], v[44:45], v[84:85] neg_lo:[0,0,1] neg_hi:[0,0,1]
	v_mov_b32_e32 v45, v87
	s_delay_alu instid0(VALU_DEP_1)
	v_pk_add_f32 v[42:43], v[42:43], v[44:45]
	s_or_b32 exec_lo, exec_lo, s8
	s_and_saveexec_b32 s8, s14
	s_cbranch_execnz .LBB145_604
	s_branch .LBB145_605
.LBB145_1034:                           ;   in Loop: Header=BB145_3 Depth=1
	ds_load_b64 v[44:45], v53 offset:10880
	ds_load_b64 v[46:47], v54 offset:11944
	s_wait_dscnt 0x0
	v_dual_mul_f32 v3, v47, v45 :: v_dual_mul_f32 v45, v46, v45
	s_delay_alu instid0(VALU_DEP_1) | instskip(NEXT) | instid1(VALU_DEP_1)
	v_dual_fma_f32 v3, v46, v44, -v3 :: v_dual_fmac_f32 v45, v47, v44
	v_dual_add_f32 v42, v42, v3 :: v_dual_add_f32 v43, v43, v45
	s_or_b32 exec_lo, exec_lo, s8
	s_and_saveexec_b32 s8, s14
	s_cbranch_execz .LBB145_657
.LBB145_1035:                           ;   in Loop: Header=BB145_3 Depth=1
	ds_load_b64 v[44:45], v53 offset:11392
	ds_load_b64 v[46:47], v54 offset:11952
	s_wait_dscnt 0x0
	v_dual_mul_f32 v3, v47, v45 :: v_dual_mul_f32 v85, v46, v45
	s_delay_alu instid0(VALU_DEP_1) | instskip(NEXT) | instid1(VALU_DEP_1)
	v_dual_fma_f32 v84, v46, v44, -v3 :: v_dual_fmac_f32 v85, v47, v44
	v_pk_add_f32 v[42:43], v[42:43], v[84:85]
	s_or_b32 exec_lo, exec_lo, s8
	s_and_saveexec_b32 s8, s1
	s_cbranch_execnz .LBB145_658
	s_branch .LBB145_659
.LBB145_1036:                           ;   in Loop: Header=BB145_3 Depth=1
	ds_load_b64 v[44:45], v61 offset:13824
	ds_load_b64 v[46:47], v62 offset:16088
	s_wait_dscnt 0x0
	v_dual_mul_f32 v3, v47, v45 :: v_dual_mul_f32 v45, v46, v45
	s_delay_alu instid0(VALU_DEP_1) | instskip(NEXT) | instid1(VALU_DEP_1)
	v_dual_fma_f32 v3, v46, v44, -v3 :: v_dual_fmac_f32 v45, v47, v44
	v_dual_add_f32 v42, v42, v3 :: v_dual_add_f32 v43, v43, v45
	s_or_b32 exec_lo, exec_lo, s7
	s_and_saveexec_b32 s7, s3
	s_cbranch_execz .LBB145_715
.LBB145_1037:                           ;   in Loop: Header=BB145_3 Depth=1
	ds_load_b64 v[44:45], v61 offset:14336
	ds_load_b64 v[46:47], v62 offset:16096
	s_wait_dscnt 0x0
	v_dual_mul_f32 v3, v47, v45 :: v_dual_mul_f32 v45, v46, v45
	s_delay_alu instid0(VALU_DEP_1) | instskip(NEXT) | instid1(VALU_DEP_1)
	v_dual_fma_f32 v3, v46, v44, -v3 :: v_dual_fmac_f32 v45, v47, v44
	v_dual_add_f32 v42, v42, v3 :: v_dual_add_f32 v43, v43, v45
	s_or_b32 exec_lo, exec_lo, s7
	s_and_saveexec_b32 s7, s16
	s_cbranch_execz .LBB145_716
.LBB145_1038:                           ;   in Loop: Header=BB145_3 Depth=1
	ds_load_b64 v[44:45], v61 offset:14848
	ds_load_b64 v[46:47], v62 offset:16104
	s_wait_dscnt 0x0
	v_dual_mul_f32 v3, v47, v45 :: v_dual_mul_f32 v45, v46, v45
	s_delay_alu instid0(VALU_DEP_1) | instskip(NEXT) | instid1(VALU_DEP_1)
	v_dual_fma_f32 v3, v46, v44, -v3 :: v_dual_fmac_f32 v45, v47, v44
	v_dual_add_f32 v42, v42, v3 :: v_dual_add_f32 v43, v43, v45
	s_or_b32 exec_lo, exec_lo, s7
	s_and_saveexec_b32 s7, s18
	s_cbranch_execz .LBB145_717
.LBB145_1039:                           ;   in Loop: Header=BB145_3 Depth=1
	ds_load_b64 v[44:45], v61 offset:15360
	ds_load_b64 v[46:47], v62 offset:16112
	s_wait_dscnt 0x0
	v_dual_mul_f32 v3, v47, v45 :: v_dual_mul_f32 v85, v46, v45
	s_delay_alu instid0(VALU_DEP_1) | instskip(NEXT) | instid1(VALU_DEP_1)
	v_dual_fma_f32 v84, v46, v44, -v3 :: v_dual_fmac_f32 v85, v47, v44
	v_pk_add_f32 v[42:43], v[42:43], v[84:85]
	s_or_b32 exec_lo, exec_lo, s7
	s_and_saveexec_b32 s7, s2
	s_cbranch_execnz .LBB145_718
	s_branch .LBB145_719
.LBB145_1040:                           ;   in Loop: Header=BB145_3 Depth=1
	ds_load_b64 v[44:45], v53 offset:6720
	ds_load_b64 v[46:47], v54 offset:7784
	s_wait_dscnt 0x0
	v_dual_mul_f32 v3, v47, v45 :: v_dual_mul_f32 v45, v46, v45
	s_delay_alu instid0(VALU_DEP_1) | instskip(NEXT) | instid1(VALU_DEP_1)
	v_dual_fma_f32 v3, v46, v44, -v3 :: v_dual_fmac_f32 v45, v47, v44
	v_dual_add_f32 v42, v42, v3 :: v_dual_add_f32 v43, v43, v45
	s_or_b32 exec_lo, exec_lo, s8
	s_and_saveexec_b32 s8, s14
	s_cbranch_execz .LBB145_803
.LBB145_1041:                           ;   in Loop: Header=BB145_3 Depth=1
	ds_load_b64 v[44:45], v53 offset:7232
	ds_load_b64 v[46:47], v54 offset:7792
	s_wait_dscnt 0x0
	v_dual_mul_f32 v3, v47, v45 :: v_dual_mul_f32 v85, v46, v45
	s_delay_alu instid0(VALU_DEP_1) | instskip(NEXT) | instid1(VALU_DEP_1)
	v_dual_fma_f32 v84, v46, v44, -v3 :: v_dual_fmac_f32 v85, v47, v44
	v_pk_add_f32 v[42:43], v[42:43], v[84:85]
	s_or_b32 exec_lo, exec_lo, s8
	s_and_saveexec_b32 s8, s1
	s_cbranch_execnz .LBB145_804
	s_branch .LBB145_805
.LBB145_1042:                           ;   in Loop: Header=BB145_3 Depth=1
	ds_load_b64 v[44:45], v57 offset:4608
	ds_load_b64 v[46:47], v58 offset:7752
	s_wait_dscnt 0x0
	v_dual_mul_f32 v3, v47, v45 :: v_dual_mul_f32 v45, v46, v45
	s_delay_alu instid0(VALU_DEP_1) | instskip(NEXT) | instid1(VALU_DEP_1)
	v_dual_fma_f32 v3, v46, v44, -v3 :: v_dual_fmac_f32 v45, v47, v44
	v_dual_add_f32 v42, v42, v3 :: v_dual_add_f32 v43, v43, v45
	s_or_b32 exec_lo, exec_lo, s8
	s_and_saveexec_b32 s8, s16
	s_cbranch_execz .LBB145_841
.LBB145_1043:                           ;   in Loop: Header=BB145_3 Depth=1
	ds_load_b64 v[44:45], v57 offset:5120
	ds_load_b64 v[46:47], v58 offset:7760
	s_wait_dscnt 0x0
	v_dual_mul_f32 v3, v47, v45 :: v_dual_mul_f32 v45, v46, v45
	s_delay_alu instid0(VALU_DEP_1) | instskip(NEXT) | instid1(VALU_DEP_1)
	v_dual_fma_f32 v3, v46, v44, -v3 :: v_dual_fmac_f32 v45, v47, v44
	v_dual_add_f32 v42, v42, v3 :: v_dual_add_f32 v43, v43, v45
	s_or_b32 exec_lo, exec_lo, s8
	s_and_saveexec_b32 s8, s17
	s_cbranch_execz .LBB145_842
.LBB145_1044:                           ;   in Loop: Header=BB145_3 Depth=1
	ds_load_b64 v[44:45], v57 offset:5632
	ds_load_b64 v[46:47], v58 offset:7768
	s_wait_dscnt 0x0
	v_dual_mul_f32 v3, v47, v45 :: v_dual_mul_f32 v45, v46, v45
	s_delay_alu instid0(VALU_DEP_1) | instskip(NEXT) | instid1(VALU_DEP_1)
	v_dual_fma_f32 v3, v46, v44, -v3 :: v_dual_fmac_f32 v45, v47, v44
	v_dual_add_f32 v42, v42, v3 :: v_dual_add_f32 v43, v43, v45
	s_or_b32 exec_lo, exec_lo, s8
	s_and_saveexec_b32 s8, s18
	s_cbranch_execz .LBB145_843
.LBB145_1045:                           ;   in Loop: Header=BB145_3 Depth=1
	ds_load_b64 v[44:45], v57 offset:6144
	ds_load_b64 v[46:47], v58 offset:7776
	s_wait_dscnt 0x0
	v_dual_mul_f32 v3, v47, v45 :: v_dual_mul_f32 v85, v46, v45
	s_delay_alu instid0(VALU_DEP_1) | instskip(NEXT) | instid1(VALU_DEP_1)
	v_dual_fma_f32 v84, v46, v44, -v3 :: v_dual_fmac_f32 v85, v47, v44
	v_pk_add_f32 v[42:43], v[42:43], v[84:85]
	s_or_b32 exec_lo, exec_lo, s8
	s_and_saveexec_b32 s8, s19
	s_cbranch_execz .LBB145_844
.LBB145_1046:                           ;   in Loop: Header=BB145_3 Depth=1
	ds_load_b64 v[44:45], v57 offset:6656
	ds_load_b64 v[46:47], v58 offset:7784
	s_wait_dscnt 0x0
	v_pk_mul_f32 v[84:85], v[46:47], v[44:45] op_sel:[1,1] op_sel_hi:[0,1]
	s_delay_alu instid0(VALU_DEP_1) | instskip(SKIP_1) | instid1(VALU_DEP_2)
	v_pk_fma_f32 v[86:87], v[46:47], v[44:45], v[84:85] op_sel_hi:[1,0,1]
	v_pk_fma_f32 v[44:45], v[46:47], v[44:45], v[84:85] neg_lo:[0,0,1] neg_hi:[0,0,1]
	v_mov_b32_e32 v45, v87
	s_delay_alu instid0(VALU_DEP_1)
	v_pk_add_f32 v[42:43], v[42:43], v[44:45]
	s_or_b32 exec_lo, exec_lo, s8
	s_and_saveexec_b32 s8, s2
	s_cbranch_execz .LBB145_845
.LBB145_1047:                           ;   in Loop: Header=BB145_3 Depth=1
	ds_load_b64 v[44:45], v57 offset:7168
	ds_load_b64 v[46:47], v58 offset:7792
	s_wait_dscnt 0x0
	v_pk_mul_f32 v[84:85], v[46:47], v[44:45] op_sel:[1,1] op_sel_hi:[0,1]
	s_delay_alu instid0(VALU_DEP_1) | instskip(SKIP_1) | instid1(VALU_DEP_2)
	v_pk_fma_f32 v[86:87], v[46:47], v[44:45], v[84:85] op_sel_hi:[1,0,1]
	v_pk_fma_f32 v[44:45], v[46:47], v[44:45], v[84:85] neg_lo:[0,0,1] neg_hi:[0,0,1]
	v_mov_b32_e32 v45, v87
	s_delay_alu instid0(VALU_DEP_1)
	v_pk_add_f32 v[42:43], v[42:43], v[44:45]
	s_or_b32 exec_lo, exec_lo, s8
	s_and_saveexec_b32 s8, s14
	s_cbranch_execnz .LBB145_846
	s_branch .LBB145_847
.LBB145_1048:                           ;   in Loop: Header=BB145_3 Depth=1
	ds_load_b64 v[44:45], v53 offset:2560
	ds_load_b64 v[46:47], v54 offset:3624
	s_wait_dscnt 0x0
	v_dual_mul_f32 v3, v47, v45 :: v_dual_mul_f32 v45, v46, v45
	s_delay_alu instid0(VALU_DEP_1) | instskip(NEXT) | instid1(VALU_DEP_1)
	v_dual_fma_f32 v3, v46, v44, -v3 :: v_dual_fmac_f32 v45, v47, v44
	v_dual_add_f32 v42, v42, v3 :: v_dual_add_f32 v43, v43, v45
	s_or_b32 exec_lo, exec_lo, s8
	s_and_saveexec_b32 s8, s14
	s_cbranch_execz .LBB145_899
.LBB145_1049:                           ;   in Loop: Header=BB145_3 Depth=1
	ds_load_b64 v[44:45], v53 offset:3072
	ds_load_b64 v[46:47], v54 offset:3632
	s_wait_dscnt 0x0
	v_dual_mul_f32 v3, v47, v45 :: v_dual_mul_f32 v85, v46, v45
	s_delay_alu instid0(VALU_DEP_1) | instskip(NEXT) | instid1(VALU_DEP_1)
	v_dual_fma_f32 v84, v46, v44, -v3 :: v_dual_fmac_f32 v85, v47, v44
	v_pk_add_f32 v[42:43], v[42:43], v[84:85]
	s_or_b32 exec_lo, exec_lo, s8
	s_and_saveexec_b32 s8, s1
	s_cbranch_execnz .LBB145_900
	s_branch .LBB145_901
.LBB145_1050:
	s_endpgm
	.section	.rodata,"a",@progbits
	.p2align	6, 0x0
	.amdhsa_kernel _ZL19rocblas_trsv_deviceILi64ELi16ELb0ELb0ELb0ELb1E19rocblas_complex_numIfEPKS1_PKS3_PKPS1_EviT7_lllT6_T8_lllPii
		.amdhsa_group_segment_fixed_size 41480
		.amdhsa_private_segment_fixed_size 48
		.amdhsa_kernarg_size 352
		.amdhsa_user_sgpr_count 2
		.amdhsa_user_sgpr_dispatch_ptr 0
		.amdhsa_user_sgpr_queue_ptr 0
		.amdhsa_user_sgpr_kernarg_segment_ptr 1
		.amdhsa_user_sgpr_dispatch_id 0
		.amdhsa_user_sgpr_kernarg_preload_length 0
		.amdhsa_user_sgpr_kernarg_preload_offset 0
		.amdhsa_user_sgpr_private_segment_size 0
		.amdhsa_wavefront_size32 1
		.amdhsa_uses_dynamic_stack 0
		.amdhsa_enable_private_segment 1
		.amdhsa_system_sgpr_workgroup_id_x 1
		.amdhsa_system_sgpr_workgroup_id_y 0
		.amdhsa_system_sgpr_workgroup_id_z 1
		.amdhsa_system_sgpr_workgroup_info 0
		.amdhsa_system_vgpr_workitem_id 1
		.amdhsa_next_free_vgpr 94
		.amdhsa_next_free_sgpr 105
		.amdhsa_named_barrier_count 0
		.amdhsa_reserve_vcc 1
		.amdhsa_float_round_mode_32 0
		.amdhsa_float_round_mode_16_64 0
		.amdhsa_float_denorm_mode_32 3
		.amdhsa_float_denorm_mode_16_64 3
		.amdhsa_fp16_overflow 0
		.amdhsa_memory_ordered 1
		.amdhsa_forward_progress 1
		.amdhsa_inst_pref_size 255
		.amdhsa_round_robin_scheduling 0
		.amdhsa_exception_fp_ieee_invalid_op 0
		.amdhsa_exception_fp_denorm_src 0
		.amdhsa_exception_fp_ieee_div_zero 0
		.amdhsa_exception_fp_ieee_overflow 0
		.amdhsa_exception_fp_ieee_underflow 0
		.amdhsa_exception_fp_ieee_inexact 0
		.amdhsa_exception_int_div_zero 0
	.end_amdhsa_kernel
	.section	.text._ZL19rocblas_trsv_deviceILi64ELi16ELb0ELb0ELb0ELb1E19rocblas_complex_numIfEPKS1_PKS3_PKPS1_EviT7_lllT6_T8_lllPii,"axG",@progbits,_ZL19rocblas_trsv_deviceILi64ELi16ELb0ELb0ELb0ELb1E19rocblas_complex_numIfEPKS1_PKS3_PKPS1_EviT7_lllT6_T8_lllPii,comdat
.Lfunc_end145:
	.size	_ZL19rocblas_trsv_deviceILi64ELi16ELb0ELb0ELb0ELb1E19rocblas_complex_numIfEPKS1_PKS3_PKPS1_EviT7_lllT6_T8_lllPii, .Lfunc_end145-_ZL19rocblas_trsv_deviceILi64ELi16ELb0ELb0ELb0ELb1E19rocblas_complex_numIfEPKS1_PKS3_PKPS1_EviT7_lllT6_T8_lllPii
                                        ; -- End function
	.set _ZL19rocblas_trsv_deviceILi64ELi16ELb0ELb0ELb0ELb1E19rocblas_complex_numIfEPKS1_PKS3_PKPS1_EviT7_lllT6_T8_lllPii.num_vgpr, 94
	.set _ZL19rocblas_trsv_deviceILi64ELi16ELb0ELb0ELb0ELb1E19rocblas_complex_numIfEPKS1_PKS3_PKPS1_EviT7_lllT6_T8_lllPii.num_agpr, 0
	.set _ZL19rocblas_trsv_deviceILi64ELi16ELb0ELb0ELb0ELb1E19rocblas_complex_numIfEPKS1_PKS3_PKPS1_EviT7_lllT6_T8_lllPii.numbered_sgpr, 105
	.set _ZL19rocblas_trsv_deviceILi64ELi16ELb0ELb0ELb0ELb1E19rocblas_complex_numIfEPKS1_PKS3_PKPS1_EviT7_lllT6_T8_lllPii.num_named_barrier, 0
	.set _ZL19rocblas_trsv_deviceILi64ELi16ELb0ELb0ELb0ELb1E19rocblas_complex_numIfEPKS1_PKS3_PKPS1_EviT7_lllT6_T8_lllPii.private_seg_size, 48
	.set _ZL19rocblas_trsv_deviceILi64ELi16ELb0ELb0ELb0ELb1E19rocblas_complex_numIfEPKS1_PKS3_PKPS1_EviT7_lllT6_T8_lllPii.uses_vcc, 1
	.set _ZL19rocblas_trsv_deviceILi64ELi16ELb0ELb0ELb0ELb1E19rocblas_complex_numIfEPKS1_PKS3_PKPS1_EviT7_lllT6_T8_lllPii.uses_flat_scratch, 0
	.set _ZL19rocblas_trsv_deviceILi64ELi16ELb0ELb0ELb0ELb1E19rocblas_complex_numIfEPKS1_PKS3_PKPS1_EviT7_lllT6_T8_lllPii.has_dyn_sized_stack, 0
	.set _ZL19rocblas_trsv_deviceILi64ELi16ELb0ELb0ELb0ELb1E19rocblas_complex_numIfEPKS1_PKS3_PKPS1_EviT7_lllT6_T8_lllPii.has_recursion, 0
	.set _ZL19rocblas_trsv_deviceILi64ELi16ELb0ELb0ELb0ELb1E19rocblas_complex_numIfEPKS1_PKS3_PKPS1_EviT7_lllT6_T8_lllPii.has_indirect_call, 0
	.section	.AMDGPU.csdata,"",@progbits
; Kernel info:
; codeLenInByte = 38092
; TotalNumSgprs: 107
; NumVgprs: 94
; ScratchSize: 48
; MemoryBound: 0
; FloatMode: 240
; IeeeMode: 1
; LDSByteSize: 41480 bytes/workgroup (compile time only)
; SGPRBlocks: 0
; VGPRBlocks: 5
; NumSGPRsForWavesPerEU: 107
; NumVGPRsForWavesPerEU: 94
; NamedBarCnt: 0
; Occupancy: 10
; WaveLimiterHint : 1
; COMPUTE_PGM_RSRC2:SCRATCH_EN: 1
; COMPUTE_PGM_RSRC2:USER_SGPR: 2
; COMPUTE_PGM_RSRC2:TRAP_HANDLER: 0
; COMPUTE_PGM_RSRC2:TGID_X_EN: 1
; COMPUTE_PGM_RSRC2:TGID_Y_EN: 0
; COMPUTE_PGM_RSRC2:TGID_Z_EN: 1
; COMPUTE_PGM_RSRC2:TIDIG_COMP_CNT: 1
	.section	.text._ZL19rocblas_trsv_deviceILi64ELi16ELb0ELb1ELb0ELb1E19rocblas_complex_numIfEPKS1_PKS3_PKPS1_EviT7_lllT6_T8_lllPii,"axG",@progbits,_ZL19rocblas_trsv_deviceILi64ELi16ELb0ELb1ELb0ELb1E19rocblas_complex_numIfEPKS1_PKS3_PKPS1_EviT7_lllT6_T8_lllPii,comdat
	.globl	_ZL19rocblas_trsv_deviceILi64ELi16ELb0ELb1ELb0ELb1E19rocblas_complex_numIfEPKS1_PKS3_PKPS1_EviT7_lllT6_T8_lllPii ; -- Begin function _ZL19rocblas_trsv_deviceILi64ELi16ELb0ELb1ELb0ELb1E19rocblas_complex_numIfEPKS1_PKS3_PKPS1_EviT7_lllT6_T8_lllPii
	.p2align	8
	.type	_ZL19rocblas_trsv_deviceILi64ELi16ELb0ELb1ELb0ELb1E19rocblas_complex_numIfEPKS1_PKS3_PKPS1_EviT7_lllT6_T8_lllPii,@function
_ZL19rocblas_trsv_deviceILi64ELi16ELb0ELb1ELb0ELb1E19rocblas_complex_numIfEPKS1_PKS3_PKPS1_EviT7_lllT6_T8_lllPii: ; @_ZL19rocblas_trsv_deviceILi64ELi16ELb0ELb1ELb0ELb1E19rocblas_complex_numIfEPKS1_PKS3_PKPS1_EviT7_lllT6_T8_lllPii
; %bb.0:
	s_load_b32 s63, s[0:1], 0x58
	s_bfe_u32 s2, ttmp6, 0x40014
	s_lshr_b32 s3, ttmp7, 16
	s_add_co_i32 s2, s2, 1
	s_bfe_u32 s5, ttmp6, 0x40008
	s_mul_i32 s4, s3, s2
	s_getreg_b32 s2, hwreg(HW_REG_IB_STS2, 6, 4)
	s_add_co_i32 s5, s5, s4
	s_cmp_eq_u32 s2, 0
	s_mov_b32 s77, 0
	s_cselect_b32 s76, s3, s5
	s_wait_kmcnt 0x0
	s_cmp_ge_u32 s76, s63
	s_cbranch_scc1 .LBB146_1112
; %bb.1:
	s_clause 0x3
	s_load_b32 s3, s[0:1], 0x6c
	s_load_b32 s84, s[0:1], 0x0
	s_load_b64 s[12:13], s[0:1], 0x18
	s_load_b256 s[64:71], s[0:1], 0x28
	s_bfe_u32 s5, ttmp6, 0x4000c
	s_and_b32 s4, ttmp6, 15
	s_add_co_i32 s5, s5, 1
	s_clause 0x1
	s_load_b64 s[78:79], s[0:1], 0x50
	s_load_b128 s[72:75], s[0:1], 0x8
	s_mul_i32 s5, ttmp9, s5
	v_and_b32_e32 v4, 0x3ff, v0
	s_add_co_i32 s4, s4, s5
	s_cmp_eq_u32 s2, 0
	v_bfe_u32 v2, v0, 10, 10
	s_cselect_b32 s85, ttmp9, s4
	v_dual_mov_b32 v1, 0 :: v_dual_lshlrev_b32 v14, 6, v4
	v_cmp_gt_u32_e64 s5, 2, v4
	s_delay_alu instid0(VALU_DEP_3)
	v_add_nc_u32_e32 v24, 16, v2
	v_lshl_add_u32 v35, v2, 6, v4
	s_wait_kmcnt 0x0
	s_and_b32 s0, s3, 0xffff
	s_add_co_i32 s1, s84, -1
	s_ashr_i32 s2, s84, 31
	s_ashr_i32 s3, s1, 31
	s_lshr_b32 s2, s2, 26
	s_lshr_b32 s3, s3, 26
	s_add_co_i32 s2, s84, s2
	s_add_co_i32 s1, s1, s3
	s_and_not1_b32 s2, s2, 63
	s_ashr_i32 s1, s1, 6
	s_sub_co_i32 s19, s84, s2
	s_cmp_eq_u32 s1, s85
	v_mov_b32_e32 v7, v1
	s_cselect_b32 s1, -1, 0
	s_cmp_lg_u32 s19, 0
	v_sub_co_u32 v5, s3, s85, 1
	s_cselect_b32 s2, -1, 0
	s_lshl_b32 s14, s85, 6
	s_and_b32 s11, s2, s1
	v_mad_u32_u24 v6, v2, s0, v4
	s_xor_b32 s0, s3, -1
	s_xor_b32 s87, s11, -1
	v_dual_add_nc_u32 v3, v2, v14 :: v_dual_add_nc_u32 v12, v24, v14
	s_cmp_lt_i32 s85, 5
	v_lshl_add_u32 v13, v24, 6, v4
	s_cselect_b32 vcc_lo, -1, 0
	s_add_nc_u64 s[2:3], s[12:13], 1
	v_cndmask_b32_e32 v29, v35, v3, vcc_lo
	s_or_b32 vcc_lo, vcc_lo, s11
	v_dual_cndmask_b32 v34, v13, v12 :: v_dual_lshrrev_b32 v3, 1, v35
	v_dual_lshrrev_b32 v12, 10, v0 :: v_dual_bitop2_b32 v13, 1, v0 bitop3:0x40
	s_ashr_i32 s15, s14, 31
	s_delay_alu instid0(VALU_DEP_2) | instskip(SKIP_1) | instid1(VALU_DEP_2)
	v_lshlrev_b32_e32 v15, 9, v3
	s_mul_u64 s[16:17], s[2:3], s[14:15]
	v_bitop3_b32 v40, v0, v12, 0x3ff bitop3:0xa8
	v_lshlrev_b32_e32 v55, 3, v13
	v_cmp_gt_u32_e64 s1, 4, v35
	v_sub_nc_u32_e32 v56, 0, v15
	v_cmp_eq_u32_e64 s3, 1, v13
	v_cmp_eq_u32_e64 s4, 0, v13
	;; [unrolled: 1-line block ×3, first 2 shown]
	v_dual_sub_nc_u32 v58, v55, v15 :: v_dual_bitop2_b32 v12, 3, v0 bitop3:0x40
	v_lshl_add_u32 v54, v3, 3, 0x8000
	v_dual_lshlrev_b32 v57, 3, v4 :: v_dual_lshrrev_b32 v3, 2, v35
	s_and_b32 s89, s3, s1
	s_and_b32 s90, s4, s1
	;; [unrolled: 1-line block ×3, first 2 shown]
	v_cmp_gt_u32_e64 s3, 16, v35
	v_cmp_eq_u32_e64 s4, 3, v12
	v_cmp_ne_u32_e64 s5, 3, v12
	v_dual_lshlrev_b32 v13, 9, v3 :: v_dual_lshlrev_b32 v61, 3, v12
	v_lshl_add_u32 v60, v3, 3, 0x8000
	s_and_b32 s92, s4, s3
	v_cmp_eq_u32_e64 s4, 2, v12
	v_cmp_gt_u32_e64 s6, 2, v12
	s_and_b32 s93, s5, s3
	v_cmp_eq_u32_e64 s5, 1, v12
	v_cmp_eq_u32_e64 s7, 0, v12
	v_dual_lshlrev_b32 v12, 6, v35 :: v_dual_bitop2_b32 v3, -8, v35 bitop3:0x40
	v_dual_sub_nc_u32 v62, 0, v13 :: v_dual_sub_nc_u32 v64, v61, v13
	s_and_b32 s94, s4, s3
	v_cmp_gt_u32_e64 s4, 4, v4
	s_delay_alu instid0(VALU_DEP_3)
	v_add_nc_u32_e32 v66, 0x8000, v3
	v_and_b32_e32 v3, 0xfffffe00, v12
	v_and_b32_e32 v13, 7, v0
	s_and_b32 s95, s6, s3
	s_and_b32 s96, s5, s3
	;; [unrolled: 1-line block ×3, first 2 shown]
	v_cmp_gt_u32_e64 s4, 64, v35
	v_sub_nc_u32_e32 v68, 0, v3
	v_cmp_eq_u32_e64 s5, 7, v13
	v_cmp_ne_u32_e64 s6, 7, v13
	s_and_b32 s97, s7, s3
	v_dual_lshlrev_b32 v67, 3, v13 :: v_dual_lshrrev_b32 v12, 4, v35
	s_and_b32 s99, s5, s4
	v_cmp_gt_u32_e64 s5, 6, v13
	s_and_b32 s100, s6, s4
	v_cmp_eq_u32_e64 s6, 5, v13
	v_cmp_eq_u32_e64 s7, 6, v13
	v_dual_sub_nc_u32 v69, v67, v3 :: v_dual_bitop2_b32 v3, 15, v0 bitop3:0x40
	s_and_b32 s102, s5, s4
	v_cmp_eq_u32_e64 s5, 4, v13
	s_and_b32 s103, s6, s4
	v_cmp_eq_u32_e64 s6, 3, v13
	s_and_b32 s101, s7, s4
	v_cmp_gt_u32_e64 s7, 5, v13
	s_and_b32 vcc_hi, s5, s4
	v_cmp_gt_u32_e64 s5, 3, v13
	s_and_b32 s39, s6, s4
	v_cmp_gt_u32_e64 s6, 2, v13
	v_cmp_gt_u32_e64 s9, 4, v13
	s_and_b32 s104, s7, s4
	s_and_b32 s40, s5, s4
	v_cmp_eq_u32_e64 s5, 0, v13
	s_and_b32 s42, s6, s4
	v_cmp_gt_u32_e64 s6, 8, v4
	v_cmp_eq_u32_e64 s7, 2, v13
                                        ; implicit-def: $vgpr111 : SGPR spill to VGPR lane
	s_and_b32 s38, s9, s4
	s_and_b32 s44, s5, s4
	v_cmp_gt_u32_e64 s5, 0x100, v35
	s_and_b32 s45, s2, s6
	v_cmp_eq_u32_e64 s6, 15, v3
	v_writelane_b32 v111, s0, 0
	v_cmp_eq_u32_e64 s9, 1, v13
	s_and_b32 s41, s7, s4
	v_cmp_ne_u32_e64 s7, 15, v3
	s_and_b32 s6, s6, s5
	v_cmp_gt_u32_e64 s10, 14, v3
	v_writelane_b32 v111, s6, 1
	s_and_b32 s43, s9, s4
	v_cmp_eq_u32_e64 s9, 14, v3
	s_and_b32 s6, s7, s5
	v_mad_u32_u24 v59, 0x1f8, v4, v57
	v_writelane_b32 v111, s6, 2
	v_cmp_eq_u32_e64 s6, 13, v3
	s_and_b32 s7, s9, s5
	v_cmp_eq_u32_e64 s9, 12, v3
	v_mad_i32_i24 v63, 0xfffffe08, v4, v59
	v_writelane_b32 v111, s7, 3
	s_and_b32 s7, s10, s5
	s_and_b32 s6, s6, s5
	v_cmp_eq_u32_e64 s10, 11, v3
	v_dual_add_nc_u32 v28, s14, v2 :: v_dual_add_nc_u32 v26, s14, v4
	v_writelane_b32 v111, s7, 4
	v_cmp_gt_u32_e64 s7, 13, v3
	s_and_b32 s55, s10, s5
	v_cmp_gt_u32_e64 s10, 9, v3
	v_lshl_add_u32 v70, v12, 3, 0x8000
	v_writelane_b32 v111, s6, 5
	v_cmp_gt_u32_e64 s6, 12, v3
	s_and_b32 s7, s7, s5
	s_and_b32 s60, s10, s5
	v_cmp_eq_u32_e64 s10, 6, v3
	v_writelane_b32 v111, s7, 6
	s_and_b32 s54, s6, s5
	v_cmp_eq_u32_e64 s6, 10, v3
	s_and_b32 s7, s9, s5
	v_cmp_gt_u32_e64 s9, 10, v3
	v_writelane_b32 v111, s7, 7
	v_cmp_gt_u32_e64 s7, 11, v3
	s_and_b32 s57, s6, s5
	v_cmp_eq_u32_e64 s6, 8, v3
	s_and_b32 s58, s9, s5
	v_cmp_eq_u32_e64 s9, 7, v3
	;; [unrolled: 2-line block ×3, first 2 shown]
	s_and_b32 s61, s6, s5
	v_cmp_gt_u32_e64 s6, 7, v3
	s_and_b32 s23, s9, s5
	v_cmp_gt_u32_e64 s9, 5, v3
	;; [unrolled: 2-line block ×3, first 2 shown]
	s_and_b32 s25, s6, s5
	v_cmp_eq_u32_e64 s6, 5, v3
	s_and_b32 s34, s9, s5
	v_cmp_eq_u32_e64 s9, 2, v3
	s_and_b32 s18, s7, s5
	v_cmp_gt_u32_e64 s7, 6, v3
	s_and_b32 s31, s6, s5
	v_cmp_eq_u32_e64 s6, 3, v3
	s_and_b32 s27, s10, s5
	v_cmp_gt_u32_e64 s10, 4, v3
	;; [unrolled: 4-line block ×3, first 2 shown]
	s_and_b32 s30, s9, s5
	v_cmp_le_i32_e64 s9, s19, v4
	s_and_b32 s46, s7, s5
	v_cmp_gt_u32_e64 s7, 3, v3
	s_and_b32 s33, s6, s5
	v_cmp_gt_u32_e64 s6, 16, v4
	v_dual_lshlrev_b32 v12, 9, v12 :: v_dual_lshlrev_b32 v71, 3, v3
	s_and_b32 s28, s7, s5
	v_cmp_eq_u32_e64 s7, 0, v3
	s_and_b32 s48, s2, s6
	v_cmp_gt_u32_e64 s6, 32, v4
	s_and_b32 s24, s10, s5
	v_cmp_eq_u32_e64 s10, 1, v3
	s_and_b32 s49, s9, s11
	v_mad_u32_u24 v65, 0x1f8, v4, v63
	v_subrev_nc_u32_e32 v8, 64, v28
	v_cmp_gt_i32_e64 s8, s19, v4
	v_dual_sub_nc_u32 v72, 0, v12 :: v_dual_lshrrev_b32 v3, 5, v35
	s_and_b32 s47, s7, s5
	s_xor_b32 s7, s49, -1
	s_and_b32 s6, s2, s6
	v_dual_add_nc_u32 v30, 32, v2 :: v_dual_add_nc_u32 v32, 48, v2
	s_xor_b32 s88, vcc_lo, -1
	s_and_b32 s86, s10, s5
	v_writelane_b32 v111, s6, 8
	s_and_b32 s50, s2, s7
	s_cmp_gt_i32 s85, 0
	v_add_nc_u64_e32 v[22:23], s[14:15], v[6:7]
	v_mad_i32_i24 v7, 0xfffffe08, v4, v65
	v_dual_ashrrev_i32 v27, 31, v26 :: v_dual_ashrrev_i32 v9, 31, v8
	v_cmp_gt_i32_e64 s0, s84, v26
	v_dual_lshlrev_b32 v0, 9, v3 :: v_dual_bitop2_b32 v73, 31, v0 bitop3:0x40
	v_lshl_add_u32 v76, v3, 3, 0x8000
	s_cselect_b32 s51, -1, 0
	v_subrev_nc_u32_e32 v3, 48, v28
	v_cmp_gt_i32_e64 s10, s84, v8
	v_dual_add_nc_u32 v15, v30, v14 :: v_dual_add_nc_u32 v17, v32, v14
	v_lshl_add_u32 v16, v30, 6, v4
	v_lshl_add_u32 v18, v32, 6, v4
	s_and_b32 s8, s2, s8
	v_mad_u32_u24 v79, 0x1f8, v4, v7
	v_writelane_b32 v111, s8, 9
	v_mul_u64_e32 v[10:11], s[12:13], v[26:27]
	v_dual_sub_nc_u32 v74, v71, v12 :: v_dual_lshlrev_b32 v75, 3, v73
	v_mul_u64_e32 v[12:13], s[70:71], v[26:27]
	v_subrev_nc_u32_e32 v27, 32, v28
	v_cmp_gt_i32_e64 s11, s84, v3
	v_dual_cndmask_b32 v38, v16, v15 :: v_dual_mov_b32 v31, v1
	v_dual_mov_b32 v33, v1 :: v_dual_cndmask_b32 v39, v18, v17, vcc_lo
	v_cmp_le_i32_e32 vcc_lo, s19, v2
	s_and_b32 s8, s10, s0
	v_mad_i32_i24 v80, 0xfffffe08, v4, v79
	v_writelane_b32 v111, s8, 10
	s_and_b32 s8, s11, s0
	s_or_b32 s15, vcc_lo, s9
	v_cmp_gt_i32_e32 vcc_lo, s84, v27
	v_dual_sub_nc_u32 v77, 0, v0 :: v_dual_sub_nc_u32 v78, v75, v0
	v_writelane_b32 v111, s8, 11
	v_dual_mov_b32 v25, v1 :: v_dual_add_nc_u32 v0, s14, v6
	v_mov_b32_e32 v3, v1
	v_mad_u32_u24 v81, 0x1f8, v4, v80
	v_cmp_ge_u32_e64 s6, v4, v2
	s_and_b32 s8, vcc_lo, s0
	v_mul_u64_e32 v[14:15], s[12:13], v[24:25]
	v_writelane_b32 v111, s8, 12
	v_mul_u64_e32 v[16:17], s[12:13], v[30:31]
	v_mul_u64_e32 v[18:19], s[12:13], v[32:33]
	v_mul_u64_e32 v[20:21], s[12:13], v[2:3]
	v_cmp_le_i32_e64 s12, s19, v24
	v_mad_i32_i24 v3, 0xfffffe08, v4, v81
	v_cmp_ge_u32_e64 s7, v4, v24
	v_cmp_le_i32_e64 s13, s19, v30
	v_cmp_le_i32_e64 s14, s19, v32
	s_or_b32 s8, s15, s6
	s_or_b32 s12, s12, s9
	v_writelane_b32 v111, s8, 13
	v_mad_u32_u24 v82, 0x1f8, v4, v3
	s_or_b32 s13, s13, s9
	s_or_b32 s14, s14, s9
	v_cmp_ge_u32_e64 s8, v4, v30
	s_or_b32 s9, s12, s7
	v_mad_i32_i24 v83, 0xfffffe08, v4, v82
	v_writelane_b32 v111, s9, 14
	v_add_max_i32_e64 v41, v28, -16, v26
	s_or_b32 s9, s13, s8
	v_mbcnt_lo_u32_b32 v25, -1, 0
	v_mad_u32_u24 v84, 0x1f8, v4, v83
	v_writelane_b32 v111, s9, 15
	v_cmp_ge_u32_e64 s9, v4, v32
	s_delay_alu instid0(VALU_DEP_4) | instskip(NEXT) | instid1(VALU_DEP_4)
	v_dual_lshlrev_b32 v37, 20, v25 :: v_dual_bitop2_b32 v42, v24, v4 bitop3:0x54
	v_mad_i32_i24 v86, 0xfffffe08, v4, v84
	v_lshlrev_b32_e32 v26, 3, v2
	s_or_b32 s10, s14, s9
	v_or_b32_e32 v43, v30, v4
	v_writelane_b32 v111, s10, 16
	v_cmp_le_i32_e64 s10, s84, v41
	v_mad_u32_u24 v89, 0x1f8, v4, v86
                                        ; implicit-def: $vgpr110 : SGPR spill to VGPR lane
	v_dual_mov_b32 v36, 0 :: v_dual_lshlrev_b32 v85, 3, v29
	v_lshlrev_b32_e32 v87, 3, v34
	s_delay_alu instid0(VALU_DEP_4)
	v_writelane_b32 v111, s10, 17
	v_cmp_gt_u32_e64 s10, 64, v40
	v_add_nc_u32_e32 v92, v89, v26
	v_add_nc_u64_e32 v[24:25], src_flat_scratch_base_lo, v[36:37]
	v_mov_b32_e32 v36, 8
	v_or_b32_e32 v91, 0xa000, v26
	v_writelane_b32 v111, s10, 18
	v_cmp_gt_u32_e64 s10, 64, v42
	v_or_b32_e32 v44, v32, v4
	v_add_nc_u64_e32 v[26:27], src_flat_scratch_base_lo, v[36:37]
	v_mov_b32_e32 v36, 16
	v_mul_i32_i24_e32 v93, 0xfffffe08, v4
	v_writelane_b32 v111, s10, 19
	v_cmp_gt_u32_e64 s10, 64, v43
	v_mul_u64_e32 v[22:23], s[70:71], v[22:23]
	v_add_nc_u64_e32 v[28:29], src_flat_scratch_base_lo, v[36:37]
	v_mov_b32_e32 v36, 24
	v_mad_u32_u24 v32, 0x1f8, v4, v93
	v_writelane_b32 v111, s10, 20
	v_cmp_gt_u32_e64 s10, 0xf0, v35
	v_dual_lshlrev_b32 v88, 3, v38 :: v_dual_lshlrev_b32 v90, 3, v39
	s_delay_alu instid0(VALU_DEP_4) | instskip(SKIP_1) | instid1(VALU_DEP_4)
	v_mad_u32 v97, v32, 7, v57
	v_mul_u64_e32 v[32:33], s[70:71], v[0:1]
	v_writelane_b32 v111, s10, 21
	v_cmp_gt_u32_e64 s10, 0xe0, v35
	v_cmp_lt_u32_e32 vcc_lo, 0x3ff, v35
	v_add_nc_u64_e32 v[30:31], src_flat_scratch_base_lo, v[36:37]
	v_mov_b64_e32 v[36:37], 0
	v_mov_b64_e32 v[38:39], 0x3f800000
	v_writelane_b32 v111, s10, 22
	v_cmp_gt_u32_e64 s10, 0xd0, v35
	v_lshl_add_u32 v94, v6, 3, 0xa000
	v_lshl_add_u32 v95, v35, 3, 0x8000
	v_add_nc_u32_e32 v96, 0x8000, v57
	s_lshl_b64 s[80:81], s[16:17], 3
	v_writelane_b32 v111, s10, 23
	v_cmp_gt_u32_e64 s10, 0xc0, v35
	v_lshl_add_u32 v98, v2, 9, v83
	v_dual_add_nc_u32 v99, v91, v57 :: v_dual_lshlrev_b32 v34, 3, v4
	v_or_b32_e32 v100, 0x3800, v75
	s_delay_alu instid0(VALU_DEP_4)
	v_writelane_b32 v111, s10, 24
	v_cmp_gt_u32_e64 s10, 0xb0, v35
	v_subrev_nc_u32_e32 v101, 31, v73
	v_cmp_eq_u32_e64 s11, 0, v40
	v_cmp_gt_u32_e64 s14, 2, v35
	v_cmp_gt_u32_e64 s15, 12, v35
	v_writelane_b32 v111, s10, 25
	v_cmp_gt_u32_e64 s10, 0xa0, v35
	v_cmp_gt_u32_e64 s16, 8, v35
	;; [unrolled: 1-line block ×5, first 2 shown]
	v_writelane_b32 v111, s10, 26
	v_cmp_gt_u32_e64 s10, 0x90, v35
	v_cmp_gt_u32_e64 s21, 32, v35
	;; [unrolled: 1-line block ×4, first 2 shown]
	v_cmp_eq_u32_e64 s36, 0, v6
	v_writelane_b32 v111, s10, 27
	v_cmp_gt_u32_e64 s10, 0x80, v35
	v_cmp_gt_u32_e64 s37, 64, v6
	s_xor_b32 s12, vcc_lo, -1
	s_lshl_b64 s[74:75], s[74:75], 3
	s_lshl_b64 s[68:69], s[68:69], 3
	v_writelane_b32 v111, s10, 28
	v_cmp_gt_u32_e64 s10, 0x70, v35
	s_delay_alu instid0(VALU_DEP_1) | instskip(SKIP_1) | instid1(VALU_DEP_1)
	v_writelane_b32 v111, s10, 29
	v_cmp_gt_u32_e64 s10, 0x60, v35
	v_writelane_b32 v111, s10, 30
	v_cmp_gt_u32_e64 s10, 0x50, v35
	s_delay_alu instid0(VALU_DEP_1) | instskip(SKIP_1) | instid1(VALU_DEP_1)
	v_writelane_b32 v111, s10, 31
	v_cmp_gt_u32_e64 s10, 0x3e0, v35
	;; [unrolled: 5-line block ×13, first 2 shown]
	v_writelane_b32 v110, s10, 22
	v_cmp_gt_u32_e64 s10, 0x120, v35
	s_delay_alu instid0(VALU_DEP_1)
	v_writelane_b32 v110, s10, 23
	s_branch .LBB146_3
.LBB146_2:                              ;   in Loop: Header=BB146_3 Depth=1
	s_wait_xcnt 0x0
	s_or_b32 exec_lo, exec_lo, s10
	s_add_co_i32 s76, s76, 0x10000
	global_wb scope:SCOPE_DEV
	s_wait_storecnt 0x0
	global_inv scope:SCOPE_DEV
	s_cmp_lt_u32 s76, s63
	s_cbranch_scc0 .LBB146_1112
.LBB146_3:                              ; =>This Loop Header: Depth=1
                                        ;     Child Loop BB146_539 Depth 2
                                        ;     Child Loop BB146_987 Depth 2
                                        ;       Child Loop BB146_989 Depth 3
                                        ;     Child Loop BB146_1018 Depth 2
	v_mov_b32_e32 v0, s76
	v_readlane_b32 s10, v111, 0
	s_clause 0x1
	global_load_b64 v[40:41], v0, s[72:73] scale_offset
	global_load_b64 v[44:45], v0, s[66:67] scale_offset
	global_load_b64 v[42:43], v1, s[64:65]
	s_and_not1_b32 vcc_lo, exec_lo, s10
	s_wait_loadcnt 0x2
	v_add_nc_u64_e32 v[46:47], s[74:75], v[40:41]
	s_delay_alu instid0(VALU_DEP_1)
	v_lshl_add_u64 v[40:41], v[10:11], 3, v[46:47]
	s_cbranch_vccnz .LBB146_15
; %bb.4:                                ;   in Loop: Header=BB146_3 Depth=1
	s_delay_alu instid0(VALU_DEP_1)
	v_lshl_add_u64 v[48:49], v[8:9], 3, v[40:41]
	v_dual_mov_b32 v50, 0 :: v_dual_mov_b32 v52, 0
	v_mov_b32_e32 v53, 0
	s_wait_loadcnt 0x0
	s_barrier_signal -1
	s_barrier_wait -1
	s_wait_xcnt 0x0
	s_mov_b32 s10, exec_lo
	v_readlane_b32 s13, v111, 10
	s_and_b32 s13, s10, s13
	s_delay_alu instid0(SALU_CYCLE_1)
	s_mov_b32 exec_lo, s13
	s_cbranch_execz .LBB146_6
; %bb.5:                                ;   in Loop: Header=BB146_3 Depth=1
	flat_load_b64 v[52:53], v[48:49]
.LBB146_6:                              ;   in Loop: Header=BB146_3 Depth=1
	s_wait_xcnt 0x0
	s_or_b32 exec_lo, exec_lo, s10
	v_mov_b32_e32 v51, 0
	s_wait_loadcnt_dscnt 0x0
	scratch_store_b64 off, v[52:53], off
	s_wait_storecnt 0x0
	s_barrier_signal -1
	s_barrier_wait -1
	s_wait_xcnt 0x0
	s_mov_b32 s10, exec_lo
	v_readlane_b32 s13, v111, 11
	s_and_b32 s13, s10, s13
	s_delay_alu instid0(SALU_CYCLE_1)
	s_mov_b32 exec_lo, s13
	s_cbranch_execz .LBB146_8
; %bb.7:                                ;   in Loop: Header=BB146_3 Depth=1
	flat_load_b64 v[50:51], v[48:49] offset:128
.LBB146_8:                              ;   in Loop: Header=BB146_3 Depth=1
	s_wait_xcnt 0x0
	s_or_b32 exec_lo, exec_lo, s10
	s_wait_loadcnt_dscnt 0x0
	scratch_store_b64 off, v[50:51], off offset:8
	s_wait_xcnt 0x0
	v_dual_mov_b32 v50, 0 :: v_dual_mov_b32 v51, 0
	s_wait_storecnt 0x0
	s_barrier_signal -1
	s_barrier_wait -1
	s_mov_b32 s10, exec_lo
	v_readlane_b32 s13, v111, 12
	s_and_b32 s13, s10, s13
	s_delay_alu instid0(SALU_CYCLE_1)
	s_mov_b32 exec_lo, s13
	s_cbranch_execz .LBB146_10
; %bb.9:                                ;   in Loop: Header=BB146_3 Depth=1
	flat_load_b64 v[50:51], v[48:49] offset:256
.LBB146_10:                             ;   in Loop: Header=BB146_3 Depth=1
	s_wait_xcnt 0x0
	s_or_b32 exec_lo, exec_lo, s10
	s_wait_loadcnt_dscnt 0x0
	scratch_store_b64 off, v[50:51], off offset:16
	s_wait_storecnt 0x0
	s_barrier_signal -1
	s_barrier_wait -1
	s_wait_xcnt 0x0
	s_mov_b32 s10, exec_lo
	v_readlane_b32 s13, v111, 17
	s_and_b32 s13, s10, s13
	s_delay_alu instid0(SALU_CYCLE_1)
	s_xor_b32 s10, s13, s10
	s_mov_b32 exec_lo, s13
	s_cbranch_execz .LBB146_12
; %bb.11:                               ;   in Loop: Header=BB146_3 Depth=1
	scratch_store_b64 off, v[36:37], off offset:24
                                        ; implicit-def: $vgpr48_vgpr49
.LBB146_12:                             ;   in Loop: Header=BB146_3 Depth=1
	s_wait_xcnt 0x0
	s_and_not1_saveexec_b32 s10, s10
	s_cbranch_execz .LBB146_14
; %bb.13:                               ;   in Loop: Header=BB146_3 Depth=1
	flat_load_b64 v[48:49], v[48:49] offset:384
	s_wait_loadcnt_dscnt 0x0
	scratch_store_b64 off, v[48:49], off offset:24
.LBB146_14:                             ;   in Loop: Header=BB146_3 Depth=1
	s_wait_xcnt 0x0
	s_or_b32 exec_lo, exec_lo, s10
.LBB146_15:                             ;   in Loop: Header=BB146_3 Depth=1
	v_add_nc_u64_e32 v[46:47], s[80:81], v[46:47]
	v_mov_b32_e32 v35, v1
	s_and_not1_b32 vcc_lo, exec_lo, s87
	s_mov_b32 s10, -1
	s_delay_alu instid0(VALU_DEP_1)
	v_add_nc_u64_e32 v[46:47], v[46:47], v[34:35]
	s_cbranch_vccnz .LBB146_26
; %bb.16:                               ;   in Loop: Header=BB146_3 Depth=1
	s_wait_xcnt 0x0
	s_and_saveexec_b32 s10, s6
	s_delay_alu instid0(SALU_CYCLE_1)
	s_xor_b32 s10, exec_lo, s10
	s_cbranch_execnz .LBB146_1039
; %bb.17:                               ;   in Loop: Header=BB146_3 Depth=1
	s_and_not1_saveexec_b32 s10, s10
	s_cbranch_execnz .LBB146_1042
.LBB146_18:                             ;   in Loop: Header=BB146_3 Depth=1
	s_or_b32 exec_lo, exec_lo, s10
	s_and_saveexec_b32 s10, s7
	s_delay_alu instid0(SALU_CYCLE_1)
	s_xor_b32 s10, exec_lo, s10
	s_cbranch_execnz .LBB146_1043
.LBB146_19:                             ;   in Loop: Header=BB146_3 Depth=1
	s_and_not1_saveexec_b32 s10, s10
	s_cbranch_execnz .LBB146_1046
.LBB146_20:                             ;   in Loop: Header=BB146_3 Depth=1
	s_or_b32 exec_lo, exec_lo, s10
	s_and_saveexec_b32 s10, s8
	s_delay_alu instid0(SALU_CYCLE_1)
	s_xor_b32 s10, exec_lo, s10
	s_cbranch_execnz .LBB146_1047
.LBB146_21:                             ;   in Loop: Header=BB146_3 Depth=1
	s_and_not1_saveexec_b32 s10, s10
	s_cbranch_execnz .LBB146_1050
.LBB146_22:                             ;   in Loop: Header=BB146_3 Depth=1
	s_or_b32 exec_lo, exec_lo, s10
	s_and_saveexec_b32 s10, s9
	s_delay_alu instid0(SALU_CYCLE_1)
	s_xor_b32 s10, exec_lo, s10
	s_cbranch_execnz .LBB146_1051
.LBB146_23:                             ;   in Loop: Header=BB146_3 Depth=1
	s_and_not1_saveexec_b32 s10, s10
	s_cbranch_execz .LBB146_25
.LBB146_24:                             ;   in Loop: Header=BB146_3 Depth=1
	v_lshl_add_u64 v[48:49], v[18:19], 3, v[46:47]
	flat_load_b64 v[48:49], v[48:49]
	s_wait_loadcnt_dscnt 0x0
	v_pk_add_f32 v[48:49], v[48:49], 0 neg_lo:[1,1] neg_hi:[1,1]
	ds_store_b64 v90, v[48:49]
.LBB146_25:                             ;   in Loop: Header=BB146_3 Depth=1
	s_or_b32 exec_lo, exec_lo, s10
	s_mov_b32 s10, 0
.LBB146_26:                             ;   in Loop: Header=BB146_3 Depth=1
	s_delay_alu instid0(SALU_CYCLE_1)
	s_and_b32 vcc_lo, exec_lo, s10
	s_cbranch_vccz .LBB146_52
; %bb.27:                               ;   in Loop: Header=BB146_3 Depth=1
	s_wait_xcnt 0x0
	s_mov_b32 s10, exec_lo
	v_readlane_b32 s13, v111, 13
	s_and_b32 s13, s10, s13
	s_delay_alu instid0(SALU_CYCLE_1)
	s_xor_b32 s10, s13, s10
	s_mov_b32 exec_lo, s13
	s_cbranch_execz .LBB146_31
; %bb.28:                               ;   in Loop: Header=BB146_3 Depth=1
	v_readlane_b32 s52, v111, 18
	s_and_saveexec_b32 s13, s52
; %bb.29:                               ;   in Loop: Header=BB146_3 Depth=1
	ds_store_b64 v92, v[36:37]
; %bb.30:                               ;   in Loop: Header=BB146_3 Depth=1
	s_or_b32 exec_lo, exec_lo, s13
.LBB146_31:                             ;   in Loop: Header=BB146_3 Depth=1
	s_and_not1_saveexec_b32 s10, s10
	s_cbranch_execz .LBB146_33
; %bb.32:                               ;   in Loop: Header=BB146_3 Depth=1
	v_lshl_add_u64 v[48:49], v[20:21], 3, v[46:47]
	flat_load_b64 v[48:49], v[48:49]
	s_wait_loadcnt_dscnt 0x0
	v_pk_add_f32 v[48:49], v[48:49], 0 neg_lo:[1,1] neg_hi:[1,1]
	ds_store_b64 v92, v[48:49]
.LBB146_33:                             ;   in Loop: Header=BB146_3 Depth=1
	s_or_b32 exec_lo, exec_lo, s10
	s_delay_alu instid0(SALU_CYCLE_1) | instskip(SKIP_2) | instid1(SALU_CYCLE_1)
	s_mov_b32 s10, exec_lo
	v_readlane_b32 s13, v111, 14
	s_and_b32 s13, s10, s13
	s_xor_b32 s10, s13, s10
	s_mov_b32 exec_lo, s13
	s_cbranch_execz .LBB146_37
; %bb.34:                               ;   in Loop: Header=BB146_3 Depth=1
	v_readlane_b32 s52, v111, 19
	s_and_saveexec_b32 s13, s52
; %bb.35:                               ;   in Loop: Header=BB146_3 Depth=1
	ds_store_b64 v87, v[36:37]
; %bb.36:                               ;   in Loop: Header=BB146_3 Depth=1
	s_or_b32 exec_lo, exec_lo, s13
.LBB146_37:                             ;   in Loop: Header=BB146_3 Depth=1
	s_and_not1_saveexec_b32 s10, s10
	s_cbranch_execz .LBB146_39
; %bb.38:                               ;   in Loop: Header=BB146_3 Depth=1
	v_lshl_add_u64 v[48:49], v[14:15], 3, v[46:47]
	flat_load_b64 v[48:49], v[48:49]
	s_wait_loadcnt_dscnt 0x0
	v_pk_add_f32 v[48:49], v[48:49], 0 neg_lo:[1,1] neg_hi:[1,1]
	ds_store_b64 v87, v[48:49]
.LBB146_39:                             ;   in Loop: Header=BB146_3 Depth=1
	s_or_b32 exec_lo, exec_lo, s10
	s_delay_alu instid0(SALU_CYCLE_1) | instskip(SKIP_2) | instid1(SALU_CYCLE_1)
	s_mov_b32 s10, exec_lo
	v_readlane_b32 s13, v111, 15
	s_and_b32 s13, s10, s13
	;; [unrolled: 25-line block ×3, first 2 shown]
	s_xor_b32 s10, s13, s10
	s_mov_b32 exec_lo, s13
	s_cbranch_execz .LBB146_49
; %bb.46:                               ;   in Loop: Header=BB146_3 Depth=1
	v_readlane_b32 s52, v110, 8
	s_and_saveexec_b32 s13, s52
; %bb.47:                               ;   in Loop: Header=BB146_3 Depth=1
	ds_store_b64 v90, v[36:37]
; %bb.48:                               ;   in Loop: Header=BB146_3 Depth=1
	s_or_b32 exec_lo, exec_lo, s13
                                        ; implicit-def: $vgpr46_vgpr47
.LBB146_49:                             ;   in Loop: Header=BB146_3 Depth=1
	s_and_not1_saveexec_b32 s10, s10
	s_cbranch_execz .LBB146_51
; %bb.50:                               ;   in Loop: Header=BB146_3 Depth=1
	v_lshl_add_u64 v[46:47], v[18:19], 3, v[46:47]
	flat_load_b64 v[46:47], v[46:47]
	s_wait_loadcnt_dscnt 0x0
	v_pk_add_f32 v[46:47], v[46:47], 0 neg_lo:[1,1] neg_hi:[1,1]
	ds_store_b64 v90, v[46:47]
.LBB146_51:                             ;   in Loop: Header=BB146_3 Depth=1
	s_or_b32 exec_lo, exec_lo, s10
.LBB146_52:                             ;   in Loop: Header=BB146_3 Depth=1
	s_delay_alu instid0(SALU_CYCLE_1)
	s_and_not1_b32 vcc_lo, exec_lo, s88
	s_wait_storecnt 0x0
	s_wait_loadcnt_dscnt 0x0
	s_barrier_signal -1
	s_barrier_wait -1
	s_cbranch_vccnz .LBB146_982
; %bb.53:                               ;   in Loop: Header=BB146_3 Depth=1
	s_wait_xcnt 0x0
	s_and_saveexec_b32 s10, s11
	s_cbranch_execz .LBB146_55
; %bb.54:                               ;   in Loop: Header=BB146_3 Depth=1
	ds_load_b64 v[46:47], v1 offset:32752
	v_add_nc_u32_e64 v0, 0x7800, 0
	ds_store_b64 v1, v[38:39] offset:32760
	s_wait_dscnt 0x1
	ds_store_2addr_b64 v0, v[38:39], v[46:47] offset0:190 offset1:191
.LBB146_55:                             ;   in Loop: Header=BB146_3 Depth=1
	s_or_b32 exec_lo, exec_lo, s10
	v_dual_mov_b32 v46, 0 :: v_dual_mov_b32 v47, 0
	s_wait_dscnt 0x0
	s_barrier_signal -1
	s_barrier_wait -1
	global_wb scope:SCOPE_DEV
	s_wait_storecnt 0x0
	global_inv scope:SCOPE_DEV
	s_and_saveexec_b32 s13, s1
	s_cbranch_execz .LBB146_59
; %bb.56:                               ;   in Loop: Header=BB146_3 Depth=1
	ds_load_b64 v[46:47], v55 offset:32224
	ds_load_b64 v[48:49], v56 offset:32752
	s_wait_dscnt 0x0
	v_pk_mul_f32 v[50:51], v[48:49], v[46:47] op_sel:[1,1] op_sel_hi:[0,1]
	s_delay_alu instid0(VALU_DEP_1) | instskip(SKIP_1) | instid1(VALU_DEP_2)
	v_pk_fma_f32 v[52:53], v[48:49], v[46:47], v[50:51] op_sel_hi:[1,0,1]
	v_pk_fma_f32 v[46:47], v[48:49], v[46:47], v[50:51] neg_lo:[0,0,1] neg_hi:[0,0,1]
	v_mov_b32_e32 v47, v53
	s_delay_alu instid0(VALU_DEP_1)
	v_pk_add_f32 v[46:47], v[46:47], 0 op_sel_hi:[1,0]
	s_and_saveexec_b32 s10, s14
	s_cbranch_execz .LBB146_58
; %bb.57:                               ;   in Loop: Header=BB146_3 Depth=1
	ds_load_b64 v[48:49], v57 offset:32736
	ds_load_b64 v[50:51], v1 offset:32760
	s_wait_dscnt 0x0
	v_pk_mul_f32 v[52:53], v[50:51], v[48:49] op_sel:[1,1] op_sel_hi:[0,1]
	s_delay_alu instid0(VALU_DEP_1) | instskip(SKIP_1) | instid1(VALU_DEP_2)
	v_pk_fma_f32 v[102:103], v[50:51], v[48:49], v[52:53] op_sel_hi:[1,0,1]
	v_pk_fma_f32 v[48:49], v[50:51], v[48:49], v[52:53] neg_lo:[0,0,1] neg_hi:[0,0,1]
	v_mov_b32_e32 v49, v103
	s_delay_alu instid0(VALU_DEP_1)
	v_pk_add_f32 v[46:47], v[46:47], v[48:49]
.LBB146_58:                             ;   in Loop: Header=BB146_3 Depth=1
	s_or_b32 exec_lo, exec_lo, s10
.LBB146_59:                             ;   in Loop: Header=BB146_3 Depth=1
	s_delay_alu instid0(SALU_CYCLE_1)
	s_or_b32 exec_lo, exec_lo, s13
	s_and_saveexec_b32 s10, s89
; %bb.60:                               ;   in Loop: Header=BB146_3 Depth=1
	s_delay_alu instid0(VALU_DEP_1)
	v_pk_add_f32 v[48:49], v[46:47], 0 neg_lo:[1,1] neg_hi:[1,1]
	ds_store_b64 v54, v[48:49]
; %bb.61:                               ;   in Loop: Header=BB146_3 Depth=1
	s_or_b32 exec_lo, exec_lo, s10
	s_wait_loadcnt_dscnt 0x0
	s_barrier_signal -1
	s_barrier_wait -1
	s_and_saveexec_b32 s10, s90
	s_cbranch_execz .LBB146_63
; %bb.62:                               ;   in Loop: Header=BB146_3 Depth=1
	ds_load_b64 v[48:49], v1 offset:31712
	ds_load_b64 v[50:51], v54
	s_wait_dscnt 0x0
	v_pk_mul_f32 v[52:53], v[50:51], v[48:49] op_sel_hi:[1,0]
	s_delay_alu instid0(VALU_DEP_1) | instskip(SKIP_1) | instid1(VALU_DEP_2)
	v_pk_fma_f32 v[102:103], v[50:51], v[48:49], v[52:53] op_sel:[1,1,0] op_sel_hi:[0,1,1]
	v_pk_fma_f32 v[48:49], v[50:51], v[48:49], v[52:53] op_sel:[1,1,0] op_sel_hi:[0,1,1] neg_lo:[0,0,1] neg_hi:[0,0,1]
	v_pk_add_f32 v[50:51], v[46:47], v[102:103] neg_lo:[0,1] neg_hi:[0,1]
	s_delay_alu instid0(VALU_DEP_2) | instskip(NEXT) | instid1(VALU_DEP_2)
	v_pk_add_f32 v[46:47], v[46:47], v[48:49]
	v_mov_b32_e32 v47, v51
.LBB146_63:                             ;   in Loop: Header=BB146_3 Depth=1
	s_or_b32 exec_lo, exec_lo, s10
	s_barrier_signal -1
	s_barrier_wait -1
	s_and_saveexec_b32 s10, s90
; %bb.64:                               ;   in Loop: Header=BB146_3 Depth=1
	v_pk_add_f32 v[48:49], v[46:47], 0 neg_lo:[1,1] neg_hi:[1,1]
	ds_store_b64 v54, v[48:49]
; %bb.65:                               ;   in Loop: Header=BB146_3 Depth=1
	s_or_b32 exec_lo, exec_lo, s10
	s_wait_dscnt 0x0
	s_barrier_signal -1
	s_barrier_wait -1
	s_barrier_signal -1
	s_barrier_wait -1
	s_and_saveexec_b32 s10, s1
; %bb.66:                               ;   in Loop: Header=BB146_3 Depth=1
	ds_store_b64 v58, v[46:47] offset:32736
; %bb.67:                               ;   in Loop: Header=BB146_3 Depth=1
	s_or_b32 exec_lo, exec_lo, s10
	s_wait_dscnt 0x0
	s_barrier_signal -1
	s_barrier_wait -1
	s_barrier_signal -1
	s_barrier_wait -1
	s_and_saveexec_b32 s10, s91
	s_cbranch_execz .LBB146_69
; %bb.68:                               ;   in Loop: Header=BB146_3 Depth=1
	ds_load_b64 v[46:47], v59 offset:32224
	s_wait_dscnt 0x0
	ds_store_b64 v57, v[46:47] offset:31216
	ds_load_b64 v[46:47], v59 offset:32232
	s_wait_dscnt 0x0
	ds_store_b64 v57, v[46:47] offset:31728
.LBB146_69:                             ;   in Loop: Header=BB146_3 Depth=1
	s_or_b32 exec_lo, exec_lo, s10
	s_wait_dscnt 0x0
	s_barrier_signal -1
	s_barrier_wait -1
	s_and_saveexec_b32 s10, s11
	s_cbranch_execz .LBB146_71
; %bb.70:                               ;   in Loop: Header=BB146_3 Depth=1
	ds_load_b64 v[46:47], v1 offset:31712
	v_add_nc_u32_e64 v0, 0x7800, 0
	ds_store_b64 v1, v[38:39] offset:31720
	s_wait_dscnt 0x1
	ds_store_2addr_b64 v0, v[38:39], v[46:47] offset0:60 offset1:61
.LBB146_71:                             ;   in Loop: Header=BB146_3 Depth=1
	s_or_b32 exec_lo, exec_lo, s10
	v_mov_b64_e32 v[46:47], 0
	s_wait_dscnt 0x0
	s_barrier_signal -1
	s_barrier_wait -1
	global_wb scope:SCOPE_DEV
	s_wait_storecnt 0x0
	global_inv scope:SCOPE_DEV
	s_and_saveexec_b32 s13, s3
	s_cbranch_execz .LBB146_77
; %bb.72:                               ;   in Loop: Header=BB146_3 Depth=1
	ds_load_b64 v[46:47], v61 offset:31168
	ds_load_b64 v[48:49], v62 offset:32736
	s_wait_dscnt 0x0
	v_dual_mul_f32 v0, v49, v47 :: v_dual_mul_f32 v35, v48, v47
	s_delay_alu instid0(VALU_DEP_1) | instskip(NEXT) | instid1(VALU_DEP_1)
	v_dual_fma_f32 v0, v48, v46, -v0 :: v_dual_fmac_f32 v35, v49, v46
	v_dual_add_f32 v46, 0, v0 :: v_dual_add_f32 v47, 0, v35
	s_and_saveexec_b32 s10, s15
	s_cbranch_execnz .LBB146_1062
; %bb.73:                               ;   in Loop: Header=BB146_3 Depth=1
	s_or_b32 exec_lo, exec_lo, s10
	s_and_saveexec_b32 s10, s16
	s_cbranch_execnz .LBB146_1063
.LBB146_74:                             ;   in Loop: Header=BB146_3 Depth=1
	s_or_b32 exec_lo, exec_lo, s10
	s_and_saveexec_b32 s10, s1
	s_cbranch_execz .LBB146_76
.LBB146_75:                             ;   in Loop: Header=BB146_3 Depth=1
	ds_load_b64 v[48:49], v63 offset:32704
	ds_load_b64 v[50:51], v1 offset:32760
	s_wait_dscnt 0x0
	v_pk_mul_f32 v[52:53], v[50:51], v[48:49] op_sel:[1,1] op_sel_hi:[0,1]
	s_delay_alu instid0(VALU_DEP_1) | instskip(SKIP_1) | instid1(VALU_DEP_2)
	v_pk_fma_f32 v[102:103], v[50:51], v[48:49], v[52:53] op_sel_hi:[1,0,1]
	v_pk_fma_f32 v[48:49], v[50:51], v[48:49], v[52:53] neg_lo:[0,0,1] neg_hi:[0,0,1]
	v_mov_b32_e32 v49, v103
	s_delay_alu instid0(VALU_DEP_1)
	v_pk_add_f32 v[46:47], v[46:47], v[48:49]
.LBB146_76:                             ;   in Loop: Header=BB146_3 Depth=1
	s_or_b32 exec_lo, exec_lo, s10
.LBB146_77:                             ;   in Loop: Header=BB146_3 Depth=1
	s_delay_alu instid0(SALU_CYCLE_1)
	s_or_b32 exec_lo, exec_lo, s13
	s_and_saveexec_b32 s10, s92
; %bb.78:                               ;   in Loop: Header=BB146_3 Depth=1
	s_delay_alu instid0(VALU_DEP_1)
	v_pk_add_f32 v[48:49], v[46:47], 0 neg_lo:[1,1] neg_hi:[1,1]
	ds_store_b64 v60, v[48:49]
; %bb.79:                               ;   in Loop: Header=BB146_3 Depth=1
	s_or_b32 exec_lo, exec_lo, s10
	s_wait_loadcnt_dscnt 0x0
	s_barrier_signal -1
	s_barrier_wait -1
	s_and_saveexec_b32 s10, s93
	s_cbranch_execz .LBB146_81
; %bb.80:                               ;   in Loop: Header=BB146_3 Depth=1
	ds_load_b64 v[48:49], v61 offset:30656
	ds_load_b64 v[50:51], v60
	s_wait_dscnt 0x0
	v_pk_mul_f32 v[52:53], v[50:51], v[48:49] op_sel:[1,1] op_sel_hi:[0,1]
	s_delay_alu instid0(VALU_DEP_1) | instskip(SKIP_1) | instid1(VALU_DEP_2)
	v_pk_fma_f32 v[102:103], v[50:51], v[48:49], v[52:53] op_sel_hi:[1,0,1]
	v_pk_fma_f32 v[48:49], v[50:51], v[48:49], v[52:53] neg_lo:[0,0,1] neg_hi:[0,0,1]
	v_mov_b32_e32 v49, v103
	s_delay_alu instid0(VALU_DEP_1)
	v_pk_add_f32 v[46:47], v[46:47], v[48:49] neg_lo:[0,1] neg_hi:[0,1]
.LBB146_81:                             ;   in Loop: Header=BB146_3 Depth=1
	s_or_b32 exec_lo, exec_lo, s10
	s_barrier_signal -1
	s_barrier_wait -1
	s_and_saveexec_b32 s10, s94
; %bb.82:                               ;   in Loop: Header=BB146_3 Depth=1
	v_pk_add_f32 v[48:49], v[46:47], 0 neg_lo:[1,1] neg_hi:[1,1]
	ds_store_b64 v60, v[48:49]
; %bb.83:                               ;   in Loop: Header=BB146_3 Depth=1
	s_or_b32 exec_lo, exec_lo, s10
	s_wait_dscnt 0x0
	s_barrier_signal -1
	s_barrier_wait -1
	s_and_saveexec_b32 s10, s95
	s_cbranch_execz .LBB146_85
; %bb.84:                               ;   in Loop: Header=BB146_3 Depth=1
	ds_load_b64 v[48:49], v61 offset:30144
	ds_load_b64 v[50:51], v60
	s_wait_dscnt 0x0
	v_pk_mul_f32 v[52:53], v[50:51], v[48:49] op_sel:[1,1] op_sel_hi:[0,1]
	s_delay_alu instid0(VALU_DEP_1) | instskip(SKIP_1) | instid1(VALU_DEP_2)
	v_pk_fma_f32 v[102:103], v[50:51], v[48:49], v[52:53] op_sel_hi:[1,0,1]
	v_pk_fma_f32 v[48:49], v[50:51], v[48:49], v[52:53] neg_lo:[0,0,1] neg_hi:[0,0,1]
	v_mov_b32_e32 v49, v103
	s_delay_alu instid0(VALU_DEP_1)
	v_pk_add_f32 v[46:47], v[46:47], v[48:49] neg_lo:[0,1] neg_hi:[0,1]
.LBB146_85:                             ;   in Loop: Header=BB146_3 Depth=1
	s_or_b32 exec_lo, exec_lo, s10
	s_barrier_signal -1
	s_barrier_wait -1
	s_and_saveexec_b32 s10, s96
; %bb.86:                               ;   in Loop: Header=BB146_3 Depth=1
	v_pk_add_f32 v[48:49], v[46:47], 0 neg_lo:[1,1] neg_hi:[1,1]
	ds_store_b64 v60, v[48:49]
; %bb.87:                               ;   in Loop: Header=BB146_3 Depth=1
	s_or_b32 exec_lo, exec_lo, s10
	s_wait_dscnt 0x0
	;; [unrolled: 26-line block ×3, first 2 shown]
	s_barrier_signal -1
	s_barrier_wait -1
	s_barrier_signal -1
	s_barrier_wait -1
	s_and_saveexec_b32 s10, s3
; %bb.92:                               ;   in Loop: Header=BB146_3 Depth=1
	ds_store_b64 v64, v[46:47] offset:32704
; %bb.93:                               ;   in Loop: Header=BB146_3 Depth=1
	s_or_b32 exec_lo, exec_lo, s10
	s_wait_dscnt 0x0
	s_barrier_signal -1
	s_barrier_wait -1
	s_barrier_signal -1
	s_barrier_wait -1
	s_and_saveexec_b32 s10, s98
	s_cbranch_execz .LBB146_95
; %bb.94:                               ;   in Loop: Header=BB146_3 Depth=1
	ds_load_b64 v[46:47], v65 offset:31168
	s_wait_dscnt 0x0
	ds_store_b64 v7, v[46:47] offset:29152
	ds_load_b64 v[46:47], v65 offset:31176
	s_wait_dscnt 0x0
	ds_store_b64 v7, v[46:47] offset:29664
	;; [unrolled: 3-line block ×4, first 2 shown]
.LBB146_95:                             ;   in Loop: Header=BB146_3 Depth=1
	s_or_b32 exec_lo, exec_lo, s10
	s_wait_dscnt 0x0
	s_barrier_signal -1
	s_barrier_wait -1
	s_and_saveexec_b32 s10, s11
	s_cbranch_execz .LBB146_97
; %bb.96:                               ;   in Loop: Header=BB146_3 Depth=1
	ds_load_b64 v[46:47], v1 offset:30672
	v_add_nc_u32_e64 v0, 0x7000, 0
	ds_store_b64 v1, v[38:39] offset:30680
	s_wait_dscnt 0x1
	ds_store_2addr_b64 v0, v[38:39], v[46:47] offset0:186 offset1:187
.LBB146_97:                             ;   in Loop: Header=BB146_3 Depth=1
	s_or_b32 exec_lo, exec_lo, s10
	v_dual_mov_b32 v46, 0 :: v_dual_mov_b32 v47, 0
	s_wait_dscnt 0x0
	s_barrier_signal -1
	s_barrier_wait -1
	global_wb scope:SCOPE_DEV
	s_wait_storecnt 0x0
	global_inv scope:SCOPE_DEV
	s_and_saveexec_b32 s13, s1
	s_cbranch_execz .LBB146_101
; %bb.98:                               ;   in Loop: Header=BB146_3 Depth=1
	ds_load_b64 v[46:47], v55 offset:30144
	ds_load_b64 v[48:49], v56 offset:30672
	s_wait_dscnt 0x0
	v_pk_mul_f32 v[50:51], v[48:49], v[46:47] op_sel:[1,1] op_sel_hi:[0,1]
	s_delay_alu instid0(VALU_DEP_1) | instskip(SKIP_1) | instid1(VALU_DEP_2)
	v_pk_fma_f32 v[52:53], v[48:49], v[46:47], v[50:51] op_sel_hi:[1,0,1]
	v_pk_fma_f32 v[46:47], v[48:49], v[46:47], v[50:51] neg_lo:[0,0,1] neg_hi:[0,0,1]
	v_mov_b32_e32 v47, v53
	s_delay_alu instid0(VALU_DEP_1)
	v_pk_add_f32 v[46:47], v[46:47], 0 op_sel_hi:[1,0]
	s_and_saveexec_b32 s10, s14
	s_cbranch_execz .LBB146_100
; %bb.99:                               ;   in Loop: Header=BB146_3 Depth=1
	ds_load_b64 v[48:49], v7 offset:30656
	ds_load_b64 v[50:51], v1 offset:30680
	s_wait_dscnt 0x0
	v_pk_mul_f32 v[52:53], v[50:51], v[48:49] op_sel:[1,1] op_sel_hi:[0,1]
	s_delay_alu instid0(VALU_DEP_1) | instskip(SKIP_1) | instid1(VALU_DEP_2)
	v_pk_fma_f32 v[102:103], v[50:51], v[48:49], v[52:53] op_sel_hi:[1,0,1]
	v_pk_fma_f32 v[48:49], v[50:51], v[48:49], v[52:53] neg_lo:[0,0,1] neg_hi:[0,0,1]
	v_mov_b32_e32 v49, v103
	s_delay_alu instid0(VALU_DEP_1)
	v_pk_add_f32 v[46:47], v[46:47], v[48:49]
.LBB146_100:                            ;   in Loop: Header=BB146_3 Depth=1
	s_or_b32 exec_lo, exec_lo, s10
.LBB146_101:                            ;   in Loop: Header=BB146_3 Depth=1
	s_delay_alu instid0(SALU_CYCLE_1)
	s_or_b32 exec_lo, exec_lo, s13
	s_and_saveexec_b32 s10, s89
; %bb.102:                              ;   in Loop: Header=BB146_3 Depth=1
	s_delay_alu instid0(VALU_DEP_1)
	v_pk_add_f32 v[48:49], v[46:47], 0 neg_lo:[1,1] neg_hi:[1,1]
	ds_store_b64 v54, v[48:49]
; %bb.103:                              ;   in Loop: Header=BB146_3 Depth=1
	s_or_b32 exec_lo, exec_lo, s10
	s_wait_loadcnt_dscnt 0x0
	s_barrier_signal -1
	s_barrier_wait -1
	s_and_saveexec_b32 s10, s90
	s_cbranch_execz .LBB146_105
; %bb.104:                              ;   in Loop: Header=BB146_3 Depth=1
	ds_load_b64 v[48:49], v1 offset:29632
	ds_load_b64 v[50:51], v54
	s_wait_dscnt 0x0
	v_pk_mul_f32 v[52:53], v[50:51], v[48:49] op_sel_hi:[1,0]
	s_delay_alu instid0(VALU_DEP_1) | instskip(SKIP_1) | instid1(VALU_DEP_2)
	v_pk_fma_f32 v[102:103], v[50:51], v[48:49], v[52:53] op_sel:[1,1,0] op_sel_hi:[0,1,1]
	v_pk_fma_f32 v[48:49], v[50:51], v[48:49], v[52:53] op_sel:[1,1,0] op_sel_hi:[0,1,1] neg_lo:[0,0,1] neg_hi:[0,0,1]
	v_pk_add_f32 v[50:51], v[46:47], v[102:103] neg_lo:[0,1] neg_hi:[0,1]
	s_delay_alu instid0(VALU_DEP_2) | instskip(NEXT) | instid1(VALU_DEP_2)
	v_pk_add_f32 v[46:47], v[46:47], v[48:49]
	v_mov_b32_e32 v47, v51
.LBB146_105:                            ;   in Loop: Header=BB146_3 Depth=1
	s_or_b32 exec_lo, exec_lo, s10
	s_barrier_signal -1
	s_barrier_wait -1
	s_and_saveexec_b32 s10, s90
; %bb.106:                              ;   in Loop: Header=BB146_3 Depth=1
	v_pk_add_f32 v[48:49], v[46:47], 0 neg_lo:[1,1] neg_hi:[1,1]
	ds_store_b64 v54, v[48:49]
; %bb.107:                              ;   in Loop: Header=BB146_3 Depth=1
	s_or_b32 exec_lo, exec_lo, s10
	s_wait_dscnt 0x0
	s_barrier_signal -1
	s_barrier_wait -1
	s_barrier_signal -1
	s_barrier_wait -1
	s_and_saveexec_b32 s10, s1
; %bb.108:                              ;   in Loop: Header=BB146_3 Depth=1
	ds_store_b64 v58, v[46:47] offset:30656
; %bb.109:                              ;   in Loop: Header=BB146_3 Depth=1
	s_or_b32 exec_lo, exec_lo, s10
	s_wait_dscnt 0x0
	s_barrier_signal -1
	s_barrier_wait -1
	s_barrier_signal -1
	s_barrier_wait -1
	s_and_saveexec_b32 s10, s91
	s_cbranch_execz .LBB146_111
; %bb.110:                              ;   in Loop: Header=BB146_3 Depth=1
	ds_load_b64 v[46:47], v79 offset:30144
	s_wait_dscnt 0x0
	ds_store_b64 v7, v[46:47] offset:29136
	ds_load_b64 v[46:47], v79 offset:30152
	s_wait_dscnt 0x0
	ds_store_b64 v7, v[46:47] offset:29648
.LBB146_111:                            ;   in Loop: Header=BB146_3 Depth=1
	s_or_b32 exec_lo, exec_lo, s10
	s_wait_dscnt 0x0
	s_barrier_signal -1
	s_barrier_wait -1
	s_and_saveexec_b32 s10, s11
	s_cbranch_execz .LBB146_113
; %bb.112:                              ;   in Loop: Header=BB146_3 Depth=1
	ds_load_b64 v[46:47], v1 offset:29632
	v_add_nc_u32_e64 v0, 0x7000, 0
	ds_store_b64 v1, v[38:39] offset:29640
	s_wait_dscnt 0x1
	ds_store_2addr_b64 v0, v[38:39], v[46:47] offset0:56 offset1:57
.LBB146_113:                            ;   in Loop: Header=BB146_3 Depth=1
	s_or_b32 exec_lo, exec_lo, s10
	v_mov_b64_e32 v[46:47], 0
	s_wait_dscnt 0x0
	s_barrier_signal -1
	s_barrier_wait -1
	global_wb scope:SCOPE_DEV
	s_wait_storecnt 0x0
	global_inv scope:SCOPE_DEV
	s_and_saveexec_b32 s13, s4
	s_cbranch_execz .LBB146_123
; %bb.114:                              ;   in Loop: Header=BB146_3 Depth=1
	ds_load_b64 v[46:47], v67 offset:29056
	ds_load_b64 v[48:49], v68 offset:32704
	s_wait_dscnt 0x0
	v_dual_mul_f32 v0, v49, v47 :: v_dual_mul_f32 v35, v48, v47
	s_delay_alu instid0(VALU_DEP_1) | instskip(NEXT) | instid1(VALU_DEP_1)
	v_dual_fma_f32 v0, v48, v46, -v0 :: v_dual_fmac_f32 v35, v49, v46
	v_dual_add_f32 v46, 0, v0 :: v_dual_add_f32 v47, 0, v35
	s_and_saveexec_b32 s10, s17
	s_cbranch_execnz .LBB146_1064
; %bb.115:                              ;   in Loop: Header=BB146_3 Depth=1
	s_or_b32 exec_lo, exec_lo, s10
	s_and_saveexec_b32 s10, s19
	s_cbranch_execnz .LBB146_1065
.LBB146_116:                            ;   in Loop: Header=BB146_3 Depth=1
	s_or_b32 exec_lo, exec_lo, s10
	s_and_saveexec_b32 s10, s20
	s_cbranch_execnz .LBB146_1066
.LBB146_117:                            ;   in Loop: Header=BB146_3 Depth=1
	s_or_b32 exec_lo, exec_lo, s10
	s_and_saveexec_b32 s10, s21
	s_cbranch_execnz .LBB146_1067
.LBB146_118:                            ;   in Loop: Header=BB146_3 Depth=1
	s_or_b32 exec_lo, exec_lo, s10
	s_and_saveexec_b32 s10, s22
	s_cbranch_execnz .LBB146_1068
.LBB146_119:                            ;   in Loop: Header=BB146_3 Depth=1
	s_or_b32 exec_lo, exec_lo, s10
	s_and_saveexec_b32 s10, s3
	s_cbranch_execnz .LBB146_1069
.LBB146_120:                            ;   in Loop: Header=BB146_3 Depth=1
	s_or_b32 exec_lo, exec_lo, s10
	s_and_saveexec_b32 s10, s16
	s_cbranch_execz .LBB146_122
.LBB146_121:                            ;   in Loop: Header=BB146_3 Depth=1
	ds_load_b64 v[48:49], v80 offset:32640
	ds_load_b64 v[50:51], v1 offset:32760
	s_wait_dscnt 0x0
	v_pk_mul_f32 v[52:53], v[50:51], v[48:49] op_sel:[1,1] op_sel_hi:[0,1]
	s_delay_alu instid0(VALU_DEP_1) | instskip(SKIP_1) | instid1(VALU_DEP_2)
	v_pk_fma_f32 v[102:103], v[50:51], v[48:49], v[52:53] op_sel_hi:[1,0,1]
	v_pk_fma_f32 v[48:49], v[50:51], v[48:49], v[52:53] neg_lo:[0,0,1] neg_hi:[0,0,1]
	v_mov_b32_e32 v49, v103
	s_delay_alu instid0(VALU_DEP_1)
	v_pk_add_f32 v[46:47], v[46:47], v[48:49]
.LBB146_122:                            ;   in Loop: Header=BB146_3 Depth=1
	s_or_b32 exec_lo, exec_lo, s10
.LBB146_123:                            ;   in Loop: Header=BB146_3 Depth=1
	s_delay_alu instid0(SALU_CYCLE_1)
	s_or_b32 exec_lo, exec_lo, s13
	s_and_saveexec_b32 s10, s99
; %bb.124:                              ;   in Loop: Header=BB146_3 Depth=1
	s_delay_alu instid0(VALU_DEP_1)
	v_pk_add_f32 v[48:49], v[46:47], 0 neg_lo:[1,1] neg_hi:[1,1]
	ds_store_b64 v66, v[48:49]
; %bb.125:                              ;   in Loop: Header=BB146_3 Depth=1
	s_or_b32 exec_lo, exec_lo, s10
	s_wait_loadcnt_dscnt 0x0
	s_barrier_signal -1
	s_barrier_wait -1
	s_and_saveexec_b32 s10, s100
	s_cbranch_execz .LBB146_127
; %bb.126:                              ;   in Loop: Header=BB146_3 Depth=1
	ds_load_b64 v[48:49], v67 offset:28544
	ds_load_b64 v[50:51], v66
	s_wait_dscnt 0x0
	v_pk_mul_f32 v[52:53], v[50:51], v[48:49] op_sel:[1,1] op_sel_hi:[0,1]
	s_delay_alu instid0(VALU_DEP_1) | instskip(SKIP_1) | instid1(VALU_DEP_2)
	v_pk_fma_f32 v[102:103], v[50:51], v[48:49], v[52:53] op_sel_hi:[1,0,1]
	v_pk_fma_f32 v[48:49], v[50:51], v[48:49], v[52:53] neg_lo:[0,0,1] neg_hi:[0,0,1]
	v_mov_b32_e32 v49, v103
	s_delay_alu instid0(VALU_DEP_1)
	v_pk_add_f32 v[46:47], v[46:47], v[48:49] neg_lo:[0,1] neg_hi:[0,1]
.LBB146_127:                            ;   in Loop: Header=BB146_3 Depth=1
	s_or_b32 exec_lo, exec_lo, s10
	s_barrier_signal -1
	s_barrier_wait -1
	s_and_saveexec_b32 s10, s101
; %bb.128:                              ;   in Loop: Header=BB146_3 Depth=1
	v_pk_add_f32 v[48:49], v[46:47], 0 neg_lo:[1,1] neg_hi:[1,1]
	ds_store_b64 v66, v[48:49]
; %bb.129:                              ;   in Loop: Header=BB146_3 Depth=1
	s_or_b32 exec_lo, exec_lo, s10
	s_wait_dscnt 0x0
	s_barrier_signal -1
	s_barrier_wait -1
	s_and_saveexec_b32 s10, s102
	s_cbranch_execz .LBB146_131
; %bb.130:                              ;   in Loop: Header=BB146_3 Depth=1
	ds_load_b64 v[48:49], v67 offset:28032
	ds_load_b64 v[50:51], v66
	s_wait_dscnt 0x0
	v_dual_mul_f32 v0, v51, v49 :: v_dual_mul_f32 v35, v50, v49
	s_delay_alu instid0(VALU_DEP_1) | instskip(NEXT) | instid1(VALU_DEP_1)
	v_dual_fma_f32 v0, v50, v48, -v0 :: v_dual_fmac_f32 v35, v51, v48
	v_dual_sub_f32 v46, v46, v0 :: v_dual_sub_f32 v47, v47, v35
.LBB146_131:                            ;   in Loop: Header=BB146_3 Depth=1
	s_or_b32 exec_lo, exec_lo, s10
	s_barrier_signal -1
	s_barrier_wait -1
	s_and_saveexec_b32 s10, s103
; %bb.132:                              ;   in Loop: Header=BB146_3 Depth=1
	v_pk_add_f32 v[48:49], v[46:47], 0 neg_lo:[1,1] neg_hi:[1,1]
	ds_store_b64 v66, v[48:49]
; %bb.133:                              ;   in Loop: Header=BB146_3 Depth=1
	s_or_b32 exec_lo, exec_lo, s10
	s_wait_dscnt 0x0
	s_barrier_signal -1
	s_barrier_wait -1
	s_and_saveexec_b32 s10, s104
	s_cbranch_execz .LBB146_135
; %bb.134:                              ;   in Loop: Header=BB146_3 Depth=1
	ds_load_b64 v[48:49], v67 offset:27520
	ds_load_b64 v[50:51], v66
	s_wait_dscnt 0x0
	v_dual_mul_f32 v0, v51, v49 :: v_dual_mul_f32 v53, v50, v49
	s_delay_alu instid0(VALU_DEP_1) | instskip(NEXT) | instid1(VALU_DEP_1)
	v_dual_fma_f32 v52, v50, v48, -v0 :: v_dual_fmac_f32 v53, v51, v48
	v_pk_add_f32 v[46:47], v[46:47], v[52:53] neg_lo:[0,1] neg_hi:[0,1]
.LBB146_135:                            ;   in Loop: Header=BB146_3 Depth=1
	s_or_b32 exec_lo, exec_lo, s10
	s_barrier_signal -1
	s_barrier_wait -1
	s_and_saveexec_b32 s10, vcc_hi
; %bb.136:                              ;   in Loop: Header=BB146_3 Depth=1
	v_pk_add_f32 v[48:49], v[46:47], 0 neg_lo:[1,1] neg_hi:[1,1]
	ds_store_b64 v66, v[48:49]
; %bb.137:                              ;   in Loop: Header=BB146_3 Depth=1
	s_or_b32 exec_lo, exec_lo, s10
	s_wait_dscnt 0x0
	s_barrier_signal -1
	s_barrier_wait -1
	s_and_saveexec_b32 s10, s38
	s_cbranch_execz .LBB146_139
; %bb.138:                              ;   in Loop: Header=BB146_3 Depth=1
	ds_load_b64 v[48:49], v67 offset:27008
	ds_load_b64 v[50:51], v66
	s_wait_dscnt 0x0
	v_pk_mul_f32 v[52:53], v[50:51], v[48:49] op_sel:[1,1] op_sel_hi:[0,1]
	s_delay_alu instid0(VALU_DEP_1) | instskip(SKIP_1) | instid1(VALU_DEP_2)
	v_pk_fma_f32 v[102:103], v[50:51], v[48:49], v[52:53] op_sel_hi:[1,0,1]
	v_pk_fma_f32 v[48:49], v[50:51], v[48:49], v[52:53] neg_lo:[0,0,1] neg_hi:[0,0,1]
	v_mov_b32_e32 v49, v103
	s_delay_alu instid0(VALU_DEP_1)
	v_pk_add_f32 v[46:47], v[46:47], v[48:49] neg_lo:[0,1] neg_hi:[0,1]
.LBB146_139:                            ;   in Loop: Header=BB146_3 Depth=1
	s_or_b32 exec_lo, exec_lo, s10
	s_barrier_signal -1
	s_barrier_wait -1
	s_and_saveexec_b32 s10, s39
; %bb.140:                              ;   in Loop: Header=BB146_3 Depth=1
	v_pk_add_f32 v[48:49], v[46:47], 0 neg_lo:[1,1] neg_hi:[1,1]
	ds_store_b64 v66, v[48:49]
; %bb.141:                              ;   in Loop: Header=BB146_3 Depth=1
	s_or_b32 exec_lo, exec_lo, s10
	s_wait_dscnt 0x0
	s_barrier_signal -1
	s_barrier_wait -1
	s_and_saveexec_b32 s10, s40
	s_cbranch_execz .LBB146_143
; %bb.142:                              ;   in Loop: Header=BB146_3 Depth=1
	ds_load_b64 v[48:49], v67 offset:26496
	ds_load_b64 v[50:51], v66
	s_wait_dscnt 0x0
	v_pk_mul_f32 v[52:53], v[50:51], v[48:49] op_sel:[1,1] op_sel_hi:[0,1]
	s_delay_alu instid0(VALU_DEP_1) | instskip(SKIP_1) | instid1(VALU_DEP_2)
	v_pk_fma_f32 v[102:103], v[50:51], v[48:49], v[52:53] op_sel_hi:[1,0,1]
	v_pk_fma_f32 v[48:49], v[50:51], v[48:49], v[52:53] neg_lo:[0,0,1] neg_hi:[0,0,1]
	v_mov_b32_e32 v49, v103
	s_delay_alu instid0(VALU_DEP_1)
	v_pk_add_f32 v[46:47], v[46:47], v[48:49] neg_lo:[0,1] neg_hi:[0,1]
.LBB146_143:                            ;   in Loop: Header=BB146_3 Depth=1
	s_or_b32 exec_lo, exec_lo, s10
	s_barrier_signal -1
	s_barrier_wait -1
	s_and_saveexec_b32 s10, s41
; %bb.144:                              ;   in Loop: Header=BB146_3 Depth=1
	v_pk_add_f32 v[48:49], v[46:47], 0 neg_lo:[1,1] neg_hi:[1,1]
	ds_store_b64 v66, v[48:49]
; %bb.145:                              ;   in Loop: Header=BB146_3 Depth=1
	s_or_b32 exec_lo, exec_lo, s10
	s_wait_dscnt 0x0
	s_barrier_signal -1
	s_barrier_wait -1
	s_and_saveexec_b32 s10, s42
	s_cbranch_execz .LBB146_147
; %bb.146:                              ;   in Loop: Header=BB146_3 Depth=1
	ds_load_b64 v[48:49], v67 offset:25984
	ds_load_b64 v[50:51], v66
	s_wait_dscnt 0x0
	v_pk_mul_f32 v[52:53], v[50:51], v[48:49] op_sel:[1,1] op_sel_hi:[0,1]
	s_delay_alu instid0(VALU_DEP_1) | instskip(SKIP_1) | instid1(VALU_DEP_2)
	v_pk_fma_f32 v[102:103], v[50:51], v[48:49], v[52:53] op_sel_hi:[1,0,1]
	v_pk_fma_f32 v[48:49], v[50:51], v[48:49], v[52:53] neg_lo:[0,0,1] neg_hi:[0,0,1]
	v_mov_b32_e32 v49, v103
	s_delay_alu instid0(VALU_DEP_1)
	v_pk_add_f32 v[46:47], v[46:47], v[48:49] neg_lo:[0,1] neg_hi:[0,1]
.LBB146_147:                            ;   in Loop: Header=BB146_3 Depth=1
	s_or_b32 exec_lo, exec_lo, s10
	s_barrier_signal -1
	s_barrier_wait -1
	s_and_saveexec_b32 s10, s43
; %bb.148:                              ;   in Loop: Header=BB146_3 Depth=1
	v_pk_add_f32 v[48:49], v[46:47], 0 neg_lo:[1,1] neg_hi:[1,1]
	ds_store_b64 v66, v[48:49]
; %bb.149:                              ;   in Loop: Header=BB146_3 Depth=1
	s_or_b32 exec_lo, exec_lo, s10
	s_wait_dscnt 0x0
	s_barrier_signal -1
	s_barrier_wait -1
	s_and_saveexec_b32 s10, s44
	s_cbranch_execz .LBB146_151
; %bb.150:                              ;   in Loop: Header=BB146_3 Depth=1
	ds_load_b64 v[48:49], v1 offset:25472
	ds_load_b64 v[50:51], v66
	s_wait_dscnt 0x0
	v_pk_mul_f32 v[52:53], v[50:51], v[48:49] op_sel:[1,1] op_sel_hi:[0,1]
	s_delay_alu instid0(VALU_DEP_1) | instskip(SKIP_1) | instid1(VALU_DEP_2)
	v_pk_fma_f32 v[102:103], v[50:51], v[48:49], v[52:53] op_sel_hi:[1,0,1]
	v_pk_fma_f32 v[48:49], v[50:51], v[48:49], v[52:53] neg_lo:[0,0,1] neg_hi:[0,0,1]
	v_mov_b32_e32 v49, v103
	s_delay_alu instid0(VALU_DEP_1)
	v_pk_add_f32 v[46:47], v[46:47], v[48:49] neg_lo:[0,1] neg_hi:[0,1]
.LBB146_151:                            ;   in Loop: Header=BB146_3 Depth=1
	s_or_b32 exec_lo, exec_lo, s10
	s_barrier_signal -1
	s_barrier_wait -1
	s_and_saveexec_b32 s10, s44
; %bb.152:                              ;   in Loop: Header=BB146_3 Depth=1
	v_pk_add_f32 v[48:49], v[46:47], 0 neg_lo:[1,1] neg_hi:[1,1]
	ds_store_b64 v66, v[48:49]
; %bb.153:                              ;   in Loop: Header=BB146_3 Depth=1
	s_or_b32 exec_lo, exec_lo, s10
	s_wait_dscnt 0x0
	s_barrier_signal -1
	s_barrier_wait -1
	s_barrier_signal -1
	s_barrier_wait -1
	s_and_saveexec_b32 s10, s4
; %bb.154:                              ;   in Loop: Header=BB146_3 Depth=1
	ds_store_b64 v69, v[46:47] offset:32640
; %bb.155:                              ;   in Loop: Header=BB146_3 Depth=1
	s_or_b32 exec_lo, exec_lo, s10
	s_wait_dscnt 0x0
	s_barrier_signal -1
	s_barrier_wait -1
	s_barrier_signal -1
	s_barrier_wait -1
	s_and_saveexec_b32 s10, s45
	s_cbranch_execz .LBB146_157
; %bb.156:                              ;   in Loop: Header=BB146_3 Depth=1
	ds_load_b64 v[46:47], v81 offset:29056
	s_wait_dscnt 0x0
	ds_store_b64 v3, v[46:47] offset:25024
	ds_load_b64 v[46:47], v81 offset:29064
	s_wait_dscnt 0x0
	ds_store_b64 v3, v[46:47] offset:25536
	;; [unrolled: 3-line block ×8, first 2 shown]
.LBB146_157:                            ;   in Loop: Header=BB146_3 Depth=1
	s_or_b32 exec_lo, exec_lo, s10
	s_wait_dscnt 0x0
	s_barrier_signal -1
	s_barrier_wait -1
	s_and_saveexec_b32 s10, s11
	s_cbranch_execz .LBB146_159
; %bb.158:                              ;   in Loop: Header=BB146_3 Depth=1
	ds_load_b64 v[46:47], v1 offset:28592
	v_add_nc_u32_e64 v0, 0x6800, 0
	ds_store_b64 v1, v[38:39] offset:28600
	s_wait_dscnt 0x1
	ds_store_2addr_b64 v0, v[38:39], v[46:47] offset0:182 offset1:183
.LBB146_159:                            ;   in Loop: Header=BB146_3 Depth=1
	s_or_b32 exec_lo, exec_lo, s10
	v_dual_mov_b32 v46, 0 :: v_dual_mov_b32 v47, 0
	s_wait_dscnt 0x0
	s_barrier_signal -1
	s_barrier_wait -1
	global_wb scope:SCOPE_DEV
	s_wait_storecnt 0x0
	global_inv scope:SCOPE_DEV
	s_and_saveexec_b32 s13, s1
	s_cbranch_execz .LBB146_163
; %bb.160:                              ;   in Loop: Header=BB146_3 Depth=1
	ds_load_b64 v[46:47], v55 offset:28064
	ds_load_b64 v[48:49], v56 offset:28592
	s_wait_dscnt 0x0
	v_pk_mul_f32 v[50:51], v[48:49], v[46:47] op_sel:[1,1] op_sel_hi:[0,1]
	s_delay_alu instid0(VALU_DEP_1) | instskip(SKIP_1) | instid1(VALU_DEP_2)
	v_pk_fma_f32 v[52:53], v[48:49], v[46:47], v[50:51] op_sel_hi:[1,0,1]
	v_pk_fma_f32 v[46:47], v[48:49], v[46:47], v[50:51] neg_lo:[0,0,1] neg_hi:[0,0,1]
	v_mov_b32_e32 v47, v53
	s_delay_alu instid0(VALU_DEP_1)
	v_pk_add_f32 v[46:47], v[46:47], 0 op_sel_hi:[1,0]
	s_and_saveexec_b32 s10, s14
	s_cbranch_execz .LBB146_162
; %bb.161:                              ;   in Loop: Header=BB146_3 Depth=1
	ds_load_b64 v[48:49], v3 offset:28576
	ds_load_b64 v[50:51], v1 offset:28600
	s_wait_dscnt 0x0
	v_pk_mul_f32 v[52:53], v[50:51], v[48:49] op_sel:[1,1] op_sel_hi:[0,1]
	s_delay_alu instid0(VALU_DEP_1) | instskip(SKIP_1) | instid1(VALU_DEP_2)
	v_pk_fma_f32 v[102:103], v[50:51], v[48:49], v[52:53] op_sel_hi:[1,0,1]
	v_pk_fma_f32 v[48:49], v[50:51], v[48:49], v[52:53] neg_lo:[0,0,1] neg_hi:[0,0,1]
	v_mov_b32_e32 v49, v103
	s_delay_alu instid0(VALU_DEP_1)
	v_pk_add_f32 v[46:47], v[46:47], v[48:49]
.LBB146_162:                            ;   in Loop: Header=BB146_3 Depth=1
	s_or_b32 exec_lo, exec_lo, s10
.LBB146_163:                            ;   in Loop: Header=BB146_3 Depth=1
	s_delay_alu instid0(SALU_CYCLE_1)
	s_or_b32 exec_lo, exec_lo, s13
	s_and_saveexec_b32 s10, s89
; %bb.164:                              ;   in Loop: Header=BB146_3 Depth=1
	s_delay_alu instid0(VALU_DEP_1)
	v_pk_add_f32 v[48:49], v[46:47], 0 neg_lo:[1,1] neg_hi:[1,1]
	ds_store_b64 v54, v[48:49]
; %bb.165:                              ;   in Loop: Header=BB146_3 Depth=1
	s_or_b32 exec_lo, exec_lo, s10
	s_wait_loadcnt_dscnt 0x0
	s_barrier_signal -1
	s_barrier_wait -1
	s_and_saveexec_b32 s10, s90
	s_cbranch_execz .LBB146_167
; %bb.166:                              ;   in Loop: Header=BB146_3 Depth=1
	ds_load_b64 v[48:49], v1 offset:27552
	ds_load_b64 v[50:51], v54
	s_wait_dscnt 0x0
	v_pk_mul_f32 v[52:53], v[50:51], v[48:49] op_sel_hi:[1,0]
	s_delay_alu instid0(VALU_DEP_1) | instskip(SKIP_1) | instid1(VALU_DEP_2)
	v_pk_fma_f32 v[102:103], v[50:51], v[48:49], v[52:53] op_sel:[1,1,0] op_sel_hi:[0,1,1]
	v_pk_fma_f32 v[48:49], v[50:51], v[48:49], v[52:53] op_sel:[1,1,0] op_sel_hi:[0,1,1] neg_lo:[0,0,1] neg_hi:[0,0,1]
	v_pk_add_f32 v[50:51], v[46:47], v[102:103] neg_lo:[0,1] neg_hi:[0,1]
	s_delay_alu instid0(VALU_DEP_2) | instskip(NEXT) | instid1(VALU_DEP_2)
	v_pk_add_f32 v[46:47], v[46:47], v[48:49]
	v_mov_b32_e32 v47, v51
.LBB146_167:                            ;   in Loop: Header=BB146_3 Depth=1
	s_or_b32 exec_lo, exec_lo, s10
	s_barrier_signal -1
	s_barrier_wait -1
	s_and_saveexec_b32 s10, s90
; %bb.168:                              ;   in Loop: Header=BB146_3 Depth=1
	v_pk_add_f32 v[48:49], v[46:47], 0 neg_lo:[1,1] neg_hi:[1,1]
	ds_store_b64 v54, v[48:49]
; %bb.169:                              ;   in Loop: Header=BB146_3 Depth=1
	s_or_b32 exec_lo, exec_lo, s10
	s_wait_dscnt 0x0
	s_barrier_signal -1
	s_barrier_wait -1
	s_barrier_signal -1
	s_barrier_wait -1
	s_and_saveexec_b32 s10, s1
; %bb.170:                              ;   in Loop: Header=BB146_3 Depth=1
	ds_store_b64 v58, v[46:47] offset:28576
; %bb.171:                              ;   in Loop: Header=BB146_3 Depth=1
	s_or_b32 exec_lo, exec_lo, s10
	s_wait_dscnt 0x0
	s_barrier_signal -1
	s_barrier_wait -1
	s_barrier_signal -1
	s_barrier_wait -1
	s_and_saveexec_b32 s10, s91
	s_cbranch_execz .LBB146_173
; %bb.172:                              ;   in Loop: Header=BB146_3 Depth=1
	ds_load_b64 v[46:47], v82 offset:28064
	s_wait_dscnt 0x0
	ds_store_b64 v3, v[46:47] offset:27056
	ds_load_b64 v[46:47], v82 offset:28072
	s_wait_dscnt 0x0
	ds_store_b64 v3, v[46:47] offset:27568
.LBB146_173:                            ;   in Loop: Header=BB146_3 Depth=1
	s_or_b32 exec_lo, exec_lo, s10
	s_wait_dscnt 0x0
	s_barrier_signal -1
	s_barrier_wait -1
	s_and_saveexec_b32 s10, s11
	s_cbranch_execz .LBB146_175
; %bb.174:                              ;   in Loop: Header=BB146_3 Depth=1
	ds_load_b64 v[46:47], v1 offset:27552
	v_add_nc_u32_e64 v0, 0x6800, 0
	ds_store_b64 v1, v[38:39] offset:27560
	s_wait_dscnt 0x1
	ds_store_2addr_b64 v0, v[38:39], v[46:47] offset0:52 offset1:53
.LBB146_175:                            ;   in Loop: Header=BB146_3 Depth=1
	s_or_b32 exec_lo, exec_lo, s10
	v_mov_b64_e32 v[46:47], 0
	s_wait_dscnt 0x0
	s_barrier_signal -1
	s_barrier_wait -1
	global_wb scope:SCOPE_DEV
	s_wait_storecnt 0x0
	global_inv scope:SCOPE_DEV
	s_and_saveexec_b32 s13, s3
	s_cbranch_execz .LBB146_181
; %bb.176:                              ;   in Loop: Header=BB146_3 Depth=1
	ds_load_b64 v[46:47], v61 offset:27008
	ds_load_b64 v[48:49], v62 offset:28576
	s_wait_dscnt 0x0
	v_dual_mul_f32 v0, v49, v47 :: v_dual_mul_f32 v35, v48, v47
	s_delay_alu instid0(VALU_DEP_1) | instskip(NEXT) | instid1(VALU_DEP_1)
	v_dual_fma_f32 v0, v48, v46, -v0 :: v_dual_fmac_f32 v35, v49, v46
	v_dual_add_f32 v46, 0, v0 :: v_dual_add_f32 v47, 0, v35
	s_and_saveexec_b32 s10, s15
	s_cbranch_execnz .LBB146_1070
; %bb.177:                              ;   in Loop: Header=BB146_3 Depth=1
	s_or_b32 exec_lo, exec_lo, s10
	s_and_saveexec_b32 s10, s16
	s_cbranch_execnz .LBB146_1071
.LBB146_178:                            ;   in Loop: Header=BB146_3 Depth=1
	s_or_b32 exec_lo, exec_lo, s10
	s_and_saveexec_b32 s10, s1
	s_cbranch_execz .LBB146_180
.LBB146_179:                            ;   in Loop: Header=BB146_3 Depth=1
	ds_load_b64 v[48:49], v83 offset:28544
	ds_load_b64 v[50:51], v1 offset:28600
	s_wait_dscnt 0x0
	v_pk_mul_f32 v[52:53], v[50:51], v[48:49] op_sel:[1,1] op_sel_hi:[0,1]
	s_delay_alu instid0(VALU_DEP_1) | instskip(SKIP_1) | instid1(VALU_DEP_2)
	v_pk_fma_f32 v[102:103], v[50:51], v[48:49], v[52:53] op_sel_hi:[1,0,1]
	v_pk_fma_f32 v[48:49], v[50:51], v[48:49], v[52:53] neg_lo:[0,0,1] neg_hi:[0,0,1]
	v_mov_b32_e32 v49, v103
	s_delay_alu instid0(VALU_DEP_1)
	v_pk_add_f32 v[46:47], v[46:47], v[48:49]
.LBB146_180:                            ;   in Loop: Header=BB146_3 Depth=1
	s_or_b32 exec_lo, exec_lo, s10
.LBB146_181:                            ;   in Loop: Header=BB146_3 Depth=1
	s_delay_alu instid0(SALU_CYCLE_1)
	s_or_b32 exec_lo, exec_lo, s13
	s_and_saveexec_b32 s10, s92
; %bb.182:                              ;   in Loop: Header=BB146_3 Depth=1
	s_delay_alu instid0(VALU_DEP_1)
	v_pk_add_f32 v[48:49], v[46:47], 0 neg_lo:[1,1] neg_hi:[1,1]
	ds_store_b64 v60, v[48:49]
; %bb.183:                              ;   in Loop: Header=BB146_3 Depth=1
	s_or_b32 exec_lo, exec_lo, s10
	s_wait_loadcnt_dscnt 0x0
	s_barrier_signal -1
	s_barrier_wait -1
	s_and_saveexec_b32 s10, s93
	s_cbranch_execz .LBB146_185
; %bb.184:                              ;   in Loop: Header=BB146_3 Depth=1
	ds_load_b64 v[48:49], v61 offset:26496
	ds_load_b64 v[50:51], v60
	s_wait_dscnt 0x0
	v_pk_mul_f32 v[52:53], v[50:51], v[48:49] op_sel:[1,1] op_sel_hi:[0,1]
	s_delay_alu instid0(VALU_DEP_1) | instskip(SKIP_1) | instid1(VALU_DEP_2)
	v_pk_fma_f32 v[102:103], v[50:51], v[48:49], v[52:53] op_sel_hi:[1,0,1]
	v_pk_fma_f32 v[48:49], v[50:51], v[48:49], v[52:53] neg_lo:[0,0,1] neg_hi:[0,0,1]
	v_mov_b32_e32 v49, v103
	s_delay_alu instid0(VALU_DEP_1)
	v_pk_add_f32 v[46:47], v[46:47], v[48:49] neg_lo:[0,1] neg_hi:[0,1]
.LBB146_185:                            ;   in Loop: Header=BB146_3 Depth=1
	s_or_b32 exec_lo, exec_lo, s10
	s_barrier_signal -1
	s_barrier_wait -1
	s_and_saveexec_b32 s10, s94
; %bb.186:                              ;   in Loop: Header=BB146_3 Depth=1
	v_pk_add_f32 v[48:49], v[46:47], 0 neg_lo:[1,1] neg_hi:[1,1]
	ds_store_b64 v60, v[48:49]
; %bb.187:                              ;   in Loop: Header=BB146_3 Depth=1
	s_or_b32 exec_lo, exec_lo, s10
	s_wait_dscnt 0x0
	s_barrier_signal -1
	s_barrier_wait -1
	s_and_saveexec_b32 s10, s95
	s_cbranch_execz .LBB146_189
; %bb.188:                              ;   in Loop: Header=BB146_3 Depth=1
	ds_load_b64 v[48:49], v61 offset:25984
	ds_load_b64 v[50:51], v60
	s_wait_dscnt 0x0
	v_pk_mul_f32 v[52:53], v[50:51], v[48:49] op_sel:[1,1] op_sel_hi:[0,1]
	s_delay_alu instid0(VALU_DEP_1) | instskip(SKIP_1) | instid1(VALU_DEP_2)
	v_pk_fma_f32 v[102:103], v[50:51], v[48:49], v[52:53] op_sel_hi:[1,0,1]
	v_pk_fma_f32 v[48:49], v[50:51], v[48:49], v[52:53] neg_lo:[0,0,1] neg_hi:[0,0,1]
	v_mov_b32_e32 v49, v103
	s_delay_alu instid0(VALU_DEP_1)
	v_pk_add_f32 v[46:47], v[46:47], v[48:49] neg_lo:[0,1] neg_hi:[0,1]
.LBB146_189:                            ;   in Loop: Header=BB146_3 Depth=1
	s_or_b32 exec_lo, exec_lo, s10
	s_barrier_signal -1
	s_barrier_wait -1
	s_and_saveexec_b32 s10, s96
; %bb.190:                              ;   in Loop: Header=BB146_3 Depth=1
	v_pk_add_f32 v[48:49], v[46:47], 0 neg_lo:[1,1] neg_hi:[1,1]
	ds_store_b64 v60, v[48:49]
; %bb.191:                              ;   in Loop: Header=BB146_3 Depth=1
	s_or_b32 exec_lo, exec_lo, s10
	s_wait_dscnt 0x0
	;; [unrolled: 26-line block ×3, first 2 shown]
	s_barrier_signal -1
	s_barrier_wait -1
	s_barrier_signal -1
	s_barrier_wait -1
	s_and_saveexec_b32 s10, s3
; %bb.196:                              ;   in Loop: Header=BB146_3 Depth=1
	ds_store_b64 v64, v[46:47] offset:28544
; %bb.197:                              ;   in Loop: Header=BB146_3 Depth=1
	s_or_b32 exec_lo, exec_lo, s10
	s_wait_dscnt 0x0
	s_barrier_signal -1
	s_barrier_wait -1
	s_barrier_signal -1
	s_barrier_wait -1
	s_and_saveexec_b32 s10, s98
	s_cbranch_execz .LBB146_199
; %bb.198:                              ;   in Loop: Header=BB146_3 Depth=1
	ds_load_b64 v[46:47], v84 offset:27008
	s_wait_dscnt 0x0
	ds_store_b64 v86, v[46:47] offset:24992
	ds_load_b64 v[46:47], v84 offset:27016
	s_wait_dscnt 0x0
	ds_store_b64 v86, v[46:47] offset:25504
	;; [unrolled: 3-line block ×4, first 2 shown]
.LBB146_199:                            ;   in Loop: Header=BB146_3 Depth=1
	s_or_b32 exec_lo, exec_lo, s10
	s_wait_dscnt 0x0
	s_barrier_signal -1
	s_barrier_wait -1
	s_and_saveexec_b32 s10, s11
	s_cbranch_execz .LBB146_201
; %bb.200:                              ;   in Loop: Header=BB146_3 Depth=1
	ds_load_b64 v[46:47], v1 offset:26512
	v_add_nc_u32_e64 v0, 0x6000, 0
	ds_store_b64 v1, v[38:39] offset:26520
	s_wait_dscnt 0x1
	ds_store_2addr_b64 v0, v[38:39], v[46:47] offset0:178 offset1:179
.LBB146_201:                            ;   in Loop: Header=BB146_3 Depth=1
	s_or_b32 exec_lo, exec_lo, s10
	v_dual_mov_b32 v46, 0 :: v_dual_mov_b32 v47, 0
	s_wait_dscnt 0x0
	s_barrier_signal -1
	s_barrier_wait -1
	global_wb scope:SCOPE_DEV
	s_wait_storecnt 0x0
	global_inv scope:SCOPE_DEV
	s_and_saveexec_b32 s13, s1
	s_cbranch_execz .LBB146_205
; %bb.202:                              ;   in Loop: Header=BB146_3 Depth=1
	ds_load_b64 v[46:47], v55 offset:25984
	ds_load_b64 v[48:49], v56 offset:26512
	s_wait_dscnt 0x0
	v_pk_mul_f32 v[50:51], v[48:49], v[46:47] op_sel:[1,1] op_sel_hi:[0,1]
	s_delay_alu instid0(VALU_DEP_1) | instskip(SKIP_1) | instid1(VALU_DEP_2)
	v_pk_fma_f32 v[52:53], v[48:49], v[46:47], v[50:51] op_sel_hi:[1,0,1]
	v_pk_fma_f32 v[46:47], v[48:49], v[46:47], v[50:51] neg_lo:[0,0,1] neg_hi:[0,0,1]
	v_mov_b32_e32 v47, v53
	s_delay_alu instid0(VALU_DEP_1)
	v_pk_add_f32 v[46:47], v[46:47], 0 op_sel_hi:[1,0]
	s_and_saveexec_b32 s10, s14
	s_cbranch_execz .LBB146_204
; %bb.203:                              ;   in Loop: Header=BB146_3 Depth=1
	ds_load_b64 v[48:49], v86 offset:26496
	ds_load_b64 v[50:51], v1 offset:26520
	s_wait_dscnt 0x0
	v_pk_mul_f32 v[52:53], v[50:51], v[48:49] op_sel:[1,1] op_sel_hi:[0,1]
	s_delay_alu instid0(VALU_DEP_1) | instskip(SKIP_1) | instid1(VALU_DEP_2)
	v_pk_fma_f32 v[102:103], v[50:51], v[48:49], v[52:53] op_sel_hi:[1,0,1]
	v_pk_fma_f32 v[48:49], v[50:51], v[48:49], v[52:53] neg_lo:[0,0,1] neg_hi:[0,0,1]
	v_mov_b32_e32 v49, v103
	s_delay_alu instid0(VALU_DEP_1)
	v_pk_add_f32 v[46:47], v[46:47], v[48:49]
.LBB146_204:                            ;   in Loop: Header=BB146_3 Depth=1
	s_or_b32 exec_lo, exec_lo, s10
.LBB146_205:                            ;   in Loop: Header=BB146_3 Depth=1
	s_delay_alu instid0(SALU_CYCLE_1)
	s_or_b32 exec_lo, exec_lo, s13
	s_and_saveexec_b32 s10, s89
; %bb.206:                              ;   in Loop: Header=BB146_3 Depth=1
	s_delay_alu instid0(VALU_DEP_1)
	v_pk_add_f32 v[48:49], v[46:47], 0 neg_lo:[1,1] neg_hi:[1,1]
	ds_store_b64 v54, v[48:49]
; %bb.207:                              ;   in Loop: Header=BB146_3 Depth=1
	s_or_b32 exec_lo, exec_lo, s10
	s_wait_loadcnt_dscnt 0x0
	s_barrier_signal -1
	s_barrier_wait -1
	s_and_saveexec_b32 s10, s90
	s_cbranch_execz .LBB146_209
; %bb.208:                              ;   in Loop: Header=BB146_3 Depth=1
	ds_load_b64 v[48:49], v1 offset:25472
	ds_load_b64 v[50:51], v54
	s_wait_dscnt 0x0
	v_pk_mul_f32 v[52:53], v[50:51], v[48:49] op_sel_hi:[1,0]
	s_delay_alu instid0(VALU_DEP_1) | instskip(SKIP_1) | instid1(VALU_DEP_2)
	v_pk_fma_f32 v[102:103], v[50:51], v[48:49], v[52:53] op_sel:[1,1,0] op_sel_hi:[0,1,1]
	v_pk_fma_f32 v[48:49], v[50:51], v[48:49], v[52:53] op_sel:[1,1,0] op_sel_hi:[0,1,1] neg_lo:[0,0,1] neg_hi:[0,0,1]
	v_pk_add_f32 v[50:51], v[46:47], v[102:103] neg_lo:[0,1] neg_hi:[0,1]
	s_delay_alu instid0(VALU_DEP_2) | instskip(NEXT) | instid1(VALU_DEP_2)
	v_pk_add_f32 v[46:47], v[46:47], v[48:49]
	v_mov_b32_e32 v47, v51
.LBB146_209:                            ;   in Loop: Header=BB146_3 Depth=1
	s_or_b32 exec_lo, exec_lo, s10
	s_barrier_signal -1
	s_barrier_wait -1
	s_and_saveexec_b32 s10, s90
; %bb.210:                              ;   in Loop: Header=BB146_3 Depth=1
	v_pk_add_f32 v[48:49], v[46:47], 0 neg_lo:[1,1] neg_hi:[1,1]
	ds_store_b64 v54, v[48:49]
; %bb.211:                              ;   in Loop: Header=BB146_3 Depth=1
	s_or_b32 exec_lo, exec_lo, s10
	s_wait_dscnt 0x0
	s_barrier_signal -1
	s_barrier_wait -1
	s_barrier_signal -1
	s_barrier_wait -1
	s_and_saveexec_b32 s10, s1
; %bb.212:                              ;   in Loop: Header=BB146_3 Depth=1
	ds_store_b64 v58, v[46:47] offset:26496
; %bb.213:                              ;   in Loop: Header=BB146_3 Depth=1
	s_or_b32 exec_lo, exec_lo, s10
	s_wait_dscnt 0x0
	s_barrier_signal -1
	s_barrier_wait -1
	s_barrier_signal -1
	s_barrier_wait -1
	s_and_saveexec_b32 s10, s91
	s_cbranch_execz .LBB146_215
; %bb.214:                              ;   in Loop: Header=BB146_3 Depth=1
	ds_load_b64 v[46:47], v89 offset:25984
	s_wait_dscnt 0x0
	ds_store_b64 v86, v[46:47] offset:24976
	ds_load_b64 v[46:47], v89 offset:25992
	s_wait_dscnt 0x0
	ds_store_b64 v86, v[46:47] offset:25488
.LBB146_215:                            ;   in Loop: Header=BB146_3 Depth=1
	s_or_b32 exec_lo, exec_lo, s10
	s_wait_dscnt 0x0
	s_barrier_signal -1
	s_barrier_wait -1
	s_and_saveexec_b32 s10, s11
	s_cbranch_execz .LBB146_217
; %bb.216:                              ;   in Loop: Header=BB146_3 Depth=1
	ds_load_b64 v[46:47], v1 offset:25472
	v_add_nc_u32_e64 v0, 0x6000, 0
	ds_store_b64 v1, v[38:39] offset:25480
	s_wait_dscnt 0x1
	ds_store_2addr_b64 v0, v[38:39], v[46:47] offset0:48 offset1:49
.LBB146_217:                            ;   in Loop: Header=BB146_3 Depth=1
	s_or_b32 exec_lo, exec_lo, s10
	v_mov_b64_e32 v[46:47], 0
	s_wait_dscnt 0x0
	s_barrier_signal -1
	s_barrier_wait -1
	global_wb scope:SCOPE_DEV
	s_wait_storecnt 0x0
	global_inv scope:SCOPE_DEV
	s_and_saveexec_b32 s62, s5
	s_cbranch_execz .LBB146_245
; %bb.218:                              ;   in Loop: Header=BB146_3 Depth=1
	ds_load_b64 v[46:47], v71 offset:24832
	ds_load_b64 v[48:49], v72 offset:32640
	s_wait_dscnt 0x0
	v_dual_mul_f32 v0, v49, v47 :: v_dual_mul_f32 v35, v48, v47
	s_delay_alu instid0(VALU_DEP_1) | instskip(NEXT) | instid1(VALU_DEP_1)
	v_dual_fma_f32 v0, v48, v46, -v0 :: v_dual_fmac_f32 v35, v49, v46
	v_dual_add_f32 v46, 0, v0 :: v_dual_add_f32 v47, 0, v35
	s_mov_b32 s10, exec_lo
	v_readlane_b32 s13, v111, 21
	s_and_b32 s13, s10, s13
	s_delay_alu instid0(SALU_CYCLE_1)
	s_mov_b32 exec_lo, s13
	s_cbranch_execz .LBB146_220
; %bb.219:                              ;   in Loop: Header=BB146_3 Depth=1
	ds_load_b64 v[48:49], v71 offset:25344
	ds_load_b64 v[50:51], v72 offset:32648
	s_wait_dscnt 0x0
	v_dual_mul_f32 v0, v51, v49 :: v_dual_mul_f32 v35, v50, v49
	s_delay_alu instid0(VALU_DEP_1) | instskip(NEXT) | instid1(VALU_DEP_1)
	v_dual_fma_f32 v0, v50, v48, -v0 :: v_dual_fmac_f32 v35, v51, v48
	v_dual_add_f32 v46, v46, v0 :: v_dual_add_f32 v47, v47, v35
.LBB146_220:                            ;   in Loop: Header=BB146_3 Depth=1
	s_or_b32 exec_lo, exec_lo, s10
	s_delay_alu instid0(SALU_CYCLE_1) | instskip(SKIP_2) | instid1(SALU_CYCLE_1)
	s_mov_b32 s10, exec_lo
	v_readlane_b32 s13, v111, 22
	s_and_b32 s13, s10, s13
	s_mov_b32 exec_lo, s13
	s_cbranch_execz .LBB146_222
; %bb.221:                              ;   in Loop: Header=BB146_3 Depth=1
	ds_load_b64 v[48:49], v71 offset:25856
	ds_load_b64 v[50:51], v72 offset:32656
	s_wait_dscnt 0x0
	v_dual_mul_f32 v0, v51, v49 :: v_dual_mul_f32 v35, v50, v49
	s_delay_alu instid0(VALU_DEP_1) | instskip(NEXT) | instid1(VALU_DEP_1)
	v_dual_fma_f32 v0, v50, v48, -v0 :: v_dual_fmac_f32 v35, v51, v48
	v_dual_add_f32 v46, v46, v0 :: v_dual_add_f32 v47, v47, v35
.LBB146_222:                            ;   in Loop: Header=BB146_3 Depth=1
	s_or_b32 exec_lo, exec_lo, s10
	s_delay_alu instid0(SALU_CYCLE_1) | instskip(SKIP_2) | instid1(SALU_CYCLE_1)
	s_mov_b32 s10, exec_lo
	v_readlane_b32 s13, v111, 23
	s_and_b32 s13, s10, s13
	;; [unrolled: 16-line block ×10, first 2 shown]
	s_mov_b32 exec_lo, s13
	s_cbranch_execnz .LBB146_1072
; %bb.239:                              ;   in Loop: Header=BB146_3 Depth=1
	s_or_b32 exec_lo, exec_lo, s10
	s_and_saveexec_b32 s10, s4
	s_cbranch_execnz .LBB146_1073
.LBB146_240:                            ;   in Loop: Header=BB146_3 Depth=1
	s_or_b32 exec_lo, exec_lo, s10
	s_and_saveexec_b32 s10, s19
	s_cbranch_execnz .LBB146_1074
.LBB146_241:                            ;   in Loop: Header=BB146_3 Depth=1
	s_or_b32 exec_lo, exec_lo, s10
	s_and_saveexec_b32 s10, s21
	s_cbranch_execnz .LBB146_1075
.LBB146_242:                            ;   in Loop: Header=BB146_3 Depth=1
	s_or_b32 exec_lo, exec_lo, s10
	s_and_saveexec_b32 s10, s3
	s_cbranch_execz .LBB146_244
.LBB146_243:                            ;   in Loop: Header=BB146_3 Depth=1
	ds_load_b64 v[48:49], v57 offset:32512
	ds_load_b64 v[50:51], v1 offset:32760
	s_wait_dscnt 0x0
	v_pk_mul_f32 v[52:53], v[50:51], v[48:49] op_sel:[1,1] op_sel_hi:[0,1]
	s_delay_alu instid0(VALU_DEP_1) | instskip(SKIP_1) | instid1(VALU_DEP_2)
	v_pk_fma_f32 v[102:103], v[50:51], v[48:49], v[52:53] op_sel_hi:[1,0,1]
	v_pk_fma_f32 v[48:49], v[50:51], v[48:49], v[52:53] neg_lo:[0,0,1] neg_hi:[0,0,1]
	v_mov_b32_e32 v49, v103
	s_delay_alu instid0(VALU_DEP_1)
	v_pk_add_f32 v[46:47], v[46:47], v[48:49]
.LBB146_244:                            ;   in Loop: Header=BB146_3 Depth=1
	s_or_b32 exec_lo, exec_lo, s10
.LBB146_245:                            ;   in Loop: Header=BB146_3 Depth=1
	s_delay_alu instid0(SALU_CYCLE_1) | instskip(NEXT) | instid1(SALU_CYCLE_1)
	s_or_b32 exec_lo, exec_lo, s62
	s_mov_b32 s10, exec_lo
	v_readlane_b32 s13, v111, 1
	s_and_b32 s13, s10, s13
	s_delay_alu instid0(SALU_CYCLE_1)
	s_mov_b32 exec_lo, s13
; %bb.246:                              ;   in Loop: Header=BB146_3 Depth=1
	v_pk_add_f32 v[48:49], v[46:47], 0 neg_lo:[1,1] neg_hi:[1,1]
	ds_store_b64 v70, v[48:49]
; %bb.247:                              ;   in Loop: Header=BB146_3 Depth=1
	s_or_b32 exec_lo, exec_lo, s10
	s_wait_loadcnt_dscnt 0x0
	s_barrier_signal -1
	s_barrier_wait -1
	s_mov_b32 s10, exec_lo
	v_readlane_b32 s13, v111, 2
	s_and_b32 s13, s10, s13
	s_delay_alu instid0(SALU_CYCLE_1)
	s_mov_b32 exec_lo, s13
	s_cbranch_execz .LBB146_249
; %bb.248:                              ;   in Loop: Header=BB146_3 Depth=1
	ds_load_b64 v[48:49], v71 offset:24320
	ds_load_b64 v[50:51], v70
	s_wait_dscnt 0x0
	v_pk_mul_f32 v[52:53], v[50:51], v[48:49] op_sel:[1,1] op_sel_hi:[0,1]
	s_delay_alu instid0(VALU_DEP_1) | instskip(SKIP_1) | instid1(VALU_DEP_2)
	v_pk_fma_f32 v[102:103], v[50:51], v[48:49], v[52:53] op_sel_hi:[1,0,1]
	v_pk_fma_f32 v[48:49], v[50:51], v[48:49], v[52:53] neg_lo:[0,0,1] neg_hi:[0,0,1]
	v_mov_b32_e32 v49, v103
	s_delay_alu instid0(VALU_DEP_1)
	v_pk_add_f32 v[46:47], v[46:47], v[48:49] neg_lo:[0,1] neg_hi:[0,1]
.LBB146_249:                            ;   in Loop: Header=BB146_3 Depth=1
	s_or_b32 exec_lo, exec_lo, s10
	s_barrier_signal -1
	s_barrier_wait -1
	s_mov_b32 s10, exec_lo
	v_readlane_b32 s13, v111, 3
	s_and_b32 s13, s10, s13
	s_delay_alu instid0(SALU_CYCLE_1)
	s_mov_b32 exec_lo, s13
; %bb.250:                              ;   in Loop: Header=BB146_3 Depth=1
	v_pk_add_f32 v[48:49], v[46:47], 0 neg_lo:[1,1] neg_hi:[1,1]
	ds_store_b64 v70, v[48:49]
; %bb.251:                              ;   in Loop: Header=BB146_3 Depth=1
	s_or_b32 exec_lo, exec_lo, s10
	s_wait_dscnt 0x0
	s_barrier_signal -1
	s_barrier_wait -1
	s_mov_b32 s10, exec_lo
	v_readlane_b32 s13, v111, 4
	s_and_b32 s13, s10, s13
	s_delay_alu instid0(SALU_CYCLE_1)
	s_mov_b32 exec_lo, s13
	s_cbranch_execz .LBB146_253
; %bb.252:                              ;   in Loop: Header=BB146_3 Depth=1
	ds_load_b64 v[48:49], v71 offset:23808
	ds_load_b64 v[50:51], v70
	s_wait_dscnt 0x0
	v_pk_mul_f32 v[52:53], v[50:51], v[48:49] op_sel:[1,1] op_sel_hi:[0,1]
	s_delay_alu instid0(VALU_DEP_1) | instskip(SKIP_1) | instid1(VALU_DEP_2)
	v_pk_fma_f32 v[102:103], v[50:51], v[48:49], v[52:53] op_sel_hi:[1,0,1]
	v_pk_fma_f32 v[48:49], v[50:51], v[48:49], v[52:53] neg_lo:[0,0,1] neg_hi:[0,0,1]
	v_mov_b32_e32 v49, v103
	s_delay_alu instid0(VALU_DEP_1)
	v_pk_add_f32 v[46:47], v[46:47], v[48:49] neg_lo:[0,1] neg_hi:[0,1]
.LBB146_253:                            ;   in Loop: Header=BB146_3 Depth=1
	s_or_b32 exec_lo, exec_lo, s10
	s_barrier_signal -1
	s_barrier_wait -1
	s_mov_b32 s10, exec_lo
	v_readlane_b32 s13, v111, 5
	s_and_b32 s13, s10, s13
	s_delay_alu instid0(SALU_CYCLE_1)
	s_mov_b32 exec_lo, s13
; %bb.254:                              ;   in Loop: Header=BB146_3 Depth=1
	v_pk_add_f32 v[48:49], v[46:47], 0 neg_lo:[1,1] neg_hi:[1,1]
	ds_store_b64 v70, v[48:49]
; %bb.255:                              ;   in Loop: Header=BB146_3 Depth=1
	s_or_b32 exec_lo, exec_lo, s10
	s_wait_dscnt 0x0
	;; [unrolled: 34-line block ×3, first 2 shown]
	s_barrier_signal -1
	s_barrier_wait -1
	s_and_saveexec_b32 s10, s54
	s_cbranch_execz .LBB146_261
; %bb.260:                              ;   in Loop: Header=BB146_3 Depth=1
	ds_load_b64 v[48:49], v71 offset:22784
	ds_load_b64 v[50:51], v70
	s_wait_dscnt 0x0
	v_dual_mul_f32 v0, v51, v49 :: v_dual_mul_f32 v35, v50, v49
	s_delay_alu instid0(VALU_DEP_1) | instskip(NEXT) | instid1(VALU_DEP_1)
	v_dual_fma_f32 v0, v50, v48, -v0 :: v_dual_fmac_f32 v35, v51, v48
	v_dual_sub_f32 v46, v46, v0 :: v_dual_sub_f32 v47, v47, v35
.LBB146_261:                            ;   in Loop: Header=BB146_3 Depth=1
	s_or_b32 exec_lo, exec_lo, s10
	s_barrier_signal -1
	s_barrier_wait -1
	s_and_saveexec_b32 s10, s55
; %bb.262:                              ;   in Loop: Header=BB146_3 Depth=1
	v_pk_add_f32 v[48:49], v[46:47], 0 neg_lo:[1,1] neg_hi:[1,1]
	ds_store_b64 v70, v[48:49]
; %bb.263:                              ;   in Loop: Header=BB146_3 Depth=1
	s_or_b32 exec_lo, exec_lo, s10
	s_wait_dscnt 0x0
	s_barrier_signal -1
	s_barrier_wait -1
	s_and_saveexec_b32 s10, s56
	s_cbranch_execz .LBB146_265
; %bb.264:                              ;   in Loop: Header=BB146_3 Depth=1
	ds_load_b64 v[48:49], v71 offset:22272
	ds_load_b64 v[50:51], v70
	s_wait_dscnt 0x0
	v_dual_mul_f32 v0, v51, v49 :: v_dual_mul_f32 v53, v50, v49
	s_delay_alu instid0(VALU_DEP_1) | instskip(NEXT) | instid1(VALU_DEP_1)
	v_dual_fma_f32 v52, v50, v48, -v0 :: v_dual_fmac_f32 v53, v51, v48
	v_pk_add_f32 v[46:47], v[46:47], v[52:53] neg_lo:[0,1] neg_hi:[0,1]
.LBB146_265:                            ;   in Loop: Header=BB146_3 Depth=1
	s_or_b32 exec_lo, exec_lo, s10
	s_barrier_signal -1
	s_barrier_wait -1
	s_and_saveexec_b32 s10, s57
; %bb.266:                              ;   in Loop: Header=BB146_3 Depth=1
	v_pk_add_f32 v[48:49], v[46:47], 0 neg_lo:[1,1] neg_hi:[1,1]
	ds_store_b64 v70, v[48:49]
; %bb.267:                              ;   in Loop: Header=BB146_3 Depth=1
	s_or_b32 exec_lo, exec_lo, s10
	s_wait_dscnt 0x0
	s_barrier_signal -1
	s_barrier_wait -1
	s_and_saveexec_b32 s10, s58
	s_cbranch_execz .LBB146_269
; %bb.268:                              ;   in Loop: Header=BB146_3 Depth=1
	ds_load_b64 v[48:49], v71 offset:21760
	ds_load_b64 v[50:51], v70
	s_wait_dscnt 0x0
	v_pk_mul_f32 v[52:53], v[50:51], v[48:49] op_sel:[1,1] op_sel_hi:[0,1]
	s_delay_alu instid0(VALU_DEP_1) | instskip(SKIP_1) | instid1(VALU_DEP_2)
	v_pk_fma_f32 v[102:103], v[50:51], v[48:49], v[52:53] op_sel_hi:[1,0,1]
	v_pk_fma_f32 v[48:49], v[50:51], v[48:49], v[52:53] neg_lo:[0,0,1] neg_hi:[0,0,1]
	v_mov_b32_e32 v49, v103
	s_delay_alu instid0(VALU_DEP_1)
	v_pk_add_f32 v[46:47], v[46:47], v[48:49] neg_lo:[0,1] neg_hi:[0,1]
.LBB146_269:                            ;   in Loop: Header=BB146_3 Depth=1
	s_or_b32 exec_lo, exec_lo, s10
	s_barrier_signal -1
	s_barrier_wait -1
	s_and_saveexec_b32 s10, s59
; %bb.270:                              ;   in Loop: Header=BB146_3 Depth=1
	v_pk_add_f32 v[48:49], v[46:47], 0 neg_lo:[1,1] neg_hi:[1,1]
	ds_store_b64 v70, v[48:49]
; %bb.271:                              ;   in Loop: Header=BB146_3 Depth=1
	s_or_b32 exec_lo, exec_lo, s10
	s_wait_dscnt 0x0
	s_barrier_signal -1
	s_barrier_wait -1
	s_and_saveexec_b32 s10, s60
	s_cbranch_execz .LBB146_273
; %bb.272:                              ;   in Loop: Header=BB146_3 Depth=1
	ds_load_b64 v[48:49], v71 offset:21248
	ds_load_b64 v[50:51], v70
	s_wait_dscnt 0x0
	v_pk_mul_f32 v[52:53], v[50:51], v[48:49] op_sel:[1,1] op_sel_hi:[0,1]
	s_delay_alu instid0(VALU_DEP_1) | instskip(SKIP_1) | instid1(VALU_DEP_2)
	v_pk_fma_f32 v[102:103], v[50:51], v[48:49], v[52:53] op_sel_hi:[1,0,1]
	v_pk_fma_f32 v[48:49], v[50:51], v[48:49], v[52:53] neg_lo:[0,0,1] neg_hi:[0,0,1]
	v_mov_b32_e32 v49, v103
	s_delay_alu instid0(VALU_DEP_1)
	v_pk_add_f32 v[46:47], v[46:47], v[48:49] neg_lo:[0,1] neg_hi:[0,1]
.LBB146_273:                            ;   in Loop: Header=BB146_3 Depth=1
	;; [unrolled: 26-line block ×4, first 2 shown]
	s_or_b32 exec_lo, exec_lo, s10
	s_barrier_signal -1
	s_barrier_wait -1
	s_and_saveexec_b32 s10, s27
; %bb.282:                              ;   in Loop: Header=BB146_3 Depth=1
	v_pk_add_f32 v[48:49], v[46:47], 0 neg_lo:[1,1] neg_hi:[1,1]
	ds_store_b64 v70, v[48:49]
; %bb.283:                              ;   in Loop: Header=BB146_3 Depth=1
	s_or_b32 exec_lo, exec_lo, s10
	s_wait_dscnt 0x0
	s_barrier_signal -1
	s_barrier_wait -1
	s_and_saveexec_b32 s10, s29
	s_cbranch_execz .LBB146_285
; %bb.284:                              ;   in Loop: Header=BB146_3 Depth=1
	ds_load_b64 v[48:49], v71 offset:19712
	ds_load_b64 v[50:51], v70
	s_wait_dscnt 0x0
	v_dual_mul_f32 v0, v51, v49 :: v_dual_mul_f32 v35, v50, v49
	s_delay_alu instid0(VALU_DEP_1) | instskip(NEXT) | instid1(VALU_DEP_1)
	v_dual_fma_f32 v0, v50, v48, -v0 :: v_dual_fmac_f32 v35, v51, v48
	v_dual_sub_f32 v46, v46, v0 :: v_dual_sub_f32 v47, v47, v35
.LBB146_285:                            ;   in Loop: Header=BB146_3 Depth=1
	s_or_b32 exec_lo, exec_lo, s10
	s_barrier_signal -1
	s_barrier_wait -1
	s_and_saveexec_b32 s10, s31
; %bb.286:                              ;   in Loop: Header=BB146_3 Depth=1
	v_pk_add_f32 v[48:49], v[46:47], 0 neg_lo:[1,1] neg_hi:[1,1]
	ds_store_b64 v70, v[48:49]
; %bb.287:                              ;   in Loop: Header=BB146_3 Depth=1
	s_or_b32 exec_lo, exec_lo, s10
	s_wait_dscnt 0x0
	s_barrier_signal -1
	s_barrier_wait -1
	s_and_saveexec_b32 s10, s34
	s_cbranch_execz .LBB146_289
; %bb.288:                              ;   in Loop: Header=BB146_3 Depth=1
	ds_load_b64 v[48:49], v71 offset:19200
	ds_load_b64 v[50:51], v70
	s_wait_dscnt 0x0
	v_dual_mul_f32 v0, v51, v49 :: v_dual_mul_f32 v53, v50, v49
	s_delay_alu instid0(VALU_DEP_1) | instskip(NEXT) | instid1(VALU_DEP_1)
	v_dual_fma_f32 v52, v50, v48, -v0 :: v_dual_fmac_f32 v53, v51, v48
	v_pk_add_f32 v[46:47], v[46:47], v[52:53] neg_lo:[0,1] neg_hi:[0,1]
.LBB146_289:                            ;   in Loop: Header=BB146_3 Depth=1
	s_or_b32 exec_lo, exec_lo, s10
	s_barrier_signal -1
	s_barrier_wait -1
	s_and_saveexec_b32 s10, s46
; %bb.290:                              ;   in Loop: Header=BB146_3 Depth=1
	v_pk_add_f32 v[48:49], v[46:47], 0 neg_lo:[1,1] neg_hi:[1,1]
	ds_store_b64 v70, v[48:49]
; %bb.291:                              ;   in Loop: Header=BB146_3 Depth=1
	s_or_b32 exec_lo, exec_lo, s10
	s_wait_dscnt 0x0
	s_barrier_signal -1
	s_barrier_wait -1
	s_and_saveexec_b32 s10, s24
	s_cbranch_execz .LBB146_293
; %bb.292:                              ;   in Loop: Header=BB146_3 Depth=1
	ds_load_b64 v[48:49], v71 offset:18688
	ds_load_b64 v[50:51], v70
	s_wait_dscnt 0x0
	v_pk_mul_f32 v[52:53], v[50:51], v[48:49] op_sel:[1,1] op_sel_hi:[0,1]
	s_delay_alu instid0(VALU_DEP_1) | instskip(SKIP_1) | instid1(VALU_DEP_2)
	v_pk_fma_f32 v[102:103], v[50:51], v[48:49], v[52:53] op_sel_hi:[1,0,1]
	v_pk_fma_f32 v[48:49], v[50:51], v[48:49], v[52:53] neg_lo:[0,0,1] neg_hi:[0,0,1]
	v_mov_b32_e32 v49, v103
	s_delay_alu instid0(VALU_DEP_1)
	v_pk_add_f32 v[46:47], v[46:47], v[48:49] neg_lo:[0,1] neg_hi:[0,1]
.LBB146_293:                            ;   in Loop: Header=BB146_3 Depth=1
	s_or_b32 exec_lo, exec_lo, s10
	s_barrier_signal -1
	s_barrier_wait -1
	s_and_saveexec_b32 s10, s26
; %bb.294:                              ;   in Loop: Header=BB146_3 Depth=1
	v_pk_add_f32 v[48:49], v[46:47], 0 neg_lo:[1,1] neg_hi:[1,1]
	ds_store_b64 v70, v[48:49]
; %bb.295:                              ;   in Loop: Header=BB146_3 Depth=1
	s_or_b32 exec_lo, exec_lo, s10
	s_wait_dscnt 0x0
	s_barrier_signal -1
	s_barrier_wait -1
	s_and_saveexec_b32 s10, s28
	s_cbranch_execz .LBB146_297
; %bb.296:                              ;   in Loop: Header=BB146_3 Depth=1
	ds_load_b64 v[48:49], v71 offset:18176
	ds_load_b64 v[50:51], v70
	s_wait_dscnt 0x0
	v_pk_mul_f32 v[52:53], v[50:51], v[48:49] op_sel:[1,1] op_sel_hi:[0,1]
	s_delay_alu instid0(VALU_DEP_1) | instskip(SKIP_1) | instid1(VALU_DEP_2)
	v_pk_fma_f32 v[102:103], v[50:51], v[48:49], v[52:53] op_sel_hi:[1,0,1]
	v_pk_fma_f32 v[48:49], v[50:51], v[48:49], v[52:53] neg_lo:[0,0,1] neg_hi:[0,0,1]
	v_mov_b32_e32 v49, v103
	s_delay_alu instid0(VALU_DEP_1)
	v_pk_add_f32 v[46:47], v[46:47], v[48:49] neg_lo:[0,1] neg_hi:[0,1]
.LBB146_297:                            ;   in Loop: Header=BB146_3 Depth=1
	;; [unrolled: 26-line block ×4, first 2 shown]
	s_or_b32 exec_lo, exec_lo, s10
	s_barrier_signal -1
	s_barrier_wait -1
	s_and_saveexec_b32 s10, s47
; %bb.306:                              ;   in Loop: Header=BB146_3 Depth=1
	v_pk_add_f32 v[48:49], v[46:47], 0 neg_lo:[1,1] neg_hi:[1,1]
	ds_store_b64 v70, v[48:49]
; %bb.307:                              ;   in Loop: Header=BB146_3 Depth=1
	s_or_b32 exec_lo, exec_lo, s10
	s_wait_dscnt 0x0
	s_barrier_signal -1
	s_barrier_wait -1
	s_barrier_signal -1
	s_barrier_wait -1
	s_and_saveexec_b32 s10, s5
; %bb.308:                              ;   in Loop: Header=BB146_3 Depth=1
	ds_store_b64 v74, v[46:47] offset:32512
; %bb.309:                              ;   in Loop: Header=BB146_3 Depth=1
	s_or_b32 exec_lo, exec_lo, s10
	s_wait_dscnt 0x0
	s_barrier_signal -1
	s_barrier_wait -1
	s_barrier_signal -1
	s_barrier_wait -1
	s_and_saveexec_b32 s13, s48
	s_cbranch_execz .LBB146_311
; %bb.310:                              ;   in Loop: Header=BB146_3 Depth=1
	ds_load_b64 v[46:47], v59 offset:24832
	s_wait_dscnt 0x0
	ds_store_b64 v63, v[46:47] offset:16768
	ds_load_b64 v[46:47], v59 offset:24840
	s_wait_dscnt 0x0
	ds_store_b64 v63, v[46:47] offset:17280
	;; [unrolled: 3-line block ×16, first 2 shown]
.LBB146_311:                            ;   in Loop: Header=BB146_3 Depth=1
	s_or_b32 exec_lo, exec_lo, s13
	s_wait_dscnt 0x0
	s_barrier_signal -1
	s_barrier_wait -1
	s_and_saveexec_b32 s10, s11
	s_cbranch_execz .LBB146_313
; %bb.312:                              ;   in Loop: Header=BB146_3 Depth=1
	ds_load_b64 v[46:47], v1 offset:24432
	v_add_nc_u32_e64 v0, 0x5800, 0
	ds_store_b64 v1, v[38:39] offset:24440
	s_wait_dscnt 0x1
	ds_store_2addr_b64 v0, v[38:39], v[46:47] offset0:174 offset1:175
.LBB146_313:                            ;   in Loop: Header=BB146_3 Depth=1
	s_or_b32 exec_lo, exec_lo, s10
	v_dual_mov_b32 v46, 0 :: v_dual_mov_b32 v47, 0
	s_wait_dscnt 0x0
	s_barrier_signal -1
	s_barrier_wait -1
	global_wb scope:SCOPE_DEV
	s_wait_storecnt 0x0
	global_inv scope:SCOPE_DEV
	s_and_saveexec_b32 s13, s1
	s_cbranch_execz .LBB146_317
; %bb.314:                              ;   in Loop: Header=BB146_3 Depth=1
	ds_load_b64 v[46:47], v55 offset:23904
	ds_load_b64 v[48:49], v56 offset:24432
	s_wait_dscnt 0x0
	v_pk_mul_f32 v[50:51], v[48:49], v[46:47] op_sel:[1,1] op_sel_hi:[0,1]
	s_delay_alu instid0(VALU_DEP_1) | instskip(SKIP_1) | instid1(VALU_DEP_2)
	v_pk_fma_f32 v[52:53], v[48:49], v[46:47], v[50:51] op_sel_hi:[1,0,1]
	v_pk_fma_f32 v[46:47], v[48:49], v[46:47], v[50:51] neg_lo:[0,0,1] neg_hi:[0,0,1]
	v_mov_b32_e32 v47, v53
	s_delay_alu instid0(VALU_DEP_1)
	v_pk_add_f32 v[46:47], v[46:47], 0 op_sel_hi:[1,0]
	s_and_saveexec_b32 s10, s14
	s_cbranch_execz .LBB146_316
; %bb.315:                              ;   in Loop: Header=BB146_3 Depth=1
	ds_load_b64 v[48:49], v57 offset:24416
	ds_load_b64 v[50:51], v1 offset:24440
	s_wait_dscnt 0x0
	v_pk_mul_f32 v[52:53], v[50:51], v[48:49] op_sel:[1,1] op_sel_hi:[0,1]
	s_delay_alu instid0(VALU_DEP_1) | instskip(SKIP_1) | instid1(VALU_DEP_2)
	v_pk_fma_f32 v[102:103], v[50:51], v[48:49], v[52:53] op_sel_hi:[1,0,1]
	v_pk_fma_f32 v[48:49], v[50:51], v[48:49], v[52:53] neg_lo:[0,0,1] neg_hi:[0,0,1]
	v_mov_b32_e32 v49, v103
	s_delay_alu instid0(VALU_DEP_1)
	v_pk_add_f32 v[46:47], v[46:47], v[48:49]
.LBB146_316:                            ;   in Loop: Header=BB146_3 Depth=1
	s_or_b32 exec_lo, exec_lo, s10
.LBB146_317:                            ;   in Loop: Header=BB146_3 Depth=1
	s_delay_alu instid0(SALU_CYCLE_1)
	s_or_b32 exec_lo, exec_lo, s13
	s_and_saveexec_b32 s10, s89
; %bb.318:                              ;   in Loop: Header=BB146_3 Depth=1
	s_delay_alu instid0(VALU_DEP_1)
	v_pk_add_f32 v[48:49], v[46:47], 0 neg_lo:[1,1] neg_hi:[1,1]
	ds_store_b64 v54, v[48:49]
; %bb.319:                              ;   in Loop: Header=BB146_3 Depth=1
	s_or_b32 exec_lo, exec_lo, s10
	s_wait_loadcnt_dscnt 0x0
	s_barrier_signal -1
	s_barrier_wait -1
	s_and_saveexec_b32 s10, s90
	s_cbranch_execz .LBB146_321
; %bb.320:                              ;   in Loop: Header=BB146_3 Depth=1
	ds_load_b64 v[48:49], v1 offset:23392
	ds_load_b64 v[50:51], v54
	s_wait_dscnt 0x0
	v_pk_mul_f32 v[52:53], v[50:51], v[48:49] op_sel_hi:[1,0]
	s_delay_alu instid0(VALU_DEP_1) | instskip(SKIP_1) | instid1(VALU_DEP_2)
	v_pk_fma_f32 v[102:103], v[50:51], v[48:49], v[52:53] op_sel:[1,1,0] op_sel_hi:[0,1,1]
	v_pk_fma_f32 v[48:49], v[50:51], v[48:49], v[52:53] op_sel:[1,1,0] op_sel_hi:[0,1,1] neg_lo:[0,0,1] neg_hi:[0,0,1]
	v_pk_add_f32 v[50:51], v[46:47], v[102:103] neg_lo:[0,1] neg_hi:[0,1]
	s_delay_alu instid0(VALU_DEP_2) | instskip(NEXT) | instid1(VALU_DEP_2)
	v_pk_add_f32 v[46:47], v[46:47], v[48:49]
	v_mov_b32_e32 v47, v51
.LBB146_321:                            ;   in Loop: Header=BB146_3 Depth=1
	s_or_b32 exec_lo, exec_lo, s10
	s_barrier_signal -1
	s_barrier_wait -1
	s_and_saveexec_b32 s10, s90
; %bb.322:                              ;   in Loop: Header=BB146_3 Depth=1
	v_pk_add_f32 v[48:49], v[46:47], 0 neg_lo:[1,1] neg_hi:[1,1]
	ds_store_b64 v54, v[48:49]
; %bb.323:                              ;   in Loop: Header=BB146_3 Depth=1
	s_or_b32 exec_lo, exec_lo, s10
	s_wait_dscnt 0x0
	s_barrier_signal -1
	s_barrier_wait -1
	s_barrier_signal -1
	s_barrier_wait -1
	s_and_saveexec_b32 s10, s1
; %bb.324:                              ;   in Loop: Header=BB146_3 Depth=1
	ds_store_b64 v58, v[46:47] offset:24416
; %bb.325:                              ;   in Loop: Header=BB146_3 Depth=1
	s_or_b32 exec_lo, exec_lo, s10
	s_wait_dscnt 0x0
	s_barrier_signal -1
	s_barrier_wait -1
	s_barrier_signal -1
	s_barrier_wait -1
	s_and_saveexec_b32 s10, s91
	s_cbranch_execz .LBB146_327
; %bb.326:                              ;   in Loop: Header=BB146_3 Depth=1
	ds_load_b64 v[46:47], v59 offset:23904
	s_wait_dscnt 0x0
	ds_store_b64 v57, v[46:47] offset:22896
	ds_load_b64 v[46:47], v59 offset:23912
	s_wait_dscnt 0x0
	ds_store_b64 v57, v[46:47] offset:23408
.LBB146_327:                            ;   in Loop: Header=BB146_3 Depth=1
	s_or_b32 exec_lo, exec_lo, s10
	s_wait_dscnt 0x0
	s_barrier_signal -1
	s_barrier_wait -1
	s_and_saveexec_b32 s10, s11
	s_cbranch_execz .LBB146_329
; %bb.328:                              ;   in Loop: Header=BB146_3 Depth=1
	ds_load_b64 v[46:47], v1 offset:23392
	v_add_nc_u32_e64 v0, 0x5800, 0
	ds_store_b64 v1, v[38:39] offset:23400
	s_wait_dscnt 0x1
	ds_store_2addr_b64 v0, v[38:39], v[46:47] offset0:44 offset1:45
.LBB146_329:                            ;   in Loop: Header=BB146_3 Depth=1
	s_or_b32 exec_lo, exec_lo, s10
	v_mov_b64_e32 v[46:47], 0
	s_wait_dscnt 0x0
	s_barrier_signal -1
	s_barrier_wait -1
	global_wb scope:SCOPE_DEV
	s_wait_storecnt 0x0
	global_inv scope:SCOPE_DEV
	s_and_saveexec_b32 s13, s3
	s_cbranch_execz .LBB146_335
; %bb.330:                              ;   in Loop: Header=BB146_3 Depth=1
	ds_load_b64 v[46:47], v61 offset:22848
	ds_load_b64 v[48:49], v62 offset:24416
	s_wait_dscnt 0x0
	v_dual_mul_f32 v0, v49, v47 :: v_dual_mul_f32 v35, v48, v47
	s_delay_alu instid0(VALU_DEP_1) | instskip(NEXT) | instid1(VALU_DEP_1)
	v_dual_fma_f32 v0, v48, v46, -v0 :: v_dual_fmac_f32 v35, v49, v46
	v_dual_add_f32 v46, 0, v0 :: v_dual_add_f32 v47, 0, v35
	s_and_saveexec_b32 s10, s15
	s_cbranch_execnz .LBB146_1076
; %bb.331:                              ;   in Loop: Header=BB146_3 Depth=1
	s_or_b32 exec_lo, exec_lo, s10
	s_and_saveexec_b32 s10, s16
	s_cbranch_execnz .LBB146_1077
.LBB146_332:                            ;   in Loop: Header=BB146_3 Depth=1
	s_or_b32 exec_lo, exec_lo, s10
	s_and_saveexec_b32 s10, s1
	s_cbranch_execz .LBB146_334
.LBB146_333:                            ;   in Loop: Header=BB146_3 Depth=1
	ds_load_b64 v[48:49], v63 offset:24384
	ds_load_b64 v[50:51], v1 offset:24440
	s_wait_dscnt 0x0
	v_pk_mul_f32 v[52:53], v[50:51], v[48:49] op_sel:[1,1] op_sel_hi:[0,1]
	s_delay_alu instid0(VALU_DEP_1) | instskip(SKIP_1) | instid1(VALU_DEP_2)
	v_pk_fma_f32 v[102:103], v[50:51], v[48:49], v[52:53] op_sel_hi:[1,0,1]
	v_pk_fma_f32 v[48:49], v[50:51], v[48:49], v[52:53] neg_lo:[0,0,1] neg_hi:[0,0,1]
	v_mov_b32_e32 v49, v103
	s_delay_alu instid0(VALU_DEP_1)
	v_pk_add_f32 v[46:47], v[46:47], v[48:49]
.LBB146_334:                            ;   in Loop: Header=BB146_3 Depth=1
	s_or_b32 exec_lo, exec_lo, s10
.LBB146_335:                            ;   in Loop: Header=BB146_3 Depth=1
	s_delay_alu instid0(SALU_CYCLE_1)
	s_or_b32 exec_lo, exec_lo, s13
	s_and_saveexec_b32 s10, s92
; %bb.336:                              ;   in Loop: Header=BB146_3 Depth=1
	s_delay_alu instid0(VALU_DEP_1)
	v_pk_add_f32 v[48:49], v[46:47], 0 neg_lo:[1,1] neg_hi:[1,1]
	ds_store_b64 v60, v[48:49]
; %bb.337:                              ;   in Loop: Header=BB146_3 Depth=1
	s_or_b32 exec_lo, exec_lo, s10
	s_wait_loadcnt_dscnt 0x0
	s_barrier_signal -1
	s_barrier_wait -1
	s_and_saveexec_b32 s10, s93
	s_cbranch_execz .LBB146_339
; %bb.338:                              ;   in Loop: Header=BB146_3 Depth=1
	ds_load_b64 v[48:49], v61 offset:22336
	ds_load_b64 v[50:51], v60
	s_wait_dscnt 0x0
	v_pk_mul_f32 v[52:53], v[50:51], v[48:49] op_sel:[1,1] op_sel_hi:[0,1]
	s_delay_alu instid0(VALU_DEP_1) | instskip(SKIP_1) | instid1(VALU_DEP_2)
	v_pk_fma_f32 v[102:103], v[50:51], v[48:49], v[52:53] op_sel_hi:[1,0,1]
	v_pk_fma_f32 v[48:49], v[50:51], v[48:49], v[52:53] neg_lo:[0,0,1] neg_hi:[0,0,1]
	v_mov_b32_e32 v49, v103
	s_delay_alu instid0(VALU_DEP_1)
	v_pk_add_f32 v[46:47], v[46:47], v[48:49] neg_lo:[0,1] neg_hi:[0,1]
.LBB146_339:                            ;   in Loop: Header=BB146_3 Depth=1
	s_or_b32 exec_lo, exec_lo, s10
	s_barrier_signal -1
	s_barrier_wait -1
	s_and_saveexec_b32 s10, s94
; %bb.340:                              ;   in Loop: Header=BB146_3 Depth=1
	v_pk_add_f32 v[48:49], v[46:47], 0 neg_lo:[1,1] neg_hi:[1,1]
	ds_store_b64 v60, v[48:49]
; %bb.341:                              ;   in Loop: Header=BB146_3 Depth=1
	s_or_b32 exec_lo, exec_lo, s10
	s_wait_dscnt 0x0
	s_barrier_signal -1
	s_barrier_wait -1
	s_and_saveexec_b32 s10, s95
	s_cbranch_execz .LBB146_343
; %bb.342:                              ;   in Loop: Header=BB146_3 Depth=1
	ds_load_b64 v[48:49], v61 offset:21824
	ds_load_b64 v[50:51], v60
	s_wait_dscnt 0x0
	v_pk_mul_f32 v[52:53], v[50:51], v[48:49] op_sel:[1,1] op_sel_hi:[0,1]
	s_delay_alu instid0(VALU_DEP_1) | instskip(SKIP_1) | instid1(VALU_DEP_2)
	v_pk_fma_f32 v[102:103], v[50:51], v[48:49], v[52:53] op_sel_hi:[1,0,1]
	v_pk_fma_f32 v[48:49], v[50:51], v[48:49], v[52:53] neg_lo:[0,0,1] neg_hi:[0,0,1]
	v_mov_b32_e32 v49, v103
	s_delay_alu instid0(VALU_DEP_1)
	v_pk_add_f32 v[46:47], v[46:47], v[48:49] neg_lo:[0,1] neg_hi:[0,1]
.LBB146_343:                            ;   in Loop: Header=BB146_3 Depth=1
	s_or_b32 exec_lo, exec_lo, s10
	s_barrier_signal -1
	s_barrier_wait -1
	s_and_saveexec_b32 s10, s96
; %bb.344:                              ;   in Loop: Header=BB146_3 Depth=1
	v_pk_add_f32 v[48:49], v[46:47], 0 neg_lo:[1,1] neg_hi:[1,1]
	ds_store_b64 v60, v[48:49]
; %bb.345:                              ;   in Loop: Header=BB146_3 Depth=1
	s_or_b32 exec_lo, exec_lo, s10
	s_wait_dscnt 0x0
	;; [unrolled: 26-line block ×3, first 2 shown]
	s_barrier_signal -1
	s_barrier_wait -1
	s_barrier_signal -1
	s_barrier_wait -1
	s_and_saveexec_b32 s10, s3
; %bb.350:                              ;   in Loop: Header=BB146_3 Depth=1
	ds_store_b64 v64, v[46:47] offset:24384
; %bb.351:                              ;   in Loop: Header=BB146_3 Depth=1
	s_or_b32 exec_lo, exec_lo, s10
	s_wait_dscnt 0x0
	s_barrier_signal -1
	s_barrier_wait -1
	s_barrier_signal -1
	s_barrier_wait -1
	s_and_saveexec_b32 s10, s98
	s_cbranch_execz .LBB146_353
; %bb.352:                              ;   in Loop: Header=BB146_3 Depth=1
	ds_load_b64 v[46:47], v65 offset:22848
	s_wait_dscnt 0x0
	ds_store_b64 v7, v[46:47] offset:20832
	ds_load_b64 v[46:47], v65 offset:22856
	s_wait_dscnt 0x0
	ds_store_b64 v7, v[46:47] offset:21344
	;; [unrolled: 3-line block ×4, first 2 shown]
.LBB146_353:                            ;   in Loop: Header=BB146_3 Depth=1
	s_or_b32 exec_lo, exec_lo, s10
	s_wait_dscnt 0x0
	s_barrier_signal -1
	s_barrier_wait -1
	s_and_saveexec_b32 s10, s11
	s_cbranch_execz .LBB146_355
; %bb.354:                              ;   in Loop: Header=BB146_3 Depth=1
	ds_load_b64 v[46:47], v1 offset:22352
	v_add_nc_u32_e64 v0, 0x5000, 0
	ds_store_b64 v1, v[38:39] offset:22360
	s_wait_dscnt 0x1
	ds_store_2addr_b64 v0, v[38:39], v[46:47] offset0:170 offset1:171
.LBB146_355:                            ;   in Loop: Header=BB146_3 Depth=1
	s_or_b32 exec_lo, exec_lo, s10
	v_dual_mov_b32 v46, 0 :: v_dual_mov_b32 v47, 0
	s_wait_dscnt 0x0
	s_barrier_signal -1
	s_barrier_wait -1
	global_wb scope:SCOPE_DEV
	s_wait_storecnt 0x0
	global_inv scope:SCOPE_DEV
	s_and_saveexec_b32 s13, s1
	s_cbranch_execz .LBB146_359
; %bb.356:                              ;   in Loop: Header=BB146_3 Depth=1
	ds_load_b64 v[46:47], v55 offset:21824
	ds_load_b64 v[48:49], v56 offset:22352
	s_wait_dscnt 0x0
	v_pk_mul_f32 v[50:51], v[48:49], v[46:47] op_sel:[1,1] op_sel_hi:[0,1]
	s_delay_alu instid0(VALU_DEP_1) | instskip(SKIP_1) | instid1(VALU_DEP_2)
	v_pk_fma_f32 v[52:53], v[48:49], v[46:47], v[50:51] op_sel_hi:[1,0,1]
	v_pk_fma_f32 v[46:47], v[48:49], v[46:47], v[50:51] neg_lo:[0,0,1] neg_hi:[0,0,1]
	v_mov_b32_e32 v47, v53
	s_delay_alu instid0(VALU_DEP_1)
	v_pk_add_f32 v[46:47], v[46:47], 0 op_sel_hi:[1,0]
	s_and_saveexec_b32 s10, s14
	s_cbranch_execz .LBB146_358
; %bb.357:                              ;   in Loop: Header=BB146_3 Depth=1
	ds_load_b64 v[48:49], v7 offset:22336
	ds_load_b64 v[50:51], v1 offset:22360
	s_wait_dscnt 0x0
	v_pk_mul_f32 v[52:53], v[50:51], v[48:49] op_sel:[1,1] op_sel_hi:[0,1]
	s_delay_alu instid0(VALU_DEP_1) | instskip(SKIP_1) | instid1(VALU_DEP_2)
	v_pk_fma_f32 v[102:103], v[50:51], v[48:49], v[52:53] op_sel_hi:[1,0,1]
	v_pk_fma_f32 v[48:49], v[50:51], v[48:49], v[52:53] neg_lo:[0,0,1] neg_hi:[0,0,1]
	v_mov_b32_e32 v49, v103
	s_delay_alu instid0(VALU_DEP_1)
	v_pk_add_f32 v[46:47], v[46:47], v[48:49]
.LBB146_358:                            ;   in Loop: Header=BB146_3 Depth=1
	s_or_b32 exec_lo, exec_lo, s10
.LBB146_359:                            ;   in Loop: Header=BB146_3 Depth=1
	s_delay_alu instid0(SALU_CYCLE_1)
	s_or_b32 exec_lo, exec_lo, s13
	s_and_saveexec_b32 s10, s89
; %bb.360:                              ;   in Loop: Header=BB146_3 Depth=1
	s_delay_alu instid0(VALU_DEP_1)
	v_pk_add_f32 v[48:49], v[46:47], 0 neg_lo:[1,1] neg_hi:[1,1]
	ds_store_b64 v54, v[48:49]
; %bb.361:                              ;   in Loop: Header=BB146_3 Depth=1
	s_or_b32 exec_lo, exec_lo, s10
	s_wait_loadcnt_dscnt 0x0
	s_barrier_signal -1
	s_barrier_wait -1
	s_and_saveexec_b32 s10, s90
	s_cbranch_execz .LBB146_363
; %bb.362:                              ;   in Loop: Header=BB146_3 Depth=1
	ds_load_b64 v[48:49], v1 offset:21312
	ds_load_b64 v[50:51], v54
	s_wait_dscnt 0x0
	v_pk_mul_f32 v[52:53], v[50:51], v[48:49] op_sel_hi:[1,0]
	s_delay_alu instid0(VALU_DEP_1) | instskip(SKIP_1) | instid1(VALU_DEP_2)
	v_pk_fma_f32 v[102:103], v[50:51], v[48:49], v[52:53] op_sel:[1,1,0] op_sel_hi:[0,1,1]
	v_pk_fma_f32 v[48:49], v[50:51], v[48:49], v[52:53] op_sel:[1,1,0] op_sel_hi:[0,1,1] neg_lo:[0,0,1] neg_hi:[0,0,1]
	v_pk_add_f32 v[50:51], v[46:47], v[102:103] neg_lo:[0,1] neg_hi:[0,1]
	s_delay_alu instid0(VALU_DEP_2) | instskip(NEXT) | instid1(VALU_DEP_2)
	v_pk_add_f32 v[46:47], v[46:47], v[48:49]
	v_mov_b32_e32 v47, v51
.LBB146_363:                            ;   in Loop: Header=BB146_3 Depth=1
	s_or_b32 exec_lo, exec_lo, s10
	s_barrier_signal -1
	s_barrier_wait -1
	s_and_saveexec_b32 s10, s90
; %bb.364:                              ;   in Loop: Header=BB146_3 Depth=1
	v_pk_add_f32 v[48:49], v[46:47], 0 neg_lo:[1,1] neg_hi:[1,1]
	ds_store_b64 v54, v[48:49]
; %bb.365:                              ;   in Loop: Header=BB146_3 Depth=1
	s_or_b32 exec_lo, exec_lo, s10
	s_wait_dscnt 0x0
	s_barrier_signal -1
	s_barrier_wait -1
	s_barrier_signal -1
	s_barrier_wait -1
	s_and_saveexec_b32 s10, s1
; %bb.366:                              ;   in Loop: Header=BB146_3 Depth=1
	ds_store_b64 v58, v[46:47] offset:22336
; %bb.367:                              ;   in Loop: Header=BB146_3 Depth=1
	s_or_b32 exec_lo, exec_lo, s10
	s_wait_dscnt 0x0
	s_barrier_signal -1
	s_barrier_wait -1
	s_barrier_signal -1
	s_barrier_wait -1
	s_and_saveexec_b32 s10, s91
	s_cbranch_execz .LBB146_369
; %bb.368:                              ;   in Loop: Header=BB146_3 Depth=1
	ds_load_b64 v[46:47], v79 offset:21824
	s_wait_dscnt 0x0
	ds_store_b64 v7, v[46:47] offset:20816
	ds_load_b64 v[46:47], v79 offset:21832
	s_wait_dscnt 0x0
	ds_store_b64 v7, v[46:47] offset:21328
.LBB146_369:                            ;   in Loop: Header=BB146_3 Depth=1
	s_or_b32 exec_lo, exec_lo, s10
	s_wait_dscnt 0x0
	s_barrier_signal -1
	s_barrier_wait -1
	s_and_saveexec_b32 s10, s11
	s_cbranch_execz .LBB146_371
; %bb.370:                              ;   in Loop: Header=BB146_3 Depth=1
	ds_load_b64 v[46:47], v1 offset:21312
	v_add_nc_u32_e64 v0, 0x5000, 0
	ds_store_b64 v1, v[38:39] offset:21320
	s_wait_dscnt 0x1
	ds_store_2addr_b64 v0, v[38:39], v[46:47] offset0:40 offset1:41
.LBB146_371:                            ;   in Loop: Header=BB146_3 Depth=1
	s_or_b32 exec_lo, exec_lo, s10
	v_mov_b64_e32 v[46:47], 0
	s_wait_dscnt 0x0
	s_barrier_signal -1
	s_barrier_wait -1
	global_wb scope:SCOPE_DEV
	s_wait_storecnt 0x0
	global_inv scope:SCOPE_DEV
	s_and_saveexec_b32 s13, s4
	s_cbranch_execz .LBB146_381
; %bb.372:                              ;   in Loop: Header=BB146_3 Depth=1
	ds_load_b64 v[46:47], v67 offset:20736
	ds_load_b64 v[48:49], v68 offset:24384
	s_wait_dscnt 0x0
	v_dual_mul_f32 v0, v49, v47 :: v_dual_mul_f32 v35, v48, v47
	s_delay_alu instid0(VALU_DEP_1) | instskip(NEXT) | instid1(VALU_DEP_1)
	v_dual_fma_f32 v0, v48, v46, -v0 :: v_dual_fmac_f32 v35, v49, v46
	v_dual_add_f32 v46, 0, v0 :: v_dual_add_f32 v47, 0, v35
	s_and_saveexec_b32 s10, s17
	s_cbranch_execnz .LBB146_1078
; %bb.373:                              ;   in Loop: Header=BB146_3 Depth=1
	s_or_b32 exec_lo, exec_lo, s10
	s_and_saveexec_b32 s10, s19
	s_cbranch_execnz .LBB146_1079
.LBB146_374:                            ;   in Loop: Header=BB146_3 Depth=1
	s_or_b32 exec_lo, exec_lo, s10
	s_and_saveexec_b32 s10, s20
	s_cbranch_execnz .LBB146_1080
.LBB146_375:                            ;   in Loop: Header=BB146_3 Depth=1
	s_or_b32 exec_lo, exec_lo, s10
	s_and_saveexec_b32 s10, s21
	s_cbranch_execnz .LBB146_1081
.LBB146_376:                            ;   in Loop: Header=BB146_3 Depth=1
	s_or_b32 exec_lo, exec_lo, s10
	s_and_saveexec_b32 s10, s22
	s_cbranch_execnz .LBB146_1082
.LBB146_377:                            ;   in Loop: Header=BB146_3 Depth=1
	s_or_b32 exec_lo, exec_lo, s10
	s_and_saveexec_b32 s10, s3
	s_cbranch_execnz .LBB146_1083
.LBB146_378:                            ;   in Loop: Header=BB146_3 Depth=1
	s_or_b32 exec_lo, exec_lo, s10
	s_and_saveexec_b32 s10, s16
	s_cbranch_execz .LBB146_380
.LBB146_379:                            ;   in Loop: Header=BB146_3 Depth=1
	ds_load_b64 v[48:49], v80 offset:24320
	ds_load_b64 v[50:51], v1 offset:24440
	s_wait_dscnt 0x0
	v_pk_mul_f32 v[52:53], v[50:51], v[48:49] op_sel:[1,1] op_sel_hi:[0,1]
	s_delay_alu instid0(VALU_DEP_1) | instskip(SKIP_1) | instid1(VALU_DEP_2)
	v_pk_fma_f32 v[102:103], v[50:51], v[48:49], v[52:53] op_sel_hi:[1,0,1]
	v_pk_fma_f32 v[48:49], v[50:51], v[48:49], v[52:53] neg_lo:[0,0,1] neg_hi:[0,0,1]
	v_mov_b32_e32 v49, v103
	s_delay_alu instid0(VALU_DEP_1)
	v_pk_add_f32 v[46:47], v[46:47], v[48:49]
.LBB146_380:                            ;   in Loop: Header=BB146_3 Depth=1
	s_or_b32 exec_lo, exec_lo, s10
.LBB146_381:                            ;   in Loop: Header=BB146_3 Depth=1
	s_delay_alu instid0(SALU_CYCLE_1)
	s_or_b32 exec_lo, exec_lo, s13
	s_and_saveexec_b32 s10, s99
; %bb.382:                              ;   in Loop: Header=BB146_3 Depth=1
	s_delay_alu instid0(VALU_DEP_1)
	v_pk_add_f32 v[48:49], v[46:47], 0 neg_lo:[1,1] neg_hi:[1,1]
	ds_store_b64 v66, v[48:49]
; %bb.383:                              ;   in Loop: Header=BB146_3 Depth=1
	s_or_b32 exec_lo, exec_lo, s10
	s_wait_loadcnt_dscnt 0x0
	s_barrier_signal -1
	s_barrier_wait -1
	s_and_saveexec_b32 s10, s100
	s_cbranch_execz .LBB146_385
; %bb.384:                              ;   in Loop: Header=BB146_3 Depth=1
	ds_load_b64 v[48:49], v67 offset:20224
	ds_load_b64 v[50:51], v66
	s_wait_dscnt 0x0
	v_pk_mul_f32 v[52:53], v[50:51], v[48:49] op_sel:[1,1] op_sel_hi:[0,1]
	s_delay_alu instid0(VALU_DEP_1) | instskip(SKIP_1) | instid1(VALU_DEP_2)
	v_pk_fma_f32 v[102:103], v[50:51], v[48:49], v[52:53] op_sel_hi:[1,0,1]
	v_pk_fma_f32 v[48:49], v[50:51], v[48:49], v[52:53] neg_lo:[0,0,1] neg_hi:[0,0,1]
	v_mov_b32_e32 v49, v103
	s_delay_alu instid0(VALU_DEP_1)
	v_pk_add_f32 v[46:47], v[46:47], v[48:49] neg_lo:[0,1] neg_hi:[0,1]
.LBB146_385:                            ;   in Loop: Header=BB146_3 Depth=1
	s_or_b32 exec_lo, exec_lo, s10
	s_barrier_signal -1
	s_barrier_wait -1
	s_and_saveexec_b32 s10, s101
; %bb.386:                              ;   in Loop: Header=BB146_3 Depth=1
	v_pk_add_f32 v[48:49], v[46:47], 0 neg_lo:[1,1] neg_hi:[1,1]
	ds_store_b64 v66, v[48:49]
; %bb.387:                              ;   in Loop: Header=BB146_3 Depth=1
	s_or_b32 exec_lo, exec_lo, s10
	s_wait_dscnt 0x0
	s_barrier_signal -1
	s_barrier_wait -1
	s_and_saveexec_b32 s10, s102
	s_cbranch_execz .LBB146_389
; %bb.388:                              ;   in Loop: Header=BB146_3 Depth=1
	ds_load_b64 v[48:49], v67 offset:19712
	ds_load_b64 v[50:51], v66
	s_wait_dscnt 0x0
	v_dual_mul_f32 v0, v51, v49 :: v_dual_mul_f32 v35, v50, v49
	s_delay_alu instid0(VALU_DEP_1) | instskip(NEXT) | instid1(VALU_DEP_1)
	v_dual_fma_f32 v0, v50, v48, -v0 :: v_dual_fmac_f32 v35, v51, v48
	v_dual_sub_f32 v46, v46, v0 :: v_dual_sub_f32 v47, v47, v35
.LBB146_389:                            ;   in Loop: Header=BB146_3 Depth=1
	s_or_b32 exec_lo, exec_lo, s10
	s_barrier_signal -1
	s_barrier_wait -1
	s_and_saveexec_b32 s10, s103
; %bb.390:                              ;   in Loop: Header=BB146_3 Depth=1
	v_pk_add_f32 v[48:49], v[46:47], 0 neg_lo:[1,1] neg_hi:[1,1]
	ds_store_b64 v66, v[48:49]
; %bb.391:                              ;   in Loop: Header=BB146_3 Depth=1
	s_or_b32 exec_lo, exec_lo, s10
	s_wait_dscnt 0x0
	s_barrier_signal -1
	s_barrier_wait -1
	s_and_saveexec_b32 s10, s104
	s_cbranch_execz .LBB146_393
; %bb.392:                              ;   in Loop: Header=BB146_3 Depth=1
	ds_load_b64 v[48:49], v67 offset:19200
	ds_load_b64 v[50:51], v66
	s_wait_dscnt 0x0
	v_dual_mul_f32 v0, v51, v49 :: v_dual_mul_f32 v53, v50, v49
	s_delay_alu instid0(VALU_DEP_1) | instskip(NEXT) | instid1(VALU_DEP_1)
	v_dual_fma_f32 v52, v50, v48, -v0 :: v_dual_fmac_f32 v53, v51, v48
	v_pk_add_f32 v[46:47], v[46:47], v[52:53] neg_lo:[0,1] neg_hi:[0,1]
.LBB146_393:                            ;   in Loop: Header=BB146_3 Depth=1
	s_or_b32 exec_lo, exec_lo, s10
	s_barrier_signal -1
	s_barrier_wait -1
	s_and_saveexec_b32 s10, vcc_hi
; %bb.394:                              ;   in Loop: Header=BB146_3 Depth=1
	v_pk_add_f32 v[48:49], v[46:47], 0 neg_lo:[1,1] neg_hi:[1,1]
	ds_store_b64 v66, v[48:49]
; %bb.395:                              ;   in Loop: Header=BB146_3 Depth=1
	s_or_b32 exec_lo, exec_lo, s10
	s_wait_dscnt 0x0
	s_barrier_signal -1
	s_barrier_wait -1
	s_and_saveexec_b32 s10, s38
	s_cbranch_execz .LBB146_397
; %bb.396:                              ;   in Loop: Header=BB146_3 Depth=1
	ds_load_b64 v[48:49], v67 offset:18688
	ds_load_b64 v[50:51], v66
	s_wait_dscnt 0x0
	v_pk_mul_f32 v[52:53], v[50:51], v[48:49] op_sel:[1,1] op_sel_hi:[0,1]
	s_delay_alu instid0(VALU_DEP_1) | instskip(SKIP_1) | instid1(VALU_DEP_2)
	v_pk_fma_f32 v[102:103], v[50:51], v[48:49], v[52:53] op_sel_hi:[1,0,1]
	v_pk_fma_f32 v[48:49], v[50:51], v[48:49], v[52:53] neg_lo:[0,0,1] neg_hi:[0,0,1]
	v_mov_b32_e32 v49, v103
	s_delay_alu instid0(VALU_DEP_1)
	v_pk_add_f32 v[46:47], v[46:47], v[48:49] neg_lo:[0,1] neg_hi:[0,1]
.LBB146_397:                            ;   in Loop: Header=BB146_3 Depth=1
	s_or_b32 exec_lo, exec_lo, s10
	s_barrier_signal -1
	s_barrier_wait -1
	s_and_saveexec_b32 s10, s39
; %bb.398:                              ;   in Loop: Header=BB146_3 Depth=1
	v_pk_add_f32 v[48:49], v[46:47], 0 neg_lo:[1,1] neg_hi:[1,1]
	ds_store_b64 v66, v[48:49]
; %bb.399:                              ;   in Loop: Header=BB146_3 Depth=1
	s_or_b32 exec_lo, exec_lo, s10
	s_wait_dscnt 0x0
	s_barrier_signal -1
	s_barrier_wait -1
	s_and_saveexec_b32 s10, s40
	s_cbranch_execz .LBB146_401
; %bb.400:                              ;   in Loop: Header=BB146_3 Depth=1
	ds_load_b64 v[48:49], v67 offset:18176
	ds_load_b64 v[50:51], v66
	s_wait_dscnt 0x0
	v_pk_mul_f32 v[52:53], v[50:51], v[48:49] op_sel:[1,1] op_sel_hi:[0,1]
	s_delay_alu instid0(VALU_DEP_1) | instskip(SKIP_1) | instid1(VALU_DEP_2)
	v_pk_fma_f32 v[102:103], v[50:51], v[48:49], v[52:53] op_sel_hi:[1,0,1]
	v_pk_fma_f32 v[48:49], v[50:51], v[48:49], v[52:53] neg_lo:[0,0,1] neg_hi:[0,0,1]
	v_mov_b32_e32 v49, v103
	s_delay_alu instid0(VALU_DEP_1)
	v_pk_add_f32 v[46:47], v[46:47], v[48:49] neg_lo:[0,1] neg_hi:[0,1]
.LBB146_401:                            ;   in Loop: Header=BB146_3 Depth=1
	s_or_b32 exec_lo, exec_lo, s10
	s_barrier_signal -1
	s_barrier_wait -1
	s_and_saveexec_b32 s10, s41
	;; [unrolled: 26-line block ×4, first 2 shown]
; %bb.410:                              ;   in Loop: Header=BB146_3 Depth=1
	v_pk_add_f32 v[48:49], v[46:47], 0 neg_lo:[1,1] neg_hi:[1,1]
	ds_store_b64 v66, v[48:49]
; %bb.411:                              ;   in Loop: Header=BB146_3 Depth=1
	s_or_b32 exec_lo, exec_lo, s10
	s_wait_dscnt 0x0
	s_barrier_signal -1
	s_barrier_wait -1
	s_barrier_signal -1
	s_barrier_wait -1
	s_and_saveexec_b32 s10, s4
; %bb.412:                              ;   in Loop: Header=BB146_3 Depth=1
	ds_store_b64 v69, v[46:47] offset:24320
; %bb.413:                              ;   in Loop: Header=BB146_3 Depth=1
	s_or_b32 exec_lo, exec_lo, s10
	s_wait_dscnt 0x0
	s_barrier_signal -1
	s_barrier_wait -1
	s_barrier_signal -1
	s_barrier_wait -1
	s_and_saveexec_b32 s10, s45
	s_cbranch_execz .LBB146_415
; %bb.414:                              ;   in Loop: Header=BB146_3 Depth=1
	ds_load_b64 v[46:47], v81 offset:20736
	s_wait_dscnt 0x0
	ds_store_b64 v3, v[46:47] offset:16704
	ds_load_b64 v[46:47], v81 offset:20744
	s_wait_dscnt 0x0
	ds_store_b64 v3, v[46:47] offset:17216
	;; [unrolled: 3-line block ×8, first 2 shown]
.LBB146_415:                            ;   in Loop: Header=BB146_3 Depth=1
	s_or_b32 exec_lo, exec_lo, s10
	s_wait_dscnt 0x0
	s_barrier_signal -1
	s_barrier_wait -1
	s_and_saveexec_b32 s10, s11
	s_cbranch_execz .LBB146_417
; %bb.416:                              ;   in Loop: Header=BB146_3 Depth=1
	ds_load_b64 v[46:47], v1 offset:20272
	v_add_nc_u32_e64 v0, 0x4800, 0
	ds_store_b64 v1, v[38:39] offset:20280
	s_wait_dscnt 0x1
	ds_store_2addr_b64 v0, v[38:39], v[46:47] offset0:166 offset1:167
.LBB146_417:                            ;   in Loop: Header=BB146_3 Depth=1
	s_or_b32 exec_lo, exec_lo, s10
	v_dual_mov_b32 v46, 0 :: v_dual_mov_b32 v47, 0
	s_wait_dscnt 0x0
	s_barrier_signal -1
	s_barrier_wait -1
	global_wb scope:SCOPE_DEV
	s_wait_storecnt 0x0
	global_inv scope:SCOPE_DEV
	s_and_saveexec_b32 s13, s1
	s_cbranch_execz .LBB146_421
; %bb.418:                              ;   in Loop: Header=BB146_3 Depth=1
	ds_load_b64 v[46:47], v55 offset:19744
	ds_load_b64 v[48:49], v56 offset:20272
	s_wait_dscnt 0x0
	v_pk_mul_f32 v[50:51], v[48:49], v[46:47] op_sel:[1,1] op_sel_hi:[0,1]
	s_delay_alu instid0(VALU_DEP_1) | instskip(SKIP_1) | instid1(VALU_DEP_2)
	v_pk_fma_f32 v[52:53], v[48:49], v[46:47], v[50:51] op_sel_hi:[1,0,1]
	v_pk_fma_f32 v[46:47], v[48:49], v[46:47], v[50:51] neg_lo:[0,0,1] neg_hi:[0,0,1]
	v_mov_b32_e32 v47, v53
	s_delay_alu instid0(VALU_DEP_1)
	v_pk_add_f32 v[46:47], v[46:47], 0 op_sel_hi:[1,0]
	s_and_saveexec_b32 s10, s14
	s_cbranch_execz .LBB146_420
; %bb.419:                              ;   in Loop: Header=BB146_3 Depth=1
	ds_load_b64 v[48:49], v3 offset:20256
	ds_load_b64 v[50:51], v1 offset:20280
	s_wait_dscnt 0x0
	v_pk_mul_f32 v[52:53], v[50:51], v[48:49] op_sel:[1,1] op_sel_hi:[0,1]
	s_delay_alu instid0(VALU_DEP_1) | instskip(SKIP_1) | instid1(VALU_DEP_2)
	v_pk_fma_f32 v[102:103], v[50:51], v[48:49], v[52:53] op_sel_hi:[1,0,1]
	v_pk_fma_f32 v[48:49], v[50:51], v[48:49], v[52:53] neg_lo:[0,0,1] neg_hi:[0,0,1]
	v_mov_b32_e32 v49, v103
	s_delay_alu instid0(VALU_DEP_1)
	v_pk_add_f32 v[46:47], v[46:47], v[48:49]
.LBB146_420:                            ;   in Loop: Header=BB146_3 Depth=1
	s_or_b32 exec_lo, exec_lo, s10
.LBB146_421:                            ;   in Loop: Header=BB146_3 Depth=1
	s_delay_alu instid0(SALU_CYCLE_1)
	s_or_b32 exec_lo, exec_lo, s13
	s_and_saveexec_b32 s10, s89
; %bb.422:                              ;   in Loop: Header=BB146_3 Depth=1
	s_delay_alu instid0(VALU_DEP_1)
	v_pk_add_f32 v[48:49], v[46:47], 0 neg_lo:[1,1] neg_hi:[1,1]
	ds_store_b64 v54, v[48:49]
; %bb.423:                              ;   in Loop: Header=BB146_3 Depth=1
	s_or_b32 exec_lo, exec_lo, s10
	s_wait_loadcnt_dscnt 0x0
	s_barrier_signal -1
	s_barrier_wait -1
	s_and_saveexec_b32 s10, s90
	s_cbranch_execz .LBB146_425
; %bb.424:                              ;   in Loop: Header=BB146_3 Depth=1
	ds_load_b64 v[48:49], v1 offset:19232
	ds_load_b64 v[50:51], v54
	s_wait_dscnt 0x0
	v_pk_mul_f32 v[52:53], v[50:51], v[48:49] op_sel_hi:[1,0]
	s_delay_alu instid0(VALU_DEP_1) | instskip(SKIP_1) | instid1(VALU_DEP_2)
	v_pk_fma_f32 v[102:103], v[50:51], v[48:49], v[52:53] op_sel:[1,1,0] op_sel_hi:[0,1,1]
	v_pk_fma_f32 v[48:49], v[50:51], v[48:49], v[52:53] op_sel:[1,1,0] op_sel_hi:[0,1,1] neg_lo:[0,0,1] neg_hi:[0,0,1]
	v_pk_add_f32 v[50:51], v[46:47], v[102:103] neg_lo:[0,1] neg_hi:[0,1]
	s_delay_alu instid0(VALU_DEP_2) | instskip(NEXT) | instid1(VALU_DEP_2)
	v_pk_add_f32 v[46:47], v[46:47], v[48:49]
	v_mov_b32_e32 v47, v51
.LBB146_425:                            ;   in Loop: Header=BB146_3 Depth=1
	s_or_b32 exec_lo, exec_lo, s10
	s_barrier_signal -1
	s_barrier_wait -1
	s_and_saveexec_b32 s10, s90
; %bb.426:                              ;   in Loop: Header=BB146_3 Depth=1
	v_pk_add_f32 v[48:49], v[46:47], 0 neg_lo:[1,1] neg_hi:[1,1]
	ds_store_b64 v54, v[48:49]
; %bb.427:                              ;   in Loop: Header=BB146_3 Depth=1
	s_or_b32 exec_lo, exec_lo, s10
	s_wait_dscnt 0x0
	s_barrier_signal -1
	s_barrier_wait -1
	s_barrier_signal -1
	s_barrier_wait -1
	s_and_saveexec_b32 s10, s1
; %bb.428:                              ;   in Loop: Header=BB146_3 Depth=1
	ds_store_b64 v58, v[46:47] offset:20256
; %bb.429:                              ;   in Loop: Header=BB146_3 Depth=1
	s_or_b32 exec_lo, exec_lo, s10
	s_wait_dscnt 0x0
	s_barrier_signal -1
	s_barrier_wait -1
	s_barrier_signal -1
	s_barrier_wait -1
	s_and_saveexec_b32 s10, s91
	s_cbranch_execz .LBB146_431
; %bb.430:                              ;   in Loop: Header=BB146_3 Depth=1
	ds_load_b64 v[46:47], v82 offset:19744
	s_wait_dscnt 0x0
	ds_store_b64 v3, v[46:47] offset:18736
	ds_load_b64 v[46:47], v82 offset:19752
	s_wait_dscnt 0x0
	ds_store_b64 v3, v[46:47] offset:19248
.LBB146_431:                            ;   in Loop: Header=BB146_3 Depth=1
	s_or_b32 exec_lo, exec_lo, s10
	s_wait_dscnt 0x0
	s_barrier_signal -1
	s_barrier_wait -1
	s_and_saveexec_b32 s10, s11
	s_cbranch_execz .LBB146_433
; %bb.432:                              ;   in Loop: Header=BB146_3 Depth=1
	ds_load_b64 v[46:47], v1 offset:19232
	v_add_nc_u32_e64 v0, 0x4800, 0
	ds_store_b64 v1, v[38:39] offset:19240
	s_wait_dscnt 0x1
	ds_store_2addr_b64 v0, v[38:39], v[46:47] offset0:36 offset1:37
.LBB146_433:                            ;   in Loop: Header=BB146_3 Depth=1
	s_or_b32 exec_lo, exec_lo, s10
	v_mov_b64_e32 v[46:47], 0
	s_wait_dscnt 0x0
	s_barrier_signal -1
	s_barrier_wait -1
	global_wb scope:SCOPE_DEV
	s_wait_storecnt 0x0
	global_inv scope:SCOPE_DEV
	s_and_saveexec_b32 s13, s3
	s_cbranch_execz .LBB146_439
; %bb.434:                              ;   in Loop: Header=BB146_3 Depth=1
	ds_load_b64 v[46:47], v61 offset:18688
	ds_load_b64 v[48:49], v62 offset:20256
	s_wait_dscnt 0x0
	v_dual_mul_f32 v0, v49, v47 :: v_dual_mul_f32 v35, v48, v47
	s_delay_alu instid0(VALU_DEP_1) | instskip(NEXT) | instid1(VALU_DEP_1)
	v_dual_fma_f32 v0, v48, v46, -v0 :: v_dual_fmac_f32 v35, v49, v46
	v_dual_add_f32 v46, 0, v0 :: v_dual_add_f32 v47, 0, v35
	s_and_saveexec_b32 s10, s15
	s_cbranch_execnz .LBB146_1084
; %bb.435:                              ;   in Loop: Header=BB146_3 Depth=1
	s_or_b32 exec_lo, exec_lo, s10
	s_and_saveexec_b32 s10, s16
	s_cbranch_execnz .LBB146_1085
.LBB146_436:                            ;   in Loop: Header=BB146_3 Depth=1
	s_or_b32 exec_lo, exec_lo, s10
	s_and_saveexec_b32 s10, s1
	s_cbranch_execz .LBB146_438
.LBB146_437:                            ;   in Loop: Header=BB146_3 Depth=1
	ds_load_b64 v[48:49], v83 offset:20224
	ds_load_b64 v[50:51], v1 offset:20280
	s_wait_dscnt 0x0
	v_pk_mul_f32 v[52:53], v[50:51], v[48:49] op_sel:[1,1] op_sel_hi:[0,1]
	s_delay_alu instid0(VALU_DEP_1) | instskip(SKIP_1) | instid1(VALU_DEP_2)
	v_pk_fma_f32 v[102:103], v[50:51], v[48:49], v[52:53] op_sel_hi:[1,0,1]
	v_pk_fma_f32 v[48:49], v[50:51], v[48:49], v[52:53] neg_lo:[0,0,1] neg_hi:[0,0,1]
	v_mov_b32_e32 v49, v103
	s_delay_alu instid0(VALU_DEP_1)
	v_pk_add_f32 v[46:47], v[46:47], v[48:49]
.LBB146_438:                            ;   in Loop: Header=BB146_3 Depth=1
	s_or_b32 exec_lo, exec_lo, s10
.LBB146_439:                            ;   in Loop: Header=BB146_3 Depth=1
	s_delay_alu instid0(SALU_CYCLE_1)
	s_or_b32 exec_lo, exec_lo, s13
	s_and_saveexec_b32 s10, s92
; %bb.440:                              ;   in Loop: Header=BB146_3 Depth=1
	s_delay_alu instid0(VALU_DEP_1)
	v_pk_add_f32 v[48:49], v[46:47], 0 neg_lo:[1,1] neg_hi:[1,1]
	ds_store_b64 v60, v[48:49]
; %bb.441:                              ;   in Loop: Header=BB146_3 Depth=1
	s_or_b32 exec_lo, exec_lo, s10
	s_wait_loadcnt_dscnt 0x0
	s_barrier_signal -1
	s_barrier_wait -1
	s_and_saveexec_b32 s10, s93
	s_cbranch_execz .LBB146_443
; %bb.442:                              ;   in Loop: Header=BB146_3 Depth=1
	ds_load_b64 v[48:49], v61 offset:18176
	ds_load_b64 v[50:51], v60
	s_wait_dscnt 0x0
	v_pk_mul_f32 v[52:53], v[50:51], v[48:49] op_sel:[1,1] op_sel_hi:[0,1]
	s_delay_alu instid0(VALU_DEP_1) | instskip(SKIP_1) | instid1(VALU_DEP_2)
	v_pk_fma_f32 v[102:103], v[50:51], v[48:49], v[52:53] op_sel_hi:[1,0,1]
	v_pk_fma_f32 v[48:49], v[50:51], v[48:49], v[52:53] neg_lo:[0,0,1] neg_hi:[0,0,1]
	v_mov_b32_e32 v49, v103
	s_delay_alu instid0(VALU_DEP_1)
	v_pk_add_f32 v[46:47], v[46:47], v[48:49] neg_lo:[0,1] neg_hi:[0,1]
.LBB146_443:                            ;   in Loop: Header=BB146_3 Depth=1
	s_or_b32 exec_lo, exec_lo, s10
	s_barrier_signal -1
	s_barrier_wait -1
	s_and_saveexec_b32 s10, s94
; %bb.444:                              ;   in Loop: Header=BB146_3 Depth=1
	v_pk_add_f32 v[48:49], v[46:47], 0 neg_lo:[1,1] neg_hi:[1,1]
	ds_store_b64 v60, v[48:49]
; %bb.445:                              ;   in Loop: Header=BB146_3 Depth=1
	s_or_b32 exec_lo, exec_lo, s10
	s_wait_dscnt 0x0
	s_barrier_signal -1
	s_barrier_wait -1
	s_and_saveexec_b32 s10, s95
	s_cbranch_execz .LBB146_447
; %bb.446:                              ;   in Loop: Header=BB146_3 Depth=1
	ds_load_b64 v[48:49], v61 offset:17664
	ds_load_b64 v[50:51], v60
	s_wait_dscnt 0x0
	v_pk_mul_f32 v[52:53], v[50:51], v[48:49] op_sel:[1,1] op_sel_hi:[0,1]
	s_delay_alu instid0(VALU_DEP_1) | instskip(SKIP_1) | instid1(VALU_DEP_2)
	v_pk_fma_f32 v[102:103], v[50:51], v[48:49], v[52:53] op_sel_hi:[1,0,1]
	v_pk_fma_f32 v[48:49], v[50:51], v[48:49], v[52:53] neg_lo:[0,0,1] neg_hi:[0,0,1]
	v_mov_b32_e32 v49, v103
	s_delay_alu instid0(VALU_DEP_1)
	v_pk_add_f32 v[46:47], v[46:47], v[48:49] neg_lo:[0,1] neg_hi:[0,1]
.LBB146_447:                            ;   in Loop: Header=BB146_3 Depth=1
	s_or_b32 exec_lo, exec_lo, s10
	s_barrier_signal -1
	s_barrier_wait -1
	s_and_saveexec_b32 s10, s96
; %bb.448:                              ;   in Loop: Header=BB146_3 Depth=1
	v_pk_add_f32 v[48:49], v[46:47], 0 neg_lo:[1,1] neg_hi:[1,1]
	ds_store_b64 v60, v[48:49]
; %bb.449:                              ;   in Loop: Header=BB146_3 Depth=1
	s_or_b32 exec_lo, exec_lo, s10
	s_wait_dscnt 0x0
	;; [unrolled: 26-line block ×3, first 2 shown]
	s_barrier_signal -1
	s_barrier_wait -1
	s_barrier_signal -1
	s_barrier_wait -1
	s_and_saveexec_b32 s10, s3
; %bb.454:                              ;   in Loop: Header=BB146_3 Depth=1
	ds_store_b64 v64, v[46:47] offset:20224
; %bb.455:                              ;   in Loop: Header=BB146_3 Depth=1
	s_or_b32 exec_lo, exec_lo, s10
	s_wait_dscnt 0x0
	s_barrier_signal -1
	s_barrier_wait -1
	s_barrier_signal -1
	s_barrier_wait -1
	s_and_saveexec_b32 s10, s98
	s_cbranch_execz .LBB146_457
; %bb.456:                              ;   in Loop: Header=BB146_3 Depth=1
	ds_load_b64 v[46:47], v84 offset:18688
	s_wait_dscnt 0x0
	ds_store_b64 v86, v[46:47] offset:16672
	ds_load_b64 v[46:47], v84 offset:18696
	s_wait_dscnt 0x0
	ds_store_b64 v86, v[46:47] offset:17184
	;; [unrolled: 3-line block ×4, first 2 shown]
.LBB146_457:                            ;   in Loop: Header=BB146_3 Depth=1
	s_or_b32 exec_lo, exec_lo, s10
	s_wait_dscnt 0x0
	s_barrier_signal -1
	s_barrier_wait -1
	s_and_saveexec_b32 s10, s11
	s_cbranch_execz .LBB146_459
; %bb.458:                              ;   in Loop: Header=BB146_3 Depth=1
	ds_load_b64 v[46:47], v1 offset:18192
	v_add_nc_u32_e64 v0, 0x4000, 0
	ds_store_b64 v1, v[38:39] offset:18200
	s_wait_dscnt 0x1
	ds_store_2addr_b64 v0, v[38:39], v[46:47] offset0:162 offset1:163
.LBB146_459:                            ;   in Loop: Header=BB146_3 Depth=1
	s_or_b32 exec_lo, exec_lo, s10
	v_dual_mov_b32 v46, 0 :: v_dual_mov_b32 v47, 0
	s_wait_dscnt 0x0
	s_barrier_signal -1
	s_barrier_wait -1
	global_wb scope:SCOPE_DEV
	s_wait_storecnt 0x0
	global_inv scope:SCOPE_DEV
	s_and_saveexec_b32 s13, s1
	s_cbranch_execz .LBB146_463
; %bb.460:                              ;   in Loop: Header=BB146_3 Depth=1
	ds_load_b64 v[46:47], v55 offset:17664
	ds_load_b64 v[48:49], v56 offset:18192
	s_wait_dscnt 0x0
	v_pk_mul_f32 v[50:51], v[48:49], v[46:47] op_sel:[1,1] op_sel_hi:[0,1]
	s_delay_alu instid0(VALU_DEP_1) | instskip(SKIP_1) | instid1(VALU_DEP_2)
	v_pk_fma_f32 v[52:53], v[48:49], v[46:47], v[50:51] op_sel_hi:[1,0,1]
	v_pk_fma_f32 v[46:47], v[48:49], v[46:47], v[50:51] neg_lo:[0,0,1] neg_hi:[0,0,1]
	v_mov_b32_e32 v47, v53
	s_delay_alu instid0(VALU_DEP_1)
	v_pk_add_f32 v[46:47], v[46:47], 0 op_sel_hi:[1,0]
	s_and_saveexec_b32 s10, s14
	s_cbranch_execz .LBB146_462
; %bb.461:                              ;   in Loop: Header=BB146_3 Depth=1
	ds_load_b64 v[48:49], v86 offset:18176
	ds_load_b64 v[50:51], v1 offset:18200
	s_wait_dscnt 0x0
	v_pk_mul_f32 v[52:53], v[50:51], v[48:49] op_sel:[1,1] op_sel_hi:[0,1]
	s_delay_alu instid0(VALU_DEP_1) | instskip(SKIP_1) | instid1(VALU_DEP_2)
	v_pk_fma_f32 v[102:103], v[50:51], v[48:49], v[52:53] op_sel_hi:[1,0,1]
	v_pk_fma_f32 v[48:49], v[50:51], v[48:49], v[52:53] neg_lo:[0,0,1] neg_hi:[0,0,1]
	v_mov_b32_e32 v49, v103
	s_delay_alu instid0(VALU_DEP_1)
	v_pk_add_f32 v[46:47], v[46:47], v[48:49]
.LBB146_462:                            ;   in Loop: Header=BB146_3 Depth=1
	s_or_b32 exec_lo, exec_lo, s10
.LBB146_463:                            ;   in Loop: Header=BB146_3 Depth=1
	s_delay_alu instid0(SALU_CYCLE_1)
	s_or_b32 exec_lo, exec_lo, s13
	s_and_saveexec_b32 s10, s89
; %bb.464:                              ;   in Loop: Header=BB146_3 Depth=1
	s_delay_alu instid0(VALU_DEP_1)
	v_pk_add_f32 v[48:49], v[46:47], 0 neg_lo:[1,1] neg_hi:[1,1]
	ds_store_b64 v54, v[48:49]
; %bb.465:                              ;   in Loop: Header=BB146_3 Depth=1
	s_or_b32 exec_lo, exec_lo, s10
	s_wait_loadcnt_dscnt 0x0
	s_barrier_signal -1
	s_barrier_wait -1
	s_and_saveexec_b32 s10, s90
	s_cbranch_execz .LBB146_467
; %bb.466:                              ;   in Loop: Header=BB146_3 Depth=1
	ds_load_b64 v[48:49], v1 offset:17152
	ds_load_b64 v[50:51], v54
	s_wait_dscnt 0x0
	v_pk_mul_f32 v[52:53], v[50:51], v[48:49] op_sel_hi:[1,0]
	s_delay_alu instid0(VALU_DEP_1) | instskip(SKIP_1) | instid1(VALU_DEP_2)
	v_pk_fma_f32 v[102:103], v[50:51], v[48:49], v[52:53] op_sel:[1,1,0] op_sel_hi:[0,1,1]
	v_pk_fma_f32 v[48:49], v[50:51], v[48:49], v[52:53] op_sel:[1,1,0] op_sel_hi:[0,1,1] neg_lo:[0,0,1] neg_hi:[0,0,1]
	v_pk_add_f32 v[50:51], v[46:47], v[102:103] neg_lo:[0,1] neg_hi:[0,1]
	s_delay_alu instid0(VALU_DEP_2) | instskip(NEXT) | instid1(VALU_DEP_2)
	v_pk_add_f32 v[46:47], v[46:47], v[48:49]
	v_mov_b32_e32 v47, v51
.LBB146_467:                            ;   in Loop: Header=BB146_3 Depth=1
	s_or_b32 exec_lo, exec_lo, s10
	s_barrier_signal -1
	s_barrier_wait -1
	s_and_saveexec_b32 s10, s90
; %bb.468:                              ;   in Loop: Header=BB146_3 Depth=1
	v_pk_add_f32 v[48:49], v[46:47], 0 neg_lo:[1,1] neg_hi:[1,1]
	ds_store_b64 v54, v[48:49]
; %bb.469:                              ;   in Loop: Header=BB146_3 Depth=1
	s_or_b32 exec_lo, exec_lo, s10
	s_wait_dscnt 0x0
	s_barrier_signal -1
	s_barrier_wait -1
	s_barrier_signal -1
	s_barrier_wait -1
	s_and_saveexec_b32 s10, s1
; %bb.470:                              ;   in Loop: Header=BB146_3 Depth=1
	ds_store_b64 v58, v[46:47] offset:18176
; %bb.471:                              ;   in Loop: Header=BB146_3 Depth=1
	s_or_b32 exec_lo, exec_lo, s10
	s_wait_dscnt 0x0
	s_barrier_signal -1
	s_barrier_wait -1
	s_barrier_signal -1
	s_barrier_wait -1
	s_and_saveexec_b32 s10, s91
	s_cbranch_execz .LBB146_473
; %bb.472:                              ;   in Loop: Header=BB146_3 Depth=1
	ds_load_b64 v[46:47], v89 offset:17664
	s_wait_dscnt 0x0
	ds_store_b64 v86, v[46:47] offset:16656
	ds_load_b64 v[46:47], v89 offset:17672
	s_wait_dscnt 0x0
	ds_store_b64 v86, v[46:47] offset:17168
.LBB146_473:                            ;   in Loop: Header=BB146_3 Depth=1
	s_or_b32 exec_lo, exec_lo, s10
	s_wait_dscnt 0x0
	s_barrier_signal -1
	s_barrier_wait -1
	s_and_saveexec_b32 s10, s11
	s_cbranch_execz .LBB146_475
; %bb.474:                              ;   in Loop: Header=BB146_3 Depth=1
	ds_load_b64 v[46:47], v1 offset:17152
	v_add_nc_u32_e64 v0, 0x4000, 0
	ds_store_b64 v1, v[38:39] offset:17160
	s_wait_dscnt 0x1
	ds_store_2addr_b64 v0, v[38:39], v[46:47] offset0:32 offset1:33
.LBB146_475:                            ;   in Loop: Header=BB146_3 Depth=1
	s_or_b32 exec_lo, exec_lo, s10
	v_mov_b64_e32 v[46:47], 0
	s_wait_dscnt 0x0
	s_barrier_signal -1
	s_barrier_wait -1
	global_wb scope:SCOPE_DEV
	s_wait_storecnt 0x0
	global_inv scope:SCOPE_DEV
	s_and_saveexec_b32 s62, s35
	s_cbranch_execz .LBB146_537
; %bb.476:                              ;   in Loop: Header=BB146_3 Depth=1
	ds_load_b64 v[46:47], v75 offset:16384
	ds_load_b64 v[48:49], v77 offset:32512
	s_wait_dscnt 0x0
	v_dual_mul_f32 v0, v49, v47 :: v_dual_mul_f32 v35, v48, v47
	s_delay_alu instid0(VALU_DEP_1) | instskip(NEXT) | instid1(VALU_DEP_1)
	v_dual_fma_f32 v0, v48, v46, -v0 :: v_dual_fmac_f32 v35, v49, v46
	v_dual_add_f32 v46, 0, v0 :: v_dual_add_f32 v47, 0, v35
	s_mov_b32 s10, exec_lo
	v_readlane_b32 s13, v110, 0
	s_and_b32 s13, s10, s13
	s_delay_alu instid0(SALU_CYCLE_1)
	s_mov_b32 exec_lo, s13
	s_cbranch_execz .LBB146_478
; %bb.477:                              ;   in Loop: Header=BB146_3 Depth=1
	ds_load_b64 v[48:49], v75 offset:16896
	ds_load_b64 v[50:51], v77 offset:32520
	s_wait_dscnt 0x0
	v_dual_mul_f32 v0, v51, v49 :: v_dual_mul_f32 v35, v50, v49
	s_delay_alu instid0(VALU_DEP_1) | instskip(NEXT) | instid1(VALU_DEP_1)
	v_dual_fma_f32 v0, v50, v48, -v0 :: v_dual_fmac_f32 v35, v51, v48
	v_dual_add_f32 v46, v46, v0 :: v_dual_add_f32 v47, v47, v35
.LBB146_478:                            ;   in Loop: Header=BB146_3 Depth=1
	s_or_b32 exec_lo, exec_lo, s10
	s_delay_alu instid0(SALU_CYCLE_1) | instskip(SKIP_2) | instid1(SALU_CYCLE_1)
	s_mov_b32 s10, exec_lo
	v_readlane_b32 s13, v110, 1
	s_and_b32 s13, s10, s13
	s_mov_b32 exec_lo, s13
	s_cbranch_execz .LBB146_480
; %bb.479:                              ;   in Loop: Header=BB146_3 Depth=1
	ds_load_b64 v[48:49], v75 offset:17408
	ds_load_b64 v[50:51], v77 offset:32528
	s_wait_dscnt 0x0
	v_dual_mul_f32 v0, v51, v49 :: v_dual_mul_f32 v35, v50, v49
	s_delay_alu instid0(VALU_DEP_1) | instskip(NEXT) | instid1(VALU_DEP_1)
	v_dual_fma_f32 v0, v50, v48, -v0 :: v_dual_fmac_f32 v35, v51, v48
	v_dual_add_f32 v46, v46, v0 :: v_dual_add_f32 v47, v47, v35
.LBB146_480:                            ;   in Loop: Header=BB146_3 Depth=1
	s_or_b32 exec_lo, exec_lo, s10
	s_delay_alu instid0(SALU_CYCLE_1) | instskip(SKIP_2) | instid1(SALU_CYCLE_1)
	s_mov_b32 s10, exec_lo
	v_readlane_b32 s13, v110, 2
	s_and_b32 s13, s10, s13
	;; [unrolled: 16-line block ×22, first 2 shown]
	s_mov_b32 exec_lo, s13
	s_cbranch_execz .LBB146_522
; %bb.521:                              ;   in Loop: Header=BB146_3 Depth=1
	ds_load_b64 v[48:49], v75 offset:28160
	ds_load_b64 v[50:51], v77 offset:32696
	s_wait_dscnt 0x0
	v_dual_mul_f32 v0, v51, v49 :: v_dual_mul_f32 v35, v50, v49
	s_delay_alu instid0(VALU_DEP_1) | instskip(NEXT) | instid1(VALU_DEP_1)
	v_dual_fma_f32 v0, v50, v48, -v0 :: v_dual_fmac_f32 v35, v51, v48
	v_dual_add_f32 v46, v46, v0 :: v_dual_add_f32 v47, v47, v35
.LBB146_522:                            ;   in Loop: Header=BB146_3 Depth=1
	s_or_b32 exec_lo, exec_lo, s10
	s_and_saveexec_b32 s10, s5
	s_cbranch_execz .LBB146_524
; %bb.523:                              ;   in Loop: Header=BB146_3 Depth=1
	ds_load_b64 v[48:49], v75 offset:28672
	ds_load_b64 v[50:51], v77 offset:32704
	s_wait_dscnt 0x0
	v_dual_mul_f32 v0, v51, v49 :: v_dual_mul_f32 v35, v50, v49
	s_delay_alu instid0(VALU_DEP_1) | instskip(NEXT) | instid1(VALU_DEP_1)
	v_dual_fma_f32 v0, v50, v48, -v0 :: v_dual_fmac_f32 v35, v51, v48
	v_dual_add_f32 v46, v46, v0 :: v_dual_add_f32 v47, v47, v35
.LBB146_524:                            ;   in Loop: Header=BB146_3 Depth=1
	s_or_b32 exec_lo, exec_lo, s10
	s_delay_alu instid0(SALU_CYCLE_1) | instskip(SKIP_2) | instid1(SALU_CYCLE_1)
	s_mov_b32 s10, exec_lo
	v_readlane_b32 s13, v111, 22
	s_and_b32 s13, s10, s13
	s_mov_b32 exec_lo, s13
	s_cbranch_execz .LBB146_526
; %bb.525:                              ;   in Loop: Header=BB146_3 Depth=1
	ds_load_b64 v[48:49], v75 offset:29184
	ds_load_b64 v[50:51], v77 offset:32712
	s_wait_dscnt 0x0
	v_dual_mul_f32 v0, v51, v49 :: v_dual_mul_f32 v35, v50, v49
	s_delay_alu instid0(VALU_DEP_1) | instskip(NEXT) | instid1(VALU_DEP_1)
	v_dual_fma_f32 v0, v50, v48, -v0 :: v_dual_fmac_f32 v35, v51, v48
	v_dual_add_f32 v46, v46, v0 :: v_dual_add_f32 v47, v47, v35
.LBB146_526:                            ;   in Loop: Header=BB146_3 Depth=1
	s_or_b32 exec_lo, exec_lo, s10
	s_delay_alu instid0(SALU_CYCLE_1) | instskip(SKIP_2) | instid1(SALU_CYCLE_1)
	s_mov_b32 s10, exec_lo
	v_readlane_b32 s13, v111, 24
	s_and_b32 s13, s10, s13
	s_mov_b32 exec_lo, s13
	;; [unrolled: 16-line block ×4, first 2 shown]
	s_cbranch_execz .LBB146_532
; %bb.531:                              ;   in Loop: Header=BB146_3 Depth=1
	ds_load_b64 v[48:49], v75 offset:30720
	ds_load_b64 v[50:51], v77 offset:32736
	s_wait_dscnt 0x0
	v_dual_mul_f32 v0, v51, v49 :: v_dual_mul_f32 v53, v50, v49
	s_delay_alu instid0(VALU_DEP_1) | instskip(NEXT) | instid1(VALU_DEP_1)
	v_dual_fma_f32 v52, v50, v48, -v0 :: v_dual_fmac_f32 v53, v51, v48
	v_pk_add_f32 v[46:47], v[46:47], v[52:53]
.LBB146_532:                            ;   in Loop: Header=BB146_3 Depth=1
	s_or_b32 exec_lo, exec_lo, s10
	s_delay_alu instid0(SALU_CYCLE_1) | instskip(SKIP_2) | instid1(SALU_CYCLE_1)
	s_mov_b32 s10, exec_lo
	v_readlane_b32 s13, v111, 30
	s_and_b32 s13, s10, s13
	s_mov_b32 exec_lo, s13
	s_cbranch_execnz .LBB146_1086
; %bb.533:                              ;   in Loop: Header=BB146_3 Depth=1
	s_or_b32 exec_lo, exec_lo, s10
	s_and_saveexec_b32 s10, s4
	s_cbranch_execnz .LBB146_1087
.LBB146_534:                            ;   in Loop: Header=BB146_3 Depth=1
	s_or_b32 exec_lo, exec_lo, s10
	s_and_saveexec_b32 s10, s21
	s_delay_alu instid0(SALU_CYCLE_1)
	s_xor_b32 s10, exec_lo, s10
	s_cbranch_execz .LBB146_536
.LBB146_535:                            ;   in Loop: Header=BB146_3 Depth=1
	ds_load_b64 v[48:49], v75 offset:32256
	ds_load_b64 v[50:51], v77 offset:32760
	s_wait_dscnt 0x0
	v_pk_mul_f32 v[52:53], v[50:51], v[48:49] op_sel:[1,1] op_sel_hi:[0,1]
	s_delay_alu instid0(VALU_DEP_1) | instskip(SKIP_1) | instid1(VALU_DEP_2)
	v_pk_fma_f32 v[102:103], v[50:51], v[48:49], v[52:53] op_sel_hi:[1,0,1]
	v_pk_fma_f32 v[48:49], v[50:51], v[48:49], v[52:53] neg_lo:[0,0,1] neg_hi:[0,0,1]
	v_mov_b32_e32 v49, v103
	s_delay_alu instid0(VALU_DEP_1)
	v_pk_add_f32 v[46:47], v[46:47], v[48:49]
.LBB146_536:                            ;   in Loop: Header=BB146_3 Depth=1
	s_or_b32 exec_lo, exec_lo, s10
.LBB146_537:                            ;   in Loop: Header=BB146_3 Depth=1
	s_delay_alu instid0(SALU_CYCLE_1)
	s_or_b32 exec_lo, exec_lo, s62
	v_dual_mov_b32 v0, v101 :: v_dual_mov_b32 v35, v100
	s_mov_b32 s13, 31
	s_branch .LBB146_539
.LBB146_538:                            ;   in Loop: Header=BB146_539 Depth=2
	s_or_b32 exec_lo, exec_lo, s10
	v_add_nc_u32_e32 v35, 0xfffff800, v35
	v_add_nc_u32_e32 v0, 4, v0
	s_add_co_i32 s13, s13, -4
	s_cmp_eq_u32 s62, 0
	s_barrier_signal -1
	s_barrier_wait -1
	s_cbranch_scc1 .LBB146_555
.LBB146_539:                            ;   Parent Loop BB146_3 Depth=1
                                        ; =>  This Inner Loop Header: Depth=2
	s_delay_alu instid0(VALU_DEP_1) | instskip(SKIP_1) | instid1(SALU_CYCLE_1)
	v_cmp_eq_u32_e32 vcc_lo, 0, v0
	s_and_b32 s62, s12, vcc_lo
	s_and_saveexec_b32 s10, s62
; %bb.540:                              ;   in Loop: Header=BB146_539 Depth=2
	v_pk_add_f32 v[48:49], v[46:47], 0 neg_lo:[1,1] neg_hi:[1,1]
	ds_store_b64 v76, v[48:49]
; %bb.541:                              ;   in Loop: Header=BB146_539 Depth=2
	s_or_b32 exec_lo, exec_lo, s10
	v_cmp_gt_u32_e32 vcc_lo, s13, v73
	s_wait_loadcnt_dscnt 0x0
	s_barrier_signal -1
	s_barrier_wait -1
	s_and_b32 s62, s12, vcc_lo
	s_delay_alu instid0(SALU_CYCLE_1)
	s_and_saveexec_b32 s10, s62
	s_cbranch_execz .LBB146_543
; %bb.542:                              ;   in Loop: Header=BB146_539 Depth=2
	ds_load_b64 v[48:49], v35 offset:1536
	ds_load_b64 v[50:51], v76
	s_wait_dscnt 0x0
	v_pk_mul_f32 v[52:53], v[50:51], v[48:49] op_sel:[1,1] op_sel_hi:[0,1]
	s_delay_alu instid0(VALU_DEP_1) | instskip(SKIP_1) | instid1(VALU_DEP_2)
	v_pk_fma_f32 v[102:103], v[50:51], v[48:49], v[52:53] op_sel_hi:[1,0,1]
	v_pk_fma_f32 v[48:49], v[50:51], v[48:49], v[52:53] neg_lo:[0,0,1] neg_hi:[0,0,1]
	v_mov_b32_e32 v49, v103
	s_delay_alu instid0(VALU_DEP_1)
	v_pk_add_f32 v[46:47], v[46:47], v[48:49] neg_lo:[0,1] neg_hi:[0,1]
.LBB146_543:                            ;   in Loop: Header=BB146_539 Depth=2
	s_or_b32 exec_lo, exec_lo, s10
	s_add_co_i32 s10, s13, -1
	s_delay_alu instid0(SALU_CYCLE_1) | instskip(SKIP_3) | instid1(SALU_CYCLE_1)
	v_cmp_eq_u32_e32 vcc_lo, s10, v73
	s_barrier_signal -1
	s_barrier_wait -1
	s_and_b32 s82, s12, vcc_lo
	s_and_saveexec_b32 s62, s82
; %bb.544:                              ;   in Loop: Header=BB146_539 Depth=2
	v_pk_add_f32 v[48:49], v[46:47], 0 neg_lo:[1,1] neg_hi:[1,1]
	ds_store_b64 v76, v[48:49]
; %bb.545:                              ;   in Loop: Header=BB146_539 Depth=2
	s_or_b32 exec_lo, exec_lo, s62
	v_cmp_gt_u32_e32 vcc_lo, s10, v73
	s_wait_dscnt 0x0
	s_barrier_signal -1
	s_barrier_wait -1
	s_and_b32 s62, s12, vcc_lo
	s_delay_alu instid0(SALU_CYCLE_1)
	s_and_saveexec_b32 s10, s62
	s_cbranch_execz .LBB146_547
; %bb.546:                              ;   in Loop: Header=BB146_539 Depth=2
	ds_load_b64 v[48:49], v35 offset:1024
	ds_load_b64 v[50:51], v76
	s_wait_dscnt 0x0
	v_pk_mul_f32 v[52:53], v[50:51], v[48:49] op_sel:[1,1] op_sel_hi:[0,1]
	s_delay_alu instid0(VALU_DEP_1) | instskip(SKIP_1) | instid1(VALU_DEP_2)
	v_pk_fma_f32 v[102:103], v[50:51], v[48:49], v[52:53] op_sel_hi:[1,0,1]
	v_pk_fma_f32 v[48:49], v[50:51], v[48:49], v[52:53] neg_lo:[0,0,1] neg_hi:[0,0,1]
	v_mov_b32_e32 v49, v103
	s_delay_alu instid0(VALU_DEP_1)
	v_pk_add_f32 v[46:47], v[46:47], v[48:49] neg_lo:[0,1] neg_hi:[0,1]
.LBB146_547:                            ;   in Loop: Header=BB146_539 Depth=2
	s_or_b32 exec_lo, exec_lo, s10
	s_add_co_i32 s10, s13, -2
	s_delay_alu instid0(SALU_CYCLE_1) | instskip(SKIP_3) | instid1(SALU_CYCLE_1)
	v_cmp_eq_u32_e32 vcc_lo, s10, v73
	s_barrier_signal -1
	s_barrier_wait -1
	s_and_b32 s82, s12, vcc_lo
	s_and_saveexec_b32 s62, s82
; %bb.548:                              ;   in Loop: Header=BB146_539 Depth=2
	v_pk_add_f32 v[48:49], v[46:47], 0 neg_lo:[1,1] neg_hi:[1,1]
	ds_store_b64 v76, v[48:49]
; %bb.549:                              ;   in Loop: Header=BB146_539 Depth=2
	s_or_b32 exec_lo, exec_lo, s62
	v_cmp_gt_u32_e32 vcc_lo, s10, v73
	s_wait_dscnt 0x0
	;; [unrolled: 33-line block ×3, first 2 shown]
	s_barrier_signal -1
	s_barrier_wait -1
	s_and_b32 s82, s12, vcc_lo
	s_delay_alu instid0(SALU_CYCLE_1)
	s_and_saveexec_b32 s10, s82
	s_cbranch_execz .LBB146_538
; %bb.554:                              ;   in Loop: Header=BB146_539 Depth=2
	ds_load_b64 v[48:49], v35
	ds_load_b64 v[50:51], v76
	s_wait_dscnt 0x0
	v_pk_mul_f32 v[52:53], v[50:51], v[48:49] op_sel:[1,1] op_sel_hi:[0,1]
	s_delay_alu instid0(VALU_DEP_1) | instskip(SKIP_1) | instid1(VALU_DEP_2)
	v_pk_fma_f32 v[102:103], v[50:51], v[48:49], v[52:53] op_sel_hi:[1,0,1]
	v_pk_fma_f32 v[48:49], v[50:51], v[48:49], v[52:53] neg_lo:[0,0,1] neg_hi:[0,0,1]
	v_mov_b32_e32 v49, v103
	s_delay_alu instid0(VALU_DEP_1)
	v_pk_add_f32 v[46:47], v[46:47], v[48:49] neg_lo:[0,1] neg_hi:[0,1]
	s_branch .LBB146_538
.LBB146_555:                            ;   in Loop: Header=BB146_3 Depth=1
	s_and_saveexec_b32 s10, s35
; %bb.556:                              ;   in Loop: Header=BB146_3 Depth=1
	ds_store_b64 v78, v[46:47] offset:32256
; %bb.557:                              ;   in Loop: Header=BB146_3 Depth=1
	s_or_b32 exec_lo, exec_lo, s10
	s_wait_dscnt 0x0
	s_barrier_signal -1
	s_barrier_wait -1
	s_barrier_signal -1
	s_barrier_wait -1
	s_mov_b32 s13, exec_lo
	v_readlane_b32 s10, v111, 8
	s_and_b32 s10, s13, s10
	s_delay_alu instid0(SALU_CYCLE_1)
	s_mov_b32 exec_lo, s10
	s_cbranch_execz .LBB146_559
; %bb.558:                              ;   in Loop: Header=BB146_3 Depth=1
	ds_load_b64 v[46:47], v89 offset:16384
	v_add_nc_u32_e32 v0, v89, v93
	s_wait_dscnt 0x0
	ds_store_b64 v0, v[46:47] offset:256
	ds_load_b64 v[46:47], v89 offset:16392
	s_wait_dscnt 0x0
	ds_store_b64 v0, v[46:47] offset:768
	ds_load_b64 v[46:47], v89 offset:16400
	;; [unrolled: 3-line block ×31, first 2 shown]
	s_wait_dscnt 0x0
	ds_store_b64 v0, v[46:47] offset:16128
.LBB146_559:                            ;   in Loop: Header=BB146_3 Depth=1
	s_or_b32 exec_lo, exec_lo, s13
	s_wait_dscnt 0x0
	s_barrier_signal -1
	s_barrier_wait -1
	s_and_saveexec_b32 s10, s11
	s_cbranch_execz .LBB146_561
; %bb.560:                              ;   in Loop: Header=BB146_3 Depth=1
	ds_load_b64 v[46:47], v1 offset:16112
	v_add_nc_u32_e64 v0, 0x3800, 0
	ds_store_b64 v1, v[38:39] offset:16120
	s_wait_dscnt 0x1
	ds_store_2addr_b64 v0, v[38:39], v[46:47] offset0:158 offset1:159
.LBB146_561:                            ;   in Loop: Header=BB146_3 Depth=1
	s_or_b32 exec_lo, exec_lo, s10
	v_dual_mov_b32 v46, 0 :: v_dual_mov_b32 v47, 0
	s_wait_dscnt 0x0
	s_barrier_signal -1
	s_barrier_wait -1
	global_wb scope:SCOPE_DEV
	s_wait_storecnt 0x0
	global_inv scope:SCOPE_DEV
	s_and_saveexec_b32 s13, s1
	s_cbranch_execz .LBB146_565
; %bb.562:                              ;   in Loop: Header=BB146_3 Depth=1
	ds_load_b64 v[46:47], v55 offset:15584
	ds_load_b64 v[48:49], v56 offset:16112
	s_wait_dscnt 0x0
	v_pk_mul_f32 v[50:51], v[48:49], v[46:47] op_sel:[1,1] op_sel_hi:[0,1]
	s_delay_alu instid0(VALU_DEP_1) | instskip(SKIP_1) | instid1(VALU_DEP_2)
	v_pk_fma_f32 v[52:53], v[48:49], v[46:47], v[50:51] op_sel_hi:[1,0,1]
	v_pk_fma_f32 v[46:47], v[48:49], v[46:47], v[50:51] neg_lo:[0,0,1] neg_hi:[0,0,1]
	v_mov_b32_e32 v47, v53
	s_delay_alu instid0(VALU_DEP_1)
	v_pk_add_f32 v[46:47], v[46:47], 0 op_sel_hi:[1,0]
	s_and_saveexec_b32 s10, s14
	s_cbranch_execz .LBB146_564
; %bb.563:                              ;   in Loop: Header=BB146_3 Depth=1
	ds_load_b64 v[48:49], v57 offset:16096
	ds_load_b64 v[50:51], v1 offset:16120
	s_wait_dscnt 0x0
	v_pk_mul_f32 v[52:53], v[50:51], v[48:49] op_sel:[1,1] op_sel_hi:[0,1]
	s_delay_alu instid0(VALU_DEP_1) | instskip(SKIP_1) | instid1(VALU_DEP_2)
	v_pk_fma_f32 v[102:103], v[50:51], v[48:49], v[52:53] op_sel_hi:[1,0,1]
	v_pk_fma_f32 v[48:49], v[50:51], v[48:49], v[52:53] neg_lo:[0,0,1] neg_hi:[0,0,1]
	v_mov_b32_e32 v49, v103
	s_delay_alu instid0(VALU_DEP_1)
	v_pk_add_f32 v[46:47], v[46:47], v[48:49]
.LBB146_564:                            ;   in Loop: Header=BB146_3 Depth=1
	s_or_b32 exec_lo, exec_lo, s10
.LBB146_565:                            ;   in Loop: Header=BB146_3 Depth=1
	s_delay_alu instid0(SALU_CYCLE_1)
	s_or_b32 exec_lo, exec_lo, s13
	s_and_saveexec_b32 s10, s89
; %bb.566:                              ;   in Loop: Header=BB146_3 Depth=1
	s_delay_alu instid0(VALU_DEP_1)
	v_pk_add_f32 v[48:49], v[46:47], 0 neg_lo:[1,1] neg_hi:[1,1]
	ds_store_b64 v54, v[48:49]
; %bb.567:                              ;   in Loop: Header=BB146_3 Depth=1
	s_or_b32 exec_lo, exec_lo, s10
	s_wait_loadcnt_dscnt 0x0
	s_barrier_signal -1
	s_barrier_wait -1
	s_and_saveexec_b32 s10, s90
	s_cbranch_execz .LBB146_569
; %bb.568:                              ;   in Loop: Header=BB146_3 Depth=1
	ds_load_b64 v[48:49], v1 offset:15072
	ds_load_b64 v[50:51], v54
	s_wait_dscnt 0x0
	v_pk_mul_f32 v[52:53], v[50:51], v[48:49] op_sel_hi:[1,0]
	s_delay_alu instid0(VALU_DEP_1) | instskip(SKIP_1) | instid1(VALU_DEP_2)
	v_pk_fma_f32 v[102:103], v[50:51], v[48:49], v[52:53] op_sel:[1,1,0] op_sel_hi:[0,1,1]
	v_pk_fma_f32 v[48:49], v[50:51], v[48:49], v[52:53] op_sel:[1,1,0] op_sel_hi:[0,1,1] neg_lo:[0,0,1] neg_hi:[0,0,1]
	v_pk_add_f32 v[50:51], v[46:47], v[102:103] neg_lo:[0,1] neg_hi:[0,1]
	s_delay_alu instid0(VALU_DEP_2) | instskip(NEXT) | instid1(VALU_DEP_2)
	v_pk_add_f32 v[46:47], v[46:47], v[48:49]
	v_mov_b32_e32 v47, v51
.LBB146_569:                            ;   in Loop: Header=BB146_3 Depth=1
	s_or_b32 exec_lo, exec_lo, s10
	s_barrier_signal -1
	s_barrier_wait -1
	s_and_saveexec_b32 s10, s90
; %bb.570:                              ;   in Loop: Header=BB146_3 Depth=1
	v_pk_add_f32 v[48:49], v[46:47], 0 neg_lo:[1,1] neg_hi:[1,1]
	ds_store_b64 v54, v[48:49]
; %bb.571:                              ;   in Loop: Header=BB146_3 Depth=1
	s_or_b32 exec_lo, exec_lo, s10
	s_wait_dscnt 0x0
	s_barrier_signal -1
	s_barrier_wait -1
	s_barrier_signal -1
	s_barrier_wait -1
	s_and_saveexec_b32 s10, s1
; %bb.572:                              ;   in Loop: Header=BB146_3 Depth=1
	ds_store_b64 v58, v[46:47] offset:16096
; %bb.573:                              ;   in Loop: Header=BB146_3 Depth=1
	s_or_b32 exec_lo, exec_lo, s10
	s_wait_dscnt 0x0
	s_barrier_signal -1
	s_barrier_wait -1
	s_barrier_signal -1
	s_barrier_wait -1
	s_and_saveexec_b32 s10, s91
	s_cbranch_execz .LBB146_575
; %bb.574:                              ;   in Loop: Header=BB146_3 Depth=1
	ds_load_b64 v[46:47], v59 offset:15584
	s_wait_dscnt 0x0
	ds_store_b64 v57, v[46:47] offset:14576
	ds_load_b64 v[46:47], v59 offset:15592
	s_wait_dscnt 0x0
	ds_store_b64 v57, v[46:47] offset:15088
.LBB146_575:                            ;   in Loop: Header=BB146_3 Depth=1
	s_or_b32 exec_lo, exec_lo, s10
	s_wait_dscnt 0x0
	s_barrier_signal -1
	s_barrier_wait -1
	s_and_saveexec_b32 s10, s11
	s_cbranch_execz .LBB146_577
; %bb.576:                              ;   in Loop: Header=BB146_3 Depth=1
	ds_load_b64 v[46:47], v1 offset:15072
	v_add_nc_u32_e64 v0, 0x3800, 0
	ds_store_b64 v1, v[38:39] offset:15080
	s_wait_dscnt 0x1
	ds_store_2addr_b64 v0, v[38:39], v[46:47] offset0:28 offset1:29
.LBB146_577:                            ;   in Loop: Header=BB146_3 Depth=1
	s_or_b32 exec_lo, exec_lo, s10
	v_mov_b64_e32 v[46:47], 0
	s_wait_dscnt 0x0
	s_barrier_signal -1
	s_barrier_wait -1
	global_wb scope:SCOPE_DEV
	s_wait_storecnt 0x0
	global_inv scope:SCOPE_DEV
	s_and_saveexec_b32 s13, s3
	s_cbranch_execz .LBB146_583
; %bb.578:                              ;   in Loop: Header=BB146_3 Depth=1
	ds_load_b64 v[46:47], v61 offset:14528
	ds_load_b64 v[48:49], v62 offset:16096
	s_wait_dscnt 0x0
	v_dual_mul_f32 v0, v49, v47 :: v_dual_mul_f32 v35, v48, v47
	s_delay_alu instid0(VALU_DEP_1) | instskip(NEXT) | instid1(VALU_DEP_1)
	v_dual_fma_f32 v0, v48, v46, -v0 :: v_dual_fmac_f32 v35, v49, v46
	v_dual_add_f32 v46, 0, v0 :: v_dual_add_f32 v47, 0, v35
	s_and_saveexec_b32 s10, s15
	s_cbranch_execnz .LBB146_1088
; %bb.579:                              ;   in Loop: Header=BB146_3 Depth=1
	s_or_b32 exec_lo, exec_lo, s10
	s_and_saveexec_b32 s10, s16
	s_cbranch_execnz .LBB146_1089
.LBB146_580:                            ;   in Loop: Header=BB146_3 Depth=1
	s_or_b32 exec_lo, exec_lo, s10
	s_and_saveexec_b32 s10, s1
	s_cbranch_execz .LBB146_582
.LBB146_581:                            ;   in Loop: Header=BB146_3 Depth=1
	ds_load_b64 v[48:49], v63 offset:16064
	ds_load_b64 v[50:51], v1 offset:16120
	s_wait_dscnt 0x0
	v_pk_mul_f32 v[52:53], v[50:51], v[48:49] op_sel:[1,1] op_sel_hi:[0,1]
	s_delay_alu instid0(VALU_DEP_1) | instskip(SKIP_1) | instid1(VALU_DEP_2)
	v_pk_fma_f32 v[102:103], v[50:51], v[48:49], v[52:53] op_sel_hi:[1,0,1]
	v_pk_fma_f32 v[48:49], v[50:51], v[48:49], v[52:53] neg_lo:[0,0,1] neg_hi:[0,0,1]
	v_mov_b32_e32 v49, v103
	s_delay_alu instid0(VALU_DEP_1)
	v_pk_add_f32 v[46:47], v[46:47], v[48:49]
.LBB146_582:                            ;   in Loop: Header=BB146_3 Depth=1
	s_or_b32 exec_lo, exec_lo, s10
.LBB146_583:                            ;   in Loop: Header=BB146_3 Depth=1
	s_delay_alu instid0(SALU_CYCLE_1)
	s_or_b32 exec_lo, exec_lo, s13
	s_and_saveexec_b32 s10, s92
; %bb.584:                              ;   in Loop: Header=BB146_3 Depth=1
	s_delay_alu instid0(VALU_DEP_1)
	v_pk_add_f32 v[48:49], v[46:47], 0 neg_lo:[1,1] neg_hi:[1,1]
	ds_store_b64 v60, v[48:49]
; %bb.585:                              ;   in Loop: Header=BB146_3 Depth=1
	s_or_b32 exec_lo, exec_lo, s10
	s_wait_loadcnt_dscnt 0x0
	s_barrier_signal -1
	s_barrier_wait -1
	s_and_saveexec_b32 s10, s93
	s_cbranch_execz .LBB146_587
; %bb.586:                              ;   in Loop: Header=BB146_3 Depth=1
	ds_load_b64 v[48:49], v61 offset:14016
	ds_load_b64 v[50:51], v60
	s_wait_dscnt 0x0
	v_pk_mul_f32 v[52:53], v[50:51], v[48:49] op_sel:[1,1] op_sel_hi:[0,1]
	s_delay_alu instid0(VALU_DEP_1) | instskip(SKIP_1) | instid1(VALU_DEP_2)
	v_pk_fma_f32 v[102:103], v[50:51], v[48:49], v[52:53] op_sel_hi:[1,0,1]
	v_pk_fma_f32 v[48:49], v[50:51], v[48:49], v[52:53] neg_lo:[0,0,1] neg_hi:[0,0,1]
	v_mov_b32_e32 v49, v103
	s_delay_alu instid0(VALU_DEP_1)
	v_pk_add_f32 v[46:47], v[46:47], v[48:49] neg_lo:[0,1] neg_hi:[0,1]
.LBB146_587:                            ;   in Loop: Header=BB146_3 Depth=1
	s_or_b32 exec_lo, exec_lo, s10
	s_barrier_signal -1
	s_barrier_wait -1
	s_and_saveexec_b32 s10, s94
; %bb.588:                              ;   in Loop: Header=BB146_3 Depth=1
	v_pk_add_f32 v[48:49], v[46:47], 0 neg_lo:[1,1] neg_hi:[1,1]
	ds_store_b64 v60, v[48:49]
; %bb.589:                              ;   in Loop: Header=BB146_3 Depth=1
	s_or_b32 exec_lo, exec_lo, s10
	s_wait_dscnt 0x0
	s_barrier_signal -1
	s_barrier_wait -1
	s_and_saveexec_b32 s10, s95
	s_cbranch_execz .LBB146_591
; %bb.590:                              ;   in Loop: Header=BB146_3 Depth=1
	ds_load_b64 v[48:49], v61 offset:13504
	ds_load_b64 v[50:51], v60
	s_wait_dscnt 0x0
	v_pk_mul_f32 v[52:53], v[50:51], v[48:49] op_sel:[1,1] op_sel_hi:[0,1]
	s_delay_alu instid0(VALU_DEP_1) | instskip(SKIP_1) | instid1(VALU_DEP_2)
	v_pk_fma_f32 v[102:103], v[50:51], v[48:49], v[52:53] op_sel_hi:[1,0,1]
	v_pk_fma_f32 v[48:49], v[50:51], v[48:49], v[52:53] neg_lo:[0,0,1] neg_hi:[0,0,1]
	v_mov_b32_e32 v49, v103
	s_delay_alu instid0(VALU_DEP_1)
	v_pk_add_f32 v[46:47], v[46:47], v[48:49] neg_lo:[0,1] neg_hi:[0,1]
.LBB146_591:                            ;   in Loop: Header=BB146_3 Depth=1
	s_or_b32 exec_lo, exec_lo, s10
	s_barrier_signal -1
	s_barrier_wait -1
	s_and_saveexec_b32 s10, s96
; %bb.592:                              ;   in Loop: Header=BB146_3 Depth=1
	v_pk_add_f32 v[48:49], v[46:47], 0 neg_lo:[1,1] neg_hi:[1,1]
	ds_store_b64 v60, v[48:49]
; %bb.593:                              ;   in Loop: Header=BB146_3 Depth=1
	s_or_b32 exec_lo, exec_lo, s10
	s_wait_dscnt 0x0
	;; [unrolled: 26-line block ×3, first 2 shown]
	s_barrier_signal -1
	s_barrier_wait -1
	s_barrier_signal -1
	s_barrier_wait -1
	s_and_saveexec_b32 s10, s3
; %bb.598:                              ;   in Loop: Header=BB146_3 Depth=1
	ds_store_b64 v64, v[46:47] offset:16064
; %bb.599:                              ;   in Loop: Header=BB146_3 Depth=1
	s_or_b32 exec_lo, exec_lo, s10
	s_wait_dscnt 0x0
	s_barrier_signal -1
	s_barrier_wait -1
	s_barrier_signal -1
	s_barrier_wait -1
	s_and_saveexec_b32 s10, s98
	s_cbranch_execz .LBB146_601
; %bb.600:                              ;   in Loop: Header=BB146_3 Depth=1
	ds_load_b64 v[46:47], v65 offset:14528
	s_wait_dscnt 0x0
	ds_store_b64 v7, v[46:47] offset:12512
	ds_load_b64 v[46:47], v65 offset:14536
	s_wait_dscnt 0x0
	ds_store_b64 v7, v[46:47] offset:13024
	;; [unrolled: 3-line block ×4, first 2 shown]
.LBB146_601:                            ;   in Loop: Header=BB146_3 Depth=1
	s_or_b32 exec_lo, exec_lo, s10
	s_wait_dscnt 0x0
	s_barrier_signal -1
	s_barrier_wait -1
	s_and_saveexec_b32 s10, s11
	s_cbranch_execz .LBB146_603
; %bb.602:                              ;   in Loop: Header=BB146_3 Depth=1
	ds_load_b64 v[46:47], v1 offset:14032
	v_add_nc_u32_e64 v0, 0x3000, 0
	ds_store_b64 v1, v[38:39] offset:14040
	s_wait_dscnt 0x1
	ds_store_2addr_b64 v0, v[38:39], v[46:47] offset0:154 offset1:155
.LBB146_603:                            ;   in Loop: Header=BB146_3 Depth=1
	s_or_b32 exec_lo, exec_lo, s10
	v_dual_mov_b32 v46, 0 :: v_dual_mov_b32 v47, 0
	s_wait_dscnt 0x0
	s_barrier_signal -1
	s_barrier_wait -1
	global_wb scope:SCOPE_DEV
	s_wait_storecnt 0x0
	global_inv scope:SCOPE_DEV
	s_and_saveexec_b32 s13, s1
	s_cbranch_execz .LBB146_607
; %bb.604:                              ;   in Loop: Header=BB146_3 Depth=1
	ds_load_b64 v[46:47], v55 offset:13504
	ds_load_b64 v[48:49], v56 offset:14032
	s_wait_dscnt 0x0
	v_pk_mul_f32 v[50:51], v[48:49], v[46:47] op_sel:[1,1] op_sel_hi:[0,1]
	s_delay_alu instid0(VALU_DEP_1) | instskip(SKIP_1) | instid1(VALU_DEP_2)
	v_pk_fma_f32 v[52:53], v[48:49], v[46:47], v[50:51] op_sel_hi:[1,0,1]
	v_pk_fma_f32 v[46:47], v[48:49], v[46:47], v[50:51] neg_lo:[0,0,1] neg_hi:[0,0,1]
	v_mov_b32_e32 v47, v53
	s_delay_alu instid0(VALU_DEP_1)
	v_pk_add_f32 v[46:47], v[46:47], 0 op_sel_hi:[1,0]
	s_and_saveexec_b32 s10, s14
	s_cbranch_execz .LBB146_606
; %bb.605:                              ;   in Loop: Header=BB146_3 Depth=1
	ds_load_b64 v[48:49], v7 offset:14016
	ds_load_b64 v[50:51], v1 offset:14040
	s_wait_dscnt 0x0
	v_pk_mul_f32 v[52:53], v[50:51], v[48:49] op_sel:[1,1] op_sel_hi:[0,1]
	s_delay_alu instid0(VALU_DEP_1) | instskip(SKIP_1) | instid1(VALU_DEP_2)
	v_pk_fma_f32 v[102:103], v[50:51], v[48:49], v[52:53] op_sel_hi:[1,0,1]
	v_pk_fma_f32 v[48:49], v[50:51], v[48:49], v[52:53] neg_lo:[0,0,1] neg_hi:[0,0,1]
	v_mov_b32_e32 v49, v103
	s_delay_alu instid0(VALU_DEP_1)
	v_pk_add_f32 v[46:47], v[46:47], v[48:49]
.LBB146_606:                            ;   in Loop: Header=BB146_3 Depth=1
	s_or_b32 exec_lo, exec_lo, s10
.LBB146_607:                            ;   in Loop: Header=BB146_3 Depth=1
	s_delay_alu instid0(SALU_CYCLE_1)
	s_or_b32 exec_lo, exec_lo, s13
	s_and_saveexec_b32 s10, s89
; %bb.608:                              ;   in Loop: Header=BB146_3 Depth=1
	s_delay_alu instid0(VALU_DEP_1)
	v_pk_add_f32 v[48:49], v[46:47], 0 neg_lo:[1,1] neg_hi:[1,1]
	ds_store_b64 v54, v[48:49]
; %bb.609:                              ;   in Loop: Header=BB146_3 Depth=1
	s_or_b32 exec_lo, exec_lo, s10
	s_wait_loadcnt_dscnt 0x0
	s_barrier_signal -1
	s_barrier_wait -1
	s_and_saveexec_b32 s10, s90
	s_cbranch_execz .LBB146_611
; %bb.610:                              ;   in Loop: Header=BB146_3 Depth=1
	ds_load_b64 v[48:49], v1 offset:12992
	ds_load_b64 v[50:51], v54
	s_wait_dscnt 0x0
	v_pk_mul_f32 v[52:53], v[50:51], v[48:49] op_sel_hi:[1,0]
	s_delay_alu instid0(VALU_DEP_1) | instskip(SKIP_1) | instid1(VALU_DEP_2)
	v_pk_fma_f32 v[102:103], v[50:51], v[48:49], v[52:53] op_sel:[1,1,0] op_sel_hi:[0,1,1]
	v_pk_fma_f32 v[48:49], v[50:51], v[48:49], v[52:53] op_sel:[1,1,0] op_sel_hi:[0,1,1] neg_lo:[0,0,1] neg_hi:[0,0,1]
	v_pk_add_f32 v[50:51], v[46:47], v[102:103] neg_lo:[0,1] neg_hi:[0,1]
	s_delay_alu instid0(VALU_DEP_2) | instskip(NEXT) | instid1(VALU_DEP_2)
	v_pk_add_f32 v[46:47], v[46:47], v[48:49]
	v_mov_b32_e32 v47, v51
.LBB146_611:                            ;   in Loop: Header=BB146_3 Depth=1
	s_or_b32 exec_lo, exec_lo, s10
	s_barrier_signal -1
	s_barrier_wait -1
	s_and_saveexec_b32 s10, s90
; %bb.612:                              ;   in Loop: Header=BB146_3 Depth=1
	v_pk_add_f32 v[48:49], v[46:47], 0 neg_lo:[1,1] neg_hi:[1,1]
	ds_store_b64 v54, v[48:49]
; %bb.613:                              ;   in Loop: Header=BB146_3 Depth=1
	s_or_b32 exec_lo, exec_lo, s10
	s_wait_dscnt 0x0
	s_barrier_signal -1
	s_barrier_wait -1
	s_barrier_signal -1
	s_barrier_wait -1
	s_and_saveexec_b32 s10, s1
; %bb.614:                              ;   in Loop: Header=BB146_3 Depth=1
	ds_store_b64 v58, v[46:47] offset:14016
; %bb.615:                              ;   in Loop: Header=BB146_3 Depth=1
	s_or_b32 exec_lo, exec_lo, s10
	s_wait_dscnt 0x0
	s_barrier_signal -1
	s_barrier_wait -1
	s_barrier_signal -1
	s_barrier_wait -1
	s_and_saveexec_b32 s10, s91
	s_cbranch_execz .LBB146_617
; %bb.616:                              ;   in Loop: Header=BB146_3 Depth=1
	ds_load_b64 v[46:47], v79 offset:13504
	s_wait_dscnt 0x0
	ds_store_b64 v7, v[46:47] offset:12496
	ds_load_b64 v[46:47], v79 offset:13512
	s_wait_dscnt 0x0
	ds_store_b64 v7, v[46:47] offset:13008
.LBB146_617:                            ;   in Loop: Header=BB146_3 Depth=1
	s_or_b32 exec_lo, exec_lo, s10
	s_wait_dscnt 0x0
	s_barrier_signal -1
	s_barrier_wait -1
	s_and_saveexec_b32 s10, s11
	s_cbranch_execz .LBB146_619
; %bb.618:                              ;   in Loop: Header=BB146_3 Depth=1
	ds_load_b64 v[46:47], v1 offset:12992
	v_add_nc_u32_e64 v0, 0x3000, 0
	ds_store_b64 v1, v[38:39] offset:13000
	s_wait_dscnt 0x1
	ds_store_2addr_b64 v0, v[38:39], v[46:47] offset0:24 offset1:25
.LBB146_619:                            ;   in Loop: Header=BB146_3 Depth=1
	s_or_b32 exec_lo, exec_lo, s10
	v_mov_b64_e32 v[46:47], 0
	s_wait_dscnt 0x0
	s_barrier_signal -1
	s_barrier_wait -1
	global_wb scope:SCOPE_DEV
	s_wait_storecnt 0x0
	global_inv scope:SCOPE_DEV
	s_and_saveexec_b32 s13, s4
	s_cbranch_execz .LBB146_629
; %bb.620:                              ;   in Loop: Header=BB146_3 Depth=1
	ds_load_b64 v[46:47], v67 offset:12416
	ds_load_b64 v[48:49], v68 offset:16064
	s_wait_dscnt 0x0
	v_dual_mul_f32 v0, v49, v47 :: v_dual_mul_f32 v35, v48, v47
	s_delay_alu instid0(VALU_DEP_1) | instskip(NEXT) | instid1(VALU_DEP_1)
	v_dual_fma_f32 v0, v48, v46, -v0 :: v_dual_fmac_f32 v35, v49, v46
	v_dual_add_f32 v46, 0, v0 :: v_dual_add_f32 v47, 0, v35
	s_and_saveexec_b32 s10, s17
	s_cbranch_execnz .LBB146_1090
; %bb.621:                              ;   in Loop: Header=BB146_3 Depth=1
	s_or_b32 exec_lo, exec_lo, s10
	s_and_saveexec_b32 s10, s19
	s_cbranch_execnz .LBB146_1091
.LBB146_622:                            ;   in Loop: Header=BB146_3 Depth=1
	s_or_b32 exec_lo, exec_lo, s10
	s_and_saveexec_b32 s10, s20
	s_cbranch_execnz .LBB146_1092
.LBB146_623:                            ;   in Loop: Header=BB146_3 Depth=1
	s_or_b32 exec_lo, exec_lo, s10
	s_and_saveexec_b32 s10, s21
	s_cbranch_execnz .LBB146_1093
.LBB146_624:                            ;   in Loop: Header=BB146_3 Depth=1
	s_or_b32 exec_lo, exec_lo, s10
	s_and_saveexec_b32 s10, s22
	s_cbranch_execnz .LBB146_1094
.LBB146_625:                            ;   in Loop: Header=BB146_3 Depth=1
	s_or_b32 exec_lo, exec_lo, s10
	s_and_saveexec_b32 s10, s3
	s_cbranch_execnz .LBB146_1095
.LBB146_626:                            ;   in Loop: Header=BB146_3 Depth=1
	s_or_b32 exec_lo, exec_lo, s10
	s_and_saveexec_b32 s10, s16
	s_cbranch_execz .LBB146_628
.LBB146_627:                            ;   in Loop: Header=BB146_3 Depth=1
	ds_load_b64 v[48:49], v80 offset:16000
	ds_load_b64 v[50:51], v1 offset:16120
	s_wait_dscnt 0x0
	v_pk_mul_f32 v[52:53], v[50:51], v[48:49] op_sel:[1,1] op_sel_hi:[0,1]
	s_delay_alu instid0(VALU_DEP_1) | instskip(SKIP_1) | instid1(VALU_DEP_2)
	v_pk_fma_f32 v[102:103], v[50:51], v[48:49], v[52:53] op_sel_hi:[1,0,1]
	v_pk_fma_f32 v[48:49], v[50:51], v[48:49], v[52:53] neg_lo:[0,0,1] neg_hi:[0,0,1]
	v_mov_b32_e32 v49, v103
	s_delay_alu instid0(VALU_DEP_1)
	v_pk_add_f32 v[46:47], v[46:47], v[48:49]
.LBB146_628:                            ;   in Loop: Header=BB146_3 Depth=1
	s_or_b32 exec_lo, exec_lo, s10
.LBB146_629:                            ;   in Loop: Header=BB146_3 Depth=1
	s_delay_alu instid0(SALU_CYCLE_1)
	s_or_b32 exec_lo, exec_lo, s13
	s_and_saveexec_b32 s10, s99
; %bb.630:                              ;   in Loop: Header=BB146_3 Depth=1
	s_delay_alu instid0(VALU_DEP_1)
	v_pk_add_f32 v[48:49], v[46:47], 0 neg_lo:[1,1] neg_hi:[1,1]
	ds_store_b64 v66, v[48:49]
; %bb.631:                              ;   in Loop: Header=BB146_3 Depth=1
	s_or_b32 exec_lo, exec_lo, s10
	s_wait_loadcnt_dscnt 0x0
	s_barrier_signal -1
	s_barrier_wait -1
	s_and_saveexec_b32 s10, s100
	s_cbranch_execz .LBB146_633
; %bb.632:                              ;   in Loop: Header=BB146_3 Depth=1
	ds_load_b64 v[48:49], v67 offset:11904
	ds_load_b64 v[50:51], v66
	s_wait_dscnt 0x0
	v_pk_mul_f32 v[52:53], v[50:51], v[48:49] op_sel:[1,1] op_sel_hi:[0,1]
	s_delay_alu instid0(VALU_DEP_1) | instskip(SKIP_1) | instid1(VALU_DEP_2)
	v_pk_fma_f32 v[102:103], v[50:51], v[48:49], v[52:53] op_sel_hi:[1,0,1]
	v_pk_fma_f32 v[48:49], v[50:51], v[48:49], v[52:53] neg_lo:[0,0,1] neg_hi:[0,0,1]
	v_mov_b32_e32 v49, v103
	s_delay_alu instid0(VALU_DEP_1)
	v_pk_add_f32 v[46:47], v[46:47], v[48:49] neg_lo:[0,1] neg_hi:[0,1]
.LBB146_633:                            ;   in Loop: Header=BB146_3 Depth=1
	s_or_b32 exec_lo, exec_lo, s10
	s_barrier_signal -1
	s_barrier_wait -1
	s_and_saveexec_b32 s10, s101
; %bb.634:                              ;   in Loop: Header=BB146_3 Depth=1
	v_pk_add_f32 v[48:49], v[46:47], 0 neg_lo:[1,1] neg_hi:[1,1]
	ds_store_b64 v66, v[48:49]
; %bb.635:                              ;   in Loop: Header=BB146_3 Depth=1
	s_or_b32 exec_lo, exec_lo, s10
	s_wait_dscnt 0x0
	s_barrier_signal -1
	s_barrier_wait -1
	s_and_saveexec_b32 s10, s102
	s_cbranch_execz .LBB146_637
; %bb.636:                              ;   in Loop: Header=BB146_3 Depth=1
	ds_load_b64 v[48:49], v67 offset:11392
	ds_load_b64 v[50:51], v66
	s_wait_dscnt 0x0
	v_dual_mul_f32 v0, v51, v49 :: v_dual_mul_f32 v35, v50, v49
	s_delay_alu instid0(VALU_DEP_1) | instskip(NEXT) | instid1(VALU_DEP_1)
	v_dual_fma_f32 v0, v50, v48, -v0 :: v_dual_fmac_f32 v35, v51, v48
	v_dual_sub_f32 v46, v46, v0 :: v_dual_sub_f32 v47, v47, v35
.LBB146_637:                            ;   in Loop: Header=BB146_3 Depth=1
	s_or_b32 exec_lo, exec_lo, s10
	s_barrier_signal -1
	s_barrier_wait -1
	s_and_saveexec_b32 s10, s103
; %bb.638:                              ;   in Loop: Header=BB146_3 Depth=1
	v_pk_add_f32 v[48:49], v[46:47], 0 neg_lo:[1,1] neg_hi:[1,1]
	ds_store_b64 v66, v[48:49]
; %bb.639:                              ;   in Loop: Header=BB146_3 Depth=1
	s_or_b32 exec_lo, exec_lo, s10
	s_wait_dscnt 0x0
	s_barrier_signal -1
	s_barrier_wait -1
	s_and_saveexec_b32 s10, s104
	s_cbranch_execz .LBB146_641
; %bb.640:                              ;   in Loop: Header=BB146_3 Depth=1
	ds_load_b64 v[48:49], v67 offset:10880
	ds_load_b64 v[50:51], v66
	s_wait_dscnt 0x0
	v_dual_mul_f32 v0, v51, v49 :: v_dual_mul_f32 v53, v50, v49
	s_delay_alu instid0(VALU_DEP_1) | instskip(NEXT) | instid1(VALU_DEP_1)
	v_dual_fma_f32 v52, v50, v48, -v0 :: v_dual_fmac_f32 v53, v51, v48
	v_pk_add_f32 v[46:47], v[46:47], v[52:53] neg_lo:[0,1] neg_hi:[0,1]
.LBB146_641:                            ;   in Loop: Header=BB146_3 Depth=1
	s_or_b32 exec_lo, exec_lo, s10
	s_barrier_signal -1
	s_barrier_wait -1
	s_and_saveexec_b32 s10, vcc_hi
; %bb.642:                              ;   in Loop: Header=BB146_3 Depth=1
	v_pk_add_f32 v[48:49], v[46:47], 0 neg_lo:[1,1] neg_hi:[1,1]
	ds_store_b64 v66, v[48:49]
; %bb.643:                              ;   in Loop: Header=BB146_3 Depth=1
	s_or_b32 exec_lo, exec_lo, s10
	s_wait_dscnt 0x0
	s_barrier_signal -1
	s_barrier_wait -1
	s_and_saveexec_b32 s10, s38
	s_cbranch_execz .LBB146_645
; %bb.644:                              ;   in Loop: Header=BB146_3 Depth=1
	ds_load_b64 v[48:49], v67 offset:10368
	ds_load_b64 v[50:51], v66
	s_wait_dscnt 0x0
	v_pk_mul_f32 v[52:53], v[50:51], v[48:49] op_sel:[1,1] op_sel_hi:[0,1]
	s_delay_alu instid0(VALU_DEP_1) | instskip(SKIP_1) | instid1(VALU_DEP_2)
	v_pk_fma_f32 v[102:103], v[50:51], v[48:49], v[52:53] op_sel_hi:[1,0,1]
	v_pk_fma_f32 v[48:49], v[50:51], v[48:49], v[52:53] neg_lo:[0,0,1] neg_hi:[0,0,1]
	v_mov_b32_e32 v49, v103
	s_delay_alu instid0(VALU_DEP_1)
	v_pk_add_f32 v[46:47], v[46:47], v[48:49] neg_lo:[0,1] neg_hi:[0,1]
.LBB146_645:                            ;   in Loop: Header=BB146_3 Depth=1
	s_or_b32 exec_lo, exec_lo, s10
	s_barrier_signal -1
	s_barrier_wait -1
	s_and_saveexec_b32 s10, s39
; %bb.646:                              ;   in Loop: Header=BB146_3 Depth=1
	v_pk_add_f32 v[48:49], v[46:47], 0 neg_lo:[1,1] neg_hi:[1,1]
	ds_store_b64 v66, v[48:49]
; %bb.647:                              ;   in Loop: Header=BB146_3 Depth=1
	s_or_b32 exec_lo, exec_lo, s10
	s_wait_dscnt 0x0
	s_barrier_signal -1
	s_barrier_wait -1
	s_and_saveexec_b32 s10, s40
	s_cbranch_execz .LBB146_649
; %bb.648:                              ;   in Loop: Header=BB146_3 Depth=1
	ds_load_b64 v[48:49], v67 offset:9856
	ds_load_b64 v[50:51], v66
	s_wait_dscnt 0x0
	v_pk_mul_f32 v[52:53], v[50:51], v[48:49] op_sel:[1,1] op_sel_hi:[0,1]
	s_delay_alu instid0(VALU_DEP_1) | instskip(SKIP_1) | instid1(VALU_DEP_2)
	v_pk_fma_f32 v[102:103], v[50:51], v[48:49], v[52:53] op_sel_hi:[1,0,1]
	v_pk_fma_f32 v[48:49], v[50:51], v[48:49], v[52:53] neg_lo:[0,0,1] neg_hi:[0,0,1]
	v_mov_b32_e32 v49, v103
	s_delay_alu instid0(VALU_DEP_1)
	v_pk_add_f32 v[46:47], v[46:47], v[48:49] neg_lo:[0,1] neg_hi:[0,1]
.LBB146_649:                            ;   in Loop: Header=BB146_3 Depth=1
	s_or_b32 exec_lo, exec_lo, s10
	s_barrier_signal -1
	s_barrier_wait -1
	s_and_saveexec_b32 s10, s41
	;; [unrolled: 26-line block ×4, first 2 shown]
; %bb.658:                              ;   in Loop: Header=BB146_3 Depth=1
	v_pk_add_f32 v[48:49], v[46:47], 0 neg_lo:[1,1] neg_hi:[1,1]
	ds_store_b64 v66, v[48:49]
; %bb.659:                              ;   in Loop: Header=BB146_3 Depth=1
	s_or_b32 exec_lo, exec_lo, s10
	s_wait_dscnt 0x0
	s_barrier_signal -1
	s_barrier_wait -1
	s_barrier_signal -1
	s_barrier_wait -1
	s_and_saveexec_b32 s10, s4
; %bb.660:                              ;   in Loop: Header=BB146_3 Depth=1
	ds_store_b64 v69, v[46:47] offset:16000
; %bb.661:                              ;   in Loop: Header=BB146_3 Depth=1
	s_or_b32 exec_lo, exec_lo, s10
	s_wait_dscnt 0x0
	s_barrier_signal -1
	s_barrier_wait -1
	s_barrier_signal -1
	s_barrier_wait -1
	s_and_saveexec_b32 s10, s45
	s_cbranch_execz .LBB146_663
; %bb.662:                              ;   in Loop: Header=BB146_3 Depth=1
	ds_load_b64 v[46:47], v81 offset:12416
	s_wait_dscnt 0x0
	ds_store_b64 v3, v[46:47] offset:8384
	ds_load_b64 v[46:47], v81 offset:12424
	s_wait_dscnt 0x0
	ds_store_b64 v3, v[46:47] offset:8896
	;; [unrolled: 3-line block ×8, first 2 shown]
.LBB146_663:                            ;   in Loop: Header=BB146_3 Depth=1
	s_or_b32 exec_lo, exec_lo, s10
	s_wait_dscnt 0x0
	s_barrier_signal -1
	s_barrier_wait -1
	s_and_saveexec_b32 s10, s11
	s_cbranch_execz .LBB146_665
; %bb.664:                              ;   in Loop: Header=BB146_3 Depth=1
	ds_load_b64 v[46:47], v1 offset:11952
	v_add_nc_u32_e64 v0, 0x2800, 0
	ds_store_b64 v1, v[38:39] offset:11960
	s_wait_dscnt 0x1
	ds_store_2addr_b64 v0, v[38:39], v[46:47] offset0:150 offset1:151
.LBB146_665:                            ;   in Loop: Header=BB146_3 Depth=1
	s_or_b32 exec_lo, exec_lo, s10
	v_dual_mov_b32 v46, 0 :: v_dual_mov_b32 v47, 0
	s_wait_dscnt 0x0
	s_barrier_signal -1
	s_barrier_wait -1
	global_wb scope:SCOPE_DEV
	s_wait_storecnt 0x0
	global_inv scope:SCOPE_DEV
	s_and_saveexec_b32 s13, s1
	s_cbranch_execz .LBB146_669
; %bb.666:                              ;   in Loop: Header=BB146_3 Depth=1
	ds_load_b64 v[46:47], v55 offset:11424
	ds_load_b64 v[48:49], v56 offset:11952
	s_wait_dscnt 0x0
	v_pk_mul_f32 v[50:51], v[48:49], v[46:47] op_sel:[1,1] op_sel_hi:[0,1]
	s_delay_alu instid0(VALU_DEP_1) | instskip(SKIP_1) | instid1(VALU_DEP_2)
	v_pk_fma_f32 v[52:53], v[48:49], v[46:47], v[50:51] op_sel_hi:[1,0,1]
	v_pk_fma_f32 v[46:47], v[48:49], v[46:47], v[50:51] neg_lo:[0,0,1] neg_hi:[0,0,1]
	v_mov_b32_e32 v47, v53
	s_delay_alu instid0(VALU_DEP_1)
	v_pk_add_f32 v[46:47], v[46:47], 0 op_sel_hi:[1,0]
	s_and_saveexec_b32 s10, s14
	s_cbranch_execz .LBB146_668
; %bb.667:                              ;   in Loop: Header=BB146_3 Depth=1
	ds_load_b64 v[48:49], v3 offset:11936
	ds_load_b64 v[50:51], v1 offset:11960
	s_wait_dscnt 0x0
	v_pk_mul_f32 v[52:53], v[50:51], v[48:49] op_sel:[1,1] op_sel_hi:[0,1]
	s_delay_alu instid0(VALU_DEP_1) | instskip(SKIP_1) | instid1(VALU_DEP_2)
	v_pk_fma_f32 v[102:103], v[50:51], v[48:49], v[52:53] op_sel_hi:[1,0,1]
	v_pk_fma_f32 v[48:49], v[50:51], v[48:49], v[52:53] neg_lo:[0,0,1] neg_hi:[0,0,1]
	v_mov_b32_e32 v49, v103
	s_delay_alu instid0(VALU_DEP_1)
	v_pk_add_f32 v[46:47], v[46:47], v[48:49]
.LBB146_668:                            ;   in Loop: Header=BB146_3 Depth=1
	s_or_b32 exec_lo, exec_lo, s10
.LBB146_669:                            ;   in Loop: Header=BB146_3 Depth=1
	s_delay_alu instid0(SALU_CYCLE_1)
	s_or_b32 exec_lo, exec_lo, s13
	s_and_saveexec_b32 s10, s89
; %bb.670:                              ;   in Loop: Header=BB146_3 Depth=1
	s_delay_alu instid0(VALU_DEP_1)
	v_pk_add_f32 v[48:49], v[46:47], 0 neg_lo:[1,1] neg_hi:[1,1]
	ds_store_b64 v54, v[48:49]
; %bb.671:                              ;   in Loop: Header=BB146_3 Depth=1
	s_or_b32 exec_lo, exec_lo, s10
	s_wait_loadcnt_dscnt 0x0
	s_barrier_signal -1
	s_barrier_wait -1
	s_and_saveexec_b32 s10, s90
	s_cbranch_execz .LBB146_673
; %bb.672:                              ;   in Loop: Header=BB146_3 Depth=1
	ds_load_b64 v[48:49], v1 offset:10912
	ds_load_b64 v[50:51], v54
	s_wait_dscnt 0x0
	v_pk_mul_f32 v[52:53], v[50:51], v[48:49] op_sel_hi:[1,0]
	s_delay_alu instid0(VALU_DEP_1) | instskip(SKIP_1) | instid1(VALU_DEP_2)
	v_pk_fma_f32 v[102:103], v[50:51], v[48:49], v[52:53] op_sel:[1,1,0] op_sel_hi:[0,1,1]
	v_pk_fma_f32 v[48:49], v[50:51], v[48:49], v[52:53] op_sel:[1,1,0] op_sel_hi:[0,1,1] neg_lo:[0,0,1] neg_hi:[0,0,1]
	v_pk_add_f32 v[50:51], v[46:47], v[102:103] neg_lo:[0,1] neg_hi:[0,1]
	s_delay_alu instid0(VALU_DEP_2) | instskip(NEXT) | instid1(VALU_DEP_2)
	v_pk_add_f32 v[46:47], v[46:47], v[48:49]
	v_mov_b32_e32 v47, v51
.LBB146_673:                            ;   in Loop: Header=BB146_3 Depth=1
	s_or_b32 exec_lo, exec_lo, s10
	s_barrier_signal -1
	s_barrier_wait -1
	s_and_saveexec_b32 s10, s90
; %bb.674:                              ;   in Loop: Header=BB146_3 Depth=1
	v_pk_add_f32 v[48:49], v[46:47], 0 neg_lo:[1,1] neg_hi:[1,1]
	ds_store_b64 v54, v[48:49]
; %bb.675:                              ;   in Loop: Header=BB146_3 Depth=1
	s_or_b32 exec_lo, exec_lo, s10
	s_wait_dscnt 0x0
	s_barrier_signal -1
	s_barrier_wait -1
	s_barrier_signal -1
	s_barrier_wait -1
	s_and_saveexec_b32 s10, s1
; %bb.676:                              ;   in Loop: Header=BB146_3 Depth=1
	ds_store_b64 v58, v[46:47] offset:11936
; %bb.677:                              ;   in Loop: Header=BB146_3 Depth=1
	s_or_b32 exec_lo, exec_lo, s10
	s_wait_dscnt 0x0
	s_barrier_signal -1
	s_barrier_wait -1
	s_barrier_signal -1
	s_barrier_wait -1
	s_and_saveexec_b32 s10, s91
	s_cbranch_execz .LBB146_679
; %bb.678:                              ;   in Loop: Header=BB146_3 Depth=1
	ds_load_b64 v[46:47], v82 offset:11424
	s_wait_dscnt 0x0
	ds_store_b64 v3, v[46:47] offset:10416
	ds_load_b64 v[46:47], v82 offset:11432
	s_wait_dscnt 0x0
	ds_store_b64 v3, v[46:47] offset:10928
.LBB146_679:                            ;   in Loop: Header=BB146_3 Depth=1
	s_or_b32 exec_lo, exec_lo, s10
	s_wait_dscnt 0x0
	s_barrier_signal -1
	s_barrier_wait -1
	s_and_saveexec_b32 s10, s11
	s_cbranch_execz .LBB146_681
; %bb.680:                              ;   in Loop: Header=BB146_3 Depth=1
	ds_load_b64 v[46:47], v1 offset:10912
	v_add_nc_u32_e64 v0, 0x2800, 0
	ds_store_b64 v1, v[38:39] offset:10920
	s_wait_dscnt 0x1
	ds_store_2addr_b64 v0, v[38:39], v[46:47] offset0:20 offset1:21
.LBB146_681:                            ;   in Loop: Header=BB146_3 Depth=1
	s_or_b32 exec_lo, exec_lo, s10
	v_mov_b64_e32 v[46:47], 0
	s_wait_dscnt 0x0
	s_barrier_signal -1
	s_barrier_wait -1
	global_wb scope:SCOPE_DEV
	s_wait_storecnt 0x0
	global_inv scope:SCOPE_DEV
	s_and_saveexec_b32 s13, s3
	s_cbranch_execz .LBB146_687
; %bb.682:                              ;   in Loop: Header=BB146_3 Depth=1
	ds_load_b64 v[46:47], v61 offset:10368
	ds_load_b64 v[48:49], v62 offset:11936
	s_wait_dscnt 0x0
	v_dual_mul_f32 v0, v49, v47 :: v_dual_mul_f32 v35, v48, v47
	s_delay_alu instid0(VALU_DEP_1) | instskip(NEXT) | instid1(VALU_DEP_1)
	v_dual_fma_f32 v0, v48, v46, -v0 :: v_dual_fmac_f32 v35, v49, v46
	v_dual_add_f32 v46, 0, v0 :: v_dual_add_f32 v47, 0, v35
	s_and_saveexec_b32 s10, s15
	s_cbranch_execnz .LBB146_1096
; %bb.683:                              ;   in Loop: Header=BB146_3 Depth=1
	s_or_b32 exec_lo, exec_lo, s10
	s_and_saveexec_b32 s10, s16
	s_cbranch_execnz .LBB146_1097
.LBB146_684:                            ;   in Loop: Header=BB146_3 Depth=1
	s_or_b32 exec_lo, exec_lo, s10
	s_and_saveexec_b32 s10, s1
	s_cbranch_execz .LBB146_686
.LBB146_685:                            ;   in Loop: Header=BB146_3 Depth=1
	ds_load_b64 v[48:49], v83 offset:11904
	ds_load_b64 v[50:51], v1 offset:11960
	s_wait_dscnt 0x0
	v_pk_mul_f32 v[52:53], v[50:51], v[48:49] op_sel:[1,1] op_sel_hi:[0,1]
	s_delay_alu instid0(VALU_DEP_1) | instskip(SKIP_1) | instid1(VALU_DEP_2)
	v_pk_fma_f32 v[102:103], v[50:51], v[48:49], v[52:53] op_sel_hi:[1,0,1]
	v_pk_fma_f32 v[48:49], v[50:51], v[48:49], v[52:53] neg_lo:[0,0,1] neg_hi:[0,0,1]
	v_mov_b32_e32 v49, v103
	s_delay_alu instid0(VALU_DEP_1)
	v_pk_add_f32 v[46:47], v[46:47], v[48:49]
.LBB146_686:                            ;   in Loop: Header=BB146_3 Depth=1
	s_or_b32 exec_lo, exec_lo, s10
.LBB146_687:                            ;   in Loop: Header=BB146_3 Depth=1
	s_delay_alu instid0(SALU_CYCLE_1)
	s_or_b32 exec_lo, exec_lo, s13
	s_and_saveexec_b32 s10, s92
; %bb.688:                              ;   in Loop: Header=BB146_3 Depth=1
	s_delay_alu instid0(VALU_DEP_1)
	v_pk_add_f32 v[48:49], v[46:47], 0 neg_lo:[1,1] neg_hi:[1,1]
	ds_store_b64 v60, v[48:49]
; %bb.689:                              ;   in Loop: Header=BB146_3 Depth=1
	s_or_b32 exec_lo, exec_lo, s10
	s_wait_loadcnt_dscnt 0x0
	s_barrier_signal -1
	s_barrier_wait -1
	s_and_saveexec_b32 s10, s93
	s_cbranch_execz .LBB146_691
; %bb.690:                              ;   in Loop: Header=BB146_3 Depth=1
	ds_load_b64 v[48:49], v61 offset:9856
	ds_load_b64 v[50:51], v60
	s_wait_dscnt 0x0
	v_pk_mul_f32 v[52:53], v[50:51], v[48:49] op_sel:[1,1] op_sel_hi:[0,1]
	s_delay_alu instid0(VALU_DEP_1) | instskip(SKIP_1) | instid1(VALU_DEP_2)
	v_pk_fma_f32 v[102:103], v[50:51], v[48:49], v[52:53] op_sel_hi:[1,0,1]
	v_pk_fma_f32 v[48:49], v[50:51], v[48:49], v[52:53] neg_lo:[0,0,1] neg_hi:[0,0,1]
	v_mov_b32_e32 v49, v103
	s_delay_alu instid0(VALU_DEP_1)
	v_pk_add_f32 v[46:47], v[46:47], v[48:49] neg_lo:[0,1] neg_hi:[0,1]
.LBB146_691:                            ;   in Loop: Header=BB146_3 Depth=1
	s_or_b32 exec_lo, exec_lo, s10
	s_barrier_signal -1
	s_barrier_wait -1
	s_and_saveexec_b32 s10, s94
; %bb.692:                              ;   in Loop: Header=BB146_3 Depth=1
	v_pk_add_f32 v[48:49], v[46:47], 0 neg_lo:[1,1] neg_hi:[1,1]
	ds_store_b64 v60, v[48:49]
; %bb.693:                              ;   in Loop: Header=BB146_3 Depth=1
	s_or_b32 exec_lo, exec_lo, s10
	s_wait_dscnt 0x0
	s_barrier_signal -1
	s_barrier_wait -1
	s_and_saveexec_b32 s10, s95
	s_cbranch_execz .LBB146_695
; %bb.694:                              ;   in Loop: Header=BB146_3 Depth=1
	ds_load_b64 v[48:49], v61 offset:9344
	ds_load_b64 v[50:51], v60
	s_wait_dscnt 0x0
	v_pk_mul_f32 v[52:53], v[50:51], v[48:49] op_sel:[1,1] op_sel_hi:[0,1]
	s_delay_alu instid0(VALU_DEP_1) | instskip(SKIP_1) | instid1(VALU_DEP_2)
	v_pk_fma_f32 v[102:103], v[50:51], v[48:49], v[52:53] op_sel_hi:[1,0,1]
	v_pk_fma_f32 v[48:49], v[50:51], v[48:49], v[52:53] neg_lo:[0,0,1] neg_hi:[0,0,1]
	v_mov_b32_e32 v49, v103
	s_delay_alu instid0(VALU_DEP_1)
	v_pk_add_f32 v[46:47], v[46:47], v[48:49] neg_lo:[0,1] neg_hi:[0,1]
.LBB146_695:                            ;   in Loop: Header=BB146_3 Depth=1
	s_or_b32 exec_lo, exec_lo, s10
	s_barrier_signal -1
	s_barrier_wait -1
	s_and_saveexec_b32 s10, s96
; %bb.696:                              ;   in Loop: Header=BB146_3 Depth=1
	v_pk_add_f32 v[48:49], v[46:47], 0 neg_lo:[1,1] neg_hi:[1,1]
	ds_store_b64 v60, v[48:49]
; %bb.697:                              ;   in Loop: Header=BB146_3 Depth=1
	s_or_b32 exec_lo, exec_lo, s10
	s_wait_dscnt 0x0
	;; [unrolled: 26-line block ×3, first 2 shown]
	s_barrier_signal -1
	s_barrier_wait -1
	s_barrier_signal -1
	s_barrier_wait -1
	s_and_saveexec_b32 s10, s3
; %bb.702:                              ;   in Loop: Header=BB146_3 Depth=1
	ds_store_b64 v64, v[46:47] offset:11904
; %bb.703:                              ;   in Loop: Header=BB146_3 Depth=1
	s_or_b32 exec_lo, exec_lo, s10
	s_wait_dscnt 0x0
	s_barrier_signal -1
	s_barrier_wait -1
	s_barrier_signal -1
	s_barrier_wait -1
	s_and_saveexec_b32 s10, s98
	s_cbranch_execz .LBB146_705
; %bb.704:                              ;   in Loop: Header=BB146_3 Depth=1
	ds_load_b64 v[46:47], v84 offset:10368
	s_wait_dscnt 0x0
	ds_store_b64 v86, v[46:47] offset:8352
	ds_load_b64 v[46:47], v84 offset:10376
	s_wait_dscnt 0x0
	ds_store_b64 v86, v[46:47] offset:8864
	;; [unrolled: 3-line block ×4, first 2 shown]
.LBB146_705:                            ;   in Loop: Header=BB146_3 Depth=1
	s_or_b32 exec_lo, exec_lo, s10
	s_wait_dscnt 0x0
	s_barrier_signal -1
	s_barrier_wait -1
	s_and_saveexec_b32 s10, s11
	s_cbranch_execz .LBB146_707
; %bb.706:                              ;   in Loop: Header=BB146_3 Depth=1
	ds_load_b64 v[46:47], v1 offset:9872
	v_add_nc_u32_e64 v0, 0x2000, 0
	ds_store_b64 v1, v[38:39] offset:9880
	s_wait_dscnt 0x1
	ds_store_2addr_b64 v0, v[38:39], v[46:47] offset0:146 offset1:147
.LBB146_707:                            ;   in Loop: Header=BB146_3 Depth=1
	s_or_b32 exec_lo, exec_lo, s10
	v_dual_mov_b32 v46, 0 :: v_dual_mov_b32 v47, 0
	s_wait_dscnt 0x0
	s_barrier_signal -1
	s_barrier_wait -1
	global_wb scope:SCOPE_DEV
	s_wait_storecnt 0x0
	global_inv scope:SCOPE_DEV
	s_and_saveexec_b32 s13, s1
	s_cbranch_execz .LBB146_711
; %bb.708:                              ;   in Loop: Header=BB146_3 Depth=1
	ds_load_b64 v[46:47], v55 offset:9344
	ds_load_b64 v[48:49], v56 offset:9872
	s_wait_dscnt 0x0
	v_pk_mul_f32 v[50:51], v[48:49], v[46:47] op_sel:[1,1] op_sel_hi:[0,1]
	s_delay_alu instid0(VALU_DEP_1) | instskip(SKIP_1) | instid1(VALU_DEP_2)
	v_pk_fma_f32 v[52:53], v[48:49], v[46:47], v[50:51] op_sel_hi:[1,0,1]
	v_pk_fma_f32 v[46:47], v[48:49], v[46:47], v[50:51] neg_lo:[0,0,1] neg_hi:[0,0,1]
	v_mov_b32_e32 v47, v53
	s_delay_alu instid0(VALU_DEP_1)
	v_pk_add_f32 v[46:47], v[46:47], 0 op_sel_hi:[1,0]
	s_and_saveexec_b32 s10, s14
	s_cbranch_execz .LBB146_710
; %bb.709:                              ;   in Loop: Header=BB146_3 Depth=1
	ds_load_b64 v[48:49], v86 offset:9856
	ds_load_b64 v[50:51], v1 offset:9880
	s_wait_dscnt 0x0
	v_pk_mul_f32 v[52:53], v[50:51], v[48:49] op_sel:[1,1] op_sel_hi:[0,1]
	s_delay_alu instid0(VALU_DEP_1) | instskip(SKIP_1) | instid1(VALU_DEP_2)
	v_pk_fma_f32 v[102:103], v[50:51], v[48:49], v[52:53] op_sel_hi:[1,0,1]
	v_pk_fma_f32 v[48:49], v[50:51], v[48:49], v[52:53] neg_lo:[0,0,1] neg_hi:[0,0,1]
	v_mov_b32_e32 v49, v103
	s_delay_alu instid0(VALU_DEP_1)
	v_pk_add_f32 v[46:47], v[46:47], v[48:49]
.LBB146_710:                            ;   in Loop: Header=BB146_3 Depth=1
	s_or_b32 exec_lo, exec_lo, s10
.LBB146_711:                            ;   in Loop: Header=BB146_3 Depth=1
	s_delay_alu instid0(SALU_CYCLE_1)
	s_or_b32 exec_lo, exec_lo, s13
	s_and_saveexec_b32 s10, s89
; %bb.712:                              ;   in Loop: Header=BB146_3 Depth=1
	s_delay_alu instid0(VALU_DEP_1)
	v_pk_add_f32 v[48:49], v[46:47], 0 neg_lo:[1,1] neg_hi:[1,1]
	ds_store_b64 v54, v[48:49]
; %bb.713:                              ;   in Loop: Header=BB146_3 Depth=1
	s_or_b32 exec_lo, exec_lo, s10
	s_wait_loadcnt_dscnt 0x0
	s_barrier_signal -1
	s_barrier_wait -1
	s_and_saveexec_b32 s10, s90
	s_cbranch_execz .LBB146_715
; %bb.714:                              ;   in Loop: Header=BB146_3 Depth=1
	ds_load_b64 v[48:49], v1 offset:8832
	ds_load_b64 v[50:51], v54
	s_wait_dscnt 0x0
	v_pk_mul_f32 v[52:53], v[50:51], v[48:49] op_sel_hi:[1,0]
	s_delay_alu instid0(VALU_DEP_1) | instskip(SKIP_1) | instid1(VALU_DEP_2)
	v_pk_fma_f32 v[102:103], v[50:51], v[48:49], v[52:53] op_sel:[1,1,0] op_sel_hi:[0,1,1]
	v_pk_fma_f32 v[48:49], v[50:51], v[48:49], v[52:53] op_sel:[1,1,0] op_sel_hi:[0,1,1] neg_lo:[0,0,1] neg_hi:[0,0,1]
	v_pk_add_f32 v[50:51], v[46:47], v[102:103] neg_lo:[0,1] neg_hi:[0,1]
	s_delay_alu instid0(VALU_DEP_2) | instskip(NEXT) | instid1(VALU_DEP_2)
	v_pk_add_f32 v[46:47], v[46:47], v[48:49]
	v_mov_b32_e32 v47, v51
.LBB146_715:                            ;   in Loop: Header=BB146_3 Depth=1
	s_or_b32 exec_lo, exec_lo, s10
	s_barrier_signal -1
	s_barrier_wait -1
	s_and_saveexec_b32 s10, s90
; %bb.716:                              ;   in Loop: Header=BB146_3 Depth=1
	v_pk_add_f32 v[48:49], v[46:47], 0 neg_lo:[1,1] neg_hi:[1,1]
	ds_store_b64 v54, v[48:49]
; %bb.717:                              ;   in Loop: Header=BB146_3 Depth=1
	s_or_b32 exec_lo, exec_lo, s10
	s_wait_dscnt 0x0
	s_barrier_signal -1
	s_barrier_wait -1
	s_barrier_signal -1
	s_barrier_wait -1
	s_and_saveexec_b32 s10, s1
; %bb.718:                              ;   in Loop: Header=BB146_3 Depth=1
	ds_store_b64 v58, v[46:47] offset:9856
; %bb.719:                              ;   in Loop: Header=BB146_3 Depth=1
	s_or_b32 exec_lo, exec_lo, s10
	s_wait_dscnt 0x0
	s_barrier_signal -1
	s_barrier_wait -1
	s_barrier_signal -1
	s_barrier_wait -1
	s_and_saveexec_b32 s10, s91
	s_cbranch_execz .LBB146_721
; %bb.720:                              ;   in Loop: Header=BB146_3 Depth=1
	ds_load_b64 v[46:47], v89 offset:9344
	s_wait_dscnt 0x0
	ds_store_b64 v86, v[46:47] offset:8336
	ds_load_b64 v[46:47], v89 offset:9352
	s_wait_dscnt 0x0
	ds_store_b64 v86, v[46:47] offset:8848
.LBB146_721:                            ;   in Loop: Header=BB146_3 Depth=1
	s_or_b32 exec_lo, exec_lo, s10
	s_wait_dscnt 0x0
	s_barrier_signal -1
	s_barrier_wait -1
	s_and_saveexec_b32 s10, s11
	s_cbranch_execz .LBB146_723
; %bb.722:                              ;   in Loop: Header=BB146_3 Depth=1
	ds_load_b64 v[46:47], v1 offset:8832
	v_add_nc_u32_e64 v0, 0x2000, 0
	ds_store_b64 v1, v[38:39] offset:8840
	s_wait_dscnt 0x1
	ds_store_2addr_b64 v0, v[38:39], v[46:47] offset0:16 offset1:17
.LBB146_723:                            ;   in Loop: Header=BB146_3 Depth=1
	s_or_b32 exec_lo, exec_lo, s10
	v_mov_b64_e32 v[46:47], 0
	s_wait_dscnt 0x0
	s_barrier_signal -1
	s_barrier_wait -1
	global_wb scope:SCOPE_DEV
	s_wait_storecnt 0x0
	global_inv scope:SCOPE_DEV
	s_and_saveexec_b32 s62, s5
	s_cbranch_execz .LBB146_751
; %bb.724:                              ;   in Loop: Header=BB146_3 Depth=1
	ds_load_b64 v[46:47], v71 offset:8192
	ds_load_b64 v[48:49], v72 offset:16000
	s_wait_dscnt 0x0
	v_dual_mul_f32 v0, v49, v47 :: v_dual_mul_f32 v35, v48, v47
	s_delay_alu instid0(VALU_DEP_1) | instskip(NEXT) | instid1(VALU_DEP_1)
	v_dual_fma_f32 v0, v48, v46, -v0 :: v_dual_fmac_f32 v35, v49, v46
	v_dual_add_f32 v46, 0, v0 :: v_dual_add_f32 v47, 0, v35
	s_mov_b32 s10, exec_lo
	v_readlane_b32 s13, v111, 21
	s_and_b32 s13, s10, s13
	s_delay_alu instid0(SALU_CYCLE_1)
	s_mov_b32 exec_lo, s13
	s_cbranch_execz .LBB146_726
; %bb.725:                              ;   in Loop: Header=BB146_3 Depth=1
	ds_load_b64 v[48:49], v71 offset:8704
	ds_load_b64 v[50:51], v72 offset:16008
	s_wait_dscnt 0x0
	v_dual_mul_f32 v0, v51, v49 :: v_dual_mul_f32 v35, v50, v49
	s_delay_alu instid0(VALU_DEP_1) | instskip(NEXT) | instid1(VALU_DEP_1)
	v_dual_fma_f32 v0, v50, v48, -v0 :: v_dual_fmac_f32 v35, v51, v48
	v_dual_add_f32 v46, v46, v0 :: v_dual_add_f32 v47, v47, v35
.LBB146_726:                            ;   in Loop: Header=BB146_3 Depth=1
	s_or_b32 exec_lo, exec_lo, s10
	s_delay_alu instid0(SALU_CYCLE_1) | instskip(SKIP_2) | instid1(SALU_CYCLE_1)
	s_mov_b32 s10, exec_lo
	v_readlane_b32 s13, v111, 22
	s_and_b32 s13, s10, s13
	s_mov_b32 exec_lo, s13
	s_cbranch_execz .LBB146_728
; %bb.727:                              ;   in Loop: Header=BB146_3 Depth=1
	ds_load_b64 v[48:49], v71 offset:9216
	ds_load_b64 v[50:51], v72 offset:16016
	s_wait_dscnt 0x0
	v_dual_mul_f32 v0, v51, v49 :: v_dual_mul_f32 v35, v50, v49
	s_delay_alu instid0(VALU_DEP_1) | instskip(NEXT) | instid1(VALU_DEP_1)
	v_dual_fma_f32 v0, v50, v48, -v0 :: v_dual_fmac_f32 v35, v51, v48
	v_dual_add_f32 v46, v46, v0 :: v_dual_add_f32 v47, v47, v35
.LBB146_728:                            ;   in Loop: Header=BB146_3 Depth=1
	s_or_b32 exec_lo, exec_lo, s10
	s_delay_alu instid0(SALU_CYCLE_1) | instskip(SKIP_2) | instid1(SALU_CYCLE_1)
	s_mov_b32 s10, exec_lo
	v_readlane_b32 s13, v111, 23
	s_and_b32 s13, s10, s13
	;; [unrolled: 16-line block ×10, first 2 shown]
	s_mov_b32 exec_lo, s13
	s_cbranch_execnz .LBB146_1098
; %bb.745:                              ;   in Loop: Header=BB146_3 Depth=1
	s_or_b32 exec_lo, exec_lo, s10
	s_and_saveexec_b32 s10, s4
	s_cbranch_execnz .LBB146_1099
.LBB146_746:                            ;   in Loop: Header=BB146_3 Depth=1
	s_or_b32 exec_lo, exec_lo, s10
	s_and_saveexec_b32 s10, s19
	s_cbranch_execnz .LBB146_1100
.LBB146_747:                            ;   in Loop: Header=BB146_3 Depth=1
	s_or_b32 exec_lo, exec_lo, s10
	s_and_saveexec_b32 s10, s21
	s_cbranch_execnz .LBB146_1101
.LBB146_748:                            ;   in Loop: Header=BB146_3 Depth=1
	s_or_b32 exec_lo, exec_lo, s10
	s_and_saveexec_b32 s10, s3
	s_cbranch_execz .LBB146_750
.LBB146_749:                            ;   in Loop: Header=BB146_3 Depth=1
	ds_load_b64 v[48:49], v57 offset:15872
	ds_load_b64 v[50:51], v1 offset:16120
	s_wait_dscnt 0x0
	v_pk_mul_f32 v[52:53], v[50:51], v[48:49] op_sel:[1,1] op_sel_hi:[0,1]
	s_delay_alu instid0(VALU_DEP_1) | instskip(SKIP_1) | instid1(VALU_DEP_2)
	v_pk_fma_f32 v[102:103], v[50:51], v[48:49], v[52:53] op_sel_hi:[1,0,1]
	v_pk_fma_f32 v[48:49], v[50:51], v[48:49], v[52:53] neg_lo:[0,0,1] neg_hi:[0,0,1]
	v_mov_b32_e32 v49, v103
	s_delay_alu instid0(VALU_DEP_1)
	v_pk_add_f32 v[46:47], v[46:47], v[48:49]
.LBB146_750:                            ;   in Loop: Header=BB146_3 Depth=1
	s_or_b32 exec_lo, exec_lo, s10
.LBB146_751:                            ;   in Loop: Header=BB146_3 Depth=1
	s_delay_alu instid0(SALU_CYCLE_1) | instskip(NEXT) | instid1(SALU_CYCLE_1)
	s_or_b32 exec_lo, exec_lo, s62
	s_mov_b32 s10, exec_lo
	v_readlane_b32 s13, v111, 1
	s_and_b32 s13, s10, s13
	s_delay_alu instid0(SALU_CYCLE_1)
	s_mov_b32 exec_lo, s13
; %bb.752:                              ;   in Loop: Header=BB146_3 Depth=1
	v_pk_add_f32 v[48:49], v[46:47], 0 neg_lo:[1,1] neg_hi:[1,1]
	ds_store_b64 v70, v[48:49]
; %bb.753:                              ;   in Loop: Header=BB146_3 Depth=1
	s_or_b32 exec_lo, exec_lo, s10
	s_wait_loadcnt_dscnt 0x0
	s_barrier_signal -1
	s_barrier_wait -1
	s_mov_b32 s10, exec_lo
	v_readlane_b32 s13, v111, 2
	s_and_b32 s13, s10, s13
	s_delay_alu instid0(SALU_CYCLE_1)
	s_mov_b32 exec_lo, s13
	s_cbranch_execz .LBB146_755
; %bb.754:                              ;   in Loop: Header=BB146_3 Depth=1
	ds_load_b64 v[48:49], v71 offset:7680
	ds_load_b64 v[50:51], v70
	s_wait_dscnt 0x0
	v_pk_mul_f32 v[52:53], v[50:51], v[48:49] op_sel:[1,1] op_sel_hi:[0,1]
	s_delay_alu instid0(VALU_DEP_1) | instskip(SKIP_1) | instid1(VALU_DEP_2)
	v_pk_fma_f32 v[102:103], v[50:51], v[48:49], v[52:53] op_sel_hi:[1,0,1]
	v_pk_fma_f32 v[48:49], v[50:51], v[48:49], v[52:53] neg_lo:[0,0,1] neg_hi:[0,0,1]
	v_mov_b32_e32 v49, v103
	s_delay_alu instid0(VALU_DEP_1)
	v_pk_add_f32 v[46:47], v[46:47], v[48:49] neg_lo:[0,1] neg_hi:[0,1]
.LBB146_755:                            ;   in Loop: Header=BB146_3 Depth=1
	s_or_b32 exec_lo, exec_lo, s10
	s_barrier_signal -1
	s_barrier_wait -1
	s_mov_b32 s10, exec_lo
	v_readlane_b32 s13, v111, 3
	s_and_b32 s13, s10, s13
	s_delay_alu instid0(SALU_CYCLE_1)
	s_mov_b32 exec_lo, s13
; %bb.756:                              ;   in Loop: Header=BB146_3 Depth=1
	v_pk_add_f32 v[48:49], v[46:47], 0 neg_lo:[1,1] neg_hi:[1,1]
	ds_store_b64 v70, v[48:49]
; %bb.757:                              ;   in Loop: Header=BB146_3 Depth=1
	s_or_b32 exec_lo, exec_lo, s10
	s_wait_dscnt 0x0
	s_barrier_signal -1
	s_barrier_wait -1
	s_mov_b32 s10, exec_lo
	v_readlane_b32 s13, v111, 4
	s_and_b32 s13, s10, s13
	s_delay_alu instid0(SALU_CYCLE_1)
	s_mov_b32 exec_lo, s13
	s_cbranch_execz .LBB146_759
; %bb.758:                              ;   in Loop: Header=BB146_3 Depth=1
	ds_load_b64 v[48:49], v71 offset:7168
	ds_load_b64 v[50:51], v70
	s_wait_dscnt 0x0
	v_pk_mul_f32 v[52:53], v[50:51], v[48:49] op_sel:[1,1] op_sel_hi:[0,1]
	s_delay_alu instid0(VALU_DEP_1) | instskip(SKIP_1) | instid1(VALU_DEP_2)
	v_pk_fma_f32 v[102:103], v[50:51], v[48:49], v[52:53] op_sel_hi:[1,0,1]
	v_pk_fma_f32 v[48:49], v[50:51], v[48:49], v[52:53] neg_lo:[0,0,1] neg_hi:[0,0,1]
	v_mov_b32_e32 v49, v103
	s_delay_alu instid0(VALU_DEP_1)
	v_pk_add_f32 v[46:47], v[46:47], v[48:49] neg_lo:[0,1] neg_hi:[0,1]
.LBB146_759:                            ;   in Loop: Header=BB146_3 Depth=1
	s_or_b32 exec_lo, exec_lo, s10
	s_barrier_signal -1
	s_barrier_wait -1
	s_mov_b32 s10, exec_lo
	v_readlane_b32 s13, v111, 5
	s_and_b32 s13, s10, s13
	s_delay_alu instid0(SALU_CYCLE_1)
	s_mov_b32 exec_lo, s13
; %bb.760:                              ;   in Loop: Header=BB146_3 Depth=1
	v_pk_add_f32 v[48:49], v[46:47], 0 neg_lo:[1,1] neg_hi:[1,1]
	ds_store_b64 v70, v[48:49]
; %bb.761:                              ;   in Loop: Header=BB146_3 Depth=1
	s_or_b32 exec_lo, exec_lo, s10
	s_wait_dscnt 0x0
	;; [unrolled: 34-line block ×3, first 2 shown]
	s_barrier_signal -1
	s_barrier_wait -1
	s_and_saveexec_b32 s10, s54
	s_cbranch_execz .LBB146_767
; %bb.766:                              ;   in Loop: Header=BB146_3 Depth=1
	ds_load_b64 v[48:49], v71 offset:6144
	ds_load_b64 v[50:51], v70
	s_wait_dscnt 0x0
	v_dual_mul_f32 v0, v51, v49 :: v_dual_mul_f32 v35, v50, v49
	s_delay_alu instid0(VALU_DEP_1) | instskip(NEXT) | instid1(VALU_DEP_1)
	v_dual_fma_f32 v0, v50, v48, -v0 :: v_dual_fmac_f32 v35, v51, v48
	v_dual_sub_f32 v46, v46, v0 :: v_dual_sub_f32 v47, v47, v35
.LBB146_767:                            ;   in Loop: Header=BB146_3 Depth=1
	s_or_b32 exec_lo, exec_lo, s10
	s_barrier_signal -1
	s_barrier_wait -1
	s_and_saveexec_b32 s10, s55
; %bb.768:                              ;   in Loop: Header=BB146_3 Depth=1
	v_pk_add_f32 v[48:49], v[46:47], 0 neg_lo:[1,1] neg_hi:[1,1]
	ds_store_b64 v70, v[48:49]
; %bb.769:                              ;   in Loop: Header=BB146_3 Depth=1
	s_or_b32 exec_lo, exec_lo, s10
	s_wait_dscnt 0x0
	s_barrier_signal -1
	s_barrier_wait -1
	s_and_saveexec_b32 s10, s56
	s_cbranch_execz .LBB146_771
; %bb.770:                              ;   in Loop: Header=BB146_3 Depth=1
	ds_load_b64 v[48:49], v71 offset:5632
	ds_load_b64 v[50:51], v70
	s_wait_dscnt 0x0
	v_dual_mul_f32 v0, v51, v49 :: v_dual_mul_f32 v53, v50, v49
	s_delay_alu instid0(VALU_DEP_1) | instskip(NEXT) | instid1(VALU_DEP_1)
	v_dual_fma_f32 v52, v50, v48, -v0 :: v_dual_fmac_f32 v53, v51, v48
	v_pk_add_f32 v[46:47], v[46:47], v[52:53] neg_lo:[0,1] neg_hi:[0,1]
.LBB146_771:                            ;   in Loop: Header=BB146_3 Depth=1
	s_or_b32 exec_lo, exec_lo, s10
	s_barrier_signal -1
	s_barrier_wait -1
	s_and_saveexec_b32 s10, s57
; %bb.772:                              ;   in Loop: Header=BB146_3 Depth=1
	v_pk_add_f32 v[48:49], v[46:47], 0 neg_lo:[1,1] neg_hi:[1,1]
	ds_store_b64 v70, v[48:49]
; %bb.773:                              ;   in Loop: Header=BB146_3 Depth=1
	s_or_b32 exec_lo, exec_lo, s10
	s_wait_dscnt 0x0
	s_barrier_signal -1
	s_barrier_wait -1
	s_and_saveexec_b32 s10, s58
	s_cbranch_execz .LBB146_775
; %bb.774:                              ;   in Loop: Header=BB146_3 Depth=1
	ds_load_b64 v[48:49], v71 offset:5120
	ds_load_b64 v[50:51], v70
	s_wait_dscnt 0x0
	v_pk_mul_f32 v[52:53], v[50:51], v[48:49] op_sel:[1,1] op_sel_hi:[0,1]
	s_delay_alu instid0(VALU_DEP_1) | instskip(SKIP_1) | instid1(VALU_DEP_2)
	v_pk_fma_f32 v[102:103], v[50:51], v[48:49], v[52:53] op_sel_hi:[1,0,1]
	v_pk_fma_f32 v[48:49], v[50:51], v[48:49], v[52:53] neg_lo:[0,0,1] neg_hi:[0,0,1]
	v_mov_b32_e32 v49, v103
	s_delay_alu instid0(VALU_DEP_1)
	v_pk_add_f32 v[46:47], v[46:47], v[48:49] neg_lo:[0,1] neg_hi:[0,1]
.LBB146_775:                            ;   in Loop: Header=BB146_3 Depth=1
	s_or_b32 exec_lo, exec_lo, s10
	s_barrier_signal -1
	s_barrier_wait -1
	s_and_saveexec_b32 s10, s59
; %bb.776:                              ;   in Loop: Header=BB146_3 Depth=1
	v_pk_add_f32 v[48:49], v[46:47], 0 neg_lo:[1,1] neg_hi:[1,1]
	ds_store_b64 v70, v[48:49]
; %bb.777:                              ;   in Loop: Header=BB146_3 Depth=1
	s_or_b32 exec_lo, exec_lo, s10
	s_wait_dscnt 0x0
	s_barrier_signal -1
	s_barrier_wait -1
	s_and_saveexec_b32 s10, s60
	s_cbranch_execz .LBB146_779
; %bb.778:                              ;   in Loop: Header=BB146_3 Depth=1
	ds_load_b64 v[48:49], v71 offset:4608
	ds_load_b64 v[50:51], v70
	s_wait_dscnt 0x0
	v_pk_mul_f32 v[52:53], v[50:51], v[48:49] op_sel:[1,1] op_sel_hi:[0,1]
	s_delay_alu instid0(VALU_DEP_1) | instskip(SKIP_1) | instid1(VALU_DEP_2)
	v_pk_fma_f32 v[102:103], v[50:51], v[48:49], v[52:53] op_sel_hi:[1,0,1]
	v_pk_fma_f32 v[48:49], v[50:51], v[48:49], v[52:53] neg_lo:[0,0,1] neg_hi:[0,0,1]
	v_mov_b32_e32 v49, v103
	s_delay_alu instid0(VALU_DEP_1)
	v_pk_add_f32 v[46:47], v[46:47], v[48:49] neg_lo:[0,1] neg_hi:[0,1]
.LBB146_779:                            ;   in Loop: Header=BB146_3 Depth=1
	;; [unrolled: 26-line block ×4, first 2 shown]
	s_or_b32 exec_lo, exec_lo, s10
	s_barrier_signal -1
	s_barrier_wait -1
	s_and_saveexec_b32 s10, s27
; %bb.788:                              ;   in Loop: Header=BB146_3 Depth=1
	v_pk_add_f32 v[48:49], v[46:47], 0 neg_lo:[1,1] neg_hi:[1,1]
	ds_store_b64 v70, v[48:49]
; %bb.789:                              ;   in Loop: Header=BB146_3 Depth=1
	s_or_b32 exec_lo, exec_lo, s10
	s_wait_dscnt 0x0
	s_barrier_signal -1
	s_barrier_wait -1
	s_and_saveexec_b32 s10, s29
	s_cbranch_execz .LBB146_791
; %bb.790:                              ;   in Loop: Header=BB146_3 Depth=1
	ds_load_b64 v[48:49], v71 offset:3072
	ds_load_b64 v[50:51], v70
	s_wait_dscnt 0x0
	v_dual_mul_f32 v0, v51, v49 :: v_dual_mul_f32 v35, v50, v49
	s_delay_alu instid0(VALU_DEP_1) | instskip(NEXT) | instid1(VALU_DEP_1)
	v_dual_fma_f32 v0, v50, v48, -v0 :: v_dual_fmac_f32 v35, v51, v48
	v_dual_sub_f32 v46, v46, v0 :: v_dual_sub_f32 v47, v47, v35
.LBB146_791:                            ;   in Loop: Header=BB146_3 Depth=1
	s_or_b32 exec_lo, exec_lo, s10
	s_barrier_signal -1
	s_barrier_wait -1
	s_and_saveexec_b32 s10, s31
; %bb.792:                              ;   in Loop: Header=BB146_3 Depth=1
	v_pk_add_f32 v[48:49], v[46:47], 0 neg_lo:[1,1] neg_hi:[1,1]
	ds_store_b64 v70, v[48:49]
; %bb.793:                              ;   in Loop: Header=BB146_3 Depth=1
	s_or_b32 exec_lo, exec_lo, s10
	s_wait_dscnt 0x0
	s_barrier_signal -1
	s_barrier_wait -1
	s_and_saveexec_b32 s10, s34
	s_cbranch_execz .LBB146_795
; %bb.794:                              ;   in Loop: Header=BB146_3 Depth=1
	ds_load_b64 v[48:49], v71 offset:2560
	ds_load_b64 v[50:51], v70
	s_wait_dscnt 0x0
	v_dual_mul_f32 v0, v51, v49 :: v_dual_mul_f32 v53, v50, v49
	s_delay_alu instid0(VALU_DEP_1) | instskip(NEXT) | instid1(VALU_DEP_1)
	v_dual_fma_f32 v52, v50, v48, -v0 :: v_dual_fmac_f32 v53, v51, v48
	v_pk_add_f32 v[46:47], v[46:47], v[52:53] neg_lo:[0,1] neg_hi:[0,1]
.LBB146_795:                            ;   in Loop: Header=BB146_3 Depth=1
	s_or_b32 exec_lo, exec_lo, s10
	s_barrier_signal -1
	s_barrier_wait -1
	s_and_saveexec_b32 s10, s46
; %bb.796:                              ;   in Loop: Header=BB146_3 Depth=1
	v_pk_add_f32 v[48:49], v[46:47], 0 neg_lo:[1,1] neg_hi:[1,1]
	ds_store_b64 v70, v[48:49]
; %bb.797:                              ;   in Loop: Header=BB146_3 Depth=1
	s_or_b32 exec_lo, exec_lo, s10
	s_wait_dscnt 0x0
	s_barrier_signal -1
	s_barrier_wait -1
	s_and_saveexec_b32 s10, s24
	s_cbranch_execz .LBB146_799
; %bb.798:                              ;   in Loop: Header=BB146_3 Depth=1
	ds_load_b64 v[48:49], v71 offset:2048
	ds_load_b64 v[50:51], v70
	s_wait_dscnt 0x0
	v_pk_mul_f32 v[52:53], v[50:51], v[48:49] op_sel:[1,1] op_sel_hi:[0,1]
	s_delay_alu instid0(VALU_DEP_1) | instskip(SKIP_1) | instid1(VALU_DEP_2)
	v_pk_fma_f32 v[102:103], v[50:51], v[48:49], v[52:53] op_sel_hi:[1,0,1]
	v_pk_fma_f32 v[48:49], v[50:51], v[48:49], v[52:53] neg_lo:[0,0,1] neg_hi:[0,0,1]
	v_mov_b32_e32 v49, v103
	s_delay_alu instid0(VALU_DEP_1)
	v_pk_add_f32 v[46:47], v[46:47], v[48:49] neg_lo:[0,1] neg_hi:[0,1]
.LBB146_799:                            ;   in Loop: Header=BB146_3 Depth=1
	s_or_b32 exec_lo, exec_lo, s10
	s_barrier_signal -1
	s_barrier_wait -1
	s_and_saveexec_b32 s10, s26
; %bb.800:                              ;   in Loop: Header=BB146_3 Depth=1
	v_pk_add_f32 v[48:49], v[46:47], 0 neg_lo:[1,1] neg_hi:[1,1]
	ds_store_b64 v70, v[48:49]
; %bb.801:                              ;   in Loop: Header=BB146_3 Depth=1
	s_or_b32 exec_lo, exec_lo, s10
	s_wait_dscnt 0x0
	s_barrier_signal -1
	s_barrier_wait -1
	s_and_saveexec_b32 s10, s28
	s_cbranch_execz .LBB146_803
; %bb.802:                              ;   in Loop: Header=BB146_3 Depth=1
	ds_load_b64 v[48:49], v71 offset:1536
	ds_load_b64 v[50:51], v70
	s_wait_dscnt 0x0
	v_pk_mul_f32 v[52:53], v[50:51], v[48:49] op_sel:[1,1] op_sel_hi:[0,1]
	s_delay_alu instid0(VALU_DEP_1) | instskip(SKIP_1) | instid1(VALU_DEP_2)
	v_pk_fma_f32 v[102:103], v[50:51], v[48:49], v[52:53] op_sel_hi:[1,0,1]
	v_pk_fma_f32 v[48:49], v[50:51], v[48:49], v[52:53] neg_lo:[0,0,1] neg_hi:[0,0,1]
	v_mov_b32_e32 v49, v103
	s_delay_alu instid0(VALU_DEP_1)
	v_pk_add_f32 v[46:47], v[46:47], v[48:49] neg_lo:[0,1] neg_hi:[0,1]
.LBB146_803:                            ;   in Loop: Header=BB146_3 Depth=1
	;; [unrolled: 26-line block ×4, first 2 shown]
	s_or_b32 exec_lo, exec_lo, s10
	s_barrier_signal -1
	s_barrier_wait -1
	s_and_saveexec_b32 s10, s47
; %bb.812:                              ;   in Loop: Header=BB146_3 Depth=1
	v_pk_add_f32 v[48:49], v[46:47], 0 neg_lo:[1,1] neg_hi:[1,1]
	ds_store_b64 v70, v[48:49]
; %bb.813:                              ;   in Loop: Header=BB146_3 Depth=1
	s_or_b32 exec_lo, exec_lo, s10
	s_wait_dscnt 0x0
	s_barrier_signal -1
	s_barrier_wait -1
	s_barrier_signal -1
	s_barrier_wait -1
	s_and_saveexec_b32 s10, s5
; %bb.814:                              ;   in Loop: Header=BB146_3 Depth=1
	ds_store_b64 v74, v[46:47] offset:15872
; %bb.815:                              ;   in Loop: Header=BB146_3 Depth=1
	s_or_b32 exec_lo, exec_lo, s10
	s_wait_dscnt 0x0
	s_barrier_signal -1
	s_barrier_wait -1
	s_barrier_signal -1
	s_barrier_wait -1
	s_and_saveexec_b32 s13, s48
	s_cbranch_execz .LBB146_817
; %bb.816:                              ;   in Loop: Header=BB146_3 Depth=1
	ds_load_b64 v[46:47], v59 offset:8192
	s_wait_dscnt 0x0
	ds_store_b64 v63, v[46:47] offset:128
	ds_load_b64 v[46:47], v59 offset:8200
	s_wait_dscnt 0x0
	ds_store_b64 v63, v[46:47] offset:640
	;; [unrolled: 3-line block ×16, first 2 shown]
.LBB146_817:                            ;   in Loop: Header=BB146_3 Depth=1
	s_or_b32 exec_lo, exec_lo, s13
	s_wait_dscnt 0x0
	s_barrier_signal -1
	s_barrier_wait -1
	s_and_saveexec_b32 s10, s11
	s_cbranch_execz .LBB146_819
; %bb.818:                              ;   in Loop: Header=BB146_3 Depth=1
	ds_load_b64 v[46:47], v1 offset:7792
	v_add_nc_u32_e64 v0, 0x1800, 0
	ds_store_b64 v1, v[38:39] offset:7800
	s_wait_dscnt 0x1
	ds_store_2addr_b64 v0, v[38:39], v[46:47] offset0:142 offset1:143
.LBB146_819:                            ;   in Loop: Header=BB146_3 Depth=1
	s_or_b32 exec_lo, exec_lo, s10
	v_dual_mov_b32 v46, 0 :: v_dual_mov_b32 v47, 0
	s_wait_dscnt 0x0
	s_barrier_signal -1
	s_barrier_wait -1
	global_wb scope:SCOPE_DEV
	s_wait_storecnt 0x0
	global_inv scope:SCOPE_DEV
	s_and_saveexec_b32 s13, s1
	s_cbranch_execz .LBB146_823
; %bb.820:                              ;   in Loop: Header=BB146_3 Depth=1
	ds_load_b64 v[46:47], v55 offset:7264
	ds_load_b64 v[48:49], v56 offset:7792
	s_wait_dscnt 0x0
	v_pk_mul_f32 v[50:51], v[48:49], v[46:47] op_sel:[1,1] op_sel_hi:[0,1]
	s_delay_alu instid0(VALU_DEP_1) | instskip(SKIP_1) | instid1(VALU_DEP_2)
	v_pk_fma_f32 v[52:53], v[48:49], v[46:47], v[50:51] op_sel_hi:[1,0,1]
	v_pk_fma_f32 v[46:47], v[48:49], v[46:47], v[50:51] neg_lo:[0,0,1] neg_hi:[0,0,1]
	v_mov_b32_e32 v47, v53
	s_delay_alu instid0(VALU_DEP_1)
	v_pk_add_f32 v[46:47], v[46:47], 0 op_sel_hi:[1,0]
	s_and_saveexec_b32 s10, s14
	s_cbranch_execz .LBB146_822
; %bb.821:                              ;   in Loop: Header=BB146_3 Depth=1
	ds_load_b64 v[48:49], v57 offset:7776
	ds_load_b64 v[50:51], v1 offset:7800
	s_wait_dscnt 0x0
	v_pk_mul_f32 v[52:53], v[50:51], v[48:49] op_sel:[1,1] op_sel_hi:[0,1]
	s_delay_alu instid0(VALU_DEP_1) | instskip(SKIP_1) | instid1(VALU_DEP_2)
	v_pk_fma_f32 v[102:103], v[50:51], v[48:49], v[52:53] op_sel_hi:[1,0,1]
	v_pk_fma_f32 v[48:49], v[50:51], v[48:49], v[52:53] neg_lo:[0,0,1] neg_hi:[0,0,1]
	v_mov_b32_e32 v49, v103
	s_delay_alu instid0(VALU_DEP_1)
	v_pk_add_f32 v[46:47], v[46:47], v[48:49]
.LBB146_822:                            ;   in Loop: Header=BB146_3 Depth=1
	s_or_b32 exec_lo, exec_lo, s10
.LBB146_823:                            ;   in Loop: Header=BB146_3 Depth=1
	s_delay_alu instid0(SALU_CYCLE_1)
	s_or_b32 exec_lo, exec_lo, s13
	s_and_saveexec_b32 s10, s89
; %bb.824:                              ;   in Loop: Header=BB146_3 Depth=1
	s_delay_alu instid0(VALU_DEP_1)
	v_pk_add_f32 v[48:49], v[46:47], 0 neg_lo:[1,1] neg_hi:[1,1]
	ds_store_b64 v54, v[48:49]
; %bb.825:                              ;   in Loop: Header=BB146_3 Depth=1
	s_or_b32 exec_lo, exec_lo, s10
	s_wait_loadcnt_dscnt 0x0
	s_barrier_signal -1
	s_barrier_wait -1
	s_and_saveexec_b32 s10, s90
	s_cbranch_execz .LBB146_827
; %bb.826:                              ;   in Loop: Header=BB146_3 Depth=1
	ds_load_b64 v[48:49], v1 offset:6752
	ds_load_b64 v[50:51], v54
	s_wait_dscnt 0x0
	v_pk_mul_f32 v[52:53], v[50:51], v[48:49] op_sel_hi:[1,0]
	s_delay_alu instid0(VALU_DEP_1) | instskip(SKIP_1) | instid1(VALU_DEP_2)
	v_pk_fma_f32 v[102:103], v[50:51], v[48:49], v[52:53] op_sel:[1,1,0] op_sel_hi:[0,1,1]
	v_pk_fma_f32 v[48:49], v[50:51], v[48:49], v[52:53] op_sel:[1,1,0] op_sel_hi:[0,1,1] neg_lo:[0,0,1] neg_hi:[0,0,1]
	v_pk_add_f32 v[50:51], v[46:47], v[102:103] neg_lo:[0,1] neg_hi:[0,1]
	s_delay_alu instid0(VALU_DEP_2) | instskip(NEXT) | instid1(VALU_DEP_2)
	v_pk_add_f32 v[46:47], v[46:47], v[48:49]
	v_mov_b32_e32 v47, v51
.LBB146_827:                            ;   in Loop: Header=BB146_3 Depth=1
	s_or_b32 exec_lo, exec_lo, s10
	s_barrier_signal -1
	s_barrier_wait -1
	s_and_saveexec_b32 s10, s90
; %bb.828:                              ;   in Loop: Header=BB146_3 Depth=1
	v_pk_add_f32 v[48:49], v[46:47], 0 neg_lo:[1,1] neg_hi:[1,1]
	ds_store_b64 v54, v[48:49]
; %bb.829:                              ;   in Loop: Header=BB146_3 Depth=1
	s_or_b32 exec_lo, exec_lo, s10
	s_wait_dscnt 0x0
	s_barrier_signal -1
	s_barrier_wait -1
	s_barrier_signal -1
	s_barrier_wait -1
	s_and_saveexec_b32 s10, s1
; %bb.830:                              ;   in Loop: Header=BB146_3 Depth=1
	ds_store_b64 v58, v[46:47] offset:7776
; %bb.831:                              ;   in Loop: Header=BB146_3 Depth=1
	s_or_b32 exec_lo, exec_lo, s10
	s_wait_dscnt 0x0
	s_barrier_signal -1
	s_barrier_wait -1
	s_barrier_signal -1
	s_barrier_wait -1
	s_and_saveexec_b32 s10, s91
	s_cbranch_execz .LBB146_833
; %bb.832:                              ;   in Loop: Header=BB146_3 Depth=1
	ds_load_b64 v[46:47], v59 offset:7264
	s_wait_dscnt 0x0
	ds_store_b64 v57, v[46:47] offset:6256
	ds_load_b64 v[46:47], v59 offset:7272
	s_wait_dscnt 0x0
	ds_store_b64 v57, v[46:47] offset:6768
.LBB146_833:                            ;   in Loop: Header=BB146_3 Depth=1
	s_or_b32 exec_lo, exec_lo, s10
	s_wait_dscnt 0x0
	s_barrier_signal -1
	s_barrier_wait -1
	s_and_saveexec_b32 s10, s11
	s_cbranch_execz .LBB146_835
; %bb.834:                              ;   in Loop: Header=BB146_3 Depth=1
	ds_load_b64 v[46:47], v1 offset:6752
	v_add_nc_u32_e64 v0, 0x1800, 0
	ds_store_b64 v1, v[38:39] offset:6760
	s_wait_dscnt 0x1
	ds_store_2addr_b64 v0, v[38:39], v[46:47] offset0:12 offset1:13
.LBB146_835:                            ;   in Loop: Header=BB146_3 Depth=1
	s_or_b32 exec_lo, exec_lo, s10
	v_mov_b64_e32 v[46:47], 0
	s_wait_dscnt 0x0
	s_barrier_signal -1
	s_barrier_wait -1
	global_wb scope:SCOPE_DEV
	s_wait_storecnt 0x0
	global_inv scope:SCOPE_DEV
	s_and_saveexec_b32 s13, s3
	s_cbranch_execz .LBB146_841
; %bb.836:                              ;   in Loop: Header=BB146_3 Depth=1
	ds_load_b64 v[46:47], v61 offset:6208
	ds_load_b64 v[48:49], v62 offset:7776
	s_wait_dscnt 0x0
	v_dual_mul_f32 v0, v49, v47 :: v_dual_mul_f32 v35, v48, v47
	s_delay_alu instid0(VALU_DEP_1) | instskip(NEXT) | instid1(VALU_DEP_1)
	v_dual_fma_f32 v0, v48, v46, -v0 :: v_dual_fmac_f32 v35, v49, v46
	v_dual_add_f32 v46, 0, v0 :: v_dual_add_f32 v47, 0, v35
	s_and_saveexec_b32 s10, s15
	s_cbranch_execnz .LBB146_1102
; %bb.837:                              ;   in Loop: Header=BB146_3 Depth=1
	s_or_b32 exec_lo, exec_lo, s10
	s_and_saveexec_b32 s10, s16
	s_cbranch_execnz .LBB146_1103
.LBB146_838:                            ;   in Loop: Header=BB146_3 Depth=1
	s_or_b32 exec_lo, exec_lo, s10
	s_and_saveexec_b32 s10, s1
	s_cbranch_execz .LBB146_840
.LBB146_839:                            ;   in Loop: Header=BB146_3 Depth=1
	ds_load_b64 v[48:49], v63 offset:7744
	ds_load_b64 v[50:51], v1 offset:7800
	s_wait_dscnt 0x0
	v_pk_mul_f32 v[52:53], v[50:51], v[48:49] op_sel:[1,1] op_sel_hi:[0,1]
	s_delay_alu instid0(VALU_DEP_1) | instskip(SKIP_1) | instid1(VALU_DEP_2)
	v_pk_fma_f32 v[102:103], v[50:51], v[48:49], v[52:53] op_sel_hi:[1,0,1]
	v_pk_fma_f32 v[48:49], v[50:51], v[48:49], v[52:53] neg_lo:[0,0,1] neg_hi:[0,0,1]
	v_mov_b32_e32 v49, v103
	s_delay_alu instid0(VALU_DEP_1)
	v_pk_add_f32 v[46:47], v[46:47], v[48:49]
.LBB146_840:                            ;   in Loop: Header=BB146_3 Depth=1
	s_or_b32 exec_lo, exec_lo, s10
.LBB146_841:                            ;   in Loop: Header=BB146_3 Depth=1
	s_delay_alu instid0(SALU_CYCLE_1)
	s_or_b32 exec_lo, exec_lo, s13
	s_and_saveexec_b32 s10, s92
; %bb.842:                              ;   in Loop: Header=BB146_3 Depth=1
	s_delay_alu instid0(VALU_DEP_1)
	v_pk_add_f32 v[48:49], v[46:47], 0 neg_lo:[1,1] neg_hi:[1,1]
	ds_store_b64 v60, v[48:49]
; %bb.843:                              ;   in Loop: Header=BB146_3 Depth=1
	s_or_b32 exec_lo, exec_lo, s10
	s_wait_loadcnt_dscnt 0x0
	s_barrier_signal -1
	s_barrier_wait -1
	s_and_saveexec_b32 s10, s93
	s_cbranch_execz .LBB146_845
; %bb.844:                              ;   in Loop: Header=BB146_3 Depth=1
	ds_load_b64 v[48:49], v61 offset:5696
	ds_load_b64 v[50:51], v60
	s_wait_dscnt 0x0
	v_pk_mul_f32 v[52:53], v[50:51], v[48:49] op_sel:[1,1] op_sel_hi:[0,1]
	s_delay_alu instid0(VALU_DEP_1) | instskip(SKIP_1) | instid1(VALU_DEP_2)
	v_pk_fma_f32 v[102:103], v[50:51], v[48:49], v[52:53] op_sel_hi:[1,0,1]
	v_pk_fma_f32 v[48:49], v[50:51], v[48:49], v[52:53] neg_lo:[0,0,1] neg_hi:[0,0,1]
	v_mov_b32_e32 v49, v103
	s_delay_alu instid0(VALU_DEP_1)
	v_pk_add_f32 v[46:47], v[46:47], v[48:49] neg_lo:[0,1] neg_hi:[0,1]
.LBB146_845:                            ;   in Loop: Header=BB146_3 Depth=1
	s_or_b32 exec_lo, exec_lo, s10
	s_barrier_signal -1
	s_barrier_wait -1
	s_and_saveexec_b32 s10, s94
; %bb.846:                              ;   in Loop: Header=BB146_3 Depth=1
	v_pk_add_f32 v[48:49], v[46:47], 0 neg_lo:[1,1] neg_hi:[1,1]
	ds_store_b64 v60, v[48:49]
; %bb.847:                              ;   in Loop: Header=BB146_3 Depth=1
	s_or_b32 exec_lo, exec_lo, s10
	s_wait_dscnt 0x0
	s_barrier_signal -1
	s_barrier_wait -1
	s_and_saveexec_b32 s10, s95
	s_cbranch_execz .LBB146_849
; %bb.848:                              ;   in Loop: Header=BB146_3 Depth=1
	ds_load_b64 v[48:49], v61 offset:5184
	ds_load_b64 v[50:51], v60
	s_wait_dscnt 0x0
	v_pk_mul_f32 v[52:53], v[50:51], v[48:49] op_sel:[1,1] op_sel_hi:[0,1]
	s_delay_alu instid0(VALU_DEP_1) | instskip(SKIP_1) | instid1(VALU_DEP_2)
	v_pk_fma_f32 v[102:103], v[50:51], v[48:49], v[52:53] op_sel_hi:[1,0,1]
	v_pk_fma_f32 v[48:49], v[50:51], v[48:49], v[52:53] neg_lo:[0,0,1] neg_hi:[0,0,1]
	v_mov_b32_e32 v49, v103
	s_delay_alu instid0(VALU_DEP_1)
	v_pk_add_f32 v[46:47], v[46:47], v[48:49] neg_lo:[0,1] neg_hi:[0,1]
.LBB146_849:                            ;   in Loop: Header=BB146_3 Depth=1
	s_or_b32 exec_lo, exec_lo, s10
	s_barrier_signal -1
	s_barrier_wait -1
	s_and_saveexec_b32 s10, s96
; %bb.850:                              ;   in Loop: Header=BB146_3 Depth=1
	v_pk_add_f32 v[48:49], v[46:47], 0 neg_lo:[1,1] neg_hi:[1,1]
	ds_store_b64 v60, v[48:49]
; %bb.851:                              ;   in Loop: Header=BB146_3 Depth=1
	s_or_b32 exec_lo, exec_lo, s10
	s_wait_dscnt 0x0
	;; [unrolled: 26-line block ×3, first 2 shown]
	s_barrier_signal -1
	s_barrier_wait -1
	s_barrier_signal -1
	s_barrier_wait -1
	s_and_saveexec_b32 s10, s3
; %bb.856:                              ;   in Loop: Header=BB146_3 Depth=1
	ds_store_b64 v64, v[46:47] offset:7744
; %bb.857:                              ;   in Loop: Header=BB146_3 Depth=1
	s_or_b32 exec_lo, exec_lo, s10
	s_wait_dscnt 0x0
	s_barrier_signal -1
	s_barrier_wait -1
	s_barrier_signal -1
	s_barrier_wait -1
	s_and_saveexec_b32 s10, s98
	s_cbranch_execz .LBB146_859
; %bb.858:                              ;   in Loop: Header=BB146_3 Depth=1
	ds_load_b64 v[46:47], v65 offset:6208
	s_wait_dscnt 0x0
	ds_store_b64 v7, v[46:47] offset:4192
	ds_load_b64 v[46:47], v65 offset:6216
	s_wait_dscnt 0x0
	ds_store_b64 v7, v[46:47] offset:4704
	ds_load_b64 v[46:47], v65 offset:6224
	s_wait_dscnt 0x0
	ds_store_b64 v7, v[46:47] offset:5216
	ds_load_b64 v[46:47], v65 offset:6232
	s_wait_dscnt 0x0
	ds_store_b64 v7, v[46:47] offset:5728
.LBB146_859:                            ;   in Loop: Header=BB146_3 Depth=1
	s_or_b32 exec_lo, exec_lo, s10
	s_wait_dscnt 0x0
	s_barrier_signal -1
	s_barrier_wait -1
	s_and_saveexec_b32 s10, s11
	s_cbranch_execz .LBB146_861
; %bb.860:                              ;   in Loop: Header=BB146_3 Depth=1
	ds_load_b64 v[46:47], v1 offset:5712
	v_add_nc_u32_e64 v0, 0x1000, 0
	ds_store_b64 v1, v[38:39] offset:5720
	s_wait_dscnt 0x1
	ds_store_2addr_b64 v0, v[38:39], v[46:47] offset0:138 offset1:139
.LBB146_861:                            ;   in Loop: Header=BB146_3 Depth=1
	s_or_b32 exec_lo, exec_lo, s10
	v_dual_mov_b32 v46, 0 :: v_dual_mov_b32 v47, 0
	s_wait_dscnt 0x0
	s_barrier_signal -1
	s_barrier_wait -1
	global_wb scope:SCOPE_DEV
	s_wait_storecnt 0x0
	global_inv scope:SCOPE_DEV
	s_and_saveexec_b32 s13, s1
	s_cbranch_execz .LBB146_865
; %bb.862:                              ;   in Loop: Header=BB146_3 Depth=1
	ds_load_b64 v[46:47], v55 offset:5184
	ds_load_b64 v[48:49], v56 offset:5712
	s_wait_dscnt 0x0
	v_pk_mul_f32 v[50:51], v[48:49], v[46:47] op_sel:[1,1] op_sel_hi:[0,1]
	s_delay_alu instid0(VALU_DEP_1) | instskip(SKIP_1) | instid1(VALU_DEP_2)
	v_pk_fma_f32 v[52:53], v[48:49], v[46:47], v[50:51] op_sel_hi:[1,0,1]
	v_pk_fma_f32 v[46:47], v[48:49], v[46:47], v[50:51] neg_lo:[0,0,1] neg_hi:[0,0,1]
	v_mov_b32_e32 v47, v53
	s_delay_alu instid0(VALU_DEP_1)
	v_pk_add_f32 v[46:47], v[46:47], 0 op_sel_hi:[1,0]
	s_and_saveexec_b32 s10, s14
	s_cbranch_execz .LBB146_864
; %bb.863:                              ;   in Loop: Header=BB146_3 Depth=1
	ds_load_b64 v[48:49], v7 offset:5696
	ds_load_b64 v[50:51], v1 offset:5720
	s_wait_dscnt 0x0
	v_pk_mul_f32 v[52:53], v[50:51], v[48:49] op_sel:[1,1] op_sel_hi:[0,1]
	s_delay_alu instid0(VALU_DEP_1) | instskip(SKIP_1) | instid1(VALU_DEP_2)
	v_pk_fma_f32 v[102:103], v[50:51], v[48:49], v[52:53] op_sel_hi:[1,0,1]
	v_pk_fma_f32 v[48:49], v[50:51], v[48:49], v[52:53] neg_lo:[0,0,1] neg_hi:[0,0,1]
	v_mov_b32_e32 v49, v103
	s_delay_alu instid0(VALU_DEP_1)
	v_pk_add_f32 v[46:47], v[46:47], v[48:49]
.LBB146_864:                            ;   in Loop: Header=BB146_3 Depth=1
	s_or_b32 exec_lo, exec_lo, s10
.LBB146_865:                            ;   in Loop: Header=BB146_3 Depth=1
	s_delay_alu instid0(SALU_CYCLE_1)
	s_or_b32 exec_lo, exec_lo, s13
	s_and_saveexec_b32 s10, s89
; %bb.866:                              ;   in Loop: Header=BB146_3 Depth=1
	s_delay_alu instid0(VALU_DEP_1)
	v_pk_add_f32 v[48:49], v[46:47], 0 neg_lo:[1,1] neg_hi:[1,1]
	ds_store_b64 v54, v[48:49]
; %bb.867:                              ;   in Loop: Header=BB146_3 Depth=1
	s_or_b32 exec_lo, exec_lo, s10
	s_wait_loadcnt_dscnt 0x0
	s_barrier_signal -1
	s_barrier_wait -1
	s_and_saveexec_b32 s10, s90
	s_cbranch_execz .LBB146_869
; %bb.868:                              ;   in Loop: Header=BB146_3 Depth=1
	ds_load_b64 v[48:49], v1 offset:4672
	ds_load_b64 v[50:51], v54
	s_wait_dscnt 0x0
	v_pk_mul_f32 v[52:53], v[50:51], v[48:49] op_sel_hi:[1,0]
	s_delay_alu instid0(VALU_DEP_1) | instskip(SKIP_1) | instid1(VALU_DEP_2)
	v_pk_fma_f32 v[102:103], v[50:51], v[48:49], v[52:53] op_sel:[1,1,0] op_sel_hi:[0,1,1]
	v_pk_fma_f32 v[48:49], v[50:51], v[48:49], v[52:53] op_sel:[1,1,0] op_sel_hi:[0,1,1] neg_lo:[0,0,1] neg_hi:[0,0,1]
	v_pk_add_f32 v[50:51], v[46:47], v[102:103] neg_lo:[0,1] neg_hi:[0,1]
	s_delay_alu instid0(VALU_DEP_2) | instskip(NEXT) | instid1(VALU_DEP_2)
	v_pk_add_f32 v[46:47], v[46:47], v[48:49]
	v_mov_b32_e32 v47, v51
.LBB146_869:                            ;   in Loop: Header=BB146_3 Depth=1
	s_or_b32 exec_lo, exec_lo, s10
	s_barrier_signal -1
	s_barrier_wait -1
	s_and_saveexec_b32 s10, s90
; %bb.870:                              ;   in Loop: Header=BB146_3 Depth=1
	v_pk_add_f32 v[48:49], v[46:47], 0 neg_lo:[1,1] neg_hi:[1,1]
	ds_store_b64 v54, v[48:49]
; %bb.871:                              ;   in Loop: Header=BB146_3 Depth=1
	s_or_b32 exec_lo, exec_lo, s10
	s_wait_dscnt 0x0
	s_barrier_signal -1
	s_barrier_wait -1
	s_barrier_signal -1
	s_barrier_wait -1
	s_and_saveexec_b32 s10, s1
; %bb.872:                              ;   in Loop: Header=BB146_3 Depth=1
	ds_store_b64 v58, v[46:47] offset:5696
; %bb.873:                              ;   in Loop: Header=BB146_3 Depth=1
	s_or_b32 exec_lo, exec_lo, s10
	s_wait_dscnt 0x0
	s_barrier_signal -1
	s_barrier_wait -1
	s_barrier_signal -1
	s_barrier_wait -1
	s_and_saveexec_b32 s10, s91
	s_cbranch_execz .LBB146_875
; %bb.874:                              ;   in Loop: Header=BB146_3 Depth=1
	ds_load_b64 v[46:47], v79 offset:5184
	s_wait_dscnt 0x0
	ds_store_b64 v7, v[46:47] offset:4176
	ds_load_b64 v[46:47], v79 offset:5192
	s_wait_dscnt 0x0
	ds_store_b64 v7, v[46:47] offset:4688
.LBB146_875:                            ;   in Loop: Header=BB146_3 Depth=1
	s_or_b32 exec_lo, exec_lo, s10
	s_wait_dscnt 0x0
	s_barrier_signal -1
	s_barrier_wait -1
	s_and_saveexec_b32 s10, s11
	s_cbranch_execz .LBB146_877
; %bb.876:                              ;   in Loop: Header=BB146_3 Depth=1
	ds_load_b64 v[46:47], v1 offset:4672
	v_add_nc_u32_e64 v0, 0x1000, 0
	ds_store_b64 v1, v[38:39] offset:4680
	s_wait_dscnt 0x1
	ds_store_2addr_b64 v0, v[38:39], v[46:47] offset0:8 offset1:9
.LBB146_877:                            ;   in Loop: Header=BB146_3 Depth=1
	s_or_b32 exec_lo, exec_lo, s10
	v_mov_b64_e32 v[46:47], 0
	s_wait_dscnt 0x0
	s_barrier_signal -1
	s_barrier_wait -1
	global_wb scope:SCOPE_DEV
	s_wait_storecnt 0x0
	global_inv scope:SCOPE_DEV
	s_and_saveexec_b32 s13, s4
	s_cbranch_execz .LBB146_887
; %bb.878:                              ;   in Loop: Header=BB146_3 Depth=1
	ds_load_b64 v[46:47], v67 offset:4096
	ds_load_b64 v[48:49], v68 offset:7744
	s_wait_dscnt 0x0
	v_dual_mul_f32 v0, v49, v47 :: v_dual_mul_f32 v35, v48, v47
	s_delay_alu instid0(VALU_DEP_1) | instskip(NEXT) | instid1(VALU_DEP_1)
	v_dual_fma_f32 v0, v48, v46, -v0 :: v_dual_fmac_f32 v35, v49, v46
	v_dual_add_f32 v46, 0, v0 :: v_dual_add_f32 v47, 0, v35
	s_and_saveexec_b32 s10, s17
	s_cbranch_execnz .LBB146_1104
; %bb.879:                              ;   in Loop: Header=BB146_3 Depth=1
	s_or_b32 exec_lo, exec_lo, s10
	s_and_saveexec_b32 s10, s19
	s_cbranch_execnz .LBB146_1105
.LBB146_880:                            ;   in Loop: Header=BB146_3 Depth=1
	s_or_b32 exec_lo, exec_lo, s10
	s_and_saveexec_b32 s10, s20
	s_cbranch_execnz .LBB146_1106
.LBB146_881:                            ;   in Loop: Header=BB146_3 Depth=1
	s_or_b32 exec_lo, exec_lo, s10
	s_and_saveexec_b32 s10, s21
	s_cbranch_execnz .LBB146_1107
.LBB146_882:                            ;   in Loop: Header=BB146_3 Depth=1
	s_or_b32 exec_lo, exec_lo, s10
	s_and_saveexec_b32 s10, s22
	s_cbranch_execnz .LBB146_1108
.LBB146_883:                            ;   in Loop: Header=BB146_3 Depth=1
	s_or_b32 exec_lo, exec_lo, s10
	s_and_saveexec_b32 s10, s3
	s_cbranch_execnz .LBB146_1109
.LBB146_884:                            ;   in Loop: Header=BB146_3 Depth=1
	s_or_b32 exec_lo, exec_lo, s10
	s_and_saveexec_b32 s10, s16
	s_cbranch_execz .LBB146_886
.LBB146_885:                            ;   in Loop: Header=BB146_3 Depth=1
	ds_load_b64 v[48:49], v80 offset:7680
	ds_load_b64 v[50:51], v1 offset:7800
	s_wait_dscnt 0x0
	v_pk_mul_f32 v[52:53], v[50:51], v[48:49] op_sel:[1,1] op_sel_hi:[0,1]
	s_delay_alu instid0(VALU_DEP_1) | instskip(SKIP_1) | instid1(VALU_DEP_2)
	v_pk_fma_f32 v[102:103], v[50:51], v[48:49], v[52:53] op_sel_hi:[1,0,1]
	v_pk_fma_f32 v[48:49], v[50:51], v[48:49], v[52:53] neg_lo:[0,0,1] neg_hi:[0,0,1]
	v_mov_b32_e32 v49, v103
	s_delay_alu instid0(VALU_DEP_1)
	v_pk_add_f32 v[46:47], v[46:47], v[48:49]
.LBB146_886:                            ;   in Loop: Header=BB146_3 Depth=1
	s_or_b32 exec_lo, exec_lo, s10
.LBB146_887:                            ;   in Loop: Header=BB146_3 Depth=1
	s_delay_alu instid0(SALU_CYCLE_1)
	s_or_b32 exec_lo, exec_lo, s13
	s_and_saveexec_b32 s10, s99
; %bb.888:                              ;   in Loop: Header=BB146_3 Depth=1
	s_delay_alu instid0(VALU_DEP_1)
	v_pk_add_f32 v[48:49], v[46:47], 0 neg_lo:[1,1] neg_hi:[1,1]
	ds_store_b64 v66, v[48:49]
; %bb.889:                              ;   in Loop: Header=BB146_3 Depth=1
	s_or_b32 exec_lo, exec_lo, s10
	s_wait_loadcnt_dscnt 0x0
	s_barrier_signal -1
	s_barrier_wait -1
	s_and_saveexec_b32 s10, s100
	s_cbranch_execz .LBB146_891
; %bb.890:                              ;   in Loop: Header=BB146_3 Depth=1
	ds_load_b64 v[48:49], v67 offset:3584
	ds_load_b64 v[50:51], v66
	s_wait_dscnt 0x0
	v_pk_mul_f32 v[52:53], v[50:51], v[48:49] op_sel:[1,1] op_sel_hi:[0,1]
	s_delay_alu instid0(VALU_DEP_1) | instskip(SKIP_1) | instid1(VALU_DEP_2)
	v_pk_fma_f32 v[102:103], v[50:51], v[48:49], v[52:53] op_sel_hi:[1,0,1]
	v_pk_fma_f32 v[48:49], v[50:51], v[48:49], v[52:53] neg_lo:[0,0,1] neg_hi:[0,0,1]
	v_mov_b32_e32 v49, v103
	s_delay_alu instid0(VALU_DEP_1)
	v_pk_add_f32 v[46:47], v[46:47], v[48:49] neg_lo:[0,1] neg_hi:[0,1]
.LBB146_891:                            ;   in Loop: Header=BB146_3 Depth=1
	s_or_b32 exec_lo, exec_lo, s10
	s_barrier_signal -1
	s_barrier_wait -1
	s_and_saveexec_b32 s10, s101
; %bb.892:                              ;   in Loop: Header=BB146_3 Depth=1
	v_pk_add_f32 v[48:49], v[46:47], 0 neg_lo:[1,1] neg_hi:[1,1]
	ds_store_b64 v66, v[48:49]
; %bb.893:                              ;   in Loop: Header=BB146_3 Depth=1
	s_or_b32 exec_lo, exec_lo, s10
	s_wait_dscnt 0x0
	s_barrier_signal -1
	s_barrier_wait -1
	s_and_saveexec_b32 s10, s102
	s_cbranch_execz .LBB146_895
; %bb.894:                              ;   in Loop: Header=BB146_3 Depth=1
	ds_load_b64 v[48:49], v67 offset:3072
	ds_load_b64 v[50:51], v66
	s_wait_dscnt 0x0
	v_dual_mul_f32 v0, v51, v49 :: v_dual_mul_f32 v35, v50, v49
	s_delay_alu instid0(VALU_DEP_1) | instskip(NEXT) | instid1(VALU_DEP_1)
	v_dual_fma_f32 v0, v50, v48, -v0 :: v_dual_fmac_f32 v35, v51, v48
	v_dual_sub_f32 v46, v46, v0 :: v_dual_sub_f32 v47, v47, v35
.LBB146_895:                            ;   in Loop: Header=BB146_3 Depth=1
	s_or_b32 exec_lo, exec_lo, s10
	s_barrier_signal -1
	s_barrier_wait -1
	s_and_saveexec_b32 s10, s103
; %bb.896:                              ;   in Loop: Header=BB146_3 Depth=1
	v_pk_add_f32 v[48:49], v[46:47], 0 neg_lo:[1,1] neg_hi:[1,1]
	ds_store_b64 v66, v[48:49]
; %bb.897:                              ;   in Loop: Header=BB146_3 Depth=1
	s_or_b32 exec_lo, exec_lo, s10
	s_wait_dscnt 0x0
	s_barrier_signal -1
	s_barrier_wait -1
	s_and_saveexec_b32 s10, s104
	s_cbranch_execz .LBB146_899
; %bb.898:                              ;   in Loop: Header=BB146_3 Depth=1
	ds_load_b64 v[48:49], v67 offset:2560
	ds_load_b64 v[50:51], v66
	s_wait_dscnt 0x0
	v_dual_mul_f32 v0, v51, v49 :: v_dual_mul_f32 v53, v50, v49
	s_delay_alu instid0(VALU_DEP_1) | instskip(NEXT) | instid1(VALU_DEP_1)
	v_dual_fma_f32 v52, v50, v48, -v0 :: v_dual_fmac_f32 v53, v51, v48
	v_pk_add_f32 v[46:47], v[46:47], v[52:53] neg_lo:[0,1] neg_hi:[0,1]
.LBB146_899:                            ;   in Loop: Header=BB146_3 Depth=1
	s_or_b32 exec_lo, exec_lo, s10
	s_barrier_signal -1
	s_barrier_wait -1
	s_and_saveexec_b32 s10, vcc_hi
; %bb.900:                              ;   in Loop: Header=BB146_3 Depth=1
	v_pk_add_f32 v[48:49], v[46:47], 0 neg_lo:[1,1] neg_hi:[1,1]
	ds_store_b64 v66, v[48:49]
; %bb.901:                              ;   in Loop: Header=BB146_3 Depth=1
	s_or_b32 exec_lo, exec_lo, s10
	s_wait_dscnt 0x0
	s_barrier_signal -1
	s_barrier_wait -1
	s_and_saveexec_b32 s10, s38
	s_cbranch_execz .LBB146_903
; %bb.902:                              ;   in Loop: Header=BB146_3 Depth=1
	ds_load_b64 v[48:49], v67 offset:2048
	ds_load_b64 v[50:51], v66
	s_wait_dscnt 0x0
	v_pk_mul_f32 v[52:53], v[50:51], v[48:49] op_sel:[1,1] op_sel_hi:[0,1]
	s_delay_alu instid0(VALU_DEP_1) | instskip(SKIP_1) | instid1(VALU_DEP_2)
	v_pk_fma_f32 v[102:103], v[50:51], v[48:49], v[52:53] op_sel_hi:[1,0,1]
	v_pk_fma_f32 v[48:49], v[50:51], v[48:49], v[52:53] neg_lo:[0,0,1] neg_hi:[0,0,1]
	v_mov_b32_e32 v49, v103
	s_delay_alu instid0(VALU_DEP_1)
	v_pk_add_f32 v[46:47], v[46:47], v[48:49] neg_lo:[0,1] neg_hi:[0,1]
.LBB146_903:                            ;   in Loop: Header=BB146_3 Depth=1
	s_or_b32 exec_lo, exec_lo, s10
	s_barrier_signal -1
	s_barrier_wait -1
	s_and_saveexec_b32 s10, s39
; %bb.904:                              ;   in Loop: Header=BB146_3 Depth=1
	v_pk_add_f32 v[48:49], v[46:47], 0 neg_lo:[1,1] neg_hi:[1,1]
	ds_store_b64 v66, v[48:49]
; %bb.905:                              ;   in Loop: Header=BB146_3 Depth=1
	s_or_b32 exec_lo, exec_lo, s10
	s_wait_dscnt 0x0
	s_barrier_signal -1
	s_barrier_wait -1
	s_and_saveexec_b32 s10, s40
	s_cbranch_execz .LBB146_907
; %bb.906:                              ;   in Loop: Header=BB146_3 Depth=1
	ds_load_b64 v[48:49], v67 offset:1536
	ds_load_b64 v[50:51], v66
	s_wait_dscnt 0x0
	v_pk_mul_f32 v[52:53], v[50:51], v[48:49] op_sel:[1,1] op_sel_hi:[0,1]
	s_delay_alu instid0(VALU_DEP_1) | instskip(SKIP_1) | instid1(VALU_DEP_2)
	v_pk_fma_f32 v[102:103], v[50:51], v[48:49], v[52:53] op_sel_hi:[1,0,1]
	v_pk_fma_f32 v[48:49], v[50:51], v[48:49], v[52:53] neg_lo:[0,0,1] neg_hi:[0,0,1]
	v_mov_b32_e32 v49, v103
	s_delay_alu instid0(VALU_DEP_1)
	v_pk_add_f32 v[46:47], v[46:47], v[48:49] neg_lo:[0,1] neg_hi:[0,1]
.LBB146_907:                            ;   in Loop: Header=BB146_3 Depth=1
	s_or_b32 exec_lo, exec_lo, s10
	s_barrier_signal -1
	s_barrier_wait -1
	s_and_saveexec_b32 s10, s41
	;; [unrolled: 26-line block ×4, first 2 shown]
; %bb.916:                              ;   in Loop: Header=BB146_3 Depth=1
	v_pk_add_f32 v[48:49], v[46:47], 0 neg_lo:[1,1] neg_hi:[1,1]
	ds_store_b64 v66, v[48:49]
; %bb.917:                              ;   in Loop: Header=BB146_3 Depth=1
	s_or_b32 exec_lo, exec_lo, s10
	s_wait_dscnt 0x0
	s_barrier_signal -1
	s_barrier_wait -1
	s_barrier_signal -1
	s_barrier_wait -1
	s_and_saveexec_b32 s10, s4
; %bb.918:                              ;   in Loop: Header=BB146_3 Depth=1
	ds_store_b64 v69, v[46:47] offset:7680
; %bb.919:                              ;   in Loop: Header=BB146_3 Depth=1
	s_or_b32 exec_lo, exec_lo, s10
	s_wait_dscnt 0x0
	s_barrier_signal -1
	s_barrier_wait -1
	s_barrier_signal -1
	s_barrier_wait -1
	s_and_saveexec_b32 s10, s45
	s_cbranch_execz .LBB146_921
; %bb.920:                              ;   in Loop: Header=BB146_3 Depth=1
	ds_load_b64 v[46:47], v81 offset:4096
	s_wait_dscnt 0x0
	ds_store_b64 v3, v[46:47] offset:64
	ds_load_b64 v[46:47], v81 offset:4104
	s_wait_dscnt 0x0
	ds_store_b64 v3, v[46:47] offset:576
	;; [unrolled: 3-line block ×8, first 2 shown]
.LBB146_921:                            ;   in Loop: Header=BB146_3 Depth=1
	s_or_b32 exec_lo, exec_lo, s10
	s_wait_dscnt 0x0
	s_barrier_signal -1
	s_barrier_wait -1
	s_and_saveexec_b32 s10, s11
	s_cbranch_execz .LBB146_923
; %bb.922:                              ;   in Loop: Header=BB146_3 Depth=1
	ds_load_b64 v[46:47], v1 offset:3632
	v_add_nc_u32_e64 v0, 0x800, 0
	ds_store_b64 v1, v[38:39] offset:3640
	s_wait_dscnt 0x1
	ds_store_2addr_b64 v0, v[38:39], v[46:47] offset0:134 offset1:135
.LBB146_923:                            ;   in Loop: Header=BB146_3 Depth=1
	s_or_b32 exec_lo, exec_lo, s10
	v_dual_mov_b32 v46, 0 :: v_dual_mov_b32 v47, 0
	s_wait_dscnt 0x0
	s_barrier_signal -1
	s_barrier_wait -1
	global_wb scope:SCOPE_DEV
	s_wait_storecnt 0x0
	global_inv scope:SCOPE_DEV
	s_and_saveexec_b32 s13, s1
	s_cbranch_execz .LBB146_927
; %bb.924:                              ;   in Loop: Header=BB146_3 Depth=1
	ds_load_b64 v[46:47], v55 offset:3104
	ds_load_b64 v[48:49], v56 offset:3632
	s_wait_dscnt 0x0
	v_pk_mul_f32 v[50:51], v[48:49], v[46:47] op_sel:[1,1] op_sel_hi:[0,1]
	s_delay_alu instid0(VALU_DEP_1) | instskip(SKIP_1) | instid1(VALU_DEP_2)
	v_pk_fma_f32 v[52:53], v[48:49], v[46:47], v[50:51] op_sel_hi:[1,0,1]
	v_pk_fma_f32 v[46:47], v[48:49], v[46:47], v[50:51] neg_lo:[0,0,1] neg_hi:[0,0,1]
	v_mov_b32_e32 v47, v53
	s_delay_alu instid0(VALU_DEP_1)
	v_pk_add_f32 v[46:47], v[46:47], 0 op_sel_hi:[1,0]
	s_and_saveexec_b32 s10, s14
	s_cbranch_execz .LBB146_926
; %bb.925:                              ;   in Loop: Header=BB146_3 Depth=1
	ds_load_b64 v[48:49], v3 offset:3616
	ds_load_b64 v[50:51], v1 offset:3640
	s_wait_dscnt 0x0
	v_pk_mul_f32 v[52:53], v[50:51], v[48:49] op_sel:[1,1] op_sel_hi:[0,1]
	s_delay_alu instid0(VALU_DEP_1) | instskip(SKIP_1) | instid1(VALU_DEP_2)
	v_pk_fma_f32 v[102:103], v[50:51], v[48:49], v[52:53] op_sel_hi:[1,0,1]
	v_pk_fma_f32 v[48:49], v[50:51], v[48:49], v[52:53] neg_lo:[0,0,1] neg_hi:[0,0,1]
	v_mov_b32_e32 v49, v103
	s_delay_alu instid0(VALU_DEP_1)
	v_pk_add_f32 v[46:47], v[46:47], v[48:49]
.LBB146_926:                            ;   in Loop: Header=BB146_3 Depth=1
	s_or_b32 exec_lo, exec_lo, s10
.LBB146_927:                            ;   in Loop: Header=BB146_3 Depth=1
	s_delay_alu instid0(SALU_CYCLE_1)
	s_or_b32 exec_lo, exec_lo, s13
	s_and_saveexec_b32 s10, s89
; %bb.928:                              ;   in Loop: Header=BB146_3 Depth=1
	s_delay_alu instid0(VALU_DEP_1)
	v_pk_add_f32 v[48:49], v[46:47], 0 neg_lo:[1,1] neg_hi:[1,1]
	ds_store_b64 v54, v[48:49]
; %bb.929:                              ;   in Loop: Header=BB146_3 Depth=1
	s_or_b32 exec_lo, exec_lo, s10
	s_wait_loadcnt_dscnt 0x0
	s_barrier_signal -1
	s_barrier_wait -1
	s_and_saveexec_b32 s10, s90
	s_cbranch_execz .LBB146_931
; %bb.930:                              ;   in Loop: Header=BB146_3 Depth=1
	ds_load_b64 v[48:49], v1 offset:2592
	ds_load_b64 v[50:51], v54
	s_wait_dscnt 0x0
	v_pk_mul_f32 v[52:53], v[50:51], v[48:49] op_sel_hi:[1,0]
	s_delay_alu instid0(VALU_DEP_1) | instskip(SKIP_1) | instid1(VALU_DEP_2)
	v_pk_fma_f32 v[102:103], v[50:51], v[48:49], v[52:53] op_sel:[1,1,0] op_sel_hi:[0,1,1]
	v_pk_fma_f32 v[48:49], v[50:51], v[48:49], v[52:53] op_sel:[1,1,0] op_sel_hi:[0,1,1] neg_lo:[0,0,1] neg_hi:[0,0,1]
	v_pk_add_f32 v[50:51], v[46:47], v[102:103] neg_lo:[0,1] neg_hi:[0,1]
	s_delay_alu instid0(VALU_DEP_2) | instskip(NEXT) | instid1(VALU_DEP_2)
	v_pk_add_f32 v[46:47], v[46:47], v[48:49]
	v_mov_b32_e32 v47, v51
.LBB146_931:                            ;   in Loop: Header=BB146_3 Depth=1
	s_or_b32 exec_lo, exec_lo, s10
	s_barrier_signal -1
	s_barrier_wait -1
	s_and_saveexec_b32 s10, s90
; %bb.932:                              ;   in Loop: Header=BB146_3 Depth=1
	v_pk_add_f32 v[48:49], v[46:47], 0 neg_lo:[1,1] neg_hi:[1,1]
	ds_store_b64 v54, v[48:49]
; %bb.933:                              ;   in Loop: Header=BB146_3 Depth=1
	s_or_b32 exec_lo, exec_lo, s10
	s_wait_dscnt 0x0
	s_barrier_signal -1
	s_barrier_wait -1
	s_barrier_signal -1
	s_barrier_wait -1
	s_and_saveexec_b32 s10, s1
; %bb.934:                              ;   in Loop: Header=BB146_3 Depth=1
	ds_store_b64 v58, v[46:47] offset:3616
; %bb.935:                              ;   in Loop: Header=BB146_3 Depth=1
	s_or_b32 exec_lo, exec_lo, s10
	s_wait_dscnt 0x0
	s_barrier_signal -1
	s_barrier_wait -1
	s_barrier_signal -1
	s_barrier_wait -1
	s_and_saveexec_b32 s10, s91
	s_cbranch_execz .LBB146_937
; %bb.936:                              ;   in Loop: Header=BB146_3 Depth=1
	ds_load_b64 v[46:47], v82 offset:3104
	s_wait_dscnt 0x0
	ds_store_b64 v3, v[46:47] offset:2096
	ds_load_b64 v[46:47], v82 offset:3112
	s_wait_dscnt 0x0
	ds_store_b64 v3, v[46:47] offset:2608
.LBB146_937:                            ;   in Loop: Header=BB146_3 Depth=1
	s_or_b32 exec_lo, exec_lo, s10
	s_wait_dscnt 0x0
	s_barrier_signal -1
	s_barrier_wait -1
	s_and_saveexec_b32 s10, s11
	s_cbranch_execz .LBB146_939
; %bb.938:                              ;   in Loop: Header=BB146_3 Depth=1
	ds_load_b64 v[46:47], v1 offset:2592
	v_add_nc_u32_e64 v0, 0x800, 0
	ds_store_b64 v1, v[38:39] offset:2600
	s_wait_dscnt 0x1
	ds_store_2addr_b64 v0, v[38:39], v[46:47] offset0:4 offset1:5
.LBB146_939:                            ;   in Loop: Header=BB146_3 Depth=1
	s_or_b32 exec_lo, exec_lo, s10
	v_mov_b64_e32 v[46:47], 0
	s_wait_dscnt 0x0
	s_barrier_signal -1
	s_barrier_wait -1
	global_wb scope:SCOPE_DEV
	s_wait_storecnt 0x0
	global_inv scope:SCOPE_DEV
	s_and_saveexec_b32 s13, s3
	s_cbranch_execz .LBB146_945
; %bb.940:                              ;   in Loop: Header=BB146_3 Depth=1
	ds_load_b64 v[46:47], v61 offset:2048
	ds_load_b64 v[48:49], v62 offset:3616
	s_wait_dscnt 0x0
	v_dual_mul_f32 v0, v49, v47 :: v_dual_mul_f32 v35, v48, v47
	s_delay_alu instid0(VALU_DEP_1) | instskip(NEXT) | instid1(VALU_DEP_1)
	v_dual_fma_f32 v0, v48, v46, -v0 :: v_dual_fmac_f32 v35, v49, v46
	v_dual_add_f32 v46, 0, v0 :: v_dual_add_f32 v47, 0, v35
	s_and_saveexec_b32 s10, s15
	s_cbranch_execnz .LBB146_1110
; %bb.941:                              ;   in Loop: Header=BB146_3 Depth=1
	s_or_b32 exec_lo, exec_lo, s10
	s_and_saveexec_b32 s10, s16
	s_cbranch_execnz .LBB146_1111
.LBB146_942:                            ;   in Loop: Header=BB146_3 Depth=1
	s_or_b32 exec_lo, exec_lo, s10
	s_and_saveexec_b32 s10, s1
	s_cbranch_execz .LBB146_944
.LBB146_943:                            ;   in Loop: Header=BB146_3 Depth=1
	ds_load_b64 v[48:49], v83 offset:3584
	ds_load_b64 v[50:51], v1 offset:3640
	s_wait_dscnt 0x0
	v_pk_mul_f32 v[52:53], v[50:51], v[48:49] op_sel:[1,1] op_sel_hi:[0,1]
	s_delay_alu instid0(VALU_DEP_1) | instskip(SKIP_1) | instid1(VALU_DEP_2)
	v_pk_fma_f32 v[102:103], v[50:51], v[48:49], v[52:53] op_sel_hi:[1,0,1]
	v_pk_fma_f32 v[48:49], v[50:51], v[48:49], v[52:53] neg_lo:[0,0,1] neg_hi:[0,0,1]
	v_mov_b32_e32 v49, v103
	s_delay_alu instid0(VALU_DEP_1)
	v_pk_add_f32 v[46:47], v[46:47], v[48:49]
.LBB146_944:                            ;   in Loop: Header=BB146_3 Depth=1
	s_or_b32 exec_lo, exec_lo, s10
.LBB146_945:                            ;   in Loop: Header=BB146_3 Depth=1
	s_delay_alu instid0(SALU_CYCLE_1)
	s_or_b32 exec_lo, exec_lo, s13
	s_and_saveexec_b32 s10, s92
; %bb.946:                              ;   in Loop: Header=BB146_3 Depth=1
	s_delay_alu instid0(VALU_DEP_1)
	v_pk_add_f32 v[48:49], v[46:47], 0 neg_lo:[1,1] neg_hi:[1,1]
	ds_store_b64 v60, v[48:49]
; %bb.947:                              ;   in Loop: Header=BB146_3 Depth=1
	s_or_b32 exec_lo, exec_lo, s10
	s_wait_loadcnt_dscnt 0x0
	s_barrier_signal -1
	s_barrier_wait -1
	s_and_saveexec_b32 s10, s93
	s_cbranch_execz .LBB146_949
; %bb.948:                              ;   in Loop: Header=BB146_3 Depth=1
	ds_load_b64 v[48:49], v61 offset:1536
	ds_load_b64 v[50:51], v60
	s_wait_dscnt 0x0
	v_pk_mul_f32 v[52:53], v[50:51], v[48:49] op_sel:[1,1] op_sel_hi:[0,1]
	s_delay_alu instid0(VALU_DEP_1) | instskip(SKIP_1) | instid1(VALU_DEP_2)
	v_pk_fma_f32 v[102:103], v[50:51], v[48:49], v[52:53] op_sel_hi:[1,0,1]
	v_pk_fma_f32 v[48:49], v[50:51], v[48:49], v[52:53] neg_lo:[0,0,1] neg_hi:[0,0,1]
	v_mov_b32_e32 v49, v103
	s_delay_alu instid0(VALU_DEP_1)
	v_pk_add_f32 v[46:47], v[46:47], v[48:49] neg_lo:[0,1] neg_hi:[0,1]
.LBB146_949:                            ;   in Loop: Header=BB146_3 Depth=1
	s_or_b32 exec_lo, exec_lo, s10
	s_barrier_signal -1
	s_barrier_wait -1
	s_and_saveexec_b32 s10, s94
; %bb.950:                              ;   in Loop: Header=BB146_3 Depth=1
	v_pk_add_f32 v[48:49], v[46:47], 0 neg_lo:[1,1] neg_hi:[1,1]
	ds_store_b64 v60, v[48:49]
; %bb.951:                              ;   in Loop: Header=BB146_3 Depth=1
	s_or_b32 exec_lo, exec_lo, s10
	s_wait_dscnt 0x0
	s_barrier_signal -1
	s_barrier_wait -1
	s_and_saveexec_b32 s10, s95
	s_cbranch_execz .LBB146_953
; %bb.952:                              ;   in Loop: Header=BB146_3 Depth=1
	ds_load_b64 v[48:49], v61 offset:1024
	ds_load_b64 v[50:51], v60
	s_wait_dscnt 0x0
	v_pk_mul_f32 v[52:53], v[50:51], v[48:49] op_sel:[1,1] op_sel_hi:[0,1]
	s_delay_alu instid0(VALU_DEP_1) | instskip(SKIP_1) | instid1(VALU_DEP_2)
	v_pk_fma_f32 v[102:103], v[50:51], v[48:49], v[52:53] op_sel_hi:[1,0,1]
	v_pk_fma_f32 v[48:49], v[50:51], v[48:49], v[52:53] neg_lo:[0,0,1] neg_hi:[0,0,1]
	v_mov_b32_e32 v49, v103
	s_delay_alu instid0(VALU_DEP_1)
	v_pk_add_f32 v[46:47], v[46:47], v[48:49] neg_lo:[0,1] neg_hi:[0,1]
.LBB146_953:                            ;   in Loop: Header=BB146_3 Depth=1
	s_or_b32 exec_lo, exec_lo, s10
	s_barrier_signal -1
	s_barrier_wait -1
	s_and_saveexec_b32 s10, s96
; %bb.954:                              ;   in Loop: Header=BB146_3 Depth=1
	v_pk_add_f32 v[48:49], v[46:47], 0 neg_lo:[1,1] neg_hi:[1,1]
	ds_store_b64 v60, v[48:49]
; %bb.955:                              ;   in Loop: Header=BB146_3 Depth=1
	s_or_b32 exec_lo, exec_lo, s10
	s_wait_dscnt 0x0
	;; [unrolled: 26-line block ×3, first 2 shown]
	s_barrier_signal -1
	s_barrier_wait -1
	s_barrier_signal -1
	s_barrier_wait -1
	s_and_saveexec_b32 s10, s3
; %bb.960:                              ;   in Loop: Header=BB146_3 Depth=1
	ds_store_b64 v64, v[46:47] offset:3584
; %bb.961:                              ;   in Loop: Header=BB146_3 Depth=1
	s_or_b32 exec_lo, exec_lo, s10
	s_wait_dscnt 0x0
	s_barrier_signal -1
	s_barrier_wait -1
	s_barrier_signal -1
	s_barrier_wait -1
	s_and_saveexec_b32 s10, s98
	s_cbranch_execz .LBB146_963
; %bb.962:                              ;   in Loop: Header=BB146_3 Depth=1
	ds_load_b64 v[46:47], v84 offset:2048
	s_wait_dscnt 0x0
	ds_store_b64 v86, v[46:47] offset:32
	ds_load_b64 v[46:47], v84 offset:2056
	s_wait_dscnt 0x0
	ds_store_b64 v86, v[46:47] offset:544
	ds_load_b64 v[46:47], v84 offset:2064
	s_wait_dscnt 0x0
	ds_store_b64 v86, v[46:47] offset:1056
	ds_load_b64 v[46:47], v84 offset:2072
	s_wait_dscnt 0x0
	ds_store_b64 v86, v[46:47] offset:1568
.LBB146_963:                            ;   in Loop: Header=BB146_3 Depth=1
	s_or_b32 exec_lo, exec_lo, s10
	s_wait_dscnt 0x0
	s_barrier_signal -1
	s_barrier_wait -1
	s_and_saveexec_b32 s10, s11
	s_cbranch_execz .LBB146_965
; %bb.964:                              ;   in Loop: Header=BB146_3 Depth=1
	ds_load_b64 v[46:47], v1 offset:1552
	ds_store_b64 v1, v[38:39] offset:1560
	s_wait_dscnt 0x1
	ds_store_2addr_b64 v1, v[38:39], v[46:47] offset0:130 offset1:131
.LBB146_965:                            ;   in Loop: Header=BB146_3 Depth=1
	s_or_b32 exec_lo, exec_lo, s10
	v_dual_mov_b32 v46, 0 :: v_dual_mov_b32 v47, 0
	s_wait_dscnt 0x0
	s_barrier_signal -1
	s_barrier_wait -1
	global_wb scope:SCOPE_DEV
	s_wait_storecnt 0x0
	global_inv scope:SCOPE_DEV
	s_and_saveexec_b32 s13, s1
	s_cbranch_execz .LBB146_969
; %bb.966:                              ;   in Loop: Header=BB146_3 Depth=1
	ds_load_b64 v[46:47], v55 offset:1024
	ds_load_b64 v[48:49], v56 offset:1552
	s_wait_dscnt 0x0
	v_pk_mul_f32 v[50:51], v[48:49], v[46:47] op_sel:[1,1] op_sel_hi:[0,1]
	s_delay_alu instid0(VALU_DEP_1) | instskip(SKIP_1) | instid1(VALU_DEP_2)
	v_pk_fma_f32 v[52:53], v[48:49], v[46:47], v[50:51] op_sel_hi:[1,0,1]
	v_pk_fma_f32 v[46:47], v[48:49], v[46:47], v[50:51] neg_lo:[0,0,1] neg_hi:[0,0,1]
	v_mov_b32_e32 v47, v53
	s_delay_alu instid0(VALU_DEP_1)
	v_pk_add_f32 v[46:47], v[46:47], 0 op_sel_hi:[1,0]
	s_and_saveexec_b32 s10, s14
	s_cbranch_execz .LBB146_968
; %bb.967:                              ;   in Loop: Header=BB146_3 Depth=1
	ds_load_b64 v[48:49], v86 offset:1536
	ds_load_b64 v[50:51], v1 offset:1560
	s_wait_dscnt 0x0
	v_pk_mul_f32 v[52:53], v[50:51], v[48:49] op_sel:[1,1] op_sel_hi:[0,1]
	s_delay_alu instid0(VALU_DEP_1) | instskip(SKIP_1) | instid1(VALU_DEP_2)
	v_pk_fma_f32 v[102:103], v[50:51], v[48:49], v[52:53] op_sel_hi:[1,0,1]
	v_pk_fma_f32 v[48:49], v[50:51], v[48:49], v[52:53] neg_lo:[0,0,1] neg_hi:[0,0,1]
	v_mov_b32_e32 v49, v103
	s_delay_alu instid0(VALU_DEP_1)
	v_pk_add_f32 v[46:47], v[46:47], v[48:49]
.LBB146_968:                            ;   in Loop: Header=BB146_3 Depth=1
	s_or_b32 exec_lo, exec_lo, s10
.LBB146_969:                            ;   in Loop: Header=BB146_3 Depth=1
	s_delay_alu instid0(SALU_CYCLE_1)
	s_or_b32 exec_lo, exec_lo, s13
	s_and_saveexec_b32 s10, s89
; %bb.970:                              ;   in Loop: Header=BB146_3 Depth=1
	s_delay_alu instid0(VALU_DEP_1)
	v_pk_add_f32 v[48:49], v[46:47], 0 neg_lo:[1,1] neg_hi:[1,1]
	ds_store_b64 v54, v[48:49]
; %bb.971:                              ;   in Loop: Header=BB146_3 Depth=1
	s_or_b32 exec_lo, exec_lo, s10
	s_wait_loadcnt_dscnt 0x0
	s_barrier_signal -1
	s_barrier_wait -1
	s_and_saveexec_b32 s10, s90
	s_cbranch_execz .LBB146_973
; %bb.972:                              ;   in Loop: Header=BB146_3 Depth=1
	ds_load_b64 v[48:49], v1 offset:512
	ds_load_b64 v[50:51], v54
	s_wait_dscnt 0x0
	v_pk_mul_f32 v[52:53], v[50:51], v[48:49] op_sel_hi:[1,0]
	s_delay_alu instid0(VALU_DEP_1) | instskip(SKIP_1) | instid1(VALU_DEP_2)
	v_pk_fma_f32 v[102:103], v[50:51], v[48:49], v[52:53] op_sel:[1,1,0] op_sel_hi:[0,1,1]
	v_pk_fma_f32 v[48:49], v[50:51], v[48:49], v[52:53] op_sel:[1,1,0] op_sel_hi:[0,1,1] neg_lo:[0,0,1] neg_hi:[0,0,1]
	v_pk_add_f32 v[50:51], v[46:47], v[102:103] neg_lo:[0,1] neg_hi:[0,1]
	s_delay_alu instid0(VALU_DEP_2) | instskip(NEXT) | instid1(VALU_DEP_2)
	v_pk_add_f32 v[46:47], v[46:47], v[48:49]
	v_mov_b32_e32 v47, v51
.LBB146_973:                            ;   in Loop: Header=BB146_3 Depth=1
	s_or_b32 exec_lo, exec_lo, s10
	s_barrier_signal -1
	s_barrier_wait -1
	s_and_saveexec_b32 s10, s90
; %bb.974:                              ;   in Loop: Header=BB146_3 Depth=1
	v_pk_add_f32 v[48:49], v[46:47], 0 neg_lo:[1,1] neg_hi:[1,1]
	ds_store_b64 v54, v[48:49]
; %bb.975:                              ;   in Loop: Header=BB146_3 Depth=1
	s_or_b32 exec_lo, exec_lo, s10
	s_wait_dscnt 0x0
	s_barrier_signal -1
	s_barrier_wait -1
	s_barrier_signal -1
	s_barrier_wait -1
	s_and_saveexec_b32 s10, s1
; %bb.976:                              ;   in Loop: Header=BB146_3 Depth=1
	ds_store_b64 v58, v[46:47] offset:1536
; %bb.977:                              ;   in Loop: Header=BB146_3 Depth=1
	s_or_b32 exec_lo, exec_lo, s10
	s_wait_dscnt 0x0
	s_barrier_signal -1
	s_barrier_wait -1
	s_barrier_signal -1
	s_barrier_wait -1
	s_and_saveexec_b32 s10, s91
	s_cbranch_execz .LBB146_979
; %bb.978:                              ;   in Loop: Header=BB146_3 Depth=1
	ds_load_b64 v[46:47], v89 offset:1024
	s_wait_dscnt 0x0
	ds_store_b64 v86, v[46:47] offset:16
	ds_load_b64 v[46:47], v89 offset:1032
	s_wait_dscnt 0x0
	ds_store_b64 v86, v[46:47] offset:528
.LBB146_979:                            ;   in Loop: Header=BB146_3 Depth=1
	s_or_b32 exec_lo, exec_lo, s10
	s_wait_dscnt 0x0
	s_barrier_signal -1
	s_barrier_wait -1
	s_and_saveexec_b32 s10, s11
	s_cbranch_execz .LBB146_981
; %bb.980:                              ;   in Loop: Header=BB146_3 Depth=1
	ds_load_b64 v[46:47], v1 offset:512
	ds_store_b64 v1, v[38:39] offset:520
	s_wait_dscnt 0x1
	ds_store_2addr_b64 v1, v[38:39], v[46:47] offset1:1
.LBB146_981:                            ;   in Loop: Header=BB146_3 Depth=1
	s_or_b32 exec_lo, exec_lo, s10
.LBB146_982:                            ;   in Loop: Header=BB146_3 Depth=1
	v_add_nc_u64_e32 v[44:45], s[68:69], v[44:45]
	v_mov_b64_e32 v[46:47], 0
	s_wait_dscnt 0x0
	s_barrier_signal -1
	s_barrier_wait -1
	s_wait_xcnt 0x0
	s_and_saveexec_b32 s10, s50
	s_cbranch_execz .LBB146_984
; %bb.983:                              ;   in Loop: Header=BB146_3 Depth=1
	v_lshl_add_u64 v[46:47], v[12:13], 3, v[44:45]
	flat_load_b64 v[46:47], v[46:47]
	s_wait_loadcnt_dscnt 0x0
	v_pk_mul_f32 v[48:49], v[42:43], v[46:47] op_sel:[1,0] neg_lo:[1,0]
	s_delay_alu instid0(VALU_DEP_1)
	v_pk_fma_f32 v[46:47], v[42:43], v[46:47], v[48:49] op_sel:[0,0,1] op_sel_hi:[0,1,0] neg_lo:[1,0,0] neg_hi:[1,0,0]
.LBB146_984:                            ;   in Loop: Header=BB146_3 Depth=1
	s_or_b32 exec_lo, exec_lo, s10
	s_delay_alu instid0(SALU_CYCLE_1)
	s_and_not1_b32 vcc_lo, exec_lo, s51
	s_cbranch_vccnz .LBB146_1003
; %bb.985:                              ;   in Loop: Header=BB146_3 Depth=1
	v_mov_b32_e32 v35, -1
	s_lshl_b64 s[82:83], s[76:77], 2
	s_mov_b32 s13, 0
	s_add_nc_u64 s[82:83], s[78:79], s[82:83]
	s_branch .LBB146_987
.LBB146_986:                            ;   in Loop: Header=BB146_987 Depth=2
	s_or_b32 exec_lo, exec_lo, s10
	s_add_co_i32 s13, s13, 1
	s_delay_alu instid0(SALU_CYCLE_1)
	s_cmp_eq_u32 s13, s85
	s_cbranch_scc1 .LBB146_1003
.LBB146_987:                            ;   Parent Loop BB146_3 Depth=1
                                        ; =>  This Loop Header: Depth=2
                                        ;       Child Loop BB146_989 Depth 3
	v_cmp_gt_i32_e32 vcc_lo, s13, v35
	s_and_b32 s62, s36, vcc_lo
	s_delay_alu instid0(SALU_CYCLE_1)
	s_and_saveexec_b32 s10, s62
	s_cbranch_execz .LBB146_990
; %bb.988:                              ;   in Loop: Header=BB146_987 Depth=2
	global_load_b32 v35, v1, s[82:83]
	s_wait_loadcnt 0x0
	v_cmp_le_i32_e32 vcc_lo, s13, v35
	s_cbranch_vccnz .LBB146_990
.LBB146_989:                            ;   Parent Loop BB146_3 Depth=1
                                        ;     Parent Loop BB146_987 Depth=2
                                        ; =>    This Inner Loop Header: Depth=3
	global_wb scope:SCOPE_DEV
	s_wait_storecnt 0x0
	global_inv scope:SCOPE_DEV
	global_load_b32 v35, v1, s[82:83]
	s_wait_loadcnt 0x0
	v_cmp_gt_i32_e32 vcc_lo, s13, v35
	s_cbranch_vccnz .LBB146_989
.LBB146_990:                            ;   in Loop: Header=BB146_987 Depth=2
	s_or_b32 exec_lo, exec_lo, s10
	s_lshl_b32 s62, s13, 6
	global_wb scope:SCOPE_DEV
	s_wait_storecnt 0x0
	global_inv scope:SCOPE_DEV
	s_wait_loadcnt 0x0
	s_barrier_signal -1
	s_barrier_wait -1
	s_and_saveexec_b32 s10, s37
	s_cbranch_execz .LBB146_995
; %bb.991:                              ;   in Loop: Header=BB146_987 Depth=2
	v_or_b32_e32 v0, s62, v6
	s_delay_alu instid0(VALU_DEP_1) | instskip(SKIP_1) | instid1(SALU_CYCLE_1)
	v_cmp_le_i32_e32 vcc_lo, s84, v0
	s_and_saveexec_b32 s52, vcc_lo
	s_xor_b32 vcc_lo, exec_lo, s52
; %bb.992:                              ;   in Loop: Header=BB146_987 Depth=2
	ds_store_b64 v94, v[36:37]
; %bb.993:                              ;   in Loop: Header=BB146_987 Depth=2
	s_and_not1_saveexec_b32 s52, vcc_lo
	s_cbranch_execz .LBB146_995
; %bb.994:                              ;   in Loop: Header=BB146_987 Depth=2
	v_mul_u64_e32 v[42:43], s[70:71], v[0:1]
	s_delay_alu instid0(VALU_DEP_1)
	v_lshl_add_u64 v[42:43], v[42:43], 3, v[44:45]
	flat_load_b64 v[42:43], v[42:43]
	s_wait_loadcnt_dscnt 0x0
	ds_store_b64 v94, v[42:43]
.LBB146_995:                            ;   in Loop: Header=BB146_987 Depth=2
	s_or_b32 exec_lo, exec_lo, s10
	v_add_nc_u32_e32 v0, s62, v2
	s_wait_dscnt 0x0
	v_cmp_eq_u32_e32 vcc_lo, s13, v5
	s_barrier_signal -1
	s_barrier_wait -1
	v_cmp_gt_i32_e64 s62, s84, v0
	v_lshl_add_u64 v[42:43], v[0:1], 3, v[40:41]
	s_and_b32 s52, s62, s0
	s_delay_alu instid0(SALU_CYCLE_1)
	s_and_saveexec_b32 s10, s52
	s_cbranch_execz .LBB146_997
; %bb.996:                              ;   in Loop: Header=BB146_987 Depth=2
	s_delay_alu instid0(VALU_DEP_1) | instskip(SKIP_4) | instid1(VALU_DEP_1)
	v_dual_cndmask_b32 v49, v43, v25 :: v_dual_cndmask_b32 v48, v42, v24
	ds_load_b64 v[50:51], v91
	flat_load_b64 v[48:49], v[48:49]
	s_wait_loadcnt_dscnt 0x0
	v_dual_mul_f32 v52, v51, v49 :: v_dual_mul_f32 v49, v50, v49
	v_dual_fma_f32 v50, v50, v48, -v52 :: v_dual_fmac_f32 v49, v51, v48
	s_delay_alu instid0(VALU_DEP_1)
	v_dual_add_f32 v46, v46, v50 :: v_dual_add_f32 v47, v47, v49
.LBB146_997:                            ;   in Loop: Header=BB146_987 Depth=2
	s_or_b32 exec_lo, exec_lo, s10
	v_add_nc_u32_e32 v48, 16, v0
	s_delay_alu instid0(VALU_DEP_1) | instskip(SKIP_1) | instid1(SALU_CYCLE_1)
	v_cmp_gt_i32_e64 s62, s84, v48
	s_and_b32 s52, s62, s0
	s_and_saveexec_b32 s10, s52
	s_cbranch_execz .LBB146_999
; %bb.998:                              ;   in Loop: Header=BB146_987 Depth=2
	v_add_nc_u64_e32 v[48:49], 0x80, v[42:43]
	ds_load_b64 v[50:51], v91 offset:128
	v_dual_cndmask_b32 v49, v49, v27 :: v_dual_cndmask_b32 v48, v48, v26
	flat_load_b64 v[48:49], v[48:49]
	s_wait_loadcnt_dscnt 0x0
	v_dual_mul_f32 v52, v51, v49 :: v_dual_mul_f32 v49, v50, v49
	s_delay_alu instid0(VALU_DEP_1) | instskip(NEXT) | instid1(VALU_DEP_1)
	v_dual_fma_f32 v50, v50, v48, -v52 :: v_dual_fmac_f32 v49, v51, v48
	v_dual_add_f32 v46, v46, v50 :: v_dual_add_f32 v47, v47, v49
.LBB146_999:                            ;   in Loop: Header=BB146_987 Depth=2
	s_or_b32 exec_lo, exec_lo, s10
	v_add_nc_u32_e32 v48, 32, v0
	s_delay_alu instid0(VALU_DEP_1) | instskip(SKIP_1) | instid1(SALU_CYCLE_1)
	v_cmp_gt_i32_e64 s62, s84, v48
	s_and_b32 s52, s62, s0
	s_and_saveexec_b32 s10, s52
	s_cbranch_execz .LBB146_1001
; %bb.1000:                             ;   in Loop: Header=BB146_987 Depth=2
	v_add_nc_u64_e32 v[48:49], 0x100, v[42:43]
	ds_load_b64 v[50:51], v91 offset:256
	v_dual_cndmask_b32 v49, v49, v29 :: v_dual_cndmask_b32 v48, v48, v28
	flat_load_b64 v[48:49], v[48:49]
	s_wait_loadcnt_dscnt 0x0
	v_dual_mul_f32 v52, v51, v49 :: v_dual_mul_f32 v53, v50, v49
	s_delay_alu instid0(VALU_DEP_1) | instskip(NEXT) | instid1(VALU_DEP_1)
	v_dual_fma_f32 v52, v50, v48, -v52 :: v_dual_fmac_f32 v53, v51, v48
	v_pk_add_f32 v[46:47], v[46:47], v[52:53]
.LBB146_1001:                           ;   in Loop: Header=BB146_987 Depth=2
	s_or_b32 exec_lo, exec_lo, s10
	v_add_nc_u32_e32 v0, 48, v0
	s_delay_alu instid0(VALU_DEP_1) | instskip(SKIP_1) | instid1(SALU_CYCLE_1)
	v_cmp_gt_i32_e64 s62, s84, v0
	s_and_b32 s52, s62, s0
	s_and_saveexec_b32 s10, s52
	s_cbranch_execz .LBB146_986
; %bb.1002:                             ;   in Loop: Header=BB146_987 Depth=2
	v_add_nc_u64_e32 v[42:43], 0x180, v[42:43]
	ds_load_b64 v[48:49], v91 offset:384
	v_dual_cndmask_b32 v43, v43, v31 :: v_dual_cndmask_b32 v42, v42, v30
	flat_load_b64 v[42:43], v[42:43]
	s_wait_loadcnt_dscnt 0x0
	v_pk_mul_f32 v[50:51], v[48:49], v[42:43] op_sel:[1,1] op_sel_hi:[0,1]
	s_delay_alu instid0(VALU_DEP_1) | instskip(SKIP_1) | instid1(VALU_DEP_2)
	v_pk_fma_f32 v[52:53], v[48:49], v[42:43], v[50:51] op_sel_hi:[1,0,1]
	v_pk_fma_f32 v[42:43], v[48:49], v[42:43], v[50:51] neg_lo:[0,0,1] neg_hi:[0,0,1]
	v_mov_b32_e32 v43, v53
	s_delay_alu instid0(VALU_DEP_1)
	v_pk_add_f32 v[46:47], v[46:47], v[42:43]
	s_branch .LBB146_986
.LBB146_1003:                           ;   in Loop: Header=BB146_3 Depth=1
	ds_store_b64 v95, v[46:47]
	s_wait_dscnt 0x0
	s_barrier_signal -1
	s_barrier_wait -1
	s_and_saveexec_b32 s13, s2
	s_cbranch_execz .LBB146_1005
; %bb.1004:                             ;   in Loop: Header=BB146_3 Depth=1
	ds_load_2addr_stride64_b64 v[40:43], v96 offset0:1 offset1:2
	ds_load_2addr_stride64_b64 v[48:51], v96 offset0:3 offset1:4
	;; [unrolled: 1-line block ×3, first 2 shown]
	s_wait_dscnt 0x2
	v_pk_add_f32 v[40:41], v[46:47], v[40:41]
	s_delay_alu instid0(VALU_DEP_1) | instskip(SKIP_3) | instid1(VALU_DEP_1)
	v_pk_add_f32 v[46:47], v[40:41], v[42:43]
	ds_load_2addr_stride64_b64 v[40:43], v96 offset0:7 offset1:8
	s_wait_dscnt 0x2
	v_pk_add_f32 v[46:47], v[46:47], v[48:49]
	v_pk_add_f32 v[50:51], v[46:47], v[50:51]
	ds_load_2addr_stride64_b64 v[46:49], v96 offset0:9 offset1:10
	s_wait_dscnt 0x2
	v_pk_add_f32 v[50:51], v[50:51], v[102:103]
	s_delay_alu instid0(VALU_DEP_1) | instskip(SKIP_3) | instid1(VALU_DEP_1)
	v_pk_add_f32 v[102:103], v[50:51], v[104:105]
	ds_load_2addr_stride64_b64 v[50:53], v96 offset0:11 offset1:12
	s_wait_dscnt 0x2
	v_pk_add_f32 v[40:41], v[102:103], v[40:41]
	v_pk_add_f32 v[102:103], v[40:41], v[42:43]
	ds_load_2addr_stride64_b64 v[40:43], v96 offset0:13 offset1:14
	s_wait_dscnt 0x2
	v_pk_add_f32 v[46:47], v[102:103], v[46:47]
	s_delay_alu instid0(VALU_DEP_1) | instskip(SKIP_3) | instid1(VALU_DEP_1)
	v_pk_add_f32 v[46:47], v[46:47], v[48:49]
	ds_load_b64 v[48:49], v96 offset:7680
	s_wait_dscnt 0x2
	v_pk_add_f32 v[46:47], v[46:47], v[50:51]
	v_pk_add_f32 v[46:47], v[46:47], v[52:53]
	s_wait_dscnt 0x1
	s_delay_alu instid0(VALU_DEP_1) | instskip(NEXT) | instid1(VALU_DEP_1)
	v_pk_add_f32 v[40:41], v[46:47], v[40:41]
	v_pk_add_f32 v[40:41], v[40:41], v[42:43]
	s_wait_dscnt 0x0
	s_delay_alu instid0(VALU_DEP_1) | instskip(NEXT) | instid1(VALU_DEP_1)
	v_pk_add_f32 v[40:41], v[40:41], v[48:49]
	v_cndmask_b32_e64 v47, -v41, 0, s49
	s_delay_alu instid0(VALU_DEP_2)
	v_cndmask_b32_e64 v46, -v40, 0, s49
.LBB146_1005:                           ;   in Loop: Header=BB146_3 Depth=1
	s_or_b32 exec_lo, exec_lo, s13
	s_delay_alu instid0(SALU_CYCLE_1)
	s_and_not1_b32 vcc_lo, exec_lo, s88
	s_cbranch_vccnz .LBB146_1015
; %bb.1006:                             ;   in Loop: Header=BB146_3 Depth=1
	s_and_saveexec_b32 s10, s2
; %bb.1007:                             ;   in Loop: Header=BB146_3 Depth=1
	ds_store_b64 v99, v[46:47]
; %bb.1008:                             ;   in Loop: Header=BB146_3 Depth=1
	s_or_b32 exec_lo, exec_lo, s10
	v_mov_b64_e32 v[40:41], 0
	s_wait_dscnt 0x0
	s_barrier_signal -1
	s_barrier_wait -1
	s_and_saveexec_b32 s10, s6
	s_cbranch_execnz .LBB146_1054
; %bb.1009:                             ;   in Loop: Header=BB146_3 Depth=1
	s_or_b32 exec_lo, exec_lo, s10
	s_and_saveexec_b32 s10, s7
	s_cbranch_execnz .LBB146_1055
.LBB146_1010:                           ;   in Loop: Header=BB146_3 Depth=1
	s_or_b32 exec_lo, exec_lo, s10
	s_and_saveexec_b32 s10, s8
	s_cbranch_execnz .LBB146_1056
.LBB146_1011:                           ;   in Loop: Header=BB146_3 Depth=1
	s_or_b32 exec_lo, exec_lo, s10
	s_and_saveexec_b32 s10, s9
	s_cbranch_execz .LBB146_1013
.LBB146_1012:                           ;   in Loop: Header=BB146_3 Depth=1
	ds_load_b64 v[42:43], v98 offset:24576
	ds_load_b64 v[48:49], v91 offset:384
	s_wait_dscnt 0x0
	v_pk_mul_f32 v[50:51], v[48:49], v[42:43] op_sel:[1,1] op_sel_hi:[0,1]
	s_delay_alu instid0(VALU_DEP_1) | instskip(SKIP_1) | instid1(VALU_DEP_2)
	v_pk_fma_f32 v[52:53], v[48:49], v[42:43], v[50:51] op_sel_hi:[1,0,1]
	v_pk_fma_f32 v[42:43], v[48:49], v[42:43], v[50:51] neg_lo:[0,0,1] neg_hi:[0,0,1]
	v_mov_b32_e32 v43, v53
	s_delay_alu instid0(VALU_DEP_1)
	v_pk_add_f32 v[40:41], v[40:41], v[42:43]
.LBB146_1013:                           ;   in Loop: Header=BB146_3 Depth=1
	s_or_b32 exec_lo, exec_lo, s10
	s_mov_b32 s13, 0
	s_mov_b32 s62, 0
	ds_store_b64 v95, v[40:41]
	s_wait_dscnt 0x0
	s_barrier_signal -1
	s_barrier_wait -1
                                        ; implicit-def: $vgpr42_vgpr43
	s_and_saveexec_b32 s82, s2
	s_cbranch_execz .LBB146_1057
; %bb.1014:                             ;   in Loop: Header=BB146_3 Depth=1
	ds_load_2addr_stride64_b64 v[48:51], v96 offset0:1 offset1:2
	ds_load_2addr_stride64_b64 v[102:105], v96 offset0:3 offset1:4
	;; [unrolled: 1-line block ×3, first 2 shown]
	s_mov_b32 s62, exec_lo
	s_wait_dscnt 0x2
	v_pk_add_f32 v[40:41], v[40:41], v[48:49]
	s_delay_alu instid0(VALU_DEP_1) | instskip(SKIP_3) | instid1(VALU_DEP_1)
	v_pk_add_f32 v[48:49], v[40:41], v[50:51]
	ds_load_2addr_stride64_b64 v[40:43], v96 offset0:7 offset1:8
	s_wait_dscnt 0x2
	v_pk_add_f32 v[48:49], v[48:49], v[102:103]
	v_pk_add_f32 v[52:53], v[48:49], v[104:105]
	ds_load_2addr_stride64_b64 v[48:51], v96 offset0:9 offset1:10
	ds_load_2addr_stride64_b64 v[102:105], v96 offset0:11 offset1:12
	s_wait_dscnt 0x3
	v_pk_add_f32 v[52:53], v[52:53], v[106:107]
	s_delay_alu instid0(VALU_DEP_1) | instskip(SKIP_1) | instid1(VALU_DEP_1)
	v_pk_add_f32 v[52:53], v[52:53], v[108:109]
	s_wait_dscnt 0x2
	v_pk_add_f32 v[40:41], v[52:53], v[40:41]
	s_delay_alu instid0(VALU_DEP_1) | instskip(SKIP_1) | instid1(VALU_DEP_1)
	v_pk_add_f32 v[40:41], v[40:41], v[42:43]
	s_wait_dscnt 0x1
	v_pk_add_f32 v[48:49], v[40:41], v[48:49]
	ds_load_2addr_stride64_b64 v[40:43], v96 offset0:13 offset1:14
	v_pk_add_f32 v[48:49], v[48:49], v[50:51]
	ds_load_b64 v[50:51], v96 offset:7680
	s_wait_dscnt 0x2
	v_pk_add_f32 v[48:49], v[48:49], v[102:103]
	s_delay_alu instid0(VALU_DEP_1) | instskip(SKIP_1) | instid1(VALU_DEP_1)
	v_pk_add_f32 v[48:49], v[48:49], v[104:105]
	s_wait_dscnt 0x1
	v_pk_add_f32 v[40:41], v[48:49], v[40:41]
	s_delay_alu instid0(VALU_DEP_1) | instskip(SKIP_1) | instid1(VALU_DEP_1)
	v_pk_add_f32 v[40:41], v[40:41], v[42:43]
	s_wait_dscnt 0x0
	v_pk_add_f32 v[42:43], v[40:41], v[50:51]
	s_or_b32 exec_lo, exec_lo, s82
	s_delay_alu instid0(SALU_CYCLE_1)
	s_and_b32 vcc_lo, exec_lo, s13
	s_cbranch_vccnz .LBB146_1016
	s_branch .LBB146_1058
.LBB146_1015:                           ;   in Loop: Header=BB146_3 Depth=1
	s_mov_b32 s62, 0
                                        ; implicit-def: $vgpr42_vgpr43
	s_cbranch_execz .LBB146_1058
.LBB146_1016:                           ;   in Loop: Header=BB146_3 Depth=1
	v_dual_mov_b32 v0, v4 :: v_dual_mov_b32 v35, v97
	s_mov_b32 s13, 0
	s_branch .LBB146_1018
.LBB146_1017:                           ;   in Loop: Header=BB146_1018 Depth=2
	s_or_b32 exec_lo, exec_lo, s10
	v_add_nc_u32_e32 v35, 0x800, v35
	v_add_nc_u32_e32 v0, -4, v0
	s_add_co_i32 s13, s13, 4
	s_delay_alu instid0(SALU_CYCLE_1)
	s_cmp_lg_u32 s13, 64
	s_barrier_signal -1
	s_barrier_wait -1
	s_cbranch_scc0 .LBB146_1034
.LBB146_1018:                           ;   Parent Loop BB146_3 Depth=1
                                        ; =>  This Inner Loop Header: Depth=2
	s_delay_alu instid0(VALU_DEP_1) | instskip(SKIP_1) | instid1(SALU_CYCLE_1)
	v_cmp_eq_u32_e32 vcc_lo, 0, v0
	s_and_b32 s52, s2, vcc_lo
	s_and_saveexec_b32 s10, s52
; %bb.1019:                             ;   in Loop: Header=BB146_1018 Depth=2
	ds_store_b64 v1, v[46:47] offset:41472
; %bb.1020:                             ;   in Loop: Header=BB146_1018 Depth=2
	s_or_b32 exec_lo, exec_lo, s10
	v_cmp_lt_u32_e32 vcc_lo, s13, v4
	s_wait_dscnt 0x0
	s_barrier_signal -1
	s_barrier_wait -1
	s_and_b32 s52, s2, vcc_lo
	s_delay_alu instid0(SALU_CYCLE_1)
	s_and_saveexec_b32 s10, s52
	s_cbranch_execz .LBB146_1022
; %bb.1021:                             ;   in Loop: Header=BB146_1018 Depth=2
	ds_load_b64 v[40:41], v35
	ds_load_b64 v[42:43], v1 offset:41472
	s_wait_dscnt 0x0
	v_pk_mul_f32 v[48:49], v[42:43], v[40:41] op_sel:[1,1] op_sel_hi:[0,1]
	s_delay_alu instid0(VALU_DEP_1) | instskip(SKIP_1) | instid1(VALU_DEP_2)
	v_pk_fma_f32 v[50:51], v[42:43], v[40:41], v[48:49] op_sel_hi:[1,0,1]
	v_pk_fma_f32 v[40:41], v[42:43], v[40:41], v[48:49] neg_lo:[0,0,1] neg_hi:[0,0,1]
	v_mov_b32_e32 v41, v51
	s_delay_alu instid0(VALU_DEP_1)
	v_pk_add_f32 v[46:47], v[46:47], v[40:41]
.LBB146_1022:                           ;   in Loop: Header=BB146_1018 Depth=2
	s_or_b32 exec_lo, exec_lo, s10
	s_or_b32 s10, s13, 1
	s_delay_alu instid0(SALU_CYCLE_1) | instskip(SKIP_3) | instid1(SALU_CYCLE_1)
	v_cmp_eq_u32_e32 vcc_lo, s10, v4
	s_barrier_signal -1
	s_barrier_wait -1
	s_and_b32 s52, s2, vcc_lo
	s_and_saveexec_b32 s82, s52
; %bb.1023:                             ;   in Loop: Header=BB146_1018 Depth=2
	ds_store_b64 v1, v[46:47] offset:41472
; %bb.1024:                             ;   in Loop: Header=BB146_1018 Depth=2
	s_or_b32 exec_lo, exec_lo, s82
	v_cmp_lt_u32_e32 vcc_lo, s10, v4
	s_wait_dscnt 0x0
	s_barrier_signal -1
	s_barrier_wait -1
	s_and_b32 s52, s2, vcc_lo
	s_delay_alu instid0(SALU_CYCLE_1)
	s_and_saveexec_b32 s10, s52
	s_cbranch_execz .LBB146_1026
; %bb.1025:                             ;   in Loop: Header=BB146_1018 Depth=2
	ds_load_b64 v[40:41], v35 offset:512
	ds_load_b64 v[42:43], v1 offset:41472
	s_wait_dscnt 0x0
	v_pk_mul_f32 v[48:49], v[42:43], v[40:41] op_sel:[1,1] op_sel_hi:[0,1]
	s_delay_alu instid0(VALU_DEP_1) | instskip(SKIP_1) | instid1(VALU_DEP_2)
	v_pk_fma_f32 v[50:51], v[42:43], v[40:41], v[48:49] op_sel_hi:[1,0,1]
	v_pk_fma_f32 v[40:41], v[42:43], v[40:41], v[48:49] neg_lo:[0,0,1] neg_hi:[0,0,1]
	v_mov_b32_e32 v41, v51
	s_delay_alu instid0(VALU_DEP_1)
	v_pk_add_f32 v[46:47], v[46:47], v[40:41]
.LBB146_1026:                           ;   in Loop: Header=BB146_1018 Depth=2
	s_or_b32 exec_lo, exec_lo, s10
	s_or_b32 s10, s13, 2
	s_delay_alu instid0(SALU_CYCLE_1) | instskip(SKIP_3) | instid1(SALU_CYCLE_1)
	v_cmp_eq_u32_e32 vcc_lo, s10, v4
	s_barrier_signal -1
	s_barrier_wait -1
	s_and_b32 s52, s2, vcc_lo
	s_and_saveexec_b32 s82, s52
; %bb.1027:                             ;   in Loop: Header=BB146_1018 Depth=2
	ds_store_b64 v1, v[46:47] offset:41472
; %bb.1028:                             ;   in Loop: Header=BB146_1018 Depth=2
	s_or_b32 exec_lo, exec_lo, s82
	v_cmp_lt_u32_e32 vcc_lo, s10, v4
	s_wait_dscnt 0x0
	s_barrier_signal -1
	s_barrier_wait -1
	s_and_b32 s52, s2, vcc_lo
	s_delay_alu instid0(SALU_CYCLE_1)
	s_and_saveexec_b32 s10, s52
	s_cbranch_execz .LBB146_1030
; %bb.1029:                             ;   in Loop: Header=BB146_1018 Depth=2
	ds_load_b64 v[40:41], v35 offset:1024
	ds_load_b64 v[42:43], v1 offset:41472
	s_wait_dscnt 0x0
	v_pk_mul_f32 v[48:49], v[42:43], v[40:41] op_sel:[1,1] op_sel_hi:[0,1]
	s_delay_alu instid0(VALU_DEP_1) | instskip(SKIP_1) | instid1(VALU_DEP_2)
	v_pk_fma_f32 v[50:51], v[42:43], v[40:41], v[48:49] op_sel_hi:[1,0,1]
	v_pk_fma_f32 v[40:41], v[42:43], v[40:41], v[48:49] neg_lo:[0,0,1] neg_hi:[0,0,1]
	v_mov_b32_e32 v41, v51
	s_delay_alu instid0(VALU_DEP_1)
	v_pk_add_f32 v[46:47], v[46:47], v[40:41]
.LBB146_1030:                           ;   in Loop: Header=BB146_1018 Depth=2
	s_or_b32 exec_lo, exec_lo, s10
	s_or_b32 s10, s13, 3
	s_delay_alu instid0(SALU_CYCLE_1) | instskip(SKIP_3) | instid1(SALU_CYCLE_1)
	v_cmp_eq_u32_e32 vcc_lo, s10, v4
	s_barrier_signal -1
	s_barrier_wait -1
	s_and_b32 s52, s2, vcc_lo
	s_and_saveexec_b32 s82, s52
; %bb.1031:                             ;   in Loop: Header=BB146_1018 Depth=2
	ds_store_b64 v1, v[46:47] offset:41472
; %bb.1032:                             ;   in Loop: Header=BB146_1018 Depth=2
	s_or_b32 exec_lo, exec_lo, s82
	v_cmp_lt_u32_e32 vcc_lo, s10, v4
	s_wait_dscnt 0x0
	s_barrier_signal -1
	s_barrier_wait -1
	s_and_b32 s52, s2, vcc_lo
	s_delay_alu instid0(SALU_CYCLE_1)
	s_and_saveexec_b32 s10, s52
	s_cbranch_execz .LBB146_1017
; %bb.1033:                             ;   in Loop: Header=BB146_1018 Depth=2
	ds_load_b64 v[40:41], v35 offset:1536
	ds_load_b64 v[42:43], v1 offset:41472
	s_wait_dscnt 0x0
	v_pk_mul_f32 v[48:49], v[42:43], v[40:41] op_sel:[1,1] op_sel_hi:[0,1]
	s_delay_alu instid0(VALU_DEP_1) | instskip(SKIP_1) | instid1(VALU_DEP_2)
	v_pk_fma_f32 v[50:51], v[42:43], v[40:41], v[48:49] op_sel_hi:[1,0,1]
	v_pk_fma_f32 v[40:41], v[42:43], v[40:41], v[48:49] neg_lo:[0,0,1] neg_hi:[0,0,1]
	v_mov_b32_e32 v41, v51
	s_delay_alu instid0(VALU_DEP_1)
	v_pk_add_f32 v[46:47], v[46:47], v[40:41]
	s_branch .LBB146_1017
.LBB146_1034:                           ;   in Loop: Header=BB146_3 Depth=1
	s_and_b32 vcc_lo, exec_lo, s87
	s_mov_b32 s10, -1
	s_cbranch_vccz .LBB146_1036
; %bb.1035:                             ;   in Loop: Header=BB146_3 Depth=1
	s_and_not1_b32 s13, s62, exec_lo
	s_and_b32 s52, s2, exec_lo
	s_mov_b32 s10, 0
	s_or_b32 s62, s13, s52
.LBB146_1036:                           ;   in Loop: Header=BB146_3 Depth=1
	s_and_not1_b32 vcc_lo, exec_lo, s10
	s_cbranch_vccnz .LBB146_1038
; %bb.1037:                             ;   in Loop: Header=BB146_3 Depth=1
	v_readlane_b32 s13, v111, 9
	s_and_not1_b32 s10, s62, exec_lo
	s_and_b32 s13, s13, exec_lo
	s_delay_alu instid0(SALU_CYCLE_1)
	s_or_b32 s62, s10, s13
.LBB146_1038:                           ;   in Loop: Header=BB146_3 Depth=1
	v_mov_b64_e32 v[40:41], v[22:23]
	s_and_saveexec_b32 s10, s62
	s_cbranch_execnz .LBB146_1059
	s_branch .LBB146_1060
.LBB146_1039:                           ;   in Loop: Header=BB146_3 Depth=1
	v_readlane_b32 s52, v111, 18
	s_and_saveexec_b32 s13, s52
; %bb.1040:                             ;   in Loop: Header=BB146_3 Depth=1
	ds_store_b64 v85, v[36:37]
; %bb.1041:                             ;   in Loop: Header=BB146_3 Depth=1
	s_or_b32 exec_lo, exec_lo, s13
	s_and_not1_saveexec_b32 s10, s10
	s_cbranch_execz .LBB146_18
.LBB146_1042:                           ;   in Loop: Header=BB146_3 Depth=1
	v_lshl_add_u64 v[48:49], v[20:21], 3, v[46:47]
	flat_load_b64 v[48:49], v[48:49]
	s_wait_loadcnt_dscnt 0x0
	v_pk_add_f32 v[48:49], v[48:49], 0 neg_lo:[1,1] neg_hi:[1,1]
	ds_store_b64 v85, v[48:49]
	s_or_b32 exec_lo, exec_lo, s10
	s_and_saveexec_b32 s10, s7
	s_delay_alu instid0(SALU_CYCLE_1)
	s_xor_b32 s10, exec_lo, s10
	s_cbranch_execz .LBB146_19
.LBB146_1043:                           ;   in Loop: Header=BB146_3 Depth=1
	v_readlane_b32 s52, v111, 19
	s_and_saveexec_b32 s13, s52
; %bb.1044:                             ;   in Loop: Header=BB146_3 Depth=1
	ds_store_b64 v87, v[36:37]
; %bb.1045:                             ;   in Loop: Header=BB146_3 Depth=1
	s_or_b32 exec_lo, exec_lo, s13
	s_and_not1_saveexec_b32 s10, s10
	s_cbranch_execz .LBB146_20
.LBB146_1046:                           ;   in Loop: Header=BB146_3 Depth=1
	v_lshl_add_u64 v[48:49], v[14:15], 3, v[46:47]
	flat_load_b64 v[48:49], v[48:49]
	s_wait_loadcnt_dscnt 0x0
	v_pk_add_f32 v[48:49], v[48:49], 0 neg_lo:[1,1] neg_hi:[1,1]
	ds_store_b64 v87, v[48:49]
	s_or_b32 exec_lo, exec_lo, s10
	s_and_saveexec_b32 s10, s8
	s_delay_alu instid0(SALU_CYCLE_1)
	s_xor_b32 s10, exec_lo, s10
	s_cbranch_execz .LBB146_21
.LBB146_1047:                           ;   in Loop: Header=BB146_3 Depth=1
	v_readlane_b32 s52, v111, 20
	s_and_saveexec_b32 s13, s52
; %bb.1048:                             ;   in Loop: Header=BB146_3 Depth=1
	ds_store_b64 v88, v[36:37]
; %bb.1049:                             ;   in Loop: Header=BB146_3 Depth=1
	s_or_b32 exec_lo, exec_lo, s13
	s_and_not1_saveexec_b32 s10, s10
	s_cbranch_execz .LBB146_22
.LBB146_1050:                           ;   in Loop: Header=BB146_3 Depth=1
	v_lshl_add_u64 v[48:49], v[16:17], 3, v[46:47]
	flat_load_b64 v[48:49], v[48:49]
	s_wait_loadcnt_dscnt 0x0
	v_pk_add_f32 v[48:49], v[48:49], 0 neg_lo:[1,1] neg_hi:[1,1]
	ds_store_b64 v88, v[48:49]
	s_or_b32 exec_lo, exec_lo, s10
	s_and_saveexec_b32 s10, s9
	s_delay_alu instid0(SALU_CYCLE_1)
	s_xor_b32 s10, exec_lo, s10
	s_cbranch_execz .LBB146_23
.LBB146_1051:                           ;   in Loop: Header=BB146_3 Depth=1
	v_readlane_b32 s52, v110, 8
	s_and_saveexec_b32 s13, s52
; %bb.1052:                             ;   in Loop: Header=BB146_3 Depth=1
	ds_store_b64 v90, v[36:37]
; %bb.1053:                             ;   in Loop: Header=BB146_3 Depth=1
	s_or_b32 exec_lo, exec_lo, s13
	s_and_not1_saveexec_b32 s10, s10
	s_cbranch_execnz .LBB146_24
	s_branch .LBB146_25
.LBB146_1054:                           ;   in Loop: Header=BB146_3 Depth=1
	ds_load_b64 v[40:41], v98
	ds_load_b64 v[42:43], v91
	s_wait_dscnt 0x0
	v_dual_mul_f32 v0, v43, v41 :: v_dual_mul_f32 v35, v42, v41
	s_delay_alu instid0(VALU_DEP_1) | instskip(NEXT) | instid1(VALU_DEP_1)
	v_dual_fma_f32 v0, v42, v40, -v0 :: v_dual_fmac_f32 v35, v43, v40
	v_dual_add_f32 v40, 0, v0 :: v_dual_add_f32 v41, 0, v35
	s_or_b32 exec_lo, exec_lo, s10
	s_and_saveexec_b32 s10, s7
	s_cbranch_execz .LBB146_1010
.LBB146_1055:                           ;   in Loop: Header=BB146_3 Depth=1
	ds_load_b64 v[42:43], v98 offset:8192
	ds_load_b64 v[48:49], v91 offset:128
	s_wait_dscnt 0x0
	v_dual_mul_f32 v0, v49, v43 :: v_dual_mul_f32 v51, v48, v43
	s_delay_alu instid0(VALU_DEP_1) | instskip(NEXT) | instid1(VALU_DEP_1)
	v_dual_fma_f32 v50, v48, v42, -v0 :: v_dual_fmac_f32 v51, v49, v42
	v_pk_add_f32 v[40:41], v[40:41], v[50:51]
	s_or_b32 exec_lo, exec_lo, s10
	s_and_saveexec_b32 s10, s8
	s_cbranch_execz .LBB146_1011
.LBB146_1056:                           ;   in Loop: Header=BB146_3 Depth=1
	ds_load_b64 v[42:43], v98 offset:16384
	ds_load_b64 v[48:49], v91 offset:256
	s_wait_dscnt 0x0
	v_pk_mul_f32 v[50:51], v[48:49], v[42:43] op_sel:[1,1] op_sel_hi:[0,1]
	s_delay_alu instid0(VALU_DEP_1) | instskip(SKIP_1) | instid1(VALU_DEP_2)
	v_pk_fma_f32 v[52:53], v[48:49], v[42:43], v[50:51] op_sel_hi:[1,0,1]
	v_pk_fma_f32 v[42:43], v[48:49], v[42:43], v[50:51] neg_lo:[0,0,1] neg_hi:[0,0,1]
	v_mov_b32_e32 v43, v53
	s_delay_alu instid0(VALU_DEP_1)
	v_pk_add_f32 v[40:41], v[40:41], v[42:43]
	s_or_b32 exec_lo, exec_lo, s10
	s_and_saveexec_b32 s10, s9
	s_cbranch_execnz .LBB146_1012
	s_branch .LBB146_1013
.LBB146_1057:                           ;   in Loop: Header=BB146_3 Depth=1
	s_or_b32 exec_lo, exec_lo, s82
	s_delay_alu instid0(SALU_CYCLE_1)
	s_and_b32 vcc_lo, exec_lo, s13
	s_cbranch_vccnz .LBB146_1016
.LBB146_1058:                           ;   in Loop: Header=BB146_3 Depth=1
	v_mov_b64_e32 v[46:47], v[42:43]
	v_mov_b64_e32 v[40:41], v[32:33]
	s_and_saveexec_b32 s10, s62
	s_cbranch_execz .LBB146_1060
.LBB146_1059:                           ;   in Loop: Header=BB146_3 Depth=1
	s_delay_alu instid0(VALU_DEP_1)
	v_lshl_add_u64 v[40:41], v[40:41], 3, v[44:45]
	flat_store_b64 v[40:41], v[46:47]
.LBB146_1060:                           ;   in Loop: Header=BB146_3 Depth=1
	s_wait_xcnt 0x0
	s_or_b32 exec_lo, exec_lo, s10
	global_wb scope:SCOPE_DEV
	s_wait_storecnt_dscnt 0x0
	global_inv scope:SCOPE_DEV
	s_wait_loadcnt 0x0
	s_barrier_signal -1
	s_barrier_wait -1
	s_and_saveexec_b32 s10, s36
	s_cbranch_execz .LBB146_2
; %bb.1061:                             ;   in Loop: Header=BB146_3 Depth=1
	s_lshl_b64 s[82:83], s[76:77], 2
	s_delay_alu instid0(SALU_CYCLE_1)
	s_add_nc_u64 s[82:83], s[78:79], s[82:83]
	global_load_b32 v0, v1, s[82:83]
	s_wait_loadcnt 0x0
	v_add_nc_u32_e32 v0, 1, v0
	global_store_b32 v1, v0, s[82:83]
	s_branch .LBB146_2
.LBB146_1062:                           ;   in Loop: Header=BB146_3 Depth=1
	ds_load_b64 v[48:49], v61 offset:31680
	ds_load_b64 v[50:51], v62 offset:32744
	s_wait_dscnt 0x0
	v_dual_mul_f32 v0, v51, v49 :: v_dual_mul_f32 v35, v50, v49
	s_delay_alu instid0(VALU_DEP_1) | instskip(NEXT) | instid1(VALU_DEP_1)
	v_dual_fma_f32 v0, v50, v48, -v0 :: v_dual_fmac_f32 v35, v51, v48
	v_dual_add_f32 v46, v46, v0 :: v_dual_add_f32 v47, v47, v35
	s_or_b32 exec_lo, exec_lo, s10
	s_and_saveexec_b32 s10, s16
	s_cbranch_execz .LBB146_74
.LBB146_1063:                           ;   in Loop: Header=BB146_3 Depth=1
	ds_load_b64 v[48:49], v61 offset:32192
	ds_load_b64 v[50:51], v62 offset:32752
	s_wait_dscnt 0x0
	v_dual_mul_f32 v0, v51, v49 :: v_dual_mul_f32 v53, v50, v49
	s_delay_alu instid0(VALU_DEP_1) | instskip(NEXT) | instid1(VALU_DEP_1)
	v_dual_fma_f32 v52, v50, v48, -v0 :: v_dual_fmac_f32 v53, v51, v48
	v_pk_add_f32 v[46:47], v[46:47], v[52:53]
	s_or_b32 exec_lo, exec_lo, s10
	s_and_saveexec_b32 s10, s1
	s_cbranch_execnz .LBB146_75
	s_branch .LBB146_76
.LBB146_1064:                           ;   in Loop: Header=BB146_3 Depth=1
	ds_load_b64 v[48:49], v67 offset:29568
	ds_load_b64 v[50:51], v68 offset:32712
	s_wait_dscnt 0x0
	v_dual_mul_f32 v0, v51, v49 :: v_dual_mul_f32 v35, v50, v49
	s_delay_alu instid0(VALU_DEP_1) | instskip(NEXT) | instid1(VALU_DEP_1)
	v_dual_fma_f32 v0, v50, v48, -v0 :: v_dual_fmac_f32 v35, v51, v48
	v_dual_add_f32 v46, v46, v0 :: v_dual_add_f32 v47, v47, v35
	s_or_b32 exec_lo, exec_lo, s10
	s_and_saveexec_b32 s10, s19
	s_cbranch_execz .LBB146_116
.LBB146_1065:                           ;   in Loop: Header=BB146_3 Depth=1
	ds_load_b64 v[48:49], v67 offset:30080
	ds_load_b64 v[50:51], v68 offset:32720
	s_wait_dscnt 0x0
	v_dual_mul_f32 v0, v51, v49 :: v_dual_mul_f32 v35, v50, v49
	s_delay_alu instid0(VALU_DEP_1) | instskip(NEXT) | instid1(VALU_DEP_1)
	v_dual_fma_f32 v0, v50, v48, -v0 :: v_dual_fmac_f32 v35, v51, v48
	v_dual_add_f32 v46, v46, v0 :: v_dual_add_f32 v47, v47, v35
	s_or_b32 exec_lo, exec_lo, s10
	s_and_saveexec_b32 s10, s20
	s_cbranch_execz .LBB146_117
.LBB146_1066:                           ;   in Loop: Header=BB146_3 Depth=1
	ds_load_b64 v[48:49], v67 offset:30592
	ds_load_b64 v[50:51], v68 offset:32728
	s_wait_dscnt 0x0
	v_dual_mul_f32 v0, v51, v49 :: v_dual_mul_f32 v35, v50, v49
	s_delay_alu instid0(VALU_DEP_1) | instskip(NEXT) | instid1(VALU_DEP_1)
	v_dual_fma_f32 v0, v50, v48, -v0 :: v_dual_fmac_f32 v35, v51, v48
	v_dual_add_f32 v46, v46, v0 :: v_dual_add_f32 v47, v47, v35
	s_or_b32 exec_lo, exec_lo, s10
	s_and_saveexec_b32 s10, s21
	s_cbranch_execz .LBB146_118
.LBB146_1067:                           ;   in Loop: Header=BB146_3 Depth=1
	ds_load_b64 v[48:49], v67 offset:31104
	ds_load_b64 v[50:51], v68 offset:32736
	s_wait_dscnt 0x0
	v_dual_mul_f32 v0, v51, v49 :: v_dual_mul_f32 v53, v50, v49
	s_delay_alu instid0(VALU_DEP_1) | instskip(NEXT) | instid1(VALU_DEP_1)
	v_dual_fma_f32 v52, v50, v48, -v0 :: v_dual_fmac_f32 v53, v51, v48
	v_pk_add_f32 v[46:47], v[46:47], v[52:53]
	s_or_b32 exec_lo, exec_lo, s10
	s_and_saveexec_b32 s10, s22
	s_cbranch_execz .LBB146_119
.LBB146_1068:                           ;   in Loop: Header=BB146_3 Depth=1
	ds_load_b64 v[48:49], v67 offset:31616
	ds_load_b64 v[50:51], v68 offset:32744
	s_wait_dscnt 0x0
	v_pk_mul_f32 v[52:53], v[50:51], v[48:49] op_sel:[1,1] op_sel_hi:[0,1]
	s_delay_alu instid0(VALU_DEP_1) | instskip(SKIP_1) | instid1(VALU_DEP_2)
	v_pk_fma_f32 v[102:103], v[50:51], v[48:49], v[52:53] op_sel_hi:[1,0,1]
	v_pk_fma_f32 v[48:49], v[50:51], v[48:49], v[52:53] neg_lo:[0,0,1] neg_hi:[0,0,1]
	v_mov_b32_e32 v49, v103
	s_delay_alu instid0(VALU_DEP_1)
	v_pk_add_f32 v[46:47], v[46:47], v[48:49]
	s_or_b32 exec_lo, exec_lo, s10
	s_and_saveexec_b32 s10, s3
	s_cbranch_execz .LBB146_120
.LBB146_1069:                           ;   in Loop: Header=BB146_3 Depth=1
	ds_load_b64 v[48:49], v67 offset:32128
	ds_load_b64 v[50:51], v68 offset:32752
	s_wait_dscnt 0x0
	v_pk_mul_f32 v[52:53], v[50:51], v[48:49] op_sel:[1,1] op_sel_hi:[0,1]
	s_delay_alu instid0(VALU_DEP_1) | instskip(SKIP_1) | instid1(VALU_DEP_2)
	v_pk_fma_f32 v[102:103], v[50:51], v[48:49], v[52:53] op_sel_hi:[1,0,1]
	v_pk_fma_f32 v[48:49], v[50:51], v[48:49], v[52:53] neg_lo:[0,0,1] neg_hi:[0,0,1]
	v_mov_b32_e32 v49, v103
	s_delay_alu instid0(VALU_DEP_1)
	v_pk_add_f32 v[46:47], v[46:47], v[48:49]
	s_or_b32 exec_lo, exec_lo, s10
	s_and_saveexec_b32 s10, s16
	s_cbranch_execnz .LBB146_121
	s_branch .LBB146_122
.LBB146_1070:                           ;   in Loop: Header=BB146_3 Depth=1
	ds_load_b64 v[48:49], v61 offset:27520
	ds_load_b64 v[50:51], v62 offset:28584
	s_wait_dscnt 0x0
	v_dual_mul_f32 v0, v51, v49 :: v_dual_mul_f32 v35, v50, v49
	s_delay_alu instid0(VALU_DEP_1) | instskip(NEXT) | instid1(VALU_DEP_1)
	v_dual_fma_f32 v0, v50, v48, -v0 :: v_dual_fmac_f32 v35, v51, v48
	v_dual_add_f32 v46, v46, v0 :: v_dual_add_f32 v47, v47, v35
	s_or_b32 exec_lo, exec_lo, s10
	s_and_saveexec_b32 s10, s16
	s_cbranch_execz .LBB146_178
.LBB146_1071:                           ;   in Loop: Header=BB146_3 Depth=1
	ds_load_b64 v[48:49], v61 offset:28032
	ds_load_b64 v[50:51], v62 offset:28592
	s_wait_dscnt 0x0
	v_dual_mul_f32 v0, v51, v49 :: v_dual_mul_f32 v53, v50, v49
	s_delay_alu instid0(VALU_DEP_1) | instskip(NEXT) | instid1(VALU_DEP_1)
	v_dual_fma_f32 v52, v50, v48, -v0 :: v_dual_fmac_f32 v53, v51, v48
	v_pk_add_f32 v[46:47], v[46:47], v[52:53]
	s_or_b32 exec_lo, exec_lo, s10
	s_and_saveexec_b32 s10, s1
	s_cbranch_execnz .LBB146_179
	s_branch .LBB146_180
.LBB146_1072:                           ;   in Loop: Header=BB146_3 Depth=1
	ds_load_b64 v[48:49], v71 offset:30464
	ds_load_b64 v[50:51], v72 offset:32728
	s_wait_dscnt 0x0
	v_dual_mul_f32 v0, v51, v49 :: v_dual_mul_f32 v35, v50, v49
	s_delay_alu instid0(VALU_DEP_1) | instskip(NEXT) | instid1(VALU_DEP_1)
	v_dual_fma_f32 v0, v50, v48, -v0 :: v_dual_fmac_f32 v35, v51, v48
	v_dual_add_f32 v46, v46, v0 :: v_dual_add_f32 v47, v47, v35
	s_or_b32 exec_lo, exec_lo, s10
	s_and_saveexec_b32 s10, s4
	s_cbranch_execz .LBB146_240
.LBB146_1073:                           ;   in Loop: Header=BB146_3 Depth=1
	ds_load_b64 v[48:49], v71 offset:30976
	ds_load_b64 v[50:51], v72 offset:32736
	s_wait_dscnt 0x0
	v_dual_mul_f32 v0, v51, v49 :: v_dual_mul_f32 v35, v50, v49
	s_delay_alu instid0(VALU_DEP_1) | instskip(NEXT) | instid1(VALU_DEP_1)
	v_dual_fma_f32 v0, v50, v48, -v0 :: v_dual_fmac_f32 v35, v51, v48
	v_dual_add_f32 v46, v46, v0 :: v_dual_add_f32 v47, v47, v35
	s_or_b32 exec_lo, exec_lo, s10
	s_and_saveexec_b32 s10, s19
	s_cbranch_execz .LBB146_241
.LBB146_1074:                           ;   in Loop: Header=BB146_3 Depth=1
	ds_load_b64 v[48:49], v71 offset:31488
	ds_load_b64 v[50:51], v72 offset:32744
	s_wait_dscnt 0x0
	v_dual_mul_f32 v0, v51, v49 :: v_dual_mul_f32 v35, v50, v49
	s_delay_alu instid0(VALU_DEP_1) | instskip(NEXT) | instid1(VALU_DEP_1)
	v_dual_fma_f32 v0, v50, v48, -v0 :: v_dual_fmac_f32 v35, v51, v48
	v_dual_add_f32 v46, v46, v0 :: v_dual_add_f32 v47, v47, v35
	s_or_b32 exec_lo, exec_lo, s10
	s_and_saveexec_b32 s10, s21
	s_cbranch_execz .LBB146_242
.LBB146_1075:                           ;   in Loop: Header=BB146_3 Depth=1
	ds_load_b64 v[48:49], v71 offset:32000
	ds_load_b64 v[50:51], v72 offset:32752
	s_wait_dscnt 0x0
	v_dual_mul_f32 v0, v51, v49 :: v_dual_mul_f32 v53, v50, v49
	s_delay_alu instid0(VALU_DEP_1) | instskip(NEXT) | instid1(VALU_DEP_1)
	v_dual_fma_f32 v52, v50, v48, -v0 :: v_dual_fmac_f32 v53, v51, v48
	v_pk_add_f32 v[46:47], v[46:47], v[52:53]
	s_or_b32 exec_lo, exec_lo, s10
	s_and_saveexec_b32 s10, s3
	s_cbranch_execnz .LBB146_243
	s_branch .LBB146_244
.LBB146_1076:                           ;   in Loop: Header=BB146_3 Depth=1
	ds_load_b64 v[48:49], v61 offset:23360
	ds_load_b64 v[50:51], v62 offset:24424
	s_wait_dscnt 0x0
	v_dual_mul_f32 v0, v51, v49 :: v_dual_mul_f32 v35, v50, v49
	s_delay_alu instid0(VALU_DEP_1) | instskip(NEXT) | instid1(VALU_DEP_1)
	v_dual_fma_f32 v0, v50, v48, -v0 :: v_dual_fmac_f32 v35, v51, v48
	v_dual_add_f32 v46, v46, v0 :: v_dual_add_f32 v47, v47, v35
	s_or_b32 exec_lo, exec_lo, s10
	s_and_saveexec_b32 s10, s16
	s_cbranch_execz .LBB146_332
.LBB146_1077:                           ;   in Loop: Header=BB146_3 Depth=1
	ds_load_b64 v[48:49], v61 offset:23872
	ds_load_b64 v[50:51], v62 offset:24432
	s_wait_dscnt 0x0
	v_dual_mul_f32 v0, v51, v49 :: v_dual_mul_f32 v53, v50, v49
	s_delay_alu instid0(VALU_DEP_1) | instskip(NEXT) | instid1(VALU_DEP_1)
	v_dual_fma_f32 v52, v50, v48, -v0 :: v_dual_fmac_f32 v53, v51, v48
	v_pk_add_f32 v[46:47], v[46:47], v[52:53]
	s_or_b32 exec_lo, exec_lo, s10
	s_and_saveexec_b32 s10, s1
	s_cbranch_execnz .LBB146_333
	s_branch .LBB146_334
.LBB146_1078:                           ;   in Loop: Header=BB146_3 Depth=1
	ds_load_b64 v[48:49], v67 offset:21248
	ds_load_b64 v[50:51], v68 offset:24392
	s_wait_dscnt 0x0
	v_dual_mul_f32 v0, v51, v49 :: v_dual_mul_f32 v35, v50, v49
	s_delay_alu instid0(VALU_DEP_1) | instskip(NEXT) | instid1(VALU_DEP_1)
	v_dual_fma_f32 v0, v50, v48, -v0 :: v_dual_fmac_f32 v35, v51, v48
	v_dual_add_f32 v46, v46, v0 :: v_dual_add_f32 v47, v47, v35
	s_or_b32 exec_lo, exec_lo, s10
	s_and_saveexec_b32 s10, s19
	s_cbranch_execz .LBB146_374
.LBB146_1079:                           ;   in Loop: Header=BB146_3 Depth=1
	ds_load_b64 v[48:49], v67 offset:21760
	ds_load_b64 v[50:51], v68 offset:24400
	s_wait_dscnt 0x0
	v_dual_mul_f32 v0, v51, v49 :: v_dual_mul_f32 v35, v50, v49
	s_delay_alu instid0(VALU_DEP_1) | instskip(NEXT) | instid1(VALU_DEP_1)
	v_dual_fma_f32 v0, v50, v48, -v0 :: v_dual_fmac_f32 v35, v51, v48
	v_dual_add_f32 v46, v46, v0 :: v_dual_add_f32 v47, v47, v35
	s_or_b32 exec_lo, exec_lo, s10
	s_and_saveexec_b32 s10, s20
	s_cbranch_execz .LBB146_375
.LBB146_1080:                           ;   in Loop: Header=BB146_3 Depth=1
	ds_load_b64 v[48:49], v67 offset:22272
	ds_load_b64 v[50:51], v68 offset:24408
	s_wait_dscnt 0x0
	v_dual_mul_f32 v0, v51, v49 :: v_dual_mul_f32 v35, v50, v49
	s_delay_alu instid0(VALU_DEP_1) | instskip(NEXT) | instid1(VALU_DEP_1)
	v_dual_fma_f32 v0, v50, v48, -v0 :: v_dual_fmac_f32 v35, v51, v48
	v_dual_add_f32 v46, v46, v0 :: v_dual_add_f32 v47, v47, v35
	s_or_b32 exec_lo, exec_lo, s10
	s_and_saveexec_b32 s10, s21
	s_cbranch_execz .LBB146_376
.LBB146_1081:                           ;   in Loop: Header=BB146_3 Depth=1
	ds_load_b64 v[48:49], v67 offset:22784
	ds_load_b64 v[50:51], v68 offset:24416
	s_wait_dscnt 0x0
	v_dual_mul_f32 v0, v51, v49 :: v_dual_mul_f32 v53, v50, v49
	s_delay_alu instid0(VALU_DEP_1) | instskip(NEXT) | instid1(VALU_DEP_1)
	v_dual_fma_f32 v52, v50, v48, -v0 :: v_dual_fmac_f32 v53, v51, v48
	v_pk_add_f32 v[46:47], v[46:47], v[52:53]
	s_or_b32 exec_lo, exec_lo, s10
	s_and_saveexec_b32 s10, s22
	s_cbranch_execz .LBB146_377
.LBB146_1082:                           ;   in Loop: Header=BB146_3 Depth=1
	ds_load_b64 v[48:49], v67 offset:23296
	ds_load_b64 v[50:51], v68 offset:24424
	s_wait_dscnt 0x0
	v_pk_mul_f32 v[52:53], v[50:51], v[48:49] op_sel:[1,1] op_sel_hi:[0,1]
	s_delay_alu instid0(VALU_DEP_1) | instskip(SKIP_1) | instid1(VALU_DEP_2)
	v_pk_fma_f32 v[102:103], v[50:51], v[48:49], v[52:53] op_sel_hi:[1,0,1]
	v_pk_fma_f32 v[48:49], v[50:51], v[48:49], v[52:53] neg_lo:[0,0,1] neg_hi:[0,0,1]
	v_mov_b32_e32 v49, v103
	s_delay_alu instid0(VALU_DEP_1)
	v_pk_add_f32 v[46:47], v[46:47], v[48:49]
	s_or_b32 exec_lo, exec_lo, s10
	s_and_saveexec_b32 s10, s3
	s_cbranch_execz .LBB146_378
.LBB146_1083:                           ;   in Loop: Header=BB146_3 Depth=1
	ds_load_b64 v[48:49], v67 offset:23808
	ds_load_b64 v[50:51], v68 offset:24432
	s_wait_dscnt 0x0
	v_pk_mul_f32 v[52:53], v[50:51], v[48:49] op_sel:[1,1] op_sel_hi:[0,1]
	s_delay_alu instid0(VALU_DEP_1) | instskip(SKIP_1) | instid1(VALU_DEP_2)
	v_pk_fma_f32 v[102:103], v[50:51], v[48:49], v[52:53] op_sel_hi:[1,0,1]
	v_pk_fma_f32 v[48:49], v[50:51], v[48:49], v[52:53] neg_lo:[0,0,1] neg_hi:[0,0,1]
	v_mov_b32_e32 v49, v103
	s_delay_alu instid0(VALU_DEP_1)
	v_pk_add_f32 v[46:47], v[46:47], v[48:49]
	s_or_b32 exec_lo, exec_lo, s10
	s_and_saveexec_b32 s10, s16
	s_cbranch_execnz .LBB146_379
	s_branch .LBB146_380
.LBB146_1084:                           ;   in Loop: Header=BB146_3 Depth=1
	ds_load_b64 v[48:49], v61 offset:19200
	ds_load_b64 v[50:51], v62 offset:20264
	s_wait_dscnt 0x0
	v_dual_mul_f32 v0, v51, v49 :: v_dual_mul_f32 v35, v50, v49
	s_delay_alu instid0(VALU_DEP_1) | instskip(NEXT) | instid1(VALU_DEP_1)
	v_dual_fma_f32 v0, v50, v48, -v0 :: v_dual_fmac_f32 v35, v51, v48
	v_dual_add_f32 v46, v46, v0 :: v_dual_add_f32 v47, v47, v35
	s_or_b32 exec_lo, exec_lo, s10
	s_and_saveexec_b32 s10, s16
	s_cbranch_execz .LBB146_436
.LBB146_1085:                           ;   in Loop: Header=BB146_3 Depth=1
	ds_load_b64 v[48:49], v61 offset:19712
	ds_load_b64 v[50:51], v62 offset:20272
	s_wait_dscnt 0x0
	v_dual_mul_f32 v0, v51, v49 :: v_dual_mul_f32 v53, v50, v49
	s_delay_alu instid0(VALU_DEP_1) | instskip(NEXT) | instid1(VALU_DEP_1)
	v_dual_fma_f32 v52, v50, v48, -v0 :: v_dual_fmac_f32 v53, v51, v48
	v_pk_add_f32 v[46:47], v[46:47], v[52:53]
	s_or_b32 exec_lo, exec_lo, s10
	s_and_saveexec_b32 s10, s1
	s_cbranch_execnz .LBB146_437
	s_branch .LBB146_438
.LBB146_1086:                           ;   in Loop: Header=BB146_3 Depth=1
	ds_load_b64 v[48:49], v75 offset:31232
	ds_load_b64 v[50:51], v77 offset:32744
	s_wait_dscnt 0x0
	v_pk_mul_f32 v[52:53], v[50:51], v[48:49] op_sel:[1,1] op_sel_hi:[0,1]
	s_delay_alu instid0(VALU_DEP_1) | instskip(SKIP_1) | instid1(VALU_DEP_2)
	v_pk_fma_f32 v[102:103], v[50:51], v[48:49], v[52:53] op_sel_hi:[1,0,1]
	v_pk_fma_f32 v[48:49], v[50:51], v[48:49], v[52:53] neg_lo:[0,0,1] neg_hi:[0,0,1]
	v_mov_b32_e32 v49, v103
	s_delay_alu instid0(VALU_DEP_1)
	v_pk_add_f32 v[46:47], v[46:47], v[48:49]
	s_or_b32 exec_lo, exec_lo, s10
	s_and_saveexec_b32 s10, s4
	s_cbranch_execz .LBB146_534
.LBB146_1087:                           ;   in Loop: Header=BB146_3 Depth=1
	ds_load_b64 v[48:49], v75 offset:31744
	ds_load_b64 v[50:51], v77 offset:32752
	s_wait_dscnt 0x0
	v_pk_mul_f32 v[52:53], v[50:51], v[48:49] op_sel:[1,1] op_sel_hi:[0,1]
	s_delay_alu instid0(VALU_DEP_1) | instskip(SKIP_1) | instid1(VALU_DEP_2)
	v_pk_fma_f32 v[102:103], v[50:51], v[48:49], v[52:53] op_sel_hi:[1,0,1]
	v_pk_fma_f32 v[48:49], v[50:51], v[48:49], v[52:53] neg_lo:[0,0,1] neg_hi:[0,0,1]
	v_mov_b32_e32 v49, v103
	s_delay_alu instid0(VALU_DEP_1) | instskip(SKIP_2) | instid1(SALU_CYCLE_1)
	v_pk_add_f32 v[46:47], v[46:47], v[48:49]
	s_or_b32 exec_lo, exec_lo, s10
	s_and_saveexec_b32 s10, s21
	s_xor_b32 s10, exec_lo, s10
	s_cbranch_execnz .LBB146_535
	s_branch .LBB146_536
.LBB146_1088:                           ;   in Loop: Header=BB146_3 Depth=1
	ds_load_b64 v[48:49], v61 offset:15040
	ds_load_b64 v[50:51], v62 offset:16104
	s_wait_dscnt 0x0
	v_dual_mul_f32 v0, v51, v49 :: v_dual_mul_f32 v35, v50, v49
	s_delay_alu instid0(VALU_DEP_1) | instskip(NEXT) | instid1(VALU_DEP_1)
	v_dual_fma_f32 v0, v50, v48, -v0 :: v_dual_fmac_f32 v35, v51, v48
	v_dual_add_f32 v46, v46, v0 :: v_dual_add_f32 v47, v47, v35
	s_or_b32 exec_lo, exec_lo, s10
	s_and_saveexec_b32 s10, s16
	s_cbranch_execz .LBB146_580
.LBB146_1089:                           ;   in Loop: Header=BB146_3 Depth=1
	ds_load_b64 v[48:49], v61 offset:15552
	ds_load_b64 v[50:51], v62 offset:16112
	s_wait_dscnt 0x0
	v_dual_mul_f32 v0, v51, v49 :: v_dual_mul_f32 v53, v50, v49
	s_delay_alu instid0(VALU_DEP_1) | instskip(NEXT) | instid1(VALU_DEP_1)
	v_dual_fma_f32 v52, v50, v48, -v0 :: v_dual_fmac_f32 v53, v51, v48
	v_pk_add_f32 v[46:47], v[46:47], v[52:53]
	s_or_b32 exec_lo, exec_lo, s10
	s_and_saveexec_b32 s10, s1
	s_cbranch_execnz .LBB146_581
	s_branch .LBB146_582
.LBB146_1090:                           ;   in Loop: Header=BB146_3 Depth=1
	ds_load_b64 v[48:49], v67 offset:12928
	ds_load_b64 v[50:51], v68 offset:16072
	s_wait_dscnt 0x0
	v_dual_mul_f32 v0, v51, v49 :: v_dual_mul_f32 v35, v50, v49
	s_delay_alu instid0(VALU_DEP_1) | instskip(NEXT) | instid1(VALU_DEP_1)
	v_dual_fma_f32 v0, v50, v48, -v0 :: v_dual_fmac_f32 v35, v51, v48
	v_dual_add_f32 v46, v46, v0 :: v_dual_add_f32 v47, v47, v35
	s_or_b32 exec_lo, exec_lo, s10
	s_and_saveexec_b32 s10, s19
	s_cbranch_execz .LBB146_622
.LBB146_1091:                           ;   in Loop: Header=BB146_3 Depth=1
	ds_load_b64 v[48:49], v67 offset:13440
	ds_load_b64 v[50:51], v68 offset:16080
	s_wait_dscnt 0x0
	v_dual_mul_f32 v0, v51, v49 :: v_dual_mul_f32 v35, v50, v49
	s_delay_alu instid0(VALU_DEP_1) | instskip(NEXT) | instid1(VALU_DEP_1)
	v_dual_fma_f32 v0, v50, v48, -v0 :: v_dual_fmac_f32 v35, v51, v48
	v_dual_add_f32 v46, v46, v0 :: v_dual_add_f32 v47, v47, v35
	s_or_b32 exec_lo, exec_lo, s10
	s_and_saveexec_b32 s10, s20
	s_cbranch_execz .LBB146_623
.LBB146_1092:                           ;   in Loop: Header=BB146_3 Depth=1
	ds_load_b64 v[48:49], v67 offset:13952
	ds_load_b64 v[50:51], v68 offset:16088
	s_wait_dscnt 0x0
	v_dual_mul_f32 v0, v51, v49 :: v_dual_mul_f32 v35, v50, v49
	s_delay_alu instid0(VALU_DEP_1) | instskip(NEXT) | instid1(VALU_DEP_1)
	v_dual_fma_f32 v0, v50, v48, -v0 :: v_dual_fmac_f32 v35, v51, v48
	v_dual_add_f32 v46, v46, v0 :: v_dual_add_f32 v47, v47, v35
	s_or_b32 exec_lo, exec_lo, s10
	s_and_saveexec_b32 s10, s21
	s_cbranch_execz .LBB146_624
.LBB146_1093:                           ;   in Loop: Header=BB146_3 Depth=1
	ds_load_b64 v[48:49], v67 offset:14464
	ds_load_b64 v[50:51], v68 offset:16096
	s_wait_dscnt 0x0
	v_dual_mul_f32 v0, v51, v49 :: v_dual_mul_f32 v53, v50, v49
	s_delay_alu instid0(VALU_DEP_1) | instskip(NEXT) | instid1(VALU_DEP_1)
	v_dual_fma_f32 v52, v50, v48, -v0 :: v_dual_fmac_f32 v53, v51, v48
	v_pk_add_f32 v[46:47], v[46:47], v[52:53]
	s_or_b32 exec_lo, exec_lo, s10
	s_and_saveexec_b32 s10, s22
	s_cbranch_execz .LBB146_625
.LBB146_1094:                           ;   in Loop: Header=BB146_3 Depth=1
	ds_load_b64 v[48:49], v67 offset:14976
	ds_load_b64 v[50:51], v68 offset:16104
	s_wait_dscnt 0x0
	v_pk_mul_f32 v[52:53], v[50:51], v[48:49] op_sel:[1,1] op_sel_hi:[0,1]
	s_delay_alu instid0(VALU_DEP_1) | instskip(SKIP_1) | instid1(VALU_DEP_2)
	v_pk_fma_f32 v[102:103], v[50:51], v[48:49], v[52:53] op_sel_hi:[1,0,1]
	v_pk_fma_f32 v[48:49], v[50:51], v[48:49], v[52:53] neg_lo:[0,0,1] neg_hi:[0,0,1]
	v_mov_b32_e32 v49, v103
	s_delay_alu instid0(VALU_DEP_1)
	v_pk_add_f32 v[46:47], v[46:47], v[48:49]
	s_or_b32 exec_lo, exec_lo, s10
	s_and_saveexec_b32 s10, s3
	s_cbranch_execz .LBB146_626
.LBB146_1095:                           ;   in Loop: Header=BB146_3 Depth=1
	ds_load_b64 v[48:49], v67 offset:15488
	ds_load_b64 v[50:51], v68 offset:16112
	s_wait_dscnt 0x0
	v_pk_mul_f32 v[52:53], v[50:51], v[48:49] op_sel:[1,1] op_sel_hi:[0,1]
	s_delay_alu instid0(VALU_DEP_1) | instskip(SKIP_1) | instid1(VALU_DEP_2)
	v_pk_fma_f32 v[102:103], v[50:51], v[48:49], v[52:53] op_sel_hi:[1,0,1]
	v_pk_fma_f32 v[48:49], v[50:51], v[48:49], v[52:53] neg_lo:[0,0,1] neg_hi:[0,0,1]
	v_mov_b32_e32 v49, v103
	s_delay_alu instid0(VALU_DEP_1)
	v_pk_add_f32 v[46:47], v[46:47], v[48:49]
	s_or_b32 exec_lo, exec_lo, s10
	s_and_saveexec_b32 s10, s16
	s_cbranch_execnz .LBB146_627
	s_branch .LBB146_628
.LBB146_1096:                           ;   in Loop: Header=BB146_3 Depth=1
	ds_load_b64 v[48:49], v61 offset:10880
	ds_load_b64 v[50:51], v62 offset:11944
	s_wait_dscnt 0x0
	v_dual_mul_f32 v0, v51, v49 :: v_dual_mul_f32 v35, v50, v49
	s_delay_alu instid0(VALU_DEP_1) | instskip(NEXT) | instid1(VALU_DEP_1)
	v_dual_fma_f32 v0, v50, v48, -v0 :: v_dual_fmac_f32 v35, v51, v48
	v_dual_add_f32 v46, v46, v0 :: v_dual_add_f32 v47, v47, v35
	s_or_b32 exec_lo, exec_lo, s10
	s_and_saveexec_b32 s10, s16
	s_cbranch_execz .LBB146_684
.LBB146_1097:                           ;   in Loop: Header=BB146_3 Depth=1
	ds_load_b64 v[48:49], v61 offset:11392
	ds_load_b64 v[50:51], v62 offset:11952
	s_wait_dscnt 0x0
	v_dual_mul_f32 v0, v51, v49 :: v_dual_mul_f32 v53, v50, v49
	s_delay_alu instid0(VALU_DEP_1) | instskip(NEXT) | instid1(VALU_DEP_1)
	v_dual_fma_f32 v52, v50, v48, -v0 :: v_dual_fmac_f32 v53, v51, v48
	v_pk_add_f32 v[46:47], v[46:47], v[52:53]
	s_or_b32 exec_lo, exec_lo, s10
	s_and_saveexec_b32 s10, s1
	s_cbranch_execnz .LBB146_685
	s_branch .LBB146_686
.LBB146_1098:                           ;   in Loop: Header=BB146_3 Depth=1
	ds_load_b64 v[48:49], v71 offset:13824
	ds_load_b64 v[50:51], v72 offset:16088
	s_wait_dscnt 0x0
	v_dual_mul_f32 v0, v51, v49 :: v_dual_mul_f32 v35, v50, v49
	s_delay_alu instid0(VALU_DEP_1) | instskip(NEXT) | instid1(VALU_DEP_1)
	v_dual_fma_f32 v0, v50, v48, -v0 :: v_dual_fmac_f32 v35, v51, v48
	v_dual_add_f32 v46, v46, v0 :: v_dual_add_f32 v47, v47, v35
	s_or_b32 exec_lo, exec_lo, s10
	s_and_saveexec_b32 s10, s4
	s_cbranch_execz .LBB146_746
.LBB146_1099:                           ;   in Loop: Header=BB146_3 Depth=1
	ds_load_b64 v[48:49], v71 offset:14336
	ds_load_b64 v[50:51], v72 offset:16096
	s_wait_dscnt 0x0
	v_dual_mul_f32 v0, v51, v49 :: v_dual_mul_f32 v35, v50, v49
	s_delay_alu instid0(VALU_DEP_1) | instskip(NEXT) | instid1(VALU_DEP_1)
	v_dual_fma_f32 v0, v50, v48, -v0 :: v_dual_fmac_f32 v35, v51, v48
	v_dual_add_f32 v46, v46, v0 :: v_dual_add_f32 v47, v47, v35
	s_or_b32 exec_lo, exec_lo, s10
	s_and_saveexec_b32 s10, s19
	s_cbranch_execz .LBB146_747
.LBB146_1100:                           ;   in Loop: Header=BB146_3 Depth=1
	ds_load_b64 v[48:49], v71 offset:14848
	ds_load_b64 v[50:51], v72 offset:16104
	s_wait_dscnt 0x0
	v_dual_mul_f32 v0, v51, v49 :: v_dual_mul_f32 v35, v50, v49
	s_delay_alu instid0(VALU_DEP_1) | instskip(NEXT) | instid1(VALU_DEP_1)
	v_dual_fma_f32 v0, v50, v48, -v0 :: v_dual_fmac_f32 v35, v51, v48
	v_dual_add_f32 v46, v46, v0 :: v_dual_add_f32 v47, v47, v35
	s_or_b32 exec_lo, exec_lo, s10
	s_and_saveexec_b32 s10, s21
	s_cbranch_execz .LBB146_748
.LBB146_1101:                           ;   in Loop: Header=BB146_3 Depth=1
	ds_load_b64 v[48:49], v71 offset:15360
	ds_load_b64 v[50:51], v72 offset:16112
	s_wait_dscnt 0x0
	v_dual_mul_f32 v0, v51, v49 :: v_dual_mul_f32 v53, v50, v49
	s_delay_alu instid0(VALU_DEP_1) | instskip(NEXT) | instid1(VALU_DEP_1)
	v_dual_fma_f32 v52, v50, v48, -v0 :: v_dual_fmac_f32 v53, v51, v48
	v_pk_add_f32 v[46:47], v[46:47], v[52:53]
	s_or_b32 exec_lo, exec_lo, s10
	s_and_saveexec_b32 s10, s3
	s_cbranch_execnz .LBB146_749
	s_branch .LBB146_750
.LBB146_1102:                           ;   in Loop: Header=BB146_3 Depth=1
	ds_load_b64 v[48:49], v61 offset:6720
	ds_load_b64 v[50:51], v62 offset:7784
	s_wait_dscnt 0x0
	v_dual_mul_f32 v0, v51, v49 :: v_dual_mul_f32 v35, v50, v49
	s_delay_alu instid0(VALU_DEP_1) | instskip(NEXT) | instid1(VALU_DEP_1)
	v_dual_fma_f32 v0, v50, v48, -v0 :: v_dual_fmac_f32 v35, v51, v48
	v_dual_add_f32 v46, v46, v0 :: v_dual_add_f32 v47, v47, v35
	s_or_b32 exec_lo, exec_lo, s10
	s_and_saveexec_b32 s10, s16
	s_cbranch_execz .LBB146_838
.LBB146_1103:                           ;   in Loop: Header=BB146_3 Depth=1
	ds_load_b64 v[48:49], v61 offset:7232
	ds_load_b64 v[50:51], v62 offset:7792
	s_wait_dscnt 0x0
	v_dual_mul_f32 v0, v51, v49 :: v_dual_mul_f32 v53, v50, v49
	s_delay_alu instid0(VALU_DEP_1) | instskip(NEXT) | instid1(VALU_DEP_1)
	v_dual_fma_f32 v52, v50, v48, -v0 :: v_dual_fmac_f32 v53, v51, v48
	v_pk_add_f32 v[46:47], v[46:47], v[52:53]
	s_or_b32 exec_lo, exec_lo, s10
	s_and_saveexec_b32 s10, s1
	s_cbranch_execnz .LBB146_839
	s_branch .LBB146_840
.LBB146_1104:                           ;   in Loop: Header=BB146_3 Depth=1
	ds_load_b64 v[48:49], v67 offset:4608
	ds_load_b64 v[50:51], v68 offset:7752
	s_wait_dscnt 0x0
	v_dual_mul_f32 v0, v51, v49 :: v_dual_mul_f32 v35, v50, v49
	s_delay_alu instid0(VALU_DEP_1) | instskip(NEXT) | instid1(VALU_DEP_1)
	v_dual_fma_f32 v0, v50, v48, -v0 :: v_dual_fmac_f32 v35, v51, v48
	v_dual_add_f32 v46, v46, v0 :: v_dual_add_f32 v47, v47, v35
	s_or_b32 exec_lo, exec_lo, s10
	s_and_saveexec_b32 s10, s19
	s_cbranch_execz .LBB146_880
.LBB146_1105:                           ;   in Loop: Header=BB146_3 Depth=1
	ds_load_b64 v[48:49], v67 offset:5120
	ds_load_b64 v[50:51], v68 offset:7760
	s_wait_dscnt 0x0
	v_dual_mul_f32 v0, v51, v49 :: v_dual_mul_f32 v35, v50, v49
	s_delay_alu instid0(VALU_DEP_1) | instskip(NEXT) | instid1(VALU_DEP_1)
	v_dual_fma_f32 v0, v50, v48, -v0 :: v_dual_fmac_f32 v35, v51, v48
	v_dual_add_f32 v46, v46, v0 :: v_dual_add_f32 v47, v47, v35
	s_or_b32 exec_lo, exec_lo, s10
	s_and_saveexec_b32 s10, s20
	s_cbranch_execz .LBB146_881
.LBB146_1106:                           ;   in Loop: Header=BB146_3 Depth=1
	ds_load_b64 v[48:49], v67 offset:5632
	ds_load_b64 v[50:51], v68 offset:7768
	s_wait_dscnt 0x0
	v_dual_mul_f32 v0, v51, v49 :: v_dual_mul_f32 v35, v50, v49
	s_delay_alu instid0(VALU_DEP_1) | instskip(NEXT) | instid1(VALU_DEP_1)
	v_dual_fma_f32 v0, v50, v48, -v0 :: v_dual_fmac_f32 v35, v51, v48
	v_dual_add_f32 v46, v46, v0 :: v_dual_add_f32 v47, v47, v35
	s_or_b32 exec_lo, exec_lo, s10
	s_and_saveexec_b32 s10, s21
	s_cbranch_execz .LBB146_882
.LBB146_1107:                           ;   in Loop: Header=BB146_3 Depth=1
	ds_load_b64 v[48:49], v67 offset:6144
	ds_load_b64 v[50:51], v68 offset:7776
	s_wait_dscnt 0x0
	v_dual_mul_f32 v0, v51, v49 :: v_dual_mul_f32 v53, v50, v49
	s_delay_alu instid0(VALU_DEP_1) | instskip(NEXT) | instid1(VALU_DEP_1)
	v_dual_fma_f32 v52, v50, v48, -v0 :: v_dual_fmac_f32 v53, v51, v48
	v_pk_add_f32 v[46:47], v[46:47], v[52:53]
	s_or_b32 exec_lo, exec_lo, s10
	s_and_saveexec_b32 s10, s22
	s_cbranch_execz .LBB146_883
.LBB146_1108:                           ;   in Loop: Header=BB146_3 Depth=1
	ds_load_b64 v[48:49], v67 offset:6656
	ds_load_b64 v[50:51], v68 offset:7784
	s_wait_dscnt 0x0
	v_pk_mul_f32 v[52:53], v[50:51], v[48:49] op_sel:[1,1] op_sel_hi:[0,1]
	s_delay_alu instid0(VALU_DEP_1) | instskip(SKIP_1) | instid1(VALU_DEP_2)
	v_pk_fma_f32 v[102:103], v[50:51], v[48:49], v[52:53] op_sel_hi:[1,0,1]
	v_pk_fma_f32 v[48:49], v[50:51], v[48:49], v[52:53] neg_lo:[0,0,1] neg_hi:[0,0,1]
	v_mov_b32_e32 v49, v103
	s_delay_alu instid0(VALU_DEP_1)
	v_pk_add_f32 v[46:47], v[46:47], v[48:49]
	s_or_b32 exec_lo, exec_lo, s10
	s_and_saveexec_b32 s10, s3
	s_cbranch_execz .LBB146_884
.LBB146_1109:                           ;   in Loop: Header=BB146_3 Depth=1
	ds_load_b64 v[48:49], v67 offset:7168
	ds_load_b64 v[50:51], v68 offset:7792
	s_wait_dscnt 0x0
	v_pk_mul_f32 v[52:53], v[50:51], v[48:49] op_sel:[1,1] op_sel_hi:[0,1]
	s_delay_alu instid0(VALU_DEP_1) | instskip(SKIP_1) | instid1(VALU_DEP_2)
	v_pk_fma_f32 v[102:103], v[50:51], v[48:49], v[52:53] op_sel_hi:[1,0,1]
	v_pk_fma_f32 v[48:49], v[50:51], v[48:49], v[52:53] neg_lo:[0,0,1] neg_hi:[0,0,1]
	v_mov_b32_e32 v49, v103
	s_delay_alu instid0(VALU_DEP_1)
	v_pk_add_f32 v[46:47], v[46:47], v[48:49]
	s_or_b32 exec_lo, exec_lo, s10
	s_and_saveexec_b32 s10, s16
	s_cbranch_execnz .LBB146_885
	s_branch .LBB146_886
.LBB146_1110:                           ;   in Loop: Header=BB146_3 Depth=1
	ds_load_b64 v[48:49], v61 offset:2560
	ds_load_b64 v[50:51], v62 offset:3624
	s_wait_dscnt 0x0
	v_dual_mul_f32 v0, v51, v49 :: v_dual_mul_f32 v35, v50, v49
	s_delay_alu instid0(VALU_DEP_1) | instskip(NEXT) | instid1(VALU_DEP_1)
	v_dual_fma_f32 v0, v50, v48, -v0 :: v_dual_fmac_f32 v35, v51, v48
	v_dual_add_f32 v46, v46, v0 :: v_dual_add_f32 v47, v47, v35
	s_or_b32 exec_lo, exec_lo, s10
	s_and_saveexec_b32 s10, s16
	s_cbranch_execz .LBB146_942
.LBB146_1111:                           ;   in Loop: Header=BB146_3 Depth=1
	ds_load_b64 v[48:49], v61 offset:3072
	ds_load_b64 v[50:51], v62 offset:3632
	s_wait_dscnt 0x0
	v_dual_mul_f32 v0, v51, v49 :: v_dual_mul_f32 v53, v50, v49
	s_delay_alu instid0(VALU_DEP_1) | instskip(NEXT) | instid1(VALU_DEP_1)
	v_dual_fma_f32 v52, v50, v48, -v0 :: v_dual_fmac_f32 v53, v51, v48
	v_pk_add_f32 v[46:47], v[46:47], v[52:53]
	s_or_b32 exec_lo, exec_lo, s10
	s_and_saveexec_b32 s10, s1
	s_cbranch_execnz .LBB146_943
	s_branch .LBB146_944
.LBB146_1112:
	s_endpgm
	.section	.rodata,"a",@progbits
	.p2align	6, 0x0
	.amdhsa_kernel _ZL19rocblas_trsv_deviceILi64ELi16ELb0ELb1ELb0ELb1E19rocblas_complex_numIfEPKS1_PKS3_PKPS1_EviT7_lllT6_T8_lllPii
		.amdhsa_group_segment_fixed_size 41480
		.amdhsa_private_segment_fixed_size 48
		.amdhsa_kernarg_size 352
		.amdhsa_user_sgpr_count 2
		.amdhsa_user_sgpr_dispatch_ptr 0
		.amdhsa_user_sgpr_queue_ptr 0
		.amdhsa_user_sgpr_kernarg_segment_ptr 1
		.amdhsa_user_sgpr_dispatch_id 0
		.amdhsa_user_sgpr_kernarg_preload_length 0
		.amdhsa_user_sgpr_kernarg_preload_offset 0
		.amdhsa_user_sgpr_private_segment_size 0
		.amdhsa_wavefront_size32 1
		.amdhsa_uses_dynamic_stack 0
		.amdhsa_enable_private_segment 1
		.amdhsa_system_sgpr_workgroup_id_x 1
		.amdhsa_system_sgpr_workgroup_id_y 0
		.amdhsa_system_sgpr_workgroup_id_z 1
		.amdhsa_system_sgpr_workgroup_info 0
		.amdhsa_system_vgpr_workitem_id 1
		.amdhsa_next_free_vgpr 112
		.amdhsa_next_free_sgpr 105
		.amdhsa_named_barrier_count 0
		.amdhsa_reserve_vcc 1
		.amdhsa_float_round_mode_32 0
		.amdhsa_float_round_mode_16_64 0
		.amdhsa_float_denorm_mode_32 3
		.amdhsa_float_denorm_mode_16_64 3
		.amdhsa_fp16_overflow 0
		.amdhsa_memory_ordered 1
		.amdhsa_forward_progress 1
		.amdhsa_inst_pref_size 255
		.amdhsa_round_robin_scheduling 0
		.amdhsa_exception_fp_ieee_invalid_op 0
		.amdhsa_exception_fp_denorm_src 0
		.amdhsa_exception_fp_ieee_div_zero 0
		.amdhsa_exception_fp_ieee_overflow 0
		.amdhsa_exception_fp_ieee_underflow 0
		.amdhsa_exception_fp_ieee_inexact 0
		.amdhsa_exception_int_div_zero 0
	.end_amdhsa_kernel
	.section	.text._ZL19rocblas_trsv_deviceILi64ELi16ELb0ELb1ELb0ELb1E19rocblas_complex_numIfEPKS1_PKS3_PKPS1_EviT7_lllT6_T8_lllPii,"axG",@progbits,_ZL19rocblas_trsv_deviceILi64ELi16ELb0ELb1ELb0ELb1E19rocblas_complex_numIfEPKS1_PKS3_PKPS1_EviT7_lllT6_T8_lllPii,comdat
.Lfunc_end146:
	.size	_ZL19rocblas_trsv_deviceILi64ELi16ELb0ELb1ELb0ELb1E19rocblas_complex_numIfEPKS1_PKS3_PKPS1_EviT7_lllT6_T8_lllPii, .Lfunc_end146-_ZL19rocblas_trsv_deviceILi64ELi16ELb0ELb1ELb0ELb1E19rocblas_complex_numIfEPKS1_PKS3_PKPS1_EviT7_lllT6_T8_lllPii
                                        ; -- End function
	.set _ZL19rocblas_trsv_deviceILi64ELi16ELb0ELb1ELb0ELb1E19rocblas_complex_numIfEPKS1_PKS3_PKPS1_EviT7_lllT6_T8_lllPii.num_vgpr, 112
	.set _ZL19rocblas_trsv_deviceILi64ELi16ELb0ELb1ELb0ELb1E19rocblas_complex_numIfEPKS1_PKS3_PKPS1_EviT7_lllT6_T8_lllPii.num_agpr, 0
	.set _ZL19rocblas_trsv_deviceILi64ELi16ELb0ELb1ELb0ELb1E19rocblas_complex_numIfEPKS1_PKS3_PKPS1_EviT7_lllT6_T8_lllPii.numbered_sgpr, 105
	.set _ZL19rocblas_trsv_deviceILi64ELi16ELb0ELb1ELb0ELb1E19rocblas_complex_numIfEPKS1_PKS3_PKPS1_EviT7_lllT6_T8_lllPii.num_named_barrier, 0
	.set _ZL19rocblas_trsv_deviceILi64ELi16ELb0ELb1ELb0ELb1E19rocblas_complex_numIfEPKS1_PKS3_PKPS1_EviT7_lllT6_T8_lllPii.private_seg_size, 48
	.set _ZL19rocblas_trsv_deviceILi64ELi16ELb0ELb1ELb0ELb1E19rocblas_complex_numIfEPKS1_PKS3_PKPS1_EviT7_lllT6_T8_lllPii.uses_vcc, 1
	.set _ZL19rocblas_trsv_deviceILi64ELi16ELb0ELb1ELb0ELb1E19rocblas_complex_numIfEPKS1_PKS3_PKPS1_EviT7_lllT6_T8_lllPii.uses_flat_scratch, 0
	.set _ZL19rocblas_trsv_deviceILi64ELi16ELb0ELb1ELb0ELb1E19rocblas_complex_numIfEPKS1_PKS3_PKPS1_EviT7_lllT6_T8_lllPii.has_dyn_sized_stack, 0
	.set _ZL19rocblas_trsv_deviceILi64ELi16ELb0ELb1ELb0ELb1E19rocblas_complex_numIfEPKS1_PKS3_PKPS1_EviT7_lllT6_T8_lllPii.has_recursion, 0
	.set _ZL19rocblas_trsv_deviceILi64ELi16ELb0ELb1ELb0ELb1E19rocblas_complex_numIfEPKS1_PKS3_PKPS1_EviT7_lllT6_T8_lllPii.has_indirect_call, 0
	.section	.AMDGPU.csdata,"",@progbits
; Kernel info:
; codeLenInByte = 42148
; TotalNumSgprs: 107
; NumVgprs: 112
; ScratchSize: 48
; MemoryBound: 0
; FloatMode: 240
; IeeeMode: 1
; LDSByteSize: 41480 bytes/workgroup (compile time only)
; SGPRBlocks: 0
; VGPRBlocks: 6
; NumSGPRsForWavesPerEU: 107
; NumVGPRsForWavesPerEU: 112
; NamedBarCnt: 0
; Occupancy: 9
; WaveLimiterHint : 1
; COMPUTE_PGM_RSRC2:SCRATCH_EN: 1
; COMPUTE_PGM_RSRC2:USER_SGPR: 2
; COMPUTE_PGM_RSRC2:TRAP_HANDLER: 0
; COMPUTE_PGM_RSRC2:TGID_X_EN: 1
; COMPUTE_PGM_RSRC2:TGID_Y_EN: 0
; COMPUTE_PGM_RSRC2:TGID_Z_EN: 1
; COMPUTE_PGM_RSRC2:TIDIG_COMP_CNT: 1
	.section	.text._ZL19rocblas_trsv_deviceILi64ELi16ELb0ELb1ELb1ELb1E19rocblas_complex_numIfEPKS1_PKS3_PKPS1_EviT7_lllT6_T8_lllPii,"axG",@progbits,_ZL19rocblas_trsv_deviceILi64ELi16ELb0ELb1ELb1ELb1E19rocblas_complex_numIfEPKS1_PKS3_PKPS1_EviT7_lllT6_T8_lllPii,comdat
	.globl	_ZL19rocblas_trsv_deviceILi64ELi16ELb0ELb1ELb1ELb1E19rocblas_complex_numIfEPKS1_PKS3_PKPS1_EviT7_lllT6_T8_lllPii ; -- Begin function _ZL19rocblas_trsv_deviceILi64ELi16ELb0ELb1ELb1ELb1E19rocblas_complex_numIfEPKS1_PKS3_PKPS1_EviT7_lllT6_T8_lllPii
	.p2align	8
	.type	_ZL19rocblas_trsv_deviceILi64ELi16ELb0ELb1ELb1ELb1E19rocblas_complex_numIfEPKS1_PKS3_PKPS1_EviT7_lllT6_T8_lllPii,@function
_ZL19rocblas_trsv_deviceILi64ELi16ELb0ELb1ELb1ELb1E19rocblas_complex_numIfEPKS1_PKS3_PKPS1_EviT7_lllT6_T8_lllPii: ; @_ZL19rocblas_trsv_deviceILi64ELi16ELb0ELb1ELb1ELb1E19rocblas_complex_numIfEPKS1_PKS3_PKPS1_EviT7_lllT6_T8_lllPii
; %bb.0:
	s_load_b32 s82, s[0:1], 0x58
	s_bfe_u32 s2, ttmp6, 0x40014
	s_lshr_b32 s3, ttmp7, 16
	s_add_co_i32 s2, s2, 1
	s_bfe_u32 s5, ttmp6, 0x40008
	s_mul_i32 s4, s3, s2
	s_getreg_b32 s2, hwreg(HW_REG_IB_STS2, 6, 4)
	s_add_co_i32 s5, s5, s4
	s_cmp_eq_u32 s2, 0
	s_mov_b32 s63, 0
	s_cselect_b32 s62, s3, s5
	s_wait_kmcnt 0x0
	s_cmp_ge_u32 s62, s82
	s_cbranch_scc1 .LBB147_1126
; %bb.1:
	s_clause 0x3
	s_load_b32 s3, s[0:1], 0x6c
	s_load_b32 s83, s[0:1], 0x0
	s_load_b64 s[12:13], s[0:1], 0x18
	s_load_b256 s[64:71], s[0:1], 0x28
	s_bfe_u32 s5, ttmp6, 0x4000c
	s_and_b32 s4, ttmp6, 15
	s_add_co_i32 s5, s5, 1
	s_clause 0x1
	s_load_b64 s[76:77], s[0:1], 0x50
	s_load_b128 s[72:75], s[0:1], 0x8
	s_mul_i32 s5, ttmp9, s5
	v_bfe_u32 v2, v0, 10, 10
	s_add_co_i32 s4, s4, s5
	s_cmp_eq_u32 s2, 0
	v_and_b32_e32 v4, 0x3ff, v0
	s_cselect_b32 s84, ttmp9, s4
	v_dual_mov_b32 v1, 0 :: v_dual_add_nc_u32 v24, 16, v2
                                        ; implicit-def: $vgpr113 : SGPR spill to VGPR lane
                                        ; implicit-def: $vgpr112 : SGPR spill to VGPR lane
                                        ; implicit-def: $vgpr36
                                        ; implicit-def: $vgpr38
	s_delay_alu instid0(VALU_DEP_2)
	v_dual_add_nc_u32 v28, 32, v2 :: v_dual_lshlrev_b32 v3, 6, v4
	v_lshl_add_u32 v27, v2, 6, v4
	s_wait_kmcnt 0x0
	s_and_b32 s0, s3, 0xffff
	s_add_co_i32 s1, s83, -1
	s_ashr_i32 s2, s83, 31
	s_ashr_i32 s3, s1, 31
	s_lshr_b32 s2, s2, 26
	s_lshr_b32 s3, s3, 26
	s_add_co_i32 s2, s83, s2
	s_add_co_i32 s1, s1, s3
	s_and_not1_b32 s2, s2, 63
	s_ashr_i32 s1, s1, 6
	s_sub_co_i32 s18, s83, s2
	s_cmp_eq_u32 s1, s84
	v_mov_b32_e32 v7, v1
	s_cselect_b32 s1, -1, 0
	s_cmp_lg_u32 s18, 0
	v_sub_co_u32 v5, s3, s84, 1
	s_cselect_b32 s2, -1, 0
	s_lshl_b32 s14, s84, 6
	s_and_b32 s11, s2, s1
	v_dual_add_nc_u32 v14, s14, v2 :: v_dual_add_nc_u32 v12, s14, v4
	v_mad_u32_u24 v6, v2, s0, v4
	s_xor_b32 s0, s3, -1
	s_xor_b32 s86, s11, -1
	s_delay_alu instid0(VALU_DEP_2) | instskip(SKIP_2) | instid1(VALU_DEP_2)
	v_subrev_nc_u32_e32 v8, 64, v14
	v_dual_ashrrev_i32 v13, 31, v12 :: v_dual_add_nc_u32 v15, v2, v3
	s_cmp_lt_i32 s84, 5
	v_dual_add_nc_u32 v16, v24, v3 :: v_dual_ashrrev_i32 v9, 31, v8
	v_lshl_add_u32 v17, v24, 6, v4
	s_cselect_b32 vcc_lo, -1, 0
	s_add_nc_u64 s[2:3], s[12:13], 1
	v_cndmask_b32_e32 v26, v27, v15, vcc_lo
	s_or_b32 vcc_lo, vcc_lo, s11
	v_dual_cndmask_b32 v32, v17, v16 :: v_dual_lshrrev_b32 v15, 1, v27
	v_dual_lshrrev_b32 v16, 10, v0 :: v_dual_bitop2_b32 v17, 1, v0 bitop3:0x40
	s_ashr_i32 s15, s14, 31
	s_delay_alu instid0(VALU_DEP_2) | instskip(SKIP_1) | instid1(VALU_DEP_2)
	v_lshlrev_b32_e32 v18, 9, v15
	s_mul_u64 s[16:17], s[2:3], s[14:15]
	v_bitop3_b32 v33, v0, v16, 0x3ff bitop3:0xa8
	v_lshlrev_b32_e32 v52, 3, v17
	v_cmp_gt_u32_e64 s1, 4, v27
	v_sub_nc_u32_e32 v53, 0, v18
	v_cmp_eq_u32_e64 s3, 1, v17
	v_cmp_eq_u32_e64 s4, 0, v17
	v_dual_sub_nc_u32 v55, v52, v18 :: v_dual_bitop2_b32 v16, 3, v0 bitop3:0x40
	v_lshl_add_u32 v51, v15, 3, 0x8000
	v_dual_lshlrev_b32 v54, 3, v4 :: v_dual_lshrrev_b32 v15, 2, v27
	v_cmp_eq_u32_e64 s2, 0, v2
	v_cmp_gt_u32_e64 s5, 2, v4
	s_and_b32 s88, s3, s1
	s_and_b32 s89, s4, s1
	v_cmp_gt_u32_e64 s3, 16, v27
	v_cmp_eq_u32_e64 s4, 3, v16
	s_and_b32 s90, s2, s5
	v_dual_lshlrev_b32 v17, 9, v15 :: v_dual_lshlrev_b32 v58, 3, v16
	v_lshl_add_u32 v57, v15, 3, 0x8000
	v_cmp_ne_u32_e64 s5, 3, v16
	s_and_b32 s91, s4, s3
	v_cmp_eq_u32_e64 s4, 2, v16
	v_dual_lshlrev_b32 v15, 6, v27 :: v_dual_sub_nc_u32 v59, 0, v17
	v_sub_nc_u32_e32 v62, v58, v17
	v_cmp_gt_u32_e64 s6, 2, v16
	s_and_b32 s92, s5, s3
	v_cmp_eq_u32_e64 s5, 1, v16
	v_cmp_eq_u32_e64 s8, 0, v16
	s_and_b32 s93, s4, s3
	v_cmp_gt_u32_e64 s4, 4, v4
	v_and_b32_e32 v16, -8, v27
	v_and_b32_e32 v15, 0xfffffe00, v15
	v_and_b32_e32 v17, 7, v0
	s_and_b32 s94, s6, s3
	s_and_b32 s95, s5, s3
	;; [unrolled: 1-line block ×3, first 2 shown]
	v_cmp_gt_u32_e64 s4, 64, v27
	v_sub_nc_u32_e32 v67, 0, v15
	v_cmp_eq_u32_e64 s5, 7, v17
	v_cmp_ne_u32_e64 s6, 7, v17
	s_and_b32 s96, s8, s3
	v_lshlrev_b32_e32 v66, 3, v17
	v_cmp_eq_u32_e64 s8, 6, v17
	s_and_b32 s98, s5, s4
	v_cmp_gt_u32_e64 s5, 6, v17
	s_and_b32 s99, s6, s4
	v_cmp_gt_u32_e64 s6, 5, v17
	v_add_nc_u32_e32 v65, 0x8000, v16
	s_and_b32 s100, s8, s4
	s_and_b32 s101, s5, s4
	v_cmp_eq_u32_e64 s5, 4, v17
	s_and_b32 s103, s6, s4
	v_cmp_eq_u32_e64 s6, 3, v17
	v_cmp_gt_u32_e64 s8, 4, v17
	v_lshrrev_b32_e32 v16, 4, v27
	s_and_b32 s104, s5, s4
	v_cmp_eq_u32_e64 s5, 2, v17
	s_and_b32 s37, s6, s4
	v_cmp_gt_u32_e64 s6, 2, v17
	v_dual_sub_nc_u32 v71, v66, v15 :: v_dual_bitop2_b32 v15, 15, v0 bitop3:0x40
	s_and_b32 s39, s5, s4
	v_cmp_eq_u32_e64 s5, 0, v17
	s_and_b32 s40, s6, s4
	v_cmp_gt_u32_e64 s6, 8, v4
	v_cmp_eq_u32_e64 s9, 5, v17
	s_and_b32 vcc_hi, s8, s4
	v_cmp_eq_u32_e64 s8, 1, v17
	s_and_b32 s42, s5, s4
	s_and_b32 s43, s2, s6
	v_cmp_gt_u32_e64 s5, 0x100, v27
	v_cmp_eq_u32_e64 s6, 15, v15
	v_writelane_b32 v113, s0, 0
	s_and_b32 s102, s9, s4
	v_cmp_gt_u32_e64 s9, 3, v17
	s_and_b32 s41, s8, s4
	v_cmp_ne_u32_e64 s8, 15, v15
	s_and_b32 s6, s6, s5
	v_cmp_gt_u32_e64 s10, 14, v15
	v_writelane_b32 v113, s6, 1
	s_and_b32 s38, s9, s4
	v_cmp_eq_u32_e64 s9, 14, v15
	s_and_b32 s6, s8, s5
	v_lshl_add_u32 v73, v16, 3, 0x8000
	v_writelane_b32 v113, s6, 2
	v_cmp_eq_u32_e64 s6, 13, v15
	s_and_b32 s8, s9, s5
	v_cmp_eq_u32_e64 s9, 12, v15
	v_dual_lshlrev_b32 v16, 9, v16 :: v_dual_lshlrev_b32 v74, 3, v15
	v_writelane_b32 v113, s8, 3
	s_and_b32 s8, s10, s5
	s_and_b32 s6, s6, s5
	v_cmp_eq_u32_e64 s10, 11, v15
	v_sub_nc_u32_e32 v75, 0, v16
	v_writelane_b32 v113, s8, 4
	v_cmp_gt_u32_e64 s8, 13, v15
	v_mad_u32_u24 v56, 0x1f8, v4, v54
	s_and_b32 s53, s10, s5
	v_cmp_gt_u32_e64 s10, 9, v15
	v_writelane_b32 v113, s6, 5
	s_and_b32 s8, s8, s5
	v_cmp_gt_u32_e64 s6, 12, v15
	v_sub_nc_u32_e32 v77, v74, v16
	s_and_b32 s58, s10, s5
	v_writelane_b32 v113, s8, 6
	s_and_b32 s8, s9, s5
	s_and_b32 s52, s6, s5
	v_cmp_eq_u32_e64 s6, 10, v15
	v_cmp_gt_u32_e64 s9, 10, v15
	v_writelane_b32 v113, s8, 7
	v_cmp_gt_u32_e64 s8, 11, v15
	v_cmp_eq_u32_e64 s10, 6, v15
	s_and_b32 s55, s6, s5
	v_cmp_eq_u32_e64 s6, 8, v15
	s_and_b32 s56, s9, s5
	s_and_b32 s54, s8, s5
	v_cmp_eq_u32_e64 s8, 9, v15
	v_cmp_eq_u32_e64 s9, 7, v15
	s_and_b32 s59, s6, s5
	v_cmp_gt_u32_e64 s6, 7, v15
	s_and_b32 s26, s10, s5
	s_and_b32 s57, s8, s5
	v_cmp_gt_u32_e64 s8, 8, v15
	s_and_b32 s22, s9, s5
	s_and_b32 s24, s6, s5
	v_cmp_eq_u32_e64 s6, 5, v15
	v_cmp_gt_u32_e64 s9, 5, v15
	s_and_b32 s60, s8, s5
	v_cmp_gt_u32_e64 s8, 6, v15
	v_cmp_gt_u32_e64 s10, 4, v15
	s_and_b32 s30, s6, s5
	v_cmp_eq_u32_e64 s6, 3, v15
	s_and_b32 s33, s9, s5
	s_and_b32 s28, s8, s5
	v_cmp_eq_u32_e64 s8, 4, v15
	s_and_b32 s23, s10, s5
	v_cmp_eq_u32_e64 s9, 2, v15
	s_and_b32 s25, s6, s5
	v_cmp_gt_u32_e64 s6, 2, v15
	s_and_b32 s45, s8, s5
	v_cmp_gt_u32_e64 s8, 3, v15
	v_cmp_eq_u32_e64 s10, 1, v15
	v_add_nc_u32_e32 v30, 48, v2
	s_and_b32 s31, s6, s5
	v_cmp_gt_u32_e64 s6, 16, v4
	s_and_b32 s27, s8, s5
	v_cmp_eq_u32_e64 s8, 0, v15
	v_dual_lshrrev_b32 v15, 5, v27 :: v_dual_bitop2_b32 v76, 31, v0 bitop3:0x40
	s_and_b32 s46, s2, s6
	v_cmp_gt_u32_e64 s6, 32, v4
	s_and_b32 s44, s8, s5
	v_dual_lshlrev_b32 v0, 9, v15 :: v_dual_lshlrev_b32 v78, 3, v76
	v_cmp_le_i32_e64 s8, s18, v4
	v_lshl_add_u32 v79, v15, 3, 0x8000
	v_subrev_nc_u32_e32 v15, 32, v14
	s_delay_alu instid0(VALU_DEP_4)
	v_dual_sub_nc_u32 v80, 0, v0 :: v_dual_sub_nc_u32 v81, v78, v0
	v_subrev_nc_u32_e32 v0, 48, v14
	v_add_nc_u32_e32 v14, -16, v14
	v_mad_i32_i24 v60, 0xfffffe08, v4, v56
	s_and_b32 s47, s8, s11
	v_cmp_gt_i32_e64 s7, s18, v4
	s_and_b32 s29, s9, s5
	s_and_b32 s85, s10, s5
	s_xor_b32 s19, s47, -1
	v_cmp_gt_i32_e64 s9, s83, v0
	v_cmp_gt_i32_e64 s10, s83, v15
	;; [unrolled: 1-line block ×3, first 2 shown]
	v_add_nc_u32_e32 v0, v28, v3
	v_lshl_add_u32 v14, v28, 6, v4
	v_add_nc_u32_e32 v3, v30, v3
	v_lshl_add_u32 v15, v30, 6, v4
	s_and_b32 s6, s2, s6
	v_mad_u32_u24 v61, 0x1f8, v4, v60
	s_xor_b32 s87, vcc_lo, -1
	v_writelane_b32 v113, s6, 8
	s_and_b32 s48, s2, s19
	s_cmp_gt_i32 s84, 0
	v_cmp_gt_i32_e64 s0, s83, v12
	v_cndmask_b32_e32 v34, v14, v0, vcc_lo
	s_cselect_b32 s49, -1, 0
	v_dual_cndmask_b32 v35, v15, v3 :: v_dual_add_nc_u32 v0, s14, v6
	v_cmp_gt_i32_e32 vcc_lo, s83, v8
	s_and_b32 s7, s2, s7
	v_mad_i32_i24 v63, 0xfffffe08, v4, v61
	v_writelane_b32 v113, s7, 9
	v_cmp_le_i32_e64 s6, s18, v2
	s_and_b32 s7, vcc_lo, s0
	v_add_nc_u64_e32 v[22:23], s[14:15], v[6:7]
	v_mad_u32_u24 v64, 0x1f8, v4, v63
	v_writelane_b32 v113, s7, 10
	s_and_b32 s7, s9, s0
	v_dual_mov_b32 v25, v1 :: v_dual_mov_b32 v29, v1
	s_delay_alu instid0(VALU_DEP_3) | instskip(SKIP_3) | instid1(VALU_DEP_3)
	v_mad_i32_i24 v68, 0xfffffe08, v4, v64
	v_writelane_b32 v113, s7, 11
	s_and_b32 s7, s10, s0
	v_dual_mov_b32 v31, v1 :: v_dual_mov_b32 v3, v1
	v_mad_u32_u24 v69, 0x1f8, v4, v68
	v_writelane_b32 v113, s7, 12
	s_or_b32 s15, s6, s8
	v_cmp_ge_u32_e64 s6, v4, v2
	s_and_b32 s7, s11, s0
	v_mad_i32_i24 v70, 0xfffffe08, v4, v69
	v_writelane_b32 v113, s7, 13
	v_mul_u64_e32 v[10:11], s[12:13], v[12:13]
	v_mul_u64_e32 v[14:15], s[12:13], v[24:25]
	;; [unrolled: 1-line block ×5, first 2 shown]
	v_cmp_le_i32_e64 s12, s18, v24
	s_or_b32 s7, s15, s6
	v_mad_u32_u24 v72, 0x1f8, v4, v70
	v_cmp_le_i32_e64 s13, s18, v28
	v_cmp_le_i32_e64 s14, s18, v30
	v_writelane_b32 v113, s7, 14
	v_cmp_ge_u32_e64 s7, v4, v24
	s_or_b32 s12, s12, s8
	v_mad_i32_i24 v3, 0xfffffe08, v4, v72
	s_or_b32 s13, s13, s8
	s_or_b32 s14, s14, s8
	;; [unrolled: 1-line block ×3, first 2 shown]
	v_cmp_ge_u32_e64 s9, v4, v30
	v_writelane_b32 v113, s8, 15
	v_cmp_ge_u32_e64 s8, v4, v28
	v_mad_u32_u24 v7, 0x1f8, v4, v3
	v_dual_lshlrev_b32 v85, 3, v34 :: v_dual_lshlrev_b32 v86, 3, v35
	v_dual_lshlrev_b32 v25, 3, v2 :: v_dual_bitop2_b32 v35, v24, v4 bitop3:0x54
	s_or_b32 s10, s13, s8
	s_delay_alu instid0(VALU_DEP_3)
	v_mad_i32_i24 v83, 0xfffffe08, v4, v7
	v_writelane_b32 v113, s10, 16
	s_or_b32 s10, s14, s9
	v_cmp_gt_u32_e64 s12, 64, v33
	v_or_b32_e32 v37, v28, v4
	v_mad_u32_u24 v87, 0x1f8, v4, v83
	v_writelane_b32 v113, s10, 17
	v_dual_lshlrev_b32 v82, 3, v26 :: v_dual_bitop2_b32 v39, v30, v4 bitop3:0x54
	s_delay_alu instid0(VALU_DEP_3)
	v_dual_lshlrev_b32 v84, 3, v32 :: v_dual_add_nc_u32 v89, v87, v25
	v_writelane_b32 v113, s12, 18
	v_cmp_gt_u32_e64 s12, 64, v35
	v_lshlrev_b32_e32 v26, 3, v4
	v_mul_u64_e32 v[12:13], s[70:71], v[12:13]
	v_mul_u64_e32 v[22:23], s[70:71], v[22:23]
	v_or_b32_e32 v88, 0xa000, v25
	v_writelane_b32 v113, s12, 19
	v_cmp_gt_u32_e64 s12, 64, v37
	v_mul_u64_e32 v[24:25], s[70:71], v[0:1]
	v_mul_i32_i24_e32 v90, 0xfffffe08, v4
	v_mov_b64_e32 v[28:29], 0
	v_mov_b64_e32 v[30:31], 0x3f800000
	v_writelane_b32 v113, s12, 20
	v_cmp_gt_u32_e64 s12, 0xf0, v27
	v_mad_u32_u24 v32, 0x1f8, v4, v90
	v_cmp_lt_u32_e32 vcc_lo, 0x3ff, v27
	v_lshl_add_u32 v91, v6, 3, 0xa000
	v_lshl_add_u32 v92, v27, 3, 0x8000
	v_writelane_b32 v113, s12, 21
	v_cmp_gt_u32_e64 s12, 0xe0, v27
	v_mad_u32 v96, v32, 7, v54
	v_add_nc_u32_e32 v93, 0x8000, v54
	v_lshl_add_u32 v94, v2, 9, v3
	v_add_nc_u32_e32 v95, v88, v54
	v_writelane_b32 v113, s12, 22
	v_cmp_gt_u32_e64 s12, 0xd0, v27
	s_lshl_b64 s[78:79], s[16:17], 3
	v_or_b32_e32 v97, 0x3800, v78
	v_subrev_nc_u32_e32 v98, 31, v76
	v_cmp_eq_u32_e64 s10, 0, v33
	v_writelane_b32 v113, s12, 23
	v_cmp_gt_u32_e64 s12, 0xc0, v27
	v_cmp_gt_u32_e64 s13, 2, v27
	v_cmp_gt_u32_e64 s14, 12, v27
	v_cmp_gt_u32_e64 s15, 8, v27
	v_cmp_gt_u32_e64 s16, 56, v27
	v_writelane_b32 v113, s12, 24
	v_cmp_gt_u32_e64 s12, 0xb0, v27
	v_cmp_gt_u32_e64 s18, 48, v27
	;; [unrolled: 1-line block ×5, first 2 shown]
	v_writelane_b32 v113, s12, 25
	v_cmp_gt_u32_e64 s12, 0xa0, v27
	v_cmp_gt_u32_e64 s34, 0x400, v27
	v_cmp_eq_u32_e64 s35, 0, v6
	v_cmp_gt_u32_e64 s36, 64, v6
	s_xor_b32 s11, vcc_lo, -1
	v_writelane_b32 v113, s12, 26
	v_cmp_gt_u32_e64 s12, 0x90, v27
	s_lshl_b64 s[74:75], s[74:75], 3
	s_lshl_b64 s[68:69], s[68:69], 3
                                        ; implicit-def: $vgpr32
                                        ; implicit-def: $vgpr34
	v_writelane_b32 v113, s12, 27
	v_cmp_gt_u32_e64 s12, 0x80, v27
	s_delay_alu instid0(VALU_DEP_1) | instskip(SKIP_1) | instid1(VALU_DEP_1)
	v_writelane_b32 v113, s12, 28
	v_cmp_gt_u32_e64 s12, 0x70, v27
	v_writelane_b32 v113, s12, 29
	v_cmp_gt_u32_e64 s12, 0x60, v27
	s_delay_alu instid0(VALU_DEP_1) | instskip(SKIP_1) | instid1(VALU_DEP_1)
	v_writelane_b32 v113, s12, 30
	v_cmp_gt_u32_e64 s12, 0x50, v27
	;; [unrolled: 5-line block ×14, first 2 shown]
	v_writelane_b32 v112, s12, 23
	s_branch .LBB147_3
.LBB147_2:                              ;   in Loop: Header=BB147_3 Depth=1
	s_wait_xcnt 0x0
	s_or_b32 exec_lo, exec_lo, s12
	s_add_co_i32 s62, s62, 0x10000
	global_wb scope:SCOPE_DEV
	s_wait_storecnt 0x0
	global_inv scope:SCOPE_DEV
	s_cmp_lt_u32 s62, s82
	s_cbranch_scc0 .LBB147_1126
.LBB147_3:                              ; =>This Loop Header: Depth=1
                                        ;     Child Loop BB147_537 Depth 2
                                        ;     Child Loop BB147_986 Depth 2
                                        ;       Child Loop BB147_988 Depth 3
                                        ;     Child Loop BB147_1032 Depth 2
	v_mov_b32_e32 v0, s62
	v_readlane_b32 s12, v113, 0
	s_clause 0x1
	global_load_b64 v[40:41], v0, s[72:73] scale_offset
	global_load_b64 v[44:45], v0, s[66:67] scale_offset
	global_load_b64 v[42:43], v1, s[64:65]
	s_and_not1_b32 vcc_lo, exec_lo, s12
	s_wait_loadcnt 0x2
	v_add_nc_u64_e32 v[46:47], s[74:75], v[40:41]
	s_delay_alu instid0(VALU_DEP_1)
	v_lshl_add_u64 v[40:41], v[10:11], 3, v[46:47]
	s_cbranch_vccnz .LBB147_13
; %bb.4:                                ;   in Loop: Header=BB147_3 Depth=1
	s_delay_alu instid0(VALU_DEP_1)
	v_lshl_add_u64 v[48:49], v[8:9], 3, v[40:41]
	v_dual_mov_b32 v34, 0 :: v_dual_mov_b32 v32, 0
	v_mov_b32_e32 v33, 0
	s_wait_loadcnt 0x0
	s_barrier_signal -1
	s_barrier_wait -1
	s_wait_xcnt 0x0
	s_mov_b32 s12, exec_lo
	v_readlane_b32 s17, v113, 10
	s_and_b32 s17, s12, s17
	s_delay_alu instid0(SALU_CYCLE_1)
	s_mov_b32 exec_lo, s17
	s_cbranch_execz .LBB147_6
; %bb.5:                                ;   in Loop: Header=BB147_3 Depth=1
	flat_load_b64 v[32:33], v[48:49]
.LBB147_6:                              ;   in Loop: Header=BB147_3 Depth=1
	s_wait_xcnt 0x0
	s_or_b32 exec_lo, exec_lo, s12
	v_mov_b32_e32 v35, 0
	s_wait_loadcnt_dscnt 0x0
	s_barrier_signal -1
	s_barrier_wait -1
	s_mov_b32 s12, exec_lo
	v_readlane_b32 s17, v113, 11
	s_and_b32 s17, s12, s17
	s_delay_alu instid0(SALU_CYCLE_1)
	s_mov_b32 exec_lo, s17
	s_cbranch_execz .LBB147_8
; %bb.7:                                ;   in Loop: Header=BB147_3 Depth=1
	flat_load_b64 v[34:35], v[48:49] offset:128
.LBB147_8:                              ;   in Loop: Header=BB147_3 Depth=1
	s_wait_xcnt 0x0
	s_or_b32 exec_lo, exec_lo, s12
	v_dual_mov_b32 v39, 0 :: v_dual_mov_b32 v36, 0
	v_mov_b32_e32 v37, 0
	s_wait_loadcnt_dscnt 0x0
	s_barrier_signal -1
	s_barrier_wait -1
	s_mov_b32 s12, exec_lo
	v_readlane_b32 s17, v113, 12
	s_and_b32 s17, s12, s17
	s_delay_alu instid0(SALU_CYCLE_1)
	s_mov_b32 exec_lo, s17
	s_cbranch_execz .LBB147_10
; %bb.9:                                ;   in Loop: Header=BB147_3 Depth=1
	flat_load_b64 v[36:37], v[48:49] offset:256
.LBB147_10:                             ;   in Loop: Header=BB147_3 Depth=1
	s_wait_xcnt 0x0
	s_or_b32 exec_lo, exec_lo, s12
	v_mov_b32_e32 v38, 0
	s_wait_loadcnt_dscnt 0x0
	s_barrier_signal -1
	s_barrier_wait -1
	s_mov_b32 s12, exec_lo
	v_readlane_b32 s17, v113, 13
	s_and_b32 s17, s12, s17
	s_delay_alu instid0(SALU_CYCLE_1)
	s_mov_b32 exec_lo, s17
	s_cbranch_execz .LBB147_12
; %bb.11:                               ;   in Loop: Header=BB147_3 Depth=1
	flat_load_b64 v[38:39], v[48:49] offset:384
.LBB147_12:                             ;   in Loop: Header=BB147_3 Depth=1
	s_wait_xcnt 0x0
	s_or_b32 exec_lo, exec_lo, s12
.LBB147_13:                             ;   in Loop: Header=BB147_3 Depth=1
	v_add_nc_u64_e32 v[46:47], s[78:79], v[46:47]
	v_mov_b32_e32 v27, v1
	s_and_not1_b32 vcc_lo, exec_lo, s86
	s_mov_b32 s12, -1
	s_delay_alu instid0(VALU_DEP_1)
	v_add_nc_u64_e32 v[46:47], v[46:47], v[26:27]
	s_cbranch_vccnz .LBB147_24
; %bb.14:                               ;   in Loop: Header=BB147_3 Depth=1
	s_wait_xcnt 0x0
	s_and_saveexec_b32 s12, s6
	s_delay_alu instid0(SALU_CYCLE_1)
	s_xor_b32 s12, exec_lo, s12
	s_cbranch_execnz .LBB147_1053
; %bb.15:                               ;   in Loop: Header=BB147_3 Depth=1
	s_and_not1_saveexec_b32 s12, s12
	s_cbranch_execnz .LBB147_1056
.LBB147_16:                             ;   in Loop: Header=BB147_3 Depth=1
	s_or_b32 exec_lo, exec_lo, s12
	s_and_saveexec_b32 s12, s7
	s_delay_alu instid0(SALU_CYCLE_1)
	s_xor_b32 s12, exec_lo, s12
	s_cbranch_execnz .LBB147_1057
.LBB147_17:                             ;   in Loop: Header=BB147_3 Depth=1
	s_and_not1_saveexec_b32 s12, s12
	s_cbranch_execnz .LBB147_1060
.LBB147_18:                             ;   in Loop: Header=BB147_3 Depth=1
	s_or_b32 exec_lo, exec_lo, s12
	s_and_saveexec_b32 s12, s8
	s_delay_alu instid0(SALU_CYCLE_1)
	s_xor_b32 s12, exec_lo, s12
	s_cbranch_execnz .LBB147_1061
.LBB147_19:                             ;   in Loop: Header=BB147_3 Depth=1
	s_and_not1_saveexec_b32 s12, s12
	s_cbranch_execnz .LBB147_1064
.LBB147_20:                             ;   in Loop: Header=BB147_3 Depth=1
	s_or_b32 exec_lo, exec_lo, s12
	s_and_saveexec_b32 s12, s9
	s_delay_alu instid0(SALU_CYCLE_1)
	s_xor_b32 s12, exec_lo, s12
	s_cbranch_execnz .LBB147_1065
.LBB147_21:                             ;   in Loop: Header=BB147_3 Depth=1
	s_and_not1_saveexec_b32 s12, s12
	s_cbranch_execz .LBB147_23
.LBB147_22:                             ;   in Loop: Header=BB147_3 Depth=1
	v_lshl_add_u64 v[48:49], v[18:19], 3, v[46:47]
	flat_load_b64 v[48:49], v[48:49]
	s_wait_loadcnt_dscnt 0x0
	v_xor_b32_e32 v48, 0x80000000, v48
	ds_store_b64 v86, v[48:49]
.LBB147_23:                             ;   in Loop: Header=BB147_3 Depth=1
	s_or_b32 exec_lo, exec_lo, s12
	s_mov_b32 s12, 0
.LBB147_24:                             ;   in Loop: Header=BB147_3 Depth=1
	s_delay_alu instid0(SALU_CYCLE_1)
	s_and_b32 vcc_lo, exec_lo, s12
	s_cbranch_vccz .LBB147_50
; %bb.25:                               ;   in Loop: Header=BB147_3 Depth=1
	s_wait_xcnt 0x0
	s_mov_b32 s12, exec_lo
	v_readlane_b32 s17, v113, 14
	s_and_b32 s17, s12, s17
	s_delay_alu instid0(SALU_CYCLE_1)
	s_xor_b32 s12, s17, s12
	s_mov_b32 exec_lo, s17
	s_cbranch_execz .LBB147_29
; %bb.26:                               ;   in Loop: Header=BB147_3 Depth=1
	v_readlane_b32 s50, v113, 18
	s_and_saveexec_b32 s17, s50
; %bb.27:                               ;   in Loop: Header=BB147_3 Depth=1
	ds_store_b64 v89, v[28:29]
; %bb.28:                               ;   in Loop: Header=BB147_3 Depth=1
	s_or_b32 exec_lo, exec_lo, s17
.LBB147_29:                             ;   in Loop: Header=BB147_3 Depth=1
	s_and_not1_saveexec_b32 s12, s12
	s_cbranch_execz .LBB147_31
; %bb.30:                               ;   in Loop: Header=BB147_3 Depth=1
	v_lshl_add_u64 v[48:49], v[20:21], 3, v[46:47]
	flat_load_b64 v[48:49], v[48:49]
	s_wait_loadcnt_dscnt 0x0
	v_xor_b32_e32 v48, 0x80000000, v48
	ds_store_b64 v89, v[48:49]
.LBB147_31:                             ;   in Loop: Header=BB147_3 Depth=1
	s_or_b32 exec_lo, exec_lo, s12
	s_delay_alu instid0(SALU_CYCLE_1) | instskip(SKIP_2) | instid1(SALU_CYCLE_1)
	s_mov_b32 s12, exec_lo
	v_readlane_b32 s17, v113, 15
	s_and_b32 s17, s12, s17
	s_xor_b32 s12, s17, s12
	s_mov_b32 exec_lo, s17
	s_cbranch_execz .LBB147_35
; %bb.32:                               ;   in Loop: Header=BB147_3 Depth=1
	v_readlane_b32 s50, v113, 19
	s_and_saveexec_b32 s17, s50
; %bb.33:                               ;   in Loop: Header=BB147_3 Depth=1
	ds_store_b64 v84, v[28:29]
; %bb.34:                               ;   in Loop: Header=BB147_3 Depth=1
	s_or_b32 exec_lo, exec_lo, s17
.LBB147_35:                             ;   in Loop: Header=BB147_3 Depth=1
	s_and_not1_saveexec_b32 s12, s12
	s_cbranch_execz .LBB147_37
; %bb.36:                               ;   in Loop: Header=BB147_3 Depth=1
	v_lshl_add_u64 v[48:49], v[14:15], 3, v[46:47]
	flat_load_b64 v[48:49], v[48:49]
	s_wait_loadcnt_dscnt 0x0
	v_xor_b32_e32 v48, 0x80000000, v48
	ds_store_b64 v84, v[48:49]
.LBB147_37:                             ;   in Loop: Header=BB147_3 Depth=1
	s_or_b32 exec_lo, exec_lo, s12
	s_delay_alu instid0(SALU_CYCLE_1) | instskip(SKIP_2) | instid1(SALU_CYCLE_1)
	s_mov_b32 s12, exec_lo
	v_readlane_b32 s17, v113, 16
	s_and_b32 s17, s12, s17
	;; [unrolled: 25-line block ×3, first 2 shown]
	s_xor_b32 s12, s17, s12
	s_mov_b32 exec_lo, s17
	s_cbranch_execz .LBB147_47
; %bb.44:                               ;   in Loop: Header=BB147_3 Depth=1
	v_readlane_b32 s50, v112, 8
	s_and_saveexec_b32 s17, s50
; %bb.45:                               ;   in Loop: Header=BB147_3 Depth=1
	ds_store_b64 v86, v[28:29]
; %bb.46:                               ;   in Loop: Header=BB147_3 Depth=1
	s_or_b32 exec_lo, exec_lo, s17
                                        ; implicit-def: $vgpr46_vgpr47
.LBB147_47:                             ;   in Loop: Header=BB147_3 Depth=1
	s_and_not1_saveexec_b32 s12, s12
	s_cbranch_execz .LBB147_49
; %bb.48:                               ;   in Loop: Header=BB147_3 Depth=1
	v_lshl_add_u64 v[46:47], v[18:19], 3, v[46:47]
	flat_load_b64 v[46:47], v[46:47]
	s_wait_loadcnt_dscnt 0x0
	v_xor_b32_e32 v46, 0x80000000, v46
	ds_store_b64 v86, v[46:47]
.LBB147_49:                             ;   in Loop: Header=BB147_3 Depth=1
	s_or_b32 exec_lo, exec_lo, s12
.LBB147_50:                             ;   in Loop: Header=BB147_3 Depth=1
	s_delay_alu instid0(SALU_CYCLE_1)
	s_and_not1_b32 vcc_lo, exec_lo, s87
	s_wait_loadcnt_dscnt 0x0
	s_barrier_signal -1
	s_barrier_wait -1
	s_cbranch_vccnz .LBB147_980
; %bb.51:                               ;   in Loop: Header=BB147_3 Depth=1
	s_wait_xcnt 0x0
	s_and_saveexec_b32 s12, s10
	s_cbranch_execz .LBB147_53
; %bb.52:                               ;   in Loop: Header=BB147_3 Depth=1
	ds_load_b64 v[46:47], v1 offset:32752
	v_add_nc_u32_e64 v0, 0x7800, 0
	ds_store_b64 v1, v[30:31] offset:32760
	s_wait_dscnt 0x1
	ds_store_2addr_b64 v0, v[30:31], v[46:47] offset0:190 offset1:191
.LBB147_53:                             ;   in Loop: Header=BB147_3 Depth=1
	s_or_b32 exec_lo, exec_lo, s12
	v_dual_mov_b32 v46, 0 :: v_dual_mov_b32 v47, 0
	s_wait_dscnt 0x0
	s_barrier_signal -1
	s_barrier_wait -1
	global_wb scope:SCOPE_DEV
	s_wait_storecnt 0x0
	global_inv scope:SCOPE_DEV
	s_and_saveexec_b32 s12, s1
	s_cbranch_execz .LBB147_57
; %bb.54:                               ;   in Loop: Header=BB147_3 Depth=1
	ds_load_b64 v[46:47], v52 offset:32224
	ds_load_b64 v[48:49], v53 offset:32752
	s_wait_dscnt 0x0
	v_pk_mul_f32 v[100:101], v[48:49], v[46:47] op_sel:[1,1] op_sel_hi:[0,1]
	s_delay_alu instid0(VALU_DEP_1) | instskip(SKIP_1) | instid1(VALU_DEP_2)
	v_pk_fma_f32 v[102:103], v[48:49], v[46:47], v[100:101] op_sel_hi:[1,0,1]
	v_pk_fma_f32 v[46:47], v[48:49], v[46:47], v[100:101] neg_lo:[0,0,1] neg_hi:[0,0,1]
	v_mov_b32_e32 v47, v103
	s_delay_alu instid0(VALU_DEP_1)
	v_pk_add_f32 v[46:47], v[46:47], 0 op_sel_hi:[1,0]
	s_and_saveexec_b32 s17, s13
	s_cbranch_execz .LBB147_56
; %bb.55:                               ;   in Loop: Header=BB147_3 Depth=1
	ds_load_b64 v[48:49], v54 offset:32736
	ds_load_b64 v[100:101], v1 offset:32760
	s_wait_dscnt 0x0
	v_pk_mul_f32 v[102:103], v[100:101], v[48:49] op_sel:[1,1] op_sel_hi:[0,1]
	s_delay_alu instid0(VALU_DEP_1) | instskip(SKIP_1) | instid1(VALU_DEP_2)
	v_pk_fma_f32 v[104:105], v[100:101], v[48:49], v[102:103] op_sel_hi:[1,0,1]
	v_pk_fma_f32 v[48:49], v[100:101], v[48:49], v[102:103] neg_lo:[0,0,1] neg_hi:[0,0,1]
	v_mov_b32_e32 v49, v105
	s_delay_alu instid0(VALU_DEP_1)
	v_pk_add_f32 v[46:47], v[46:47], v[48:49]
.LBB147_56:                             ;   in Loop: Header=BB147_3 Depth=1
	s_or_b32 exec_lo, exec_lo, s17
.LBB147_57:                             ;   in Loop: Header=BB147_3 Depth=1
	s_delay_alu instid0(SALU_CYCLE_1)
	s_or_b32 exec_lo, exec_lo, s12
	s_and_saveexec_b32 s12, s88
; %bb.58:                               ;   in Loop: Header=BB147_3 Depth=1
	s_delay_alu instid0(VALU_DEP_1)
	v_pk_add_f32 v[48:49], v[46:47], 0 neg_lo:[1,1] neg_hi:[1,1]
	ds_store_b64 v51, v[48:49]
; %bb.59:                               ;   in Loop: Header=BB147_3 Depth=1
	s_or_b32 exec_lo, exec_lo, s12
	s_wait_loadcnt_dscnt 0x0
	s_barrier_signal -1
	s_barrier_wait -1
	s_and_saveexec_b32 s12, s89
	s_cbranch_execz .LBB147_61
; %bb.60:                               ;   in Loop: Header=BB147_3 Depth=1
	ds_load_b64 v[48:49], v1 offset:31712
	ds_load_b64 v[100:101], v51
	s_wait_dscnt 0x0
	v_pk_mul_f32 v[102:103], v[100:101], v[48:49] op_sel_hi:[1,0]
	s_delay_alu instid0(VALU_DEP_1) | instskip(SKIP_1) | instid1(VALU_DEP_2)
	v_pk_fma_f32 v[104:105], v[100:101], v[48:49], v[102:103] op_sel:[1,1,0] op_sel_hi:[0,1,1]
	v_pk_fma_f32 v[48:49], v[100:101], v[48:49], v[102:103] op_sel:[1,1,0] op_sel_hi:[0,1,1] neg_lo:[0,0,1] neg_hi:[0,0,1]
	v_pk_add_f32 v[100:101], v[46:47], v[104:105] neg_lo:[0,1] neg_hi:[0,1]
	s_delay_alu instid0(VALU_DEP_2) | instskip(NEXT) | instid1(VALU_DEP_2)
	v_pk_add_f32 v[46:47], v[46:47], v[48:49]
	v_mov_b32_e32 v47, v101
.LBB147_61:                             ;   in Loop: Header=BB147_3 Depth=1
	s_or_b32 exec_lo, exec_lo, s12
	s_barrier_signal -1
	s_barrier_wait -1
	s_and_saveexec_b32 s12, s89
; %bb.62:                               ;   in Loop: Header=BB147_3 Depth=1
	v_pk_add_f32 v[48:49], v[46:47], 0 neg_lo:[1,1] neg_hi:[1,1]
	ds_store_b64 v51, v[48:49]
; %bb.63:                               ;   in Loop: Header=BB147_3 Depth=1
	s_or_b32 exec_lo, exec_lo, s12
	s_wait_dscnt 0x0
	s_barrier_signal -1
	s_barrier_wait -1
	s_barrier_signal -1
	s_barrier_wait -1
	s_and_saveexec_b32 s12, s1
; %bb.64:                               ;   in Loop: Header=BB147_3 Depth=1
	ds_store_b64 v55, v[46:47] offset:32736
; %bb.65:                               ;   in Loop: Header=BB147_3 Depth=1
	s_or_b32 exec_lo, exec_lo, s12
	s_wait_dscnt 0x0
	s_barrier_signal -1
	s_barrier_wait -1
	s_barrier_signal -1
	s_barrier_wait -1
	s_and_saveexec_b32 s12, s90
	s_cbranch_execz .LBB147_67
; %bb.66:                               ;   in Loop: Header=BB147_3 Depth=1
	ds_load_b64 v[46:47], v56 offset:32224
	s_wait_dscnt 0x0
	ds_store_b64 v54, v[46:47] offset:31216
	ds_load_b64 v[46:47], v56 offset:32232
	s_wait_dscnt 0x0
	ds_store_b64 v54, v[46:47] offset:31728
.LBB147_67:                             ;   in Loop: Header=BB147_3 Depth=1
	s_or_b32 exec_lo, exec_lo, s12
	s_wait_dscnt 0x0
	s_barrier_signal -1
	s_barrier_wait -1
	s_and_saveexec_b32 s12, s10
	s_cbranch_execz .LBB147_69
; %bb.68:                               ;   in Loop: Header=BB147_3 Depth=1
	ds_load_b64 v[46:47], v1 offset:31712
	v_add_nc_u32_e64 v0, 0x7800, 0
	ds_store_b64 v1, v[30:31] offset:31720
	s_wait_dscnt 0x1
	ds_store_2addr_b64 v0, v[30:31], v[46:47] offset0:60 offset1:61
.LBB147_69:                             ;   in Loop: Header=BB147_3 Depth=1
	s_or_b32 exec_lo, exec_lo, s12
	v_mov_b64_e32 v[46:47], 0
	s_wait_dscnt 0x0
	s_barrier_signal -1
	s_barrier_wait -1
	global_wb scope:SCOPE_DEV
	s_wait_storecnt 0x0
	global_inv scope:SCOPE_DEV
	s_and_saveexec_b32 s12, s3
	s_cbranch_execz .LBB147_75
; %bb.70:                               ;   in Loop: Header=BB147_3 Depth=1
	ds_load_b64 v[46:47], v58 offset:31168
	ds_load_b64 v[48:49], v59 offset:32736
	s_wait_dscnt 0x0
	v_dual_mul_f32 v0, v49, v47 :: v_dual_mul_f32 v27, v48, v47
	s_delay_alu instid0(VALU_DEP_1) | instskip(NEXT) | instid1(VALU_DEP_1)
	v_dual_fma_f32 v0, v48, v46, -v0 :: v_dual_fmac_f32 v27, v49, v46
	v_dual_add_f32 v46, 0, v0 :: v_dual_add_f32 v47, 0, v27
	s_and_saveexec_b32 s17, s14
	s_cbranch_execnz .LBB147_1076
; %bb.71:                               ;   in Loop: Header=BB147_3 Depth=1
	s_or_b32 exec_lo, exec_lo, s17
	s_and_saveexec_b32 s17, s15
	s_cbranch_execnz .LBB147_1077
.LBB147_72:                             ;   in Loop: Header=BB147_3 Depth=1
	s_or_b32 exec_lo, exec_lo, s17
	s_and_saveexec_b32 s17, s1
	s_cbranch_execz .LBB147_74
.LBB147_73:                             ;   in Loop: Header=BB147_3 Depth=1
	ds_load_b64 v[48:49], v60 offset:32704
	ds_load_b64 v[100:101], v1 offset:32760
	s_wait_dscnt 0x0
	v_pk_mul_f32 v[102:103], v[100:101], v[48:49] op_sel:[1,1] op_sel_hi:[0,1]
	s_delay_alu instid0(VALU_DEP_1) | instskip(SKIP_1) | instid1(VALU_DEP_2)
	v_pk_fma_f32 v[104:105], v[100:101], v[48:49], v[102:103] op_sel_hi:[1,0,1]
	v_pk_fma_f32 v[48:49], v[100:101], v[48:49], v[102:103] neg_lo:[0,0,1] neg_hi:[0,0,1]
	v_mov_b32_e32 v49, v105
	s_delay_alu instid0(VALU_DEP_1)
	v_pk_add_f32 v[46:47], v[46:47], v[48:49]
.LBB147_74:                             ;   in Loop: Header=BB147_3 Depth=1
	s_or_b32 exec_lo, exec_lo, s17
.LBB147_75:                             ;   in Loop: Header=BB147_3 Depth=1
	s_delay_alu instid0(SALU_CYCLE_1)
	s_or_b32 exec_lo, exec_lo, s12
	s_and_saveexec_b32 s12, s91
; %bb.76:                               ;   in Loop: Header=BB147_3 Depth=1
	s_delay_alu instid0(VALU_DEP_1)
	v_pk_add_f32 v[48:49], v[46:47], 0 neg_lo:[1,1] neg_hi:[1,1]
	ds_store_b64 v57, v[48:49]
; %bb.77:                               ;   in Loop: Header=BB147_3 Depth=1
	s_or_b32 exec_lo, exec_lo, s12
	s_wait_loadcnt_dscnt 0x0
	s_barrier_signal -1
	s_barrier_wait -1
	s_and_saveexec_b32 s12, s92
	s_cbranch_execz .LBB147_79
; %bb.78:                               ;   in Loop: Header=BB147_3 Depth=1
	ds_load_b64 v[48:49], v58 offset:30656
	ds_load_b64 v[100:101], v57
	s_wait_dscnt 0x0
	v_pk_mul_f32 v[102:103], v[100:101], v[48:49] op_sel:[1,1] op_sel_hi:[0,1]
	s_delay_alu instid0(VALU_DEP_1) | instskip(SKIP_1) | instid1(VALU_DEP_2)
	v_pk_fma_f32 v[104:105], v[100:101], v[48:49], v[102:103] op_sel_hi:[1,0,1]
	v_pk_fma_f32 v[48:49], v[100:101], v[48:49], v[102:103] neg_lo:[0,0,1] neg_hi:[0,0,1]
	v_mov_b32_e32 v49, v105
	s_delay_alu instid0(VALU_DEP_1)
	v_pk_add_f32 v[46:47], v[46:47], v[48:49] neg_lo:[0,1] neg_hi:[0,1]
.LBB147_79:                             ;   in Loop: Header=BB147_3 Depth=1
	s_or_b32 exec_lo, exec_lo, s12
	s_barrier_signal -1
	s_barrier_wait -1
	s_and_saveexec_b32 s12, s93
; %bb.80:                               ;   in Loop: Header=BB147_3 Depth=1
	v_pk_add_f32 v[48:49], v[46:47], 0 neg_lo:[1,1] neg_hi:[1,1]
	ds_store_b64 v57, v[48:49]
; %bb.81:                               ;   in Loop: Header=BB147_3 Depth=1
	s_or_b32 exec_lo, exec_lo, s12
	s_wait_dscnt 0x0
	s_barrier_signal -1
	s_barrier_wait -1
	s_and_saveexec_b32 s12, s94
	s_cbranch_execz .LBB147_83
; %bb.82:                               ;   in Loop: Header=BB147_3 Depth=1
	ds_load_b64 v[48:49], v58 offset:30144
	ds_load_b64 v[100:101], v57
	s_wait_dscnt 0x0
	v_pk_mul_f32 v[102:103], v[100:101], v[48:49] op_sel:[1,1] op_sel_hi:[0,1]
	s_delay_alu instid0(VALU_DEP_1) | instskip(SKIP_1) | instid1(VALU_DEP_2)
	v_pk_fma_f32 v[104:105], v[100:101], v[48:49], v[102:103] op_sel_hi:[1,0,1]
	v_pk_fma_f32 v[48:49], v[100:101], v[48:49], v[102:103] neg_lo:[0,0,1] neg_hi:[0,0,1]
	v_mov_b32_e32 v49, v105
	s_delay_alu instid0(VALU_DEP_1)
	v_pk_add_f32 v[46:47], v[46:47], v[48:49] neg_lo:[0,1] neg_hi:[0,1]
.LBB147_83:                             ;   in Loop: Header=BB147_3 Depth=1
	s_or_b32 exec_lo, exec_lo, s12
	s_barrier_signal -1
	s_barrier_wait -1
	s_and_saveexec_b32 s12, s95
; %bb.84:                               ;   in Loop: Header=BB147_3 Depth=1
	v_pk_add_f32 v[48:49], v[46:47], 0 neg_lo:[1,1] neg_hi:[1,1]
	ds_store_b64 v57, v[48:49]
; %bb.85:                               ;   in Loop: Header=BB147_3 Depth=1
	s_or_b32 exec_lo, exec_lo, s12
	s_wait_dscnt 0x0
	;; [unrolled: 26-line block ×3, first 2 shown]
	s_barrier_signal -1
	s_barrier_wait -1
	s_barrier_signal -1
	s_barrier_wait -1
	s_and_saveexec_b32 s12, s3
; %bb.90:                               ;   in Loop: Header=BB147_3 Depth=1
	ds_store_b64 v62, v[46:47] offset:32704
; %bb.91:                               ;   in Loop: Header=BB147_3 Depth=1
	s_or_b32 exec_lo, exec_lo, s12
	s_wait_dscnt 0x0
	s_barrier_signal -1
	s_barrier_wait -1
	s_barrier_signal -1
	s_barrier_wait -1
	s_and_saveexec_b32 s12, s97
	s_cbranch_execz .LBB147_93
; %bb.92:                               ;   in Loop: Header=BB147_3 Depth=1
	ds_load_b64 v[46:47], v61 offset:31168
	s_wait_dscnt 0x0
	ds_store_b64 v63, v[46:47] offset:29152
	ds_load_b64 v[46:47], v61 offset:31176
	s_wait_dscnt 0x0
	ds_store_b64 v63, v[46:47] offset:29664
	;; [unrolled: 3-line block ×4, first 2 shown]
.LBB147_93:                             ;   in Loop: Header=BB147_3 Depth=1
	s_or_b32 exec_lo, exec_lo, s12
	s_wait_dscnt 0x0
	s_barrier_signal -1
	s_barrier_wait -1
	s_and_saveexec_b32 s12, s10
	s_cbranch_execz .LBB147_95
; %bb.94:                               ;   in Loop: Header=BB147_3 Depth=1
	ds_load_b64 v[46:47], v1 offset:30672
	v_add_nc_u32_e64 v0, 0x7000, 0
	ds_store_b64 v1, v[30:31] offset:30680
	s_wait_dscnt 0x1
	ds_store_2addr_b64 v0, v[30:31], v[46:47] offset0:186 offset1:187
.LBB147_95:                             ;   in Loop: Header=BB147_3 Depth=1
	s_or_b32 exec_lo, exec_lo, s12
	v_dual_mov_b32 v46, 0 :: v_dual_mov_b32 v47, 0
	s_wait_dscnt 0x0
	s_barrier_signal -1
	s_barrier_wait -1
	global_wb scope:SCOPE_DEV
	s_wait_storecnt 0x0
	global_inv scope:SCOPE_DEV
	s_and_saveexec_b32 s12, s1
	s_cbranch_execz .LBB147_99
; %bb.96:                               ;   in Loop: Header=BB147_3 Depth=1
	ds_load_b64 v[46:47], v52 offset:30144
	ds_load_b64 v[48:49], v53 offset:30672
	s_wait_dscnt 0x0
	v_pk_mul_f32 v[100:101], v[48:49], v[46:47] op_sel:[1,1] op_sel_hi:[0,1]
	s_delay_alu instid0(VALU_DEP_1) | instskip(SKIP_1) | instid1(VALU_DEP_2)
	v_pk_fma_f32 v[102:103], v[48:49], v[46:47], v[100:101] op_sel_hi:[1,0,1]
	v_pk_fma_f32 v[46:47], v[48:49], v[46:47], v[100:101] neg_lo:[0,0,1] neg_hi:[0,0,1]
	v_mov_b32_e32 v47, v103
	s_delay_alu instid0(VALU_DEP_1)
	v_pk_add_f32 v[46:47], v[46:47], 0 op_sel_hi:[1,0]
	s_and_saveexec_b32 s17, s13
	s_cbranch_execz .LBB147_98
; %bb.97:                               ;   in Loop: Header=BB147_3 Depth=1
	ds_load_b64 v[48:49], v63 offset:30656
	ds_load_b64 v[100:101], v1 offset:30680
	s_wait_dscnt 0x0
	v_pk_mul_f32 v[102:103], v[100:101], v[48:49] op_sel:[1,1] op_sel_hi:[0,1]
	s_delay_alu instid0(VALU_DEP_1) | instskip(SKIP_1) | instid1(VALU_DEP_2)
	v_pk_fma_f32 v[104:105], v[100:101], v[48:49], v[102:103] op_sel_hi:[1,0,1]
	v_pk_fma_f32 v[48:49], v[100:101], v[48:49], v[102:103] neg_lo:[0,0,1] neg_hi:[0,0,1]
	v_mov_b32_e32 v49, v105
	s_delay_alu instid0(VALU_DEP_1)
	v_pk_add_f32 v[46:47], v[46:47], v[48:49]
.LBB147_98:                             ;   in Loop: Header=BB147_3 Depth=1
	s_or_b32 exec_lo, exec_lo, s17
.LBB147_99:                             ;   in Loop: Header=BB147_3 Depth=1
	s_delay_alu instid0(SALU_CYCLE_1)
	s_or_b32 exec_lo, exec_lo, s12
	s_and_saveexec_b32 s12, s88
; %bb.100:                              ;   in Loop: Header=BB147_3 Depth=1
	s_delay_alu instid0(VALU_DEP_1)
	v_pk_add_f32 v[48:49], v[46:47], 0 neg_lo:[1,1] neg_hi:[1,1]
	ds_store_b64 v51, v[48:49]
; %bb.101:                              ;   in Loop: Header=BB147_3 Depth=1
	s_or_b32 exec_lo, exec_lo, s12
	s_wait_loadcnt_dscnt 0x0
	s_barrier_signal -1
	s_barrier_wait -1
	s_and_saveexec_b32 s12, s89
	s_cbranch_execz .LBB147_103
; %bb.102:                              ;   in Loop: Header=BB147_3 Depth=1
	ds_load_b64 v[48:49], v1 offset:29632
	ds_load_b64 v[100:101], v51
	s_wait_dscnt 0x0
	v_pk_mul_f32 v[102:103], v[100:101], v[48:49] op_sel_hi:[1,0]
	s_delay_alu instid0(VALU_DEP_1) | instskip(SKIP_1) | instid1(VALU_DEP_2)
	v_pk_fma_f32 v[104:105], v[100:101], v[48:49], v[102:103] op_sel:[1,1,0] op_sel_hi:[0,1,1]
	v_pk_fma_f32 v[48:49], v[100:101], v[48:49], v[102:103] op_sel:[1,1,0] op_sel_hi:[0,1,1] neg_lo:[0,0,1] neg_hi:[0,0,1]
	v_pk_add_f32 v[100:101], v[46:47], v[104:105] neg_lo:[0,1] neg_hi:[0,1]
	s_delay_alu instid0(VALU_DEP_2) | instskip(NEXT) | instid1(VALU_DEP_2)
	v_pk_add_f32 v[46:47], v[46:47], v[48:49]
	v_mov_b32_e32 v47, v101
.LBB147_103:                            ;   in Loop: Header=BB147_3 Depth=1
	s_or_b32 exec_lo, exec_lo, s12
	s_barrier_signal -1
	s_barrier_wait -1
	s_and_saveexec_b32 s12, s89
; %bb.104:                              ;   in Loop: Header=BB147_3 Depth=1
	v_pk_add_f32 v[48:49], v[46:47], 0 neg_lo:[1,1] neg_hi:[1,1]
	ds_store_b64 v51, v[48:49]
; %bb.105:                              ;   in Loop: Header=BB147_3 Depth=1
	s_or_b32 exec_lo, exec_lo, s12
	s_wait_dscnt 0x0
	s_barrier_signal -1
	s_barrier_wait -1
	s_barrier_signal -1
	s_barrier_wait -1
	s_and_saveexec_b32 s12, s1
; %bb.106:                              ;   in Loop: Header=BB147_3 Depth=1
	ds_store_b64 v55, v[46:47] offset:30656
; %bb.107:                              ;   in Loop: Header=BB147_3 Depth=1
	s_or_b32 exec_lo, exec_lo, s12
	s_wait_dscnt 0x0
	s_barrier_signal -1
	s_barrier_wait -1
	s_barrier_signal -1
	s_barrier_wait -1
	s_and_saveexec_b32 s12, s90
	s_cbranch_execz .LBB147_109
; %bb.108:                              ;   in Loop: Header=BB147_3 Depth=1
	ds_load_b64 v[46:47], v64 offset:30144
	s_wait_dscnt 0x0
	ds_store_b64 v63, v[46:47] offset:29136
	ds_load_b64 v[46:47], v64 offset:30152
	s_wait_dscnt 0x0
	ds_store_b64 v63, v[46:47] offset:29648
.LBB147_109:                            ;   in Loop: Header=BB147_3 Depth=1
	s_or_b32 exec_lo, exec_lo, s12
	s_wait_dscnt 0x0
	s_barrier_signal -1
	s_barrier_wait -1
	s_and_saveexec_b32 s12, s10
	s_cbranch_execz .LBB147_111
; %bb.110:                              ;   in Loop: Header=BB147_3 Depth=1
	ds_load_b64 v[46:47], v1 offset:29632
	v_add_nc_u32_e64 v0, 0x7000, 0
	ds_store_b64 v1, v[30:31] offset:29640
	s_wait_dscnt 0x1
	ds_store_2addr_b64 v0, v[30:31], v[46:47] offset0:56 offset1:57
.LBB147_111:                            ;   in Loop: Header=BB147_3 Depth=1
	s_or_b32 exec_lo, exec_lo, s12
	v_mov_b64_e32 v[46:47], 0
	s_wait_dscnt 0x0
	s_barrier_signal -1
	s_barrier_wait -1
	global_wb scope:SCOPE_DEV
	s_wait_storecnt 0x0
	global_inv scope:SCOPE_DEV
	s_and_saveexec_b32 s12, s4
	s_cbranch_execz .LBB147_121
; %bb.112:                              ;   in Loop: Header=BB147_3 Depth=1
	ds_load_b64 v[46:47], v66 offset:29056
	ds_load_b64 v[48:49], v67 offset:32704
	s_wait_dscnt 0x0
	v_dual_mul_f32 v0, v49, v47 :: v_dual_mul_f32 v27, v48, v47
	s_delay_alu instid0(VALU_DEP_1) | instskip(NEXT) | instid1(VALU_DEP_1)
	v_dual_fma_f32 v0, v48, v46, -v0 :: v_dual_fmac_f32 v27, v49, v46
	v_dual_add_f32 v46, 0, v0 :: v_dual_add_f32 v47, 0, v27
	s_and_saveexec_b32 s17, s16
	s_cbranch_execnz .LBB147_1078
; %bb.113:                              ;   in Loop: Header=BB147_3 Depth=1
	s_or_b32 exec_lo, exec_lo, s17
	s_and_saveexec_b32 s17, s18
	s_cbranch_execnz .LBB147_1079
.LBB147_114:                            ;   in Loop: Header=BB147_3 Depth=1
	s_or_b32 exec_lo, exec_lo, s17
	s_and_saveexec_b32 s17, s19
	s_cbranch_execnz .LBB147_1080
.LBB147_115:                            ;   in Loop: Header=BB147_3 Depth=1
	s_or_b32 exec_lo, exec_lo, s17
	s_and_saveexec_b32 s17, s20
	s_cbranch_execnz .LBB147_1081
.LBB147_116:                            ;   in Loop: Header=BB147_3 Depth=1
	s_or_b32 exec_lo, exec_lo, s17
	s_and_saveexec_b32 s17, s21
	s_cbranch_execnz .LBB147_1082
.LBB147_117:                            ;   in Loop: Header=BB147_3 Depth=1
	s_or_b32 exec_lo, exec_lo, s17
	s_and_saveexec_b32 s17, s3
	s_cbranch_execnz .LBB147_1083
.LBB147_118:                            ;   in Loop: Header=BB147_3 Depth=1
	s_or_b32 exec_lo, exec_lo, s17
	s_and_saveexec_b32 s17, s15
	s_cbranch_execz .LBB147_120
.LBB147_119:                            ;   in Loop: Header=BB147_3 Depth=1
	ds_load_b64 v[48:49], v68 offset:32640
	ds_load_b64 v[100:101], v1 offset:32760
	s_wait_dscnt 0x0
	v_pk_mul_f32 v[102:103], v[100:101], v[48:49] op_sel:[1,1] op_sel_hi:[0,1]
	s_delay_alu instid0(VALU_DEP_1) | instskip(SKIP_1) | instid1(VALU_DEP_2)
	v_pk_fma_f32 v[104:105], v[100:101], v[48:49], v[102:103] op_sel_hi:[1,0,1]
	v_pk_fma_f32 v[48:49], v[100:101], v[48:49], v[102:103] neg_lo:[0,0,1] neg_hi:[0,0,1]
	v_mov_b32_e32 v49, v105
	s_delay_alu instid0(VALU_DEP_1)
	v_pk_add_f32 v[46:47], v[46:47], v[48:49]
.LBB147_120:                            ;   in Loop: Header=BB147_3 Depth=1
	s_or_b32 exec_lo, exec_lo, s17
.LBB147_121:                            ;   in Loop: Header=BB147_3 Depth=1
	s_delay_alu instid0(SALU_CYCLE_1)
	s_or_b32 exec_lo, exec_lo, s12
	s_and_saveexec_b32 s12, s98
; %bb.122:                              ;   in Loop: Header=BB147_3 Depth=1
	s_delay_alu instid0(VALU_DEP_1)
	v_pk_add_f32 v[48:49], v[46:47], 0 neg_lo:[1,1] neg_hi:[1,1]
	ds_store_b64 v65, v[48:49]
; %bb.123:                              ;   in Loop: Header=BB147_3 Depth=1
	s_or_b32 exec_lo, exec_lo, s12
	s_wait_loadcnt_dscnt 0x0
	s_barrier_signal -1
	s_barrier_wait -1
	s_and_saveexec_b32 s12, s99
	s_cbranch_execz .LBB147_125
; %bb.124:                              ;   in Loop: Header=BB147_3 Depth=1
	ds_load_b64 v[48:49], v66 offset:28544
	ds_load_b64 v[100:101], v65
	s_wait_dscnt 0x0
	v_pk_mul_f32 v[102:103], v[100:101], v[48:49] op_sel:[1,1] op_sel_hi:[0,1]
	s_delay_alu instid0(VALU_DEP_1) | instskip(SKIP_1) | instid1(VALU_DEP_2)
	v_pk_fma_f32 v[104:105], v[100:101], v[48:49], v[102:103] op_sel_hi:[1,0,1]
	v_pk_fma_f32 v[48:49], v[100:101], v[48:49], v[102:103] neg_lo:[0,0,1] neg_hi:[0,0,1]
	v_mov_b32_e32 v49, v105
	s_delay_alu instid0(VALU_DEP_1)
	v_pk_add_f32 v[46:47], v[46:47], v[48:49] neg_lo:[0,1] neg_hi:[0,1]
.LBB147_125:                            ;   in Loop: Header=BB147_3 Depth=1
	s_or_b32 exec_lo, exec_lo, s12
	s_barrier_signal -1
	s_barrier_wait -1
	s_and_saveexec_b32 s12, s100
; %bb.126:                              ;   in Loop: Header=BB147_3 Depth=1
	v_pk_add_f32 v[48:49], v[46:47], 0 neg_lo:[1,1] neg_hi:[1,1]
	ds_store_b64 v65, v[48:49]
; %bb.127:                              ;   in Loop: Header=BB147_3 Depth=1
	s_or_b32 exec_lo, exec_lo, s12
	s_wait_dscnt 0x0
	s_barrier_signal -1
	s_barrier_wait -1
	s_and_saveexec_b32 s12, s101
	s_cbranch_execz .LBB147_129
; %bb.128:                              ;   in Loop: Header=BB147_3 Depth=1
	ds_load_b64 v[48:49], v66 offset:28032
	ds_load_b64 v[100:101], v65
	s_wait_dscnt 0x0
	v_dual_mul_f32 v0, v101, v49 :: v_dual_mul_f32 v27, v100, v49
	s_delay_alu instid0(VALU_DEP_1) | instskip(NEXT) | instid1(VALU_DEP_1)
	v_dual_fma_f32 v0, v100, v48, -v0 :: v_dual_fmac_f32 v27, v101, v48
	v_dual_sub_f32 v46, v46, v0 :: v_dual_sub_f32 v47, v47, v27
.LBB147_129:                            ;   in Loop: Header=BB147_3 Depth=1
	s_or_b32 exec_lo, exec_lo, s12
	s_barrier_signal -1
	s_barrier_wait -1
	s_and_saveexec_b32 s12, s102
; %bb.130:                              ;   in Loop: Header=BB147_3 Depth=1
	v_pk_add_f32 v[48:49], v[46:47], 0 neg_lo:[1,1] neg_hi:[1,1]
	ds_store_b64 v65, v[48:49]
; %bb.131:                              ;   in Loop: Header=BB147_3 Depth=1
	s_or_b32 exec_lo, exec_lo, s12
	s_wait_dscnt 0x0
	s_barrier_signal -1
	s_barrier_wait -1
	s_and_saveexec_b32 s12, s103
	s_cbranch_execz .LBB147_133
; %bb.132:                              ;   in Loop: Header=BB147_3 Depth=1
	ds_load_b64 v[48:49], v66 offset:27520
	ds_load_b64 v[100:101], v65
	s_wait_dscnt 0x0
	v_dual_mul_f32 v0, v101, v49 :: v_dual_mul_f32 v103, v100, v49
	s_delay_alu instid0(VALU_DEP_1) | instskip(NEXT) | instid1(VALU_DEP_1)
	v_dual_fma_f32 v102, v100, v48, -v0 :: v_dual_fmac_f32 v103, v101, v48
	v_pk_add_f32 v[46:47], v[46:47], v[102:103] neg_lo:[0,1] neg_hi:[0,1]
.LBB147_133:                            ;   in Loop: Header=BB147_3 Depth=1
	s_or_b32 exec_lo, exec_lo, s12
	s_barrier_signal -1
	s_barrier_wait -1
	s_and_saveexec_b32 s12, s104
; %bb.134:                              ;   in Loop: Header=BB147_3 Depth=1
	v_pk_add_f32 v[48:49], v[46:47], 0 neg_lo:[1,1] neg_hi:[1,1]
	ds_store_b64 v65, v[48:49]
; %bb.135:                              ;   in Loop: Header=BB147_3 Depth=1
	s_or_b32 exec_lo, exec_lo, s12
	s_wait_dscnt 0x0
	s_barrier_signal -1
	s_barrier_wait -1
	s_and_saveexec_b32 s12, vcc_hi
	s_cbranch_execz .LBB147_137
; %bb.136:                              ;   in Loop: Header=BB147_3 Depth=1
	ds_load_b64 v[48:49], v66 offset:27008
	ds_load_b64 v[100:101], v65
	s_wait_dscnt 0x0
	v_pk_mul_f32 v[102:103], v[100:101], v[48:49] op_sel:[1,1] op_sel_hi:[0,1]
	s_delay_alu instid0(VALU_DEP_1) | instskip(SKIP_1) | instid1(VALU_DEP_2)
	v_pk_fma_f32 v[104:105], v[100:101], v[48:49], v[102:103] op_sel_hi:[1,0,1]
	v_pk_fma_f32 v[48:49], v[100:101], v[48:49], v[102:103] neg_lo:[0,0,1] neg_hi:[0,0,1]
	v_mov_b32_e32 v49, v105
	s_delay_alu instid0(VALU_DEP_1)
	v_pk_add_f32 v[46:47], v[46:47], v[48:49] neg_lo:[0,1] neg_hi:[0,1]
.LBB147_137:                            ;   in Loop: Header=BB147_3 Depth=1
	s_or_b32 exec_lo, exec_lo, s12
	s_barrier_signal -1
	s_barrier_wait -1
	s_and_saveexec_b32 s12, s37
; %bb.138:                              ;   in Loop: Header=BB147_3 Depth=1
	v_pk_add_f32 v[48:49], v[46:47], 0 neg_lo:[1,1] neg_hi:[1,1]
	ds_store_b64 v65, v[48:49]
; %bb.139:                              ;   in Loop: Header=BB147_3 Depth=1
	s_or_b32 exec_lo, exec_lo, s12
	s_wait_dscnt 0x0
	s_barrier_signal -1
	s_barrier_wait -1
	s_and_saveexec_b32 s12, s38
	s_cbranch_execz .LBB147_141
; %bb.140:                              ;   in Loop: Header=BB147_3 Depth=1
	ds_load_b64 v[48:49], v66 offset:26496
	ds_load_b64 v[100:101], v65
	s_wait_dscnt 0x0
	v_pk_mul_f32 v[102:103], v[100:101], v[48:49] op_sel:[1,1] op_sel_hi:[0,1]
	s_delay_alu instid0(VALU_DEP_1) | instskip(SKIP_1) | instid1(VALU_DEP_2)
	v_pk_fma_f32 v[104:105], v[100:101], v[48:49], v[102:103] op_sel_hi:[1,0,1]
	v_pk_fma_f32 v[48:49], v[100:101], v[48:49], v[102:103] neg_lo:[0,0,1] neg_hi:[0,0,1]
	v_mov_b32_e32 v49, v105
	s_delay_alu instid0(VALU_DEP_1)
	v_pk_add_f32 v[46:47], v[46:47], v[48:49] neg_lo:[0,1] neg_hi:[0,1]
.LBB147_141:                            ;   in Loop: Header=BB147_3 Depth=1
	s_or_b32 exec_lo, exec_lo, s12
	s_barrier_signal -1
	s_barrier_wait -1
	s_and_saveexec_b32 s12, s39
; %bb.142:                              ;   in Loop: Header=BB147_3 Depth=1
	v_pk_add_f32 v[48:49], v[46:47], 0 neg_lo:[1,1] neg_hi:[1,1]
	ds_store_b64 v65, v[48:49]
; %bb.143:                              ;   in Loop: Header=BB147_3 Depth=1
	s_or_b32 exec_lo, exec_lo, s12
	s_wait_dscnt 0x0
	s_barrier_signal -1
	s_barrier_wait -1
	s_and_saveexec_b32 s12, s40
	;; [unrolled: 26-line block ×3, first 2 shown]
	s_cbranch_execz .LBB147_149
; %bb.148:                              ;   in Loop: Header=BB147_3 Depth=1
	ds_load_b64 v[48:49], v1 offset:25472
	ds_load_b64 v[100:101], v65
	s_wait_dscnt 0x0
	v_pk_mul_f32 v[102:103], v[100:101], v[48:49] op_sel:[1,1] op_sel_hi:[0,1]
	s_delay_alu instid0(VALU_DEP_1) | instskip(SKIP_1) | instid1(VALU_DEP_2)
	v_pk_fma_f32 v[104:105], v[100:101], v[48:49], v[102:103] op_sel_hi:[1,0,1]
	v_pk_fma_f32 v[48:49], v[100:101], v[48:49], v[102:103] neg_lo:[0,0,1] neg_hi:[0,0,1]
	v_mov_b32_e32 v49, v105
	s_delay_alu instid0(VALU_DEP_1)
	v_pk_add_f32 v[46:47], v[46:47], v[48:49] neg_lo:[0,1] neg_hi:[0,1]
.LBB147_149:                            ;   in Loop: Header=BB147_3 Depth=1
	s_or_b32 exec_lo, exec_lo, s12
	s_barrier_signal -1
	s_barrier_wait -1
	s_and_saveexec_b32 s12, s42
; %bb.150:                              ;   in Loop: Header=BB147_3 Depth=1
	v_pk_add_f32 v[48:49], v[46:47], 0 neg_lo:[1,1] neg_hi:[1,1]
	ds_store_b64 v65, v[48:49]
; %bb.151:                              ;   in Loop: Header=BB147_3 Depth=1
	s_or_b32 exec_lo, exec_lo, s12
	s_wait_dscnt 0x0
	s_barrier_signal -1
	s_barrier_wait -1
	s_barrier_signal -1
	s_barrier_wait -1
	s_and_saveexec_b32 s12, s4
; %bb.152:                              ;   in Loop: Header=BB147_3 Depth=1
	ds_store_b64 v71, v[46:47] offset:32640
; %bb.153:                              ;   in Loop: Header=BB147_3 Depth=1
	s_or_b32 exec_lo, exec_lo, s12
	s_wait_dscnt 0x0
	s_barrier_signal -1
	s_barrier_wait -1
	s_barrier_signal -1
	s_barrier_wait -1
	s_and_saveexec_b32 s12, s43
	s_cbranch_execz .LBB147_155
; %bb.154:                              ;   in Loop: Header=BB147_3 Depth=1
	ds_load_b64 v[46:47], v69 offset:29056
	s_wait_dscnt 0x0
	ds_store_b64 v70, v[46:47] offset:25024
	ds_load_b64 v[46:47], v69 offset:29064
	s_wait_dscnt 0x0
	ds_store_b64 v70, v[46:47] offset:25536
	;; [unrolled: 3-line block ×8, first 2 shown]
.LBB147_155:                            ;   in Loop: Header=BB147_3 Depth=1
	s_or_b32 exec_lo, exec_lo, s12
	s_wait_dscnt 0x0
	s_barrier_signal -1
	s_barrier_wait -1
	s_and_saveexec_b32 s12, s10
	s_cbranch_execz .LBB147_157
; %bb.156:                              ;   in Loop: Header=BB147_3 Depth=1
	ds_load_b64 v[46:47], v1 offset:28592
	v_add_nc_u32_e64 v0, 0x6800, 0
	ds_store_b64 v1, v[30:31] offset:28600
	s_wait_dscnt 0x1
	ds_store_2addr_b64 v0, v[30:31], v[46:47] offset0:182 offset1:183
.LBB147_157:                            ;   in Loop: Header=BB147_3 Depth=1
	s_or_b32 exec_lo, exec_lo, s12
	v_dual_mov_b32 v46, 0 :: v_dual_mov_b32 v47, 0
	s_wait_dscnt 0x0
	s_barrier_signal -1
	s_barrier_wait -1
	global_wb scope:SCOPE_DEV
	s_wait_storecnt 0x0
	global_inv scope:SCOPE_DEV
	s_and_saveexec_b32 s12, s1
	s_cbranch_execz .LBB147_161
; %bb.158:                              ;   in Loop: Header=BB147_3 Depth=1
	ds_load_b64 v[46:47], v52 offset:28064
	ds_load_b64 v[48:49], v53 offset:28592
	s_wait_dscnt 0x0
	v_pk_mul_f32 v[100:101], v[48:49], v[46:47] op_sel:[1,1] op_sel_hi:[0,1]
	s_delay_alu instid0(VALU_DEP_1) | instskip(SKIP_1) | instid1(VALU_DEP_2)
	v_pk_fma_f32 v[102:103], v[48:49], v[46:47], v[100:101] op_sel_hi:[1,0,1]
	v_pk_fma_f32 v[46:47], v[48:49], v[46:47], v[100:101] neg_lo:[0,0,1] neg_hi:[0,0,1]
	v_mov_b32_e32 v47, v103
	s_delay_alu instid0(VALU_DEP_1)
	v_pk_add_f32 v[46:47], v[46:47], 0 op_sel_hi:[1,0]
	s_and_saveexec_b32 s17, s13
	s_cbranch_execz .LBB147_160
; %bb.159:                              ;   in Loop: Header=BB147_3 Depth=1
	ds_load_b64 v[48:49], v70 offset:28576
	ds_load_b64 v[100:101], v1 offset:28600
	s_wait_dscnt 0x0
	v_pk_mul_f32 v[102:103], v[100:101], v[48:49] op_sel:[1,1] op_sel_hi:[0,1]
	s_delay_alu instid0(VALU_DEP_1) | instskip(SKIP_1) | instid1(VALU_DEP_2)
	v_pk_fma_f32 v[104:105], v[100:101], v[48:49], v[102:103] op_sel_hi:[1,0,1]
	v_pk_fma_f32 v[48:49], v[100:101], v[48:49], v[102:103] neg_lo:[0,0,1] neg_hi:[0,0,1]
	v_mov_b32_e32 v49, v105
	s_delay_alu instid0(VALU_DEP_1)
	v_pk_add_f32 v[46:47], v[46:47], v[48:49]
.LBB147_160:                            ;   in Loop: Header=BB147_3 Depth=1
	s_or_b32 exec_lo, exec_lo, s17
.LBB147_161:                            ;   in Loop: Header=BB147_3 Depth=1
	s_delay_alu instid0(SALU_CYCLE_1)
	s_or_b32 exec_lo, exec_lo, s12
	s_and_saveexec_b32 s12, s88
; %bb.162:                              ;   in Loop: Header=BB147_3 Depth=1
	s_delay_alu instid0(VALU_DEP_1)
	v_pk_add_f32 v[48:49], v[46:47], 0 neg_lo:[1,1] neg_hi:[1,1]
	ds_store_b64 v51, v[48:49]
; %bb.163:                              ;   in Loop: Header=BB147_3 Depth=1
	s_or_b32 exec_lo, exec_lo, s12
	s_wait_loadcnt_dscnt 0x0
	s_barrier_signal -1
	s_barrier_wait -1
	s_and_saveexec_b32 s12, s89
	s_cbranch_execz .LBB147_165
; %bb.164:                              ;   in Loop: Header=BB147_3 Depth=1
	ds_load_b64 v[48:49], v1 offset:27552
	ds_load_b64 v[100:101], v51
	s_wait_dscnt 0x0
	v_pk_mul_f32 v[102:103], v[100:101], v[48:49] op_sel_hi:[1,0]
	s_delay_alu instid0(VALU_DEP_1) | instskip(SKIP_1) | instid1(VALU_DEP_2)
	v_pk_fma_f32 v[104:105], v[100:101], v[48:49], v[102:103] op_sel:[1,1,0] op_sel_hi:[0,1,1]
	v_pk_fma_f32 v[48:49], v[100:101], v[48:49], v[102:103] op_sel:[1,1,0] op_sel_hi:[0,1,1] neg_lo:[0,0,1] neg_hi:[0,0,1]
	v_pk_add_f32 v[100:101], v[46:47], v[104:105] neg_lo:[0,1] neg_hi:[0,1]
	s_delay_alu instid0(VALU_DEP_2) | instskip(NEXT) | instid1(VALU_DEP_2)
	v_pk_add_f32 v[46:47], v[46:47], v[48:49]
	v_mov_b32_e32 v47, v101
.LBB147_165:                            ;   in Loop: Header=BB147_3 Depth=1
	s_or_b32 exec_lo, exec_lo, s12
	s_barrier_signal -1
	s_barrier_wait -1
	s_and_saveexec_b32 s12, s89
; %bb.166:                              ;   in Loop: Header=BB147_3 Depth=1
	v_pk_add_f32 v[48:49], v[46:47], 0 neg_lo:[1,1] neg_hi:[1,1]
	ds_store_b64 v51, v[48:49]
; %bb.167:                              ;   in Loop: Header=BB147_3 Depth=1
	s_or_b32 exec_lo, exec_lo, s12
	s_wait_dscnt 0x0
	s_barrier_signal -1
	s_barrier_wait -1
	s_barrier_signal -1
	s_barrier_wait -1
	s_and_saveexec_b32 s12, s1
; %bb.168:                              ;   in Loop: Header=BB147_3 Depth=1
	ds_store_b64 v55, v[46:47] offset:28576
; %bb.169:                              ;   in Loop: Header=BB147_3 Depth=1
	s_or_b32 exec_lo, exec_lo, s12
	s_wait_dscnt 0x0
	s_barrier_signal -1
	s_barrier_wait -1
	s_barrier_signal -1
	s_barrier_wait -1
	s_and_saveexec_b32 s12, s90
	s_cbranch_execz .LBB147_171
; %bb.170:                              ;   in Loop: Header=BB147_3 Depth=1
	ds_load_b64 v[46:47], v72 offset:28064
	s_wait_dscnt 0x0
	ds_store_b64 v70, v[46:47] offset:27056
	ds_load_b64 v[46:47], v72 offset:28072
	s_wait_dscnt 0x0
	ds_store_b64 v70, v[46:47] offset:27568
.LBB147_171:                            ;   in Loop: Header=BB147_3 Depth=1
	s_or_b32 exec_lo, exec_lo, s12
	s_wait_dscnt 0x0
	s_barrier_signal -1
	s_barrier_wait -1
	s_and_saveexec_b32 s12, s10
	s_cbranch_execz .LBB147_173
; %bb.172:                              ;   in Loop: Header=BB147_3 Depth=1
	ds_load_b64 v[46:47], v1 offset:27552
	v_add_nc_u32_e64 v0, 0x6800, 0
	ds_store_b64 v1, v[30:31] offset:27560
	s_wait_dscnt 0x1
	ds_store_2addr_b64 v0, v[30:31], v[46:47] offset0:52 offset1:53
.LBB147_173:                            ;   in Loop: Header=BB147_3 Depth=1
	s_or_b32 exec_lo, exec_lo, s12
	v_mov_b64_e32 v[46:47], 0
	s_wait_dscnt 0x0
	s_barrier_signal -1
	s_barrier_wait -1
	global_wb scope:SCOPE_DEV
	s_wait_storecnt 0x0
	global_inv scope:SCOPE_DEV
	s_and_saveexec_b32 s12, s3
	s_cbranch_execz .LBB147_179
; %bb.174:                              ;   in Loop: Header=BB147_3 Depth=1
	ds_load_b64 v[46:47], v58 offset:27008
	ds_load_b64 v[48:49], v59 offset:28576
	s_wait_dscnt 0x0
	v_dual_mul_f32 v0, v49, v47 :: v_dual_mul_f32 v27, v48, v47
	s_delay_alu instid0(VALU_DEP_1) | instskip(NEXT) | instid1(VALU_DEP_1)
	v_dual_fma_f32 v0, v48, v46, -v0 :: v_dual_fmac_f32 v27, v49, v46
	v_dual_add_f32 v46, 0, v0 :: v_dual_add_f32 v47, 0, v27
	s_and_saveexec_b32 s17, s14
	s_cbranch_execnz .LBB147_1084
; %bb.175:                              ;   in Loop: Header=BB147_3 Depth=1
	s_or_b32 exec_lo, exec_lo, s17
	s_and_saveexec_b32 s17, s15
	s_cbranch_execnz .LBB147_1085
.LBB147_176:                            ;   in Loop: Header=BB147_3 Depth=1
	s_or_b32 exec_lo, exec_lo, s17
	s_and_saveexec_b32 s17, s1
	s_cbranch_execz .LBB147_178
.LBB147_177:                            ;   in Loop: Header=BB147_3 Depth=1
	ds_load_b64 v[48:49], v3 offset:28544
	ds_load_b64 v[100:101], v1 offset:28600
	s_wait_dscnt 0x0
	v_pk_mul_f32 v[102:103], v[100:101], v[48:49] op_sel:[1,1] op_sel_hi:[0,1]
	s_delay_alu instid0(VALU_DEP_1) | instskip(SKIP_1) | instid1(VALU_DEP_2)
	v_pk_fma_f32 v[104:105], v[100:101], v[48:49], v[102:103] op_sel_hi:[1,0,1]
	v_pk_fma_f32 v[48:49], v[100:101], v[48:49], v[102:103] neg_lo:[0,0,1] neg_hi:[0,0,1]
	v_mov_b32_e32 v49, v105
	s_delay_alu instid0(VALU_DEP_1)
	v_pk_add_f32 v[46:47], v[46:47], v[48:49]
.LBB147_178:                            ;   in Loop: Header=BB147_3 Depth=1
	s_or_b32 exec_lo, exec_lo, s17
.LBB147_179:                            ;   in Loop: Header=BB147_3 Depth=1
	s_delay_alu instid0(SALU_CYCLE_1)
	s_or_b32 exec_lo, exec_lo, s12
	s_and_saveexec_b32 s12, s91
; %bb.180:                              ;   in Loop: Header=BB147_3 Depth=1
	s_delay_alu instid0(VALU_DEP_1)
	v_pk_add_f32 v[48:49], v[46:47], 0 neg_lo:[1,1] neg_hi:[1,1]
	ds_store_b64 v57, v[48:49]
; %bb.181:                              ;   in Loop: Header=BB147_3 Depth=1
	s_or_b32 exec_lo, exec_lo, s12
	s_wait_loadcnt_dscnt 0x0
	s_barrier_signal -1
	s_barrier_wait -1
	s_and_saveexec_b32 s12, s92
	s_cbranch_execz .LBB147_183
; %bb.182:                              ;   in Loop: Header=BB147_3 Depth=1
	ds_load_b64 v[48:49], v58 offset:26496
	ds_load_b64 v[100:101], v57
	s_wait_dscnt 0x0
	v_pk_mul_f32 v[102:103], v[100:101], v[48:49] op_sel:[1,1] op_sel_hi:[0,1]
	s_delay_alu instid0(VALU_DEP_1) | instskip(SKIP_1) | instid1(VALU_DEP_2)
	v_pk_fma_f32 v[104:105], v[100:101], v[48:49], v[102:103] op_sel_hi:[1,0,1]
	v_pk_fma_f32 v[48:49], v[100:101], v[48:49], v[102:103] neg_lo:[0,0,1] neg_hi:[0,0,1]
	v_mov_b32_e32 v49, v105
	s_delay_alu instid0(VALU_DEP_1)
	v_pk_add_f32 v[46:47], v[46:47], v[48:49] neg_lo:[0,1] neg_hi:[0,1]
.LBB147_183:                            ;   in Loop: Header=BB147_3 Depth=1
	s_or_b32 exec_lo, exec_lo, s12
	s_barrier_signal -1
	s_barrier_wait -1
	s_and_saveexec_b32 s12, s93
; %bb.184:                              ;   in Loop: Header=BB147_3 Depth=1
	v_pk_add_f32 v[48:49], v[46:47], 0 neg_lo:[1,1] neg_hi:[1,1]
	ds_store_b64 v57, v[48:49]
; %bb.185:                              ;   in Loop: Header=BB147_3 Depth=1
	s_or_b32 exec_lo, exec_lo, s12
	s_wait_dscnt 0x0
	s_barrier_signal -1
	s_barrier_wait -1
	s_and_saveexec_b32 s12, s94
	s_cbranch_execz .LBB147_187
; %bb.186:                              ;   in Loop: Header=BB147_3 Depth=1
	ds_load_b64 v[48:49], v58 offset:25984
	ds_load_b64 v[100:101], v57
	s_wait_dscnt 0x0
	v_pk_mul_f32 v[102:103], v[100:101], v[48:49] op_sel:[1,1] op_sel_hi:[0,1]
	s_delay_alu instid0(VALU_DEP_1) | instskip(SKIP_1) | instid1(VALU_DEP_2)
	v_pk_fma_f32 v[104:105], v[100:101], v[48:49], v[102:103] op_sel_hi:[1,0,1]
	v_pk_fma_f32 v[48:49], v[100:101], v[48:49], v[102:103] neg_lo:[0,0,1] neg_hi:[0,0,1]
	v_mov_b32_e32 v49, v105
	s_delay_alu instid0(VALU_DEP_1)
	v_pk_add_f32 v[46:47], v[46:47], v[48:49] neg_lo:[0,1] neg_hi:[0,1]
.LBB147_187:                            ;   in Loop: Header=BB147_3 Depth=1
	s_or_b32 exec_lo, exec_lo, s12
	s_barrier_signal -1
	s_barrier_wait -1
	s_and_saveexec_b32 s12, s95
; %bb.188:                              ;   in Loop: Header=BB147_3 Depth=1
	v_pk_add_f32 v[48:49], v[46:47], 0 neg_lo:[1,1] neg_hi:[1,1]
	ds_store_b64 v57, v[48:49]
; %bb.189:                              ;   in Loop: Header=BB147_3 Depth=1
	s_or_b32 exec_lo, exec_lo, s12
	s_wait_dscnt 0x0
	;; [unrolled: 26-line block ×3, first 2 shown]
	s_barrier_signal -1
	s_barrier_wait -1
	s_barrier_signal -1
	s_barrier_wait -1
	s_and_saveexec_b32 s12, s3
; %bb.194:                              ;   in Loop: Header=BB147_3 Depth=1
	ds_store_b64 v62, v[46:47] offset:28544
; %bb.195:                              ;   in Loop: Header=BB147_3 Depth=1
	s_or_b32 exec_lo, exec_lo, s12
	s_wait_dscnt 0x0
	s_barrier_signal -1
	s_barrier_wait -1
	s_barrier_signal -1
	s_barrier_wait -1
	s_and_saveexec_b32 s12, s97
	s_cbranch_execz .LBB147_197
; %bb.196:                              ;   in Loop: Header=BB147_3 Depth=1
	ds_load_b64 v[46:47], v7 offset:27008
	s_wait_dscnt 0x0
	ds_store_b64 v83, v[46:47] offset:24992
	ds_load_b64 v[46:47], v7 offset:27016
	s_wait_dscnt 0x0
	ds_store_b64 v83, v[46:47] offset:25504
	;; [unrolled: 3-line block ×4, first 2 shown]
.LBB147_197:                            ;   in Loop: Header=BB147_3 Depth=1
	s_or_b32 exec_lo, exec_lo, s12
	s_wait_dscnt 0x0
	s_barrier_signal -1
	s_barrier_wait -1
	s_and_saveexec_b32 s12, s10
	s_cbranch_execz .LBB147_199
; %bb.198:                              ;   in Loop: Header=BB147_3 Depth=1
	ds_load_b64 v[46:47], v1 offset:26512
	v_add_nc_u32_e64 v0, 0x6000, 0
	ds_store_b64 v1, v[30:31] offset:26520
	s_wait_dscnt 0x1
	ds_store_2addr_b64 v0, v[30:31], v[46:47] offset0:178 offset1:179
.LBB147_199:                            ;   in Loop: Header=BB147_3 Depth=1
	s_or_b32 exec_lo, exec_lo, s12
	v_dual_mov_b32 v46, 0 :: v_dual_mov_b32 v47, 0
	s_wait_dscnt 0x0
	s_barrier_signal -1
	s_barrier_wait -1
	global_wb scope:SCOPE_DEV
	s_wait_storecnt 0x0
	global_inv scope:SCOPE_DEV
	s_and_saveexec_b32 s12, s1
	s_cbranch_execz .LBB147_203
; %bb.200:                              ;   in Loop: Header=BB147_3 Depth=1
	ds_load_b64 v[46:47], v52 offset:25984
	ds_load_b64 v[48:49], v53 offset:26512
	s_wait_dscnt 0x0
	v_pk_mul_f32 v[100:101], v[48:49], v[46:47] op_sel:[1,1] op_sel_hi:[0,1]
	s_delay_alu instid0(VALU_DEP_1) | instskip(SKIP_1) | instid1(VALU_DEP_2)
	v_pk_fma_f32 v[102:103], v[48:49], v[46:47], v[100:101] op_sel_hi:[1,0,1]
	v_pk_fma_f32 v[46:47], v[48:49], v[46:47], v[100:101] neg_lo:[0,0,1] neg_hi:[0,0,1]
	v_mov_b32_e32 v47, v103
	s_delay_alu instid0(VALU_DEP_1)
	v_pk_add_f32 v[46:47], v[46:47], 0 op_sel_hi:[1,0]
	s_and_saveexec_b32 s17, s13
	s_cbranch_execz .LBB147_202
; %bb.201:                              ;   in Loop: Header=BB147_3 Depth=1
	ds_load_b64 v[48:49], v83 offset:26496
	ds_load_b64 v[100:101], v1 offset:26520
	s_wait_dscnt 0x0
	v_pk_mul_f32 v[102:103], v[100:101], v[48:49] op_sel:[1,1] op_sel_hi:[0,1]
	s_delay_alu instid0(VALU_DEP_1) | instskip(SKIP_1) | instid1(VALU_DEP_2)
	v_pk_fma_f32 v[104:105], v[100:101], v[48:49], v[102:103] op_sel_hi:[1,0,1]
	v_pk_fma_f32 v[48:49], v[100:101], v[48:49], v[102:103] neg_lo:[0,0,1] neg_hi:[0,0,1]
	v_mov_b32_e32 v49, v105
	s_delay_alu instid0(VALU_DEP_1)
	v_pk_add_f32 v[46:47], v[46:47], v[48:49]
.LBB147_202:                            ;   in Loop: Header=BB147_3 Depth=1
	s_or_b32 exec_lo, exec_lo, s17
.LBB147_203:                            ;   in Loop: Header=BB147_3 Depth=1
	s_delay_alu instid0(SALU_CYCLE_1)
	s_or_b32 exec_lo, exec_lo, s12
	s_and_saveexec_b32 s12, s88
; %bb.204:                              ;   in Loop: Header=BB147_3 Depth=1
	s_delay_alu instid0(VALU_DEP_1)
	v_pk_add_f32 v[48:49], v[46:47], 0 neg_lo:[1,1] neg_hi:[1,1]
	ds_store_b64 v51, v[48:49]
; %bb.205:                              ;   in Loop: Header=BB147_3 Depth=1
	s_or_b32 exec_lo, exec_lo, s12
	s_wait_loadcnt_dscnt 0x0
	s_barrier_signal -1
	s_barrier_wait -1
	s_and_saveexec_b32 s12, s89
	s_cbranch_execz .LBB147_207
; %bb.206:                              ;   in Loop: Header=BB147_3 Depth=1
	ds_load_b64 v[48:49], v1 offset:25472
	ds_load_b64 v[100:101], v51
	s_wait_dscnt 0x0
	v_pk_mul_f32 v[102:103], v[100:101], v[48:49] op_sel_hi:[1,0]
	s_delay_alu instid0(VALU_DEP_1) | instskip(SKIP_1) | instid1(VALU_DEP_2)
	v_pk_fma_f32 v[104:105], v[100:101], v[48:49], v[102:103] op_sel:[1,1,0] op_sel_hi:[0,1,1]
	v_pk_fma_f32 v[48:49], v[100:101], v[48:49], v[102:103] op_sel:[1,1,0] op_sel_hi:[0,1,1] neg_lo:[0,0,1] neg_hi:[0,0,1]
	v_pk_add_f32 v[100:101], v[46:47], v[104:105] neg_lo:[0,1] neg_hi:[0,1]
	s_delay_alu instid0(VALU_DEP_2) | instskip(NEXT) | instid1(VALU_DEP_2)
	v_pk_add_f32 v[46:47], v[46:47], v[48:49]
	v_mov_b32_e32 v47, v101
.LBB147_207:                            ;   in Loop: Header=BB147_3 Depth=1
	s_or_b32 exec_lo, exec_lo, s12
	s_barrier_signal -1
	s_barrier_wait -1
	s_and_saveexec_b32 s12, s89
; %bb.208:                              ;   in Loop: Header=BB147_3 Depth=1
	v_pk_add_f32 v[48:49], v[46:47], 0 neg_lo:[1,1] neg_hi:[1,1]
	ds_store_b64 v51, v[48:49]
; %bb.209:                              ;   in Loop: Header=BB147_3 Depth=1
	s_or_b32 exec_lo, exec_lo, s12
	s_wait_dscnt 0x0
	s_barrier_signal -1
	s_barrier_wait -1
	s_barrier_signal -1
	s_barrier_wait -1
	s_and_saveexec_b32 s12, s1
; %bb.210:                              ;   in Loop: Header=BB147_3 Depth=1
	ds_store_b64 v55, v[46:47] offset:26496
; %bb.211:                              ;   in Loop: Header=BB147_3 Depth=1
	s_or_b32 exec_lo, exec_lo, s12
	s_wait_dscnt 0x0
	s_barrier_signal -1
	s_barrier_wait -1
	s_barrier_signal -1
	s_barrier_wait -1
	s_and_saveexec_b32 s12, s90
	s_cbranch_execz .LBB147_213
; %bb.212:                              ;   in Loop: Header=BB147_3 Depth=1
	ds_load_b64 v[46:47], v87 offset:25984
	s_wait_dscnt 0x0
	ds_store_b64 v83, v[46:47] offset:24976
	ds_load_b64 v[46:47], v87 offset:25992
	s_wait_dscnt 0x0
	ds_store_b64 v83, v[46:47] offset:25488
.LBB147_213:                            ;   in Loop: Header=BB147_3 Depth=1
	s_or_b32 exec_lo, exec_lo, s12
	s_wait_dscnt 0x0
	s_barrier_signal -1
	s_barrier_wait -1
	s_and_saveexec_b32 s12, s10
	s_cbranch_execz .LBB147_215
; %bb.214:                              ;   in Loop: Header=BB147_3 Depth=1
	ds_load_b64 v[46:47], v1 offset:25472
	v_add_nc_u32_e64 v0, 0x6000, 0
	ds_store_b64 v1, v[30:31] offset:25480
	s_wait_dscnt 0x1
	ds_store_2addr_b64 v0, v[30:31], v[46:47] offset0:48 offset1:49
.LBB147_215:                            ;   in Loop: Header=BB147_3 Depth=1
	s_or_b32 exec_lo, exec_lo, s12
	v_mov_b64_e32 v[46:47], 0
	s_wait_dscnt 0x0
	s_barrier_signal -1
	s_barrier_wait -1
	global_wb scope:SCOPE_DEV
	s_wait_storecnt 0x0
	global_inv scope:SCOPE_DEV
	s_and_saveexec_b32 s61, s5
	s_cbranch_execz .LBB147_243
; %bb.216:                              ;   in Loop: Header=BB147_3 Depth=1
	ds_load_b64 v[46:47], v74 offset:24832
	ds_load_b64 v[48:49], v75 offset:32640
	s_wait_dscnt 0x0
	v_dual_mul_f32 v0, v49, v47 :: v_dual_mul_f32 v27, v48, v47
	s_delay_alu instid0(VALU_DEP_1) | instskip(NEXT) | instid1(VALU_DEP_1)
	v_dual_fma_f32 v0, v48, v46, -v0 :: v_dual_fmac_f32 v27, v49, v46
	v_dual_add_f32 v46, 0, v0 :: v_dual_add_f32 v47, 0, v27
	s_mov_b32 s12, exec_lo
	v_readlane_b32 s17, v113, 21
	s_and_b32 s17, s12, s17
	s_delay_alu instid0(SALU_CYCLE_1)
	s_mov_b32 exec_lo, s17
	s_cbranch_execz .LBB147_218
; %bb.217:                              ;   in Loop: Header=BB147_3 Depth=1
	ds_load_b64 v[48:49], v74 offset:25344
	ds_load_b64 v[100:101], v75 offset:32648
	s_wait_dscnt 0x0
	v_dual_mul_f32 v0, v101, v49 :: v_dual_mul_f32 v27, v100, v49
	s_delay_alu instid0(VALU_DEP_1) | instskip(NEXT) | instid1(VALU_DEP_1)
	v_dual_fma_f32 v0, v100, v48, -v0 :: v_dual_fmac_f32 v27, v101, v48
	v_dual_add_f32 v46, v46, v0 :: v_dual_add_f32 v47, v47, v27
.LBB147_218:                            ;   in Loop: Header=BB147_3 Depth=1
	s_or_b32 exec_lo, exec_lo, s12
	s_delay_alu instid0(SALU_CYCLE_1) | instskip(SKIP_2) | instid1(SALU_CYCLE_1)
	s_mov_b32 s12, exec_lo
	v_readlane_b32 s17, v113, 22
	s_and_b32 s17, s12, s17
	s_mov_b32 exec_lo, s17
	s_cbranch_execz .LBB147_220
; %bb.219:                              ;   in Loop: Header=BB147_3 Depth=1
	ds_load_b64 v[48:49], v74 offset:25856
	ds_load_b64 v[100:101], v75 offset:32656
	s_wait_dscnt 0x0
	v_dual_mul_f32 v0, v101, v49 :: v_dual_mul_f32 v27, v100, v49
	s_delay_alu instid0(VALU_DEP_1) | instskip(NEXT) | instid1(VALU_DEP_1)
	v_dual_fma_f32 v0, v100, v48, -v0 :: v_dual_fmac_f32 v27, v101, v48
	v_dual_add_f32 v46, v46, v0 :: v_dual_add_f32 v47, v47, v27
.LBB147_220:                            ;   in Loop: Header=BB147_3 Depth=1
	s_or_b32 exec_lo, exec_lo, s12
	s_delay_alu instid0(SALU_CYCLE_1) | instskip(SKIP_2) | instid1(SALU_CYCLE_1)
	s_mov_b32 s12, exec_lo
	v_readlane_b32 s17, v113, 23
	s_and_b32 s17, s12, s17
	;; [unrolled: 16-line block ×10, first 2 shown]
	s_mov_b32 exec_lo, s17
	s_cbranch_execnz .LBB147_1086
; %bb.237:                              ;   in Loop: Header=BB147_3 Depth=1
	s_or_b32 exec_lo, exec_lo, s12
	s_and_saveexec_b32 s12, s4
	s_cbranch_execnz .LBB147_1087
.LBB147_238:                            ;   in Loop: Header=BB147_3 Depth=1
	s_or_b32 exec_lo, exec_lo, s12
	s_and_saveexec_b32 s12, s18
	s_cbranch_execnz .LBB147_1088
.LBB147_239:                            ;   in Loop: Header=BB147_3 Depth=1
	s_or_b32 exec_lo, exec_lo, s12
	s_and_saveexec_b32 s12, s20
	s_cbranch_execnz .LBB147_1089
.LBB147_240:                            ;   in Loop: Header=BB147_3 Depth=1
	s_or_b32 exec_lo, exec_lo, s12
	s_and_saveexec_b32 s12, s3
	s_cbranch_execz .LBB147_242
.LBB147_241:                            ;   in Loop: Header=BB147_3 Depth=1
	ds_load_b64 v[48:49], v54 offset:32512
	ds_load_b64 v[100:101], v1 offset:32760
	s_wait_dscnt 0x0
	v_pk_mul_f32 v[102:103], v[100:101], v[48:49] op_sel:[1,1] op_sel_hi:[0,1]
	s_delay_alu instid0(VALU_DEP_1) | instskip(SKIP_1) | instid1(VALU_DEP_2)
	v_pk_fma_f32 v[104:105], v[100:101], v[48:49], v[102:103] op_sel_hi:[1,0,1]
	v_pk_fma_f32 v[48:49], v[100:101], v[48:49], v[102:103] neg_lo:[0,0,1] neg_hi:[0,0,1]
	v_mov_b32_e32 v49, v105
	s_delay_alu instid0(VALU_DEP_1)
	v_pk_add_f32 v[46:47], v[46:47], v[48:49]
.LBB147_242:                            ;   in Loop: Header=BB147_3 Depth=1
	s_or_b32 exec_lo, exec_lo, s12
.LBB147_243:                            ;   in Loop: Header=BB147_3 Depth=1
	s_delay_alu instid0(SALU_CYCLE_1) | instskip(NEXT) | instid1(SALU_CYCLE_1)
	s_or_b32 exec_lo, exec_lo, s61
	s_mov_b32 s12, exec_lo
	v_readlane_b32 s17, v113, 1
	s_and_b32 s17, s12, s17
	s_delay_alu instid0(SALU_CYCLE_1)
	s_mov_b32 exec_lo, s17
; %bb.244:                              ;   in Loop: Header=BB147_3 Depth=1
	v_pk_add_f32 v[48:49], v[46:47], 0 neg_lo:[1,1] neg_hi:[1,1]
	ds_store_b64 v73, v[48:49]
; %bb.245:                              ;   in Loop: Header=BB147_3 Depth=1
	s_or_b32 exec_lo, exec_lo, s12
	s_wait_loadcnt_dscnt 0x0
	s_barrier_signal -1
	s_barrier_wait -1
	s_mov_b32 s12, exec_lo
	v_readlane_b32 s17, v113, 2
	s_and_b32 s17, s12, s17
	s_delay_alu instid0(SALU_CYCLE_1)
	s_mov_b32 exec_lo, s17
	s_cbranch_execz .LBB147_247
; %bb.246:                              ;   in Loop: Header=BB147_3 Depth=1
	ds_load_b64 v[48:49], v74 offset:24320
	ds_load_b64 v[100:101], v73
	s_wait_dscnt 0x0
	v_pk_mul_f32 v[102:103], v[100:101], v[48:49] op_sel:[1,1] op_sel_hi:[0,1]
	s_delay_alu instid0(VALU_DEP_1) | instskip(SKIP_1) | instid1(VALU_DEP_2)
	v_pk_fma_f32 v[104:105], v[100:101], v[48:49], v[102:103] op_sel_hi:[1,0,1]
	v_pk_fma_f32 v[48:49], v[100:101], v[48:49], v[102:103] neg_lo:[0,0,1] neg_hi:[0,0,1]
	v_mov_b32_e32 v49, v105
	s_delay_alu instid0(VALU_DEP_1)
	v_pk_add_f32 v[46:47], v[46:47], v[48:49] neg_lo:[0,1] neg_hi:[0,1]
.LBB147_247:                            ;   in Loop: Header=BB147_3 Depth=1
	s_or_b32 exec_lo, exec_lo, s12
	s_barrier_signal -1
	s_barrier_wait -1
	s_mov_b32 s12, exec_lo
	v_readlane_b32 s17, v113, 3
	s_and_b32 s17, s12, s17
	s_delay_alu instid0(SALU_CYCLE_1)
	s_mov_b32 exec_lo, s17
; %bb.248:                              ;   in Loop: Header=BB147_3 Depth=1
	v_pk_add_f32 v[48:49], v[46:47], 0 neg_lo:[1,1] neg_hi:[1,1]
	ds_store_b64 v73, v[48:49]
; %bb.249:                              ;   in Loop: Header=BB147_3 Depth=1
	s_or_b32 exec_lo, exec_lo, s12
	s_wait_dscnt 0x0
	s_barrier_signal -1
	s_barrier_wait -1
	s_mov_b32 s12, exec_lo
	v_readlane_b32 s17, v113, 4
	s_and_b32 s17, s12, s17
	s_delay_alu instid0(SALU_CYCLE_1)
	s_mov_b32 exec_lo, s17
	s_cbranch_execz .LBB147_251
; %bb.250:                              ;   in Loop: Header=BB147_3 Depth=1
	ds_load_b64 v[48:49], v74 offset:23808
	ds_load_b64 v[100:101], v73
	s_wait_dscnt 0x0
	v_pk_mul_f32 v[102:103], v[100:101], v[48:49] op_sel:[1,1] op_sel_hi:[0,1]
	s_delay_alu instid0(VALU_DEP_1) | instskip(SKIP_1) | instid1(VALU_DEP_2)
	v_pk_fma_f32 v[104:105], v[100:101], v[48:49], v[102:103] op_sel_hi:[1,0,1]
	v_pk_fma_f32 v[48:49], v[100:101], v[48:49], v[102:103] neg_lo:[0,0,1] neg_hi:[0,0,1]
	v_mov_b32_e32 v49, v105
	s_delay_alu instid0(VALU_DEP_1)
	v_pk_add_f32 v[46:47], v[46:47], v[48:49] neg_lo:[0,1] neg_hi:[0,1]
.LBB147_251:                            ;   in Loop: Header=BB147_3 Depth=1
	s_or_b32 exec_lo, exec_lo, s12
	s_barrier_signal -1
	s_barrier_wait -1
	s_mov_b32 s12, exec_lo
	v_readlane_b32 s17, v113, 5
	s_and_b32 s17, s12, s17
	s_delay_alu instid0(SALU_CYCLE_1)
	s_mov_b32 exec_lo, s17
; %bb.252:                              ;   in Loop: Header=BB147_3 Depth=1
	v_pk_add_f32 v[48:49], v[46:47], 0 neg_lo:[1,1] neg_hi:[1,1]
	ds_store_b64 v73, v[48:49]
; %bb.253:                              ;   in Loop: Header=BB147_3 Depth=1
	s_or_b32 exec_lo, exec_lo, s12
	s_wait_dscnt 0x0
	;; [unrolled: 34-line block ×3, first 2 shown]
	s_barrier_signal -1
	s_barrier_wait -1
	s_and_saveexec_b32 s12, s52
	s_cbranch_execz .LBB147_259
; %bb.258:                              ;   in Loop: Header=BB147_3 Depth=1
	ds_load_b64 v[48:49], v74 offset:22784
	ds_load_b64 v[100:101], v73
	s_wait_dscnt 0x0
	v_dual_mul_f32 v0, v101, v49 :: v_dual_mul_f32 v27, v100, v49
	s_delay_alu instid0(VALU_DEP_1) | instskip(NEXT) | instid1(VALU_DEP_1)
	v_dual_fma_f32 v0, v100, v48, -v0 :: v_dual_fmac_f32 v27, v101, v48
	v_dual_sub_f32 v46, v46, v0 :: v_dual_sub_f32 v47, v47, v27
.LBB147_259:                            ;   in Loop: Header=BB147_3 Depth=1
	s_or_b32 exec_lo, exec_lo, s12
	s_barrier_signal -1
	s_barrier_wait -1
	s_and_saveexec_b32 s12, s53
; %bb.260:                              ;   in Loop: Header=BB147_3 Depth=1
	v_pk_add_f32 v[48:49], v[46:47], 0 neg_lo:[1,1] neg_hi:[1,1]
	ds_store_b64 v73, v[48:49]
; %bb.261:                              ;   in Loop: Header=BB147_3 Depth=1
	s_or_b32 exec_lo, exec_lo, s12
	s_wait_dscnt 0x0
	s_barrier_signal -1
	s_barrier_wait -1
	s_and_saveexec_b32 s12, s54
	s_cbranch_execz .LBB147_263
; %bb.262:                              ;   in Loop: Header=BB147_3 Depth=1
	ds_load_b64 v[48:49], v74 offset:22272
	ds_load_b64 v[100:101], v73
	s_wait_dscnt 0x0
	v_dual_mul_f32 v0, v101, v49 :: v_dual_mul_f32 v103, v100, v49
	s_delay_alu instid0(VALU_DEP_1) | instskip(NEXT) | instid1(VALU_DEP_1)
	v_dual_fma_f32 v102, v100, v48, -v0 :: v_dual_fmac_f32 v103, v101, v48
	v_pk_add_f32 v[46:47], v[46:47], v[102:103] neg_lo:[0,1] neg_hi:[0,1]
.LBB147_263:                            ;   in Loop: Header=BB147_3 Depth=1
	s_or_b32 exec_lo, exec_lo, s12
	s_barrier_signal -1
	s_barrier_wait -1
	s_and_saveexec_b32 s12, s55
; %bb.264:                              ;   in Loop: Header=BB147_3 Depth=1
	v_pk_add_f32 v[48:49], v[46:47], 0 neg_lo:[1,1] neg_hi:[1,1]
	ds_store_b64 v73, v[48:49]
; %bb.265:                              ;   in Loop: Header=BB147_3 Depth=1
	s_or_b32 exec_lo, exec_lo, s12
	s_wait_dscnt 0x0
	s_barrier_signal -1
	s_barrier_wait -1
	s_and_saveexec_b32 s12, s56
	s_cbranch_execz .LBB147_267
; %bb.266:                              ;   in Loop: Header=BB147_3 Depth=1
	ds_load_b64 v[48:49], v74 offset:21760
	ds_load_b64 v[100:101], v73
	s_wait_dscnt 0x0
	v_pk_mul_f32 v[102:103], v[100:101], v[48:49] op_sel:[1,1] op_sel_hi:[0,1]
	s_delay_alu instid0(VALU_DEP_1) | instskip(SKIP_1) | instid1(VALU_DEP_2)
	v_pk_fma_f32 v[104:105], v[100:101], v[48:49], v[102:103] op_sel_hi:[1,0,1]
	v_pk_fma_f32 v[48:49], v[100:101], v[48:49], v[102:103] neg_lo:[0,0,1] neg_hi:[0,0,1]
	v_mov_b32_e32 v49, v105
	s_delay_alu instid0(VALU_DEP_1)
	v_pk_add_f32 v[46:47], v[46:47], v[48:49] neg_lo:[0,1] neg_hi:[0,1]
.LBB147_267:                            ;   in Loop: Header=BB147_3 Depth=1
	s_or_b32 exec_lo, exec_lo, s12
	s_barrier_signal -1
	s_barrier_wait -1
	s_and_saveexec_b32 s12, s57
; %bb.268:                              ;   in Loop: Header=BB147_3 Depth=1
	v_pk_add_f32 v[48:49], v[46:47], 0 neg_lo:[1,1] neg_hi:[1,1]
	ds_store_b64 v73, v[48:49]
; %bb.269:                              ;   in Loop: Header=BB147_3 Depth=1
	s_or_b32 exec_lo, exec_lo, s12
	s_wait_dscnt 0x0
	s_barrier_signal -1
	s_barrier_wait -1
	s_and_saveexec_b32 s12, s58
	s_cbranch_execz .LBB147_271
; %bb.270:                              ;   in Loop: Header=BB147_3 Depth=1
	ds_load_b64 v[48:49], v74 offset:21248
	ds_load_b64 v[100:101], v73
	s_wait_dscnt 0x0
	v_pk_mul_f32 v[102:103], v[100:101], v[48:49] op_sel:[1,1] op_sel_hi:[0,1]
	s_delay_alu instid0(VALU_DEP_1) | instskip(SKIP_1) | instid1(VALU_DEP_2)
	v_pk_fma_f32 v[104:105], v[100:101], v[48:49], v[102:103] op_sel_hi:[1,0,1]
	v_pk_fma_f32 v[48:49], v[100:101], v[48:49], v[102:103] neg_lo:[0,0,1] neg_hi:[0,0,1]
	v_mov_b32_e32 v49, v105
	s_delay_alu instid0(VALU_DEP_1)
	v_pk_add_f32 v[46:47], v[46:47], v[48:49] neg_lo:[0,1] neg_hi:[0,1]
.LBB147_271:                            ;   in Loop: Header=BB147_3 Depth=1
	;; [unrolled: 26-line block ×4, first 2 shown]
	s_or_b32 exec_lo, exec_lo, s12
	s_barrier_signal -1
	s_barrier_wait -1
	s_and_saveexec_b32 s12, s26
; %bb.280:                              ;   in Loop: Header=BB147_3 Depth=1
	v_pk_add_f32 v[48:49], v[46:47], 0 neg_lo:[1,1] neg_hi:[1,1]
	ds_store_b64 v73, v[48:49]
; %bb.281:                              ;   in Loop: Header=BB147_3 Depth=1
	s_or_b32 exec_lo, exec_lo, s12
	s_wait_dscnt 0x0
	s_barrier_signal -1
	s_barrier_wait -1
	s_and_saveexec_b32 s12, s28
	s_cbranch_execz .LBB147_283
; %bb.282:                              ;   in Loop: Header=BB147_3 Depth=1
	ds_load_b64 v[48:49], v74 offset:19712
	ds_load_b64 v[100:101], v73
	s_wait_dscnt 0x0
	v_dual_mul_f32 v0, v101, v49 :: v_dual_mul_f32 v27, v100, v49
	s_delay_alu instid0(VALU_DEP_1) | instskip(NEXT) | instid1(VALU_DEP_1)
	v_dual_fma_f32 v0, v100, v48, -v0 :: v_dual_fmac_f32 v27, v101, v48
	v_dual_sub_f32 v46, v46, v0 :: v_dual_sub_f32 v47, v47, v27
.LBB147_283:                            ;   in Loop: Header=BB147_3 Depth=1
	s_or_b32 exec_lo, exec_lo, s12
	s_barrier_signal -1
	s_barrier_wait -1
	s_and_saveexec_b32 s12, s30
; %bb.284:                              ;   in Loop: Header=BB147_3 Depth=1
	v_pk_add_f32 v[48:49], v[46:47], 0 neg_lo:[1,1] neg_hi:[1,1]
	ds_store_b64 v73, v[48:49]
; %bb.285:                              ;   in Loop: Header=BB147_3 Depth=1
	s_or_b32 exec_lo, exec_lo, s12
	s_wait_dscnt 0x0
	s_barrier_signal -1
	s_barrier_wait -1
	s_and_saveexec_b32 s12, s33
	s_cbranch_execz .LBB147_287
; %bb.286:                              ;   in Loop: Header=BB147_3 Depth=1
	ds_load_b64 v[48:49], v74 offset:19200
	ds_load_b64 v[100:101], v73
	s_wait_dscnt 0x0
	v_dual_mul_f32 v0, v101, v49 :: v_dual_mul_f32 v103, v100, v49
	s_delay_alu instid0(VALU_DEP_1) | instskip(NEXT) | instid1(VALU_DEP_1)
	v_dual_fma_f32 v102, v100, v48, -v0 :: v_dual_fmac_f32 v103, v101, v48
	v_pk_add_f32 v[46:47], v[46:47], v[102:103] neg_lo:[0,1] neg_hi:[0,1]
.LBB147_287:                            ;   in Loop: Header=BB147_3 Depth=1
	s_or_b32 exec_lo, exec_lo, s12
	s_barrier_signal -1
	s_barrier_wait -1
	s_and_saveexec_b32 s12, s45
; %bb.288:                              ;   in Loop: Header=BB147_3 Depth=1
	v_pk_add_f32 v[48:49], v[46:47], 0 neg_lo:[1,1] neg_hi:[1,1]
	ds_store_b64 v73, v[48:49]
; %bb.289:                              ;   in Loop: Header=BB147_3 Depth=1
	s_or_b32 exec_lo, exec_lo, s12
	s_wait_dscnt 0x0
	s_barrier_signal -1
	s_barrier_wait -1
	s_and_saveexec_b32 s12, s23
	s_cbranch_execz .LBB147_291
; %bb.290:                              ;   in Loop: Header=BB147_3 Depth=1
	ds_load_b64 v[48:49], v74 offset:18688
	ds_load_b64 v[100:101], v73
	s_wait_dscnt 0x0
	v_pk_mul_f32 v[102:103], v[100:101], v[48:49] op_sel:[1,1] op_sel_hi:[0,1]
	s_delay_alu instid0(VALU_DEP_1) | instskip(SKIP_1) | instid1(VALU_DEP_2)
	v_pk_fma_f32 v[104:105], v[100:101], v[48:49], v[102:103] op_sel_hi:[1,0,1]
	v_pk_fma_f32 v[48:49], v[100:101], v[48:49], v[102:103] neg_lo:[0,0,1] neg_hi:[0,0,1]
	v_mov_b32_e32 v49, v105
	s_delay_alu instid0(VALU_DEP_1)
	v_pk_add_f32 v[46:47], v[46:47], v[48:49] neg_lo:[0,1] neg_hi:[0,1]
.LBB147_291:                            ;   in Loop: Header=BB147_3 Depth=1
	s_or_b32 exec_lo, exec_lo, s12
	s_barrier_signal -1
	s_barrier_wait -1
	s_and_saveexec_b32 s12, s25
; %bb.292:                              ;   in Loop: Header=BB147_3 Depth=1
	v_pk_add_f32 v[48:49], v[46:47], 0 neg_lo:[1,1] neg_hi:[1,1]
	ds_store_b64 v73, v[48:49]
; %bb.293:                              ;   in Loop: Header=BB147_3 Depth=1
	s_or_b32 exec_lo, exec_lo, s12
	s_wait_dscnt 0x0
	s_barrier_signal -1
	s_barrier_wait -1
	s_and_saveexec_b32 s12, s27
	s_cbranch_execz .LBB147_295
; %bb.294:                              ;   in Loop: Header=BB147_3 Depth=1
	ds_load_b64 v[48:49], v74 offset:18176
	ds_load_b64 v[100:101], v73
	s_wait_dscnt 0x0
	v_pk_mul_f32 v[102:103], v[100:101], v[48:49] op_sel:[1,1] op_sel_hi:[0,1]
	s_delay_alu instid0(VALU_DEP_1) | instskip(SKIP_1) | instid1(VALU_DEP_2)
	v_pk_fma_f32 v[104:105], v[100:101], v[48:49], v[102:103] op_sel_hi:[1,0,1]
	v_pk_fma_f32 v[48:49], v[100:101], v[48:49], v[102:103] neg_lo:[0,0,1] neg_hi:[0,0,1]
	v_mov_b32_e32 v49, v105
	s_delay_alu instid0(VALU_DEP_1)
	v_pk_add_f32 v[46:47], v[46:47], v[48:49] neg_lo:[0,1] neg_hi:[0,1]
.LBB147_295:                            ;   in Loop: Header=BB147_3 Depth=1
	s_or_b32 exec_lo, exec_lo, s12
	s_barrier_signal -1
	s_barrier_wait -1
	s_and_saveexec_b32 s12, s29
; %bb.296:                              ;   in Loop: Header=BB147_3 Depth=1
	v_pk_add_f32 v[48:49], v[46:47], 0 neg_lo:[1,1] neg_hi:[1,1]
	ds_store_b64 v73, v[48:49]
; %bb.297:                              ;   in Loop: Header=BB147_3 Depth=1
	s_or_b32 exec_lo, exec_lo, s12
	s_wait_dscnt 0x0
	s_barrier_signal -1
	s_barrier_wait -1
	s_and_saveexec_b32 s12, s31
	s_cbranch_execz .LBB147_299
; %bb.298:                              ;   in Loop: Header=BB147_3 Depth=1
	ds_load_b64 v[48:49], v74 offset:17664
	ds_load_b64 v[100:101], v73
	s_wait_dscnt 0x0
	v_pk_mul_f32 v[102:103], v[100:101], v[48:49] op_sel:[1,1] op_sel_hi:[0,1]
	s_delay_alu instid0(VALU_DEP_1) | instskip(SKIP_1) | instid1(VALU_DEP_2)
	v_pk_fma_f32 v[104:105], v[100:101], v[48:49], v[102:103] op_sel_hi:[1,0,1]
	v_pk_fma_f32 v[48:49], v[100:101], v[48:49], v[102:103] neg_lo:[0,0,1] neg_hi:[0,0,1]
	v_mov_b32_e32 v49, v105
	s_delay_alu instid0(VALU_DEP_1)
	v_pk_add_f32 v[46:47], v[46:47], v[48:49] neg_lo:[0,1] neg_hi:[0,1]
.LBB147_299:                            ;   in Loop: Header=BB147_3 Depth=1
	s_or_b32 exec_lo, exec_lo, s12
	s_barrier_signal -1
	s_barrier_wait -1
	s_and_saveexec_b32 s12, s85
; %bb.300:                              ;   in Loop: Header=BB147_3 Depth=1
	v_pk_add_f32 v[48:49], v[46:47], 0 neg_lo:[1,1] neg_hi:[1,1]
	ds_store_b64 v73, v[48:49]
; %bb.301:                              ;   in Loop: Header=BB147_3 Depth=1
	s_or_b32 exec_lo, exec_lo, s12
	s_wait_dscnt 0x0
	s_barrier_signal -1
	s_barrier_wait -1
	s_and_saveexec_b32 s12, s44
	s_cbranch_execz .LBB147_303
; %bb.302:                              ;   in Loop: Header=BB147_3 Depth=1
	ds_load_b64 v[48:49], v1 offset:17152
	ds_load_b64 v[100:101], v73
	s_wait_dscnt 0x0
	v_pk_mul_f32 v[102:103], v[100:101], v[48:49] op_sel:[1,1] op_sel_hi:[0,1]
	s_delay_alu instid0(VALU_DEP_1) | instskip(SKIP_1) | instid1(VALU_DEP_2)
	v_pk_fma_f32 v[104:105], v[100:101], v[48:49], v[102:103] op_sel_hi:[1,0,1]
	v_pk_fma_f32 v[48:49], v[100:101], v[48:49], v[102:103] neg_lo:[0,0,1] neg_hi:[0,0,1]
	v_mov_b32_e32 v49, v105
	s_delay_alu instid0(VALU_DEP_1)
	v_pk_add_f32 v[46:47], v[46:47], v[48:49] neg_lo:[0,1] neg_hi:[0,1]
.LBB147_303:                            ;   in Loop: Header=BB147_3 Depth=1
	s_or_b32 exec_lo, exec_lo, s12
	s_barrier_signal -1
	s_barrier_wait -1
	s_and_saveexec_b32 s12, s44
; %bb.304:                              ;   in Loop: Header=BB147_3 Depth=1
	v_pk_add_f32 v[48:49], v[46:47], 0 neg_lo:[1,1] neg_hi:[1,1]
	ds_store_b64 v73, v[48:49]
; %bb.305:                              ;   in Loop: Header=BB147_3 Depth=1
	s_or_b32 exec_lo, exec_lo, s12
	s_wait_dscnt 0x0
	s_barrier_signal -1
	s_barrier_wait -1
	s_barrier_signal -1
	s_barrier_wait -1
	s_and_saveexec_b32 s12, s5
; %bb.306:                              ;   in Loop: Header=BB147_3 Depth=1
	ds_store_b64 v77, v[46:47] offset:32512
; %bb.307:                              ;   in Loop: Header=BB147_3 Depth=1
	s_or_b32 exec_lo, exec_lo, s12
	s_wait_dscnt 0x0
	s_barrier_signal -1
	s_barrier_wait -1
	s_barrier_signal -1
	s_barrier_wait -1
	s_and_saveexec_b32 s12, s46
	s_cbranch_execz .LBB147_309
; %bb.308:                              ;   in Loop: Header=BB147_3 Depth=1
	ds_load_b64 v[46:47], v56 offset:24832
	s_wait_dscnt 0x0
	ds_store_b64 v60, v[46:47] offset:16768
	ds_load_b64 v[46:47], v56 offset:24840
	s_wait_dscnt 0x0
	ds_store_b64 v60, v[46:47] offset:17280
	;; [unrolled: 3-line block ×16, first 2 shown]
.LBB147_309:                            ;   in Loop: Header=BB147_3 Depth=1
	s_or_b32 exec_lo, exec_lo, s12
	s_wait_dscnt 0x0
	s_barrier_signal -1
	s_barrier_wait -1
	s_and_saveexec_b32 s12, s10
	s_cbranch_execz .LBB147_311
; %bb.310:                              ;   in Loop: Header=BB147_3 Depth=1
	ds_load_b64 v[46:47], v1 offset:24432
	v_add_nc_u32_e64 v0, 0x5800, 0
	ds_store_b64 v1, v[30:31] offset:24440
	s_wait_dscnt 0x1
	ds_store_2addr_b64 v0, v[30:31], v[46:47] offset0:174 offset1:175
.LBB147_311:                            ;   in Loop: Header=BB147_3 Depth=1
	s_or_b32 exec_lo, exec_lo, s12
	v_dual_mov_b32 v46, 0 :: v_dual_mov_b32 v47, 0
	s_wait_dscnt 0x0
	s_barrier_signal -1
	s_barrier_wait -1
	global_wb scope:SCOPE_DEV
	s_wait_storecnt 0x0
	global_inv scope:SCOPE_DEV
	s_and_saveexec_b32 s12, s1
	s_cbranch_execz .LBB147_315
; %bb.312:                              ;   in Loop: Header=BB147_3 Depth=1
	ds_load_b64 v[46:47], v52 offset:23904
	ds_load_b64 v[48:49], v53 offset:24432
	s_wait_dscnt 0x0
	v_pk_mul_f32 v[100:101], v[48:49], v[46:47] op_sel:[1,1] op_sel_hi:[0,1]
	s_delay_alu instid0(VALU_DEP_1) | instskip(SKIP_1) | instid1(VALU_DEP_2)
	v_pk_fma_f32 v[102:103], v[48:49], v[46:47], v[100:101] op_sel_hi:[1,0,1]
	v_pk_fma_f32 v[46:47], v[48:49], v[46:47], v[100:101] neg_lo:[0,0,1] neg_hi:[0,0,1]
	v_mov_b32_e32 v47, v103
	s_delay_alu instid0(VALU_DEP_1)
	v_pk_add_f32 v[46:47], v[46:47], 0 op_sel_hi:[1,0]
	s_and_saveexec_b32 s17, s13
	s_cbranch_execz .LBB147_314
; %bb.313:                              ;   in Loop: Header=BB147_3 Depth=1
	ds_load_b64 v[48:49], v54 offset:24416
	ds_load_b64 v[100:101], v1 offset:24440
	s_wait_dscnt 0x0
	v_pk_mul_f32 v[102:103], v[100:101], v[48:49] op_sel:[1,1] op_sel_hi:[0,1]
	s_delay_alu instid0(VALU_DEP_1) | instskip(SKIP_1) | instid1(VALU_DEP_2)
	v_pk_fma_f32 v[104:105], v[100:101], v[48:49], v[102:103] op_sel_hi:[1,0,1]
	v_pk_fma_f32 v[48:49], v[100:101], v[48:49], v[102:103] neg_lo:[0,0,1] neg_hi:[0,0,1]
	v_mov_b32_e32 v49, v105
	s_delay_alu instid0(VALU_DEP_1)
	v_pk_add_f32 v[46:47], v[46:47], v[48:49]
.LBB147_314:                            ;   in Loop: Header=BB147_3 Depth=1
	s_or_b32 exec_lo, exec_lo, s17
.LBB147_315:                            ;   in Loop: Header=BB147_3 Depth=1
	s_delay_alu instid0(SALU_CYCLE_1)
	s_or_b32 exec_lo, exec_lo, s12
	s_and_saveexec_b32 s12, s88
; %bb.316:                              ;   in Loop: Header=BB147_3 Depth=1
	s_delay_alu instid0(VALU_DEP_1)
	v_pk_add_f32 v[48:49], v[46:47], 0 neg_lo:[1,1] neg_hi:[1,1]
	ds_store_b64 v51, v[48:49]
; %bb.317:                              ;   in Loop: Header=BB147_3 Depth=1
	s_or_b32 exec_lo, exec_lo, s12
	s_wait_loadcnt_dscnt 0x0
	s_barrier_signal -1
	s_barrier_wait -1
	s_and_saveexec_b32 s12, s89
	s_cbranch_execz .LBB147_319
; %bb.318:                              ;   in Loop: Header=BB147_3 Depth=1
	ds_load_b64 v[48:49], v1 offset:23392
	ds_load_b64 v[100:101], v51
	s_wait_dscnt 0x0
	v_pk_mul_f32 v[102:103], v[100:101], v[48:49] op_sel_hi:[1,0]
	s_delay_alu instid0(VALU_DEP_1) | instskip(SKIP_1) | instid1(VALU_DEP_2)
	v_pk_fma_f32 v[104:105], v[100:101], v[48:49], v[102:103] op_sel:[1,1,0] op_sel_hi:[0,1,1]
	v_pk_fma_f32 v[48:49], v[100:101], v[48:49], v[102:103] op_sel:[1,1,0] op_sel_hi:[0,1,1] neg_lo:[0,0,1] neg_hi:[0,0,1]
	v_pk_add_f32 v[100:101], v[46:47], v[104:105] neg_lo:[0,1] neg_hi:[0,1]
	s_delay_alu instid0(VALU_DEP_2) | instskip(NEXT) | instid1(VALU_DEP_2)
	v_pk_add_f32 v[46:47], v[46:47], v[48:49]
	v_mov_b32_e32 v47, v101
.LBB147_319:                            ;   in Loop: Header=BB147_3 Depth=1
	s_or_b32 exec_lo, exec_lo, s12
	s_barrier_signal -1
	s_barrier_wait -1
	s_and_saveexec_b32 s12, s89
; %bb.320:                              ;   in Loop: Header=BB147_3 Depth=1
	v_pk_add_f32 v[48:49], v[46:47], 0 neg_lo:[1,1] neg_hi:[1,1]
	ds_store_b64 v51, v[48:49]
; %bb.321:                              ;   in Loop: Header=BB147_3 Depth=1
	s_or_b32 exec_lo, exec_lo, s12
	s_wait_dscnt 0x0
	s_barrier_signal -1
	s_barrier_wait -1
	s_barrier_signal -1
	s_barrier_wait -1
	s_and_saveexec_b32 s12, s1
; %bb.322:                              ;   in Loop: Header=BB147_3 Depth=1
	ds_store_b64 v55, v[46:47] offset:24416
; %bb.323:                              ;   in Loop: Header=BB147_3 Depth=1
	s_or_b32 exec_lo, exec_lo, s12
	s_wait_dscnt 0x0
	s_barrier_signal -1
	s_barrier_wait -1
	s_barrier_signal -1
	s_barrier_wait -1
	s_and_saveexec_b32 s12, s90
	s_cbranch_execz .LBB147_325
; %bb.324:                              ;   in Loop: Header=BB147_3 Depth=1
	ds_load_b64 v[46:47], v56 offset:23904
	s_wait_dscnt 0x0
	ds_store_b64 v54, v[46:47] offset:22896
	ds_load_b64 v[46:47], v56 offset:23912
	s_wait_dscnt 0x0
	ds_store_b64 v54, v[46:47] offset:23408
.LBB147_325:                            ;   in Loop: Header=BB147_3 Depth=1
	s_or_b32 exec_lo, exec_lo, s12
	s_wait_dscnt 0x0
	s_barrier_signal -1
	s_barrier_wait -1
	s_and_saveexec_b32 s12, s10
	s_cbranch_execz .LBB147_327
; %bb.326:                              ;   in Loop: Header=BB147_3 Depth=1
	ds_load_b64 v[46:47], v1 offset:23392
	v_add_nc_u32_e64 v0, 0x5800, 0
	ds_store_b64 v1, v[30:31] offset:23400
	s_wait_dscnt 0x1
	ds_store_2addr_b64 v0, v[30:31], v[46:47] offset0:44 offset1:45
.LBB147_327:                            ;   in Loop: Header=BB147_3 Depth=1
	s_or_b32 exec_lo, exec_lo, s12
	v_mov_b64_e32 v[46:47], 0
	s_wait_dscnt 0x0
	s_barrier_signal -1
	s_barrier_wait -1
	global_wb scope:SCOPE_DEV
	s_wait_storecnt 0x0
	global_inv scope:SCOPE_DEV
	s_and_saveexec_b32 s12, s3
	s_cbranch_execz .LBB147_333
; %bb.328:                              ;   in Loop: Header=BB147_3 Depth=1
	ds_load_b64 v[46:47], v58 offset:22848
	ds_load_b64 v[48:49], v59 offset:24416
	s_wait_dscnt 0x0
	v_dual_mul_f32 v0, v49, v47 :: v_dual_mul_f32 v27, v48, v47
	s_delay_alu instid0(VALU_DEP_1) | instskip(NEXT) | instid1(VALU_DEP_1)
	v_dual_fma_f32 v0, v48, v46, -v0 :: v_dual_fmac_f32 v27, v49, v46
	v_dual_add_f32 v46, 0, v0 :: v_dual_add_f32 v47, 0, v27
	s_and_saveexec_b32 s17, s14
	s_cbranch_execnz .LBB147_1090
; %bb.329:                              ;   in Loop: Header=BB147_3 Depth=1
	s_or_b32 exec_lo, exec_lo, s17
	s_and_saveexec_b32 s17, s15
	s_cbranch_execnz .LBB147_1091
.LBB147_330:                            ;   in Loop: Header=BB147_3 Depth=1
	s_or_b32 exec_lo, exec_lo, s17
	s_and_saveexec_b32 s17, s1
	s_cbranch_execz .LBB147_332
.LBB147_331:                            ;   in Loop: Header=BB147_3 Depth=1
	ds_load_b64 v[48:49], v60 offset:24384
	ds_load_b64 v[100:101], v1 offset:24440
	s_wait_dscnt 0x0
	v_pk_mul_f32 v[102:103], v[100:101], v[48:49] op_sel:[1,1] op_sel_hi:[0,1]
	s_delay_alu instid0(VALU_DEP_1) | instskip(SKIP_1) | instid1(VALU_DEP_2)
	v_pk_fma_f32 v[104:105], v[100:101], v[48:49], v[102:103] op_sel_hi:[1,0,1]
	v_pk_fma_f32 v[48:49], v[100:101], v[48:49], v[102:103] neg_lo:[0,0,1] neg_hi:[0,0,1]
	v_mov_b32_e32 v49, v105
	s_delay_alu instid0(VALU_DEP_1)
	v_pk_add_f32 v[46:47], v[46:47], v[48:49]
.LBB147_332:                            ;   in Loop: Header=BB147_3 Depth=1
	s_or_b32 exec_lo, exec_lo, s17
.LBB147_333:                            ;   in Loop: Header=BB147_3 Depth=1
	s_delay_alu instid0(SALU_CYCLE_1)
	s_or_b32 exec_lo, exec_lo, s12
	s_and_saveexec_b32 s12, s91
; %bb.334:                              ;   in Loop: Header=BB147_3 Depth=1
	s_delay_alu instid0(VALU_DEP_1)
	v_pk_add_f32 v[48:49], v[46:47], 0 neg_lo:[1,1] neg_hi:[1,1]
	ds_store_b64 v57, v[48:49]
; %bb.335:                              ;   in Loop: Header=BB147_3 Depth=1
	s_or_b32 exec_lo, exec_lo, s12
	s_wait_loadcnt_dscnt 0x0
	s_barrier_signal -1
	s_barrier_wait -1
	s_and_saveexec_b32 s12, s92
	s_cbranch_execz .LBB147_337
; %bb.336:                              ;   in Loop: Header=BB147_3 Depth=1
	ds_load_b64 v[48:49], v58 offset:22336
	ds_load_b64 v[100:101], v57
	s_wait_dscnt 0x0
	v_pk_mul_f32 v[102:103], v[100:101], v[48:49] op_sel:[1,1] op_sel_hi:[0,1]
	s_delay_alu instid0(VALU_DEP_1) | instskip(SKIP_1) | instid1(VALU_DEP_2)
	v_pk_fma_f32 v[104:105], v[100:101], v[48:49], v[102:103] op_sel_hi:[1,0,1]
	v_pk_fma_f32 v[48:49], v[100:101], v[48:49], v[102:103] neg_lo:[0,0,1] neg_hi:[0,0,1]
	v_mov_b32_e32 v49, v105
	s_delay_alu instid0(VALU_DEP_1)
	v_pk_add_f32 v[46:47], v[46:47], v[48:49] neg_lo:[0,1] neg_hi:[0,1]
.LBB147_337:                            ;   in Loop: Header=BB147_3 Depth=1
	s_or_b32 exec_lo, exec_lo, s12
	s_barrier_signal -1
	s_barrier_wait -1
	s_and_saveexec_b32 s12, s93
; %bb.338:                              ;   in Loop: Header=BB147_3 Depth=1
	v_pk_add_f32 v[48:49], v[46:47], 0 neg_lo:[1,1] neg_hi:[1,1]
	ds_store_b64 v57, v[48:49]
; %bb.339:                              ;   in Loop: Header=BB147_3 Depth=1
	s_or_b32 exec_lo, exec_lo, s12
	s_wait_dscnt 0x0
	s_barrier_signal -1
	s_barrier_wait -1
	s_and_saveexec_b32 s12, s94
	s_cbranch_execz .LBB147_341
; %bb.340:                              ;   in Loop: Header=BB147_3 Depth=1
	ds_load_b64 v[48:49], v58 offset:21824
	ds_load_b64 v[100:101], v57
	s_wait_dscnt 0x0
	v_pk_mul_f32 v[102:103], v[100:101], v[48:49] op_sel:[1,1] op_sel_hi:[0,1]
	s_delay_alu instid0(VALU_DEP_1) | instskip(SKIP_1) | instid1(VALU_DEP_2)
	v_pk_fma_f32 v[104:105], v[100:101], v[48:49], v[102:103] op_sel_hi:[1,0,1]
	v_pk_fma_f32 v[48:49], v[100:101], v[48:49], v[102:103] neg_lo:[0,0,1] neg_hi:[0,0,1]
	v_mov_b32_e32 v49, v105
	s_delay_alu instid0(VALU_DEP_1)
	v_pk_add_f32 v[46:47], v[46:47], v[48:49] neg_lo:[0,1] neg_hi:[0,1]
.LBB147_341:                            ;   in Loop: Header=BB147_3 Depth=1
	s_or_b32 exec_lo, exec_lo, s12
	s_barrier_signal -1
	s_barrier_wait -1
	s_and_saveexec_b32 s12, s95
; %bb.342:                              ;   in Loop: Header=BB147_3 Depth=1
	v_pk_add_f32 v[48:49], v[46:47], 0 neg_lo:[1,1] neg_hi:[1,1]
	ds_store_b64 v57, v[48:49]
; %bb.343:                              ;   in Loop: Header=BB147_3 Depth=1
	s_or_b32 exec_lo, exec_lo, s12
	s_wait_dscnt 0x0
	;; [unrolled: 26-line block ×3, first 2 shown]
	s_barrier_signal -1
	s_barrier_wait -1
	s_barrier_signal -1
	s_barrier_wait -1
	s_and_saveexec_b32 s12, s3
; %bb.348:                              ;   in Loop: Header=BB147_3 Depth=1
	ds_store_b64 v62, v[46:47] offset:24384
; %bb.349:                              ;   in Loop: Header=BB147_3 Depth=1
	s_or_b32 exec_lo, exec_lo, s12
	s_wait_dscnt 0x0
	s_barrier_signal -1
	s_barrier_wait -1
	s_barrier_signal -1
	s_barrier_wait -1
	s_and_saveexec_b32 s12, s97
	s_cbranch_execz .LBB147_351
; %bb.350:                              ;   in Loop: Header=BB147_3 Depth=1
	ds_load_b64 v[46:47], v61 offset:22848
	s_wait_dscnt 0x0
	ds_store_b64 v63, v[46:47] offset:20832
	ds_load_b64 v[46:47], v61 offset:22856
	s_wait_dscnt 0x0
	ds_store_b64 v63, v[46:47] offset:21344
	;; [unrolled: 3-line block ×4, first 2 shown]
.LBB147_351:                            ;   in Loop: Header=BB147_3 Depth=1
	s_or_b32 exec_lo, exec_lo, s12
	s_wait_dscnt 0x0
	s_barrier_signal -1
	s_barrier_wait -1
	s_and_saveexec_b32 s12, s10
	s_cbranch_execz .LBB147_353
; %bb.352:                              ;   in Loop: Header=BB147_3 Depth=1
	ds_load_b64 v[46:47], v1 offset:22352
	v_add_nc_u32_e64 v0, 0x5000, 0
	ds_store_b64 v1, v[30:31] offset:22360
	s_wait_dscnt 0x1
	ds_store_2addr_b64 v0, v[30:31], v[46:47] offset0:170 offset1:171
.LBB147_353:                            ;   in Loop: Header=BB147_3 Depth=1
	s_or_b32 exec_lo, exec_lo, s12
	v_dual_mov_b32 v46, 0 :: v_dual_mov_b32 v47, 0
	s_wait_dscnt 0x0
	s_barrier_signal -1
	s_barrier_wait -1
	global_wb scope:SCOPE_DEV
	s_wait_storecnt 0x0
	global_inv scope:SCOPE_DEV
	s_and_saveexec_b32 s12, s1
	s_cbranch_execz .LBB147_357
; %bb.354:                              ;   in Loop: Header=BB147_3 Depth=1
	ds_load_b64 v[46:47], v52 offset:21824
	ds_load_b64 v[48:49], v53 offset:22352
	s_wait_dscnt 0x0
	v_pk_mul_f32 v[100:101], v[48:49], v[46:47] op_sel:[1,1] op_sel_hi:[0,1]
	s_delay_alu instid0(VALU_DEP_1) | instskip(SKIP_1) | instid1(VALU_DEP_2)
	v_pk_fma_f32 v[102:103], v[48:49], v[46:47], v[100:101] op_sel_hi:[1,0,1]
	v_pk_fma_f32 v[46:47], v[48:49], v[46:47], v[100:101] neg_lo:[0,0,1] neg_hi:[0,0,1]
	v_mov_b32_e32 v47, v103
	s_delay_alu instid0(VALU_DEP_1)
	v_pk_add_f32 v[46:47], v[46:47], 0 op_sel_hi:[1,0]
	s_and_saveexec_b32 s17, s13
	s_cbranch_execz .LBB147_356
; %bb.355:                              ;   in Loop: Header=BB147_3 Depth=1
	ds_load_b64 v[48:49], v63 offset:22336
	ds_load_b64 v[100:101], v1 offset:22360
	s_wait_dscnt 0x0
	v_pk_mul_f32 v[102:103], v[100:101], v[48:49] op_sel:[1,1] op_sel_hi:[0,1]
	s_delay_alu instid0(VALU_DEP_1) | instskip(SKIP_1) | instid1(VALU_DEP_2)
	v_pk_fma_f32 v[104:105], v[100:101], v[48:49], v[102:103] op_sel_hi:[1,0,1]
	v_pk_fma_f32 v[48:49], v[100:101], v[48:49], v[102:103] neg_lo:[0,0,1] neg_hi:[0,0,1]
	v_mov_b32_e32 v49, v105
	s_delay_alu instid0(VALU_DEP_1)
	v_pk_add_f32 v[46:47], v[46:47], v[48:49]
.LBB147_356:                            ;   in Loop: Header=BB147_3 Depth=1
	s_or_b32 exec_lo, exec_lo, s17
.LBB147_357:                            ;   in Loop: Header=BB147_3 Depth=1
	s_delay_alu instid0(SALU_CYCLE_1)
	s_or_b32 exec_lo, exec_lo, s12
	s_and_saveexec_b32 s12, s88
; %bb.358:                              ;   in Loop: Header=BB147_3 Depth=1
	s_delay_alu instid0(VALU_DEP_1)
	v_pk_add_f32 v[48:49], v[46:47], 0 neg_lo:[1,1] neg_hi:[1,1]
	ds_store_b64 v51, v[48:49]
; %bb.359:                              ;   in Loop: Header=BB147_3 Depth=1
	s_or_b32 exec_lo, exec_lo, s12
	s_wait_loadcnt_dscnt 0x0
	s_barrier_signal -1
	s_barrier_wait -1
	s_and_saveexec_b32 s12, s89
	s_cbranch_execz .LBB147_361
; %bb.360:                              ;   in Loop: Header=BB147_3 Depth=1
	ds_load_b64 v[48:49], v1 offset:21312
	ds_load_b64 v[100:101], v51
	s_wait_dscnt 0x0
	v_pk_mul_f32 v[102:103], v[100:101], v[48:49] op_sel_hi:[1,0]
	s_delay_alu instid0(VALU_DEP_1) | instskip(SKIP_1) | instid1(VALU_DEP_2)
	v_pk_fma_f32 v[104:105], v[100:101], v[48:49], v[102:103] op_sel:[1,1,0] op_sel_hi:[0,1,1]
	v_pk_fma_f32 v[48:49], v[100:101], v[48:49], v[102:103] op_sel:[1,1,0] op_sel_hi:[0,1,1] neg_lo:[0,0,1] neg_hi:[0,0,1]
	v_pk_add_f32 v[100:101], v[46:47], v[104:105] neg_lo:[0,1] neg_hi:[0,1]
	s_delay_alu instid0(VALU_DEP_2) | instskip(NEXT) | instid1(VALU_DEP_2)
	v_pk_add_f32 v[46:47], v[46:47], v[48:49]
	v_mov_b32_e32 v47, v101
.LBB147_361:                            ;   in Loop: Header=BB147_3 Depth=1
	s_or_b32 exec_lo, exec_lo, s12
	s_barrier_signal -1
	s_barrier_wait -1
	s_and_saveexec_b32 s12, s89
; %bb.362:                              ;   in Loop: Header=BB147_3 Depth=1
	v_pk_add_f32 v[48:49], v[46:47], 0 neg_lo:[1,1] neg_hi:[1,1]
	ds_store_b64 v51, v[48:49]
; %bb.363:                              ;   in Loop: Header=BB147_3 Depth=1
	s_or_b32 exec_lo, exec_lo, s12
	s_wait_dscnt 0x0
	s_barrier_signal -1
	s_barrier_wait -1
	s_barrier_signal -1
	s_barrier_wait -1
	s_and_saveexec_b32 s12, s1
; %bb.364:                              ;   in Loop: Header=BB147_3 Depth=1
	ds_store_b64 v55, v[46:47] offset:22336
; %bb.365:                              ;   in Loop: Header=BB147_3 Depth=1
	s_or_b32 exec_lo, exec_lo, s12
	s_wait_dscnt 0x0
	s_barrier_signal -1
	s_barrier_wait -1
	s_barrier_signal -1
	s_barrier_wait -1
	s_and_saveexec_b32 s12, s90
	s_cbranch_execz .LBB147_367
; %bb.366:                              ;   in Loop: Header=BB147_3 Depth=1
	ds_load_b64 v[46:47], v64 offset:21824
	s_wait_dscnt 0x0
	ds_store_b64 v63, v[46:47] offset:20816
	ds_load_b64 v[46:47], v64 offset:21832
	s_wait_dscnt 0x0
	ds_store_b64 v63, v[46:47] offset:21328
.LBB147_367:                            ;   in Loop: Header=BB147_3 Depth=1
	s_or_b32 exec_lo, exec_lo, s12
	s_wait_dscnt 0x0
	s_barrier_signal -1
	s_barrier_wait -1
	s_and_saveexec_b32 s12, s10
	s_cbranch_execz .LBB147_369
; %bb.368:                              ;   in Loop: Header=BB147_3 Depth=1
	ds_load_b64 v[46:47], v1 offset:21312
	v_add_nc_u32_e64 v0, 0x5000, 0
	ds_store_b64 v1, v[30:31] offset:21320
	s_wait_dscnt 0x1
	ds_store_2addr_b64 v0, v[30:31], v[46:47] offset0:40 offset1:41
.LBB147_369:                            ;   in Loop: Header=BB147_3 Depth=1
	s_or_b32 exec_lo, exec_lo, s12
	v_mov_b64_e32 v[46:47], 0
	s_wait_dscnt 0x0
	s_barrier_signal -1
	s_barrier_wait -1
	global_wb scope:SCOPE_DEV
	s_wait_storecnt 0x0
	global_inv scope:SCOPE_DEV
	s_and_saveexec_b32 s12, s4
	s_cbranch_execz .LBB147_379
; %bb.370:                              ;   in Loop: Header=BB147_3 Depth=1
	ds_load_b64 v[46:47], v66 offset:20736
	ds_load_b64 v[48:49], v67 offset:24384
	s_wait_dscnt 0x0
	v_dual_mul_f32 v0, v49, v47 :: v_dual_mul_f32 v27, v48, v47
	s_delay_alu instid0(VALU_DEP_1) | instskip(NEXT) | instid1(VALU_DEP_1)
	v_dual_fma_f32 v0, v48, v46, -v0 :: v_dual_fmac_f32 v27, v49, v46
	v_dual_add_f32 v46, 0, v0 :: v_dual_add_f32 v47, 0, v27
	s_and_saveexec_b32 s17, s16
	s_cbranch_execnz .LBB147_1092
; %bb.371:                              ;   in Loop: Header=BB147_3 Depth=1
	s_or_b32 exec_lo, exec_lo, s17
	s_and_saveexec_b32 s17, s18
	s_cbranch_execnz .LBB147_1093
.LBB147_372:                            ;   in Loop: Header=BB147_3 Depth=1
	s_or_b32 exec_lo, exec_lo, s17
	s_and_saveexec_b32 s17, s19
	s_cbranch_execnz .LBB147_1094
.LBB147_373:                            ;   in Loop: Header=BB147_3 Depth=1
	s_or_b32 exec_lo, exec_lo, s17
	s_and_saveexec_b32 s17, s20
	s_cbranch_execnz .LBB147_1095
.LBB147_374:                            ;   in Loop: Header=BB147_3 Depth=1
	s_or_b32 exec_lo, exec_lo, s17
	s_and_saveexec_b32 s17, s21
	s_cbranch_execnz .LBB147_1096
.LBB147_375:                            ;   in Loop: Header=BB147_3 Depth=1
	s_or_b32 exec_lo, exec_lo, s17
	s_and_saveexec_b32 s17, s3
	s_cbranch_execnz .LBB147_1097
.LBB147_376:                            ;   in Loop: Header=BB147_3 Depth=1
	s_or_b32 exec_lo, exec_lo, s17
	s_and_saveexec_b32 s17, s15
	s_cbranch_execz .LBB147_378
.LBB147_377:                            ;   in Loop: Header=BB147_3 Depth=1
	ds_load_b64 v[48:49], v68 offset:24320
	ds_load_b64 v[100:101], v1 offset:24440
	s_wait_dscnt 0x0
	v_pk_mul_f32 v[102:103], v[100:101], v[48:49] op_sel:[1,1] op_sel_hi:[0,1]
	s_delay_alu instid0(VALU_DEP_1) | instskip(SKIP_1) | instid1(VALU_DEP_2)
	v_pk_fma_f32 v[104:105], v[100:101], v[48:49], v[102:103] op_sel_hi:[1,0,1]
	v_pk_fma_f32 v[48:49], v[100:101], v[48:49], v[102:103] neg_lo:[0,0,1] neg_hi:[0,0,1]
	v_mov_b32_e32 v49, v105
	s_delay_alu instid0(VALU_DEP_1)
	v_pk_add_f32 v[46:47], v[46:47], v[48:49]
.LBB147_378:                            ;   in Loop: Header=BB147_3 Depth=1
	s_or_b32 exec_lo, exec_lo, s17
.LBB147_379:                            ;   in Loop: Header=BB147_3 Depth=1
	s_delay_alu instid0(SALU_CYCLE_1)
	s_or_b32 exec_lo, exec_lo, s12
	s_and_saveexec_b32 s12, s98
; %bb.380:                              ;   in Loop: Header=BB147_3 Depth=1
	s_delay_alu instid0(VALU_DEP_1)
	v_pk_add_f32 v[48:49], v[46:47], 0 neg_lo:[1,1] neg_hi:[1,1]
	ds_store_b64 v65, v[48:49]
; %bb.381:                              ;   in Loop: Header=BB147_3 Depth=1
	s_or_b32 exec_lo, exec_lo, s12
	s_wait_loadcnt_dscnt 0x0
	s_barrier_signal -1
	s_barrier_wait -1
	s_and_saveexec_b32 s12, s99
	s_cbranch_execz .LBB147_383
; %bb.382:                              ;   in Loop: Header=BB147_3 Depth=1
	ds_load_b64 v[48:49], v66 offset:20224
	ds_load_b64 v[100:101], v65
	s_wait_dscnt 0x0
	v_pk_mul_f32 v[102:103], v[100:101], v[48:49] op_sel:[1,1] op_sel_hi:[0,1]
	s_delay_alu instid0(VALU_DEP_1) | instskip(SKIP_1) | instid1(VALU_DEP_2)
	v_pk_fma_f32 v[104:105], v[100:101], v[48:49], v[102:103] op_sel_hi:[1,0,1]
	v_pk_fma_f32 v[48:49], v[100:101], v[48:49], v[102:103] neg_lo:[0,0,1] neg_hi:[0,0,1]
	v_mov_b32_e32 v49, v105
	s_delay_alu instid0(VALU_DEP_1)
	v_pk_add_f32 v[46:47], v[46:47], v[48:49] neg_lo:[0,1] neg_hi:[0,1]
.LBB147_383:                            ;   in Loop: Header=BB147_3 Depth=1
	s_or_b32 exec_lo, exec_lo, s12
	s_barrier_signal -1
	s_barrier_wait -1
	s_and_saveexec_b32 s12, s100
; %bb.384:                              ;   in Loop: Header=BB147_3 Depth=1
	v_pk_add_f32 v[48:49], v[46:47], 0 neg_lo:[1,1] neg_hi:[1,1]
	ds_store_b64 v65, v[48:49]
; %bb.385:                              ;   in Loop: Header=BB147_3 Depth=1
	s_or_b32 exec_lo, exec_lo, s12
	s_wait_dscnt 0x0
	s_barrier_signal -1
	s_barrier_wait -1
	s_and_saveexec_b32 s12, s101
	s_cbranch_execz .LBB147_387
; %bb.386:                              ;   in Loop: Header=BB147_3 Depth=1
	ds_load_b64 v[48:49], v66 offset:19712
	ds_load_b64 v[100:101], v65
	s_wait_dscnt 0x0
	v_dual_mul_f32 v0, v101, v49 :: v_dual_mul_f32 v27, v100, v49
	s_delay_alu instid0(VALU_DEP_1) | instskip(NEXT) | instid1(VALU_DEP_1)
	v_dual_fma_f32 v0, v100, v48, -v0 :: v_dual_fmac_f32 v27, v101, v48
	v_dual_sub_f32 v46, v46, v0 :: v_dual_sub_f32 v47, v47, v27
.LBB147_387:                            ;   in Loop: Header=BB147_3 Depth=1
	s_or_b32 exec_lo, exec_lo, s12
	s_barrier_signal -1
	s_barrier_wait -1
	s_and_saveexec_b32 s12, s102
; %bb.388:                              ;   in Loop: Header=BB147_3 Depth=1
	v_pk_add_f32 v[48:49], v[46:47], 0 neg_lo:[1,1] neg_hi:[1,1]
	ds_store_b64 v65, v[48:49]
; %bb.389:                              ;   in Loop: Header=BB147_3 Depth=1
	s_or_b32 exec_lo, exec_lo, s12
	s_wait_dscnt 0x0
	s_barrier_signal -1
	s_barrier_wait -1
	s_and_saveexec_b32 s12, s103
	s_cbranch_execz .LBB147_391
; %bb.390:                              ;   in Loop: Header=BB147_3 Depth=1
	ds_load_b64 v[48:49], v66 offset:19200
	ds_load_b64 v[100:101], v65
	s_wait_dscnt 0x0
	v_dual_mul_f32 v0, v101, v49 :: v_dual_mul_f32 v103, v100, v49
	s_delay_alu instid0(VALU_DEP_1) | instskip(NEXT) | instid1(VALU_DEP_1)
	v_dual_fma_f32 v102, v100, v48, -v0 :: v_dual_fmac_f32 v103, v101, v48
	v_pk_add_f32 v[46:47], v[46:47], v[102:103] neg_lo:[0,1] neg_hi:[0,1]
.LBB147_391:                            ;   in Loop: Header=BB147_3 Depth=1
	s_or_b32 exec_lo, exec_lo, s12
	s_barrier_signal -1
	s_barrier_wait -1
	s_and_saveexec_b32 s12, s104
; %bb.392:                              ;   in Loop: Header=BB147_3 Depth=1
	v_pk_add_f32 v[48:49], v[46:47], 0 neg_lo:[1,1] neg_hi:[1,1]
	ds_store_b64 v65, v[48:49]
; %bb.393:                              ;   in Loop: Header=BB147_3 Depth=1
	s_or_b32 exec_lo, exec_lo, s12
	s_wait_dscnt 0x0
	s_barrier_signal -1
	s_barrier_wait -1
	s_and_saveexec_b32 s12, vcc_hi
	s_cbranch_execz .LBB147_395
; %bb.394:                              ;   in Loop: Header=BB147_3 Depth=1
	ds_load_b64 v[48:49], v66 offset:18688
	ds_load_b64 v[100:101], v65
	s_wait_dscnt 0x0
	v_pk_mul_f32 v[102:103], v[100:101], v[48:49] op_sel:[1,1] op_sel_hi:[0,1]
	s_delay_alu instid0(VALU_DEP_1) | instskip(SKIP_1) | instid1(VALU_DEP_2)
	v_pk_fma_f32 v[104:105], v[100:101], v[48:49], v[102:103] op_sel_hi:[1,0,1]
	v_pk_fma_f32 v[48:49], v[100:101], v[48:49], v[102:103] neg_lo:[0,0,1] neg_hi:[0,0,1]
	v_mov_b32_e32 v49, v105
	s_delay_alu instid0(VALU_DEP_1)
	v_pk_add_f32 v[46:47], v[46:47], v[48:49] neg_lo:[0,1] neg_hi:[0,1]
.LBB147_395:                            ;   in Loop: Header=BB147_3 Depth=1
	s_or_b32 exec_lo, exec_lo, s12
	s_barrier_signal -1
	s_barrier_wait -1
	s_and_saveexec_b32 s12, s37
; %bb.396:                              ;   in Loop: Header=BB147_3 Depth=1
	v_pk_add_f32 v[48:49], v[46:47], 0 neg_lo:[1,1] neg_hi:[1,1]
	ds_store_b64 v65, v[48:49]
; %bb.397:                              ;   in Loop: Header=BB147_3 Depth=1
	s_or_b32 exec_lo, exec_lo, s12
	s_wait_dscnt 0x0
	s_barrier_signal -1
	s_barrier_wait -1
	s_and_saveexec_b32 s12, s38
	s_cbranch_execz .LBB147_399
; %bb.398:                              ;   in Loop: Header=BB147_3 Depth=1
	ds_load_b64 v[48:49], v66 offset:18176
	ds_load_b64 v[100:101], v65
	s_wait_dscnt 0x0
	v_pk_mul_f32 v[102:103], v[100:101], v[48:49] op_sel:[1,1] op_sel_hi:[0,1]
	s_delay_alu instid0(VALU_DEP_1) | instskip(SKIP_1) | instid1(VALU_DEP_2)
	v_pk_fma_f32 v[104:105], v[100:101], v[48:49], v[102:103] op_sel_hi:[1,0,1]
	v_pk_fma_f32 v[48:49], v[100:101], v[48:49], v[102:103] neg_lo:[0,0,1] neg_hi:[0,0,1]
	v_mov_b32_e32 v49, v105
	s_delay_alu instid0(VALU_DEP_1)
	v_pk_add_f32 v[46:47], v[46:47], v[48:49] neg_lo:[0,1] neg_hi:[0,1]
.LBB147_399:                            ;   in Loop: Header=BB147_3 Depth=1
	s_or_b32 exec_lo, exec_lo, s12
	s_barrier_signal -1
	s_barrier_wait -1
	s_and_saveexec_b32 s12, s39
; %bb.400:                              ;   in Loop: Header=BB147_3 Depth=1
	v_pk_add_f32 v[48:49], v[46:47], 0 neg_lo:[1,1] neg_hi:[1,1]
	ds_store_b64 v65, v[48:49]
; %bb.401:                              ;   in Loop: Header=BB147_3 Depth=1
	s_or_b32 exec_lo, exec_lo, s12
	s_wait_dscnt 0x0
	s_barrier_signal -1
	s_barrier_wait -1
	s_and_saveexec_b32 s12, s40
	;; [unrolled: 26-line block ×3, first 2 shown]
	s_cbranch_execz .LBB147_407
; %bb.406:                              ;   in Loop: Header=BB147_3 Depth=1
	ds_load_b64 v[48:49], v1 offset:17152
	ds_load_b64 v[100:101], v65
	s_wait_dscnt 0x0
	v_pk_mul_f32 v[102:103], v[100:101], v[48:49] op_sel:[1,1] op_sel_hi:[0,1]
	s_delay_alu instid0(VALU_DEP_1) | instskip(SKIP_1) | instid1(VALU_DEP_2)
	v_pk_fma_f32 v[104:105], v[100:101], v[48:49], v[102:103] op_sel_hi:[1,0,1]
	v_pk_fma_f32 v[48:49], v[100:101], v[48:49], v[102:103] neg_lo:[0,0,1] neg_hi:[0,0,1]
	v_mov_b32_e32 v49, v105
	s_delay_alu instid0(VALU_DEP_1)
	v_pk_add_f32 v[46:47], v[46:47], v[48:49] neg_lo:[0,1] neg_hi:[0,1]
.LBB147_407:                            ;   in Loop: Header=BB147_3 Depth=1
	s_or_b32 exec_lo, exec_lo, s12
	s_barrier_signal -1
	s_barrier_wait -1
	s_and_saveexec_b32 s12, s42
; %bb.408:                              ;   in Loop: Header=BB147_3 Depth=1
	v_pk_add_f32 v[48:49], v[46:47], 0 neg_lo:[1,1] neg_hi:[1,1]
	ds_store_b64 v65, v[48:49]
; %bb.409:                              ;   in Loop: Header=BB147_3 Depth=1
	s_or_b32 exec_lo, exec_lo, s12
	s_wait_dscnt 0x0
	s_barrier_signal -1
	s_barrier_wait -1
	s_barrier_signal -1
	s_barrier_wait -1
	s_and_saveexec_b32 s12, s4
; %bb.410:                              ;   in Loop: Header=BB147_3 Depth=1
	ds_store_b64 v71, v[46:47] offset:24320
; %bb.411:                              ;   in Loop: Header=BB147_3 Depth=1
	s_or_b32 exec_lo, exec_lo, s12
	s_wait_dscnt 0x0
	s_barrier_signal -1
	s_barrier_wait -1
	s_barrier_signal -1
	s_barrier_wait -1
	s_and_saveexec_b32 s12, s43
	s_cbranch_execz .LBB147_413
; %bb.412:                              ;   in Loop: Header=BB147_3 Depth=1
	ds_load_b64 v[46:47], v69 offset:20736
	s_wait_dscnt 0x0
	ds_store_b64 v70, v[46:47] offset:16704
	ds_load_b64 v[46:47], v69 offset:20744
	s_wait_dscnt 0x0
	ds_store_b64 v70, v[46:47] offset:17216
	;; [unrolled: 3-line block ×8, first 2 shown]
.LBB147_413:                            ;   in Loop: Header=BB147_3 Depth=1
	s_or_b32 exec_lo, exec_lo, s12
	s_wait_dscnt 0x0
	s_barrier_signal -1
	s_barrier_wait -1
	s_and_saveexec_b32 s12, s10
	s_cbranch_execz .LBB147_415
; %bb.414:                              ;   in Loop: Header=BB147_3 Depth=1
	ds_load_b64 v[46:47], v1 offset:20272
	v_add_nc_u32_e64 v0, 0x4800, 0
	ds_store_b64 v1, v[30:31] offset:20280
	s_wait_dscnt 0x1
	ds_store_2addr_b64 v0, v[30:31], v[46:47] offset0:166 offset1:167
.LBB147_415:                            ;   in Loop: Header=BB147_3 Depth=1
	s_or_b32 exec_lo, exec_lo, s12
	v_dual_mov_b32 v46, 0 :: v_dual_mov_b32 v47, 0
	s_wait_dscnt 0x0
	s_barrier_signal -1
	s_barrier_wait -1
	global_wb scope:SCOPE_DEV
	s_wait_storecnt 0x0
	global_inv scope:SCOPE_DEV
	s_and_saveexec_b32 s12, s1
	s_cbranch_execz .LBB147_419
; %bb.416:                              ;   in Loop: Header=BB147_3 Depth=1
	ds_load_b64 v[46:47], v52 offset:19744
	ds_load_b64 v[48:49], v53 offset:20272
	s_wait_dscnt 0x0
	v_pk_mul_f32 v[100:101], v[48:49], v[46:47] op_sel:[1,1] op_sel_hi:[0,1]
	s_delay_alu instid0(VALU_DEP_1) | instskip(SKIP_1) | instid1(VALU_DEP_2)
	v_pk_fma_f32 v[102:103], v[48:49], v[46:47], v[100:101] op_sel_hi:[1,0,1]
	v_pk_fma_f32 v[46:47], v[48:49], v[46:47], v[100:101] neg_lo:[0,0,1] neg_hi:[0,0,1]
	v_mov_b32_e32 v47, v103
	s_delay_alu instid0(VALU_DEP_1)
	v_pk_add_f32 v[46:47], v[46:47], 0 op_sel_hi:[1,0]
	s_and_saveexec_b32 s17, s13
	s_cbranch_execz .LBB147_418
; %bb.417:                              ;   in Loop: Header=BB147_3 Depth=1
	ds_load_b64 v[48:49], v70 offset:20256
	ds_load_b64 v[100:101], v1 offset:20280
	s_wait_dscnt 0x0
	v_pk_mul_f32 v[102:103], v[100:101], v[48:49] op_sel:[1,1] op_sel_hi:[0,1]
	s_delay_alu instid0(VALU_DEP_1) | instskip(SKIP_1) | instid1(VALU_DEP_2)
	v_pk_fma_f32 v[104:105], v[100:101], v[48:49], v[102:103] op_sel_hi:[1,0,1]
	v_pk_fma_f32 v[48:49], v[100:101], v[48:49], v[102:103] neg_lo:[0,0,1] neg_hi:[0,0,1]
	v_mov_b32_e32 v49, v105
	s_delay_alu instid0(VALU_DEP_1)
	v_pk_add_f32 v[46:47], v[46:47], v[48:49]
.LBB147_418:                            ;   in Loop: Header=BB147_3 Depth=1
	s_or_b32 exec_lo, exec_lo, s17
.LBB147_419:                            ;   in Loop: Header=BB147_3 Depth=1
	s_delay_alu instid0(SALU_CYCLE_1)
	s_or_b32 exec_lo, exec_lo, s12
	s_and_saveexec_b32 s12, s88
; %bb.420:                              ;   in Loop: Header=BB147_3 Depth=1
	s_delay_alu instid0(VALU_DEP_1)
	v_pk_add_f32 v[48:49], v[46:47], 0 neg_lo:[1,1] neg_hi:[1,1]
	ds_store_b64 v51, v[48:49]
; %bb.421:                              ;   in Loop: Header=BB147_3 Depth=1
	s_or_b32 exec_lo, exec_lo, s12
	s_wait_loadcnt_dscnt 0x0
	s_barrier_signal -1
	s_barrier_wait -1
	s_and_saveexec_b32 s12, s89
	s_cbranch_execz .LBB147_423
; %bb.422:                              ;   in Loop: Header=BB147_3 Depth=1
	ds_load_b64 v[48:49], v1 offset:19232
	ds_load_b64 v[100:101], v51
	s_wait_dscnt 0x0
	v_pk_mul_f32 v[102:103], v[100:101], v[48:49] op_sel_hi:[1,0]
	s_delay_alu instid0(VALU_DEP_1) | instskip(SKIP_1) | instid1(VALU_DEP_2)
	v_pk_fma_f32 v[104:105], v[100:101], v[48:49], v[102:103] op_sel:[1,1,0] op_sel_hi:[0,1,1]
	v_pk_fma_f32 v[48:49], v[100:101], v[48:49], v[102:103] op_sel:[1,1,0] op_sel_hi:[0,1,1] neg_lo:[0,0,1] neg_hi:[0,0,1]
	v_pk_add_f32 v[100:101], v[46:47], v[104:105] neg_lo:[0,1] neg_hi:[0,1]
	s_delay_alu instid0(VALU_DEP_2) | instskip(NEXT) | instid1(VALU_DEP_2)
	v_pk_add_f32 v[46:47], v[46:47], v[48:49]
	v_mov_b32_e32 v47, v101
.LBB147_423:                            ;   in Loop: Header=BB147_3 Depth=1
	s_or_b32 exec_lo, exec_lo, s12
	s_barrier_signal -1
	s_barrier_wait -1
	s_and_saveexec_b32 s12, s89
; %bb.424:                              ;   in Loop: Header=BB147_3 Depth=1
	v_pk_add_f32 v[48:49], v[46:47], 0 neg_lo:[1,1] neg_hi:[1,1]
	ds_store_b64 v51, v[48:49]
; %bb.425:                              ;   in Loop: Header=BB147_3 Depth=1
	s_or_b32 exec_lo, exec_lo, s12
	s_wait_dscnt 0x0
	s_barrier_signal -1
	s_barrier_wait -1
	s_barrier_signal -1
	s_barrier_wait -1
	s_and_saveexec_b32 s12, s1
; %bb.426:                              ;   in Loop: Header=BB147_3 Depth=1
	ds_store_b64 v55, v[46:47] offset:20256
; %bb.427:                              ;   in Loop: Header=BB147_3 Depth=1
	s_or_b32 exec_lo, exec_lo, s12
	s_wait_dscnt 0x0
	s_barrier_signal -1
	s_barrier_wait -1
	s_barrier_signal -1
	s_barrier_wait -1
	s_and_saveexec_b32 s12, s90
	s_cbranch_execz .LBB147_429
; %bb.428:                              ;   in Loop: Header=BB147_3 Depth=1
	ds_load_b64 v[46:47], v72 offset:19744
	s_wait_dscnt 0x0
	ds_store_b64 v70, v[46:47] offset:18736
	ds_load_b64 v[46:47], v72 offset:19752
	s_wait_dscnt 0x0
	ds_store_b64 v70, v[46:47] offset:19248
.LBB147_429:                            ;   in Loop: Header=BB147_3 Depth=1
	s_or_b32 exec_lo, exec_lo, s12
	s_wait_dscnt 0x0
	s_barrier_signal -1
	s_barrier_wait -1
	s_and_saveexec_b32 s12, s10
	s_cbranch_execz .LBB147_431
; %bb.430:                              ;   in Loop: Header=BB147_3 Depth=1
	ds_load_b64 v[46:47], v1 offset:19232
	v_add_nc_u32_e64 v0, 0x4800, 0
	ds_store_b64 v1, v[30:31] offset:19240
	s_wait_dscnt 0x1
	ds_store_2addr_b64 v0, v[30:31], v[46:47] offset0:36 offset1:37
.LBB147_431:                            ;   in Loop: Header=BB147_3 Depth=1
	s_or_b32 exec_lo, exec_lo, s12
	v_mov_b64_e32 v[46:47], 0
	s_wait_dscnt 0x0
	s_barrier_signal -1
	s_barrier_wait -1
	global_wb scope:SCOPE_DEV
	s_wait_storecnt 0x0
	global_inv scope:SCOPE_DEV
	s_and_saveexec_b32 s12, s3
	s_cbranch_execz .LBB147_437
; %bb.432:                              ;   in Loop: Header=BB147_3 Depth=1
	ds_load_b64 v[46:47], v58 offset:18688
	ds_load_b64 v[48:49], v59 offset:20256
	s_wait_dscnt 0x0
	v_dual_mul_f32 v0, v49, v47 :: v_dual_mul_f32 v27, v48, v47
	s_delay_alu instid0(VALU_DEP_1) | instskip(NEXT) | instid1(VALU_DEP_1)
	v_dual_fma_f32 v0, v48, v46, -v0 :: v_dual_fmac_f32 v27, v49, v46
	v_dual_add_f32 v46, 0, v0 :: v_dual_add_f32 v47, 0, v27
	s_and_saveexec_b32 s17, s14
	s_cbranch_execnz .LBB147_1098
; %bb.433:                              ;   in Loop: Header=BB147_3 Depth=1
	s_or_b32 exec_lo, exec_lo, s17
	s_and_saveexec_b32 s17, s15
	s_cbranch_execnz .LBB147_1099
.LBB147_434:                            ;   in Loop: Header=BB147_3 Depth=1
	s_or_b32 exec_lo, exec_lo, s17
	s_and_saveexec_b32 s17, s1
	s_cbranch_execz .LBB147_436
.LBB147_435:                            ;   in Loop: Header=BB147_3 Depth=1
	ds_load_b64 v[48:49], v3 offset:20224
	ds_load_b64 v[100:101], v1 offset:20280
	s_wait_dscnt 0x0
	v_pk_mul_f32 v[102:103], v[100:101], v[48:49] op_sel:[1,1] op_sel_hi:[0,1]
	s_delay_alu instid0(VALU_DEP_1) | instskip(SKIP_1) | instid1(VALU_DEP_2)
	v_pk_fma_f32 v[104:105], v[100:101], v[48:49], v[102:103] op_sel_hi:[1,0,1]
	v_pk_fma_f32 v[48:49], v[100:101], v[48:49], v[102:103] neg_lo:[0,0,1] neg_hi:[0,0,1]
	v_mov_b32_e32 v49, v105
	s_delay_alu instid0(VALU_DEP_1)
	v_pk_add_f32 v[46:47], v[46:47], v[48:49]
.LBB147_436:                            ;   in Loop: Header=BB147_3 Depth=1
	s_or_b32 exec_lo, exec_lo, s17
.LBB147_437:                            ;   in Loop: Header=BB147_3 Depth=1
	s_delay_alu instid0(SALU_CYCLE_1)
	s_or_b32 exec_lo, exec_lo, s12
	s_and_saveexec_b32 s12, s91
; %bb.438:                              ;   in Loop: Header=BB147_3 Depth=1
	s_delay_alu instid0(VALU_DEP_1)
	v_pk_add_f32 v[48:49], v[46:47], 0 neg_lo:[1,1] neg_hi:[1,1]
	ds_store_b64 v57, v[48:49]
; %bb.439:                              ;   in Loop: Header=BB147_3 Depth=1
	s_or_b32 exec_lo, exec_lo, s12
	s_wait_loadcnt_dscnt 0x0
	s_barrier_signal -1
	s_barrier_wait -1
	s_and_saveexec_b32 s12, s92
	s_cbranch_execz .LBB147_441
; %bb.440:                              ;   in Loop: Header=BB147_3 Depth=1
	ds_load_b64 v[48:49], v58 offset:18176
	ds_load_b64 v[100:101], v57
	s_wait_dscnt 0x0
	v_pk_mul_f32 v[102:103], v[100:101], v[48:49] op_sel:[1,1] op_sel_hi:[0,1]
	s_delay_alu instid0(VALU_DEP_1) | instskip(SKIP_1) | instid1(VALU_DEP_2)
	v_pk_fma_f32 v[104:105], v[100:101], v[48:49], v[102:103] op_sel_hi:[1,0,1]
	v_pk_fma_f32 v[48:49], v[100:101], v[48:49], v[102:103] neg_lo:[0,0,1] neg_hi:[0,0,1]
	v_mov_b32_e32 v49, v105
	s_delay_alu instid0(VALU_DEP_1)
	v_pk_add_f32 v[46:47], v[46:47], v[48:49] neg_lo:[0,1] neg_hi:[0,1]
.LBB147_441:                            ;   in Loop: Header=BB147_3 Depth=1
	s_or_b32 exec_lo, exec_lo, s12
	s_barrier_signal -1
	s_barrier_wait -1
	s_and_saveexec_b32 s12, s93
; %bb.442:                              ;   in Loop: Header=BB147_3 Depth=1
	v_pk_add_f32 v[48:49], v[46:47], 0 neg_lo:[1,1] neg_hi:[1,1]
	ds_store_b64 v57, v[48:49]
; %bb.443:                              ;   in Loop: Header=BB147_3 Depth=1
	s_or_b32 exec_lo, exec_lo, s12
	s_wait_dscnt 0x0
	s_barrier_signal -1
	s_barrier_wait -1
	s_and_saveexec_b32 s12, s94
	s_cbranch_execz .LBB147_445
; %bb.444:                              ;   in Loop: Header=BB147_3 Depth=1
	ds_load_b64 v[48:49], v58 offset:17664
	ds_load_b64 v[100:101], v57
	s_wait_dscnt 0x0
	v_pk_mul_f32 v[102:103], v[100:101], v[48:49] op_sel:[1,1] op_sel_hi:[0,1]
	s_delay_alu instid0(VALU_DEP_1) | instskip(SKIP_1) | instid1(VALU_DEP_2)
	v_pk_fma_f32 v[104:105], v[100:101], v[48:49], v[102:103] op_sel_hi:[1,0,1]
	v_pk_fma_f32 v[48:49], v[100:101], v[48:49], v[102:103] neg_lo:[0,0,1] neg_hi:[0,0,1]
	v_mov_b32_e32 v49, v105
	s_delay_alu instid0(VALU_DEP_1)
	v_pk_add_f32 v[46:47], v[46:47], v[48:49] neg_lo:[0,1] neg_hi:[0,1]
.LBB147_445:                            ;   in Loop: Header=BB147_3 Depth=1
	s_or_b32 exec_lo, exec_lo, s12
	s_barrier_signal -1
	s_barrier_wait -1
	s_and_saveexec_b32 s12, s95
; %bb.446:                              ;   in Loop: Header=BB147_3 Depth=1
	v_pk_add_f32 v[48:49], v[46:47], 0 neg_lo:[1,1] neg_hi:[1,1]
	ds_store_b64 v57, v[48:49]
; %bb.447:                              ;   in Loop: Header=BB147_3 Depth=1
	s_or_b32 exec_lo, exec_lo, s12
	s_wait_dscnt 0x0
	;; [unrolled: 26-line block ×3, first 2 shown]
	s_barrier_signal -1
	s_barrier_wait -1
	s_barrier_signal -1
	s_barrier_wait -1
	s_and_saveexec_b32 s12, s3
; %bb.452:                              ;   in Loop: Header=BB147_3 Depth=1
	ds_store_b64 v62, v[46:47] offset:20224
; %bb.453:                              ;   in Loop: Header=BB147_3 Depth=1
	s_or_b32 exec_lo, exec_lo, s12
	s_wait_dscnt 0x0
	s_barrier_signal -1
	s_barrier_wait -1
	s_barrier_signal -1
	s_barrier_wait -1
	s_and_saveexec_b32 s12, s97
	s_cbranch_execz .LBB147_455
; %bb.454:                              ;   in Loop: Header=BB147_3 Depth=1
	ds_load_b64 v[46:47], v7 offset:18688
	s_wait_dscnt 0x0
	ds_store_b64 v83, v[46:47] offset:16672
	ds_load_b64 v[46:47], v7 offset:18696
	s_wait_dscnt 0x0
	ds_store_b64 v83, v[46:47] offset:17184
	;; [unrolled: 3-line block ×4, first 2 shown]
.LBB147_455:                            ;   in Loop: Header=BB147_3 Depth=1
	s_or_b32 exec_lo, exec_lo, s12
	s_wait_dscnt 0x0
	s_barrier_signal -1
	s_barrier_wait -1
	s_and_saveexec_b32 s12, s10
	s_cbranch_execz .LBB147_457
; %bb.456:                              ;   in Loop: Header=BB147_3 Depth=1
	ds_load_b64 v[46:47], v1 offset:18192
	v_add_nc_u32_e64 v0, 0x4000, 0
	ds_store_b64 v1, v[30:31] offset:18200
	s_wait_dscnt 0x1
	ds_store_2addr_b64 v0, v[30:31], v[46:47] offset0:162 offset1:163
.LBB147_457:                            ;   in Loop: Header=BB147_3 Depth=1
	s_or_b32 exec_lo, exec_lo, s12
	v_dual_mov_b32 v46, 0 :: v_dual_mov_b32 v47, 0
	s_wait_dscnt 0x0
	s_barrier_signal -1
	s_barrier_wait -1
	global_wb scope:SCOPE_DEV
	s_wait_storecnt 0x0
	global_inv scope:SCOPE_DEV
	s_and_saveexec_b32 s12, s1
	s_cbranch_execz .LBB147_461
; %bb.458:                              ;   in Loop: Header=BB147_3 Depth=1
	ds_load_b64 v[46:47], v52 offset:17664
	ds_load_b64 v[48:49], v53 offset:18192
	s_wait_dscnt 0x0
	v_pk_mul_f32 v[100:101], v[48:49], v[46:47] op_sel:[1,1] op_sel_hi:[0,1]
	s_delay_alu instid0(VALU_DEP_1) | instskip(SKIP_1) | instid1(VALU_DEP_2)
	v_pk_fma_f32 v[102:103], v[48:49], v[46:47], v[100:101] op_sel_hi:[1,0,1]
	v_pk_fma_f32 v[46:47], v[48:49], v[46:47], v[100:101] neg_lo:[0,0,1] neg_hi:[0,0,1]
	v_mov_b32_e32 v47, v103
	s_delay_alu instid0(VALU_DEP_1)
	v_pk_add_f32 v[46:47], v[46:47], 0 op_sel_hi:[1,0]
	s_and_saveexec_b32 s17, s13
	s_cbranch_execz .LBB147_460
; %bb.459:                              ;   in Loop: Header=BB147_3 Depth=1
	ds_load_b64 v[48:49], v83 offset:18176
	ds_load_b64 v[100:101], v1 offset:18200
	s_wait_dscnt 0x0
	v_pk_mul_f32 v[102:103], v[100:101], v[48:49] op_sel:[1,1] op_sel_hi:[0,1]
	s_delay_alu instid0(VALU_DEP_1) | instskip(SKIP_1) | instid1(VALU_DEP_2)
	v_pk_fma_f32 v[104:105], v[100:101], v[48:49], v[102:103] op_sel_hi:[1,0,1]
	v_pk_fma_f32 v[48:49], v[100:101], v[48:49], v[102:103] neg_lo:[0,0,1] neg_hi:[0,0,1]
	v_mov_b32_e32 v49, v105
	s_delay_alu instid0(VALU_DEP_1)
	v_pk_add_f32 v[46:47], v[46:47], v[48:49]
.LBB147_460:                            ;   in Loop: Header=BB147_3 Depth=1
	s_or_b32 exec_lo, exec_lo, s17
.LBB147_461:                            ;   in Loop: Header=BB147_3 Depth=1
	s_delay_alu instid0(SALU_CYCLE_1)
	s_or_b32 exec_lo, exec_lo, s12
	s_and_saveexec_b32 s12, s88
; %bb.462:                              ;   in Loop: Header=BB147_3 Depth=1
	s_delay_alu instid0(VALU_DEP_1)
	v_pk_add_f32 v[48:49], v[46:47], 0 neg_lo:[1,1] neg_hi:[1,1]
	ds_store_b64 v51, v[48:49]
; %bb.463:                              ;   in Loop: Header=BB147_3 Depth=1
	s_or_b32 exec_lo, exec_lo, s12
	s_wait_loadcnt_dscnt 0x0
	s_barrier_signal -1
	s_barrier_wait -1
	s_and_saveexec_b32 s12, s89
	s_cbranch_execz .LBB147_465
; %bb.464:                              ;   in Loop: Header=BB147_3 Depth=1
	ds_load_b64 v[48:49], v1 offset:17152
	ds_load_b64 v[100:101], v51
	s_wait_dscnt 0x0
	v_pk_mul_f32 v[102:103], v[100:101], v[48:49] op_sel_hi:[1,0]
	s_delay_alu instid0(VALU_DEP_1) | instskip(SKIP_1) | instid1(VALU_DEP_2)
	v_pk_fma_f32 v[104:105], v[100:101], v[48:49], v[102:103] op_sel:[1,1,0] op_sel_hi:[0,1,1]
	v_pk_fma_f32 v[48:49], v[100:101], v[48:49], v[102:103] op_sel:[1,1,0] op_sel_hi:[0,1,1] neg_lo:[0,0,1] neg_hi:[0,0,1]
	v_pk_add_f32 v[100:101], v[46:47], v[104:105] neg_lo:[0,1] neg_hi:[0,1]
	s_delay_alu instid0(VALU_DEP_2) | instskip(NEXT) | instid1(VALU_DEP_2)
	v_pk_add_f32 v[46:47], v[46:47], v[48:49]
	v_mov_b32_e32 v47, v101
.LBB147_465:                            ;   in Loop: Header=BB147_3 Depth=1
	s_or_b32 exec_lo, exec_lo, s12
	s_barrier_signal -1
	s_barrier_wait -1
	s_and_saveexec_b32 s12, s89
; %bb.466:                              ;   in Loop: Header=BB147_3 Depth=1
	v_pk_add_f32 v[48:49], v[46:47], 0 neg_lo:[1,1] neg_hi:[1,1]
	ds_store_b64 v51, v[48:49]
; %bb.467:                              ;   in Loop: Header=BB147_3 Depth=1
	s_or_b32 exec_lo, exec_lo, s12
	s_wait_dscnt 0x0
	s_barrier_signal -1
	s_barrier_wait -1
	s_barrier_signal -1
	s_barrier_wait -1
	s_and_saveexec_b32 s12, s1
; %bb.468:                              ;   in Loop: Header=BB147_3 Depth=1
	ds_store_b64 v55, v[46:47] offset:18176
; %bb.469:                              ;   in Loop: Header=BB147_3 Depth=1
	s_or_b32 exec_lo, exec_lo, s12
	s_wait_dscnt 0x0
	s_barrier_signal -1
	s_barrier_wait -1
	s_barrier_signal -1
	s_barrier_wait -1
	s_and_saveexec_b32 s12, s90
	s_cbranch_execz .LBB147_471
; %bb.470:                              ;   in Loop: Header=BB147_3 Depth=1
	ds_load_b64 v[46:47], v87 offset:17664
	s_wait_dscnt 0x0
	ds_store_b64 v83, v[46:47] offset:16656
	ds_load_b64 v[46:47], v87 offset:17672
	s_wait_dscnt 0x0
	ds_store_b64 v83, v[46:47] offset:17168
.LBB147_471:                            ;   in Loop: Header=BB147_3 Depth=1
	s_or_b32 exec_lo, exec_lo, s12
	s_wait_dscnt 0x0
	s_barrier_signal -1
	s_barrier_wait -1
	s_and_saveexec_b32 s12, s10
	s_cbranch_execz .LBB147_473
; %bb.472:                              ;   in Loop: Header=BB147_3 Depth=1
	ds_load_b64 v[46:47], v1 offset:17152
	v_add_nc_u32_e64 v0, 0x4000, 0
	ds_store_b64 v1, v[30:31] offset:17160
	s_wait_dscnt 0x1
	ds_store_2addr_b64 v0, v[30:31], v[46:47] offset0:32 offset1:33
.LBB147_473:                            ;   in Loop: Header=BB147_3 Depth=1
	s_or_b32 exec_lo, exec_lo, s12
	v_mov_b64_e32 v[46:47], 0
	s_wait_dscnt 0x0
	s_barrier_signal -1
	s_barrier_wait -1
	global_wb scope:SCOPE_DEV
	s_wait_storecnt 0x0
	global_inv scope:SCOPE_DEV
	s_and_saveexec_b32 s61, s34
	s_cbranch_execz .LBB147_535
; %bb.474:                              ;   in Loop: Header=BB147_3 Depth=1
	ds_load_b64 v[46:47], v78 offset:16384
	ds_load_b64 v[48:49], v80 offset:32512
	s_wait_dscnt 0x0
	v_dual_mul_f32 v0, v49, v47 :: v_dual_mul_f32 v27, v48, v47
	s_delay_alu instid0(VALU_DEP_1) | instskip(NEXT) | instid1(VALU_DEP_1)
	v_dual_fma_f32 v0, v48, v46, -v0 :: v_dual_fmac_f32 v27, v49, v46
	v_dual_add_f32 v46, 0, v0 :: v_dual_add_f32 v47, 0, v27
	s_mov_b32 s12, exec_lo
	v_readlane_b32 s17, v112, 0
	s_and_b32 s17, s12, s17
	s_delay_alu instid0(SALU_CYCLE_1)
	s_mov_b32 exec_lo, s17
	s_cbranch_execz .LBB147_476
; %bb.475:                              ;   in Loop: Header=BB147_3 Depth=1
	ds_load_b64 v[48:49], v78 offset:16896
	ds_load_b64 v[100:101], v80 offset:32520
	s_wait_dscnt 0x0
	v_dual_mul_f32 v0, v101, v49 :: v_dual_mul_f32 v27, v100, v49
	s_delay_alu instid0(VALU_DEP_1) | instskip(NEXT) | instid1(VALU_DEP_1)
	v_dual_fma_f32 v0, v100, v48, -v0 :: v_dual_fmac_f32 v27, v101, v48
	v_dual_add_f32 v46, v46, v0 :: v_dual_add_f32 v47, v47, v27
.LBB147_476:                            ;   in Loop: Header=BB147_3 Depth=1
	s_or_b32 exec_lo, exec_lo, s12
	s_delay_alu instid0(SALU_CYCLE_1) | instskip(SKIP_2) | instid1(SALU_CYCLE_1)
	s_mov_b32 s12, exec_lo
	v_readlane_b32 s17, v112, 1
	s_and_b32 s17, s12, s17
	s_mov_b32 exec_lo, s17
	s_cbranch_execz .LBB147_478
; %bb.477:                              ;   in Loop: Header=BB147_3 Depth=1
	ds_load_b64 v[48:49], v78 offset:17408
	ds_load_b64 v[100:101], v80 offset:32528
	s_wait_dscnt 0x0
	v_dual_mul_f32 v0, v101, v49 :: v_dual_mul_f32 v27, v100, v49
	s_delay_alu instid0(VALU_DEP_1) | instskip(NEXT) | instid1(VALU_DEP_1)
	v_dual_fma_f32 v0, v100, v48, -v0 :: v_dual_fmac_f32 v27, v101, v48
	v_dual_add_f32 v46, v46, v0 :: v_dual_add_f32 v47, v47, v27
.LBB147_478:                            ;   in Loop: Header=BB147_3 Depth=1
	s_or_b32 exec_lo, exec_lo, s12
	s_delay_alu instid0(SALU_CYCLE_1) | instskip(SKIP_2) | instid1(SALU_CYCLE_1)
	s_mov_b32 s12, exec_lo
	v_readlane_b32 s17, v112, 2
	s_and_b32 s17, s12, s17
	s_mov_b32 exec_lo, s17
	s_cbranch_execz .LBB147_480
; %bb.479:                              ;   in Loop: Header=BB147_3 Depth=1
	ds_load_b64 v[48:49], v78 offset:17920
	ds_load_b64 v[100:101], v80 offset:32536
	s_wait_dscnt 0x0
	v_dual_mul_f32 v0, v101, v49 :: v_dual_mul_f32 v27, v100, v49
	s_delay_alu instid0(VALU_DEP_1) | instskip(NEXT) | instid1(VALU_DEP_1)
	v_dual_fma_f32 v0, v100, v48, -v0 :: v_dual_fmac_f32 v27, v101, v48
	v_dual_add_f32 v46, v46, v0 :: v_dual_add_f32 v47, v47, v27
.LBB147_480:                            ;   in Loop: Header=BB147_3 Depth=1
	s_or_b32 exec_lo, exec_lo, s12
	s_delay_alu instid0(SALU_CYCLE_1) | instskip(SKIP_2) | instid1(SALU_CYCLE_1)
	s_mov_b32 s12, exec_lo
	v_readlane_b32 s17, v112, 3
	s_and_b32 s17, s12, s17
	s_mov_b32 exec_lo, s17
	s_cbranch_execz .LBB147_482
; %bb.481:                              ;   in Loop: Header=BB147_3 Depth=1
	ds_load_b64 v[48:49], v78 offset:18432
	ds_load_b64 v[100:101], v80 offset:32544
	s_wait_dscnt 0x0
	v_dual_mul_f32 v0, v101, v49 :: v_dual_mul_f32 v27, v100, v49
	s_delay_alu instid0(VALU_DEP_1) | instskip(NEXT) | instid1(VALU_DEP_1)
	v_dual_fma_f32 v0, v100, v48, -v0 :: v_dual_fmac_f32 v27, v101, v48
	v_dual_add_f32 v46, v46, v0 :: v_dual_add_f32 v47, v47, v27
.LBB147_482:                            ;   in Loop: Header=BB147_3 Depth=1
	s_or_b32 exec_lo, exec_lo, s12
	s_delay_alu instid0(SALU_CYCLE_1) | instskip(SKIP_2) | instid1(SALU_CYCLE_1)
	s_mov_b32 s12, exec_lo
	v_readlane_b32 s17, v112, 4
	s_and_b32 s17, s12, s17
	s_mov_b32 exec_lo, s17
	s_cbranch_execz .LBB147_484
; %bb.483:                              ;   in Loop: Header=BB147_3 Depth=1
	ds_load_b64 v[48:49], v78 offset:18944
	ds_load_b64 v[100:101], v80 offset:32552
	s_wait_dscnt 0x0
	v_dual_mul_f32 v0, v101, v49 :: v_dual_mul_f32 v27, v100, v49
	s_delay_alu instid0(VALU_DEP_1) | instskip(NEXT) | instid1(VALU_DEP_1)
	v_dual_fma_f32 v0, v100, v48, -v0 :: v_dual_fmac_f32 v27, v101, v48
	v_dual_add_f32 v46, v46, v0 :: v_dual_add_f32 v47, v47, v27
.LBB147_484:                            ;   in Loop: Header=BB147_3 Depth=1
	s_or_b32 exec_lo, exec_lo, s12
	s_delay_alu instid0(SALU_CYCLE_1) | instskip(SKIP_2) | instid1(SALU_CYCLE_1)
	s_mov_b32 s12, exec_lo
	v_readlane_b32 s17, v112, 5
	s_and_b32 s17, s12, s17
	s_mov_b32 exec_lo, s17
	s_cbranch_execz .LBB147_486
; %bb.485:                              ;   in Loop: Header=BB147_3 Depth=1
	ds_load_b64 v[48:49], v78 offset:19456
	ds_load_b64 v[100:101], v80 offset:32560
	s_wait_dscnt 0x0
	v_dual_mul_f32 v0, v101, v49 :: v_dual_mul_f32 v27, v100, v49
	s_delay_alu instid0(VALU_DEP_1) | instskip(NEXT) | instid1(VALU_DEP_1)
	v_dual_fma_f32 v0, v100, v48, -v0 :: v_dual_fmac_f32 v27, v101, v48
	v_dual_add_f32 v46, v46, v0 :: v_dual_add_f32 v47, v47, v27
.LBB147_486:                            ;   in Loop: Header=BB147_3 Depth=1
	s_or_b32 exec_lo, exec_lo, s12
	s_delay_alu instid0(SALU_CYCLE_1) | instskip(SKIP_2) | instid1(SALU_CYCLE_1)
	s_mov_b32 s12, exec_lo
	v_readlane_b32 s17, v112, 6
	s_and_b32 s17, s12, s17
	s_mov_b32 exec_lo, s17
	s_cbranch_execz .LBB147_488
; %bb.487:                              ;   in Loop: Header=BB147_3 Depth=1
	ds_load_b64 v[48:49], v78 offset:19968
	ds_load_b64 v[100:101], v80 offset:32568
	s_wait_dscnt 0x0
	v_dual_mul_f32 v0, v101, v49 :: v_dual_mul_f32 v27, v100, v49
	s_delay_alu instid0(VALU_DEP_1) | instskip(NEXT) | instid1(VALU_DEP_1)
	v_dual_fma_f32 v0, v100, v48, -v0 :: v_dual_fmac_f32 v27, v101, v48
	v_dual_add_f32 v46, v46, v0 :: v_dual_add_f32 v47, v47, v27
.LBB147_488:                            ;   in Loop: Header=BB147_3 Depth=1
	s_or_b32 exec_lo, exec_lo, s12
	s_delay_alu instid0(SALU_CYCLE_1) | instskip(SKIP_2) | instid1(SALU_CYCLE_1)
	s_mov_b32 s12, exec_lo
	v_readlane_b32 s17, v112, 7
	s_and_b32 s17, s12, s17
	s_mov_b32 exec_lo, s17
	s_cbranch_execz .LBB147_490
; %bb.489:                              ;   in Loop: Header=BB147_3 Depth=1
	ds_load_b64 v[48:49], v78 offset:20480
	ds_load_b64 v[100:101], v80 offset:32576
	s_wait_dscnt 0x0
	v_dual_mul_f32 v0, v101, v49 :: v_dual_mul_f32 v27, v100, v49
	s_delay_alu instid0(VALU_DEP_1) | instskip(NEXT) | instid1(VALU_DEP_1)
	v_dual_fma_f32 v0, v100, v48, -v0 :: v_dual_fmac_f32 v27, v101, v48
	v_dual_add_f32 v46, v46, v0 :: v_dual_add_f32 v47, v47, v27
.LBB147_490:                            ;   in Loop: Header=BB147_3 Depth=1
	s_or_b32 exec_lo, exec_lo, s12
	s_delay_alu instid0(SALU_CYCLE_1) | instskip(SKIP_2) | instid1(SALU_CYCLE_1)
	s_mov_b32 s12, exec_lo
	v_readlane_b32 s17, v112, 9
	s_and_b32 s17, s12, s17
	s_mov_b32 exec_lo, s17
	s_cbranch_execz .LBB147_492
; %bb.491:                              ;   in Loop: Header=BB147_3 Depth=1
	ds_load_b64 v[48:49], v78 offset:20992
	ds_load_b64 v[100:101], v80 offset:32584
	s_wait_dscnt 0x0
	v_dual_mul_f32 v0, v101, v49 :: v_dual_mul_f32 v27, v100, v49
	s_delay_alu instid0(VALU_DEP_1) | instskip(NEXT) | instid1(VALU_DEP_1)
	v_dual_fma_f32 v0, v100, v48, -v0 :: v_dual_fmac_f32 v27, v101, v48
	v_dual_add_f32 v46, v46, v0 :: v_dual_add_f32 v47, v47, v27
.LBB147_492:                            ;   in Loop: Header=BB147_3 Depth=1
	s_or_b32 exec_lo, exec_lo, s12
	s_delay_alu instid0(SALU_CYCLE_1) | instskip(SKIP_2) | instid1(SALU_CYCLE_1)
	s_mov_b32 s12, exec_lo
	v_readlane_b32 s17, v112, 10
	s_and_b32 s17, s12, s17
	s_mov_b32 exec_lo, s17
	s_cbranch_execz .LBB147_494
; %bb.493:                              ;   in Loop: Header=BB147_3 Depth=1
	ds_load_b64 v[48:49], v78 offset:21504
	ds_load_b64 v[100:101], v80 offset:32592
	s_wait_dscnt 0x0
	v_dual_mul_f32 v0, v101, v49 :: v_dual_mul_f32 v27, v100, v49
	s_delay_alu instid0(VALU_DEP_1) | instskip(NEXT) | instid1(VALU_DEP_1)
	v_dual_fma_f32 v0, v100, v48, -v0 :: v_dual_fmac_f32 v27, v101, v48
	v_dual_add_f32 v46, v46, v0 :: v_dual_add_f32 v47, v47, v27
.LBB147_494:                            ;   in Loop: Header=BB147_3 Depth=1
	s_or_b32 exec_lo, exec_lo, s12
	s_delay_alu instid0(SALU_CYCLE_1) | instskip(SKIP_2) | instid1(SALU_CYCLE_1)
	s_mov_b32 s12, exec_lo
	v_readlane_b32 s17, v112, 11
	s_and_b32 s17, s12, s17
	s_mov_b32 exec_lo, s17
	s_cbranch_execz .LBB147_496
; %bb.495:                              ;   in Loop: Header=BB147_3 Depth=1
	ds_load_b64 v[48:49], v78 offset:22016
	ds_load_b64 v[100:101], v80 offset:32600
	s_wait_dscnt 0x0
	v_dual_mul_f32 v0, v101, v49 :: v_dual_mul_f32 v27, v100, v49
	s_delay_alu instid0(VALU_DEP_1) | instskip(NEXT) | instid1(VALU_DEP_1)
	v_dual_fma_f32 v0, v100, v48, -v0 :: v_dual_fmac_f32 v27, v101, v48
	v_dual_add_f32 v46, v46, v0 :: v_dual_add_f32 v47, v47, v27
.LBB147_496:                            ;   in Loop: Header=BB147_3 Depth=1
	s_or_b32 exec_lo, exec_lo, s12
	s_delay_alu instid0(SALU_CYCLE_1) | instskip(SKIP_2) | instid1(SALU_CYCLE_1)
	s_mov_b32 s12, exec_lo
	v_readlane_b32 s17, v112, 12
	s_and_b32 s17, s12, s17
	s_mov_b32 exec_lo, s17
	s_cbranch_execz .LBB147_498
; %bb.497:                              ;   in Loop: Header=BB147_3 Depth=1
	ds_load_b64 v[48:49], v78 offset:22528
	ds_load_b64 v[100:101], v80 offset:32608
	s_wait_dscnt 0x0
	v_dual_mul_f32 v0, v101, v49 :: v_dual_mul_f32 v27, v100, v49
	s_delay_alu instid0(VALU_DEP_1) | instskip(NEXT) | instid1(VALU_DEP_1)
	v_dual_fma_f32 v0, v100, v48, -v0 :: v_dual_fmac_f32 v27, v101, v48
	v_dual_add_f32 v46, v46, v0 :: v_dual_add_f32 v47, v47, v27
.LBB147_498:                            ;   in Loop: Header=BB147_3 Depth=1
	s_or_b32 exec_lo, exec_lo, s12
	s_delay_alu instid0(SALU_CYCLE_1) | instskip(SKIP_2) | instid1(SALU_CYCLE_1)
	s_mov_b32 s12, exec_lo
	v_readlane_b32 s17, v112, 13
	s_and_b32 s17, s12, s17
	s_mov_b32 exec_lo, s17
	s_cbranch_execz .LBB147_500
; %bb.499:                              ;   in Loop: Header=BB147_3 Depth=1
	ds_load_b64 v[48:49], v78 offset:23040
	ds_load_b64 v[100:101], v80 offset:32616
	s_wait_dscnt 0x0
	v_dual_mul_f32 v0, v101, v49 :: v_dual_mul_f32 v27, v100, v49
	s_delay_alu instid0(VALU_DEP_1) | instskip(NEXT) | instid1(VALU_DEP_1)
	v_dual_fma_f32 v0, v100, v48, -v0 :: v_dual_fmac_f32 v27, v101, v48
	v_dual_add_f32 v46, v46, v0 :: v_dual_add_f32 v47, v47, v27
.LBB147_500:                            ;   in Loop: Header=BB147_3 Depth=1
	s_or_b32 exec_lo, exec_lo, s12
	s_delay_alu instid0(SALU_CYCLE_1) | instskip(SKIP_2) | instid1(SALU_CYCLE_1)
	s_mov_b32 s12, exec_lo
	v_readlane_b32 s17, v112, 14
	s_and_b32 s17, s12, s17
	s_mov_b32 exec_lo, s17
	s_cbranch_execz .LBB147_502
; %bb.501:                              ;   in Loop: Header=BB147_3 Depth=1
	ds_load_b64 v[48:49], v78 offset:23552
	ds_load_b64 v[100:101], v80 offset:32624
	s_wait_dscnt 0x0
	v_dual_mul_f32 v0, v101, v49 :: v_dual_mul_f32 v27, v100, v49
	s_delay_alu instid0(VALU_DEP_1) | instskip(NEXT) | instid1(VALU_DEP_1)
	v_dual_fma_f32 v0, v100, v48, -v0 :: v_dual_fmac_f32 v27, v101, v48
	v_dual_add_f32 v46, v46, v0 :: v_dual_add_f32 v47, v47, v27
.LBB147_502:                            ;   in Loop: Header=BB147_3 Depth=1
	s_or_b32 exec_lo, exec_lo, s12
	s_delay_alu instid0(SALU_CYCLE_1) | instskip(SKIP_2) | instid1(SALU_CYCLE_1)
	s_mov_b32 s12, exec_lo
	v_readlane_b32 s17, v112, 15
	s_and_b32 s17, s12, s17
	s_mov_b32 exec_lo, s17
	s_cbranch_execz .LBB147_504
; %bb.503:                              ;   in Loop: Header=BB147_3 Depth=1
	ds_load_b64 v[48:49], v78 offset:24064
	ds_load_b64 v[100:101], v80 offset:32632
	s_wait_dscnt 0x0
	v_dual_mul_f32 v0, v101, v49 :: v_dual_mul_f32 v27, v100, v49
	s_delay_alu instid0(VALU_DEP_1) | instskip(NEXT) | instid1(VALU_DEP_1)
	v_dual_fma_f32 v0, v100, v48, -v0 :: v_dual_fmac_f32 v27, v101, v48
	v_dual_add_f32 v46, v46, v0 :: v_dual_add_f32 v47, v47, v27
.LBB147_504:                            ;   in Loop: Header=BB147_3 Depth=1
	s_or_b32 exec_lo, exec_lo, s12
	s_delay_alu instid0(SALU_CYCLE_1) | instskip(SKIP_2) | instid1(SALU_CYCLE_1)
	s_mov_b32 s12, exec_lo
	v_readlane_b32 s17, v112, 16
	s_and_b32 s17, s12, s17
	s_mov_b32 exec_lo, s17
	s_cbranch_execz .LBB147_506
; %bb.505:                              ;   in Loop: Header=BB147_3 Depth=1
	ds_load_b64 v[48:49], v78 offset:24576
	ds_load_b64 v[100:101], v80 offset:32640
	s_wait_dscnt 0x0
	v_dual_mul_f32 v0, v101, v49 :: v_dual_mul_f32 v27, v100, v49
	s_delay_alu instid0(VALU_DEP_1) | instskip(NEXT) | instid1(VALU_DEP_1)
	v_dual_fma_f32 v0, v100, v48, -v0 :: v_dual_fmac_f32 v27, v101, v48
	v_dual_add_f32 v46, v46, v0 :: v_dual_add_f32 v47, v47, v27
.LBB147_506:                            ;   in Loop: Header=BB147_3 Depth=1
	s_or_b32 exec_lo, exec_lo, s12
	s_delay_alu instid0(SALU_CYCLE_1) | instskip(SKIP_2) | instid1(SALU_CYCLE_1)
	s_mov_b32 s12, exec_lo
	v_readlane_b32 s17, v112, 17
	s_and_b32 s17, s12, s17
	s_mov_b32 exec_lo, s17
	s_cbranch_execz .LBB147_508
; %bb.507:                              ;   in Loop: Header=BB147_3 Depth=1
	ds_load_b64 v[48:49], v78 offset:25088
	ds_load_b64 v[100:101], v80 offset:32648
	s_wait_dscnt 0x0
	v_dual_mul_f32 v0, v101, v49 :: v_dual_mul_f32 v27, v100, v49
	s_delay_alu instid0(VALU_DEP_1) | instskip(NEXT) | instid1(VALU_DEP_1)
	v_dual_fma_f32 v0, v100, v48, -v0 :: v_dual_fmac_f32 v27, v101, v48
	v_dual_add_f32 v46, v46, v0 :: v_dual_add_f32 v47, v47, v27
.LBB147_508:                            ;   in Loop: Header=BB147_3 Depth=1
	s_or_b32 exec_lo, exec_lo, s12
	s_delay_alu instid0(SALU_CYCLE_1) | instskip(SKIP_2) | instid1(SALU_CYCLE_1)
	s_mov_b32 s12, exec_lo
	v_readlane_b32 s17, v112, 18
	s_and_b32 s17, s12, s17
	s_mov_b32 exec_lo, s17
	s_cbranch_execz .LBB147_510
; %bb.509:                              ;   in Loop: Header=BB147_3 Depth=1
	ds_load_b64 v[48:49], v78 offset:25600
	ds_load_b64 v[100:101], v80 offset:32656
	s_wait_dscnt 0x0
	v_dual_mul_f32 v0, v101, v49 :: v_dual_mul_f32 v27, v100, v49
	s_delay_alu instid0(VALU_DEP_1) | instskip(NEXT) | instid1(VALU_DEP_1)
	v_dual_fma_f32 v0, v100, v48, -v0 :: v_dual_fmac_f32 v27, v101, v48
	v_dual_add_f32 v46, v46, v0 :: v_dual_add_f32 v47, v47, v27
.LBB147_510:                            ;   in Loop: Header=BB147_3 Depth=1
	s_or_b32 exec_lo, exec_lo, s12
	s_delay_alu instid0(SALU_CYCLE_1) | instskip(SKIP_2) | instid1(SALU_CYCLE_1)
	s_mov_b32 s12, exec_lo
	v_readlane_b32 s17, v112, 19
	s_and_b32 s17, s12, s17
	s_mov_b32 exec_lo, s17
	s_cbranch_execz .LBB147_512
; %bb.511:                              ;   in Loop: Header=BB147_3 Depth=1
	ds_load_b64 v[48:49], v78 offset:26112
	ds_load_b64 v[100:101], v80 offset:32664
	s_wait_dscnt 0x0
	v_dual_mul_f32 v0, v101, v49 :: v_dual_mul_f32 v27, v100, v49
	s_delay_alu instid0(VALU_DEP_1) | instskip(NEXT) | instid1(VALU_DEP_1)
	v_dual_fma_f32 v0, v100, v48, -v0 :: v_dual_fmac_f32 v27, v101, v48
	v_dual_add_f32 v46, v46, v0 :: v_dual_add_f32 v47, v47, v27
.LBB147_512:                            ;   in Loop: Header=BB147_3 Depth=1
	s_or_b32 exec_lo, exec_lo, s12
	s_delay_alu instid0(SALU_CYCLE_1) | instskip(SKIP_2) | instid1(SALU_CYCLE_1)
	s_mov_b32 s12, exec_lo
	v_readlane_b32 s17, v112, 20
	s_and_b32 s17, s12, s17
	s_mov_b32 exec_lo, s17
	s_cbranch_execz .LBB147_514
; %bb.513:                              ;   in Loop: Header=BB147_3 Depth=1
	ds_load_b64 v[48:49], v78 offset:26624
	ds_load_b64 v[100:101], v80 offset:32672
	s_wait_dscnt 0x0
	v_dual_mul_f32 v0, v101, v49 :: v_dual_mul_f32 v27, v100, v49
	s_delay_alu instid0(VALU_DEP_1) | instskip(NEXT) | instid1(VALU_DEP_1)
	v_dual_fma_f32 v0, v100, v48, -v0 :: v_dual_fmac_f32 v27, v101, v48
	v_dual_add_f32 v46, v46, v0 :: v_dual_add_f32 v47, v47, v27
.LBB147_514:                            ;   in Loop: Header=BB147_3 Depth=1
	s_or_b32 exec_lo, exec_lo, s12
	s_delay_alu instid0(SALU_CYCLE_1) | instskip(SKIP_2) | instid1(SALU_CYCLE_1)
	s_mov_b32 s12, exec_lo
	v_readlane_b32 s17, v112, 21
	s_and_b32 s17, s12, s17
	s_mov_b32 exec_lo, s17
	s_cbranch_execz .LBB147_516
; %bb.515:                              ;   in Loop: Header=BB147_3 Depth=1
	ds_load_b64 v[48:49], v78 offset:27136
	ds_load_b64 v[100:101], v80 offset:32680
	s_wait_dscnt 0x0
	v_dual_mul_f32 v0, v101, v49 :: v_dual_mul_f32 v27, v100, v49
	s_delay_alu instid0(VALU_DEP_1) | instskip(NEXT) | instid1(VALU_DEP_1)
	v_dual_fma_f32 v0, v100, v48, -v0 :: v_dual_fmac_f32 v27, v101, v48
	v_dual_add_f32 v46, v46, v0 :: v_dual_add_f32 v47, v47, v27
.LBB147_516:                            ;   in Loop: Header=BB147_3 Depth=1
	s_or_b32 exec_lo, exec_lo, s12
	s_delay_alu instid0(SALU_CYCLE_1) | instskip(SKIP_2) | instid1(SALU_CYCLE_1)
	s_mov_b32 s12, exec_lo
	v_readlane_b32 s17, v112, 22
	s_and_b32 s17, s12, s17
	s_mov_b32 exec_lo, s17
	s_cbranch_execz .LBB147_518
; %bb.517:                              ;   in Loop: Header=BB147_3 Depth=1
	ds_load_b64 v[48:49], v78 offset:27648
	ds_load_b64 v[100:101], v80 offset:32688
	s_wait_dscnt 0x0
	v_dual_mul_f32 v0, v101, v49 :: v_dual_mul_f32 v27, v100, v49
	s_delay_alu instid0(VALU_DEP_1) | instskip(NEXT) | instid1(VALU_DEP_1)
	v_dual_fma_f32 v0, v100, v48, -v0 :: v_dual_fmac_f32 v27, v101, v48
	v_dual_add_f32 v46, v46, v0 :: v_dual_add_f32 v47, v47, v27
.LBB147_518:                            ;   in Loop: Header=BB147_3 Depth=1
	s_or_b32 exec_lo, exec_lo, s12
	s_delay_alu instid0(SALU_CYCLE_1) | instskip(SKIP_2) | instid1(SALU_CYCLE_1)
	s_mov_b32 s12, exec_lo
	v_readlane_b32 s17, v112, 23
	s_and_b32 s17, s12, s17
	s_mov_b32 exec_lo, s17
	s_cbranch_execz .LBB147_520
; %bb.519:                              ;   in Loop: Header=BB147_3 Depth=1
	ds_load_b64 v[48:49], v78 offset:28160
	ds_load_b64 v[100:101], v80 offset:32696
	s_wait_dscnt 0x0
	v_dual_mul_f32 v0, v101, v49 :: v_dual_mul_f32 v27, v100, v49
	s_delay_alu instid0(VALU_DEP_1) | instskip(NEXT) | instid1(VALU_DEP_1)
	v_dual_fma_f32 v0, v100, v48, -v0 :: v_dual_fmac_f32 v27, v101, v48
	v_dual_add_f32 v46, v46, v0 :: v_dual_add_f32 v47, v47, v27
.LBB147_520:                            ;   in Loop: Header=BB147_3 Depth=1
	s_or_b32 exec_lo, exec_lo, s12
	s_and_saveexec_b32 s12, s5
	s_cbranch_execz .LBB147_522
; %bb.521:                              ;   in Loop: Header=BB147_3 Depth=1
	ds_load_b64 v[48:49], v78 offset:28672
	ds_load_b64 v[100:101], v80 offset:32704
	s_wait_dscnt 0x0
	v_dual_mul_f32 v0, v101, v49 :: v_dual_mul_f32 v27, v100, v49
	s_delay_alu instid0(VALU_DEP_1) | instskip(NEXT) | instid1(VALU_DEP_1)
	v_dual_fma_f32 v0, v100, v48, -v0 :: v_dual_fmac_f32 v27, v101, v48
	v_dual_add_f32 v46, v46, v0 :: v_dual_add_f32 v47, v47, v27
.LBB147_522:                            ;   in Loop: Header=BB147_3 Depth=1
	s_or_b32 exec_lo, exec_lo, s12
	s_delay_alu instid0(SALU_CYCLE_1) | instskip(SKIP_2) | instid1(SALU_CYCLE_1)
	s_mov_b32 s12, exec_lo
	v_readlane_b32 s17, v113, 22
	s_and_b32 s17, s12, s17
	s_mov_b32 exec_lo, s17
	s_cbranch_execz .LBB147_524
; %bb.523:                              ;   in Loop: Header=BB147_3 Depth=1
	ds_load_b64 v[48:49], v78 offset:29184
	ds_load_b64 v[100:101], v80 offset:32712
	s_wait_dscnt 0x0
	v_dual_mul_f32 v0, v101, v49 :: v_dual_mul_f32 v27, v100, v49
	s_delay_alu instid0(VALU_DEP_1) | instskip(NEXT) | instid1(VALU_DEP_1)
	v_dual_fma_f32 v0, v100, v48, -v0 :: v_dual_fmac_f32 v27, v101, v48
	v_dual_add_f32 v46, v46, v0 :: v_dual_add_f32 v47, v47, v27
.LBB147_524:                            ;   in Loop: Header=BB147_3 Depth=1
	s_or_b32 exec_lo, exec_lo, s12
	s_delay_alu instid0(SALU_CYCLE_1) | instskip(SKIP_2) | instid1(SALU_CYCLE_1)
	s_mov_b32 s12, exec_lo
	v_readlane_b32 s17, v113, 24
	s_and_b32 s17, s12, s17
	s_mov_b32 exec_lo, s17
	;; [unrolled: 16-line block ×4, first 2 shown]
	s_cbranch_execz .LBB147_530
; %bb.529:                              ;   in Loop: Header=BB147_3 Depth=1
	ds_load_b64 v[48:49], v78 offset:30720
	ds_load_b64 v[100:101], v80 offset:32736
	s_wait_dscnt 0x0
	v_dual_mul_f32 v0, v101, v49 :: v_dual_mul_f32 v103, v100, v49
	s_delay_alu instid0(VALU_DEP_1) | instskip(NEXT) | instid1(VALU_DEP_1)
	v_dual_fma_f32 v102, v100, v48, -v0 :: v_dual_fmac_f32 v103, v101, v48
	v_pk_add_f32 v[46:47], v[46:47], v[102:103]
.LBB147_530:                            ;   in Loop: Header=BB147_3 Depth=1
	s_or_b32 exec_lo, exec_lo, s12
	s_delay_alu instid0(SALU_CYCLE_1) | instskip(SKIP_2) | instid1(SALU_CYCLE_1)
	s_mov_b32 s12, exec_lo
	v_readlane_b32 s17, v113, 30
	s_and_b32 s17, s12, s17
	s_mov_b32 exec_lo, s17
	s_cbranch_execnz .LBB147_1100
; %bb.531:                              ;   in Loop: Header=BB147_3 Depth=1
	s_or_b32 exec_lo, exec_lo, s12
	s_and_saveexec_b32 s12, s4
	s_cbranch_execnz .LBB147_1101
.LBB147_532:                            ;   in Loop: Header=BB147_3 Depth=1
	s_or_b32 exec_lo, exec_lo, s12
	s_and_saveexec_b32 s12, s20
	s_delay_alu instid0(SALU_CYCLE_1)
	s_xor_b32 s12, exec_lo, s12
	s_cbranch_execz .LBB147_534
.LBB147_533:                            ;   in Loop: Header=BB147_3 Depth=1
	ds_load_b64 v[48:49], v78 offset:32256
	ds_load_b64 v[100:101], v80 offset:32760
	s_wait_dscnt 0x0
	v_pk_mul_f32 v[102:103], v[100:101], v[48:49] op_sel:[1,1] op_sel_hi:[0,1]
	s_delay_alu instid0(VALU_DEP_1) | instskip(SKIP_1) | instid1(VALU_DEP_2)
	v_pk_fma_f32 v[104:105], v[100:101], v[48:49], v[102:103] op_sel_hi:[1,0,1]
	v_pk_fma_f32 v[48:49], v[100:101], v[48:49], v[102:103] neg_lo:[0,0,1] neg_hi:[0,0,1]
	v_mov_b32_e32 v49, v105
	s_delay_alu instid0(VALU_DEP_1)
	v_pk_add_f32 v[46:47], v[46:47], v[48:49]
.LBB147_534:                            ;   in Loop: Header=BB147_3 Depth=1
	s_or_b32 exec_lo, exec_lo, s12
.LBB147_535:                            ;   in Loop: Header=BB147_3 Depth=1
	s_delay_alu instid0(SALU_CYCLE_1)
	s_or_b32 exec_lo, exec_lo, s61
	v_dual_mov_b32 v0, v98 :: v_dual_mov_b32 v27, v97
	s_mov_b32 s12, 31
	s_branch .LBB147_537
.LBB147_536:                            ;   in Loop: Header=BB147_537 Depth=2
	s_or_b32 exec_lo, exec_lo, s17
	v_add_nc_u32_e32 v27, 0xfffff800, v27
	v_add_nc_u32_e32 v0, 4, v0
	s_add_co_i32 s12, s12, -4
	s_cmp_eq_u32 s61, 0
	s_barrier_signal -1
	s_barrier_wait -1
	s_cbranch_scc1 .LBB147_553
.LBB147_537:                            ;   Parent Loop BB147_3 Depth=1
                                        ; =>  This Inner Loop Header: Depth=2
	s_delay_alu instid0(VALU_DEP_1) | instskip(SKIP_1) | instid1(SALU_CYCLE_1)
	v_cmp_eq_u32_e32 vcc_lo, 0, v0
	s_and_b32 s61, s11, vcc_lo
	s_and_saveexec_b32 s17, s61
; %bb.538:                              ;   in Loop: Header=BB147_537 Depth=2
	v_pk_add_f32 v[48:49], v[46:47], 0 neg_lo:[1,1] neg_hi:[1,1]
	ds_store_b64 v79, v[48:49]
; %bb.539:                              ;   in Loop: Header=BB147_537 Depth=2
	s_or_b32 exec_lo, exec_lo, s17
	v_cmp_gt_u32_e32 vcc_lo, s12, v76
	s_wait_loadcnt_dscnt 0x0
	s_barrier_signal -1
	s_barrier_wait -1
	s_and_b32 s61, s11, vcc_lo
	s_delay_alu instid0(SALU_CYCLE_1)
	s_and_saveexec_b32 s17, s61
	s_cbranch_execz .LBB147_541
; %bb.540:                              ;   in Loop: Header=BB147_537 Depth=2
	ds_load_b64 v[48:49], v27 offset:1536
	ds_load_b64 v[100:101], v79
	s_wait_dscnt 0x0
	v_pk_mul_f32 v[102:103], v[100:101], v[48:49] op_sel:[1,1] op_sel_hi:[0,1]
	s_delay_alu instid0(VALU_DEP_1) | instskip(SKIP_1) | instid1(VALU_DEP_2)
	v_pk_fma_f32 v[104:105], v[100:101], v[48:49], v[102:103] op_sel_hi:[1,0,1]
	v_pk_fma_f32 v[48:49], v[100:101], v[48:49], v[102:103] neg_lo:[0,0,1] neg_hi:[0,0,1]
	v_mov_b32_e32 v49, v105
	s_delay_alu instid0(VALU_DEP_1)
	v_pk_add_f32 v[46:47], v[46:47], v[48:49] neg_lo:[0,1] neg_hi:[0,1]
.LBB147_541:                            ;   in Loop: Header=BB147_537 Depth=2
	s_or_b32 exec_lo, exec_lo, s17
	s_add_co_i32 s17, s12, -1
	s_delay_alu instid0(SALU_CYCLE_1) | instskip(SKIP_3) | instid1(SALU_CYCLE_1)
	v_cmp_eq_u32_e32 vcc_lo, s17, v76
	s_barrier_signal -1
	s_barrier_wait -1
	s_and_b32 s80, s11, vcc_lo
	s_and_saveexec_b32 s61, s80
; %bb.542:                              ;   in Loop: Header=BB147_537 Depth=2
	v_pk_add_f32 v[48:49], v[46:47], 0 neg_lo:[1,1] neg_hi:[1,1]
	ds_store_b64 v79, v[48:49]
; %bb.543:                              ;   in Loop: Header=BB147_537 Depth=2
	s_or_b32 exec_lo, exec_lo, s61
	v_cmp_gt_u32_e32 vcc_lo, s17, v76
	s_wait_dscnt 0x0
	s_barrier_signal -1
	s_barrier_wait -1
	s_and_b32 s61, s11, vcc_lo
	s_delay_alu instid0(SALU_CYCLE_1)
	s_and_saveexec_b32 s17, s61
	s_cbranch_execz .LBB147_545
; %bb.544:                              ;   in Loop: Header=BB147_537 Depth=2
	ds_load_b64 v[48:49], v27 offset:1024
	ds_load_b64 v[100:101], v79
	s_wait_dscnt 0x0
	v_pk_mul_f32 v[102:103], v[100:101], v[48:49] op_sel:[1,1] op_sel_hi:[0,1]
	s_delay_alu instid0(VALU_DEP_1) | instskip(SKIP_1) | instid1(VALU_DEP_2)
	v_pk_fma_f32 v[104:105], v[100:101], v[48:49], v[102:103] op_sel_hi:[1,0,1]
	v_pk_fma_f32 v[48:49], v[100:101], v[48:49], v[102:103] neg_lo:[0,0,1] neg_hi:[0,0,1]
	v_mov_b32_e32 v49, v105
	s_delay_alu instid0(VALU_DEP_1)
	v_pk_add_f32 v[46:47], v[46:47], v[48:49] neg_lo:[0,1] neg_hi:[0,1]
.LBB147_545:                            ;   in Loop: Header=BB147_537 Depth=2
	s_or_b32 exec_lo, exec_lo, s17
	s_add_co_i32 s17, s12, -2
	s_delay_alu instid0(SALU_CYCLE_1) | instskip(SKIP_3) | instid1(SALU_CYCLE_1)
	v_cmp_eq_u32_e32 vcc_lo, s17, v76
	s_barrier_signal -1
	s_barrier_wait -1
	s_and_b32 s80, s11, vcc_lo
	s_and_saveexec_b32 s61, s80
; %bb.546:                              ;   in Loop: Header=BB147_537 Depth=2
	v_pk_add_f32 v[48:49], v[46:47], 0 neg_lo:[1,1] neg_hi:[1,1]
	ds_store_b64 v79, v[48:49]
; %bb.547:                              ;   in Loop: Header=BB147_537 Depth=2
	s_or_b32 exec_lo, exec_lo, s61
	v_cmp_gt_u32_e32 vcc_lo, s17, v76
	s_wait_dscnt 0x0
	;; [unrolled: 33-line block ×3, first 2 shown]
	s_barrier_signal -1
	s_barrier_wait -1
	s_and_b32 s80, s11, vcc_lo
	s_delay_alu instid0(SALU_CYCLE_1)
	s_and_saveexec_b32 s17, s80
	s_cbranch_execz .LBB147_536
; %bb.552:                              ;   in Loop: Header=BB147_537 Depth=2
	ds_load_b64 v[48:49], v27
	ds_load_b64 v[100:101], v79
	s_wait_dscnt 0x0
	v_pk_mul_f32 v[102:103], v[100:101], v[48:49] op_sel:[1,1] op_sel_hi:[0,1]
	s_delay_alu instid0(VALU_DEP_1) | instskip(SKIP_1) | instid1(VALU_DEP_2)
	v_pk_fma_f32 v[104:105], v[100:101], v[48:49], v[102:103] op_sel_hi:[1,0,1]
	v_pk_fma_f32 v[48:49], v[100:101], v[48:49], v[102:103] neg_lo:[0,0,1] neg_hi:[0,0,1]
	v_mov_b32_e32 v49, v105
	s_delay_alu instid0(VALU_DEP_1)
	v_pk_add_f32 v[46:47], v[46:47], v[48:49] neg_lo:[0,1] neg_hi:[0,1]
	s_branch .LBB147_536
.LBB147_553:                            ;   in Loop: Header=BB147_3 Depth=1
	s_and_saveexec_b32 s12, s34
; %bb.554:                              ;   in Loop: Header=BB147_3 Depth=1
	ds_store_b64 v81, v[46:47] offset:32256
; %bb.555:                              ;   in Loop: Header=BB147_3 Depth=1
	s_or_b32 exec_lo, exec_lo, s12
	s_wait_dscnt 0x0
	s_barrier_signal -1
	s_barrier_wait -1
	s_barrier_signal -1
	s_barrier_wait -1
	s_mov_b32 s12, exec_lo
	v_readlane_b32 s17, v113, 8
	s_and_b32 s17, s12, s17
	s_delay_alu instid0(SALU_CYCLE_1)
	s_mov_b32 exec_lo, s17
	s_cbranch_execz .LBB147_557
; %bb.556:                              ;   in Loop: Header=BB147_3 Depth=1
	ds_load_b64 v[46:47], v87 offset:16384
	v_add_nc_u32_e32 v0, v87, v90
	s_wait_dscnt 0x0
	ds_store_b64 v0, v[46:47] offset:256
	ds_load_b64 v[46:47], v87 offset:16392
	s_wait_dscnt 0x0
	ds_store_b64 v0, v[46:47] offset:768
	ds_load_b64 v[46:47], v87 offset:16400
	;; [unrolled: 3-line block ×31, first 2 shown]
	s_wait_dscnt 0x0
	ds_store_b64 v0, v[46:47] offset:16128
.LBB147_557:                            ;   in Loop: Header=BB147_3 Depth=1
	s_or_b32 exec_lo, exec_lo, s12
	s_wait_dscnt 0x0
	s_barrier_signal -1
	s_barrier_wait -1
	s_and_saveexec_b32 s12, s10
	s_cbranch_execz .LBB147_559
; %bb.558:                              ;   in Loop: Header=BB147_3 Depth=1
	ds_load_b64 v[46:47], v1 offset:16112
	v_add_nc_u32_e64 v0, 0x3800, 0
	ds_store_b64 v1, v[30:31] offset:16120
	s_wait_dscnt 0x1
	ds_store_2addr_b64 v0, v[30:31], v[46:47] offset0:158 offset1:159
.LBB147_559:                            ;   in Loop: Header=BB147_3 Depth=1
	s_or_b32 exec_lo, exec_lo, s12
	v_dual_mov_b32 v46, 0 :: v_dual_mov_b32 v47, 0
	s_wait_dscnt 0x0
	s_barrier_signal -1
	s_barrier_wait -1
	global_wb scope:SCOPE_DEV
	s_wait_storecnt 0x0
	global_inv scope:SCOPE_DEV
	s_and_saveexec_b32 s12, s1
	s_cbranch_execz .LBB147_563
; %bb.560:                              ;   in Loop: Header=BB147_3 Depth=1
	ds_load_b64 v[46:47], v52 offset:15584
	ds_load_b64 v[48:49], v53 offset:16112
	s_wait_dscnt 0x0
	v_pk_mul_f32 v[100:101], v[48:49], v[46:47] op_sel:[1,1] op_sel_hi:[0,1]
	s_delay_alu instid0(VALU_DEP_1) | instskip(SKIP_1) | instid1(VALU_DEP_2)
	v_pk_fma_f32 v[102:103], v[48:49], v[46:47], v[100:101] op_sel_hi:[1,0,1]
	v_pk_fma_f32 v[46:47], v[48:49], v[46:47], v[100:101] neg_lo:[0,0,1] neg_hi:[0,0,1]
	v_mov_b32_e32 v47, v103
	s_delay_alu instid0(VALU_DEP_1)
	v_pk_add_f32 v[46:47], v[46:47], 0 op_sel_hi:[1,0]
	s_and_saveexec_b32 s17, s13
	s_cbranch_execz .LBB147_562
; %bb.561:                              ;   in Loop: Header=BB147_3 Depth=1
	ds_load_b64 v[48:49], v54 offset:16096
	ds_load_b64 v[100:101], v1 offset:16120
	s_wait_dscnt 0x0
	v_pk_mul_f32 v[102:103], v[100:101], v[48:49] op_sel:[1,1] op_sel_hi:[0,1]
	s_delay_alu instid0(VALU_DEP_1) | instskip(SKIP_1) | instid1(VALU_DEP_2)
	v_pk_fma_f32 v[104:105], v[100:101], v[48:49], v[102:103] op_sel_hi:[1,0,1]
	v_pk_fma_f32 v[48:49], v[100:101], v[48:49], v[102:103] neg_lo:[0,0,1] neg_hi:[0,0,1]
	v_mov_b32_e32 v49, v105
	s_delay_alu instid0(VALU_DEP_1)
	v_pk_add_f32 v[46:47], v[46:47], v[48:49]
.LBB147_562:                            ;   in Loop: Header=BB147_3 Depth=1
	s_or_b32 exec_lo, exec_lo, s17
.LBB147_563:                            ;   in Loop: Header=BB147_3 Depth=1
	s_delay_alu instid0(SALU_CYCLE_1)
	s_or_b32 exec_lo, exec_lo, s12
	s_and_saveexec_b32 s12, s88
; %bb.564:                              ;   in Loop: Header=BB147_3 Depth=1
	s_delay_alu instid0(VALU_DEP_1)
	v_pk_add_f32 v[48:49], v[46:47], 0 neg_lo:[1,1] neg_hi:[1,1]
	ds_store_b64 v51, v[48:49]
; %bb.565:                              ;   in Loop: Header=BB147_3 Depth=1
	s_or_b32 exec_lo, exec_lo, s12
	s_wait_loadcnt_dscnt 0x0
	s_barrier_signal -1
	s_barrier_wait -1
	s_and_saveexec_b32 s12, s89
	s_cbranch_execz .LBB147_567
; %bb.566:                              ;   in Loop: Header=BB147_3 Depth=1
	ds_load_b64 v[48:49], v1 offset:15072
	ds_load_b64 v[100:101], v51
	s_wait_dscnt 0x0
	v_pk_mul_f32 v[102:103], v[100:101], v[48:49] op_sel_hi:[1,0]
	s_delay_alu instid0(VALU_DEP_1) | instskip(SKIP_1) | instid1(VALU_DEP_2)
	v_pk_fma_f32 v[104:105], v[100:101], v[48:49], v[102:103] op_sel:[1,1,0] op_sel_hi:[0,1,1]
	v_pk_fma_f32 v[48:49], v[100:101], v[48:49], v[102:103] op_sel:[1,1,0] op_sel_hi:[0,1,1] neg_lo:[0,0,1] neg_hi:[0,0,1]
	v_pk_add_f32 v[100:101], v[46:47], v[104:105] neg_lo:[0,1] neg_hi:[0,1]
	s_delay_alu instid0(VALU_DEP_2) | instskip(NEXT) | instid1(VALU_DEP_2)
	v_pk_add_f32 v[46:47], v[46:47], v[48:49]
	v_mov_b32_e32 v47, v101
.LBB147_567:                            ;   in Loop: Header=BB147_3 Depth=1
	s_or_b32 exec_lo, exec_lo, s12
	s_barrier_signal -1
	s_barrier_wait -1
	s_and_saveexec_b32 s12, s89
; %bb.568:                              ;   in Loop: Header=BB147_3 Depth=1
	v_pk_add_f32 v[48:49], v[46:47], 0 neg_lo:[1,1] neg_hi:[1,1]
	ds_store_b64 v51, v[48:49]
; %bb.569:                              ;   in Loop: Header=BB147_3 Depth=1
	s_or_b32 exec_lo, exec_lo, s12
	s_wait_dscnt 0x0
	s_barrier_signal -1
	s_barrier_wait -1
	s_barrier_signal -1
	s_barrier_wait -1
	s_and_saveexec_b32 s12, s1
; %bb.570:                              ;   in Loop: Header=BB147_3 Depth=1
	ds_store_b64 v55, v[46:47] offset:16096
; %bb.571:                              ;   in Loop: Header=BB147_3 Depth=1
	s_or_b32 exec_lo, exec_lo, s12
	s_wait_dscnt 0x0
	s_barrier_signal -1
	s_barrier_wait -1
	s_barrier_signal -1
	s_barrier_wait -1
	s_and_saveexec_b32 s12, s90
	s_cbranch_execz .LBB147_573
; %bb.572:                              ;   in Loop: Header=BB147_3 Depth=1
	ds_load_b64 v[46:47], v56 offset:15584
	s_wait_dscnt 0x0
	ds_store_b64 v54, v[46:47] offset:14576
	ds_load_b64 v[46:47], v56 offset:15592
	s_wait_dscnt 0x0
	ds_store_b64 v54, v[46:47] offset:15088
.LBB147_573:                            ;   in Loop: Header=BB147_3 Depth=1
	s_or_b32 exec_lo, exec_lo, s12
	s_wait_dscnt 0x0
	s_barrier_signal -1
	s_barrier_wait -1
	s_and_saveexec_b32 s12, s10
	s_cbranch_execz .LBB147_575
; %bb.574:                              ;   in Loop: Header=BB147_3 Depth=1
	ds_load_b64 v[46:47], v1 offset:15072
	v_add_nc_u32_e64 v0, 0x3800, 0
	ds_store_b64 v1, v[30:31] offset:15080
	s_wait_dscnt 0x1
	ds_store_2addr_b64 v0, v[30:31], v[46:47] offset0:28 offset1:29
.LBB147_575:                            ;   in Loop: Header=BB147_3 Depth=1
	s_or_b32 exec_lo, exec_lo, s12
	v_mov_b64_e32 v[46:47], 0
	s_wait_dscnt 0x0
	s_barrier_signal -1
	s_barrier_wait -1
	global_wb scope:SCOPE_DEV
	s_wait_storecnt 0x0
	global_inv scope:SCOPE_DEV
	s_and_saveexec_b32 s12, s3
	s_cbranch_execz .LBB147_581
; %bb.576:                              ;   in Loop: Header=BB147_3 Depth=1
	ds_load_b64 v[46:47], v58 offset:14528
	ds_load_b64 v[48:49], v59 offset:16096
	s_wait_dscnt 0x0
	v_dual_mul_f32 v0, v49, v47 :: v_dual_mul_f32 v27, v48, v47
	s_delay_alu instid0(VALU_DEP_1) | instskip(NEXT) | instid1(VALU_DEP_1)
	v_dual_fma_f32 v0, v48, v46, -v0 :: v_dual_fmac_f32 v27, v49, v46
	v_dual_add_f32 v46, 0, v0 :: v_dual_add_f32 v47, 0, v27
	s_and_saveexec_b32 s17, s14
	s_cbranch_execnz .LBB147_1102
; %bb.577:                              ;   in Loop: Header=BB147_3 Depth=1
	s_or_b32 exec_lo, exec_lo, s17
	s_and_saveexec_b32 s17, s15
	s_cbranch_execnz .LBB147_1103
.LBB147_578:                            ;   in Loop: Header=BB147_3 Depth=1
	s_or_b32 exec_lo, exec_lo, s17
	s_and_saveexec_b32 s17, s1
	s_cbranch_execz .LBB147_580
.LBB147_579:                            ;   in Loop: Header=BB147_3 Depth=1
	ds_load_b64 v[48:49], v60 offset:16064
	ds_load_b64 v[100:101], v1 offset:16120
	s_wait_dscnt 0x0
	v_pk_mul_f32 v[102:103], v[100:101], v[48:49] op_sel:[1,1] op_sel_hi:[0,1]
	s_delay_alu instid0(VALU_DEP_1) | instskip(SKIP_1) | instid1(VALU_DEP_2)
	v_pk_fma_f32 v[104:105], v[100:101], v[48:49], v[102:103] op_sel_hi:[1,0,1]
	v_pk_fma_f32 v[48:49], v[100:101], v[48:49], v[102:103] neg_lo:[0,0,1] neg_hi:[0,0,1]
	v_mov_b32_e32 v49, v105
	s_delay_alu instid0(VALU_DEP_1)
	v_pk_add_f32 v[46:47], v[46:47], v[48:49]
.LBB147_580:                            ;   in Loop: Header=BB147_3 Depth=1
	s_or_b32 exec_lo, exec_lo, s17
.LBB147_581:                            ;   in Loop: Header=BB147_3 Depth=1
	s_delay_alu instid0(SALU_CYCLE_1)
	s_or_b32 exec_lo, exec_lo, s12
	s_and_saveexec_b32 s12, s91
; %bb.582:                              ;   in Loop: Header=BB147_3 Depth=1
	s_delay_alu instid0(VALU_DEP_1)
	v_pk_add_f32 v[48:49], v[46:47], 0 neg_lo:[1,1] neg_hi:[1,1]
	ds_store_b64 v57, v[48:49]
; %bb.583:                              ;   in Loop: Header=BB147_3 Depth=1
	s_or_b32 exec_lo, exec_lo, s12
	s_wait_loadcnt_dscnt 0x0
	s_barrier_signal -1
	s_barrier_wait -1
	s_and_saveexec_b32 s12, s92
	s_cbranch_execz .LBB147_585
; %bb.584:                              ;   in Loop: Header=BB147_3 Depth=1
	ds_load_b64 v[48:49], v58 offset:14016
	ds_load_b64 v[100:101], v57
	s_wait_dscnt 0x0
	v_pk_mul_f32 v[102:103], v[100:101], v[48:49] op_sel:[1,1] op_sel_hi:[0,1]
	s_delay_alu instid0(VALU_DEP_1) | instskip(SKIP_1) | instid1(VALU_DEP_2)
	v_pk_fma_f32 v[104:105], v[100:101], v[48:49], v[102:103] op_sel_hi:[1,0,1]
	v_pk_fma_f32 v[48:49], v[100:101], v[48:49], v[102:103] neg_lo:[0,0,1] neg_hi:[0,0,1]
	v_mov_b32_e32 v49, v105
	s_delay_alu instid0(VALU_DEP_1)
	v_pk_add_f32 v[46:47], v[46:47], v[48:49] neg_lo:[0,1] neg_hi:[0,1]
.LBB147_585:                            ;   in Loop: Header=BB147_3 Depth=1
	s_or_b32 exec_lo, exec_lo, s12
	s_barrier_signal -1
	s_barrier_wait -1
	s_and_saveexec_b32 s12, s93
; %bb.586:                              ;   in Loop: Header=BB147_3 Depth=1
	v_pk_add_f32 v[48:49], v[46:47], 0 neg_lo:[1,1] neg_hi:[1,1]
	ds_store_b64 v57, v[48:49]
; %bb.587:                              ;   in Loop: Header=BB147_3 Depth=1
	s_or_b32 exec_lo, exec_lo, s12
	s_wait_dscnt 0x0
	s_barrier_signal -1
	s_barrier_wait -1
	s_and_saveexec_b32 s12, s94
	s_cbranch_execz .LBB147_589
; %bb.588:                              ;   in Loop: Header=BB147_3 Depth=1
	ds_load_b64 v[48:49], v58 offset:13504
	ds_load_b64 v[100:101], v57
	s_wait_dscnt 0x0
	v_pk_mul_f32 v[102:103], v[100:101], v[48:49] op_sel:[1,1] op_sel_hi:[0,1]
	s_delay_alu instid0(VALU_DEP_1) | instskip(SKIP_1) | instid1(VALU_DEP_2)
	v_pk_fma_f32 v[104:105], v[100:101], v[48:49], v[102:103] op_sel_hi:[1,0,1]
	v_pk_fma_f32 v[48:49], v[100:101], v[48:49], v[102:103] neg_lo:[0,0,1] neg_hi:[0,0,1]
	v_mov_b32_e32 v49, v105
	s_delay_alu instid0(VALU_DEP_1)
	v_pk_add_f32 v[46:47], v[46:47], v[48:49] neg_lo:[0,1] neg_hi:[0,1]
.LBB147_589:                            ;   in Loop: Header=BB147_3 Depth=1
	s_or_b32 exec_lo, exec_lo, s12
	s_barrier_signal -1
	s_barrier_wait -1
	s_and_saveexec_b32 s12, s95
; %bb.590:                              ;   in Loop: Header=BB147_3 Depth=1
	v_pk_add_f32 v[48:49], v[46:47], 0 neg_lo:[1,1] neg_hi:[1,1]
	ds_store_b64 v57, v[48:49]
; %bb.591:                              ;   in Loop: Header=BB147_3 Depth=1
	s_or_b32 exec_lo, exec_lo, s12
	s_wait_dscnt 0x0
	;; [unrolled: 26-line block ×3, first 2 shown]
	s_barrier_signal -1
	s_barrier_wait -1
	s_barrier_signal -1
	s_barrier_wait -1
	s_and_saveexec_b32 s12, s3
; %bb.596:                              ;   in Loop: Header=BB147_3 Depth=1
	ds_store_b64 v62, v[46:47] offset:16064
; %bb.597:                              ;   in Loop: Header=BB147_3 Depth=1
	s_or_b32 exec_lo, exec_lo, s12
	s_wait_dscnt 0x0
	s_barrier_signal -1
	s_barrier_wait -1
	s_barrier_signal -1
	s_barrier_wait -1
	s_and_saveexec_b32 s12, s97
	s_cbranch_execz .LBB147_599
; %bb.598:                              ;   in Loop: Header=BB147_3 Depth=1
	ds_load_b64 v[46:47], v61 offset:14528
	s_wait_dscnt 0x0
	ds_store_b64 v63, v[46:47] offset:12512
	ds_load_b64 v[46:47], v61 offset:14536
	s_wait_dscnt 0x0
	ds_store_b64 v63, v[46:47] offset:13024
	;; [unrolled: 3-line block ×4, first 2 shown]
.LBB147_599:                            ;   in Loop: Header=BB147_3 Depth=1
	s_or_b32 exec_lo, exec_lo, s12
	s_wait_dscnt 0x0
	s_barrier_signal -1
	s_barrier_wait -1
	s_and_saveexec_b32 s12, s10
	s_cbranch_execz .LBB147_601
; %bb.600:                              ;   in Loop: Header=BB147_3 Depth=1
	ds_load_b64 v[46:47], v1 offset:14032
	v_add_nc_u32_e64 v0, 0x3000, 0
	ds_store_b64 v1, v[30:31] offset:14040
	s_wait_dscnt 0x1
	ds_store_2addr_b64 v0, v[30:31], v[46:47] offset0:154 offset1:155
.LBB147_601:                            ;   in Loop: Header=BB147_3 Depth=1
	s_or_b32 exec_lo, exec_lo, s12
	v_dual_mov_b32 v46, 0 :: v_dual_mov_b32 v47, 0
	s_wait_dscnt 0x0
	s_barrier_signal -1
	s_barrier_wait -1
	global_wb scope:SCOPE_DEV
	s_wait_storecnt 0x0
	global_inv scope:SCOPE_DEV
	s_and_saveexec_b32 s12, s1
	s_cbranch_execz .LBB147_605
; %bb.602:                              ;   in Loop: Header=BB147_3 Depth=1
	ds_load_b64 v[46:47], v52 offset:13504
	ds_load_b64 v[48:49], v53 offset:14032
	s_wait_dscnt 0x0
	v_pk_mul_f32 v[100:101], v[48:49], v[46:47] op_sel:[1,1] op_sel_hi:[0,1]
	s_delay_alu instid0(VALU_DEP_1) | instskip(SKIP_1) | instid1(VALU_DEP_2)
	v_pk_fma_f32 v[102:103], v[48:49], v[46:47], v[100:101] op_sel_hi:[1,0,1]
	v_pk_fma_f32 v[46:47], v[48:49], v[46:47], v[100:101] neg_lo:[0,0,1] neg_hi:[0,0,1]
	v_mov_b32_e32 v47, v103
	s_delay_alu instid0(VALU_DEP_1)
	v_pk_add_f32 v[46:47], v[46:47], 0 op_sel_hi:[1,0]
	s_and_saveexec_b32 s17, s13
	s_cbranch_execz .LBB147_604
; %bb.603:                              ;   in Loop: Header=BB147_3 Depth=1
	ds_load_b64 v[48:49], v63 offset:14016
	ds_load_b64 v[100:101], v1 offset:14040
	s_wait_dscnt 0x0
	v_pk_mul_f32 v[102:103], v[100:101], v[48:49] op_sel:[1,1] op_sel_hi:[0,1]
	s_delay_alu instid0(VALU_DEP_1) | instskip(SKIP_1) | instid1(VALU_DEP_2)
	v_pk_fma_f32 v[104:105], v[100:101], v[48:49], v[102:103] op_sel_hi:[1,0,1]
	v_pk_fma_f32 v[48:49], v[100:101], v[48:49], v[102:103] neg_lo:[0,0,1] neg_hi:[0,0,1]
	v_mov_b32_e32 v49, v105
	s_delay_alu instid0(VALU_DEP_1)
	v_pk_add_f32 v[46:47], v[46:47], v[48:49]
.LBB147_604:                            ;   in Loop: Header=BB147_3 Depth=1
	s_or_b32 exec_lo, exec_lo, s17
.LBB147_605:                            ;   in Loop: Header=BB147_3 Depth=1
	s_delay_alu instid0(SALU_CYCLE_1)
	s_or_b32 exec_lo, exec_lo, s12
	s_and_saveexec_b32 s12, s88
; %bb.606:                              ;   in Loop: Header=BB147_3 Depth=1
	s_delay_alu instid0(VALU_DEP_1)
	v_pk_add_f32 v[48:49], v[46:47], 0 neg_lo:[1,1] neg_hi:[1,1]
	ds_store_b64 v51, v[48:49]
; %bb.607:                              ;   in Loop: Header=BB147_3 Depth=1
	s_or_b32 exec_lo, exec_lo, s12
	s_wait_loadcnt_dscnt 0x0
	s_barrier_signal -1
	s_barrier_wait -1
	s_and_saveexec_b32 s12, s89
	s_cbranch_execz .LBB147_609
; %bb.608:                              ;   in Loop: Header=BB147_3 Depth=1
	ds_load_b64 v[48:49], v1 offset:12992
	ds_load_b64 v[100:101], v51
	s_wait_dscnt 0x0
	v_pk_mul_f32 v[102:103], v[100:101], v[48:49] op_sel_hi:[1,0]
	s_delay_alu instid0(VALU_DEP_1) | instskip(SKIP_1) | instid1(VALU_DEP_2)
	v_pk_fma_f32 v[104:105], v[100:101], v[48:49], v[102:103] op_sel:[1,1,0] op_sel_hi:[0,1,1]
	v_pk_fma_f32 v[48:49], v[100:101], v[48:49], v[102:103] op_sel:[1,1,0] op_sel_hi:[0,1,1] neg_lo:[0,0,1] neg_hi:[0,0,1]
	v_pk_add_f32 v[100:101], v[46:47], v[104:105] neg_lo:[0,1] neg_hi:[0,1]
	s_delay_alu instid0(VALU_DEP_2) | instskip(NEXT) | instid1(VALU_DEP_2)
	v_pk_add_f32 v[46:47], v[46:47], v[48:49]
	v_mov_b32_e32 v47, v101
.LBB147_609:                            ;   in Loop: Header=BB147_3 Depth=1
	s_or_b32 exec_lo, exec_lo, s12
	s_barrier_signal -1
	s_barrier_wait -1
	s_and_saveexec_b32 s12, s89
; %bb.610:                              ;   in Loop: Header=BB147_3 Depth=1
	v_pk_add_f32 v[48:49], v[46:47], 0 neg_lo:[1,1] neg_hi:[1,1]
	ds_store_b64 v51, v[48:49]
; %bb.611:                              ;   in Loop: Header=BB147_3 Depth=1
	s_or_b32 exec_lo, exec_lo, s12
	s_wait_dscnt 0x0
	s_barrier_signal -1
	s_barrier_wait -1
	s_barrier_signal -1
	s_barrier_wait -1
	s_and_saveexec_b32 s12, s1
; %bb.612:                              ;   in Loop: Header=BB147_3 Depth=1
	ds_store_b64 v55, v[46:47] offset:14016
; %bb.613:                              ;   in Loop: Header=BB147_3 Depth=1
	s_or_b32 exec_lo, exec_lo, s12
	s_wait_dscnt 0x0
	s_barrier_signal -1
	s_barrier_wait -1
	s_barrier_signal -1
	s_barrier_wait -1
	s_and_saveexec_b32 s12, s90
	s_cbranch_execz .LBB147_615
; %bb.614:                              ;   in Loop: Header=BB147_3 Depth=1
	ds_load_b64 v[46:47], v64 offset:13504
	s_wait_dscnt 0x0
	ds_store_b64 v63, v[46:47] offset:12496
	ds_load_b64 v[46:47], v64 offset:13512
	s_wait_dscnt 0x0
	ds_store_b64 v63, v[46:47] offset:13008
.LBB147_615:                            ;   in Loop: Header=BB147_3 Depth=1
	s_or_b32 exec_lo, exec_lo, s12
	s_wait_dscnt 0x0
	s_barrier_signal -1
	s_barrier_wait -1
	s_and_saveexec_b32 s12, s10
	s_cbranch_execz .LBB147_617
; %bb.616:                              ;   in Loop: Header=BB147_3 Depth=1
	ds_load_b64 v[46:47], v1 offset:12992
	v_add_nc_u32_e64 v0, 0x3000, 0
	ds_store_b64 v1, v[30:31] offset:13000
	s_wait_dscnt 0x1
	ds_store_2addr_b64 v0, v[30:31], v[46:47] offset0:24 offset1:25
.LBB147_617:                            ;   in Loop: Header=BB147_3 Depth=1
	s_or_b32 exec_lo, exec_lo, s12
	v_mov_b64_e32 v[46:47], 0
	s_wait_dscnt 0x0
	s_barrier_signal -1
	s_barrier_wait -1
	global_wb scope:SCOPE_DEV
	s_wait_storecnt 0x0
	global_inv scope:SCOPE_DEV
	s_and_saveexec_b32 s12, s4
	s_cbranch_execz .LBB147_627
; %bb.618:                              ;   in Loop: Header=BB147_3 Depth=1
	ds_load_b64 v[46:47], v66 offset:12416
	ds_load_b64 v[48:49], v67 offset:16064
	s_wait_dscnt 0x0
	v_dual_mul_f32 v0, v49, v47 :: v_dual_mul_f32 v27, v48, v47
	s_delay_alu instid0(VALU_DEP_1) | instskip(NEXT) | instid1(VALU_DEP_1)
	v_dual_fma_f32 v0, v48, v46, -v0 :: v_dual_fmac_f32 v27, v49, v46
	v_dual_add_f32 v46, 0, v0 :: v_dual_add_f32 v47, 0, v27
	s_and_saveexec_b32 s17, s16
	s_cbranch_execnz .LBB147_1104
; %bb.619:                              ;   in Loop: Header=BB147_3 Depth=1
	s_or_b32 exec_lo, exec_lo, s17
	s_and_saveexec_b32 s17, s18
	s_cbranch_execnz .LBB147_1105
.LBB147_620:                            ;   in Loop: Header=BB147_3 Depth=1
	s_or_b32 exec_lo, exec_lo, s17
	s_and_saveexec_b32 s17, s19
	s_cbranch_execnz .LBB147_1106
.LBB147_621:                            ;   in Loop: Header=BB147_3 Depth=1
	s_or_b32 exec_lo, exec_lo, s17
	s_and_saveexec_b32 s17, s20
	s_cbranch_execnz .LBB147_1107
.LBB147_622:                            ;   in Loop: Header=BB147_3 Depth=1
	s_or_b32 exec_lo, exec_lo, s17
	s_and_saveexec_b32 s17, s21
	s_cbranch_execnz .LBB147_1108
.LBB147_623:                            ;   in Loop: Header=BB147_3 Depth=1
	s_or_b32 exec_lo, exec_lo, s17
	s_and_saveexec_b32 s17, s3
	s_cbranch_execnz .LBB147_1109
.LBB147_624:                            ;   in Loop: Header=BB147_3 Depth=1
	s_or_b32 exec_lo, exec_lo, s17
	s_and_saveexec_b32 s17, s15
	s_cbranch_execz .LBB147_626
.LBB147_625:                            ;   in Loop: Header=BB147_3 Depth=1
	ds_load_b64 v[48:49], v68 offset:16000
	ds_load_b64 v[100:101], v1 offset:16120
	s_wait_dscnt 0x0
	v_pk_mul_f32 v[102:103], v[100:101], v[48:49] op_sel:[1,1] op_sel_hi:[0,1]
	s_delay_alu instid0(VALU_DEP_1) | instskip(SKIP_1) | instid1(VALU_DEP_2)
	v_pk_fma_f32 v[104:105], v[100:101], v[48:49], v[102:103] op_sel_hi:[1,0,1]
	v_pk_fma_f32 v[48:49], v[100:101], v[48:49], v[102:103] neg_lo:[0,0,1] neg_hi:[0,0,1]
	v_mov_b32_e32 v49, v105
	s_delay_alu instid0(VALU_DEP_1)
	v_pk_add_f32 v[46:47], v[46:47], v[48:49]
.LBB147_626:                            ;   in Loop: Header=BB147_3 Depth=1
	s_or_b32 exec_lo, exec_lo, s17
.LBB147_627:                            ;   in Loop: Header=BB147_3 Depth=1
	s_delay_alu instid0(SALU_CYCLE_1)
	s_or_b32 exec_lo, exec_lo, s12
	s_and_saveexec_b32 s12, s98
; %bb.628:                              ;   in Loop: Header=BB147_3 Depth=1
	s_delay_alu instid0(VALU_DEP_1)
	v_pk_add_f32 v[48:49], v[46:47], 0 neg_lo:[1,1] neg_hi:[1,1]
	ds_store_b64 v65, v[48:49]
; %bb.629:                              ;   in Loop: Header=BB147_3 Depth=1
	s_or_b32 exec_lo, exec_lo, s12
	s_wait_loadcnt_dscnt 0x0
	s_barrier_signal -1
	s_barrier_wait -1
	s_and_saveexec_b32 s12, s99
	s_cbranch_execz .LBB147_631
; %bb.630:                              ;   in Loop: Header=BB147_3 Depth=1
	ds_load_b64 v[48:49], v66 offset:11904
	ds_load_b64 v[100:101], v65
	s_wait_dscnt 0x0
	v_pk_mul_f32 v[102:103], v[100:101], v[48:49] op_sel:[1,1] op_sel_hi:[0,1]
	s_delay_alu instid0(VALU_DEP_1) | instskip(SKIP_1) | instid1(VALU_DEP_2)
	v_pk_fma_f32 v[104:105], v[100:101], v[48:49], v[102:103] op_sel_hi:[1,0,1]
	v_pk_fma_f32 v[48:49], v[100:101], v[48:49], v[102:103] neg_lo:[0,0,1] neg_hi:[0,0,1]
	v_mov_b32_e32 v49, v105
	s_delay_alu instid0(VALU_DEP_1)
	v_pk_add_f32 v[46:47], v[46:47], v[48:49] neg_lo:[0,1] neg_hi:[0,1]
.LBB147_631:                            ;   in Loop: Header=BB147_3 Depth=1
	s_or_b32 exec_lo, exec_lo, s12
	s_barrier_signal -1
	s_barrier_wait -1
	s_and_saveexec_b32 s12, s100
; %bb.632:                              ;   in Loop: Header=BB147_3 Depth=1
	v_pk_add_f32 v[48:49], v[46:47], 0 neg_lo:[1,1] neg_hi:[1,1]
	ds_store_b64 v65, v[48:49]
; %bb.633:                              ;   in Loop: Header=BB147_3 Depth=1
	s_or_b32 exec_lo, exec_lo, s12
	s_wait_dscnt 0x0
	s_barrier_signal -1
	s_barrier_wait -1
	s_and_saveexec_b32 s12, s101
	s_cbranch_execz .LBB147_635
; %bb.634:                              ;   in Loop: Header=BB147_3 Depth=1
	ds_load_b64 v[48:49], v66 offset:11392
	ds_load_b64 v[100:101], v65
	s_wait_dscnt 0x0
	v_dual_mul_f32 v0, v101, v49 :: v_dual_mul_f32 v27, v100, v49
	s_delay_alu instid0(VALU_DEP_1) | instskip(NEXT) | instid1(VALU_DEP_1)
	v_dual_fma_f32 v0, v100, v48, -v0 :: v_dual_fmac_f32 v27, v101, v48
	v_dual_sub_f32 v46, v46, v0 :: v_dual_sub_f32 v47, v47, v27
.LBB147_635:                            ;   in Loop: Header=BB147_3 Depth=1
	s_or_b32 exec_lo, exec_lo, s12
	s_barrier_signal -1
	s_barrier_wait -1
	s_and_saveexec_b32 s12, s102
; %bb.636:                              ;   in Loop: Header=BB147_3 Depth=1
	v_pk_add_f32 v[48:49], v[46:47], 0 neg_lo:[1,1] neg_hi:[1,1]
	ds_store_b64 v65, v[48:49]
; %bb.637:                              ;   in Loop: Header=BB147_3 Depth=1
	s_or_b32 exec_lo, exec_lo, s12
	s_wait_dscnt 0x0
	s_barrier_signal -1
	s_barrier_wait -1
	s_and_saveexec_b32 s12, s103
	s_cbranch_execz .LBB147_639
; %bb.638:                              ;   in Loop: Header=BB147_3 Depth=1
	ds_load_b64 v[48:49], v66 offset:10880
	ds_load_b64 v[100:101], v65
	s_wait_dscnt 0x0
	v_dual_mul_f32 v0, v101, v49 :: v_dual_mul_f32 v103, v100, v49
	s_delay_alu instid0(VALU_DEP_1) | instskip(NEXT) | instid1(VALU_DEP_1)
	v_dual_fma_f32 v102, v100, v48, -v0 :: v_dual_fmac_f32 v103, v101, v48
	v_pk_add_f32 v[46:47], v[46:47], v[102:103] neg_lo:[0,1] neg_hi:[0,1]
.LBB147_639:                            ;   in Loop: Header=BB147_3 Depth=1
	s_or_b32 exec_lo, exec_lo, s12
	s_barrier_signal -1
	s_barrier_wait -1
	s_and_saveexec_b32 s12, s104
; %bb.640:                              ;   in Loop: Header=BB147_3 Depth=1
	v_pk_add_f32 v[48:49], v[46:47], 0 neg_lo:[1,1] neg_hi:[1,1]
	ds_store_b64 v65, v[48:49]
; %bb.641:                              ;   in Loop: Header=BB147_3 Depth=1
	s_or_b32 exec_lo, exec_lo, s12
	s_wait_dscnt 0x0
	s_barrier_signal -1
	s_barrier_wait -1
	s_and_saveexec_b32 s12, vcc_hi
	s_cbranch_execz .LBB147_643
; %bb.642:                              ;   in Loop: Header=BB147_3 Depth=1
	ds_load_b64 v[48:49], v66 offset:10368
	ds_load_b64 v[100:101], v65
	s_wait_dscnt 0x0
	v_pk_mul_f32 v[102:103], v[100:101], v[48:49] op_sel:[1,1] op_sel_hi:[0,1]
	s_delay_alu instid0(VALU_DEP_1) | instskip(SKIP_1) | instid1(VALU_DEP_2)
	v_pk_fma_f32 v[104:105], v[100:101], v[48:49], v[102:103] op_sel_hi:[1,0,1]
	v_pk_fma_f32 v[48:49], v[100:101], v[48:49], v[102:103] neg_lo:[0,0,1] neg_hi:[0,0,1]
	v_mov_b32_e32 v49, v105
	s_delay_alu instid0(VALU_DEP_1)
	v_pk_add_f32 v[46:47], v[46:47], v[48:49] neg_lo:[0,1] neg_hi:[0,1]
.LBB147_643:                            ;   in Loop: Header=BB147_3 Depth=1
	s_or_b32 exec_lo, exec_lo, s12
	s_barrier_signal -1
	s_barrier_wait -1
	s_and_saveexec_b32 s12, s37
; %bb.644:                              ;   in Loop: Header=BB147_3 Depth=1
	v_pk_add_f32 v[48:49], v[46:47], 0 neg_lo:[1,1] neg_hi:[1,1]
	ds_store_b64 v65, v[48:49]
; %bb.645:                              ;   in Loop: Header=BB147_3 Depth=1
	s_or_b32 exec_lo, exec_lo, s12
	s_wait_dscnt 0x0
	s_barrier_signal -1
	s_barrier_wait -1
	s_and_saveexec_b32 s12, s38
	s_cbranch_execz .LBB147_647
; %bb.646:                              ;   in Loop: Header=BB147_3 Depth=1
	ds_load_b64 v[48:49], v66 offset:9856
	ds_load_b64 v[100:101], v65
	s_wait_dscnt 0x0
	v_pk_mul_f32 v[102:103], v[100:101], v[48:49] op_sel:[1,1] op_sel_hi:[0,1]
	s_delay_alu instid0(VALU_DEP_1) | instskip(SKIP_1) | instid1(VALU_DEP_2)
	v_pk_fma_f32 v[104:105], v[100:101], v[48:49], v[102:103] op_sel_hi:[1,0,1]
	v_pk_fma_f32 v[48:49], v[100:101], v[48:49], v[102:103] neg_lo:[0,0,1] neg_hi:[0,0,1]
	v_mov_b32_e32 v49, v105
	s_delay_alu instid0(VALU_DEP_1)
	v_pk_add_f32 v[46:47], v[46:47], v[48:49] neg_lo:[0,1] neg_hi:[0,1]
.LBB147_647:                            ;   in Loop: Header=BB147_3 Depth=1
	s_or_b32 exec_lo, exec_lo, s12
	s_barrier_signal -1
	s_barrier_wait -1
	s_and_saveexec_b32 s12, s39
; %bb.648:                              ;   in Loop: Header=BB147_3 Depth=1
	v_pk_add_f32 v[48:49], v[46:47], 0 neg_lo:[1,1] neg_hi:[1,1]
	ds_store_b64 v65, v[48:49]
; %bb.649:                              ;   in Loop: Header=BB147_3 Depth=1
	s_or_b32 exec_lo, exec_lo, s12
	s_wait_dscnt 0x0
	s_barrier_signal -1
	s_barrier_wait -1
	s_and_saveexec_b32 s12, s40
	;; [unrolled: 26-line block ×3, first 2 shown]
	s_cbranch_execz .LBB147_655
; %bb.654:                              ;   in Loop: Header=BB147_3 Depth=1
	ds_load_b64 v[48:49], v1 offset:8832
	ds_load_b64 v[100:101], v65
	s_wait_dscnt 0x0
	v_pk_mul_f32 v[102:103], v[100:101], v[48:49] op_sel:[1,1] op_sel_hi:[0,1]
	s_delay_alu instid0(VALU_DEP_1) | instskip(SKIP_1) | instid1(VALU_DEP_2)
	v_pk_fma_f32 v[104:105], v[100:101], v[48:49], v[102:103] op_sel_hi:[1,0,1]
	v_pk_fma_f32 v[48:49], v[100:101], v[48:49], v[102:103] neg_lo:[0,0,1] neg_hi:[0,0,1]
	v_mov_b32_e32 v49, v105
	s_delay_alu instid0(VALU_DEP_1)
	v_pk_add_f32 v[46:47], v[46:47], v[48:49] neg_lo:[0,1] neg_hi:[0,1]
.LBB147_655:                            ;   in Loop: Header=BB147_3 Depth=1
	s_or_b32 exec_lo, exec_lo, s12
	s_barrier_signal -1
	s_barrier_wait -1
	s_and_saveexec_b32 s12, s42
; %bb.656:                              ;   in Loop: Header=BB147_3 Depth=1
	v_pk_add_f32 v[48:49], v[46:47], 0 neg_lo:[1,1] neg_hi:[1,1]
	ds_store_b64 v65, v[48:49]
; %bb.657:                              ;   in Loop: Header=BB147_3 Depth=1
	s_or_b32 exec_lo, exec_lo, s12
	s_wait_dscnt 0x0
	s_barrier_signal -1
	s_barrier_wait -1
	s_barrier_signal -1
	s_barrier_wait -1
	s_and_saveexec_b32 s12, s4
; %bb.658:                              ;   in Loop: Header=BB147_3 Depth=1
	ds_store_b64 v71, v[46:47] offset:16000
; %bb.659:                              ;   in Loop: Header=BB147_3 Depth=1
	s_or_b32 exec_lo, exec_lo, s12
	s_wait_dscnt 0x0
	s_barrier_signal -1
	s_barrier_wait -1
	s_barrier_signal -1
	s_barrier_wait -1
	s_and_saveexec_b32 s12, s43
	s_cbranch_execz .LBB147_661
; %bb.660:                              ;   in Loop: Header=BB147_3 Depth=1
	ds_load_b64 v[46:47], v69 offset:12416
	s_wait_dscnt 0x0
	ds_store_b64 v70, v[46:47] offset:8384
	ds_load_b64 v[46:47], v69 offset:12424
	s_wait_dscnt 0x0
	ds_store_b64 v70, v[46:47] offset:8896
	;; [unrolled: 3-line block ×8, first 2 shown]
.LBB147_661:                            ;   in Loop: Header=BB147_3 Depth=1
	s_or_b32 exec_lo, exec_lo, s12
	s_wait_dscnt 0x0
	s_barrier_signal -1
	s_barrier_wait -1
	s_and_saveexec_b32 s12, s10
	s_cbranch_execz .LBB147_663
; %bb.662:                              ;   in Loop: Header=BB147_3 Depth=1
	ds_load_b64 v[46:47], v1 offset:11952
	v_add_nc_u32_e64 v0, 0x2800, 0
	ds_store_b64 v1, v[30:31] offset:11960
	s_wait_dscnt 0x1
	ds_store_2addr_b64 v0, v[30:31], v[46:47] offset0:150 offset1:151
.LBB147_663:                            ;   in Loop: Header=BB147_3 Depth=1
	s_or_b32 exec_lo, exec_lo, s12
	v_dual_mov_b32 v46, 0 :: v_dual_mov_b32 v47, 0
	s_wait_dscnt 0x0
	s_barrier_signal -1
	s_barrier_wait -1
	global_wb scope:SCOPE_DEV
	s_wait_storecnt 0x0
	global_inv scope:SCOPE_DEV
	s_and_saveexec_b32 s12, s1
	s_cbranch_execz .LBB147_667
; %bb.664:                              ;   in Loop: Header=BB147_3 Depth=1
	ds_load_b64 v[46:47], v52 offset:11424
	ds_load_b64 v[48:49], v53 offset:11952
	s_wait_dscnt 0x0
	v_pk_mul_f32 v[100:101], v[48:49], v[46:47] op_sel:[1,1] op_sel_hi:[0,1]
	s_delay_alu instid0(VALU_DEP_1) | instskip(SKIP_1) | instid1(VALU_DEP_2)
	v_pk_fma_f32 v[102:103], v[48:49], v[46:47], v[100:101] op_sel_hi:[1,0,1]
	v_pk_fma_f32 v[46:47], v[48:49], v[46:47], v[100:101] neg_lo:[0,0,1] neg_hi:[0,0,1]
	v_mov_b32_e32 v47, v103
	s_delay_alu instid0(VALU_DEP_1)
	v_pk_add_f32 v[46:47], v[46:47], 0 op_sel_hi:[1,0]
	s_and_saveexec_b32 s17, s13
	s_cbranch_execz .LBB147_666
; %bb.665:                              ;   in Loop: Header=BB147_3 Depth=1
	ds_load_b64 v[48:49], v70 offset:11936
	ds_load_b64 v[100:101], v1 offset:11960
	s_wait_dscnt 0x0
	v_pk_mul_f32 v[102:103], v[100:101], v[48:49] op_sel:[1,1] op_sel_hi:[0,1]
	s_delay_alu instid0(VALU_DEP_1) | instskip(SKIP_1) | instid1(VALU_DEP_2)
	v_pk_fma_f32 v[104:105], v[100:101], v[48:49], v[102:103] op_sel_hi:[1,0,1]
	v_pk_fma_f32 v[48:49], v[100:101], v[48:49], v[102:103] neg_lo:[0,0,1] neg_hi:[0,0,1]
	v_mov_b32_e32 v49, v105
	s_delay_alu instid0(VALU_DEP_1)
	v_pk_add_f32 v[46:47], v[46:47], v[48:49]
.LBB147_666:                            ;   in Loop: Header=BB147_3 Depth=1
	s_or_b32 exec_lo, exec_lo, s17
.LBB147_667:                            ;   in Loop: Header=BB147_3 Depth=1
	s_delay_alu instid0(SALU_CYCLE_1)
	s_or_b32 exec_lo, exec_lo, s12
	s_and_saveexec_b32 s12, s88
; %bb.668:                              ;   in Loop: Header=BB147_3 Depth=1
	s_delay_alu instid0(VALU_DEP_1)
	v_pk_add_f32 v[48:49], v[46:47], 0 neg_lo:[1,1] neg_hi:[1,1]
	ds_store_b64 v51, v[48:49]
; %bb.669:                              ;   in Loop: Header=BB147_3 Depth=1
	s_or_b32 exec_lo, exec_lo, s12
	s_wait_loadcnt_dscnt 0x0
	s_barrier_signal -1
	s_barrier_wait -1
	s_and_saveexec_b32 s12, s89
	s_cbranch_execz .LBB147_671
; %bb.670:                              ;   in Loop: Header=BB147_3 Depth=1
	ds_load_b64 v[48:49], v1 offset:10912
	ds_load_b64 v[100:101], v51
	s_wait_dscnt 0x0
	v_pk_mul_f32 v[102:103], v[100:101], v[48:49] op_sel_hi:[1,0]
	s_delay_alu instid0(VALU_DEP_1) | instskip(SKIP_1) | instid1(VALU_DEP_2)
	v_pk_fma_f32 v[104:105], v[100:101], v[48:49], v[102:103] op_sel:[1,1,0] op_sel_hi:[0,1,1]
	v_pk_fma_f32 v[48:49], v[100:101], v[48:49], v[102:103] op_sel:[1,1,0] op_sel_hi:[0,1,1] neg_lo:[0,0,1] neg_hi:[0,0,1]
	v_pk_add_f32 v[100:101], v[46:47], v[104:105] neg_lo:[0,1] neg_hi:[0,1]
	s_delay_alu instid0(VALU_DEP_2) | instskip(NEXT) | instid1(VALU_DEP_2)
	v_pk_add_f32 v[46:47], v[46:47], v[48:49]
	v_mov_b32_e32 v47, v101
.LBB147_671:                            ;   in Loop: Header=BB147_3 Depth=1
	s_or_b32 exec_lo, exec_lo, s12
	s_barrier_signal -1
	s_barrier_wait -1
	s_and_saveexec_b32 s12, s89
; %bb.672:                              ;   in Loop: Header=BB147_3 Depth=1
	v_pk_add_f32 v[48:49], v[46:47], 0 neg_lo:[1,1] neg_hi:[1,1]
	ds_store_b64 v51, v[48:49]
; %bb.673:                              ;   in Loop: Header=BB147_3 Depth=1
	s_or_b32 exec_lo, exec_lo, s12
	s_wait_dscnt 0x0
	s_barrier_signal -1
	s_barrier_wait -1
	s_barrier_signal -1
	s_barrier_wait -1
	s_and_saveexec_b32 s12, s1
; %bb.674:                              ;   in Loop: Header=BB147_3 Depth=1
	ds_store_b64 v55, v[46:47] offset:11936
; %bb.675:                              ;   in Loop: Header=BB147_3 Depth=1
	s_or_b32 exec_lo, exec_lo, s12
	s_wait_dscnt 0x0
	s_barrier_signal -1
	s_barrier_wait -1
	s_barrier_signal -1
	s_barrier_wait -1
	s_and_saveexec_b32 s12, s90
	s_cbranch_execz .LBB147_677
; %bb.676:                              ;   in Loop: Header=BB147_3 Depth=1
	ds_load_b64 v[46:47], v72 offset:11424
	s_wait_dscnt 0x0
	ds_store_b64 v70, v[46:47] offset:10416
	ds_load_b64 v[46:47], v72 offset:11432
	s_wait_dscnt 0x0
	ds_store_b64 v70, v[46:47] offset:10928
.LBB147_677:                            ;   in Loop: Header=BB147_3 Depth=1
	s_or_b32 exec_lo, exec_lo, s12
	s_wait_dscnt 0x0
	s_barrier_signal -1
	s_barrier_wait -1
	s_and_saveexec_b32 s12, s10
	s_cbranch_execz .LBB147_679
; %bb.678:                              ;   in Loop: Header=BB147_3 Depth=1
	ds_load_b64 v[46:47], v1 offset:10912
	v_add_nc_u32_e64 v0, 0x2800, 0
	ds_store_b64 v1, v[30:31] offset:10920
	s_wait_dscnt 0x1
	ds_store_2addr_b64 v0, v[30:31], v[46:47] offset0:20 offset1:21
.LBB147_679:                            ;   in Loop: Header=BB147_3 Depth=1
	s_or_b32 exec_lo, exec_lo, s12
	v_mov_b64_e32 v[46:47], 0
	s_wait_dscnt 0x0
	s_barrier_signal -1
	s_barrier_wait -1
	global_wb scope:SCOPE_DEV
	s_wait_storecnt 0x0
	global_inv scope:SCOPE_DEV
	s_and_saveexec_b32 s12, s3
	s_cbranch_execz .LBB147_685
; %bb.680:                              ;   in Loop: Header=BB147_3 Depth=1
	ds_load_b64 v[46:47], v58 offset:10368
	ds_load_b64 v[48:49], v59 offset:11936
	s_wait_dscnt 0x0
	v_dual_mul_f32 v0, v49, v47 :: v_dual_mul_f32 v27, v48, v47
	s_delay_alu instid0(VALU_DEP_1) | instskip(NEXT) | instid1(VALU_DEP_1)
	v_dual_fma_f32 v0, v48, v46, -v0 :: v_dual_fmac_f32 v27, v49, v46
	v_dual_add_f32 v46, 0, v0 :: v_dual_add_f32 v47, 0, v27
	s_and_saveexec_b32 s17, s14
	s_cbranch_execnz .LBB147_1110
; %bb.681:                              ;   in Loop: Header=BB147_3 Depth=1
	s_or_b32 exec_lo, exec_lo, s17
	s_and_saveexec_b32 s17, s15
	s_cbranch_execnz .LBB147_1111
.LBB147_682:                            ;   in Loop: Header=BB147_3 Depth=1
	s_or_b32 exec_lo, exec_lo, s17
	s_and_saveexec_b32 s17, s1
	s_cbranch_execz .LBB147_684
.LBB147_683:                            ;   in Loop: Header=BB147_3 Depth=1
	ds_load_b64 v[48:49], v3 offset:11904
	ds_load_b64 v[100:101], v1 offset:11960
	s_wait_dscnt 0x0
	v_pk_mul_f32 v[102:103], v[100:101], v[48:49] op_sel:[1,1] op_sel_hi:[0,1]
	s_delay_alu instid0(VALU_DEP_1) | instskip(SKIP_1) | instid1(VALU_DEP_2)
	v_pk_fma_f32 v[104:105], v[100:101], v[48:49], v[102:103] op_sel_hi:[1,0,1]
	v_pk_fma_f32 v[48:49], v[100:101], v[48:49], v[102:103] neg_lo:[0,0,1] neg_hi:[0,0,1]
	v_mov_b32_e32 v49, v105
	s_delay_alu instid0(VALU_DEP_1)
	v_pk_add_f32 v[46:47], v[46:47], v[48:49]
.LBB147_684:                            ;   in Loop: Header=BB147_3 Depth=1
	s_or_b32 exec_lo, exec_lo, s17
.LBB147_685:                            ;   in Loop: Header=BB147_3 Depth=1
	s_delay_alu instid0(SALU_CYCLE_1)
	s_or_b32 exec_lo, exec_lo, s12
	s_and_saveexec_b32 s12, s91
; %bb.686:                              ;   in Loop: Header=BB147_3 Depth=1
	s_delay_alu instid0(VALU_DEP_1)
	v_pk_add_f32 v[48:49], v[46:47], 0 neg_lo:[1,1] neg_hi:[1,1]
	ds_store_b64 v57, v[48:49]
; %bb.687:                              ;   in Loop: Header=BB147_3 Depth=1
	s_or_b32 exec_lo, exec_lo, s12
	s_wait_loadcnt_dscnt 0x0
	s_barrier_signal -1
	s_barrier_wait -1
	s_and_saveexec_b32 s12, s92
	s_cbranch_execz .LBB147_689
; %bb.688:                              ;   in Loop: Header=BB147_3 Depth=1
	ds_load_b64 v[48:49], v58 offset:9856
	ds_load_b64 v[100:101], v57
	s_wait_dscnt 0x0
	v_pk_mul_f32 v[102:103], v[100:101], v[48:49] op_sel:[1,1] op_sel_hi:[0,1]
	s_delay_alu instid0(VALU_DEP_1) | instskip(SKIP_1) | instid1(VALU_DEP_2)
	v_pk_fma_f32 v[104:105], v[100:101], v[48:49], v[102:103] op_sel_hi:[1,0,1]
	v_pk_fma_f32 v[48:49], v[100:101], v[48:49], v[102:103] neg_lo:[0,0,1] neg_hi:[0,0,1]
	v_mov_b32_e32 v49, v105
	s_delay_alu instid0(VALU_DEP_1)
	v_pk_add_f32 v[46:47], v[46:47], v[48:49] neg_lo:[0,1] neg_hi:[0,1]
.LBB147_689:                            ;   in Loop: Header=BB147_3 Depth=1
	s_or_b32 exec_lo, exec_lo, s12
	s_barrier_signal -1
	s_barrier_wait -1
	s_and_saveexec_b32 s12, s93
; %bb.690:                              ;   in Loop: Header=BB147_3 Depth=1
	v_pk_add_f32 v[48:49], v[46:47], 0 neg_lo:[1,1] neg_hi:[1,1]
	ds_store_b64 v57, v[48:49]
; %bb.691:                              ;   in Loop: Header=BB147_3 Depth=1
	s_or_b32 exec_lo, exec_lo, s12
	s_wait_dscnt 0x0
	s_barrier_signal -1
	s_barrier_wait -1
	s_and_saveexec_b32 s12, s94
	s_cbranch_execz .LBB147_693
; %bb.692:                              ;   in Loop: Header=BB147_3 Depth=1
	ds_load_b64 v[48:49], v58 offset:9344
	ds_load_b64 v[100:101], v57
	s_wait_dscnt 0x0
	v_pk_mul_f32 v[102:103], v[100:101], v[48:49] op_sel:[1,1] op_sel_hi:[0,1]
	s_delay_alu instid0(VALU_DEP_1) | instskip(SKIP_1) | instid1(VALU_DEP_2)
	v_pk_fma_f32 v[104:105], v[100:101], v[48:49], v[102:103] op_sel_hi:[1,0,1]
	v_pk_fma_f32 v[48:49], v[100:101], v[48:49], v[102:103] neg_lo:[0,0,1] neg_hi:[0,0,1]
	v_mov_b32_e32 v49, v105
	s_delay_alu instid0(VALU_DEP_1)
	v_pk_add_f32 v[46:47], v[46:47], v[48:49] neg_lo:[0,1] neg_hi:[0,1]
.LBB147_693:                            ;   in Loop: Header=BB147_3 Depth=1
	s_or_b32 exec_lo, exec_lo, s12
	s_barrier_signal -1
	s_barrier_wait -1
	s_and_saveexec_b32 s12, s95
; %bb.694:                              ;   in Loop: Header=BB147_3 Depth=1
	v_pk_add_f32 v[48:49], v[46:47], 0 neg_lo:[1,1] neg_hi:[1,1]
	ds_store_b64 v57, v[48:49]
; %bb.695:                              ;   in Loop: Header=BB147_3 Depth=1
	s_or_b32 exec_lo, exec_lo, s12
	s_wait_dscnt 0x0
	;; [unrolled: 26-line block ×3, first 2 shown]
	s_barrier_signal -1
	s_barrier_wait -1
	s_barrier_signal -1
	s_barrier_wait -1
	s_and_saveexec_b32 s12, s3
; %bb.700:                              ;   in Loop: Header=BB147_3 Depth=1
	ds_store_b64 v62, v[46:47] offset:11904
; %bb.701:                              ;   in Loop: Header=BB147_3 Depth=1
	s_or_b32 exec_lo, exec_lo, s12
	s_wait_dscnt 0x0
	s_barrier_signal -1
	s_barrier_wait -1
	s_barrier_signal -1
	s_barrier_wait -1
	s_and_saveexec_b32 s12, s97
	s_cbranch_execz .LBB147_703
; %bb.702:                              ;   in Loop: Header=BB147_3 Depth=1
	ds_load_b64 v[46:47], v7 offset:10368
	s_wait_dscnt 0x0
	ds_store_b64 v83, v[46:47] offset:8352
	ds_load_b64 v[46:47], v7 offset:10376
	s_wait_dscnt 0x0
	ds_store_b64 v83, v[46:47] offset:8864
	;; [unrolled: 3-line block ×4, first 2 shown]
.LBB147_703:                            ;   in Loop: Header=BB147_3 Depth=1
	s_or_b32 exec_lo, exec_lo, s12
	s_wait_dscnt 0x0
	s_barrier_signal -1
	s_barrier_wait -1
	s_and_saveexec_b32 s12, s10
	s_cbranch_execz .LBB147_705
; %bb.704:                              ;   in Loop: Header=BB147_3 Depth=1
	ds_load_b64 v[46:47], v1 offset:9872
	v_add_nc_u32_e64 v0, 0x2000, 0
	ds_store_b64 v1, v[30:31] offset:9880
	s_wait_dscnt 0x1
	ds_store_2addr_b64 v0, v[30:31], v[46:47] offset0:146 offset1:147
.LBB147_705:                            ;   in Loop: Header=BB147_3 Depth=1
	s_or_b32 exec_lo, exec_lo, s12
	v_dual_mov_b32 v46, 0 :: v_dual_mov_b32 v47, 0
	s_wait_dscnt 0x0
	s_barrier_signal -1
	s_barrier_wait -1
	global_wb scope:SCOPE_DEV
	s_wait_storecnt 0x0
	global_inv scope:SCOPE_DEV
	s_and_saveexec_b32 s12, s1
	s_cbranch_execz .LBB147_709
; %bb.706:                              ;   in Loop: Header=BB147_3 Depth=1
	ds_load_b64 v[46:47], v52 offset:9344
	ds_load_b64 v[48:49], v53 offset:9872
	s_wait_dscnt 0x0
	v_pk_mul_f32 v[100:101], v[48:49], v[46:47] op_sel:[1,1] op_sel_hi:[0,1]
	s_delay_alu instid0(VALU_DEP_1) | instskip(SKIP_1) | instid1(VALU_DEP_2)
	v_pk_fma_f32 v[102:103], v[48:49], v[46:47], v[100:101] op_sel_hi:[1,0,1]
	v_pk_fma_f32 v[46:47], v[48:49], v[46:47], v[100:101] neg_lo:[0,0,1] neg_hi:[0,0,1]
	v_mov_b32_e32 v47, v103
	s_delay_alu instid0(VALU_DEP_1)
	v_pk_add_f32 v[46:47], v[46:47], 0 op_sel_hi:[1,0]
	s_and_saveexec_b32 s17, s13
	s_cbranch_execz .LBB147_708
; %bb.707:                              ;   in Loop: Header=BB147_3 Depth=1
	ds_load_b64 v[48:49], v83 offset:9856
	ds_load_b64 v[100:101], v1 offset:9880
	s_wait_dscnt 0x0
	v_pk_mul_f32 v[102:103], v[100:101], v[48:49] op_sel:[1,1] op_sel_hi:[0,1]
	s_delay_alu instid0(VALU_DEP_1) | instskip(SKIP_1) | instid1(VALU_DEP_2)
	v_pk_fma_f32 v[104:105], v[100:101], v[48:49], v[102:103] op_sel_hi:[1,0,1]
	v_pk_fma_f32 v[48:49], v[100:101], v[48:49], v[102:103] neg_lo:[0,0,1] neg_hi:[0,0,1]
	v_mov_b32_e32 v49, v105
	s_delay_alu instid0(VALU_DEP_1)
	v_pk_add_f32 v[46:47], v[46:47], v[48:49]
.LBB147_708:                            ;   in Loop: Header=BB147_3 Depth=1
	s_or_b32 exec_lo, exec_lo, s17
.LBB147_709:                            ;   in Loop: Header=BB147_3 Depth=1
	s_delay_alu instid0(SALU_CYCLE_1)
	s_or_b32 exec_lo, exec_lo, s12
	s_and_saveexec_b32 s12, s88
; %bb.710:                              ;   in Loop: Header=BB147_3 Depth=1
	s_delay_alu instid0(VALU_DEP_1)
	v_pk_add_f32 v[48:49], v[46:47], 0 neg_lo:[1,1] neg_hi:[1,1]
	ds_store_b64 v51, v[48:49]
; %bb.711:                              ;   in Loop: Header=BB147_3 Depth=1
	s_or_b32 exec_lo, exec_lo, s12
	s_wait_loadcnt_dscnt 0x0
	s_barrier_signal -1
	s_barrier_wait -1
	s_and_saveexec_b32 s12, s89
	s_cbranch_execz .LBB147_713
; %bb.712:                              ;   in Loop: Header=BB147_3 Depth=1
	ds_load_b64 v[48:49], v1 offset:8832
	ds_load_b64 v[100:101], v51
	s_wait_dscnt 0x0
	v_pk_mul_f32 v[102:103], v[100:101], v[48:49] op_sel_hi:[1,0]
	s_delay_alu instid0(VALU_DEP_1) | instskip(SKIP_1) | instid1(VALU_DEP_2)
	v_pk_fma_f32 v[104:105], v[100:101], v[48:49], v[102:103] op_sel:[1,1,0] op_sel_hi:[0,1,1]
	v_pk_fma_f32 v[48:49], v[100:101], v[48:49], v[102:103] op_sel:[1,1,0] op_sel_hi:[0,1,1] neg_lo:[0,0,1] neg_hi:[0,0,1]
	v_pk_add_f32 v[100:101], v[46:47], v[104:105] neg_lo:[0,1] neg_hi:[0,1]
	s_delay_alu instid0(VALU_DEP_2) | instskip(NEXT) | instid1(VALU_DEP_2)
	v_pk_add_f32 v[46:47], v[46:47], v[48:49]
	v_mov_b32_e32 v47, v101
.LBB147_713:                            ;   in Loop: Header=BB147_3 Depth=1
	s_or_b32 exec_lo, exec_lo, s12
	s_barrier_signal -1
	s_barrier_wait -1
	s_and_saveexec_b32 s12, s89
; %bb.714:                              ;   in Loop: Header=BB147_3 Depth=1
	v_pk_add_f32 v[48:49], v[46:47], 0 neg_lo:[1,1] neg_hi:[1,1]
	ds_store_b64 v51, v[48:49]
; %bb.715:                              ;   in Loop: Header=BB147_3 Depth=1
	s_or_b32 exec_lo, exec_lo, s12
	s_wait_dscnt 0x0
	s_barrier_signal -1
	s_barrier_wait -1
	s_barrier_signal -1
	s_barrier_wait -1
	s_and_saveexec_b32 s12, s1
; %bb.716:                              ;   in Loop: Header=BB147_3 Depth=1
	ds_store_b64 v55, v[46:47] offset:9856
; %bb.717:                              ;   in Loop: Header=BB147_3 Depth=1
	s_or_b32 exec_lo, exec_lo, s12
	s_wait_dscnt 0x0
	s_barrier_signal -1
	s_barrier_wait -1
	s_barrier_signal -1
	s_barrier_wait -1
	s_and_saveexec_b32 s12, s90
	s_cbranch_execz .LBB147_719
; %bb.718:                              ;   in Loop: Header=BB147_3 Depth=1
	ds_load_b64 v[46:47], v87 offset:9344
	s_wait_dscnt 0x0
	ds_store_b64 v83, v[46:47] offset:8336
	ds_load_b64 v[46:47], v87 offset:9352
	s_wait_dscnt 0x0
	ds_store_b64 v83, v[46:47] offset:8848
.LBB147_719:                            ;   in Loop: Header=BB147_3 Depth=1
	s_or_b32 exec_lo, exec_lo, s12
	s_wait_dscnt 0x0
	s_barrier_signal -1
	s_barrier_wait -1
	s_and_saveexec_b32 s12, s10
	s_cbranch_execz .LBB147_721
; %bb.720:                              ;   in Loop: Header=BB147_3 Depth=1
	ds_load_b64 v[46:47], v1 offset:8832
	v_add_nc_u32_e64 v0, 0x2000, 0
	ds_store_b64 v1, v[30:31] offset:8840
	s_wait_dscnt 0x1
	ds_store_2addr_b64 v0, v[30:31], v[46:47] offset0:16 offset1:17
.LBB147_721:                            ;   in Loop: Header=BB147_3 Depth=1
	s_or_b32 exec_lo, exec_lo, s12
	v_mov_b64_e32 v[46:47], 0
	s_wait_dscnt 0x0
	s_barrier_signal -1
	s_barrier_wait -1
	global_wb scope:SCOPE_DEV
	s_wait_storecnt 0x0
	global_inv scope:SCOPE_DEV
	s_and_saveexec_b32 s61, s5
	s_cbranch_execz .LBB147_749
; %bb.722:                              ;   in Loop: Header=BB147_3 Depth=1
	ds_load_b64 v[46:47], v74 offset:8192
	ds_load_b64 v[48:49], v75 offset:16000
	s_wait_dscnt 0x0
	v_dual_mul_f32 v0, v49, v47 :: v_dual_mul_f32 v27, v48, v47
	s_delay_alu instid0(VALU_DEP_1) | instskip(NEXT) | instid1(VALU_DEP_1)
	v_dual_fma_f32 v0, v48, v46, -v0 :: v_dual_fmac_f32 v27, v49, v46
	v_dual_add_f32 v46, 0, v0 :: v_dual_add_f32 v47, 0, v27
	s_mov_b32 s12, exec_lo
	v_readlane_b32 s17, v113, 21
	s_and_b32 s17, s12, s17
	s_delay_alu instid0(SALU_CYCLE_1)
	s_mov_b32 exec_lo, s17
	s_cbranch_execz .LBB147_724
; %bb.723:                              ;   in Loop: Header=BB147_3 Depth=1
	ds_load_b64 v[48:49], v74 offset:8704
	ds_load_b64 v[100:101], v75 offset:16008
	s_wait_dscnt 0x0
	v_dual_mul_f32 v0, v101, v49 :: v_dual_mul_f32 v27, v100, v49
	s_delay_alu instid0(VALU_DEP_1) | instskip(NEXT) | instid1(VALU_DEP_1)
	v_dual_fma_f32 v0, v100, v48, -v0 :: v_dual_fmac_f32 v27, v101, v48
	v_dual_add_f32 v46, v46, v0 :: v_dual_add_f32 v47, v47, v27
.LBB147_724:                            ;   in Loop: Header=BB147_3 Depth=1
	s_or_b32 exec_lo, exec_lo, s12
	s_delay_alu instid0(SALU_CYCLE_1) | instskip(SKIP_2) | instid1(SALU_CYCLE_1)
	s_mov_b32 s12, exec_lo
	v_readlane_b32 s17, v113, 22
	s_and_b32 s17, s12, s17
	s_mov_b32 exec_lo, s17
	s_cbranch_execz .LBB147_726
; %bb.725:                              ;   in Loop: Header=BB147_3 Depth=1
	ds_load_b64 v[48:49], v74 offset:9216
	ds_load_b64 v[100:101], v75 offset:16016
	s_wait_dscnt 0x0
	v_dual_mul_f32 v0, v101, v49 :: v_dual_mul_f32 v27, v100, v49
	s_delay_alu instid0(VALU_DEP_1) | instskip(NEXT) | instid1(VALU_DEP_1)
	v_dual_fma_f32 v0, v100, v48, -v0 :: v_dual_fmac_f32 v27, v101, v48
	v_dual_add_f32 v46, v46, v0 :: v_dual_add_f32 v47, v47, v27
.LBB147_726:                            ;   in Loop: Header=BB147_3 Depth=1
	s_or_b32 exec_lo, exec_lo, s12
	s_delay_alu instid0(SALU_CYCLE_1) | instskip(SKIP_2) | instid1(SALU_CYCLE_1)
	s_mov_b32 s12, exec_lo
	v_readlane_b32 s17, v113, 23
	s_and_b32 s17, s12, s17
	;; [unrolled: 16-line block ×10, first 2 shown]
	s_mov_b32 exec_lo, s17
	s_cbranch_execnz .LBB147_1112
; %bb.743:                              ;   in Loop: Header=BB147_3 Depth=1
	s_or_b32 exec_lo, exec_lo, s12
	s_and_saveexec_b32 s12, s4
	s_cbranch_execnz .LBB147_1113
.LBB147_744:                            ;   in Loop: Header=BB147_3 Depth=1
	s_or_b32 exec_lo, exec_lo, s12
	s_and_saveexec_b32 s12, s18
	s_cbranch_execnz .LBB147_1114
.LBB147_745:                            ;   in Loop: Header=BB147_3 Depth=1
	s_or_b32 exec_lo, exec_lo, s12
	s_and_saveexec_b32 s12, s20
	s_cbranch_execnz .LBB147_1115
.LBB147_746:                            ;   in Loop: Header=BB147_3 Depth=1
	s_or_b32 exec_lo, exec_lo, s12
	s_and_saveexec_b32 s12, s3
	s_cbranch_execz .LBB147_748
.LBB147_747:                            ;   in Loop: Header=BB147_3 Depth=1
	ds_load_b64 v[48:49], v54 offset:15872
	ds_load_b64 v[100:101], v1 offset:16120
	s_wait_dscnt 0x0
	v_pk_mul_f32 v[102:103], v[100:101], v[48:49] op_sel:[1,1] op_sel_hi:[0,1]
	s_delay_alu instid0(VALU_DEP_1) | instskip(SKIP_1) | instid1(VALU_DEP_2)
	v_pk_fma_f32 v[104:105], v[100:101], v[48:49], v[102:103] op_sel_hi:[1,0,1]
	v_pk_fma_f32 v[48:49], v[100:101], v[48:49], v[102:103] neg_lo:[0,0,1] neg_hi:[0,0,1]
	v_mov_b32_e32 v49, v105
	s_delay_alu instid0(VALU_DEP_1)
	v_pk_add_f32 v[46:47], v[46:47], v[48:49]
.LBB147_748:                            ;   in Loop: Header=BB147_3 Depth=1
	s_or_b32 exec_lo, exec_lo, s12
.LBB147_749:                            ;   in Loop: Header=BB147_3 Depth=1
	s_delay_alu instid0(SALU_CYCLE_1) | instskip(NEXT) | instid1(SALU_CYCLE_1)
	s_or_b32 exec_lo, exec_lo, s61
	s_mov_b32 s12, exec_lo
	v_readlane_b32 s17, v113, 1
	s_and_b32 s17, s12, s17
	s_delay_alu instid0(SALU_CYCLE_1)
	s_mov_b32 exec_lo, s17
; %bb.750:                              ;   in Loop: Header=BB147_3 Depth=1
	v_pk_add_f32 v[48:49], v[46:47], 0 neg_lo:[1,1] neg_hi:[1,1]
	ds_store_b64 v73, v[48:49]
; %bb.751:                              ;   in Loop: Header=BB147_3 Depth=1
	s_or_b32 exec_lo, exec_lo, s12
	s_wait_loadcnt_dscnt 0x0
	s_barrier_signal -1
	s_barrier_wait -1
	s_mov_b32 s12, exec_lo
	v_readlane_b32 s17, v113, 2
	s_and_b32 s17, s12, s17
	s_delay_alu instid0(SALU_CYCLE_1)
	s_mov_b32 exec_lo, s17
	s_cbranch_execz .LBB147_753
; %bb.752:                              ;   in Loop: Header=BB147_3 Depth=1
	ds_load_b64 v[48:49], v74 offset:7680
	ds_load_b64 v[100:101], v73
	s_wait_dscnt 0x0
	v_pk_mul_f32 v[102:103], v[100:101], v[48:49] op_sel:[1,1] op_sel_hi:[0,1]
	s_delay_alu instid0(VALU_DEP_1) | instskip(SKIP_1) | instid1(VALU_DEP_2)
	v_pk_fma_f32 v[104:105], v[100:101], v[48:49], v[102:103] op_sel_hi:[1,0,1]
	v_pk_fma_f32 v[48:49], v[100:101], v[48:49], v[102:103] neg_lo:[0,0,1] neg_hi:[0,0,1]
	v_mov_b32_e32 v49, v105
	s_delay_alu instid0(VALU_DEP_1)
	v_pk_add_f32 v[46:47], v[46:47], v[48:49] neg_lo:[0,1] neg_hi:[0,1]
.LBB147_753:                            ;   in Loop: Header=BB147_3 Depth=1
	s_or_b32 exec_lo, exec_lo, s12
	s_barrier_signal -1
	s_barrier_wait -1
	s_mov_b32 s12, exec_lo
	v_readlane_b32 s17, v113, 3
	s_and_b32 s17, s12, s17
	s_delay_alu instid0(SALU_CYCLE_1)
	s_mov_b32 exec_lo, s17
; %bb.754:                              ;   in Loop: Header=BB147_3 Depth=1
	v_pk_add_f32 v[48:49], v[46:47], 0 neg_lo:[1,1] neg_hi:[1,1]
	ds_store_b64 v73, v[48:49]
; %bb.755:                              ;   in Loop: Header=BB147_3 Depth=1
	s_or_b32 exec_lo, exec_lo, s12
	s_wait_dscnt 0x0
	s_barrier_signal -1
	s_barrier_wait -1
	s_mov_b32 s12, exec_lo
	v_readlane_b32 s17, v113, 4
	s_and_b32 s17, s12, s17
	s_delay_alu instid0(SALU_CYCLE_1)
	s_mov_b32 exec_lo, s17
	s_cbranch_execz .LBB147_757
; %bb.756:                              ;   in Loop: Header=BB147_3 Depth=1
	ds_load_b64 v[48:49], v74 offset:7168
	ds_load_b64 v[100:101], v73
	s_wait_dscnt 0x0
	v_pk_mul_f32 v[102:103], v[100:101], v[48:49] op_sel:[1,1] op_sel_hi:[0,1]
	s_delay_alu instid0(VALU_DEP_1) | instskip(SKIP_1) | instid1(VALU_DEP_2)
	v_pk_fma_f32 v[104:105], v[100:101], v[48:49], v[102:103] op_sel_hi:[1,0,1]
	v_pk_fma_f32 v[48:49], v[100:101], v[48:49], v[102:103] neg_lo:[0,0,1] neg_hi:[0,0,1]
	v_mov_b32_e32 v49, v105
	s_delay_alu instid0(VALU_DEP_1)
	v_pk_add_f32 v[46:47], v[46:47], v[48:49] neg_lo:[0,1] neg_hi:[0,1]
.LBB147_757:                            ;   in Loop: Header=BB147_3 Depth=1
	s_or_b32 exec_lo, exec_lo, s12
	s_barrier_signal -1
	s_barrier_wait -1
	s_mov_b32 s12, exec_lo
	v_readlane_b32 s17, v113, 5
	s_and_b32 s17, s12, s17
	s_delay_alu instid0(SALU_CYCLE_1)
	s_mov_b32 exec_lo, s17
; %bb.758:                              ;   in Loop: Header=BB147_3 Depth=1
	v_pk_add_f32 v[48:49], v[46:47], 0 neg_lo:[1,1] neg_hi:[1,1]
	ds_store_b64 v73, v[48:49]
; %bb.759:                              ;   in Loop: Header=BB147_3 Depth=1
	s_or_b32 exec_lo, exec_lo, s12
	s_wait_dscnt 0x0
	;; [unrolled: 34-line block ×3, first 2 shown]
	s_barrier_signal -1
	s_barrier_wait -1
	s_and_saveexec_b32 s12, s52
	s_cbranch_execz .LBB147_765
; %bb.764:                              ;   in Loop: Header=BB147_3 Depth=1
	ds_load_b64 v[48:49], v74 offset:6144
	ds_load_b64 v[100:101], v73
	s_wait_dscnt 0x0
	v_dual_mul_f32 v0, v101, v49 :: v_dual_mul_f32 v27, v100, v49
	s_delay_alu instid0(VALU_DEP_1) | instskip(NEXT) | instid1(VALU_DEP_1)
	v_dual_fma_f32 v0, v100, v48, -v0 :: v_dual_fmac_f32 v27, v101, v48
	v_dual_sub_f32 v46, v46, v0 :: v_dual_sub_f32 v47, v47, v27
.LBB147_765:                            ;   in Loop: Header=BB147_3 Depth=1
	s_or_b32 exec_lo, exec_lo, s12
	s_barrier_signal -1
	s_barrier_wait -1
	s_and_saveexec_b32 s12, s53
; %bb.766:                              ;   in Loop: Header=BB147_3 Depth=1
	v_pk_add_f32 v[48:49], v[46:47], 0 neg_lo:[1,1] neg_hi:[1,1]
	ds_store_b64 v73, v[48:49]
; %bb.767:                              ;   in Loop: Header=BB147_3 Depth=1
	s_or_b32 exec_lo, exec_lo, s12
	s_wait_dscnt 0x0
	s_barrier_signal -1
	s_barrier_wait -1
	s_and_saveexec_b32 s12, s54
	s_cbranch_execz .LBB147_769
; %bb.768:                              ;   in Loop: Header=BB147_3 Depth=1
	ds_load_b64 v[48:49], v74 offset:5632
	ds_load_b64 v[100:101], v73
	s_wait_dscnt 0x0
	v_dual_mul_f32 v0, v101, v49 :: v_dual_mul_f32 v103, v100, v49
	s_delay_alu instid0(VALU_DEP_1) | instskip(NEXT) | instid1(VALU_DEP_1)
	v_dual_fma_f32 v102, v100, v48, -v0 :: v_dual_fmac_f32 v103, v101, v48
	v_pk_add_f32 v[46:47], v[46:47], v[102:103] neg_lo:[0,1] neg_hi:[0,1]
.LBB147_769:                            ;   in Loop: Header=BB147_3 Depth=1
	s_or_b32 exec_lo, exec_lo, s12
	s_barrier_signal -1
	s_barrier_wait -1
	s_and_saveexec_b32 s12, s55
; %bb.770:                              ;   in Loop: Header=BB147_3 Depth=1
	v_pk_add_f32 v[48:49], v[46:47], 0 neg_lo:[1,1] neg_hi:[1,1]
	ds_store_b64 v73, v[48:49]
; %bb.771:                              ;   in Loop: Header=BB147_3 Depth=1
	s_or_b32 exec_lo, exec_lo, s12
	s_wait_dscnt 0x0
	s_barrier_signal -1
	s_barrier_wait -1
	s_and_saveexec_b32 s12, s56
	s_cbranch_execz .LBB147_773
; %bb.772:                              ;   in Loop: Header=BB147_3 Depth=1
	ds_load_b64 v[48:49], v74 offset:5120
	ds_load_b64 v[100:101], v73
	s_wait_dscnt 0x0
	v_pk_mul_f32 v[102:103], v[100:101], v[48:49] op_sel:[1,1] op_sel_hi:[0,1]
	s_delay_alu instid0(VALU_DEP_1) | instskip(SKIP_1) | instid1(VALU_DEP_2)
	v_pk_fma_f32 v[104:105], v[100:101], v[48:49], v[102:103] op_sel_hi:[1,0,1]
	v_pk_fma_f32 v[48:49], v[100:101], v[48:49], v[102:103] neg_lo:[0,0,1] neg_hi:[0,0,1]
	v_mov_b32_e32 v49, v105
	s_delay_alu instid0(VALU_DEP_1)
	v_pk_add_f32 v[46:47], v[46:47], v[48:49] neg_lo:[0,1] neg_hi:[0,1]
.LBB147_773:                            ;   in Loop: Header=BB147_3 Depth=1
	s_or_b32 exec_lo, exec_lo, s12
	s_barrier_signal -1
	s_barrier_wait -1
	s_and_saveexec_b32 s12, s57
; %bb.774:                              ;   in Loop: Header=BB147_3 Depth=1
	v_pk_add_f32 v[48:49], v[46:47], 0 neg_lo:[1,1] neg_hi:[1,1]
	ds_store_b64 v73, v[48:49]
; %bb.775:                              ;   in Loop: Header=BB147_3 Depth=1
	s_or_b32 exec_lo, exec_lo, s12
	s_wait_dscnt 0x0
	s_barrier_signal -1
	s_barrier_wait -1
	s_and_saveexec_b32 s12, s58
	s_cbranch_execz .LBB147_777
; %bb.776:                              ;   in Loop: Header=BB147_3 Depth=1
	ds_load_b64 v[48:49], v74 offset:4608
	ds_load_b64 v[100:101], v73
	s_wait_dscnt 0x0
	v_pk_mul_f32 v[102:103], v[100:101], v[48:49] op_sel:[1,1] op_sel_hi:[0,1]
	s_delay_alu instid0(VALU_DEP_1) | instskip(SKIP_1) | instid1(VALU_DEP_2)
	v_pk_fma_f32 v[104:105], v[100:101], v[48:49], v[102:103] op_sel_hi:[1,0,1]
	v_pk_fma_f32 v[48:49], v[100:101], v[48:49], v[102:103] neg_lo:[0,0,1] neg_hi:[0,0,1]
	v_mov_b32_e32 v49, v105
	s_delay_alu instid0(VALU_DEP_1)
	v_pk_add_f32 v[46:47], v[46:47], v[48:49] neg_lo:[0,1] neg_hi:[0,1]
.LBB147_777:                            ;   in Loop: Header=BB147_3 Depth=1
	s_or_b32 exec_lo, exec_lo, s12
	s_barrier_signal -1
	s_barrier_wait -1
	s_and_saveexec_b32 s12, s59
; %bb.778:                              ;   in Loop: Header=BB147_3 Depth=1
	v_pk_add_f32 v[48:49], v[46:47], 0 neg_lo:[1,1] neg_hi:[1,1]
	ds_store_b64 v73, v[48:49]
; %bb.779:                              ;   in Loop: Header=BB147_3 Depth=1
	s_or_b32 exec_lo, exec_lo, s12
	s_wait_dscnt 0x0
	s_barrier_signal -1
	s_barrier_wait -1
	s_and_saveexec_b32 s12, s60
	s_cbranch_execz .LBB147_781
; %bb.780:                              ;   in Loop: Header=BB147_3 Depth=1
	ds_load_b64 v[48:49], v74 offset:4096
	ds_load_b64 v[100:101], v73
	s_wait_dscnt 0x0
	v_pk_mul_f32 v[102:103], v[100:101], v[48:49] op_sel:[1,1] op_sel_hi:[0,1]
	s_delay_alu instid0(VALU_DEP_1) | instskip(SKIP_1) | instid1(VALU_DEP_2)
	v_pk_fma_f32 v[104:105], v[100:101], v[48:49], v[102:103] op_sel_hi:[1,0,1]
	v_pk_fma_f32 v[48:49], v[100:101], v[48:49], v[102:103] neg_lo:[0,0,1] neg_hi:[0,0,1]
	v_mov_b32_e32 v49, v105
	s_delay_alu instid0(VALU_DEP_1)
	v_pk_add_f32 v[46:47], v[46:47], v[48:49] neg_lo:[0,1] neg_hi:[0,1]
.LBB147_781:                            ;   in Loop: Header=BB147_3 Depth=1
	s_or_b32 exec_lo, exec_lo, s12
	s_barrier_signal -1
	s_barrier_wait -1
	s_and_saveexec_b32 s12, s22
; %bb.782:                              ;   in Loop: Header=BB147_3 Depth=1
	v_pk_add_f32 v[48:49], v[46:47], 0 neg_lo:[1,1] neg_hi:[1,1]
	ds_store_b64 v73, v[48:49]
; %bb.783:                              ;   in Loop: Header=BB147_3 Depth=1
	s_or_b32 exec_lo, exec_lo, s12
	s_wait_dscnt 0x0
	s_barrier_signal -1
	s_barrier_wait -1
	s_and_saveexec_b32 s12, s24
	s_cbranch_execz .LBB147_785
; %bb.784:                              ;   in Loop: Header=BB147_3 Depth=1
	ds_load_b64 v[48:49], v74 offset:3584
	ds_load_b64 v[100:101], v73
	s_wait_dscnt 0x0
	v_pk_mul_f32 v[102:103], v[100:101], v[48:49] op_sel:[1,1] op_sel_hi:[0,1]
	s_delay_alu instid0(VALU_DEP_1) | instskip(SKIP_1) | instid1(VALU_DEP_2)
	v_pk_fma_f32 v[104:105], v[100:101], v[48:49], v[102:103] op_sel_hi:[1,0,1]
	v_pk_fma_f32 v[48:49], v[100:101], v[48:49], v[102:103] neg_lo:[0,0,1] neg_hi:[0,0,1]
	v_mov_b32_e32 v49, v105
	s_delay_alu instid0(VALU_DEP_1)
	v_pk_add_f32 v[46:47], v[46:47], v[48:49] neg_lo:[0,1] neg_hi:[0,1]
.LBB147_785:                            ;   in Loop: Header=BB147_3 Depth=1
	s_or_b32 exec_lo, exec_lo, s12
	s_barrier_signal -1
	s_barrier_wait -1
	s_and_saveexec_b32 s12, s26
; %bb.786:                              ;   in Loop: Header=BB147_3 Depth=1
	v_pk_add_f32 v[48:49], v[46:47], 0 neg_lo:[1,1] neg_hi:[1,1]
	ds_store_b64 v73, v[48:49]
; %bb.787:                              ;   in Loop: Header=BB147_3 Depth=1
	s_or_b32 exec_lo, exec_lo, s12
	s_wait_dscnt 0x0
	s_barrier_signal -1
	s_barrier_wait -1
	s_and_saveexec_b32 s12, s28
	s_cbranch_execz .LBB147_789
; %bb.788:                              ;   in Loop: Header=BB147_3 Depth=1
	ds_load_b64 v[48:49], v74 offset:3072
	ds_load_b64 v[100:101], v73
	s_wait_dscnt 0x0
	v_dual_mul_f32 v0, v101, v49 :: v_dual_mul_f32 v27, v100, v49
	s_delay_alu instid0(VALU_DEP_1) | instskip(NEXT) | instid1(VALU_DEP_1)
	v_dual_fma_f32 v0, v100, v48, -v0 :: v_dual_fmac_f32 v27, v101, v48
	v_dual_sub_f32 v46, v46, v0 :: v_dual_sub_f32 v47, v47, v27
.LBB147_789:                            ;   in Loop: Header=BB147_3 Depth=1
	s_or_b32 exec_lo, exec_lo, s12
	s_barrier_signal -1
	s_barrier_wait -1
	s_and_saveexec_b32 s12, s30
; %bb.790:                              ;   in Loop: Header=BB147_3 Depth=1
	v_pk_add_f32 v[48:49], v[46:47], 0 neg_lo:[1,1] neg_hi:[1,1]
	ds_store_b64 v73, v[48:49]
; %bb.791:                              ;   in Loop: Header=BB147_3 Depth=1
	s_or_b32 exec_lo, exec_lo, s12
	s_wait_dscnt 0x0
	s_barrier_signal -1
	s_barrier_wait -1
	s_and_saveexec_b32 s12, s33
	s_cbranch_execz .LBB147_793
; %bb.792:                              ;   in Loop: Header=BB147_3 Depth=1
	ds_load_b64 v[48:49], v74 offset:2560
	ds_load_b64 v[100:101], v73
	s_wait_dscnt 0x0
	v_dual_mul_f32 v0, v101, v49 :: v_dual_mul_f32 v103, v100, v49
	s_delay_alu instid0(VALU_DEP_1) | instskip(NEXT) | instid1(VALU_DEP_1)
	v_dual_fma_f32 v102, v100, v48, -v0 :: v_dual_fmac_f32 v103, v101, v48
	v_pk_add_f32 v[46:47], v[46:47], v[102:103] neg_lo:[0,1] neg_hi:[0,1]
.LBB147_793:                            ;   in Loop: Header=BB147_3 Depth=1
	s_or_b32 exec_lo, exec_lo, s12
	s_barrier_signal -1
	s_barrier_wait -1
	s_and_saveexec_b32 s12, s45
; %bb.794:                              ;   in Loop: Header=BB147_3 Depth=1
	v_pk_add_f32 v[48:49], v[46:47], 0 neg_lo:[1,1] neg_hi:[1,1]
	ds_store_b64 v73, v[48:49]
; %bb.795:                              ;   in Loop: Header=BB147_3 Depth=1
	s_or_b32 exec_lo, exec_lo, s12
	s_wait_dscnt 0x0
	s_barrier_signal -1
	s_barrier_wait -1
	s_and_saveexec_b32 s12, s23
	s_cbranch_execz .LBB147_797
; %bb.796:                              ;   in Loop: Header=BB147_3 Depth=1
	ds_load_b64 v[48:49], v74 offset:2048
	ds_load_b64 v[100:101], v73
	s_wait_dscnt 0x0
	v_pk_mul_f32 v[102:103], v[100:101], v[48:49] op_sel:[1,1] op_sel_hi:[0,1]
	s_delay_alu instid0(VALU_DEP_1) | instskip(SKIP_1) | instid1(VALU_DEP_2)
	v_pk_fma_f32 v[104:105], v[100:101], v[48:49], v[102:103] op_sel_hi:[1,0,1]
	v_pk_fma_f32 v[48:49], v[100:101], v[48:49], v[102:103] neg_lo:[0,0,1] neg_hi:[0,0,1]
	v_mov_b32_e32 v49, v105
	s_delay_alu instid0(VALU_DEP_1)
	v_pk_add_f32 v[46:47], v[46:47], v[48:49] neg_lo:[0,1] neg_hi:[0,1]
.LBB147_797:                            ;   in Loop: Header=BB147_3 Depth=1
	s_or_b32 exec_lo, exec_lo, s12
	s_barrier_signal -1
	s_barrier_wait -1
	s_and_saveexec_b32 s12, s25
; %bb.798:                              ;   in Loop: Header=BB147_3 Depth=1
	v_pk_add_f32 v[48:49], v[46:47], 0 neg_lo:[1,1] neg_hi:[1,1]
	ds_store_b64 v73, v[48:49]
; %bb.799:                              ;   in Loop: Header=BB147_3 Depth=1
	s_or_b32 exec_lo, exec_lo, s12
	s_wait_dscnt 0x0
	s_barrier_signal -1
	s_barrier_wait -1
	s_and_saveexec_b32 s12, s27
	s_cbranch_execz .LBB147_801
; %bb.800:                              ;   in Loop: Header=BB147_3 Depth=1
	ds_load_b64 v[48:49], v74 offset:1536
	ds_load_b64 v[100:101], v73
	s_wait_dscnt 0x0
	v_pk_mul_f32 v[102:103], v[100:101], v[48:49] op_sel:[1,1] op_sel_hi:[0,1]
	s_delay_alu instid0(VALU_DEP_1) | instskip(SKIP_1) | instid1(VALU_DEP_2)
	v_pk_fma_f32 v[104:105], v[100:101], v[48:49], v[102:103] op_sel_hi:[1,0,1]
	v_pk_fma_f32 v[48:49], v[100:101], v[48:49], v[102:103] neg_lo:[0,0,1] neg_hi:[0,0,1]
	v_mov_b32_e32 v49, v105
	s_delay_alu instid0(VALU_DEP_1)
	v_pk_add_f32 v[46:47], v[46:47], v[48:49] neg_lo:[0,1] neg_hi:[0,1]
.LBB147_801:                            ;   in Loop: Header=BB147_3 Depth=1
	;; [unrolled: 26-line block ×4, first 2 shown]
	s_or_b32 exec_lo, exec_lo, s12
	s_barrier_signal -1
	s_barrier_wait -1
	s_and_saveexec_b32 s12, s44
; %bb.810:                              ;   in Loop: Header=BB147_3 Depth=1
	v_pk_add_f32 v[48:49], v[46:47], 0 neg_lo:[1,1] neg_hi:[1,1]
	ds_store_b64 v73, v[48:49]
; %bb.811:                              ;   in Loop: Header=BB147_3 Depth=1
	s_or_b32 exec_lo, exec_lo, s12
	s_wait_dscnt 0x0
	s_barrier_signal -1
	s_barrier_wait -1
	s_barrier_signal -1
	s_barrier_wait -1
	s_and_saveexec_b32 s12, s5
; %bb.812:                              ;   in Loop: Header=BB147_3 Depth=1
	ds_store_b64 v77, v[46:47] offset:15872
; %bb.813:                              ;   in Loop: Header=BB147_3 Depth=1
	s_or_b32 exec_lo, exec_lo, s12
	s_wait_dscnt 0x0
	s_barrier_signal -1
	s_barrier_wait -1
	s_barrier_signal -1
	s_barrier_wait -1
	s_and_saveexec_b32 s12, s46
	s_cbranch_execz .LBB147_815
; %bb.814:                              ;   in Loop: Header=BB147_3 Depth=1
	ds_load_b64 v[46:47], v56 offset:8192
	s_wait_dscnt 0x0
	ds_store_b64 v60, v[46:47] offset:128
	ds_load_b64 v[46:47], v56 offset:8200
	s_wait_dscnt 0x0
	ds_store_b64 v60, v[46:47] offset:640
	;; [unrolled: 3-line block ×16, first 2 shown]
.LBB147_815:                            ;   in Loop: Header=BB147_3 Depth=1
	s_or_b32 exec_lo, exec_lo, s12
	s_wait_dscnt 0x0
	s_barrier_signal -1
	s_barrier_wait -1
	s_and_saveexec_b32 s12, s10
	s_cbranch_execz .LBB147_817
; %bb.816:                              ;   in Loop: Header=BB147_3 Depth=1
	ds_load_b64 v[46:47], v1 offset:7792
	v_add_nc_u32_e64 v0, 0x1800, 0
	ds_store_b64 v1, v[30:31] offset:7800
	s_wait_dscnt 0x1
	ds_store_2addr_b64 v0, v[30:31], v[46:47] offset0:142 offset1:143
.LBB147_817:                            ;   in Loop: Header=BB147_3 Depth=1
	s_or_b32 exec_lo, exec_lo, s12
	v_dual_mov_b32 v46, 0 :: v_dual_mov_b32 v47, 0
	s_wait_dscnt 0x0
	s_barrier_signal -1
	s_barrier_wait -1
	global_wb scope:SCOPE_DEV
	s_wait_storecnt 0x0
	global_inv scope:SCOPE_DEV
	s_and_saveexec_b32 s12, s1
	s_cbranch_execz .LBB147_821
; %bb.818:                              ;   in Loop: Header=BB147_3 Depth=1
	ds_load_b64 v[46:47], v52 offset:7264
	ds_load_b64 v[48:49], v53 offset:7792
	s_wait_dscnt 0x0
	v_pk_mul_f32 v[100:101], v[48:49], v[46:47] op_sel:[1,1] op_sel_hi:[0,1]
	s_delay_alu instid0(VALU_DEP_1) | instskip(SKIP_1) | instid1(VALU_DEP_2)
	v_pk_fma_f32 v[102:103], v[48:49], v[46:47], v[100:101] op_sel_hi:[1,0,1]
	v_pk_fma_f32 v[46:47], v[48:49], v[46:47], v[100:101] neg_lo:[0,0,1] neg_hi:[0,0,1]
	v_mov_b32_e32 v47, v103
	s_delay_alu instid0(VALU_DEP_1)
	v_pk_add_f32 v[46:47], v[46:47], 0 op_sel_hi:[1,0]
	s_and_saveexec_b32 s17, s13
	s_cbranch_execz .LBB147_820
; %bb.819:                              ;   in Loop: Header=BB147_3 Depth=1
	ds_load_b64 v[48:49], v54 offset:7776
	ds_load_b64 v[100:101], v1 offset:7800
	s_wait_dscnt 0x0
	v_pk_mul_f32 v[102:103], v[100:101], v[48:49] op_sel:[1,1] op_sel_hi:[0,1]
	s_delay_alu instid0(VALU_DEP_1) | instskip(SKIP_1) | instid1(VALU_DEP_2)
	v_pk_fma_f32 v[104:105], v[100:101], v[48:49], v[102:103] op_sel_hi:[1,0,1]
	v_pk_fma_f32 v[48:49], v[100:101], v[48:49], v[102:103] neg_lo:[0,0,1] neg_hi:[0,0,1]
	v_mov_b32_e32 v49, v105
	s_delay_alu instid0(VALU_DEP_1)
	v_pk_add_f32 v[46:47], v[46:47], v[48:49]
.LBB147_820:                            ;   in Loop: Header=BB147_3 Depth=1
	s_or_b32 exec_lo, exec_lo, s17
.LBB147_821:                            ;   in Loop: Header=BB147_3 Depth=1
	s_delay_alu instid0(SALU_CYCLE_1)
	s_or_b32 exec_lo, exec_lo, s12
	s_and_saveexec_b32 s12, s88
; %bb.822:                              ;   in Loop: Header=BB147_3 Depth=1
	s_delay_alu instid0(VALU_DEP_1)
	v_pk_add_f32 v[48:49], v[46:47], 0 neg_lo:[1,1] neg_hi:[1,1]
	ds_store_b64 v51, v[48:49]
; %bb.823:                              ;   in Loop: Header=BB147_3 Depth=1
	s_or_b32 exec_lo, exec_lo, s12
	s_wait_loadcnt_dscnt 0x0
	s_barrier_signal -1
	s_barrier_wait -1
	s_and_saveexec_b32 s12, s89
	s_cbranch_execz .LBB147_825
; %bb.824:                              ;   in Loop: Header=BB147_3 Depth=1
	ds_load_b64 v[48:49], v1 offset:6752
	ds_load_b64 v[100:101], v51
	s_wait_dscnt 0x0
	v_pk_mul_f32 v[102:103], v[100:101], v[48:49] op_sel_hi:[1,0]
	s_delay_alu instid0(VALU_DEP_1) | instskip(SKIP_1) | instid1(VALU_DEP_2)
	v_pk_fma_f32 v[104:105], v[100:101], v[48:49], v[102:103] op_sel:[1,1,0] op_sel_hi:[0,1,1]
	v_pk_fma_f32 v[48:49], v[100:101], v[48:49], v[102:103] op_sel:[1,1,0] op_sel_hi:[0,1,1] neg_lo:[0,0,1] neg_hi:[0,0,1]
	v_pk_add_f32 v[100:101], v[46:47], v[104:105] neg_lo:[0,1] neg_hi:[0,1]
	s_delay_alu instid0(VALU_DEP_2) | instskip(NEXT) | instid1(VALU_DEP_2)
	v_pk_add_f32 v[46:47], v[46:47], v[48:49]
	v_mov_b32_e32 v47, v101
.LBB147_825:                            ;   in Loop: Header=BB147_3 Depth=1
	s_or_b32 exec_lo, exec_lo, s12
	s_barrier_signal -1
	s_barrier_wait -1
	s_and_saveexec_b32 s12, s89
; %bb.826:                              ;   in Loop: Header=BB147_3 Depth=1
	v_pk_add_f32 v[48:49], v[46:47], 0 neg_lo:[1,1] neg_hi:[1,1]
	ds_store_b64 v51, v[48:49]
; %bb.827:                              ;   in Loop: Header=BB147_3 Depth=1
	s_or_b32 exec_lo, exec_lo, s12
	s_wait_dscnt 0x0
	s_barrier_signal -1
	s_barrier_wait -1
	s_barrier_signal -1
	s_barrier_wait -1
	s_and_saveexec_b32 s12, s1
; %bb.828:                              ;   in Loop: Header=BB147_3 Depth=1
	ds_store_b64 v55, v[46:47] offset:7776
; %bb.829:                              ;   in Loop: Header=BB147_3 Depth=1
	s_or_b32 exec_lo, exec_lo, s12
	s_wait_dscnt 0x0
	s_barrier_signal -1
	s_barrier_wait -1
	s_barrier_signal -1
	s_barrier_wait -1
	s_and_saveexec_b32 s12, s90
	s_cbranch_execz .LBB147_831
; %bb.830:                              ;   in Loop: Header=BB147_3 Depth=1
	ds_load_b64 v[46:47], v56 offset:7264
	s_wait_dscnt 0x0
	ds_store_b64 v54, v[46:47] offset:6256
	ds_load_b64 v[46:47], v56 offset:7272
	s_wait_dscnt 0x0
	ds_store_b64 v54, v[46:47] offset:6768
.LBB147_831:                            ;   in Loop: Header=BB147_3 Depth=1
	s_or_b32 exec_lo, exec_lo, s12
	s_wait_dscnt 0x0
	s_barrier_signal -1
	s_barrier_wait -1
	s_and_saveexec_b32 s12, s10
	s_cbranch_execz .LBB147_833
; %bb.832:                              ;   in Loop: Header=BB147_3 Depth=1
	ds_load_b64 v[46:47], v1 offset:6752
	v_add_nc_u32_e64 v0, 0x1800, 0
	ds_store_b64 v1, v[30:31] offset:6760
	s_wait_dscnt 0x1
	ds_store_2addr_b64 v0, v[30:31], v[46:47] offset0:12 offset1:13
.LBB147_833:                            ;   in Loop: Header=BB147_3 Depth=1
	s_or_b32 exec_lo, exec_lo, s12
	v_mov_b64_e32 v[46:47], 0
	s_wait_dscnt 0x0
	s_barrier_signal -1
	s_barrier_wait -1
	global_wb scope:SCOPE_DEV
	s_wait_storecnt 0x0
	global_inv scope:SCOPE_DEV
	s_and_saveexec_b32 s12, s3
	s_cbranch_execz .LBB147_839
; %bb.834:                              ;   in Loop: Header=BB147_3 Depth=1
	ds_load_b64 v[46:47], v58 offset:6208
	ds_load_b64 v[48:49], v59 offset:7776
	s_wait_dscnt 0x0
	v_dual_mul_f32 v0, v49, v47 :: v_dual_mul_f32 v27, v48, v47
	s_delay_alu instid0(VALU_DEP_1) | instskip(NEXT) | instid1(VALU_DEP_1)
	v_dual_fma_f32 v0, v48, v46, -v0 :: v_dual_fmac_f32 v27, v49, v46
	v_dual_add_f32 v46, 0, v0 :: v_dual_add_f32 v47, 0, v27
	s_and_saveexec_b32 s17, s14
	s_cbranch_execnz .LBB147_1116
; %bb.835:                              ;   in Loop: Header=BB147_3 Depth=1
	s_or_b32 exec_lo, exec_lo, s17
	s_and_saveexec_b32 s17, s15
	s_cbranch_execnz .LBB147_1117
.LBB147_836:                            ;   in Loop: Header=BB147_3 Depth=1
	s_or_b32 exec_lo, exec_lo, s17
	s_and_saveexec_b32 s17, s1
	s_cbranch_execz .LBB147_838
.LBB147_837:                            ;   in Loop: Header=BB147_3 Depth=1
	ds_load_b64 v[48:49], v60 offset:7744
	ds_load_b64 v[100:101], v1 offset:7800
	s_wait_dscnt 0x0
	v_pk_mul_f32 v[102:103], v[100:101], v[48:49] op_sel:[1,1] op_sel_hi:[0,1]
	s_delay_alu instid0(VALU_DEP_1) | instskip(SKIP_1) | instid1(VALU_DEP_2)
	v_pk_fma_f32 v[104:105], v[100:101], v[48:49], v[102:103] op_sel_hi:[1,0,1]
	v_pk_fma_f32 v[48:49], v[100:101], v[48:49], v[102:103] neg_lo:[0,0,1] neg_hi:[0,0,1]
	v_mov_b32_e32 v49, v105
	s_delay_alu instid0(VALU_DEP_1)
	v_pk_add_f32 v[46:47], v[46:47], v[48:49]
.LBB147_838:                            ;   in Loop: Header=BB147_3 Depth=1
	s_or_b32 exec_lo, exec_lo, s17
.LBB147_839:                            ;   in Loop: Header=BB147_3 Depth=1
	s_delay_alu instid0(SALU_CYCLE_1)
	s_or_b32 exec_lo, exec_lo, s12
	s_and_saveexec_b32 s12, s91
; %bb.840:                              ;   in Loop: Header=BB147_3 Depth=1
	s_delay_alu instid0(VALU_DEP_1)
	v_pk_add_f32 v[48:49], v[46:47], 0 neg_lo:[1,1] neg_hi:[1,1]
	ds_store_b64 v57, v[48:49]
; %bb.841:                              ;   in Loop: Header=BB147_3 Depth=1
	s_or_b32 exec_lo, exec_lo, s12
	s_wait_loadcnt_dscnt 0x0
	s_barrier_signal -1
	s_barrier_wait -1
	s_and_saveexec_b32 s12, s92
	s_cbranch_execz .LBB147_843
; %bb.842:                              ;   in Loop: Header=BB147_3 Depth=1
	ds_load_b64 v[48:49], v58 offset:5696
	ds_load_b64 v[100:101], v57
	s_wait_dscnt 0x0
	v_pk_mul_f32 v[102:103], v[100:101], v[48:49] op_sel:[1,1] op_sel_hi:[0,1]
	s_delay_alu instid0(VALU_DEP_1) | instskip(SKIP_1) | instid1(VALU_DEP_2)
	v_pk_fma_f32 v[104:105], v[100:101], v[48:49], v[102:103] op_sel_hi:[1,0,1]
	v_pk_fma_f32 v[48:49], v[100:101], v[48:49], v[102:103] neg_lo:[0,0,1] neg_hi:[0,0,1]
	v_mov_b32_e32 v49, v105
	s_delay_alu instid0(VALU_DEP_1)
	v_pk_add_f32 v[46:47], v[46:47], v[48:49] neg_lo:[0,1] neg_hi:[0,1]
.LBB147_843:                            ;   in Loop: Header=BB147_3 Depth=1
	s_or_b32 exec_lo, exec_lo, s12
	s_barrier_signal -1
	s_barrier_wait -1
	s_and_saveexec_b32 s12, s93
; %bb.844:                              ;   in Loop: Header=BB147_3 Depth=1
	v_pk_add_f32 v[48:49], v[46:47], 0 neg_lo:[1,1] neg_hi:[1,1]
	ds_store_b64 v57, v[48:49]
; %bb.845:                              ;   in Loop: Header=BB147_3 Depth=1
	s_or_b32 exec_lo, exec_lo, s12
	s_wait_dscnt 0x0
	s_barrier_signal -1
	s_barrier_wait -1
	s_and_saveexec_b32 s12, s94
	s_cbranch_execz .LBB147_847
; %bb.846:                              ;   in Loop: Header=BB147_3 Depth=1
	ds_load_b64 v[48:49], v58 offset:5184
	ds_load_b64 v[100:101], v57
	s_wait_dscnt 0x0
	v_pk_mul_f32 v[102:103], v[100:101], v[48:49] op_sel:[1,1] op_sel_hi:[0,1]
	s_delay_alu instid0(VALU_DEP_1) | instskip(SKIP_1) | instid1(VALU_DEP_2)
	v_pk_fma_f32 v[104:105], v[100:101], v[48:49], v[102:103] op_sel_hi:[1,0,1]
	v_pk_fma_f32 v[48:49], v[100:101], v[48:49], v[102:103] neg_lo:[0,0,1] neg_hi:[0,0,1]
	v_mov_b32_e32 v49, v105
	s_delay_alu instid0(VALU_DEP_1)
	v_pk_add_f32 v[46:47], v[46:47], v[48:49] neg_lo:[0,1] neg_hi:[0,1]
.LBB147_847:                            ;   in Loop: Header=BB147_3 Depth=1
	s_or_b32 exec_lo, exec_lo, s12
	s_barrier_signal -1
	s_barrier_wait -1
	s_and_saveexec_b32 s12, s95
; %bb.848:                              ;   in Loop: Header=BB147_3 Depth=1
	v_pk_add_f32 v[48:49], v[46:47], 0 neg_lo:[1,1] neg_hi:[1,1]
	ds_store_b64 v57, v[48:49]
; %bb.849:                              ;   in Loop: Header=BB147_3 Depth=1
	s_or_b32 exec_lo, exec_lo, s12
	s_wait_dscnt 0x0
	;; [unrolled: 26-line block ×3, first 2 shown]
	s_barrier_signal -1
	s_barrier_wait -1
	s_barrier_signal -1
	s_barrier_wait -1
	s_and_saveexec_b32 s12, s3
; %bb.854:                              ;   in Loop: Header=BB147_3 Depth=1
	ds_store_b64 v62, v[46:47] offset:7744
; %bb.855:                              ;   in Loop: Header=BB147_3 Depth=1
	s_or_b32 exec_lo, exec_lo, s12
	s_wait_dscnt 0x0
	s_barrier_signal -1
	s_barrier_wait -1
	s_barrier_signal -1
	s_barrier_wait -1
	s_and_saveexec_b32 s12, s97
	s_cbranch_execz .LBB147_857
; %bb.856:                              ;   in Loop: Header=BB147_3 Depth=1
	ds_load_b64 v[46:47], v61 offset:6208
	s_wait_dscnt 0x0
	ds_store_b64 v63, v[46:47] offset:4192
	ds_load_b64 v[46:47], v61 offset:6216
	s_wait_dscnt 0x0
	ds_store_b64 v63, v[46:47] offset:4704
	;; [unrolled: 3-line block ×4, first 2 shown]
.LBB147_857:                            ;   in Loop: Header=BB147_3 Depth=1
	s_or_b32 exec_lo, exec_lo, s12
	s_wait_dscnt 0x0
	s_barrier_signal -1
	s_barrier_wait -1
	s_and_saveexec_b32 s12, s10
	s_cbranch_execz .LBB147_859
; %bb.858:                              ;   in Loop: Header=BB147_3 Depth=1
	ds_load_b64 v[46:47], v1 offset:5712
	v_add_nc_u32_e64 v0, 0x1000, 0
	ds_store_b64 v1, v[30:31] offset:5720
	s_wait_dscnt 0x1
	ds_store_2addr_b64 v0, v[30:31], v[46:47] offset0:138 offset1:139
.LBB147_859:                            ;   in Loop: Header=BB147_3 Depth=1
	s_or_b32 exec_lo, exec_lo, s12
	v_dual_mov_b32 v46, 0 :: v_dual_mov_b32 v47, 0
	s_wait_dscnt 0x0
	s_barrier_signal -1
	s_barrier_wait -1
	global_wb scope:SCOPE_DEV
	s_wait_storecnt 0x0
	global_inv scope:SCOPE_DEV
	s_and_saveexec_b32 s12, s1
	s_cbranch_execz .LBB147_863
; %bb.860:                              ;   in Loop: Header=BB147_3 Depth=1
	ds_load_b64 v[46:47], v52 offset:5184
	ds_load_b64 v[48:49], v53 offset:5712
	s_wait_dscnt 0x0
	v_pk_mul_f32 v[100:101], v[48:49], v[46:47] op_sel:[1,1] op_sel_hi:[0,1]
	s_delay_alu instid0(VALU_DEP_1) | instskip(SKIP_1) | instid1(VALU_DEP_2)
	v_pk_fma_f32 v[102:103], v[48:49], v[46:47], v[100:101] op_sel_hi:[1,0,1]
	v_pk_fma_f32 v[46:47], v[48:49], v[46:47], v[100:101] neg_lo:[0,0,1] neg_hi:[0,0,1]
	v_mov_b32_e32 v47, v103
	s_delay_alu instid0(VALU_DEP_1)
	v_pk_add_f32 v[46:47], v[46:47], 0 op_sel_hi:[1,0]
	s_and_saveexec_b32 s17, s13
	s_cbranch_execz .LBB147_862
; %bb.861:                              ;   in Loop: Header=BB147_3 Depth=1
	ds_load_b64 v[48:49], v63 offset:5696
	ds_load_b64 v[100:101], v1 offset:5720
	s_wait_dscnt 0x0
	v_pk_mul_f32 v[102:103], v[100:101], v[48:49] op_sel:[1,1] op_sel_hi:[0,1]
	s_delay_alu instid0(VALU_DEP_1) | instskip(SKIP_1) | instid1(VALU_DEP_2)
	v_pk_fma_f32 v[104:105], v[100:101], v[48:49], v[102:103] op_sel_hi:[1,0,1]
	v_pk_fma_f32 v[48:49], v[100:101], v[48:49], v[102:103] neg_lo:[0,0,1] neg_hi:[0,0,1]
	v_mov_b32_e32 v49, v105
	s_delay_alu instid0(VALU_DEP_1)
	v_pk_add_f32 v[46:47], v[46:47], v[48:49]
.LBB147_862:                            ;   in Loop: Header=BB147_3 Depth=1
	s_or_b32 exec_lo, exec_lo, s17
.LBB147_863:                            ;   in Loop: Header=BB147_3 Depth=1
	s_delay_alu instid0(SALU_CYCLE_1)
	s_or_b32 exec_lo, exec_lo, s12
	s_and_saveexec_b32 s12, s88
; %bb.864:                              ;   in Loop: Header=BB147_3 Depth=1
	s_delay_alu instid0(VALU_DEP_1)
	v_pk_add_f32 v[48:49], v[46:47], 0 neg_lo:[1,1] neg_hi:[1,1]
	ds_store_b64 v51, v[48:49]
; %bb.865:                              ;   in Loop: Header=BB147_3 Depth=1
	s_or_b32 exec_lo, exec_lo, s12
	s_wait_loadcnt_dscnt 0x0
	s_barrier_signal -1
	s_barrier_wait -1
	s_and_saveexec_b32 s12, s89
	s_cbranch_execz .LBB147_867
; %bb.866:                              ;   in Loop: Header=BB147_3 Depth=1
	ds_load_b64 v[48:49], v1 offset:4672
	ds_load_b64 v[100:101], v51
	s_wait_dscnt 0x0
	v_pk_mul_f32 v[102:103], v[100:101], v[48:49] op_sel_hi:[1,0]
	s_delay_alu instid0(VALU_DEP_1) | instskip(SKIP_1) | instid1(VALU_DEP_2)
	v_pk_fma_f32 v[104:105], v[100:101], v[48:49], v[102:103] op_sel:[1,1,0] op_sel_hi:[0,1,1]
	v_pk_fma_f32 v[48:49], v[100:101], v[48:49], v[102:103] op_sel:[1,1,0] op_sel_hi:[0,1,1] neg_lo:[0,0,1] neg_hi:[0,0,1]
	v_pk_add_f32 v[100:101], v[46:47], v[104:105] neg_lo:[0,1] neg_hi:[0,1]
	s_delay_alu instid0(VALU_DEP_2) | instskip(NEXT) | instid1(VALU_DEP_2)
	v_pk_add_f32 v[46:47], v[46:47], v[48:49]
	v_mov_b32_e32 v47, v101
.LBB147_867:                            ;   in Loop: Header=BB147_3 Depth=1
	s_or_b32 exec_lo, exec_lo, s12
	s_barrier_signal -1
	s_barrier_wait -1
	s_and_saveexec_b32 s12, s89
; %bb.868:                              ;   in Loop: Header=BB147_3 Depth=1
	v_pk_add_f32 v[48:49], v[46:47], 0 neg_lo:[1,1] neg_hi:[1,1]
	ds_store_b64 v51, v[48:49]
; %bb.869:                              ;   in Loop: Header=BB147_3 Depth=1
	s_or_b32 exec_lo, exec_lo, s12
	s_wait_dscnt 0x0
	s_barrier_signal -1
	s_barrier_wait -1
	s_barrier_signal -1
	s_barrier_wait -1
	s_and_saveexec_b32 s12, s1
; %bb.870:                              ;   in Loop: Header=BB147_3 Depth=1
	ds_store_b64 v55, v[46:47] offset:5696
; %bb.871:                              ;   in Loop: Header=BB147_3 Depth=1
	s_or_b32 exec_lo, exec_lo, s12
	s_wait_dscnt 0x0
	s_barrier_signal -1
	s_barrier_wait -1
	s_barrier_signal -1
	s_barrier_wait -1
	s_and_saveexec_b32 s12, s90
	s_cbranch_execz .LBB147_873
; %bb.872:                              ;   in Loop: Header=BB147_3 Depth=1
	ds_load_b64 v[46:47], v64 offset:5184
	s_wait_dscnt 0x0
	ds_store_b64 v63, v[46:47] offset:4176
	ds_load_b64 v[46:47], v64 offset:5192
	s_wait_dscnt 0x0
	ds_store_b64 v63, v[46:47] offset:4688
.LBB147_873:                            ;   in Loop: Header=BB147_3 Depth=1
	s_or_b32 exec_lo, exec_lo, s12
	s_wait_dscnt 0x0
	s_barrier_signal -1
	s_barrier_wait -1
	s_and_saveexec_b32 s12, s10
	s_cbranch_execz .LBB147_875
; %bb.874:                              ;   in Loop: Header=BB147_3 Depth=1
	ds_load_b64 v[46:47], v1 offset:4672
	v_add_nc_u32_e64 v0, 0x1000, 0
	ds_store_b64 v1, v[30:31] offset:4680
	s_wait_dscnt 0x1
	ds_store_2addr_b64 v0, v[30:31], v[46:47] offset0:8 offset1:9
.LBB147_875:                            ;   in Loop: Header=BB147_3 Depth=1
	s_or_b32 exec_lo, exec_lo, s12
	v_mov_b64_e32 v[46:47], 0
	s_wait_dscnt 0x0
	s_barrier_signal -1
	s_barrier_wait -1
	global_wb scope:SCOPE_DEV
	s_wait_storecnt 0x0
	global_inv scope:SCOPE_DEV
	s_and_saveexec_b32 s12, s4
	s_cbranch_execz .LBB147_885
; %bb.876:                              ;   in Loop: Header=BB147_3 Depth=1
	ds_load_b64 v[46:47], v66 offset:4096
	ds_load_b64 v[48:49], v67 offset:7744
	s_wait_dscnt 0x0
	v_dual_mul_f32 v0, v49, v47 :: v_dual_mul_f32 v27, v48, v47
	s_delay_alu instid0(VALU_DEP_1) | instskip(NEXT) | instid1(VALU_DEP_1)
	v_dual_fma_f32 v0, v48, v46, -v0 :: v_dual_fmac_f32 v27, v49, v46
	v_dual_add_f32 v46, 0, v0 :: v_dual_add_f32 v47, 0, v27
	s_and_saveexec_b32 s17, s16
	s_cbranch_execnz .LBB147_1118
; %bb.877:                              ;   in Loop: Header=BB147_3 Depth=1
	s_or_b32 exec_lo, exec_lo, s17
	s_and_saveexec_b32 s17, s18
	s_cbranch_execnz .LBB147_1119
.LBB147_878:                            ;   in Loop: Header=BB147_3 Depth=1
	s_or_b32 exec_lo, exec_lo, s17
	s_and_saveexec_b32 s17, s19
	s_cbranch_execnz .LBB147_1120
.LBB147_879:                            ;   in Loop: Header=BB147_3 Depth=1
	s_or_b32 exec_lo, exec_lo, s17
	s_and_saveexec_b32 s17, s20
	s_cbranch_execnz .LBB147_1121
.LBB147_880:                            ;   in Loop: Header=BB147_3 Depth=1
	s_or_b32 exec_lo, exec_lo, s17
	s_and_saveexec_b32 s17, s21
	s_cbranch_execnz .LBB147_1122
.LBB147_881:                            ;   in Loop: Header=BB147_3 Depth=1
	s_or_b32 exec_lo, exec_lo, s17
	s_and_saveexec_b32 s17, s3
	s_cbranch_execnz .LBB147_1123
.LBB147_882:                            ;   in Loop: Header=BB147_3 Depth=1
	s_or_b32 exec_lo, exec_lo, s17
	s_and_saveexec_b32 s17, s15
	s_cbranch_execz .LBB147_884
.LBB147_883:                            ;   in Loop: Header=BB147_3 Depth=1
	ds_load_b64 v[48:49], v68 offset:7680
	ds_load_b64 v[100:101], v1 offset:7800
	s_wait_dscnt 0x0
	v_pk_mul_f32 v[102:103], v[100:101], v[48:49] op_sel:[1,1] op_sel_hi:[0,1]
	s_delay_alu instid0(VALU_DEP_1) | instskip(SKIP_1) | instid1(VALU_DEP_2)
	v_pk_fma_f32 v[104:105], v[100:101], v[48:49], v[102:103] op_sel_hi:[1,0,1]
	v_pk_fma_f32 v[48:49], v[100:101], v[48:49], v[102:103] neg_lo:[0,0,1] neg_hi:[0,0,1]
	v_mov_b32_e32 v49, v105
	s_delay_alu instid0(VALU_DEP_1)
	v_pk_add_f32 v[46:47], v[46:47], v[48:49]
.LBB147_884:                            ;   in Loop: Header=BB147_3 Depth=1
	s_or_b32 exec_lo, exec_lo, s17
.LBB147_885:                            ;   in Loop: Header=BB147_3 Depth=1
	s_delay_alu instid0(SALU_CYCLE_1)
	s_or_b32 exec_lo, exec_lo, s12
	s_and_saveexec_b32 s12, s98
; %bb.886:                              ;   in Loop: Header=BB147_3 Depth=1
	s_delay_alu instid0(VALU_DEP_1)
	v_pk_add_f32 v[48:49], v[46:47], 0 neg_lo:[1,1] neg_hi:[1,1]
	ds_store_b64 v65, v[48:49]
; %bb.887:                              ;   in Loop: Header=BB147_3 Depth=1
	s_or_b32 exec_lo, exec_lo, s12
	s_wait_loadcnt_dscnt 0x0
	s_barrier_signal -1
	s_barrier_wait -1
	s_and_saveexec_b32 s12, s99
	s_cbranch_execz .LBB147_889
; %bb.888:                              ;   in Loop: Header=BB147_3 Depth=1
	ds_load_b64 v[48:49], v66 offset:3584
	ds_load_b64 v[100:101], v65
	s_wait_dscnt 0x0
	v_pk_mul_f32 v[102:103], v[100:101], v[48:49] op_sel:[1,1] op_sel_hi:[0,1]
	s_delay_alu instid0(VALU_DEP_1) | instskip(SKIP_1) | instid1(VALU_DEP_2)
	v_pk_fma_f32 v[104:105], v[100:101], v[48:49], v[102:103] op_sel_hi:[1,0,1]
	v_pk_fma_f32 v[48:49], v[100:101], v[48:49], v[102:103] neg_lo:[0,0,1] neg_hi:[0,0,1]
	v_mov_b32_e32 v49, v105
	s_delay_alu instid0(VALU_DEP_1)
	v_pk_add_f32 v[46:47], v[46:47], v[48:49] neg_lo:[0,1] neg_hi:[0,1]
.LBB147_889:                            ;   in Loop: Header=BB147_3 Depth=1
	s_or_b32 exec_lo, exec_lo, s12
	s_barrier_signal -1
	s_barrier_wait -1
	s_and_saveexec_b32 s12, s100
; %bb.890:                              ;   in Loop: Header=BB147_3 Depth=1
	v_pk_add_f32 v[48:49], v[46:47], 0 neg_lo:[1,1] neg_hi:[1,1]
	ds_store_b64 v65, v[48:49]
; %bb.891:                              ;   in Loop: Header=BB147_3 Depth=1
	s_or_b32 exec_lo, exec_lo, s12
	s_wait_dscnt 0x0
	s_barrier_signal -1
	s_barrier_wait -1
	s_and_saveexec_b32 s12, s101
	s_cbranch_execz .LBB147_893
; %bb.892:                              ;   in Loop: Header=BB147_3 Depth=1
	ds_load_b64 v[48:49], v66 offset:3072
	ds_load_b64 v[100:101], v65
	s_wait_dscnt 0x0
	v_dual_mul_f32 v0, v101, v49 :: v_dual_mul_f32 v27, v100, v49
	s_delay_alu instid0(VALU_DEP_1) | instskip(NEXT) | instid1(VALU_DEP_1)
	v_dual_fma_f32 v0, v100, v48, -v0 :: v_dual_fmac_f32 v27, v101, v48
	v_dual_sub_f32 v46, v46, v0 :: v_dual_sub_f32 v47, v47, v27
.LBB147_893:                            ;   in Loop: Header=BB147_3 Depth=1
	s_or_b32 exec_lo, exec_lo, s12
	s_barrier_signal -1
	s_barrier_wait -1
	s_and_saveexec_b32 s12, s102
; %bb.894:                              ;   in Loop: Header=BB147_3 Depth=1
	v_pk_add_f32 v[48:49], v[46:47], 0 neg_lo:[1,1] neg_hi:[1,1]
	ds_store_b64 v65, v[48:49]
; %bb.895:                              ;   in Loop: Header=BB147_3 Depth=1
	s_or_b32 exec_lo, exec_lo, s12
	s_wait_dscnt 0x0
	s_barrier_signal -1
	s_barrier_wait -1
	s_and_saveexec_b32 s12, s103
	s_cbranch_execz .LBB147_897
; %bb.896:                              ;   in Loop: Header=BB147_3 Depth=1
	ds_load_b64 v[48:49], v66 offset:2560
	ds_load_b64 v[100:101], v65
	s_wait_dscnt 0x0
	v_dual_mul_f32 v0, v101, v49 :: v_dual_mul_f32 v103, v100, v49
	s_delay_alu instid0(VALU_DEP_1) | instskip(NEXT) | instid1(VALU_DEP_1)
	v_dual_fma_f32 v102, v100, v48, -v0 :: v_dual_fmac_f32 v103, v101, v48
	v_pk_add_f32 v[46:47], v[46:47], v[102:103] neg_lo:[0,1] neg_hi:[0,1]
.LBB147_897:                            ;   in Loop: Header=BB147_3 Depth=1
	s_or_b32 exec_lo, exec_lo, s12
	s_barrier_signal -1
	s_barrier_wait -1
	s_and_saveexec_b32 s12, s104
; %bb.898:                              ;   in Loop: Header=BB147_3 Depth=1
	v_pk_add_f32 v[48:49], v[46:47], 0 neg_lo:[1,1] neg_hi:[1,1]
	ds_store_b64 v65, v[48:49]
; %bb.899:                              ;   in Loop: Header=BB147_3 Depth=1
	s_or_b32 exec_lo, exec_lo, s12
	s_wait_dscnt 0x0
	s_barrier_signal -1
	s_barrier_wait -1
	s_and_saveexec_b32 s12, vcc_hi
	s_cbranch_execz .LBB147_901
; %bb.900:                              ;   in Loop: Header=BB147_3 Depth=1
	ds_load_b64 v[48:49], v66 offset:2048
	ds_load_b64 v[100:101], v65
	s_wait_dscnt 0x0
	v_pk_mul_f32 v[102:103], v[100:101], v[48:49] op_sel:[1,1] op_sel_hi:[0,1]
	s_delay_alu instid0(VALU_DEP_1) | instskip(SKIP_1) | instid1(VALU_DEP_2)
	v_pk_fma_f32 v[104:105], v[100:101], v[48:49], v[102:103] op_sel_hi:[1,0,1]
	v_pk_fma_f32 v[48:49], v[100:101], v[48:49], v[102:103] neg_lo:[0,0,1] neg_hi:[0,0,1]
	v_mov_b32_e32 v49, v105
	s_delay_alu instid0(VALU_DEP_1)
	v_pk_add_f32 v[46:47], v[46:47], v[48:49] neg_lo:[0,1] neg_hi:[0,1]
.LBB147_901:                            ;   in Loop: Header=BB147_3 Depth=1
	s_or_b32 exec_lo, exec_lo, s12
	s_barrier_signal -1
	s_barrier_wait -1
	s_and_saveexec_b32 s12, s37
; %bb.902:                              ;   in Loop: Header=BB147_3 Depth=1
	v_pk_add_f32 v[48:49], v[46:47], 0 neg_lo:[1,1] neg_hi:[1,1]
	ds_store_b64 v65, v[48:49]
; %bb.903:                              ;   in Loop: Header=BB147_3 Depth=1
	s_or_b32 exec_lo, exec_lo, s12
	s_wait_dscnt 0x0
	s_barrier_signal -1
	s_barrier_wait -1
	s_and_saveexec_b32 s12, s38
	s_cbranch_execz .LBB147_905
; %bb.904:                              ;   in Loop: Header=BB147_3 Depth=1
	ds_load_b64 v[48:49], v66 offset:1536
	ds_load_b64 v[100:101], v65
	s_wait_dscnt 0x0
	v_pk_mul_f32 v[102:103], v[100:101], v[48:49] op_sel:[1,1] op_sel_hi:[0,1]
	s_delay_alu instid0(VALU_DEP_1) | instskip(SKIP_1) | instid1(VALU_DEP_2)
	v_pk_fma_f32 v[104:105], v[100:101], v[48:49], v[102:103] op_sel_hi:[1,0,1]
	v_pk_fma_f32 v[48:49], v[100:101], v[48:49], v[102:103] neg_lo:[0,0,1] neg_hi:[0,0,1]
	v_mov_b32_e32 v49, v105
	s_delay_alu instid0(VALU_DEP_1)
	v_pk_add_f32 v[46:47], v[46:47], v[48:49] neg_lo:[0,1] neg_hi:[0,1]
.LBB147_905:                            ;   in Loop: Header=BB147_3 Depth=1
	s_or_b32 exec_lo, exec_lo, s12
	s_barrier_signal -1
	s_barrier_wait -1
	s_and_saveexec_b32 s12, s39
; %bb.906:                              ;   in Loop: Header=BB147_3 Depth=1
	v_pk_add_f32 v[48:49], v[46:47], 0 neg_lo:[1,1] neg_hi:[1,1]
	ds_store_b64 v65, v[48:49]
; %bb.907:                              ;   in Loop: Header=BB147_3 Depth=1
	s_or_b32 exec_lo, exec_lo, s12
	s_wait_dscnt 0x0
	s_barrier_signal -1
	s_barrier_wait -1
	s_and_saveexec_b32 s12, s40
	;; [unrolled: 26-line block ×3, first 2 shown]
	s_cbranch_execz .LBB147_913
; %bb.912:                              ;   in Loop: Header=BB147_3 Depth=1
	ds_load_b64 v[48:49], v1 offset:512
	ds_load_b64 v[100:101], v65
	s_wait_dscnt 0x0
	v_pk_mul_f32 v[102:103], v[100:101], v[48:49] op_sel:[1,1] op_sel_hi:[0,1]
	s_delay_alu instid0(VALU_DEP_1) | instskip(SKIP_1) | instid1(VALU_DEP_2)
	v_pk_fma_f32 v[104:105], v[100:101], v[48:49], v[102:103] op_sel_hi:[1,0,1]
	v_pk_fma_f32 v[48:49], v[100:101], v[48:49], v[102:103] neg_lo:[0,0,1] neg_hi:[0,0,1]
	v_mov_b32_e32 v49, v105
	s_delay_alu instid0(VALU_DEP_1)
	v_pk_add_f32 v[46:47], v[46:47], v[48:49] neg_lo:[0,1] neg_hi:[0,1]
.LBB147_913:                            ;   in Loop: Header=BB147_3 Depth=1
	s_or_b32 exec_lo, exec_lo, s12
	s_barrier_signal -1
	s_barrier_wait -1
	s_and_saveexec_b32 s12, s42
; %bb.914:                              ;   in Loop: Header=BB147_3 Depth=1
	v_pk_add_f32 v[48:49], v[46:47], 0 neg_lo:[1,1] neg_hi:[1,1]
	ds_store_b64 v65, v[48:49]
; %bb.915:                              ;   in Loop: Header=BB147_3 Depth=1
	s_or_b32 exec_lo, exec_lo, s12
	s_wait_dscnt 0x0
	s_barrier_signal -1
	s_barrier_wait -1
	s_barrier_signal -1
	s_barrier_wait -1
	s_and_saveexec_b32 s12, s4
; %bb.916:                              ;   in Loop: Header=BB147_3 Depth=1
	ds_store_b64 v71, v[46:47] offset:7680
; %bb.917:                              ;   in Loop: Header=BB147_3 Depth=1
	s_or_b32 exec_lo, exec_lo, s12
	s_wait_dscnt 0x0
	s_barrier_signal -1
	s_barrier_wait -1
	s_barrier_signal -1
	s_barrier_wait -1
	s_and_saveexec_b32 s12, s43
	s_cbranch_execz .LBB147_919
; %bb.918:                              ;   in Loop: Header=BB147_3 Depth=1
	ds_load_b64 v[46:47], v69 offset:4096
	s_wait_dscnt 0x0
	ds_store_b64 v70, v[46:47] offset:64
	ds_load_b64 v[46:47], v69 offset:4104
	s_wait_dscnt 0x0
	ds_store_b64 v70, v[46:47] offset:576
	ds_load_b64 v[46:47], v69 offset:4112
	s_wait_dscnt 0x0
	ds_store_b64 v70, v[46:47] offset:1088
	ds_load_b64 v[46:47], v69 offset:4120
	s_wait_dscnt 0x0
	ds_store_b64 v70, v[46:47] offset:1600
	ds_load_b64 v[46:47], v69 offset:4128
	s_wait_dscnt 0x0
	ds_store_b64 v70, v[46:47] offset:2112
	ds_load_b64 v[46:47], v69 offset:4136
	s_wait_dscnt 0x0
	ds_store_b64 v70, v[46:47] offset:2624
	ds_load_b64 v[46:47], v69 offset:4144
	s_wait_dscnt 0x0
	ds_store_b64 v70, v[46:47] offset:3136
	ds_load_b64 v[46:47], v69 offset:4152
	s_wait_dscnt 0x0
	ds_store_b64 v70, v[46:47] offset:3648
.LBB147_919:                            ;   in Loop: Header=BB147_3 Depth=1
	s_or_b32 exec_lo, exec_lo, s12
	s_wait_dscnt 0x0
	s_barrier_signal -1
	s_barrier_wait -1
	s_and_saveexec_b32 s12, s10
	s_cbranch_execz .LBB147_921
; %bb.920:                              ;   in Loop: Header=BB147_3 Depth=1
	ds_load_b64 v[46:47], v1 offset:3632
	v_add_nc_u32_e64 v0, 0x800, 0
	ds_store_b64 v1, v[30:31] offset:3640
	s_wait_dscnt 0x1
	ds_store_2addr_b64 v0, v[30:31], v[46:47] offset0:134 offset1:135
.LBB147_921:                            ;   in Loop: Header=BB147_3 Depth=1
	s_or_b32 exec_lo, exec_lo, s12
	v_dual_mov_b32 v46, 0 :: v_dual_mov_b32 v47, 0
	s_wait_dscnt 0x0
	s_barrier_signal -1
	s_barrier_wait -1
	global_wb scope:SCOPE_DEV
	s_wait_storecnt 0x0
	global_inv scope:SCOPE_DEV
	s_and_saveexec_b32 s12, s1
	s_cbranch_execz .LBB147_925
; %bb.922:                              ;   in Loop: Header=BB147_3 Depth=1
	ds_load_b64 v[46:47], v52 offset:3104
	ds_load_b64 v[48:49], v53 offset:3632
	s_wait_dscnt 0x0
	v_pk_mul_f32 v[100:101], v[48:49], v[46:47] op_sel:[1,1] op_sel_hi:[0,1]
	s_delay_alu instid0(VALU_DEP_1) | instskip(SKIP_1) | instid1(VALU_DEP_2)
	v_pk_fma_f32 v[102:103], v[48:49], v[46:47], v[100:101] op_sel_hi:[1,0,1]
	v_pk_fma_f32 v[46:47], v[48:49], v[46:47], v[100:101] neg_lo:[0,0,1] neg_hi:[0,0,1]
	v_mov_b32_e32 v47, v103
	s_delay_alu instid0(VALU_DEP_1)
	v_pk_add_f32 v[46:47], v[46:47], 0 op_sel_hi:[1,0]
	s_and_saveexec_b32 s17, s13
	s_cbranch_execz .LBB147_924
; %bb.923:                              ;   in Loop: Header=BB147_3 Depth=1
	ds_load_b64 v[48:49], v70 offset:3616
	ds_load_b64 v[100:101], v1 offset:3640
	s_wait_dscnt 0x0
	v_pk_mul_f32 v[102:103], v[100:101], v[48:49] op_sel:[1,1] op_sel_hi:[0,1]
	s_delay_alu instid0(VALU_DEP_1) | instskip(SKIP_1) | instid1(VALU_DEP_2)
	v_pk_fma_f32 v[104:105], v[100:101], v[48:49], v[102:103] op_sel_hi:[1,0,1]
	v_pk_fma_f32 v[48:49], v[100:101], v[48:49], v[102:103] neg_lo:[0,0,1] neg_hi:[0,0,1]
	v_mov_b32_e32 v49, v105
	s_delay_alu instid0(VALU_DEP_1)
	v_pk_add_f32 v[46:47], v[46:47], v[48:49]
.LBB147_924:                            ;   in Loop: Header=BB147_3 Depth=1
	s_or_b32 exec_lo, exec_lo, s17
.LBB147_925:                            ;   in Loop: Header=BB147_3 Depth=1
	s_delay_alu instid0(SALU_CYCLE_1)
	s_or_b32 exec_lo, exec_lo, s12
	s_and_saveexec_b32 s12, s88
; %bb.926:                              ;   in Loop: Header=BB147_3 Depth=1
	s_delay_alu instid0(VALU_DEP_1)
	v_pk_add_f32 v[48:49], v[46:47], 0 neg_lo:[1,1] neg_hi:[1,1]
	ds_store_b64 v51, v[48:49]
; %bb.927:                              ;   in Loop: Header=BB147_3 Depth=1
	s_or_b32 exec_lo, exec_lo, s12
	s_wait_loadcnt_dscnt 0x0
	s_barrier_signal -1
	s_barrier_wait -1
	s_and_saveexec_b32 s12, s89
	s_cbranch_execz .LBB147_929
; %bb.928:                              ;   in Loop: Header=BB147_3 Depth=1
	ds_load_b64 v[48:49], v1 offset:2592
	ds_load_b64 v[100:101], v51
	s_wait_dscnt 0x0
	v_pk_mul_f32 v[102:103], v[100:101], v[48:49] op_sel_hi:[1,0]
	s_delay_alu instid0(VALU_DEP_1) | instskip(SKIP_1) | instid1(VALU_DEP_2)
	v_pk_fma_f32 v[104:105], v[100:101], v[48:49], v[102:103] op_sel:[1,1,0] op_sel_hi:[0,1,1]
	v_pk_fma_f32 v[48:49], v[100:101], v[48:49], v[102:103] op_sel:[1,1,0] op_sel_hi:[0,1,1] neg_lo:[0,0,1] neg_hi:[0,0,1]
	v_pk_add_f32 v[100:101], v[46:47], v[104:105] neg_lo:[0,1] neg_hi:[0,1]
	s_delay_alu instid0(VALU_DEP_2) | instskip(NEXT) | instid1(VALU_DEP_2)
	v_pk_add_f32 v[46:47], v[46:47], v[48:49]
	v_mov_b32_e32 v47, v101
.LBB147_929:                            ;   in Loop: Header=BB147_3 Depth=1
	s_or_b32 exec_lo, exec_lo, s12
	s_barrier_signal -1
	s_barrier_wait -1
	s_and_saveexec_b32 s12, s89
; %bb.930:                              ;   in Loop: Header=BB147_3 Depth=1
	v_pk_add_f32 v[48:49], v[46:47], 0 neg_lo:[1,1] neg_hi:[1,1]
	ds_store_b64 v51, v[48:49]
; %bb.931:                              ;   in Loop: Header=BB147_3 Depth=1
	s_or_b32 exec_lo, exec_lo, s12
	s_wait_dscnt 0x0
	s_barrier_signal -1
	s_barrier_wait -1
	s_barrier_signal -1
	s_barrier_wait -1
	s_and_saveexec_b32 s12, s1
; %bb.932:                              ;   in Loop: Header=BB147_3 Depth=1
	ds_store_b64 v55, v[46:47] offset:3616
; %bb.933:                              ;   in Loop: Header=BB147_3 Depth=1
	s_or_b32 exec_lo, exec_lo, s12
	s_wait_dscnt 0x0
	s_barrier_signal -1
	s_barrier_wait -1
	s_barrier_signal -1
	s_barrier_wait -1
	s_and_saveexec_b32 s12, s90
	s_cbranch_execz .LBB147_935
; %bb.934:                              ;   in Loop: Header=BB147_3 Depth=1
	ds_load_b64 v[46:47], v72 offset:3104
	s_wait_dscnt 0x0
	ds_store_b64 v70, v[46:47] offset:2096
	ds_load_b64 v[46:47], v72 offset:3112
	s_wait_dscnt 0x0
	ds_store_b64 v70, v[46:47] offset:2608
.LBB147_935:                            ;   in Loop: Header=BB147_3 Depth=1
	s_or_b32 exec_lo, exec_lo, s12
	s_wait_dscnt 0x0
	s_barrier_signal -1
	s_barrier_wait -1
	s_and_saveexec_b32 s12, s10
	s_cbranch_execz .LBB147_937
; %bb.936:                              ;   in Loop: Header=BB147_3 Depth=1
	ds_load_b64 v[46:47], v1 offset:2592
	v_add_nc_u32_e64 v0, 0x800, 0
	ds_store_b64 v1, v[30:31] offset:2600
	s_wait_dscnt 0x1
	ds_store_2addr_b64 v0, v[30:31], v[46:47] offset0:4 offset1:5
.LBB147_937:                            ;   in Loop: Header=BB147_3 Depth=1
	s_or_b32 exec_lo, exec_lo, s12
	v_mov_b64_e32 v[46:47], 0
	s_wait_dscnt 0x0
	s_barrier_signal -1
	s_barrier_wait -1
	global_wb scope:SCOPE_DEV
	s_wait_storecnt 0x0
	global_inv scope:SCOPE_DEV
	s_and_saveexec_b32 s12, s3
	s_cbranch_execz .LBB147_943
; %bb.938:                              ;   in Loop: Header=BB147_3 Depth=1
	ds_load_b64 v[46:47], v58 offset:2048
	ds_load_b64 v[48:49], v59 offset:3616
	s_wait_dscnt 0x0
	v_dual_mul_f32 v0, v49, v47 :: v_dual_mul_f32 v27, v48, v47
	s_delay_alu instid0(VALU_DEP_1) | instskip(NEXT) | instid1(VALU_DEP_1)
	v_dual_fma_f32 v0, v48, v46, -v0 :: v_dual_fmac_f32 v27, v49, v46
	v_dual_add_f32 v46, 0, v0 :: v_dual_add_f32 v47, 0, v27
	s_and_saveexec_b32 s17, s14
	s_cbranch_execnz .LBB147_1124
; %bb.939:                              ;   in Loop: Header=BB147_3 Depth=1
	s_or_b32 exec_lo, exec_lo, s17
	s_and_saveexec_b32 s17, s15
	s_cbranch_execnz .LBB147_1125
.LBB147_940:                            ;   in Loop: Header=BB147_3 Depth=1
	s_or_b32 exec_lo, exec_lo, s17
	s_and_saveexec_b32 s17, s1
	s_cbranch_execz .LBB147_942
.LBB147_941:                            ;   in Loop: Header=BB147_3 Depth=1
	ds_load_b64 v[48:49], v3 offset:3584
	ds_load_b64 v[100:101], v1 offset:3640
	s_wait_dscnt 0x0
	v_pk_mul_f32 v[102:103], v[100:101], v[48:49] op_sel:[1,1] op_sel_hi:[0,1]
	s_delay_alu instid0(VALU_DEP_1) | instskip(SKIP_1) | instid1(VALU_DEP_2)
	v_pk_fma_f32 v[104:105], v[100:101], v[48:49], v[102:103] op_sel_hi:[1,0,1]
	v_pk_fma_f32 v[48:49], v[100:101], v[48:49], v[102:103] neg_lo:[0,0,1] neg_hi:[0,0,1]
	v_mov_b32_e32 v49, v105
	s_delay_alu instid0(VALU_DEP_1)
	v_pk_add_f32 v[46:47], v[46:47], v[48:49]
.LBB147_942:                            ;   in Loop: Header=BB147_3 Depth=1
	s_or_b32 exec_lo, exec_lo, s17
.LBB147_943:                            ;   in Loop: Header=BB147_3 Depth=1
	s_delay_alu instid0(SALU_CYCLE_1)
	s_or_b32 exec_lo, exec_lo, s12
	s_and_saveexec_b32 s12, s91
; %bb.944:                              ;   in Loop: Header=BB147_3 Depth=1
	s_delay_alu instid0(VALU_DEP_1)
	v_pk_add_f32 v[48:49], v[46:47], 0 neg_lo:[1,1] neg_hi:[1,1]
	ds_store_b64 v57, v[48:49]
; %bb.945:                              ;   in Loop: Header=BB147_3 Depth=1
	s_or_b32 exec_lo, exec_lo, s12
	s_wait_loadcnt_dscnt 0x0
	s_barrier_signal -1
	s_barrier_wait -1
	s_and_saveexec_b32 s12, s92
	s_cbranch_execz .LBB147_947
; %bb.946:                              ;   in Loop: Header=BB147_3 Depth=1
	ds_load_b64 v[48:49], v58 offset:1536
	ds_load_b64 v[100:101], v57
	s_wait_dscnt 0x0
	v_pk_mul_f32 v[102:103], v[100:101], v[48:49] op_sel:[1,1] op_sel_hi:[0,1]
	s_delay_alu instid0(VALU_DEP_1) | instskip(SKIP_1) | instid1(VALU_DEP_2)
	v_pk_fma_f32 v[104:105], v[100:101], v[48:49], v[102:103] op_sel_hi:[1,0,1]
	v_pk_fma_f32 v[48:49], v[100:101], v[48:49], v[102:103] neg_lo:[0,0,1] neg_hi:[0,0,1]
	v_mov_b32_e32 v49, v105
	s_delay_alu instid0(VALU_DEP_1)
	v_pk_add_f32 v[46:47], v[46:47], v[48:49] neg_lo:[0,1] neg_hi:[0,1]
.LBB147_947:                            ;   in Loop: Header=BB147_3 Depth=1
	s_or_b32 exec_lo, exec_lo, s12
	s_barrier_signal -1
	s_barrier_wait -1
	s_and_saveexec_b32 s12, s93
; %bb.948:                              ;   in Loop: Header=BB147_3 Depth=1
	v_pk_add_f32 v[48:49], v[46:47], 0 neg_lo:[1,1] neg_hi:[1,1]
	ds_store_b64 v57, v[48:49]
; %bb.949:                              ;   in Loop: Header=BB147_3 Depth=1
	s_or_b32 exec_lo, exec_lo, s12
	s_wait_dscnt 0x0
	s_barrier_signal -1
	s_barrier_wait -1
	s_and_saveexec_b32 s12, s94
	s_cbranch_execz .LBB147_951
; %bb.950:                              ;   in Loop: Header=BB147_3 Depth=1
	ds_load_b64 v[48:49], v58 offset:1024
	ds_load_b64 v[100:101], v57
	s_wait_dscnt 0x0
	v_pk_mul_f32 v[102:103], v[100:101], v[48:49] op_sel:[1,1] op_sel_hi:[0,1]
	s_delay_alu instid0(VALU_DEP_1) | instskip(SKIP_1) | instid1(VALU_DEP_2)
	v_pk_fma_f32 v[104:105], v[100:101], v[48:49], v[102:103] op_sel_hi:[1,0,1]
	v_pk_fma_f32 v[48:49], v[100:101], v[48:49], v[102:103] neg_lo:[0,0,1] neg_hi:[0,0,1]
	v_mov_b32_e32 v49, v105
	s_delay_alu instid0(VALU_DEP_1)
	v_pk_add_f32 v[46:47], v[46:47], v[48:49] neg_lo:[0,1] neg_hi:[0,1]
.LBB147_951:                            ;   in Loop: Header=BB147_3 Depth=1
	s_or_b32 exec_lo, exec_lo, s12
	s_barrier_signal -1
	s_barrier_wait -1
	s_and_saveexec_b32 s12, s95
; %bb.952:                              ;   in Loop: Header=BB147_3 Depth=1
	v_pk_add_f32 v[48:49], v[46:47], 0 neg_lo:[1,1] neg_hi:[1,1]
	ds_store_b64 v57, v[48:49]
; %bb.953:                              ;   in Loop: Header=BB147_3 Depth=1
	s_or_b32 exec_lo, exec_lo, s12
	s_wait_dscnt 0x0
	;; [unrolled: 26-line block ×3, first 2 shown]
	s_barrier_signal -1
	s_barrier_wait -1
	s_barrier_signal -1
	s_barrier_wait -1
	s_and_saveexec_b32 s12, s3
; %bb.958:                              ;   in Loop: Header=BB147_3 Depth=1
	ds_store_b64 v62, v[46:47] offset:3584
; %bb.959:                              ;   in Loop: Header=BB147_3 Depth=1
	s_or_b32 exec_lo, exec_lo, s12
	s_wait_dscnt 0x0
	s_barrier_signal -1
	s_barrier_wait -1
	s_barrier_signal -1
	s_barrier_wait -1
	s_and_saveexec_b32 s12, s97
	s_cbranch_execz .LBB147_961
; %bb.960:                              ;   in Loop: Header=BB147_3 Depth=1
	ds_load_b64 v[46:47], v7 offset:2048
	s_wait_dscnt 0x0
	ds_store_b64 v83, v[46:47] offset:32
	ds_load_b64 v[46:47], v7 offset:2056
	s_wait_dscnt 0x0
	ds_store_b64 v83, v[46:47] offset:544
	;; [unrolled: 3-line block ×4, first 2 shown]
.LBB147_961:                            ;   in Loop: Header=BB147_3 Depth=1
	s_or_b32 exec_lo, exec_lo, s12
	s_wait_dscnt 0x0
	s_barrier_signal -1
	s_barrier_wait -1
	s_and_saveexec_b32 s12, s10
	s_cbranch_execz .LBB147_963
; %bb.962:                              ;   in Loop: Header=BB147_3 Depth=1
	ds_load_b64 v[46:47], v1 offset:1552
	ds_store_b64 v1, v[30:31] offset:1560
	s_wait_dscnt 0x1
	ds_store_2addr_b64 v1, v[30:31], v[46:47] offset0:130 offset1:131
.LBB147_963:                            ;   in Loop: Header=BB147_3 Depth=1
	s_or_b32 exec_lo, exec_lo, s12
	v_dual_mov_b32 v46, 0 :: v_dual_mov_b32 v47, 0
	s_wait_dscnt 0x0
	s_barrier_signal -1
	s_barrier_wait -1
	global_wb scope:SCOPE_DEV
	s_wait_storecnt 0x0
	global_inv scope:SCOPE_DEV
	s_and_saveexec_b32 s12, s1
	s_cbranch_execz .LBB147_967
; %bb.964:                              ;   in Loop: Header=BB147_3 Depth=1
	ds_load_b64 v[46:47], v52 offset:1024
	ds_load_b64 v[48:49], v53 offset:1552
	s_wait_dscnt 0x0
	v_pk_mul_f32 v[100:101], v[48:49], v[46:47] op_sel:[1,1] op_sel_hi:[0,1]
	s_delay_alu instid0(VALU_DEP_1) | instskip(SKIP_1) | instid1(VALU_DEP_2)
	v_pk_fma_f32 v[102:103], v[48:49], v[46:47], v[100:101] op_sel_hi:[1,0,1]
	v_pk_fma_f32 v[46:47], v[48:49], v[46:47], v[100:101] neg_lo:[0,0,1] neg_hi:[0,0,1]
	v_mov_b32_e32 v47, v103
	s_delay_alu instid0(VALU_DEP_1)
	v_pk_add_f32 v[46:47], v[46:47], 0 op_sel_hi:[1,0]
	s_and_saveexec_b32 s17, s13
	s_cbranch_execz .LBB147_966
; %bb.965:                              ;   in Loop: Header=BB147_3 Depth=1
	ds_load_b64 v[48:49], v83 offset:1536
	ds_load_b64 v[100:101], v1 offset:1560
	s_wait_dscnt 0x0
	v_pk_mul_f32 v[102:103], v[100:101], v[48:49] op_sel:[1,1] op_sel_hi:[0,1]
	s_delay_alu instid0(VALU_DEP_1) | instskip(SKIP_1) | instid1(VALU_DEP_2)
	v_pk_fma_f32 v[104:105], v[100:101], v[48:49], v[102:103] op_sel_hi:[1,0,1]
	v_pk_fma_f32 v[48:49], v[100:101], v[48:49], v[102:103] neg_lo:[0,0,1] neg_hi:[0,0,1]
	v_mov_b32_e32 v49, v105
	s_delay_alu instid0(VALU_DEP_1)
	v_pk_add_f32 v[46:47], v[46:47], v[48:49]
.LBB147_966:                            ;   in Loop: Header=BB147_3 Depth=1
	s_or_b32 exec_lo, exec_lo, s17
.LBB147_967:                            ;   in Loop: Header=BB147_3 Depth=1
	s_delay_alu instid0(SALU_CYCLE_1)
	s_or_b32 exec_lo, exec_lo, s12
	s_and_saveexec_b32 s12, s88
; %bb.968:                              ;   in Loop: Header=BB147_3 Depth=1
	s_delay_alu instid0(VALU_DEP_1)
	v_pk_add_f32 v[48:49], v[46:47], 0 neg_lo:[1,1] neg_hi:[1,1]
	ds_store_b64 v51, v[48:49]
; %bb.969:                              ;   in Loop: Header=BB147_3 Depth=1
	s_or_b32 exec_lo, exec_lo, s12
	s_wait_loadcnt_dscnt 0x0
	s_barrier_signal -1
	s_barrier_wait -1
	s_and_saveexec_b32 s12, s89
	s_cbranch_execz .LBB147_971
; %bb.970:                              ;   in Loop: Header=BB147_3 Depth=1
	ds_load_b64 v[48:49], v1 offset:512
	ds_load_b64 v[100:101], v51
	s_wait_dscnt 0x0
	v_pk_mul_f32 v[102:103], v[100:101], v[48:49] op_sel_hi:[1,0]
	s_delay_alu instid0(VALU_DEP_1) | instskip(SKIP_1) | instid1(VALU_DEP_2)
	v_pk_fma_f32 v[104:105], v[100:101], v[48:49], v[102:103] op_sel:[1,1,0] op_sel_hi:[0,1,1]
	v_pk_fma_f32 v[48:49], v[100:101], v[48:49], v[102:103] op_sel:[1,1,0] op_sel_hi:[0,1,1] neg_lo:[0,0,1] neg_hi:[0,0,1]
	v_pk_add_f32 v[100:101], v[46:47], v[104:105] neg_lo:[0,1] neg_hi:[0,1]
	s_delay_alu instid0(VALU_DEP_2) | instskip(NEXT) | instid1(VALU_DEP_2)
	v_pk_add_f32 v[46:47], v[46:47], v[48:49]
	v_mov_b32_e32 v47, v101
.LBB147_971:                            ;   in Loop: Header=BB147_3 Depth=1
	s_or_b32 exec_lo, exec_lo, s12
	s_barrier_signal -1
	s_barrier_wait -1
	s_and_saveexec_b32 s12, s89
; %bb.972:                              ;   in Loop: Header=BB147_3 Depth=1
	v_pk_add_f32 v[48:49], v[46:47], 0 neg_lo:[1,1] neg_hi:[1,1]
	ds_store_b64 v51, v[48:49]
; %bb.973:                              ;   in Loop: Header=BB147_3 Depth=1
	s_or_b32 exec_lo, exec_lo, s12
	s_wait_dscnt 0x0
	s_barrier_signal -1
	s_barrier_wait -1
	s_barrier_signal -1
	s_barrier_wait -1
	s_and_saveexec_b32 s12, s1
; %bb.974:                              ;   in Loop: Header=BB147_3 Depth=1
	ds_store_b64 v55, v[46:47] offset:1536
; %bb.975:                              ;   in Loop: Header=BB147_3 Depth=1
	s_or_b32 exec_lo, exec_lo, s12
	s_wait_dscnt 0x0
	s_barrier_signal -1
	s_barrier_wait -1
	s_barrier_signal -1
	s_barrier_wait -1
	s_and_saveexec_b32 s12, s90
	s_cbranch_execz .LBB147_977
; %bb.976:                              ;   in Loop: Header=BB147_3 Depth=1
	ds_load_b64 v[46:47], v87 offset:1024
	s_wait_dscnt 0x0
	ds_store_b64 v83, v[46:47] offset:16
	ds_load_b64 v[46:47], v87 offset:1032
	s_wait_dscnt 0x0
	ds_store_b64 v83, v[46:47] offset:528
.LBB147_977:                            ;   in Loop: Header=BB147_3 Depth=1
	s_or_b32 exec_lo, exec_lo, s12
	s_wait_dscnt 0x0
	s_barrier_signal -1
	s_barrier_wait -1
	s_and_saveexec_b32 s12, s10
	s_cbranch_execz .LBB147_979
; %bb.978:                              ;   in Loop: Header=BB147_3 Depth=1
	ds_load_b64 v[46:47], v1 offset:512
	ds_store_b64 v1, v[30:31] offset:520
	s_wait_dscnt 0x1
	ds_store_2addr_b64 v1, v[30:31], v[46:47] offset1:1
.LBB147_979:                            ;   in Loop: Header=BB147_3 Depth=1
	s_or_b32 exec_lo, exec_lo, s12
.LBB147_980:                            ;   in Loop: Header=BB147_3 Depth=1
	v_add_nc_u64_e32 v[44:45], s[68:69], v[44:45]
	v_mov_b64_e32 v[46:47], 0
	s_wait_dscnt 0x0
	s_barrier_signal -1
	s_barrier_wait -1
	s_wait_xcnt 0x0
	s_and_saveexec_b32 s12, s48
	s_cbranch_execz .LBB147_982
; %bb.981:                              ;   in Loop: Header=BB147_3 Depth=1
	v_lshl_add_u64 v[46:47], v[12:13], 3, v[44:45]
	flat_load_b64 v[46:47], v[46:47]
	s_wait_loadcnt_dscnt 0x0
	v_pk_mul_f32 v[48:49], v[42:43], v[46:47] op_sel:[1,0] neg_lo:[1,0]
	s_delay_alu instid0(VALU_DEP_1)
	v_pk_fma_f32 v[46:47], v[42:43], v[46:47], v[48:49] op_sel:[0,0,1] op_sel_hi:[0,1,0] neg_lo:[1,0,0] neg_hi:[1,0,0]
.LBB147_982:                            ;   in Loop: Header=BB147_3 Depth=1
	s_or_b32 exec_lo, exec_lo, s12
	s_delay_alu instid0(SALU_CYCLE_1)
	s_and_not1_b32 vcc_lo, exec_lo, s49
	s_cbranch_vccnz .LBB147_1017
; %bb.983:                              ;   in Loop: Header=BB147_3 Depth=1
	v_mov_b32_e32 v27, -1
	s_lshl_b64 s[80:81], s[62:63], 2
	s_mov_b32 s12, 0
	s_add_nc_u64 s[80:81], s[76:77], s[80:81]
	s_branch .LBB147_986
.LBB147_984:                            ;   in Loop: Header=BB147_986 Depth=2
	s_wait_xcnt 0x0
	ds_load_b64 v[42:43], v88 offset:384
	s_wait_loadcnt_dscnt 0x0
	v_pk_mul_f32 v[48:49], v[48:49], v[42:43] op_sel:[0,1] op_sel_hi:[0,0]
	s_delay_alu instid0(VALU_DEP_1) | instskip(SKIP_1) | instid1(VALU_DEP_2)
	v_pk_fma_f32 v[100:101], v[0:1], v[42:43], v[48:49] op_sel_hi:[0,1,1] neg_lo:[0,0,1] neg_hi:[0,0,1]
	v_pk_fma_f32 v[42:43], v[0:1], v[42:43], v[48:49]
	v_mov_b32_e32 v43, v101
	s_delay_alu instid0(VALU_DEP_1)
	v_pk_add_f32 v[46:47], v[46:47], v[42:43]
.LBB147_985:                            ;   in Loop: Header=BB147_986 Depth=2
	s_or_b32 exec_lo, exec_lo, s61
	s_add_co_i32 s12, s12, 1
	s_delay_alu instid0(SALU_CYCLE_1)
	s_cmp_eq_u32 s12, s84
	s_cbranch_scc1 .LBB147_1017
.LBB147_986:                            ;   Parent Loop BB147_3 Depth=1
                                        ; =>  This Loop Header: Depth=2
                                        ;       Child Loop BB147_988 Depth 3
	v_cmp_gt_i32_e32 vcc_lo, s12, v27
	s_and_b32 s61, s35, vcc_lo
	s_delay_alu instid0(SALU_CYCLE_1)
	s_and_saveexec_b32 s17, s61
	s_cbranch_execz .LBB147_989
; %bb.987:                              ;   in Loop: Header=BB147_986 Depth=2
	global_load_b32 v27, v1, s[80:81]
	s_wait_loadcnt 0x0
	v_cmp_le_i32_e32 vcc_lo, s12, v27
	s_cbranch_vccnz .LBB147_989
.LBB147_988:                            ;   Parent Loop BB147_3 Depth=1
                                        ;     Parent Loop BB147_986 Depth=2
                                        ; =>    This Inner Loop Header: Depth=3
	global_wb scope:SCOPE_DEV
	s_wait_storecnt 0x0
	global_inv scope:SCOPE_DEV
	global_load_b32 v27, v1, s[80:81]
	s_wait_loadcnt 0x0
	v_cmp_gt_i32_e32 vcc_lo, s12, v27
	s_cbranch_vccnz .LBB147_988
.LBB147_989:                            ;   in Loop: Header=BB147_986 Depth=2
	s_or_b32 exec_lo, exec_lo, s17
	s_lshl_b32 s61, s12, 6
	global_wb scope:SCOPE_DEV
	s_wait_storecnt 0x0
	global_inv scope:SCOPE_DEV
	s_wait_loadcnt 0x0
	s_barrier_signal -1
	s_barrier_wait -1
	s_and_saveexec_b32 s17, s36
	s_cbranch_execz .LBB147_994
; %bb.990:                              ;   in Loop: Header=BB147_986 Depth=2
	v_or_b32_e32 v0, s61, v6
	s_delay_alu instid0(VALU_DEP_1) | instskip(SKIP_1) | instid1(SALU_CYCLE_1)
	v_cmp_le_i32_e32 vcc_lo, s83, v0
	s_and_saveexec_b32 s50, vcc_lo
	s_xor_b32 vcc_lo, exec_lo, s50
; %bb.991:                              ;   in Loop: Header=BB147_986 Depth=2
	ds_store_b64 v91, v[28:29]
; %bb.992:                              ;   in Loop: Header=BB147_986 Depth=2
	s_and_not1_saveexec_b32 s50, vcc_lo
	s_cbranch_execz .LBB147_994
; %bb.993:                              ;   in Loop: Header=BB147_986 Depth=2
	v_mul_u64_e32 v[42:43], s[70:71], v[0:1]
	s_delay_alu instid0(VALU_DEP_1)
	v_lshl_add_u64 v[42:43], v[42:43], 3, v[44:45]
	flat_load_b64 v[42:43], v[42:43]
	s_wait_loadcnt_dscnt 0x0
	ds_store_b64 v91, v[42:43]
.LBB147_994:                            ;   in Loop: Header=BB147_986 Depth=2
	s_or_b32 exec_lo, exec_lo, s17
	v_add_nc_u32_e32 v0, s61, v2
	v_cmp_ne_u32_e32 vcc_lo, s12, v5
	s_wait_dscnt 0x0
	s_barrier_signal -1
	s_barrier_wait -1
	v_cmp_gt_i32_e64 s61, s83, v0
	v_lshl_add_u64 v[42:43], v[0:1], 3, v[40:41]
	v_cndmask_b32_e64 v99, 0, 1, vcc_lo
	s_and_b32 s17, s61, s0
	s_delay_alu instid0(SALU_CYCLE_1)
	s_and_saveexec_b32 s61, s17
	s_cbranch_execz .LBB147_1000
; %bb.995:                              ;   in Loop: Header=BB147_986 Depth=2
	v_mov_b32_e32 v48, v32
	s_and_not1_b32 vcc_lo, exec_lo, vcc_lo
	s_cbranch_vccnz .LBB147_997
; %bb.996:                              ;   in Loop: Header=BB147_986 Depth=2
	flat_load_b32 v48, v[42:43]
.LBB147_997:                            ;   in Loop: Header=BB147_986 Depth=2
	v_cmp_ne_u32_e32 vcc_lo, 1, v99
	v_mov_b32_e32 v50, v33
	s_cbranch_vccnz .LBB147_999
; %bb.998:                              ;   in Loop: Header=BB147_986 Depth=2
	flat_load_b32 v50, v[42:43] offset:4
.LBB147_999:                            ;   in Loop: Header=BB147_986 Depth=2
	ds_load_b64 v[100:101], v88
	s_wait_loadcnt_dscnt 0x0
	v_pk_mul_f32 v[102:103], v[50:51], v[100:101] op_sel:[0,1] op_sel_hi:[0,0]
	s_delay_alu instid0(VALU_DEP_1) | instskip(SKIP_1) | instid1(VALU_DEP_2)
	v_pk_fma_f32 v[104:105], v[48:49], v[100:101], v[102:103] op_sel_hi:[0,1,1] neg_lo:[0,0,1] neg_hi:[0,0,1]
	v_pk_fma_f32 v[48:49], v[48:49], v[100:101], v[102:103]
	v_mov_b32_e32 v49, v105
	s_delay_alu instid0(VALU_DEP_1)
	v_pk_add_f32 v[46:47], v[46:47], v[48:49]
.LBB147_1000:                           ;   in Loop: Header=BB147_986 Depth=2
	s_or_b32 exec_lo, exec_lo, s61
	v_add_nc_u32_e32 v48, 16, v0
	s_delay_alu instid0(VALU_DEP_1) | instskip(SKIP_1) | instid1(SALU_CYCLE_1)
	v_cmp_gt_i32_e32 vcc_lo, s83, v48
	s_and_b32 s17, vcc_lo, s0
	s_and_saveexec_b32 s61, s17
	s_cbranch_execz .LBB147_1006
; %bb.1001:                             ;   in Loop: Header=BB147_986 Depth=2
	v_cmp_ne_u32_e32 vcc_lo, 1, v99
	v_mov_b32_e32 v48, v34
	s_cbranch_vccnz .LBB147_1003
; %bb.1002:                             ;   in Loop: Header=BB147_986 Depth=2
	flat_load_b32 v48, v[42:43] offset:128
.LBB147_1003:                           ;   in Loop: Header=BB147_986 Depth=2
	v_cmp_ne_u32_e32 vcc_lo, 1, v99
	v_mov_b32_e32 v49, v35
	s_cbranch_vccnz .LBB147_1005
; %bb.1004:                             ;   in Loop: Header=BB147_986 Depth=2
	flat_load_b32 v49, v[42:43] offset:132
.LBB147_1005:                           ;   in Loop: Header=BB147_986 Depth=2
	ds_load_b64 v[100:101], v88 offset:128
	s_wait_loadcnt_dscnt 0x1
	v_dual_mov_b32 v102, v49 :: v_dual_mov_b32 v103, v48
	s_wait_dscnt 0x0
	v_dual_mul_f32 v50, v49, v100 :: v_dual_mul_f32 v104, v49, v101
	s_delay_alu instid0(VALU_DEP_1) | instskip(NEXT) | instid1(VALU_DEP_2)
	v_pk_fma_f32 v[102:103], v[102:103], v[100:101], v[50:51] op_sel_hi:[1,1,0] neg_lo:[0,0,1] neg_hi:[0,0,1]
	v_pk_fma_f32 v[48:49], v[48:49], v[100:101], v[104:105] op_sel_hi:[1,1,0]
	s_delay_alu instid0(VALU_DEP_2) | instskip(NEXT) | instid1(VALU_DEP_1)
	v_mov_b32_e32 v49, v103
	v_pk_add_f32 v[46:47], v[46:47], v[48:49]
.LBB147_1006:                           ;   in Loop: Header=BB147_986 Depth=2
	s_or_b32 exec_lo, exec_lo, s61
	v_add_nc_u32_e32 v48, 32, v0
	s_delay_alu instid0(VALU_DEP_1) | instskip(SKIP_1) | instid1(SALU_CYCLE_1)
	v_cmp_gt_i32_e32 vcc_lo, s83, v48
	s_and_b32 s17, vcc_lo, s0
	s_and_saveexec_b32 s61, s17
	s_cbranch_execz .LBB147_1012
; %bb.1007:                             ;   in Loop: Header=BB147_986 Depth=2
	v_cmp_ne_u32_e32 vcc_lo, 1, v99
	v_mov_b32_e32 v48, v36
	s_cbranch_vccnz .LBB147_1009
; %bb.1008:                             ;   in Loop: Header=BB147_986 Depth=2
	flat_load_b32 v48, v[42:43] offset:256
.LBB147_1009:                           ;   in Loop: Header=BB147_986 Depth=2
	v_cmp_ne_u32_e32 vcc_lo, 1, v99
	v_mov_b32_e32 v50, v37
	s_cbranch_vccnz .LBB147_1011
; %bb.1010:                             ;   in Loop: Header=BB147_986 Depth=2
	flat_load_b32 v50, v[42:43] offset:260
.LBB147_1011:                           ;   in Loop: Header=BB147_986 Depth=2
	ds_load_b64 v[100:101], v88 offset:256
	s_wait_loadcnt_dscnt 0x0
	v_pk_mul_f32 v[102:103], v[50:51], v[100:101] op_sel:[0,1] op_sel_hi:[0,0]
	s_delay_alu instid0(VALU_DEP_1) | instskip(SKIP_1) | instid1(VALU_DEP_2)
	v_pk_fma_f32 v[104:105], v[48:49], v[100:101], v[102:103] op_sel_hi:[0,1,1] neg_lo:[0,0,1] neg_hi:[0,0,1]
	v_pk_fma_f32 v[48:49], v[48:49], v[100:101], v[102:103]
	v_mov_b32_e32 v49, v105
	s_delay_alu instid0(VALU_DEP_1)
	v_pk_add_f32 v[46:47], v[46:47], v[48:49]
.LBB147_1012:                           ;   in Loop: Header=BB147_986 Depth=2
	s_or_b32 exec_lo, exec_lo, s61
	v_add_nc_u32_e32 v0, 48, v0
	s_delay_alu instid0(VALU_DEP_1) | instskip(SKIP_1) | instid1(SALU_CYCLE_1)
	v_cmp_gt_i32_e32 vcc_lo, s83, v0
	s_and_b32 s17, vcc_lo, s0
	s_and_saveexec_b32 s61, s17
	s_cbranch_execz .LBB147_985
; %bb.1013:                             ;   in Loop: Header=BB147_986 Depth=2
	v_cmp_ne_u32_e32 vcc_lo, 1, v99
	v_mov_b32_e32 v0, v38
	s_cbranch_vccnz .LBB147_1015
; %bb.1014:                             ;   in Loop: Header=BB147_986 Depth=2
	flat_load_b32 v0, v[42:43] offset:384
.LBB147_1015:                           ;   in Loop: Header=BB147_986 Depth=2
	v_cmp_ne_u32_e32 vcc_lo, 1, v99
	v_mov_b32_e32 v48, v39
	s_cbranch_vccnz .LBB147_984
; %bb.1016:                             ;   in Loop: Header=BB147_986 Depth=2
	flat_load_b32 v48, v[42:43] offset:388
	s_branch .LBB147_984
.LBB147_1017:                           ;   in Loop: Header=BB147_3 Depth=1
	ds_store_b64 v92, v[46:47]
	s_wait_dscnt 0x0
	s_barrier_signal -1
	s_barrier_wait -1
	s_and_saveexec_b32 s12, s2
	s_cbranch_execz .LBB147_1019
; %bb.1018:                             ;   in Loop: Header=BB147_3 Depth=1
	ds_load_2addr_stride64_b64 v[40:43], v93 offset0:1 offset1:2
	ds_load_2addr_stride64_b64 v[100:103], v93 offset0:3 offset1:4
	;; [unrolled: 1-line block ×3, first 2 shown]
	s_wait_dscnt 0x2
	v_pk_add_f32 v[40:41], v[46:47], v[40:41]
	s_delay_alu instid0(VALU_DEP_1) | instskip(SKIP_3) | instid1(VALU_DEP_1)
	v_pk_add_f32 v[46:47], v[40:41], v[42:43]
	ds_load_2addr_stride64_b64 v[40:43], v93 offset0:7 offset1:8
	s_wait_dscnt 0x2
	v_pk_add_f32 v[46:47], v[46:47], v[100:101]
	v_pk_add_f32 v[100:101], v[46:47], v[102:103]
	ds_load_2addr_stride64_b64 v[46:49], v93 offset0:9 offset1:10
	s_wait_dscnt 0x2
	v_pk_add_f32 v[100:101], v[100:101], v[104:105]
	s_delay_alu instid0(VALU_DEP_1) | instskip(SKIP_3) | instid1(VALU_DEP_1)
	v_pk_add_f32 v[104:105], v[100:101], v[106:107]
	ds_load_2addr_stride64_b64 v[100:103], v93 offset0:11 offset1:12
	s_wait_dscnt 0x2
	v_pk_add_f32 v[40:41], v[104:105], v[40:41]
	v_pk_add_f32 v[104:105], v[40:41], v[42:43]
	ds_load_2addr_stride64_b64 v[40:43], v93 offset0:13 offset1:14
	s_wait_dscnt 0x2
	v_pk_add_f32 v[46:47], v[104:105], v[46:47]
	s_delay_alu instid0(VALU_DEP_1) | instskip(SKIP_3) | instid1(VALU_DEP_1)
	v_pk_add_f32 v[46:47], v[46:47], v[48:49]
	ds_load_b64 v[48:49], v93 offset:7680
	s_wait_dscnt 0x2
	v_pk_add_f32 v[46:47], v[46:47], v[100:101]
	v_pk_add_f32 v[46:47], v[46:47], v[102:103]
	s_wait_dscnt 0x1
	s_delay_alu instid0(VALU_DEP_1) | instskip(NEXT) | instid1(VALU_DEP_1)
	v_pk_add_f32 v[40:41], v[46:47], v[40:41]
	v_pk_add_f32 v[40:41], v[40:41], v[42:43]
	s_wait_dscnt 0x0
	s_delay_alu instid0(VALU_DEP_1) | instskip(NEXT) | instid1(VALU_DEP_1)
	v_pk_add_f32 v[40:41], v[40:41], v[48:49]
	v_cndmask_b32_e64 v47, -v41, 0, s47
	s_delay_alu instid0(VALU_DEP_2)
	v_cndmask_b32_e64 v46, -v40, 0, s47
.LBB147_1019:                           ;   in Loop: Header=BB147_3 Depth=1
	s_or_b32 exec_lo, exec_lo, s12
	s_delay_alu instid0(SALU_CYCLE_1)
	s_and_not1_b32 vcc_lo, exec_lo, s87
	s_cbranch_vccnz .LBB147_1029
; %bb.1020:                             ;   in Loop: Header=BB147_3 Depth=1
	s_and_saveexec_b32 s12, s2
; %bb.1021:                             ;   in Loop: Header=BB147_3 Depth=1
	ds_store_b64 v95, v[46:47]
; %bb.1022:                             ;   in Loop: Header=BB147_3 Depth=1
	s_or_b32 exec_lo, exec_lo, s12
	v_mov_b64_e32 v[40:41], 0
	s_wait_dscnt 0x0
	s_barrier_signal -1
	s_barrier_wait -1
	s_and_saveexec_b32 s12, s6
	s_cbranch_execnz .LBB147_1068
; %bb.1023:                             ;   in Loop: Header=BB147_3 Depth=1
	s_or_b32 exec_lo, exec_lo, s12
	s_and_saveexec_b32 s12, s7
	s_cbranch_execnz .LBB147_1069
.LBB147_1024:                           ;   in Loop: Header=BB147_3 Depth=1
	s_or_b32 exec_lo, exec_lo, s12
	s_and_saveexec_b32 s12, s8
	s_cbranch_execnz .LBB147_1070
.LBB147_1025:                           ;   in Loop: Header=BB147_3 Depth=1
	s_or_b32 exec_lo, exec_lo, s12
	s_and_saveexec_b32 s12, s9
	s_cbranch_execz .LBB147_1027
.LBB147_1026:                           ;   in Loop: Header=BB147_3 Depth=1
	ds_load_b64 v[42:43], v94 offset:24576
	ds_load_b64 v[48:49], v88 offset:384
	s_wait_dscnt 0x0
	v_pk_mul_f32 v[100:101], v[48:49], v[42:43] op_sel:[1,1] op_sel_hi:[0,1]
	s_delay_alu instid0(VALU_DEP_1) | instskip(SKIP_1) | instid1(VALU_DEP_2)
	v_pk_fma_f32 v[102:103], v[48:49], v[42:43], v[100:101] op_sel_hi:[1,0,1]
	v_pk_fma_f32 v[42:43], v[48:49], v[42:43], v[100:101] neg_lo:[0,0,1] neg_hi:[0,0,1]
	v_mov_b32_e32 v43, v103
	s_delay_alu instid0(VALU_DEP_1)
	v_pk_add_f32 v[40:41], v[40:41], v[42:43]
.LBB147_1027:                           ;   in Loop: Header=BB147_3 Depth=1
	s_or_b32 exec_lo, exec_lo, s12
	s_mov_b32 s12, 0
	s_mov_b32 s61, 0
	ds_store_b64 v92, v[40:41]
	s_wait_dscnt 0x0
	s_barrier_signal -1
	s_barrier_wait -1
                                        ; implicit-def: $vgpr42_vgpr43
	s_and_saveexec_b32 s80, s2
	s_cbranch_execz .LBB147_1071
; %bb.1028:                             ;   in Loop: Header=BB147_3 Depth=1
	ds_load_2addr_stride64_b64 v[100:103], v93 offset0:1 offset1:2
	ds_load_2addr_stride64_b64 v[104:107], v93 offset0:3 offset1:4
	;; [unrolled: 1-line block ×3, first 2 shown]
	s_mov_b32 s61, exec_lo
	s_wait_dscnt 0x2
	v_pk_add_f32 v[40:41], v[40:41], v[100:101]
	s_delay_alu instid0(VALU_DEP_1) | instskip(SKIP_4) | instid1(VALU_DEP_1)
	v_pk_add_f32 v[48:49], v[40:41], v[102:103]
	ds_load_2addr_stride64_b64 v[40:43], v93 offset0:7 offset1:8
	ds_load_2addr_stride64_b64 v[100:103], v93 offset0:9 offset1:10
	s_wait_dscnt 0x3
	v_pk_add_f32 v[48:49], v[48:49], v[104:105]
	v_pk_add_f32 v[48:49], v[48:49], v[106:107]
	ds_load_2addr_stride64_b64 v[104:107], v93 offset0:11 offset1:12
	s_wait_dscnt 0x3
	v_pk_add_f32 v[48:49], v[48:49], v[108:109]
	s_delay_alu instid0(VALU_DEP_1) | instskip(SKIP_1) | instid1(VALU_DEP_1)
	v_pk_add_f32 v[48:49], v[48:49], v[110:111]
	s_wait_dscnt 0x2
	v_pk_add_f32 v[40:41], v[48:49], v[40:41]
	s_delay_alu instid0(VALU_DEP_1) | instskip(SKIP_1) | instid1(VALU_DEP_1)
	v_pk_add_f32 v[40:41], v[40:41], v[42:43]
	s_wait_dscnt 0x1
	v_pk_add_f32 v[48:49], v[40:41], v[100:101]
	ds_load_2addr_stride64_b64 v[40:43], v93 offset0:13 offset1:14
	ds_load_b64 v[100:101], v93 offset:7680
	v_pk_add_f32 v[48:49], v[48:49], v[102:103]
	s_wait_dscnt 0x2
	s_delay_alu instid0(VALU_DEP_1) | instskip(NEXT) | instid1(VALU_DEP_1)
	v_pk_add_f32 v[48:49], v[48:49], v[104:105]
	v_pk_add_f32 v[48:49], v[48:49], v[106:107]
	s_wait_dscnt 0x1
	s_delay_alu instid0(VALU_DEP_1) | instskip(NEXT) | instid1(VALU_DEP_1)
	v_pk_add_f32 v[40:41], v[48:49], v[40:41]
	v_pk_add_f32 v[40:41], v[40:41], v[42:43]
	s_wait_dscnt 0x0
	s_delay_alu instid0(VALU_DEP_1) | instskip(SKIP_1) | instid1(SALU_CYCLE_1)
	v_pk_add_f32 v[42:43], v[40:41], v[100:101]
	s_or_b32 exec_lo, exec_lo, s80
	s_and_b32 vcc_lo, exec_lo, s12
	s_cbranch_vccnz .LBB147_1030
	s_branch .LBB147_1072
.LBB147_1029:                           ;   in Loop: Header=BB147_3 Depth=1
	s_mov_b32 s61, 0
                                        ; implicit-def: $vgpr42_vgpr43
	s_cbranch_execz .LBB147_1072
.LBB147_1030:                           ;   in Loop: Header=BB147_3 Depth=1
	v_dual_mov_b32 v0, v4 :: v_dual_mov_b32 v27, v96
	s_mov_b32 s12, 0
	s_branch .LBB147_1032
.LBB147_1031:                           ;   in Loop: Header=BB147_1032 Depth=2
	s_or_b32 exec_lo, exec_lo, s17
	v_add_nc_u32_e32 v27, 0x800, v27
	v_add_nc_u32_e32 v0, -4, v0
	s_add_co_i32 s12, s12, 4
	s_delay_alu instid0(SALU_CYCLE_1)
	s_cmp_lg_u32 s12, 64
	s_barrier_signal -1
	s_barrier_wait -1
	s_cbranch_scc0 .LBB147_1048
.LBB147_1032:                           ;   Parent Loop BB147_3 Depth=1
                                        ; =>  This Inner Loop Header: Depth=2
	s_delay_alu instid0(VALU_DEP_1) | instskip(SKIP_1) | instid1(SALU_CYCLE_1)
	v_cmp_eq_u32_e32 vcc_lo, 0, v0
	s_and_b32 s50, s2, vcc_lo
	s_and_saveexec_b32 s17, s50
; %bb.1033:                             ;   in Loop: Header=BB147_1032 Depth=2
	ds_store_b64 v1, v[46:47] offset:41472
; %bb.1034:                             ;   in Loop: Header=BB147_1032 Depth=2
	s_or_b32 exec_lo, exec_lo, s17
	v_cmp_lt_u32_e32 vcc_lo, s12, v4
	s_wait_dscnt 0x0
	s_barrier_signal -1
	s_barrier_wait -1
	s_and_b32 s50, s2, vcc_lo
	s_delay_alu instid0(SALU_CYCLE_1)
	s_and_saveexec_b32 s17, s50
	s_cbranch_execz .LBB147_1036
; %bb.1035:                             ;   in Loop: Header=BB147_1032 Depth=2
	ds_load_b64 v[40:41], v27
	ds_load_b64 v[42:43], v1 offset:41472
	s_wait_dscnt 0x0
	v_pk_mul_f32 v[48:49], v[42:43], v[40:41] op_sel:[1,1] op_sel_hi:[0,1]
	s_delay_alu instid0(VALU_DEP_1) | instskip(SKIP_1) | instid1(VALU_DEP_2)
	v_pk_fma_f32 v[100:101], v[42:43], v[40:41], v[48:49] op_sel_hi:[1,0,1]
	v_pk_fma_f32 v[40:41], v[42:43], v[40:41], v[48:49] neg_lo:[0,0,1] neg_hi:[0,0,1]
	v_mov_b32_e32 v41, v101
	s_delay_alu instid0(VALU_DEP_1)
	v_pk_add_f32 v[46:47], v[46:47], v[40:41]
.LBB147_1036:                           ;   in Loop: Header=BB147_1032 Depth=2
	s_or_b32 exec_lo, exec_lo, s17
	s_or_b32 s17, s12, 1
	s_delay_alu instid0(SALU_CYCLE_1) | instskip(SKIP_3) | instid1(SALU_CYCLE_1)
	v_cmp_eq_u32_e32 vcc_lo, s17, v4
	s_barrier_signal -1
	s_barrier_wait -1
	s_and_b32 s50, s2, vcc_lo
	s_and_saveexec_b32 s80, s50
; %bb.1037:                             ;   in Loop: Header=BB147_1032 Depth=2
	ds_store_b64 v1, v[46:47] offset:41472
; %bb.1038:                             ;   in Loop: Header=BB147_1032 Depth=2
	s_or_b32 exec_lo, exec_lo, s80
	v_cmp_lt_u32_e32 vcc_lo, s17, v4
	s_wait_dscnt 0x0
	s_barrier_signal -1
	s_barrier_wait -1
	s_and_b32 s50, s2, vcc_lo
	s_delay_alu instid0(SALU_CYCLE_1)
	s_and_saveexec_b32 s17, s50
	s_cbranch_execz .LBB147_1040
; %bb.1039:                             ;   in Loop: Header=BB147_1032 Depth=2
	ds_load_b64 v[40:41], v27 offset:512
	ds_load_b64 v[42:43], v1 offset:41472
	s_wait_dscnt 0x0
	v_pk_mul_f32 v[48:49], v[42:43], v[40:41] op_sel:[1,1] op_sel_hi:[0,1]
	s_delay_alu instid0(VALU_DEP_1) | instskip(SKIP_1) | instid1(VALU_DEP_2)
	v_pk_fma_f32 v[100:101], v[42:43], v[40:41], v[48:49] op_sel_hi:[1,0,1]
	v_pk_fma_f32 v[40:41], v[42:43], v[40:41], v[48:49] neg_lo:[0,0,1] neg_hi:[0,0,1]
	v_mov_b32_e32 v41, v101
	s_delay_alu instid0(VALU_DEP_1)
	v_pk_add_f32 v[46:47], v[46:47], v[40:41]
.LBB147_1040:                           ;   in Loop: Header=BB147_1032 Depth=2
	s_or_b32 exec_lo, exec_lo, s17
	s_or_b32 s17, s12, 2
	s_delay_alu instid0(SALU_CYCLE_1) | instskip(SKIP_3) | instid1(SALU_CYCLE_1)
	v_cmp_eq_u32_e32 vcc_lo, s17, v4
	s_barrier_signal -1
	s_barrier_wait -1
	s_and_b32 s50, s2, vcc_lo
	s_and_saveexec_b32 s80, s50
; %bb.1041:                             ;   in Loop: Header=BB147_1032 Depth=2
	ds_store_b64 v1, v[46:47] offset:41472
; %bb.1042:                             ;   in Loop: Header=BB147_1032 Depth=2
	s_or_b32 exec_lo, exec_lo, s80
	v_cmp_lt_u32_e32 vcc_lo, s17, v4
	s_wait_dscnt 0x0
	s_barrier_signal -1
	s_barrier_wait -1
	s_and_b32 s50, s2, vcc_lo
	s_delay_alu instid0(SALU_CYCLE_1)
	s_and_saveexec_b32 s17, s50
	s_cbranch_execz .LBB147_1044
; %bb.1043:                             ;   in Loop: Header=BB147_1032 Depth=2
	ds_load_b64 v[40:41], v27 offset:1024
	ds_load_b64 v[42:43], v1 offset:41472
	s_wait_dscnt 0x0
	v_pk_mul_f32 v[48:49], v[42:43], v[40:41] op_sel:[1,1] op_sel_hi:[0,1]
	s_delay_alu instid0(VALU_DEP_1) | instskip(SKIP_1) | instid1(VALU_DEP_2)
	v_pk_fma_f32 v[100:101], v[42:43], v[40:41], v[48:49] op_sel_hi:[1,0,1]
	v_pk_fma_f32 v[40:41], v[42:43], v[40:41], v[48:49] neg_lo:[0,0,1] neg_hi:[0,0,1]
	v_mov_b32_e32 v41, v101
	s_delay_alu instid0(VALU_DEP_1)
	v_pk_add_f32 v[46:47], v[46:47], v[40:41]
.LBB147_1044:                           ;   in Loop: Header=BB147_1032 Depth=2
	s_or_b32 exec_lo, exec_lo, s17
	s_or_b32 s17, s12, 3
	s_delay_alu instid0(SALU_CYCLE_1) | instskip(SKIP_3) | instid1(SALU_CYCLE_1)
	v_cmp_eq_u32_e32 vcc_lo, s17, v4
	s_barrier_signal -1
	s_barrier_wait -1
	s_and_b32 s50, s2, vcc_lo
	s_and_saveexec_b32 s80, s50
; %bb.1045:                             ;   in Loop: Header=BB147_1032 Depth=2
	ds_store_b64 v1, v[46:47] offset:41472
; %bb.1046:                             ;   in Loop: Header=BB147_1032 Depth=2
	s_or_b32 exec_lo, exec_lo, s80
	v_cmp_lt_u32_e32 vcc_lo, s17, v4
	s_wait_dscnt 0x0
	s_barrier_signal -1
	s_barrier_wait -1
	s_and_b32 s50, s2, vcc_lo
	s_delay_alu instid0(SALU_CYCLE_1)
	s_and_saveexec_b32 s17, s50
	s_cbranch_execz .LBB147_1031
; %bb.1047:                             ;   in Loop: Header=BB147_1032 Depth=2
	ds_load_b64 v[40:41], v27 offset:1536
	ds_load_b64 v[42:43], v1 offset:41472
	s_wait_dscnt 0x0
	v_pk_mul_f32 v[48:49], v[42:43], v[40:41] op_sel:[1,1] op_sel_hi:[0,1]
	s_delay_alu instid0(VALU_DEP_1) | instskip(SKIP_1) | instid1(VALU_DEP_2)
	v_pk_fma_f32 v[100:101], v[42:43], v[40:41], v[48:49] op_sel_hi:[1,0,1]
	v_pk_fma_f32 v[40:41], v[42:43], v[40:41], v[48:49] neg_lo:[0,0,1] neg_hi:[0,0,1]
	v_mov_b32_e32 v41, v101
	s_delay_alu instid0(VALU_DEP_1)
	v_pk_add_f32 v[46:47], v[46:47], v[40:41]
	s_branch .LBB147_1031
.LBB147_1048:                           ;   in Loop: Header=BB147_3 Depth=1
	s_and_b32 vcc_lo, exec_lo, s86
	s_mov_b32 s12, -1
	s_cbranch_vccz .LBB147_1050
; %bb.1049:                             ;   in Loop: Header=BB147_3 Depth=1
	s_and_not1_b32 s17, s61, exec_lo
	s_and_b32 s50, s2, exec_lo
	s_mov_b32 s12, 0
	s_or_b32 s61, s17, s50
.LBB147_1050:                           ;   in Loop: Header=BB147_3 Depth=1
	s_and_not1_b32 vcc_lo, exec_lo, s12
	s_cbranch_vccnz .LBB147_1052
; %bb.1051:                             ;   in Loop: Header=BB147_3 Depth=1
	v_readlane_b32 s17, v113, 9
	s_and_not1_b32 s12, s61, exec_lo
	s_and_b32 s17, s17, exec_lo
	s_delay_alu instid0(SALU_CYCLE_1)
	s_or_b32 s61, s12, s17
.LBB147_1052:                           ;   in Loop: Header=BB147_3 Depth=1
	v_mov_b64_e32 v[40:41], v[22:23]
	s_and_saveexec_b32 s12, s61
	s_cbranch_execnz .LBB147_1073
	s_branch .LBB147_1074
.LBB147_1053:                           ;   in Loop: Header=BB147_3 Depth=1
	v_readlane_b32 s50, v113, 18
	s_and_saveexec_b32 s17, s50
; %bb.1054:                             ;   in Loop: Header=BB147_3 Depth=1
	ds_store_b64 v82, v[28:29]
; %bb.1055:                             ;   in Loop: Header=BB147_3 Depth=1
	s_or_b32 exec_lo, exec_lo, s17
	s_and_not1_saveexec_b32 s12, s12
	s_cbranch_execz .LBB147_16
.LBB147_1056:                           ;   in Loop: Header=BB147_3 Depth=1
	v_lshl_add_u64 v[48:49], v[20:21], 3, v[46:47]
	flat_load_b64 v[48:49], v[48:49]
	s_wait_loadcnt_dscnt 0x0
	v_xor_b32_e32 v48, 0x80000000, v48
	ds_store_b64 v82, v[48:49]
	s_or_b32 exec_lo, exec_lo, s12
	s_and_saveexec_b32 s12, s7
	s_delay_alu instid0(SALU_CYCLE_1)
	s_xor_b32 s12, exec_lo, s12
	s_cbranch_execz .LBB147_17
.LBB147_1057:                           ;   in Loop: Header=BB147_3 Depth=1
	v_readlane_b32 s50, v113, 19
	s_and_saveexec_b32 s17, s50
; %bb.1058:                             ;   in Loop: Header=BB147_3 Depth=1
	ds_store_b64 v84, v[28:29]
; %bb.1059:                             ;   in Loop: Header=BB147_3 Depth=1
	s_or_b32 exec_lo, exec_lo, s17
	s_and_not1_saveexec_b32 s12, s12
	s_cbranch_execz .LBB147_18
.LBB147_1060:                           ;   in Loop: Header=BB147_3 Depth=1
	v_lshl_add_u64 v[48:49], v[14:15], 3, v[46:47]
	flat_load_b64 v[48:49], v[48:49]
	s_wait_loadcnt_dscnt 0x0
	v_xor_b32_e32 v48, 0x80000000, v48
	ds_store_b64 v84, v[48:49]
	s_or_b32 exec_lo, exec_lo, s12
	s_and_saveexec_b32 s12, s8
	s_delay_alu instid0(SALU_CYCLE_1)
	s_xor_b32 s12, exec_lo, s12
	s_cbranch_execz .LBB147_19
.LBB147_1061:                           ;   in Loop: Header=BB147_3 Depth=1
	v_readlane_b32 s50, v113, 20
	s_and_saveexec_b32 s17, s50
; %bb.1062:                             ;   in Loop: Header=BB147_3 Depth=1
	ds_store_b64 v85, v[28:29]
; %bb.1063:                             ;   in Loop: Header=BB147_3 Depth=1
	s_or_b32 exec_lo, exec_lo, s17
	s_and_not1_saveexec_b32 s12, s12
	s_cbranch_execz .LBB147_20
.LBB147_1064:                           ;   in Loop: Header=BB147_3 Depth=1
	v_lshl_add_u64 v[48:49], v[16:17], 3, v[46:47]
	flat_load_b64 v[48:49], v[48:49]
	s_wait_loadcnt_dscnt 0x0
	v_xor_b32_e32 v48, 0x80000000, v48
	ds_store_b64 v85, v[48:49]
	s_or_b32 exec_lo, exec_lo, s12
	s_and_saveexec_b32 s12, s9
	s_delay_alu instid0(SALU_CYCLE_1)
	s_xor_b32 s12, exec_lo, s12
	s_cbranch_execz .LBB147_21
.LBB147_1065:                           ;   in Loop: Header=BB147_3 Depth=1
	v_readlane_b32 s50, v112, 8
	s_and_saveexec_b32 s17, s50
; %bb.1066:                             ;   in Loop: Header=BB147_3 Depth=1
	ds_store_b64 v86, v[28:29]
; %bb.1067:                             ;   in Loop: Header=BB147_3 Depth=1
	s_or_b32 exec_lo, exec_lo, s17
	s_and_not1_saveexec_b32 s12, s12
	s_cbranch_execnz .LBB147_22
	s_branch .LBB147_23
.LBB147_1068:                           ;   in Loop: Header=BB147_3 Depth=1
	ds_load_b64 v[40:41], v94
	ds_load_b64 v[42:43], v88
	s_wait_dscnt 0x0
	v_dual_mul_f32 v0, v43, v41 :: v_dual_mul_f32 v27, v42, v41
	s_delay_alu instid0(VALU_DEP_1) | instskip(NEXT) | instid1(VALU_DEP_1)
	v_dual_fma_f32 v0, v42, v40, -v0 :: v_dual_fmac_f32 v27, v43, v40
	v_dual_add_f32 v40, 0, v0 :: v_dual_add_f32 v41, 0, v27
	s_or_b32 exec_lo, exec_lo, s12
	s_and_saveexec_b32 s12, s7
	s_cbranch_execz .LBB147_1024
.LBB147_1069:                           ;   in Loop: Header=BB147_3 Depth=1
	ds_load_b64 v[42:43], v94 offset:8192
	ds_load_b64 v[48:49], v88 offset:128
	s_wait_dscnt 0x0
	v_dual_mul_f32 v0, v49, v43 :: v_dual_mul_f32 v101, v48, v43
	s_delay_alu instid0(VALU_DEP_1) | instskip(NEXT) | instid1(VALU_DEP_1)
	v_dual_fma_f32 v100, v48, v42, -v0 :: v_dual_fmac_f32 v101, v49, v42
	v_pk_add_f32 v[40:41], v[40:41], v[100:101]
	s_or_b32 exec_lo, exec_lo, s12
	s_and_saveexec_b32 s12, s8
	s_cbranch_execz .LBB147_1025
.LBB147_1070:                           ;   in Loop: Header=BB147_3 Depth=1
	ds_load_b64 v[42:43], v94 offset:16384
	ds_load_b64 v[48:49], v88 offset:256
	s_wait_dscnt 0x0
	v_pk_mul_f32 v[100:101], v[48:49], v[42:43] op_sel:[1,1] op_sel_hi:[0,1]
	s_delay_alu instid0(VALU_DEP_1) | instskip(SKIP_1) | instid1(VALU_DEP_2)
	v_pk_fma_f32 v[102:103], v[48:49], v[42:43], v[100:101] op_sel_hi:[1,0,1]
	v_pk_fma_f32 v[42:43], v[48:49], v[42:43], v[100:101] neg_lo:[0,0,1] neg_hi:[0,0,1]
	v_mov_b32_e32 v43, v103
	s_delay_alu instid0(VALU_DEP_1)
	v_pk_add_f32 v[40:41], v[40:41], v[42:43]
	s_or_b32 exec_lo, exec_lo, s12
	s_and_saveexec_b32 s12, s9
	s_cbranch_execnz .LBB147_1026
	s_branch .LBB147_1027
.LBB147_1071:                           ;   in Loop: Header=BB147_3 Depth=1
	s_or_b32 exec_lo, exec_lo, s80
	s_delay_alu instid0(SALU_CYCLE_1)
	s_and_b32 vcc_lo, exec_lo, s12
	s_cbranch_vccnz .LBB147_1030
.LBB147_1072:                           ;   in Loop: Header=BB147_3 Depth=1
	v_mov_b64_e32 v[46:47], v[42:43]
	v_mov_b64_e32 v[40:41], v[24:25]
	s_and_saveexec_b32 s12, s61
	s_cbranch_execz .LBB147_1074
.LBB147_1073:                           ;   in Loop: Header=BB147_3 Depth=1
	s_delay_alu instid0(VALU_DEP_1)
	v_lshl_add_u64 v[40:41], v[40:41], 3, v[44:45]
	flat_store_b64 v[40:41], v[46:47]
.LBB147_1074:                           ;   in Loop: Header=BB147_3 Depth=1
	s_wait_xcnt 0x0
	s_or_b32 exec_lo, exec_lo, s12
	global_wb scope:SCOPE_DEV
	s_wait_storecnt_dscnt 0x0
	global_inv scope:SCOPE_DEV
	s_wait_loadcnt 0x0
	s_barrier_signal -1
	s_barrier_wait -1
	s_and_saveexec_b32 s12, s35
	s_cbranch_execz .LBB147_2
; %bb.1075:                             ;   in Loop: Header=BB147_3 Depth=1
	s_lshl_b64 s[80:81], s[62:63], 2
	s_delay_alu instid0(SALU_CYCLE_1)
	s_add_nc_u64 s[80:81], s[76:77], s[80:81]
	global_load_b32 v0, v1, s[80:81]
	s_wait_loadcnt 0x0
	v_add_nc_u32_e32 v0, 1, v0
	global_store_b32 v1, v0, s[80:81]
	s_branch .LBB147_2
.LBB147_1076:                           ;   in Loop: Header=BB147_3 Depth=1
	ds_load_b64 v[48:49], v58 offset:31680
	ds_load_b64 v[100:101], v59 offset:32744
	s_wait_dscnt 0x0
	v_dual_mul_f32 v0, v101, v49 :: v_dual_mul_f32 v27, v100, v49
	s_delay_alu instid0(VALU_DEP_1) | instskip(NEXT) | instid1(VALU_DEP_1)
	v_dual_fma_f32 v0, v100, v48, -v0 :: v_dual_fmac_f32 v27, v101, v48
	v_dual_add_f32 v46, v46, v0 :: v_dual_add_f32 v47, v47, v27
	s_or_b32 exec_lo, exec_lo, s17
	s_and_saveexec_b32 s17, s15
	s_cbranch_execz .LBB147_72
.LBB147_1077:                           ;   in Loop: Header=BB147_3 Depth=1
	ds_load_b64 v[48:49], v58 offset:32192
	ds_load_b64 v[100:101], v59 offset:32752
	s_wait_dscnt 0x0
	v_dual_mul_f32 v0, v101, v49 :: v_dual_mul_f32 v103, v100, v49
	s_delay_alu instid0(VALU_DEP_1) | instskip(NEXT) | instid1(VALU_DEP_1)
	v_dual_fma_f32 v102, v100, v48, -v0 :: v_dual_fmac_f32 v103, v101, v48
	v_pk_add_f32 v[46:47], v[46:47], v[102:103]
	s_or_b32 exec_lo, exec_lo, s17
	s_and_saveexec_b32 s17, s1
	s_cbranch_execnz .LBB147_73
	s_branch .LBB147_74
.LBB147_1078:                           ;   in Loop: Header=BB147_3 Depth=1
	ds_load_b64 v[48:49], v66 offset:29568
	ds_load_b64 v[100:101], v67 offset:32712
	s_wait_dscnt 0x0
	v_dual_mul_f32 v0, v101, v49 :: v_dual_mul_f32 v27, v100, v49
	s_delay_alu instid0(VALU_DEP_1) | instskip(NEXT) | instid1(VALU_DEP_1)
	v_dual_fma_f32 v0, v100, v48, -v0 :: v_dual_fmac_f32 v27, v101, v48
	v_dual_add_f32 v46, v46, v0 :: v_dual_add_f32 v47, v47, v27
	s_or_b32 exec_lo, exec_lo, s17
	s_and_saveexec_b32 s17, s18
	s_cbranch_execz .LBB147_114
.LBB147_1079:                           ;   in Loop: Header=BB147_3 Depth=1
	ds_load_b64 v[48:49], v66 offset:30080
	ds_load_b64 v[100:101], v67 offset:32720
	s_wait_dscnt 0x0
	v_dual_mul_f32 v0, v101, v49 :: v_dual_mul_f32 v27, v100, v49
	s_delay_alu instid0(VALU_DEP_1) | instskip(NEXT) | instid1(VALU_DEP_1)
	v_dual_fma_f32 v0, v100, v48, -v0 :: v_dual_fmac_f32 v27, v101, v48
	v_dual_add_f32 v46, v46, v0 :: v_dual_add_f32 v47, v47, v27
	s_or_b32 exec_lo, exec_lo, s17
	s_and_saveexec_b32 s17, s19
	s_cbranch_execz .LBB147_115
.LBB147_1080:                           ;   in Loop: Header=BB147_3 Depth=1
	ds_load_b64 v[48:49], v66 offset:30592
	ds_load_b64 v[100:101], v67 offset:32728
	s_wait_dscnt 0x0
	v_dual_mul_f32 v0, v101, v49 :: v_dual_mul_f32 v27, v100, v49
	s_delay_alu instid0(VALU_DEP_1) | instskip(NEXT) | instid1(VALU_DEP_1)
	v_dual_fma_f32 v0, v100, v48, -v0 :: v_dual_fmac_f32 v27, v101, v48
	v_dual_add_f32 v46, v46, v0 :: v_dual_add_f32 v47, v47, v27
	s_or_b32 exec_lo, exec_lo, s17
	s_and_saveexec_b32 s17, s20
	s_cbranch_execz .LBB147_116
.LBB147_1081:                           ;   in Loop: Header=BB147_3 Depth=1
	ds_load_b64 v[48:49], v66 offset:31104
	ds_load_b64 v[100:101], v67 offset:32736
	s_wait_dscnt 0x0
	v_dual_mul_f32 v0, v101, v49 :: v_dual_mul_f32 v103, v100, v49
	s_delay_alu instid0(VALU_DEP_1) | instskip(NEXT) | instid1(VALU_DEP_1)
	v_dual_fma_f32 v102, v100, v48, -v0 :: v_dual_fmac_f32 v103, v101, v48
	v_pk_add_f32 v[46:47], v[46:47], v[102:103]
	s_or_b32 exec_lo, exec_lo, s17
	s_and_saveexec_b32 s17, s21
	s_cbranch_execz .LBB147_117
.LBB147_1082:                           ;   in Loop: Header=BB147_3 Depth=1
	ds_load_b64 v[48:49], v66 offset:31616
	ds_load_b64 v[100:101], v67 offset:32744
	s_wait_dscnt 0x0
	v_pk_mul_f32 v[102:103], v[100:101], v[48:49] op_sel:[1,1] op_sel_hi:[0,1]
	s_delay_alu instid0(VALU_DEP_1) | instskip(SKIP_1) | instid1(VALU_DEP_2)
	v_pk_fma_f32 v[104:105], v[100:101], v[48:49], v[102:103] op_sel_hi:[1,0,1]
	v_pk_fma_f32 v[48:49], v[100:101], v[48:49], v[102:103] neg_lo:[0,0,1] neg_hi:[0,0,1]
	v_mov_b32_e32 v49, v105
	s_delay_alu instid0(VALU_DEP_1)
	v_pk_add_f32 v[46:47], v[46:47], v[48:49]
	s_or_b32 exec_lo, exec_lo, s17
	s_and_saveexec_b32 s17, s3
	s_cbranch_execz .LBB147_118
.LBB147_1083:                           ;   in Loop: Header=BB147_3 Depth=1
	ds_load_b64 v[48:49], v66 offset:32128
	ds_load_b64 v[100:101], v67 offset:32752
	s_wait_dscnt 0x0
	v_pk_mul_f32 v[102:103], v[100:101], v[48:49] op_sel:[1,1] op_sel_hi:[0,1]
	s_delay_alu instid0(VALU_DEP_1) | instskip(SKIP_1) | instid1(VALU_DEP_2)
	v_pk_fma_f32 v[104:105], v[100:101], v[48:49], v[102:103] op_sel_hi:[1,0,1]
	v_pk_fma_f32 v[48:49], v[100:101], v[48:49], v[102:103] neg_lo:[0,0,1] neg_hi:[0,0,1]
	v_mov_b32_e32 v49, v105
	s_delay_alu instid0(VALU_DEP_1)
	v_pk_add_f32 v[46:47], v[46:47], v[48:49]
	s_or_b32 exec_lo, exec_lo, s17
	s_and_saveexec_b32 s17, s15
	s_cbranch_execnz .LBB147_119
	s_branch .LBB147_120
.LBB147_1084:                           ;   in Loop: Header=BB147_3 Depth=1
	ds_load_b64 v[48:49], v58 offset:27520
	ds_load_b64 v[100:101], v59 offset:28584
	s_wait_dscnt 0x0
	v_dual_mul_f32 v0, v101, v49 :: v_dual_mul_f32 v27, v100, v49
	s_delay_alu instid0(VALU_DEP_1) | instskip(NEXT) | instid1(VALU_DEP_1)
	v_dual_fma_f32 v0, v100, v48, -v0 :: v_dual_fmac_f32 v27, v101, v48
	v_dual_add_f32 v46, v46, v0 :: v_dual_add_f32 v47, v47, v27
	s_or_b32 exec_lo, exec_lo, s17
	s_and_saveexec_b32 s17, s15
	s_cbranch_execz .LBB147_176
.LBB147_1085:                           ;   in Loop: Header=BB147_3 Depth=1
	ds_load_b64 v[48:49], v58 offset:28032
	ds_load_b64 v[100:101], v59 offset:28592
	s_wait_dscnt 0x0
	v_dual_mul_f32 v0, v101, v49 :: v_dual_mul_f32 v103, v100, v49
	s_delay_alu instid0(VALU_DEP_1) | instskip(NEXT) | instid1(VALU_DEP_1)
	v_dual_fma_f32 v102, v100, v48, -v0 :: v_dual_fmac_f32 v103, v101, v48
	v_pk_add_f32 v[46:47], v[46:47], v[102:103]
	s_or_b32 exec_lo, exec_lo, s17
	s_and_saveexec_b32 s17, s1
	s_cbranch_execnz .LBB147_177
	s_branch .LBB147_178
.LBB147_1086:                           ;   in Loop: Header=BB147_3 Depth=1
	ds_load_b64 v[48:49], v74 offset:30464
	ds_load_b64 v[100:101], v75 offset:32728
	s_wait_dscnt 0x0
	v_dual_mul_f32 v0, v101, v49 :: v_dual_mul_f32 v27, v100, v49
	s_delay_alu instid0(VALU_DEP_1) | instskip(NEXT) | instid1(VALU_DEP_1)
	v_dual_fma_f32 v0, v100, v48, -v0 :: v_dual_fmac_f32 v27, v101, v48
	v_dual_add_f32 v46, v46, v0 :: v_dual_add_f32 v47, v47, v27
	s_or_b32 exec_lo, exec_lo, s12
	s_and_saveexec_b32 s12, s4
	s_cbranch_execz .LBB147_238
.LBB147_1087:                           ;   in Loop: Header=BB147_3 Depth=1
	ds_load_b64 v[48:49], v74 offset:30976
	ds_load_b64 v[100:101], v75 offset:32736
	s_wait_dscnt 0x0
	v_dual_mul_f32 v0, v101, v49 :: v_dual_mul_f32 v27, v100, v49
	s_delay_alu instid0(VALU_DEP_1) | instskip(NEXT) | instid1(VALU_DEP_1)
	v_dual_fma_f32 v0, v100, v48, -v0 :: v_dual_fmac_f32 v27, v101, v48
	v_dual_add_f32 v46, v46, v0 :: v_dual_add_f32 v47, v47, v27
	s_or_b32 exec_lo, exec_lo, s12
	s_and_saveexec_b32 s12, s18
	s_cbranch_execz .LBB147_239
.LBB147_1088:                           ;   in Loop: Header=BB147_3 Depth=1
	ds_load_b64 v[48:49], v74 offset:31488
	ds_load_b64 v[100:101], v75 offset:32744
	s_wait_dscnt 0x0
	v_dual_mul_f32 v0, v101, v49 :: v_dual_mul_f32 v27, v100, v49
	s_delay_alu instid0(VALU_DEP_1) | instskip(NEXT) | instid1(VALU_DEP_1)
	v_dual_fma_f32 v0, v100, v48, -v0 :: v_dual_fmac_f32 v27, v101, v48
	v_dual_add_f32 v46, v46, v0 :: v_dual_add_f32 v47, v47, v27
	s_or_b32 exec_lo, exec_lo, s12
	s_and_saveexec_b32 s12, s20
	s_cbranch_execz .LBB147_240
.LBB147_1089:                           ;   in Loop: Header=BB147_3 Depth=1
	ds_load_b64 v[48:49], v74 offset:32000
	ds_load_b64 v[100:101], v75 offset:32752
	s_wait_dscnt 0x0
	v_dual_mul_f32 v0, v101, v49 :: v_dual_mul_f32 v103, v100, v49
	s_delay_alu instid0(VALU_DEP_1) | instskip(NEXT) | instid1(VALU_DEP_1)
	v_dual_fma_f32 v102, v100, v48, -v0 :: v_dual_fmac_f32 v103, v101, v48
	v_pk_add_f32 v[46:47], v[46:47], v[102:103]
	s_or_b32 exec_lo, exec_lo, s12
	s_and_saveexec_b32 s12, s3
	s_cbranch_execnz .LBB147_241
	s_branch .LBB147_242
.LBB147_1090:                           ;   in Loop: Header=BB147_3 Depth=1
	ds_load_b64 v[48:49], v58 offset:23360
	ds_load_b64 v[100:101], v59 offset:24424
	s_wait_dscnt 0x0
	v_dual_mul_f32 v0, v101, v49 :: v_dual_mul_f32 v27, v100, v49
	s_delay_alu instid0(VALU_DEP_1) | instskip(NEXT) | instid1(VALU_DEP_1)
	v_dual_fma_f32 v0, v100, v48, -v0 :: v_dual_fmac_f32 v27, v101, v48
	v_dual_add_f32 v46, v46, v0 :: v_dual_add_f32 v47, v47, v27
	s_or_b32 exec_lo, exec_lo, s17
	s_and_saveexec_b32 s17, s15
	s_cbranch_execz .LBB147_330
.LBB147_1091:                           ;   in Loop: Header=BB147_3 Depth=1
	ds_load_b64 v[48:49], v58 offset:23872
	ds_load_b64 v[100:101], v59 offset:24432
	s_wait_dscnt 0x0
	v_dual_mul_f32 v0, v101, v49 :: v_dual_mul_f32 v103, v100, v49
	s_delay_alu instid0(VALU_DEP_1) | instskip(NEXT) | instid1(VALU_DEP_1)
	v_dual_fma_f32 v102, v100, v48, -v0 :: v_dual_fmac_f32 v103, v101, v48
	v_pk_add_f32 v[46:47], v[46:47], v[102:103]
	s_or_b32 exec_lo, exec_lo, s17
	s_and_saveexec_b32 s17, s1
	s_cbranch_execnz .LBB147_331
	s_branch .LBB147_332
.LBB147_1092:                           ;   in Loop: Header=BB147_3 Depth=1
	ds_load_b64 v[48:49], v66 offset:21248
	ds_load_b64 v[100:101], v67 offset:24392
	s_wait_dscnt 0x0
	v_dual_mul_f32 v0, v101, v49 :: v_dual_mul_f32 v27, v100, v49
	s_delay_alu instid0(VALU_DEP_1) | instskip(NEXT) | instid1(VALU_DEP_1)
	v_dual_fma_f32 v0, v100, v48, -v0 :: v_dual_fmac_f32 v27, v101, v48
	v_dual_add_f32 v46, v46, v0 :: v_dual_add_f32 v47, v47, v27
	s_or_b32 exec_lo, exec_lo, s17
	s_and_saveexec_b32 s17, s18
	s_cbranch_execz .LBB147_372
.LBB147_1093:                           ;   in Loop: Header=BB147_3 Depth=1
	ds_load_b64 v[48:49], v66 offset:21760
	ds_load_b64 v[100:101], v67 offset:24400
	s_wait_dscnt 0x0
	v_dual_mul_f32 v0, v101, v49 :: v_dual_mul_f32 v27, v100, v49
	s_delay_alu instid0(VALU_DEP_1) | instskip(NEXT) | instid1(VALU_DEP_1)
	v_dual_fma_f32 v0, v100, v48, -v0 :: v_dual_fmac_f32 v27, v101, v48
	v_dual_add_f32 v46, v46, v0 :: v_dual_add_f32 v47, v47, v27
	s_or_b32 exec_lo, exec_lo, s17
	s_and_saveexec_b32 s17, s19
	s_cbranch_execz .LBB147_373
.LBB147_1094:                           ;   in Loop: Header=BB147_3 Depth=1
	ds_load_b64 v[48:49], v66 offset:22272
	ds_load_b64 v[100:101], v67 offset:24408
	s_wait_dscnt 0x0
	v_dual_mul_f32 v0, v101, v49 :: v_dual_mul_f32 v27, v100, v49
	s_delay_alu instid0(VALU_DEP_1) | instskip(NEXT) | instid1(VALU_DEP_1)
	v_dual_fma_f32 v0, v100, v48, -v0 :: v_dual_fmac_f32 v27, v101, v48
	v_dual_add_f32 v46, v46, v0 :: v_dual_add_f32 v47, v47, v27
	s_or_b32 exec_lo, exec_lo, s17
	s_and_saveexec_b32 s17, s20
	s_cbranch_execz .LBB147_374
.LBB147_1095:                           ;   in Loop: Header=BB147_3 Depth=1
	ds_load_b64 v[48:49], v66 offset:22784
	ds_load_b64 v[100:101], v67 offset:24416
	s_wait_dscnt 0x0
	v_dual_mul_f32 v0, v101, v49 :: v_dual_mul_f32 v103, v100, v49
	s_delay_alu instid0(VALU_DEP_1) | instskip(NEXT) | instid1(VALU_DEP_1)
	v_dual_fma_f32 v102, v100, v48, -v0 :: v_dual_fmac_f32 v103, v101, v48
	v_pk_add_f32 v[46:47], v[46:47], v[102:103]
	s_or_b32 exec_lo, exec_lo, s17
	s_and_saveexec_b32 s17, s21
	s_cbranch_execz .LBB147_375
.LBB147_1096:                           ;   in Loop: Header=BB147_3 Depth=1
	ds_load_b64 v[48:49], v66 offset:23296
	ds_load_b64 v[100:101], v67 offset:24424
	s_wait_dscnt 0x0
	v_pk_mul_f32 v[102:103], v[100:101], v[48:49] op_sel:[1,1] op_sel_hi:[0,1]
	s_delay_alu instid0(VALU_DEP_1) | instskip(SKIP_1) | instid1(VALU_DEP_2)
	v_pk_fma_f32 v[104:105], v[100:101], v[48:49], v[102:103] op_sel_hi:[1,0,1]
	v_pk_fma_f32 v[48:49], v[100:101], v[48:49], v[102:103] neg_lo:[0,0,1] neg_hi:[0,0,1]
	v_mov_b32_e32 v49, v105
	s_delay_alu instid0(VALU_DEP_1)
	v_pk_add_f32 v[46:47], v[46:47], v[48:49]
	s_or_b32 exec_lo, exec_lo, s17
	s_and_saveexec_b32 s17, s3
	s_cbranch_execz .LBB147_376
.LBB147_1097:                           ;   in Loop: Header=BB147_3 Depth=1
	ds_load_b64 v[48:49], v66 offset:23808
	ds_load_b64 v[100:101], v67 offset:24432
	s_wait_dscnt 0x0
	v_pk_mul_f32 v[102:103], v[100:101], v[48:49] op_sel:[1,1] op_sel_hi:[0,1]
	s_delay_alu instid0(VALU_DEP_1) | instskip(SKIP_1) | instid1(VALU_DEP_2)
	v_pk_fma_f32 v[104:105], v[100:101], v[48:49], v[102:103] op_sel_hi:[1,0,1]
	v_pk_fma_f32 v[48:49], v[100:101], v[48:49], v[102:103] neg_lo:[0,0,1] neg_hi:[0,0,1]
	v_mov_b32_e32 v49, v105
	s_delay_alu instid0(VALU_DEP_1)
	v_pk_add_f32 v[46:47], v[46:47], v[48:49]
	s_or_b32 exec_lo, exec_lo, s17
	s_and_saveexec_b32 s17, s15
	s_cbranch_execnz .LBB147_377
	s_branch .LBB147_378
.LBB147_1098:                           ;   in Loop: Header=BB147_3 Depth=1
	ds_load_b64 v[48:49], v58 offset:19200
	ds_load_b64 v[100:101], v59 offset:20264
	s_wait_dscnt 0x0
	v_dual_mul_f32 v0, v101, v49 :: v_dual_mul_f32 v27, v100, v49
	s_delay_alu instid0(VALU_DEP_1) | instskip(NEXT) | instid1(VALU_DEP_1)
	v_dual_fma_f32 v0, v100, v48, -v0 :: v_dual_fmac_f32 v27, v101, v48
	v_dual_add_f32 v46, v46, v0 :: v_dual_add_f32 v47, v47, v27
	s_or_b32 exec_lo, exec_lo, s17
	s_and_saveexec_b32 s17, s15
	s_cbranch_execz .LBB147_434
.LBB147_1099:                           ;   in Loop: Header=BB147_3 Depth=1
	ds_load_b64 v[48:49], v58 offset:19712
	ds_load_b64 v[100:101], v59 offset:20272
	s_wait_dscnt 0x0
	v_dual_mul_f32 v0, v101, v49 :: v_dual_mul_f32 v103, v100, v49
	s_delay_alu instid0(VALU_DEP_1) | instskip(NEXT) | instid1(VALU_DEP_1)
	v_dual_fma_f32 v102, v100, v48, -v0 :: v_dual_fmac_f32 v103, v101, v48
	v_pk_add_f32 v[46:47], v[46:47], v[102:103]
	s_or_b32 exec_lo, exec_lo, s17
	s_and_saveexec_b32 s17, s1
	s_cbranch_execnz .LBB147_435
	s_branch .LBB147_436
.LBB147_1100:                           ;   in Loop: Header=BB147_3 Depth=1
	ds_load_b64 v[48:49], v78 offset:31232
	ds_load_b64 v[100:101], v80 offset:32744
	s_wait_dscnt 0x0
	v_pk_mul_f32 v[102:103], v[100:101], v[48:49] op_sel:[1,1] op_sel_hi:[0,1]
	s_delay_alu instid0(VALU_DEP_1) | instskip(SKIP_1) | instid1(VALU_DEP_2)
	v_pk_fma_f32 v[104:105], v[100:101], v[48:49], v[102:103] op_sel_hi:[1,0,1]
	v_pk_fma_f32 v[48:49], v[100:101], v[48:49], v[102:103] neg_lo:[0,0,1] neg_hi:[0,0,1]
	v_mov_b32_e32 v49, v105
	s_delay_alu instid0(VALU_DEP_1)
	v_pk_add_f32 v[46:47], v[46:47], v[48:49]
	s_or_b32 exec_lo, exec_lo, s12
	s_and_saveexec_b32 s12, s4
	s_cbranch_execz .LBB147_532
.LBB147_1101:                           ;   in Loop: Header=BB147_3 Depth=1
	ds_load_b64 v[48:49], v78 offset:31744
	ds_load_b64 v[100:101], v80 offset:32752
	s_wait_dscnt 0x0
	v_pk_mul_f32 v[102:103], v[100:101], v[48:49] op_sel:[1,1] op_sel_hi:[0,1]
	s_delay_alu instid0(VALU_DEP_1) | instskip(SKIP_1) | instid1(VALU_DEP_2)
	v_pk_fma_f32 v[104:105], v[100:101], v[48:49], v[102:103] op_sel_hi:[1,0,1]
	v_pk_fma_f32 v[48:49], v[100:101], v[48:49], v[102:103] neg_lo:[0,0,1] neg_hi:[0,0,1]
	v_mov_b32_e32 v49, v105
	s_delay_alu instid0(VALU_DEP_1) | instskip(SKIP_2) | instid1(SALU_CYCLE_1)
	v_pk_add_f32 v[46:47], v[46:47], v[48:49]
	s_or_b32 exec_lo, exec_lo, s12
	s_and_saveexec_b32 s12, s20
	s_xor_b32 s12, exec_lo, s12
	s_cbranch_execnz .LBB147_533
	s_branch .LBB147_534
.LBB147_1102:                           ;   in Loop: Header=BB147_3 Depth=1
	ds_load_b64 v[48:49], v58 offset:15040
	ds_load_b64 v[100:101], v59 offset:16104
	s_wait_dscnt 0x0
	v_dual_mul_f32 v0, v101, v49 :: v_dual_mul_f32 v27, v100, v49
	s_delay_alu instid0(VALU_DEP_1) | instskip(NEXT) | instid1(VALU_DEP_1)
	v_dual_fma_f32 v0, v100, v48, -v0 :: v_dual_fmac_f32 v27, v101, v48
	v_dual_add_f32 v46, v46, v0 :: v_dual_add_f32 v47, v47, v27
	s_or_b32 exec_lo, exec_lo, s17
	s_and_saveexec_b32 s17, s15
	s_cbranch_execz .LBB147_578
.LBB147_1103:                           ;   in Loop: Header=BB147_3 Depth=1
	ds_load_b64 v[48:49], v58 offset:15552
	ds_load_b64 v[100:101], v59 offset:16112
	s_wait_dscnt 0x0
	v_dual_mul_f32 v0, v101, v49 :: v_dual_mul_f32 v103, v100, v49
	s_delay_alu instid0(VALU_DEP_1) | instskip(NEXT) | instid1(VALU_DEP_1)
	v_dual_fma_f32 v102, v100, v48, -v0 :: v_dual_fmac_f32 v103, v101, v48
	v_pk_add_f32 v[46:47], v[46:47], v[102:103]
	s_or_b32 exec_lo, exec_lo, s17
	s_and_saveexec_b32 s17, s1
	s_cbranch_execnz .LBB147_579
	s_branch .LBB147_580
.LBB147_1104:                           ;   in Loop: Header=BB147_3 Depth=1
	ds_load_b64 v[48:49], v66 offset:12928
	ds_load_b64 v[100:101], v67 offset:16072
	s_wait_dscnt 0x0
	v_dual_mul_f32 v0, v101, v49 :: v_dual_mul_f32 v27, v100, v49
	s_delay_alu instid0(VALU_DEP_1) | instskip(NEXT) | instid1(VALU_DEP_1)
	v_dual_fma_f32 v0, v100, v48, -v0 :: v_dual_fmac_f32 v27, v101, v48
	v_dual_add_f32 v46, v46, v0 :: v_dual_add_f32 v47, v47, v27
	s_or_b32 exec_lo, exec_lo, s17
	s_and_saveexec_b32 s17, s18
	s_cbranch_execz .LBB147_620
.LBB147_1105:                           ;   in Loop: Header=BB147_3 Depth=1
	ds_load_b64 v[48:49], v66 offset:13440
	ds_load_b64 v[100:101], v67 offset:16080
	s_wait_dscnt 0x0
	v_dual_mul_f32 v0, v101, v49 :: v_dual_mul_f32 v27, v100, v49
	s_delay_alu instid0(VALU_DEP_1) | instskip(NEXT) | instid1(VALU_DEP_1)
	v_dual_fma_f32 v0, v100, v48, -v0 :: v_dual_fmac_f32 v27, v101, v48
	v_dual_add_f32 v46, v46, v0 :: v_dual_add_f32 v47, v47, v27
	s_or_b32 exec_lo, exec_lo, s17
	s_and_saveexec_b32 s17, s19
	s_cbranch_execz .LBB147_621
.LBB147_1106:                           ;   in Loop: Header=BB147_3 Depth=1
	ds_load_b64 v[48:49], v66 offset:13952
	ds_load_b64 v[100:101], v67 offset:16088
	s_wait_dscnt 0x0
	v_dual_mul_f32 v0, v101, v49 :: v_dual_mul_f32 v27, v100, v49
	s_delay_alu instid0(VALU_DEP_1) | instskip(NEXT) | instid1(VALU_DEP_1)
	v_dual_fma_f32 v0, v100, v48, -v0 :: v_dual_fmac_f32 v27, v101, v48
	v_dual_add_f32 v46, v46, v0 :: v_dual_add_f32 v47, v47, v27
	s_or_b32 exec_lo, exec_lo, s17
	s_and_saveexec_b32 s17, s20
	s_cbranch_execz .LBB147_622
.LBB147_1107:                           ;   in Loop: Header=BB147_3 Depth=1
	ds_load_b64 v[48:49], v66 offset:14464
	ds_load_b64 v[100:101], v67 offset:16096
	s_wait_dscnt 0x0
	v_dual_mul_f32 v0, v101, v49 :: v_dual_mul_f32 v103, v100, v49
	s_delay_alu instid0(VALU_DEP_1) | instskip(NEXT) | instid1(VALU_DEP_1)
	v_dual_fma_f32 v102, v100, v48, -v0 :: v_dual_fmac_f32 v103, v101, v48
	v_pk_add_f32 v[46:47], v[46:47], v[102:103]
	s_or_b32 exec_lo, exec_lo, s17
	s_and_saveexec_b32 s17, s21
	s_cbranch_execz .LBB147_623
.LBB147_1108:                           ;   in Loop: Header=BB147_3 Depth=1
	ds_load_b64 v[48:49], v66 offset:14976
	ds_load_b64 v[100:101], v67 offset:16104
	s_wait_dscnt 0x0
	v_pk_mul_f32 v[102:103], v[100:101], v[48:49] op_sel:[1,1] op_sel_hi:[0,1]
	s_delay_alu instid0(VALU_DEP_1) | instskip(SKIP_1) | instid1(VALU_DEP_2)
	v_pk_fma_f32 v[104:105], v[100:101], v[48:49], v[102:103] op_sel_hi:[1,0,1]
	v_pk_fma_f32 v[48:49], v[100:101], v[48:49], v[102:103] neg_lo:[0,0,1] neg_hi:[0,0,1]
	v_mov_b32_e32 v49, v105
	s_delay_alu instid0(VALU_DEP_1)
	v_pk_add_f32 v[46:47], v[46:47], v[48:49]
	s_or_b32 exec_lo, exec_lo, s17
	s_and_saveexec_b32 s17, s3
	s_cbranch_execz .LBB147_624
.LBB147_1109:                           ;   in Loop: Header=BB147_3 Depth=1
	ds_load_b64 v[48:49], v66 offset:15488
	ds_load_b64 v[100:101], v67 offset:16112
	s_wait_dscnt 0x0
	v_pk_mul_f32 v[102:103], v[100:101], v[48:49] op_sel:[1,1] op_sel_hi:[0,1]
	s_delay_alu instid0(VALU_DEP_1) | instskip(SKIP_1) | instid1(VALU_DEP_2)
	v_pk_fma_f32 v[104:105], v[100:101], v[48:49], v[102:103] op_sel_hi:[1,0,1]
	v_pk_fma_f32 v[48:49], v[100:101], v[48:49], v[102:103] neg_lo:[0,0,1] neg_hi:[0,0,1]
	v_mov_b32_e32 v49, v105
	s_delay_alu instid0(VALU_DEP_1)
	v_pk_add_f32 v[46:47], v[46:47], v[48:49]
	s_or_b32 exec_lo, exec_lo, s17
	s_and_saveexec_b32 s17, s15
	s_cbranch_execnz .LBB147_625
	s_branch .LBB147_626
.LBB147_1110:                           ;   in Loop: Header=BB147_3 Depth=1
	ds_load_b64 v[48:49], v58 offset:10880
	ds_load_b64 v[100:101], v59 offset:11944
	s_wait_dscnt 0x0
	v_dual_mul_f32 v0, v101, v49 :: v_dual_mul_f32 v27, v100, v49
	s_delay_alu instid0(VALU_DEP_1) | instskip(NEXT) | instid1(VALU_DEP_1)
	v_dual_fma_f32 v0, v100, v48, -v0 :: v_dual_fmac_f32 v27, v101, v48
	v_dual_add_f32 v46, v46, v0 :: v_dual_add_f32 v47, v47, v27
	s_or_b32 exec_lo, exec_lo, s17
	s_and_saveexec_b32 s17, s15
	s_cbranch_execz .LBB147_682
.LBB147_1111:                           ;   in Loop: Header=BB147_3 Depth=1
	ds_load_b64 v[48:49], v58 offset:11392
	ds_load_b64 v[100:101], v59 offset:11952
	s_wait_dscnt 0x0
	v_dual_mul_f32 v0, v101, v49 :: v_dual_mul_f32 v103, v100, v49
	s_delay_alu instid0(VALU_DEP_1) | instskip(NEXT) | instid1(VALU_DEP_1)
	v_dual_fma_f32 v102, v100, v48, -v0 :: v_dual_fmac_f32 v103, v101, v48
	v_pk_add_f32 v[46:47], v[46:47], v[102:103]
	s_or_b32 exec_lo, exec_lo, s17
	s_and_saveexec_b32 s17, s1
	s_cbranch_execnz .LBB147_683
	s_branch .LBB147_684
.LBB147_1112:                           ;   in Loop: Header=BB147_3 Depth=1
	ds_load_b64 v[48:49], v74 offset:13824
	ds_load_b64 v[100:101], v75 offset:16088
	s_wait_dscnt 0x0
	v_dual_mul_f32 v0, v101, v49 :: v_dual_mul_f32 v27, v100, v49
	s_delay_alu instid0(VALU_DEP_1) | instskip(NEXT) | instid1(VALU_DEP_1)
	v_dual_fma_f32 v0, v100, v48, -v0 :: v_dual_fmac_f32 v27, v101, v48
	v_dual_add_f32 v46, v46, v0 :: v_dual_add_f32 v47, v47, v27
	s_or_b32 exec_lo, exec_lo, s12
	s_and_saveexec_b32 s12, s4
	s_cbranch_execz .LBB147_744
.LBB147_1113:                           ;   in Loop: Header=BB147_3 Depth=1
	ds_load_b64 v[48:49], v74 offset:14336
	ds_load_b64 v[100:101], v75 offset:16096
	s_wait_dscnt 0x0
	v_dual_mul_f32 v0, v101, v49 :: v_dual_mul_f32 v27, v100, v49
	s_delay_alu instid0(VALU_DEP_1) | instskip(NEXT) | instid1(VALU_DEP_1)
	v_dual_fma_f32 v0, v100, v48, -v0 :: v_dual_fmac_f32 v27, v101, v48
	v_dual_add_f32 v46, v46, v0 :: v_dual_add_f32 v47, v47, v27
	s_or_b32 exec_lo, exec_lo, s12
	s_and_saveexec_b32 s12, s18
	s_cbranch_execz .LBB147_745
.LBB147_1114:                           ;   in Loop: Header=BB147_3 Depth=1
	ds_load_b64 v[48:49], v74 offset:14848
	ds_load_b64 v[100:101], v75 offset:16104
	s_wait_dscnt 0x0
	v_dual_mul_f32 v0, v101, v49 :: v_dual_mul_f32 v27, v100, v49
	s_delay_alu instid0(VALU_DEP_1) | instskip(NEXT) | instid1(VALU_DEP_1)
	v_dual_fma_f32 v0, v100, v48, -v0 :: v_dual_fmac_f32 v27, v101, v48
	v_dual_add_f32 v46, v46, v0 :: v_dual_add_f32 v47, v47, v27
	s_or_b32 exec_lo, exec_lo, s12
	s_and_saveexec_b32 s12, s20
	s_cbranch_execz .LBB147_746
.LBB147_1115:                           ;   in Loop: Header=BB147_3 Depth=1
	ds_load_b64 v[48:49], v74 offset:15360
	ds_load_b64 v[100:101], v75 offset:16112
	s_wait_dscnt 0x0
	v_dual_mul_f32 v0, v101, v49 :: v_dual_mul_f32 v103, v100, v49
	s_delay_alu instid0(VALU_DEP_1) | instskip(NEXT) | instid1(VALU_DEP_1)
	v_dual_fma_f32 v102, v100, v48, -v0 :: v_dual_fmac_f32 v103, v101, v48
	v_pk_add_f32 v[46:47], v[46:47], v[102:103]
	s_or_b32 exec_lo, exec_lo, s12
	s_and_saveexec_b32 s12, s3
	s_cbranch_execnz .LBB147_747
	s_branch .LBB147_748
.LBB147_1116:                           ;   in Loop: Header=BB147_3 Depth=1
	ds_load_b64 v[48:49], v58 offset:6720
	ds_load_b64 v[100:101], v59 offset:7784
	s_wait_dscnt 0x0
	v_dual_mul_f32 v0, v101, v49 :: v_dual_mul_f32 v27, v100, v49
	s_delay_alu instid0(VALU_DEP_1) | instskip(NEXT) | instid1(VALU_DEP_1)
	v_dual_fma_f32 v0, v100, v48, -v0 :: v_dual_fmac_f32 v27, v101, v48
	v_dual_add_f32 v46, v46, v0 :: v_dual_add_f32 v47, v47, v27
	s_or_b32 exec_lo, exec_lo, s17
	s_and_saveexec_b32 s17, s15
	s_cbranch_execz .LBB147_836
.LBB147_1117:                           ;   in Loop: Header=BB147_3 Depth=1
	ds_load_b64 v[48:49], v58 offset:7232
	ds_load_b64 v[100:101], v59 offset:7792
	s_wait_dscnt 0x0
	v_dual_mul_f32 v0, v101, v49 :: v_dual_mul_f32 v103, v100, v49
	s_delay_alu instid0(VALU_DEP_1) | instskip(NEXT) | instid1(VALU_DEP_1)
	v_dual_fma_f32 v102, v100, v48, -v0 :: v_dual_fmac_f32 v103, v101, v48
	v_pk_add_f32 v[46:47], v[46:47], v[102:103]
	s_or_b32 exec_lo, exec_lo, s17
	s_and_saveexec_b32 s17, s1
	s_cbranch_execnz .LBB147_837
	s_branch .LBB147_838
.LBB147_1118:                           ;   in Loop: Header=BB147_3 Depth=1
	ds_load_b64 v[48:49], v66 offset:4608
	ds_load_b64 v[100:101], v67 offset:7752
	s_wait_dscnt 0x0
	v_dual_mul_f32 v0, v101, v49 :: v_dual_mul_f32 v27, v100, v49
	s_delay_alu instid0(VALU_DEP_1) | instskip(NEXT) | instid1(VALU_DEP_1)
	v_dual_fma_f32 v0, v100, v48, -v0 :: v_dual_fmac_f32 v27, v101, v48
	v_dual_add_f32 v46, v46, v0 :: v_dual_add_f32 v47, v47, v27
	s_or_b32 exec_lo, exec_lo, s17
	s_and_saveexec_b32 s17, s18
	s_cbranch_execz .LBB147_878
.LBB147_1119:                           ;   in Loop: Header=BB147_3 Depth=1
	ds_load_b64 v[48:49], v66 offset:5120
	ds_load_b64 v[100:101], v67 offset:7760
	s_wait_dscnt 0x0
	v_dual_mul_f32 v0, v101, v49 :: v_dual_mul_f32 v27, v100, v49
	s_delay_alu instid0(VALU_DEP_1) | instskip(NEXT) | instid1(VALU_DEP_1)
	v_dual_fma_f32 v0, v100, v48, -v0 :: v_dual_fmac_f32 v27, v101, v48
	v_dual_add_f32 v46, v46, v0 :: v_dual_add_f32 v47, v47, v27
	s_or_b32 exec_lo, exec_lo, s17
	s_and_saveexec_b32 s17, s19
	s_cbranch_execz .LBB147_879
.LBB147_1120:                           ;   in Loop: Header=BB147_3 Depth=1
	ds_load_b64 v[48:49], v66 offset:5632
	ds_load_b64 v[100:101], v67 offset:7768
	s_wait_dscnt 0x0
	v_dual_mul_f32 v0, v101, v49 :: v_dual_mul_f32 v27, v100, v49
	s_delay_alu instid0(VALU_DEP_1) | instskip(NEXT) | instid1(VALU_DEP_1)
	v_dual_fma_f32 v0, v100, v48, -v0 :: v_dual_fmac_f32 v27, v101, v48
	v_dual_add_f32 v46, v46, v0 :: v_dual_add_f32 v47, v47, v27
	s_or_b32 exec_lo, exec_lo, s17
	s_and_saveexec_b32 s17, s20
	s_cbranch_execz .LBB147_880
.LBB147_1121:                           ;   in Loop: Header=BB147_3 Depth=1
	ds_load_b64 v[48:49], v66 offset:6144
	ds_load_b64 v[100:101], v67 offset:7776
	s_wait_dscnt 0x0
	v_dual_mul_f32 v0, v101, v49 :: v_dual_mul_f32 v103, v100, v49
	s_delay_alu instid0(VALU_DEP_1) | instskip(NEXT) | instid1(VALU_DEP_1)
	v_dual_fma_f32 v102, v100, v48, -v0 :: v_dual_fmac_f32 v103, v101, v48
	v_pk_add_f32 v[46:47], v[46:47], v[102:103]
	s_or_b32 exec_lo, exec_lo, s17
	s_and_saveexec_b32 s17, s21
	s_cbranch_execz .LBB147_881
.LBB147_1122:                           ;   in Loop: Header=BB147_3 Depth=1
	ds_load_b64 v[48:49], v66 offset:6656
	ds_load_b64 v[100:101], v67 offset:7784
	s_wait_dscnt 0x0
	v_pk_mul_f32 v[102:103], v[100:101], v[48:49] op_sel:[1,1] op_sel_hi:[0,1]
	s_delay_alu instid0(VALU_DEP_1) | instskip(SKIP_1) | instid1(VALU_DEP_2)
	v_pk_fma_f32 v[104:105], v[100:101], v[48:49], v[102:103] op_sel_hi:[1,0,1]
	v_pk_fma_f32 v[48:49], v[100:101], v[48:49], v[102:103] neg_lo:[0,0,1] neg_hi:[0,0,1]
	v_mov_b32_e32 v49, v105
	s_delay_alu instid0(VALU_DEP_1)
	v_pk_add_f32 v[46:47], v[46:47], v[48:49]
	s_or_b32 exec_lo, exec_lo, s17
	s_and_saveexec_b32 s17, s3
	s_cbranch_execz .LBB147_882
.LBB147_1123:                           ;   in Loop: Header=BB147_3 Depth=1
	ds_load_b64 v[48:49], v66 offset:7168
	ds_load_b64 v[100:101], v67 offset:7792
	s_wait_dscnt 0x0
	v_pk_mul_f32 v[102:103], v[100:101], v[48:49] op_sel:[1,1] op_sel_hi:[0,1]
	s_delay_alu instid0(VALU_DEP_1) | instskip(SKIP_1) | instid1(VALU_DEP_2)
	v_pk_fma_f32 v[104:105], v[100:101], v[48:49], v[102:103] op_sel_hi:[1,0,1]
	v_pk_fma_f32 v[48:49], v[100:101], v[48:49], v[102:103] neg_lo:[0,0,1] neg_hi:[0,0,1]
	v_mov_b32_e32 v49, v105
	s_delay_alu instid0(VALU_DEP_1)
	v_pk_add_f32 v[46:47], v[46:47], v[48:49]
	s_or_b32 exec_lo, exec_lo, s17
	s_and_saveexec_b32 s17, s15
	s_cbranch_execnz .LBB147_883
	s_branch .LBB147_884
.LBB147_1124:                           ;   in Loop: Header=BB147_3 Depth=1
	ds_load_b64 v[48:49], v58 offset:2560
	ds_load_b64 v[100:101], v59 offset:3624
	s_wait_dscnt 0x0
	v_dual_mul_f32 v0, v101, v49 :: v_dual_mul_f32 v27, v100, v49
	s_delay_alu instid0(VALU_DEP_1) | instskip(NEXT) | instid1(VALU_DEP_1)
	v_dual_fma_f32 v0, v100, v48, -v0 :: v_dual_fmac_f32 v27, v101, v48
	v_dual_add_f32 v46, v46, v0 :: v_dual_add_f32 v47, v47, v27
	s_or_b32 exec_lo, exec_lo, s17
	s_and_saveexec_b32 s17, s15
	s_cbranch_execz .LBB147_940
.LBB147_1125:                           ;   in Loop: Header=BB147_3 Depth=1
	ds_load_b64 v[48:49], v58 offset:3072
	ds_load_b64 v[100:101], v59 offset:3632
	s_wait_dscnt 0x0
	v_dual_mul_f32 v0, v101, v49 :: v_dual_mul_f32 v103, v100, v49
	s_delay_alu instid0(VALU_DEP_1) | instskip(NEXT) | instid1(VALU_DEP_1)
	v_dual_fma_f32 v102, v100, v48, -v0 :: v_dual_fmac_f32 v103, v101, v48
	v_pk_add_f32 v[46:47], v[46:47], v[102:103]
	s_or_b32 exec_lo, exec_lo, s17
	s_and_saveexec_b32 s17, s1
	s_cbranch_execnz .LBB147_941
	s_branch .LBB147_942
.LBB147_1126:
	s_endpgm
	.section	.rodata,"a",@progbits
	.p2align	6, 0x0
	.amdhsa_kernel _ZL19rocblas_trsv_deviceILi64ELi16ELb0ELb1ELb1ELb1E19rocblas_complex_numIfEPKS1_PKS3_PKPS1_EviT7_lllT6_T8_lllPii
		.amdhsa_group_segment_fixed_size 41480
		.amdhsa_private_segment_fixed_size 0
		.amdhsa_kernarg_size 352
		.amdhsa_user_sgpr_count 2
		.amdhsa_user_sgpr_dispatch_ptr 0
		.amdhsa_user_sgpr_queue_ptr 0
		.amdhsa_user_sgpr_kernarg_segment_ptr 1
		.amdhsa_user_sgpr_dispatch_id 0
		.amdhsa_user_sgpr_kernarg_preload_length 0
		.amdhsa_user_sgpr_kernarg_preload_offset 0
		.amdhsa_user_sgpr_private_segment_size 0
		.amdhsa_wavefront_size32 1
		.amdhsa_uses_dynamic_stack 0
		.amdhsa_enable_private_segment 0
		.amdhsa_system_sgpr_workgroup_id_x 1
		.amdhsa_system_sgpr_workgroup_id_y 0
		.amdhsa_system_sgpr_workgroup_id_z 1
		.amdhsa_system_sgpr_workgroup_info 0
		.amdhsa_system_vgpr_workitem_id 1
		.amdhsa_next_free_vgpr 114
		.amdhsa_next_free_sgpr 105
		.amdhsa_named_barrier_count 0
		.amdhsa_reserve_vcc 1
		.amdhsa_float_round_mode_32 0
		.amdhsa_float_round_mode_16_64 0
		.amdhsa_float_denorm_mode_32 3
		.amdhsa_float_denorm_mode_16_64 3
		.amdhsa_fp16_overflow 0
		.amdhsa_memory_ordered 1
		.amdhsa_forward_progress 1
		.amdhsa_inst_pref_size 255
		.amdhsa_round_robin_scheduling 0
		.amdhsa_exception_fp_ieee_invalid_op 0
		.amdhsa_exception_fp_denorm_src 0
		.amdhsa_exception_fp_ieee_div_zero 0
		.amdhsa_exception_fp_ieee_overflow 0
		.amdhsa_exception_fp_ieee_underflow 0
		.amdhsa_exception_fp_ieee_inexact 0
		.amdhsa_exception_int_div_zero 0
	.end_amdhsa_kernel
	.section	.text._ZL19rocblas_trsv_deviceILi64ELi16ELb0ELb1ELb1ELb1E19rocblas_complex_numIfEPKS1_PKS3_PKPS1_EviT7_lllT6_T8_lllPii,"axG",@progbits,_ZL19rocblas_trsv_deviceILi64ELi16ELb0ELb1ELb1ELb1E19rocblas_complex_numIfEPKS1_PKS3_PKPS1_EviT7_lllT6_T8_lllPii,comdat
.Lfunc_end147:
	.size	_ZL19rocblas_trsv_deviceILi64ELi16ELb0ELb1ELb1ELb1E19rocblas_complex_numIfEPKS1_PKS3_PKPS1_EviT7_lllT6_T8_lllPii, .Lfunc_end147-_ZL19rocblas_trsv_deviceILi64ELi16ELb0ELb1ELb1ELb1E19rocblas_complex_numIfEPKS1_PKS3_PKPS1_EviT7_lllT6_T8_lllPii
                                        ; -- End function
	.set _ZL19rocblas_trsv_deviceILi64ELi16ELb0ELb1ELb1ELb1E19rocblas_complex_numIfEPKS1_PKS3_PKPS1_EviT7_lllT6_T8_lllPii.num_vgpr, 114
	.set _ZL19rocblas_trsv_deviceILi64ELi16ELb0ELb1ELb1ELb1E19rocblas_complex_numIfEPKS1_PKS3_PKPS1_EviT7_lllT6_T8_lllPii.num_agpr, 0
	.set _ZL19rocblas_trsv_deviceILi64ELi16ELb0ELb1ELb1ELb1E19rocblas_complex_numIfEPKS1_PKS3_PKPS1_EviT7_lllT6_T8_lllPii.numbered_sgpr, 105
	.set _ZL19rocblas_trsv_deviceILi64ELi16ELb0ELb1ELb1ELb1E19rocblas_complex_numIfEPKS1_PKS3_PKPS1_EviT7_lllT6_T8_lllPii.num_named_barrier, 0
	.set _ZL19rocblas_trsv_deviceILi64ELi16ELb0ELb1ELb1ELb1E19rocblas_complex_numIfEPKS1_PKS3_PKPS1_EviT7_lllT6_T8_lllPii.private_seg_size, 0
	.set _ZL19rocblas_trsv_deviceILi64ELi16ELb0ELb1ELb1ELb1E19rocblas_complex_numIfEPKS1_PKS3_PKPS1_EviT7_lllT6_T8_lllPii.uses_vcc, 1
	.set _ZL19rocblas_trsv_deviceILi64ELi16ELb0ELb1ELb1ELb1E19rocblas_complex_numIfEPKS1_PKS3_PKPS1_EviT7_lllT6_T8_lllPii.uses_flat_scratch, 0
	.set _ZL19rocblas_trsv_deviceILi64ELi16ELb0ELb1ELb1ELb1E19rocblas_complex_numIfEPKS1_PKS3_PKPS1_EviT7_lllT6_T8_lllPii.has_dyn_sized_stack, 0
	.set _ZL19rocblas_trsv_deviceILi64ELi16ELb0ELb1ELb1ELb1E19rocblas_complex_numIfEPKS1_PKS3_PKPS1_EviT7_lllT6_T8_lllPii.has_recursion, 0
	.set _ZL19rocblas_trsv_deviceILi64ELi16ELb0ELb1ELb1ELb1E19rocblas_complex_numIfEPKS1_PKS3_PKPS1_EviT7_lllT6_T8_lllPii.has_indirect_call, 0
	.section	.AMDGPU.csdata,"",@progbits
; Kernel info:
; codeLenInByte = 42136
; TotalNumSgprs: 107
; NumVgprs: 114
; ScratchSize: 0
; MemoryBound: 0
; FloatMode: 240
; IeeeMode: 1
; LDSByteSize: 41480 bytes/workgroup (compile time only)
; SGPRBlocks: 0
; VGPRBlocks: 7
; NumSGPRsForWavesPerEU: 107
; NumVGPRsForWavesPerEU: 114
; NamedBarCnt: 0
; Occupancy: 8
; WaveLimiterHint : 1
; COMPUTE_PGM_RSRC2:SCRATCH_EN: 0
; COMPUTE_PGM_RSRC2:USER_SGPR: 2
; COMPUTE_PGM_RSRC2:TRAP_HANDLER: 0
; COMPUTE_PGM_RSRC2:TGID_X_EN: 1
; COMPUTE_PGM_RSRC2:TGID_Y_EN: 0
; COMPUTE_PGM_RSRC2:TGID_Z_EN: 1
; COMPUTE_PGM_RSRC2:TIDIG_COMP_CNT: 1
	.section	.text._ZL19rocblas_trsv_deviceILi64ELi16ELb0ELb0ELb0ELb0E19rocblas_complex_numIfEPKS1_PKS3_PKPS1_EviT7_lllT6_T8_lllPii,"axG",@progbits,_ZL19rocblas_trsv_deviceILi64ELi16ELb0ELb0ELb0ELb0E19rocblas_complex_numIfEPKS1_PKS3_PKPS1_EviT7_lllT6_T8_lllPii,comdat
	.globl	_ZL19rocblas_trsv_deviceILi64ELi16ELb0ELb0ELb0ELb0E19rocblas_complex_numIfEPKS1_PKS3_PKPS1_EviT7_lllT6_T8_lllPii ; -- Begin function _ZL19rocblas_trsv_deviceILi64ELi16ELb0ELb0ELb0ELb0E19rocblas_complex_numIfEPKS1_PKS3_PKPS1_EviT7_lllT6_T8_lllPii
	.p2align	8
	.type	_ZL19rocblas_trsv_deviceILi64ELi16ELb0ELb0ELb0ELb0E19rocblas_complex_numIfEPKS1_PKS3_PKPS1_EviT7_lllT6_T8_lllPii,@function
_ZL19rocblas_trsv_deviceILi64ELi16ELb0ELb0ELb0ELb0E19rocblas_complex_numIfEPKS1_PKS3_PKPS1_EviT7_lllT6_T8_lllPii: ; @_ZL19rocblas_trsv_deviceILi64ELi16ELb0ELb0ELb0ELb0E19rocblas_complex_numIfEPKS1_PKS3_PKPS1_EviT7_lllT6_T8_lllPii
; %bb.0:
	s_load_b32 s71, s[0:1], 0x58
	s_bfe_u32 s2, ttmp6, 0x40014
	s_lshr_b32 s3, ttmp7, 16
	s_add_co_i32 s2, s2, 1
	s_bfe_u32 s5, ttmp6, 0x40008
	s_mul_i32 s4, s3, s2
	s_getreg_b32 s2, hwreg(HW_REG_IB_STS2, 6, 4)
	s_add_co_i32 s5, s5, s4
	s_cmp_eq_u32 s2, 0
	s_mov_b32 s85, 0
	s_cselect_b32 s84, s3, s5
	s_wait_kmcnt 0x0
	s_cmp_ge_u32 s84, s71
	s_cbranch_scc1 .LBB148_1098
; %bb.1:
	s_clause 0x2
	s_load_b32 s3, s[0:1], 0x6c
	s_load_b32 s101, s[0:1], 0x60
	s_load_b32 s86, s[0:1], 0x0
	s_bfe_u32 s5, ttmp6, 0x4000c
	s_and_b32 s4, ttmp6, 15
	s_add_co_i32 s5, s5, 1
	s_clause 0x1
	s_load_b64 s[88:89], s[0:1], 0x18
	s_load_b128 s[80:83], s[0:1], 0x8
	s_mul_i32 s5, ttmp9, s5
	s_load_b256 s[72:79], s[0:1], 0x28
	s_add_co_i32 s4, s4, s5
	s_cmp_eq_u32 s2, 0
	s_load_b64 s[90:91], s[0:1], 0x50
	s_cselect_b32 s100, ttmp9, s4
	v_bfe_u32 v42, v0, 10, 10
	v_and_b32_e32 v2, 0x3ff, v0
	v_dual_mov_b32 v5, 0 :: v_dual_lshrrev_b32 v1, 10, v0
                                        ; implicit-def: $vgpr90 : SGPR spill to VGPR lane
                                        ; implicit-def: $vgpr89 : SGPR spill to VGPR lane
                                        ; implicit-def: $vgpr88 : SGPR spill to VGPR lane
	v_mov_b64_e32 v[26:27], 0
	s_delay_alu instid0(VALU_DEP_4)
	v_dual_add_nc_u32 v33, 16, v42 :: v_dual_add_nc_u32 v34, 32, v42
	s_wait_kmcnt 0x0
	s_and_b32 s2, s3, 0xffff
	s_add_co_i32 s0, s86, -1
	s_ashr_i32 s87, s86, 31
	s_ashr_i32 s1, s0, 31
	s_lshr_b32 s3, s87, 26
	s_lshr_b32 s1, s1, 26
	s_add_co_i32 s3, s86, s3
	s_add_co_i32 s101, s101, -1
	s_add_co_i32 s0, s0, s1
	s_and_not1_b32 s3, s3, 63
	s_sub_co_i32 s16, s101, s100
	s_ashr_i32 s0, s0, 6
	s_sub_co_i32 s15, s86, s3
	s_cmp_eq_u32 s0, s16
	v_lshl_add_u32 v30, v42, 6, v2
	s_cselect_b32 s0, -1, 0
	s_cmp_lg_u32 s15, 0
	v_mov_b32_e32 v3, v5
	s_cselect_b32 s1, -1, 0
	v_lshrrev_b32_e32 v10, 1, v30
	s_and_b32 s12, s1, s0
	s_add_nc_u64 s[0:1], s[88:89], 1
	s_xor_b32 s102, s12, -1
	s_cmp_lg_u32 s100, 0
	v_and_b32_e32 v11, 1, v0
	s_cselect_b32 s3, -1, 0
	s_lshl_b32 s10, s16, 6
	v_writelane_b32 v90, s3, 0
	v_mad_nc_u64_u32 v[16:17], s0, s10, v[2:3]
	v_add_nc_u32_e32 v18, s10, v42
	v_add_nc_u32_e32 v6, s10, v2
	s_ashr_i32 s11, s10, 31
	s_cmp_gt_i32 s100, 4
	v_mad_u32_u24 v4, v42, s2, v2
	s_mul_i32 s1, s1, s10
	s_mul_i32 s2, s0, s11
	s_cselect_b32 s3, -1, 0
	v_dual_add_nc_u32 v12, 64, v18 :: v_dual_lshlrev_b32 v43, 3, v11
	s_and_b32 s104, s3, s102
	v_add3_u32 v17, s2, s1, v17
	v_bitop3_b32 v31, v0, v1, 0x3ff bitop3:0xa8
	v_lshlrev_b32_e32 v1, 9, v10
	v_cmp_gt_u32_e64 s1, 4, v30
	v_cmp_eq_u32_e64 s2, 1, v11
	v_cmp_eq_u32_e64 s3, 0, v11
	v_and_b32_e32 v11, 3, v0
	v_ashrrev_i32_e32 v13, 31, v12
	v_lshl_add_u32 v3, v10, 3, 0x8000
	v_lshrrev_b32_e32 v10, 2, v30
	s_and_b32 vcc_hi, s2, s1
	s_and_b32 s43, s3, s1
	v_cmp_gt_u32_e64 s2, 16, v30
	v_cmp_eq_u32_e64 s3, 3, v11
	v_cmp_ne_u32_e64 s4, 3, v11
	v_dual_ashrrev_i32 v7, 31, v6 :: v_dual_sub_nc_u32 v44, 0, v1
	v_mul_u64_e32 v[8:9], s[88:89], v[12:13]
	v_dual_lshlrev_b32 v45, 3, v2 :: v_dual_sub_nc_u32 v46, v43, v1
	v_dual_lshlrev_b32 v48, 3, v11 :: v_dual_lshlrev_b32 v1, 9, v10
	v_and_b32_e32 v13, 7, v0
	v_cmp_eq_u32_e64 s5, 2, v11
	s_and_b32 s44, s3, s2
	v_cmp_gt_u32_e64 s3, 2, v11
	s_and_b32 s45, s4, s2
	v_cmp_eq_u32_e64 s4, 0, v11
	s_and_b32 s46, s5, s2
	v_cmp_ne_u32_e64 s5, 7, v13
	s_and_b32 s47, s3, s2
	v_cmp_gt_u32_e64 s3, 64, v30
	s_and_b32 s49, s4, s2
	v_cmp_eq_u32_e64 s4, 7, v13
	v_cmp_eq_u32_e64 s6, 1, v11
	v_lshl_add_u32 v47, v10, 3, 0x8000
	s_and_b32 s51, s5, s3
	v_cmp_gt_u32_e64 s5, 5, v13
	s_and_b32 s50, s4, s3
	v_cmp_eq_u32_e64 s4, 5, v13
	v_dual_sub_nc_u32 v49, 0, v1 :: v_dual_lshlrev_b32 v11, 6, v30
	s_and_b32 s48, s6, s2
	v_and_b32_e32 v10, 0x1fff8, v30
	v_cmp_eq_u32_e64 s6, 6, v13
	s_and_b32 s54, s4, s3
	v_cmp_gt_u32_e64 s4, 4, v13
	s_and_b32 s55, s5, s3
	v_cmp_gt_u32_e64 s5, 3, v13
	v_sub_nc_u32_e32 v50, v48, v1
	v_dual_mov_b32 v28, 0 :: v_dual_add_nc_u32 v51, 0x8000, v10
	v_and_b32_e32 v1, 0xfffffe00, v11
	v_dual_lshlrev_b32 v52, 3, v13 :: v_dual_lshrrev_b32 v10, 4, v30
	v_cmp_gt_u32_e64 s7, 6, v13
	s_and_b32 s52, s6, s3
	v_cmp_eq_u32_e64 s6, 4, v13
	s_and_b32 s57, s4, s3
	v_cmp_eq_u32_e64 s4, 2, v13
	s_and_b32 s59, s5, s3
	v_cmp_eq_u32_e64 s5, 1, v13
	v_dual_sub_nc_u32 v54, v52, v1 :: v_dual_bitop2_b32 v11, 15, v0 bitop3:0x40
	s_and_b32 s53, s7, s3
	v_cmp_eq_u32_e64 s7, 3, v13
	s_and_b32 s56, s6, s3
	v_cmp_gt_u32_e64 s6, 2, v13
	s_and_b32 s60, s4, s3
	s_and_b32 s62, s5, s3
	v_cmp_gt_u32_e64 s4, 0x100, v30
	v_cmp_eq_u32_e64 s5, 15, v11
	s_and_b32 s58, s7, s3
	v_cmp_eq_u32_e64 s7, 0, v13
	s_and_b32 s61, s6, s3
	v_cmp_ne_u32_e64 s6, 15, v11
	s_and_b32 s5, s5, s4
	v_cmp_gt_u32_e64 s8, 14, v11
	v_writelane_b32 v90, s5, 1
	s_and_b32 s63, s7, s3
	v_cmp_eq_u32_e64 s7, 14, v11
	s_and_b32 s6, s6, s4
	v_cmp_eq_u32_e64 s5, 13, v11
	v_writelane_b32 v90, s6, 2
	v_sub_nc_u32_e32 v53, 0, v1
	s_and_b32 s6, s7, s4
	v_cmp_gt_u32_e64 s7, 12, v11
	s_and_b32 s5, s5, s4
	v_writelane_b32 v90, s6, 3
	s_and_b32 s6, s8, s4
	v_cmp_eq_u32_e64 s8, 11, v11
	v_dual_lshlrev_b32 v1, 9, v10 :: v_dual_lshlrev_b32 v56, 3, v11
	v_writelane_b32 v90, s6, 4
	v_cmp_gt_u32_e64 s6, 13, v11
	v_lshl_add_u32 v55, v10, 3, 0x8000
	s_delay_alu instid0(VALU_DEP_4)
	v_dual_sub_nc_u32 v57, 0, v1 :: v_dual_lshrrev_b32 v10, 5, v30
	v_writelane_b32 v90, s5, 5
	v_cmp_eq_u32_e64 s5, 12, v11
	s_and_b32 s6, s6, s4
	v_dual_sub_nc_u32 v59, v56, v1 :: v_dual_bitop2_b32 v58, 31, v0 bitop3:0x40
	v_writelane_b32 v90, s6, 6
	s_and_b32 s5, s5, s4
	v_cmp_gt_u32_e64 s6, 11, v11
	v_lshlrev_b32_e32 v0, 9, v10
	v_lshl_add_u32 v60, v10, 3, 0x8000
	v_writelane_b32 v90, s5, 7
	s_and_b32 s5, s7, s4
	s_and_b32 s25, s6, s4
	v_cmp_gt_u32_e64 s6, 10, v11
	v_cmp_eq_u32_e64 s7, 9, v11
	v_writelane_b32 v90, s5, 8
	s_and_b32 s5, s8, s4
	v_cmp_gt_u32_e64 s8, 9, v11
	s_and_b32 s29, s6, s4
	v_cmp_gt_u32_e64 s6, 8, v11
	v_writelane_b32 v90, s5, 9
	v_cmp_eq_u32_e64 s5, 10, v11
	s_and_b32 s31, s7, s4
	s_and_b32 s34, s8, s4
	;; [unrolled: 1-line block ×3, first 2 shown]
	v_cmp_gt_u32_e64 s6, 6, v11
	s_and_b32 s27, s5, s4
	v_cmp_eq_u32_e64 s5, 8, v11
	v_cmp_gt_u32_e64 s7, 7, v11
	v_cmp_eq_u32_e64 s8, 6, v11
	s_and_b32 s42, s6, s4
	v_cmp_gt_u32_e64 s6, 5, v11
	s_and_b32 s38, s5, s4
	v_cmp_eq_u32_e64 s5, 7, v11
	v_lshlrev_b32_e32 v10, 9, v2
	v_mul_u32_u24_e32 v64, 0x208, v2
	s_and_b32 s26, s6, s4
	v_cmp_gt_u32_e64 s6, 3, v11
	s_and_b32 s40, s5, s4
	v_cmp_eq_u32_e64 s5, 5, v11
	v_add_nc_u32_e32 v13, 0x50, v18
	v_add_nc_u32_e32 v14, 0x60, v18
	v_add_max_i32_e64 v36, 0x70, v18, v6
	v_mbcnt_lo_u32_b32 v18, -1, 0
	s_and_b32 s24, s5, s4
	v_cmp_eq_u32_e64 s5, 3, v11
	s_and_b32 s41, s7, s4
	s_and_b32 s9, s8, s4
	v_cmp_eq_u32_e64 s7, 4, v11
	v_cmp_gt_u32_e64 s8, 4, v11
	s_and_b32 s33, s5, s4
	v_cmp_eq_u32_e64 s5, 2, v11
	v_cmp_le_i32_e64 s14, s15, v2
	s_and_b32 s103, s6, s4
	v_cmp_eq_u32_e64 s6, 0, v11
	v_lshlrev_b32_e32 v29, 20, v18
	v_lshl_add_u32 v69, v42, 3, 0xa000
	v_sub_nc_u32_e32 v19, v64, v10
	s_and_b32 s28, s7, s4
	s_and_b32 s30, s8, s4
	v_cmp_gt_u32_e64 s7, 2, v11
	v_cmp_eq_u32_e64 s8, 1, v11
	s_and_b32 s64, s5, s4
	v_cmp_eq_u32_e64 s5, 0, v42
	s_and_b32 s68, s14, s12
	v_cmp_gt_i32_e32 vcc_lo, s15, v2
	s_and_b32 s67, s6, s4
	s_xor_b32 s6, s68, -1
	v_add_nc_u32_e32 v74, v69, v45
	v_lshl_add_u32 v66, v33, 9, v19
	v_lshl_add_u32 v67, v34, 9, v19
	v_add_nc_u64_e32 v[18:19], src_flat_scratch_base_lo, v[28:29]
	v_dual_mov_b32 v28, 8 :: v_dual_sub_nc_u32 v65, 0, v10
	v_dual_lshlrev_b32 v61, 3, v58 :: v_dual_sub_nc_u32 v62, 0, v0
	v_lshlrev_b32_e32 v32, 9, v58
	s_and_b32 s65, s7, s4
	s_and_b32 s66, s8, s4
	;; [unrolled: 1-line block ×3, first 2 shown]
	s_cmp_gt_i32 s100, 0
	v_cmp_gt_i32_e64 s0, s86, v6
	v_sub_nc_u32_e32 v63, v61, v0
	s_cselect_b32 s12, -1, 0
	v_add_nc_u64_e32 v[0:1], s[10:11], v[4:5]
	v_add_nc_u32_e32 v35, 48, v42
	v_cmp_gt_i32_e64 s6, s86, v12
	s_and_b32 s10, s5, vcc_lo
	v_add_nc_u32_e32 v77, v61, v32
	v_add_nc_u64_e32 v[20:21], src_flat_scratch_base_lo, v[28:29]
	v_mov_b32_e32 v28, 16
	v_writelane_b32 v90, s10, 10
	s_and_b32 s6, s0, s6
	v_cmp_gt_i32_e64 s8, s86, v14
	v_cmp_le_i32_e32 vcc_lo, s15, v42
	v_add_nc_u64_e32 v[22:23], src_flat_scratch_base_lo, v[28:29]
	v_mov_b32_e32 v28, 24
	v_cmp_gt_i32_e64 s7, s86, v13
	v_writelane_b32 v90, s6, 11
	v_cmp_le_u32_e64 s13, v33, v2
	s_add_co_i32 s11, s16, 1
	v_cmp_le_u32_e64 s16, v34, v2
	s_and_b32 s6, s0, s7
	v_cmp_le_u32_e64 s17, v35, v2
	v_writelane_b32 v90, s6, 12
	s_and_b32 s6, s0, s8
	v_cmp_le_u32_e64 s8, v42, v2
	v_cmp_le_i32_e64 s10, s15, v35
	s_movk_i32 s7, 0x7c00
	v_writelane_b32 v90, s6, 13
	s_or_b32 s6, vcc_lo, s14
	v_cmp_le_i32_e32 vcc_lo, s15, v33
	s_or_b32 s6, s6, s8
	v_mad_u32_u24 v68, 0x208, v2, s7
	v_writelane_b32 v90, s8, 14
	s_or_b32 s7, s10, s14
	v_cmp_ne_u32_e64 s8, v2, v34
	v_cmp_ne_u32_e64 s10, v2, v35
	v_or_b32_e32 v37, v33, v2
	v_writelane_b32 v90, s6, 15
	s_or_b32 s6, vcc_lo, s14
	v_cmp_le_i32_e32 vcc_lo, s15, v34
	s_or_b32 s6, s6, s13
	v_or_b32_e32 v38, v34, v2
	v_writelane_b32 v90, s13, 16
	v_or_b32_e32 v39, v35, v2
	v_mul_u64_e32 v[0:1], s[78:79], v[0:1]
	v_mul_u64_e32 v[24:25], s[78:79], v[6:7]
	v_mad_nc_u64_u32 v[10:11], s88, v42, v[16:17]
	v_writelane_b32 v90, s6, 17
	s_or_b32 s6, vcc_lo, s14
	v_mad_nc_u64_u32 v[12:13], s88, v33, v[16:17]
	s_or_b32 s6, s6, s16
	v_mad_nc_u64_u32 v[14:15], s88, v34, v[16:17]
	v_writelane_b32 v90, s16, 18
	v_mad_nc_u64_u32 v[16:17], s88, v35, v[16:17]
	v_add_nc_u64_e32 v[28:29], src_flat_scratch_base_lo, v[28:29]
	v_cmp_lt_u32_e32 vcc_lo, 0x3ff, v30
	v_lshl_add_u32 v70, v4, 3, 0xa000
	v_writelane_b32 v90, s6, 19
	s_or_b32 s6, s7, s17
	v_cmp_ne_u32_e64 s7, v2, v33
	v_mad_u32 v11, s89, v42, v11
	v_mad_u32 v13, s89, v33, v13
	v_writelane_b32 v90, s17, 20
	v_mad_u32 v15, s89, v34, v15
	v_mad_u32 v17, s89, v35, v17
	v_lshl_add_u32 v71, v30, 3, 0x8000
	v_add_nc_u32_e32 v72, 0x8000, v45
	v_writelane_b32 v90, s6, 21
	v_cmp_ne_u32_e64 s6, v2, v42
	v_lshl_add_u32 v73, v42, 9, v45
	v_lshl_add_u32 v75, v35, 9, v45
	v_or_b32_e32 v76, 0x3c00, v61
	v_subrev_nc_u32_e32 v78, 31, v58
	v_writelane_b32 v90, s6, 22
	s_or_b32 s6, s14, s6
	v_cmp_gt_u32_e64 s15, 2, v30
	v_cmp_gt_u32_e64 s16, 12, v30
	;; [unrolled: 1-line block ×3, first 2 shown]
	v_writelane_b32 v90, s6, 23
	s_or_b32 s6, s14, s7
	v_cmp_gt_u32_e64 s18, 56, v30
	v_cmp_gt_u32_e64 s19, 48, v30
	;; [unrolled: 1-line block ×3, first 2 shown]
	v_writelane_b32 v90, s7, 24
	v_cmp_gt_u32_e64 s21, 32, v30
	v_cmp_gt_u32_e64 s22, 24, v30
	;; [unrolled: 1-line block ×3, first 2 shown]
	v_cmp_eq_u32_e64 s36, 0, v4
	v_writelane_b32 v90, s6, 25
	s_or_b32 s6, s14, s8
	v_cmp_gt_u32_e64 s37, 64, v4
	s_xor_b32 s7, vcc_lo, -1
	s_lshl_b64 s[92:93], s[88:89], 7
	v_writelane_b32 v90, s8, 26
	s_lshl_b64 s[94:95], s[88:89], 8
	s_mul_u64 s[96:97], s[88:89], 0x180
	s_lshl_b64 s[82:83], s[82:83], 3
	s_lshl_b64 s[76:77], s[76:77], 3
	v_writelane_b32 v90, s6, 27
	s_or_b32 s6, s14, s10
	v_cmp_eq_u32_e64 s14, 0, v31
	v_writelane_b32 v90, s10, 28
	v_writelane_b32 v90, s6, 29
	v_cmp_gt_u32_e64 s6, 0xf0, v30
	s_delay_alu instid0(VALU_DEP_1) | instskip(SKIP_1) | instid1(VALU_DEP_1)
	v_writelane_b32 v90, s6, 30
	v_cmp_gt_u32_e64 s6, 0xe0, v30
	v_writelane_b32 v90, s6, 31
	v_cmp_gt_u32_e64 s6, 0xd0, v30
	s_delay_alu instid0(VALU_DEP_1) | instskip(SKIP_1) | instid1(VALU_DEP_1)
	v_writelane_b32 v89, s6, 0
	v_cmp_gt_u32_e64 s6, 0xc0, v30
	;; [unrolled: 5-line block ×5, first 2 shown]
	v_writelane_b32 v89, s6, 7
	v_cmp_gt_u32_e64 s6, 0x50, v30
	s_delay_alu instid0(VALU_DEP_1) | instskip(SKIP_1) | instid1(VALU_DEP_1)
	v_writelane_b32 v89, s6, 8
	v_cmp_le_u32_e64 s6, v2, v42
	v_writelane_b32 v89, s6, 9
	v_cmp_le_u32_e64 s6, v2, v33
	s_delay_alu instid0(VALU_DEP_1) | instskip(SKIP_1) | instid1(VALU_DEP_1)
	v_writelane_b32 v89, s6, 10
	v_cmp_le_u32_e64 s6, v2, v34
	v_writelane_b32 v89, s6, 11
	v_cmp_le_u32_e64 s6, v2, v35
	s_delay_alu instid0(VALU_DEP_1) | instskip(SKIP_1) | instid1(VALU_DEP_1)
	v_writelane_b32 v89, s6, 12
	v_cmp_le_i32_e64 s6, s86, v36
	v_writelane_b32 v89, s6, 13
	v_cmp_gt_u32_e64 s6, 64, v31
	s_delay_alu instid0(VALU_DEP_1) | instskip(SKIP_1) | instid1(VALU_DEP_1)
	v_writelane_b32 v89, s6, 14
	v_cmp_gt_u32_e64 s6, 64, v37
	v_writelane_b32 v89, s6, 15
	v_cmp_gt_u32_e64 s6, 64, v38
	s_delay_alu instid0(VALU_DEP_1) | instskip(SKIP_1) | instid1(VALU_DEP_1)
	v_writelane_b32 v89, s6, 16
	v_cmp_gt_u32_e64 s6, 64, v39
	;; [unrolled: 5-line block ×13, first 2 shown]
	v_writelane_b32 v88, s6, 7
	v_cmp_gt_u32_e64 s6, 0x120, v30
	s_delay_alu instid0(VALU_DEP_1)
	v_writelane_b32 v88, s6, 8
	s_branch .LBB148_3
.LBB148_2:                              ;   in Loop: Header=BB148_3 Depth=1
	s_wait_xcnt 0x0
	s_or_b32 exec_lo, exec_lo, s6
	s_add_co_i32 s84, s84, 0x10000
	global_wb scope:SCOPE_DEV
	s_wait_storecnt 0x0
	global_inv scope:SCOPE_DEV
	s_cmp_lt_u32 s84, s71
	s_cbranch_scc0 .LBB148_1098
.LBB148_3:                              ; =>This Loop Header: Depth=1
                                        ;     Child Loop BB148_588 Depth 2
                                        ;     Child Loop BB148_996 Depth 2
                                        ;       Child Loop BB148_998 Depth 3
                                        ;     Child Loop BB148_1030 Depth 2
	v_mov_b32_e32 v32, s84
	v_readlane_b32 s6, v90, 0
	s_clause 0x1
	global_load_b64 v[30:31], v32, s[80:81] scale_offset
	global_load_b64 v[34:35], v32, s[74:75] scale_offset
	global_load_b64 v[32:33], v5, s[72:73]
	s_and_not1_b32 vcc_lo, exec_lo, s6
	s_wait_loadcnt 0x2
	v_add_nc_u64_e32 v[30:31], s[82:83], v[30:31]
	s_cbranch_vccnz .LBB148_15
; %bb.4:                                ;   in Loop: Header=BB148_3 Depth=1
	s_delay_alu instid0(VALU_DEP_1) | instskip(SKIP_3) | instid1(VALU_DEP_3)
	v_lshl_add_u64 v[36:37], v[8:9], 3, v[30:31]
	v_dual_mov_b32 v38, 0 :: v_dual_mov_b32 v40, 0
	v_mov_b32_e32 v41, 0
	s_wait_loadcnt 0x0
	v_lshl_add_u64 v[36:37], v[6:7], 3, v[36:37]
	s_barrier_signal -1
	s_barrier_wait -1
	s_wait_xcnt 0x0
	s_mov_b32 s6, exec_lo
	v_readlane_b32 s8, v90, 11
	s_and_b32 s8, s6, s8
	s_delay_alu instid0(SALU_CYCLE_1)
	s_mov_b32 exec_lo, s8
	s_cbranch_execz .LBB148_6
; %bb.5:                                ;   in Loop: Header=BB148_3 Depth=1
	flat_load_b64 v[40:41], v[36:37]
.LBB148_6:                              ;   in Loop: Header=BB148_3 Depth=1
	s_wait_xcnt 0x0
	s_or_b32 exec_lo, exec_lo, s6
	v_mov_b32_e32 v39, 0
	s_wait_loadcnt_dscnt 0x0
	scratch_store_b64 off, v[40:41], off
	s_wait_storecnt 0x0
	s_barrier_signal -1
	s_barrier_wait -1
	s_wait_xcnt 0x0
	s_mov_b32 s6, exec_lo
	v_readlane_b32 s8, v90, 12
	s_and_b32 s8, s6, s8
	s_delay_alu instid0(SALU_CYCLE_1)
	s_mov_b32 exec_lo, s8
	s_cbranch_execz .LBB148_8
; %bb.7:                                ;   in Loop: Header=BB148_3 Depth=1
	v_add_nc_u64_e32 v[38:39], s[92:93], v[36:37]
	flat_load_b64 v[38:39], v[38:39]
.LBB148_8:                              ;   in Loop: Header=BB148_3 Depth=1
	s_wait_xcnt 0x0
	s_or_b32 exec_lo, exec_lo, s6
	s_wait_loadcnt_dscnt 0x0
	scratch_store_b64 off, v[38:39], off offset:8
	s_wait_xcnt 0x0
	v_dual_mov_b32 v38, 0 :: v_dual_mov_b32 v39, 0
	s_wait_storecnt 0x0
	s_barrier_signal -1
	s_barrier_wait -1
	s_mov_b32 s6, exec_lo
	v_readlane_b32 s8, v90, 13
	s_and_b32 s8, s6, s8
	s_delay_alu instid0(SALU_CYCLE_1)
	s_mov_b32 exec_lo, s8
	s_cbranch_execz .LBB148_10
; %bb.9:                                ;   in Loop: Header=BB148_3 Depth=1
	v_add_nc_u64_e32 v[38:39], s[94:95], v[36:37]
	flat_load_b64 v[38:39], v[38:39]
.LBB148_10:                             ;   in Loop: Header=BB148_3 Depth=1
	s_wait_xcnt 0x0
	s_or_b32 exec_lo, exec_lo, s6
	s_wait_loadcnt_dscnt 0x0
	scratch_store_b64 off, v[38:39], off offset:16
	s_wait_storecnt 0x0
	s_barrier_signal -1
	s_barrier_wait -1
	s_wait_xcnt 0x0
	s_mov_b32 s6, exec_lo
	v_readlane_b32 s8, v89, 13
	s_and_b32 s8, s6, s8
	s_delay_alu instid0(SALU_CYCLE_1)
	s_xor_b32 s6, s8, s6
	s_mov_b32 exec_lo, s8
	s_cbranch_execz .LBB148_12
; %bb.11:                               ;   in Loop: Header=BB148_3 Depth=1
	scratch_store_b64 off, v[26:27], off offset:24
                                        ; implicit-def: $vgpr36_vgpr37
.LBB148_12:                             ;   in Loop: Header=BB148_3 Depth=1
	s_wait_xcnt 0x0
	s_and_not1_saveexec_b32 s6, s6
	s_cbranch_execz .LBB148_14
; %bb.13:                               ;   in Loop: Header=BB148_3 Depth=1
	v_add_nc_u64_e32 v[36:37], s[96:97], v[36:37]
	flat_load_b64 v[36:37], v[36:37]
	s_wait_loadcnt_dscnt 0x0
	scratch_store_b64 off, v[36:37], off offset:24
.LBB148_14:                             ;   in Loop: Header=BB148_3 Depth=1
	s_wait_xcnt 0x0
	s_or_b32 exec_lo, exec_lo, s6
.LBB148_15:                             ;   in Loop: Header=BB148_3 Depth=1
	s_delay_alu instid0(SALU_CYCLE_1)
	s_and_not1_b32 vcc_lo, exec_lo, s102
	s_mov_b32 s6, -1
	s_cbranch_vccnz .LBB148_73
; %bb.16:                               ;   in Loop: Header=BB148_3 Depth=1
	v_readlane_b32 s8, v90, 14
	s_wait_xcnt 0x0
	s_and_saveexec_b32 s6, s8
	s_delay_alu instid0(SALU_CYCLE_1)
	s_xor_b32 s8, exec_lo, s6
	s_cbranch_execz .LBB148_28
; %bb.17:                               ;   in Loop: Header=BB148_3 Depth=1
	s_mov_b32 s6, exec_lo
	v_readlane_b32 s10, v90, 22
	s_and_b32 s10, s6, s10
	s_delay_alu instid0(SALU_CYCLE_1)
	s_xor_b32 s6, s10, s6
	s_mov_b32 exec_lo, s10
	s_cbranch_execz .LBB148_21
; %bb.18:                               ;   in Loop: Header=BB148_3 Depth=1
	v_readlane_b32 s13, v89, 14
	s_and_saveexec_b32 s10, s13
; %bb.19:                               ;   in Loop: Header=BB148_3 Depth=1
	ds_store_b64 v73, v[26:27]
; %bb.20:                               ;   in Loop: Header=BB148_3 Depth=1
	s_or_b32 exec_lo, exec_lo, s10
.LBB148_21:                             ;   in Loop: Header=BB148_3 Depth=1
	s_and_not1_saveexec_b32 s70, s6
	s_cbranch_execz .LBB148_27
; %bb.22:                               ;   in Loop: Header=BB148_3 Depth=1
	v_lshl_add_u64 v[36:37], v[10:11], 3, v[30:31]
                                        ; implicit-def: $vgpr38_vgpr39
	flat_load_b64 v[36:37], v[36:37]
	s_wait_loadcnt_dscnt 0x0
	v_cmp_ngt_f32_e64 s6, |v36|, |v37|
	s_wait_xcnt 0x0
	s_and_saveexec_b32 s10, s6
	s_delay_alu instid0(SALU_CYCLE_1)
	s_xor_b32 s6, exec_lo, s10
	s_cbranch_execz .LBB148_24
; %bb.23:                               ;   in Loop: Header=BB148_3 Depth=1
	v_div_scale_f32 v38, null, v37, v37, v36
	v_div_scale_f32 v41, vcc_lo, v36, v37, v36
	s_delay_alu instid0(VALU_DEP_2) | instskip(SKIP_1) | instid1(TRANS32_DEP_1)
	v_rcp_f32_e32 v39, v38
	v_nop
	v_fma_f32 v40, -v38, v39, 1.0
	s_delay_alu instid0(VALU_DEP_1) | instskip(NEXT) | instid1(VALU_DEP_1)
	v_fmac_f32_e32 v39, v40, v39
	v_mul_f32_e32 v40, v41, v39
	s_delay_alu instid0(VALU_DEP_1) | instskip(NEXT) | instid1(VALU_DEP_1)
	v_fma_f32 v79, -v38, v40, v41
	v_fmac_f32_e32 v40, v79, v39
	s_delay_alu instid0(VALU_DEP_1) | instskip(NEXT) | instid1(VALU_DEP_1)
	v_fma_f32 v38, -v38, v40, v41
	v_div_fmas_f32 v38, v38, v39, v40
	s_delay_alu instid0(VALU_DEP_1) | instskip(NEXT) | instid1(VALU_DEP_1)
	v_div_fixup_f32 v38, v38, v37, v36
	v_fmac_f32_e32 v37, v36, v38
	s_delay_alu instid0(VALU_DEP_1) | instskip(SKIP_1) | instid1(VALU_DEP_2)
	v_div_scale_f32 v36, null, v37, v37, 1.0
	v_div_scale_f32 v41, vcc_lo, 1.0, v37, 1.0
	v_rcp_f32_e32 v39, v36
	v_nop
	s_delay_alu instid0(TRANS32_DEP_1) | instskip(NEXT) | instid1(VALU_DEP_1)
	v_fma_f32 v40, -v36, v39, 1.0
	v_fmac_f32_e32 v39, v40, v39
	s_delay_alu instid0(VALU_DEP_1) | instskip(NEXT) | instid1(VALU_DEP_1)
	v_mul_f32_e32 v40, v41, v39
	v_fma_f32 v79, -v36, v40, v41
	s_delay_alu instid0(VALU_DEP_1) | instskip(NEXT) | instid1(VALU_DEP_1)
	v_fmac_f32_e32 v40, v79, v39
	v_fma_f32 v36, -v36, v40, v41
	s_delay_alu instid0(VALU_DEP_1) | instskip(NEXT) | instid1(VALU_DEP_1)
	v_div_fmas_f32 v36, v36, v39, v40
	v_div_fixup_f32 v36, v36, v37, 1.0
	s_delay_alu instid0(VALU_DEP_1)
	v_mul_f32_e32 v38, v38, v36
	v_xor_b32_e32 v39, 0x80000000, v36
                                        ; implicit-def: $vgpr36_vgpr37
.LBB148_24:                             ;   in Loop: Header=BB148_3 Depth=1
	s_and_not1_saveexec_b32 s6, s6
	s_cbranch_execz .LBB148_26
; %bb.25:                               ;   in Loop: Header=BB148_3 Depth=1
	v_div_scale_f32 v38, null, v36, v36, v37
	v_div_scale_f32 v41, vcc_lo, v37, v36, v37
	s_delay_alu instid0(VALU_DEP_2) | instskip(SKIP_1) | instid1(TRANS32_DEP_1)
	v_rcp_f32_e32 v39, v38
	v_nop
	v_fma_f32 v40, -v38, v39, 1.0
	s_delay_alu instid0(VALU_DEP_1) | instskip(NEXT) | instid1(VALU_DEP_1)
	v_fmac_f32_e32 v39, v40, v39
	v_mul_f32_e32 v40, v41, v39
	s_delay_alu instid0(VALU_DEP_1) | instskip(NEXT) | instid1(VALU_DEP_1)
	v_fma_f32 v79, -v38, v40, v41
	v_fmac_f32_e32 v40, v79, v39
	s_delay_alu instid0(VALU_DEP_1) | instskip(NEXT) | instid1(VALU_DEP_1)
	v_fma_f32 v38, -v38, v40, v41
	v_div_fmas_f32 v38, v38, v39, v40
	s_delay_alu instid0(VALU_DEP_1) | instskip(NEXT) | instid1(VALU_DEP_1)
	v_div_fixup_f32 v39, v38, v36, v37
	v_fmac_f32_e32 v36, v37, v39
	s_delay_alu instid0(VALU_DEP_1) | instskip(NEXT) | instid1(VALU_DEP_1)
	v_div_scale_f32 v37, null, v36, v36, 1.0
	v_rcp_f32_e32 v38, v37
	v_nop
	s_delay_alu instid0(TRANS32_DEP_1) | instskip(NEXT) | instid1(VALU_DEP_1)
	v_fma_f32 v40, -v37, v38, 1.0
	v_fmac_f32_e32 v38, v40, v38
	v_div_scale_f32 v40, vcc_lo, 1.0, v36, 1.0
	s_delay_alu instid0(VALU_DEP_1) | instskip(NEXT) | instid1(VALU_DEP_1)
	v_mul_f32_e32 v41, v40, v38
	v_fma_f32 v79, -v37, v41, v40
	s_delay_alu instid0(VALU_DEP_1) | instskip(NEXT) | instid1(VALU_DEP_1)
	v_fmac_f32_e32 v41, v79, v38
	v_fma_f32 v37, -v37, v41, v40
	s_delay_alu instid0(VALU_DEP_1) | instskip(NEXT) | instid1(VALU_DEP_1)
	v_div_fmas_f32 v37, v37, v38, v41
	v_div_fixup_f32 v38, v37, v36, 1.0
	s_delay_alu instid0(VALU_DEP_1)
	v_mul_f32_e64 v39, v39, -v38
.LBB148_26:                             ;   in Loop: Header=BB148_3 Depth=1
	s_or_b32 exec_lo, exec_lo, s6
	ds_store_b64 v73, v[38:39]
.LBB148_27:                             ;   in Loop: Header=BB148_3 Depth=1
	s_or_b32 exec_lo, exec_lo, s70
.LBB148_28:                             ;   in Loop: Header=BB148_3 Depth=1
	s_and_not1_saveexec_b32 s6, s8
	s_cbranch_execz .LBB148_30
; %bb.29:                               ;   in Loop: Header=BB148_3 Depth=1
	v_lshl_add_u64 v[36:37], v[10:11], 3, v[30:31]
	flat_load_b64 v[36:37], v[36:37]
	s_wait_loadcnt_dscnt 0x0
	v_pk_add_f32 v[36:37], v[36:37], 0 neg_lo:[1,1] neg_hi:[1,1]
	ds_store_b64 v73, v[36:37]
.LBB148_30:                             ;   in Loop: Header=BB148_3 Depth=1
	s_or_b32 exec_lo, exec_lo, s6
	v_readlane_b32 s8, v90, 16
	s_and_saveexec_b32 s6, s8
	s_delay_alu instid0(SALU_CYCLE_1)
	s_xor_b32 s8, exec_lo, s6
	s_cbranch_execz .LBB148_42
; %bb.31:                               ;   in Loop: Header=BB148_3 Depth=1
	s_mov_b32 s6, exec_lo
	v_readlane_b32 s10, v90, 24
	s_and_b32 s10, s6, s10
	s_delay_alu instid0(SALU_CYCLE_1)
	s_xor_b32 s6, s10, s6
	s_mov_b32 exec_lo, s10
	s_cbranch_execz .LBB148_35
; %bb.32:                               ;   in Loop: Header=BB148_3 Depth=1
	v_readlane_b32 s13, v89, 15
	s_and_saveexec_b32 s10, s13
; %bb.33:                               ;   in Loop: Header=BB148_3 Depth=1
	ds_store_b64 v66, v[26:27]
; %bb.34:                               ;   in Loop: Header=BB148_3 Depth=1
	s_or_b32 exec_lo, exec_lo, s10
.LBB148_35:                             ;   in Loop: Header=BB148_3 Depth=1
	s_and_not1_saveexec_b32 s70, s6
	s_cbranch_execz .LBB148_41
; %bb.36:                               ;   in Loop: Header=BB148_3 Depth=1
	v_lshl_add_u64 v[36:37], v[12:13], 3, v[30:31]
                                        ; implicit-def: $vgpr38_vgpr39
	flat_load_b64 v[36:37], v[36:37]
	s_wait_loadcnt_dscnt 0x0
	v_cmp_ngt_f32_e64 s6, |v36|, |v37|
	s_wait_xcnt 0x0
	s_and_saveexec_b32 s10, s6
	s_delay_alu instid0(SALU_CYCLE_1)
	s_xor_b32 s6, exec_lo, s10
	s_cbranch_execz .LBB148_38
; %bb.37:                               ;   in Loop: Header=BB148_3 Depth=1
	v_div_scale_f32 v38, null, v37, v37, v36
	v_div_scale_f32 v41, vcc_lo, v36, v37, v36
	s_delay_alu instid0(VALU_DEP_2) | instskip(SKIP_1) | instid1(TRANS32_DEP_1)
	v_rcp_f32_e32 v39, v38
	v_nop
	v_fma_f32 v40, -v38, v39, 1.0
	s_delay_alu instid0(VALU_DEP_1) | instskip(NEXT) | instid1(VALU_DEP_1)
	v_fmac_f32_e32 v39, v40, v39
	v_mul_f32_e32 v40, v41, v39
	s_delay_alu instid0(VALU_DEP_1) | instskip(NEXT) | instid1(VALU_DEP_1)
	v_fma_f32 v79, -v38, v40, v41
	v_fmac_f32_e32 v40, v79, v39
	s_delay_alu instid0(VALU_DEP_1) | instskip(NEXT) | instid1(VALU_DEP_1)
	v_fma_f32 v38, -v38, v40, v41
	v_div_fmas_f32 v38, v38, v39, v40
	s_delay_alu instid0(VALU_DEP_1) | instskip(NEXT) | instid1(VALU_DEP_1)
	v_div_fixup_f32 v38, v38, v37, v36
	v_fmac_f32_e32 v37, v36, v38
	s_delay_alu instid0(VALU_DEP_1) | instskip(SKIP_1) | instid1(VALU_DEP_2)
	v_div_scale_f32 v36, null, v37, v37, 1.0
	v_div_scale_f32 v41, vcc_lo, 1.0, v37, 1.0
	v_rcp_f32_e32 v39, v36
	v_nop
	s_delay_alu instid0(TRANS32_DEP_1) | instskip(NEXT) | instid1(VALU_DEP_1)
	v_fma_f32 v40, -v36, v39, 1.0
	v_fmac_f32_e32 v39, v40, v39
	s_delay_alu instid0(VALU_DEP_1) | instskip(NEXT) | instid1(VALU_DEP_1)
	v_mul_f32_e32 v40, v41, v39
	v_fma_f32 v79, -v36, v40, v41
	s_delay_alu instid0(VALU_DEP_1) | instskip(NEXT) | instid1(VALU_DEP_1)
	v_fmac_f32_e32 v40, v79, v39
	v_fma_f32 v36, -v36, v40, v41
	s_delay_alu instid0(VALU_DEP_1) | instskip(NEXT) | instid1(VALU_DEP_1)
	v_div_fmas_f32 v36, v36, v39, v40
	v_div_fixup_f32 v36, v36, v37, 1.0
	s_delay_alu instid0(VALU_DEP_1)
	v_mul_f32_e32 v38, v38, v36
	v_xor_b32_e32 v39, 0x80000000, v36
                                        ; implicit-def: $vgpr36_vgpr37
.LBB148_38:                             ;   in Loop: Header=BB148_3 Depth=1
	s_and_not1_saveexec_b32 s6, s6
	s_cbranch_execz .LBB148_40
; %bb.39:                               ;   in Loop: Header=BB148_3 Depth=1
	v_div_scale_f32 v38, null, v36, v36, v37
	v_div_scale_f32 v41, vcc_lo, v37, v36, v37
	s_delay_alu instid0(VALU_DEP_2) | instskip(SKIP_1) | instid1(TRANS32_DEP_1)
	v_rcp_f32_e32 v39, v38
	v_nop
	v_fma_f32 v40, -v38, v39, 1.0
	s_delay_alu instid0(VALU_DEP_1) | instskip(NEXT) | instid1(VALU_DEP_1)
	v_fmac_f32_e32 v39, v40, v39
	v_mul_f32_e32 v40, v41, v39
	s_delay_alu instid0(VALU_DEP_1) | instskip(NEXT) | instid1(VALU_DEP_1)
	v_fma_f32 v79, -v38, v40, v41
	v_fmac_f32_e32 v40, v79, v39
	s_delay_alu instid0(VALU_DEP_1) | instskip(NEXT) | instid1(VALU_DEP_1)
	v_fma_f32 v38, -v38, v40, v41
	v_div_fmas_f32 v38, v38, v39, v40
	s_delay_alu instid0(VALU_DEP_1) | instskip(NEXT) | instid1(VALU_DEP_1)
	v_div_fixup_f32 v39, v38, v36, v37
	v_fmac_f32_e32 v36, v37, v39
	s_delay_alu instid0(VALU_DEP_1) | instskip(NEXT) | instid1(VALU_DEP_1)
	v_div_scale_f32 v37, null, v36, v36, 1.0
	v_rcp_f32_e32 v38, v37
	v_nop
	s_delay_alu instid0(TRANS32_DEP_1) | instskip(NEXT) | instid1(VALU_DEP_1)
	v_fma_f32 v40, -v37, v38, 1.0
	v_fmac_f32_e32 v38, v40, v38
	v_div_scale_f32 v40, vcc_lo, 1.0, v36, 1.0
	s_delay_alu instid0(VALU_DEP_1) | instskip(NEXT) | instid1(VALU_DEP_1)
	v_mul_f32_e32 v41, v40, v38
	v_fma_f32 v79, -v37, v41, v40
	s_delay_alu instid0(VALU_DEP_1) | instskip(NEXT) | instid1(VALU_DEP_1)
	v_fmac_f32_e32 v41, v79, v38
	v_fma_f32 v37, -v37, v41, v40
	s_delay_alu instid0(VALU_DEP_1) | instskip(NEXT) | instid1(VALU_DEP_1)
	v_div_fmas_f32 v37, v37, v38, v41
	v_div_fixup_f32 v38, v37, v36, 1.0
	s_delay_alu instid0(VALU_DEP_1)
	v_mul_f32_e64 v39, v39, -v38
.LBB148_40:                             ;   in Loop: Header=BB148_3 Depth=1
	s_or_b32 exec_lo, exec_lo, s6
	ds_store_b64 v66, v[38:39]
.LBB148_41:                             ;   in Loop: Header=BB148_3 Depth=1
	s_or_b32 exec_lo, exec_lo, s70
.LBB148_42:                             ;   in Loop: Header=BB148_3 Depth=1
	s_and_not1_saveexec_b32 s6, s8
	s_cbranch_execz .LBB148_44
; %bb.43:                               ;   in Loop: Header=BB148_3 Depth=1
	v_lshl_add_u64 v[36:37], v[12:13], 3, v[30:31]
	flat_load_b64 v[36:37], v[36:37]
	s_wait_loadcnt_dscnt 0x0
	v_pk_add_f32 v[36:37], v[36:37], 0 neg_lo:[1,1] neg_hi:[1,1]
	ds_store_b64 v66, v[36:37]
.LBB148_44:                             ;   in Loop: Header=BB148_3 Depth=1
	s_or_b32 exec_lo, exec_lo, s6
	v_readlane_b32 s8, v90, 18
	s_and_saveexec_b32 s6, s8
	s_delay_alu instid0(SALU_CYCLE_1)
	s_xor_b32 s8, exec_lo, s6
	s_cbranch_execz .LBB148_56
; %bb.45:                               ;   in Loop: Header=BB148_3 Depth=1
	s_mov_b32 s6, exec_lo
	v_readlane_b32 s10, v90, 26
	s_and_b32 s10, s6, s10
	s_delay_alu instid0(SALU_CYCLE_1)
	s_xor_b32 s6, s10, s6
	s_mov_b32 exec_lo, s10
	s_cbranch_execz .LBB148_49
; %bb.46:                               ;   in Loop: Header=BB148_3 Depth=1
	v_readlane_b32 s13, v89, 16
	s_and_saveexec_b32 s10, s13
; %bb.47:                               ;   in Loop: Header=BB148_3 Depth=1
	ds_store_b64 v67, v[26:27]
; %bb.48:                               ;   in Loop: Header=BB148_3 Depth=1
	s_or_b32 exec_lo, exec_lo, s10
.LBB148_49:                             ;   in Loop: Header=BB148_3 Depth=1
	s_and_not1_saveexec_b32 s70, s6
	s_cbranch_execz .LBB148_55
; %bb.50:                               ;   in Loop: Header=BB148_3 Depth=1
	v_lshl_add_u64 v[36:37], v[14:15], 3, v[30:31]
                                        ; implicit-def: $vgpr38_vgpr39
	flat_load_b64 v[36:37], v[36:37]
	s_wait_loadcnt_dscnt 0x0
	v_cmp_ngt_f32_e64 s6, |v36|, |v37|
	s_wait_xcnt 0x0
	s_and_saveexec_b32 s10, s6
	s_delay_alu instid0(SALU_CYCLE_1)
	s_xor_b32 s6, exec_lo, s10
	s_cbranch_execz .LBB148_52
; %bb.51:                               ;   in Loop: Header=BB148_3 Depth=1
	v_div_scale_f32 v38, null, v37, v37, v36
	v_div_scale_f32 v41, vcc_lo, v36, v37, v36
	s_delay_alu instid0(VALU_DEP_2) | instskip(SKIP_1) | instid1(TRANS32_DEP_1)
	v_rcp_f32_e32 v39, v38
	v_nop
	v_fma_f32 v40, -v38, v39, 1.0
	s_delay_alu instid0(VALU_DEP_1) | instskip(NEXT) | instid1(VALU_DEP_1)
	v_fmac_f32_e32 v39, v40, v39
	v_mul_f32_e32 v40, v41, v39
	s_delay_alu instid0(VALU_DEP_1) | instskip(NEXT) | instid1(VALU_DEP_1)
	v_fma_f32 v79, -v38, v40, v41
	v_fmac_f32_e32 v40, v79, v39
	s_delay_alu instid0(VALU_DEP_1) | instskip(NEXT) | instid1(VALU_DEP_1)
	v_fma_f32 v38, -v38, v40, v41
	v_div_fmas_f32 v38, v38, v39, v40
	s_delay_alu instid0(VALU_DEP_1) | instskip(NEXT) | instid1(VALU_DEP_1)
	v_div_fixup_f32 v38, v38, v37, v36
	v_fmac_f32_e32 v37, v36, v38
	s_delay_alu instid0(VALU_DEP_1) | instskip(SKIP_1) | instid1(VALU_DEP_2)
	v_div_scale_f32 v36, null, v37, v37, 1.0
	v_div_scale_f32 v41, vcc_lo, 1.0, v37, 1.0
	v_rcp_f32_e32 v39, v36
	v_nop
	s_delay_alu instid0(TRANS32_DEP_1) | instskip(NEXT) | instid1(VALU_DEP_1)
	v_fma_f32 v40, -v36, v39, 1.0
	v_fmac_f32_e32 v39, v40, v39
	s_delay_alu instid0(VALU_DEP_1) | instskip(NEXT) | instid1(VALU_DEP_1)
	v_mul_f32_e32 v40, v41, v39
	v_fma_f32 v79, -v36, v40, v41
	s_delay_alu instid0(VALU_DEP_1) | instskip(NEXT) | instid1(VALU_DEP_1)
	v_fmac_f32_e32 v40, v79, v39
	v_fma_f32 v36, -v36, v40, v41
	s_delay_alu instid0(VALU_DEP_1) | instskip(NEXT) | instid1(VALU_DEP_1)
	v_div_fmas_f32 v36, v36, v39, v40
	v_div_fixup_f32 v36, v36, v37, 1.0
	s_delay_alu instid0(VALU_DEP_1)
	v_mul_f32_e32 v38, v38, v36
	v_xor_b32_e32 v39, 0x80000000, v36
                                        ; implicit-def: $vgpr36_vgpr37
.LBB148_52:                             ;   in Loop: Header=BB148_3 Depth=1
	s_and_not1_saveexec_b32 s6, s6
	s_cbranch_execz .LBB148_54
; %bb.53:                               ;   in Loop: Header=BB148_3 Depth=1
	v_div_scale_f32 v38, null, v36, v36, v37
	v_div_scale_f32 v41, vcc_lo, v37, v36, v37
	s_delay_alu instid0(VALU_DEP_2) | instskip(SKIP_1) | instid1(TRANS32_DEP_1)
	v_rcp_f32_e32 v39, v38
	v_nop
	v_fma_f32 v40, -v38, v39, 1.0
	s_delay_alu instid0(VALU_DEP_1) | instskip(NEXT) | instid1(VALU_DEP_1)
	v_fmac_f32_e32 v39, v40, v39
	v_mul_f32_e32 v40, v41, v39
	s_delay_alu instid0(VALU_DEP_1) | instskip(NEXT) | instid1(VALU_DEP_1)
	v_fma_f32 v79, -v38, v40, v41
	v_fmac_f32_e32 v40, v79, v39
	s_delay_alu instid0(VALU_DEP_1) | instskip(NEXT) | instid1(VALU_DEP_1)
	v_fma_f32 v38, -v38, v40, v41
	v_div_fmas_f32 v38, v38, v39, v40
	s_delay_alu instid0(VALU_DEP_1) | instskip(NEXT) | instid1(VALU_DEP_1)
	v_div_fixup_f32 v39, v38, v36, v37
	v_fmac_f32_e32 v36, v37, v39
	s_delay_alu instid0(VALU_DEP_1) | instskip(NEXT) | instid1(VALU_DEP_1)
	v_div_scale_f32 v37, null, v36, v36, 1.0
	v_rcp_f32_e32 v38, v37
	v_nop
	s_delay_alu instid0(TRANS32_DEP_1) | instskip(NEXT) | instid1(VALU_DEP_1)
	v_fma_f32 v40, -v37, v38, 1.0
	v_fmac_f32_e32 v38, v40, v38
	v_div_scale_f32 v40, vcc_lo, 1.0, v36, 1.0
	s_delay_alu instid0(VALU_DEP_1) | instskip(NEXT) | instid1(VALU_DEP_1)
	v_mul_f32_e32 v41, v40, v38
	v_fma_f32 v79, -v37, v41, v40
	s_delay_alu instid0(VALU_DEP_1) | instskip(NEXT) | instid1(VALU_DEP_1)
	v_fmac_f32_e32 v41, v79, v38
	v_fma_f32 v37, -v37, v41, v40
	s_delay_alu instid0(VALU_DEP_1) | instskip(NEXT) | instid1(VALU_DEP_1)
	v_div_fmas_f32 v37, v37, v38, v41
	v_div_fixup_f32 v38, v37, v36, 1.0
	s_delay_alu instid0(VALU_DEP_1)
	v_mul_f32_e64 v39, v39, -v38
.LBB148_54:                             ;   in Loop: Header=BB148_3 Depth=1
	s_or_b32 exec_lo, exec_lo, s6
	ds_store_b64 v67, v[38:39]
.LBB148_55:                             ;   in Loop: Header=BB148_3 Depth=1
	s_or_b32 exec_lo, exec_lo, s70
.LBB148_56:                             ;   in Loop: Header=BB148_3 Depth=1
	s_and_not1_saveexec_b32 s6, s8
	s_cbranch_execz .LBB148_58
; %bb.57:                               ;   in Loop: Header=BB148_3 Depth=1
	v_lshl_add_u64 v[36:37], v[14:15], 3, v[30:31]
	flat_load_b64 v[36:37], v[36:37]
	s_wait_loadcnt_dscnt 0x0
	v_pk_add_f32 v[36:37], v[36:37], 0 neg_lo:[1,1] neg_hi:[1,1]
	ds_store_b64 v67, v[36:37]
.LBB148_58:                             ;   in Loop: Header=BB148_3 Depth=1
	s_or_b32 exec_lo, exec_lo, s6
	v_readlane_b32 s8, v90, 20
	s_and_saveexec_b32 s6, s8
	s_delay_alu instid0(SALU_CYCLE_1)
	s_xor_b32 s8, exec_lo, s6
	s_cbranch_execz .LBB148_70
; %bb.59:                               ;   in Loop: Header=BB148_3 Depth=1
	s_mov_b32 s6, exec_lo
	v_readlane_b32 s10, v90, 28
	s_and_b32 s10, s6, s10
	s_delay_alu instid0(SALU_CYCLE_1)
	s_xor_b32 s6, s10, s6
	s_mov_b32 exec_lo, s10
	s_cbranch_execz .LBB148_63
; %bb.60:                               ;   in Loop: Header=BB148_3 Depth=1
	v_readlane_b32 s13, v89, 17
	s_and_saveexec_b32 s10, s13
; %bb.61:                               ;   in Loop: Header=BB148_3 Depth=1
	ds_store_b64 v75, v[26:27]
; %bb.62:                               ;   in Loop: Header=BB148_3 Depth=1
	s_or_b32 exec_lo, exec_lo, s10
.LBB148_63:                             ;   in Loop: Header=BB148_3 Depth=1
	s_and_not1_saveexec_b32 s70, s6
	s_cbranch_execz .LBB148_69
; %bb.64:                               ;   in Loop: Header=BB148_3 Depth=1
	v_lshl_add_u64 v[36:37], v[16:17], 3, v[30:31]
                                        ; implicit-def: $vgpr38_vgpr39
	flat_load_b64 v[36:37], v[36:37]
	s_wait_loadcnt_dscnt 0x0
	v_cmp_ngt_f32_e64 s6, |v36|, |v37|
	s_wait_xcnt 0x0
	s_and_saveexec_b32 s10, s6
	s_delay_alu instid0(SALU_CYCLE_1)
	s_xor_b32 s6, exec_lo, s10
	s_cbranch_execz .LBB148_66
; %bb.65:                               ;   in Loop: Header=BB148_3 Depth=1
	v_div_scale_f32 v38, null, v37, v37, v36
	v_div_scale_f32 v41, vcc_lo, v36, v37, v36
	s_delay_alu instid0(VALU_DEP_2) | instskip(SKIP_1) | instid1(TRANS32_DEP_1)
	v_rcp_f32_e32 v39, v38
	v_nop
	v_fma_f32 v40, -v38, v39, 1.0
	s_delay_alu instid0(VALU_DEP_1) | instskip(NEXT) | instid1(VALU_DEP_1)
	v_fmac_f32_e32 v39, v40, v39
	v_mul_f32_e32 v40, v41, v39
	s_delay_alu instid0(VALU_DEP_1) | instskip(NEXT) | instid1(VALU_DEP_1)
	v_fma_f32 v79, -v38, v40, v41
	v_fmac_f32_e32 v40, v79, v39
	s_delay_alu instid0(VALU_DEP_1) | instskip(NEXT) | instid1(VALU_DEP_1)
	v_fma_f32 v38, -v38, v40, v41
	v_div_fmas_f32 v38, v38, v39, v40
	s_delay_alu instid0(VALU_DEP_1) | instskip(NEXT) | instid1(VALU_DEP_1)
	v_div_fixup_f32 v38, v38, v37, v36
	v_fmac_f32_e32 v37, v36, v38
	s_delay_alu instid0(VALU_DEP_1) | instskip(SKIP_1) | instid1(VALU_DEP_2)
	v_div_scale_f32 v36, null, v37, v37, 1.0
	v_div_scale_f32 v41, vcc_lo, 1.0, v37, 1.0
	v_rcp_f32_e32 v39, v36
	v_nop
	s_delay_alu instid0(TRANS32_DEP_1) | instskip(NEXT) | instid1(VALU_DEP_1)
	v_fma_f32 v40, -v36, v39, 1.0
	v_fmac_f32_e32 v39, v40, v39
	s_delay_alu instid0(VALU_DEP_1) | instskip(NEXT) | instid1(VALU_DEP_1)
	v_mul_f32_e32 v40, v41, v39
	v_fma_f32 v79, -v36, v40, v41
	s_delay_alu instid0(VALU_DEP_1) | instskip(NEXT) | instid1(VALU_DEP_1)
	v_fmac_f32_e32 v40, v79, v39
	v_fma_f32 v36, -v36, v40, v41
	s_delay_alu instid0(VALU_DEP_1) | instskip(NEXT) | instid1(VALU_DEP_1)
	v_div_fmas_f32 v36, v36, v39, v40
	v_div_fixup_f32 v36, v36, v37, 1.0
	s_delay_alu instid0(VALU_DEP_1)
	v_mul_f32_e32 v38, v38, v36
	v_xor_b32_e32 v39, 0x80000000, v36
                                        ; implicit-def: $vgpr36_vgpr37
.LBB148_66:                             ;   in Loop: Header=BB148_3 Depth=1
	s_and_not1_saveexec_b32 s6, s6
	s_cbranch_execz .LBB148_68
; %bb.67:                               ;   in Loop: Header=BB148_3 Depth=1
	v_div_scale_f32 v38, null, v36, v36, v37
	v_div_scale_f32 v41, vcc_lo, v37, v36, v37
	s_delay_alu instid0(VALU_DEP_2) | instskip(SKIP_1) | instid1(TRANS32_DEP_1)
	v_rcp_f32_e32 v39, v38
	v_nop
	v_fma_f32 v40, -v38, v39, 1.0
	s_delay_alu instid0(VALU_DEP_1) | instskip(NEXT) | instid1(VALU_DEP_1)
	v_fmac_f32_e32 v39, v40, v39
	v_mul_f32_e32 v40, v41, v39
	s_delay_alu instid0(VALU_DEP_1) | instskip(NEXT) | instid1(VALU_DEP_1)
	v_fma_f32 v79, -v38, v40, v41
	v_fmac_f32_e32 v40, v79, v39
	s_delay_alu instid0(VALU_DEP_1) | instskip(NEXT) | instid1(VALU_DEP_1)
	v_fma_f32 v38, -v38, v40, v41
	v_div_fmas_f32 v38, v38, v39, v40
	s_delay_alu instid0(VALU_DEP_1) | instskip(NEXT) | instid1(VALU_DEP_1)
	v_div_fixup_f32 v39, v38, v36, v37
	v_fmac_f32_e32 v36, v37, v39
	s_delay_alu instid0(VALU_DEP_1) | instskip(NEXT) | instid1(VALU_DEP_1)
	v_div_scale_f32 v37, null, v36, v36, 1.0
	v_rcp_f32_e32 v38, v37
	v_nop
	s_delay_alu instid0(TRANS32_DEP_1) | instskip(NEXT) | instid1(VALU_DEP_1)
	v_fma_f32 v40, -v37, v38, 1.0
	v_fmac_f32_e32 v38, v40, v38
	v_div_scale_f32 v40, vcc_lo, 1.0, v36, 1.0
	s_delay_alu instid0(VALU_DEP_1) | instskip(NEXT) | instid1(VALU_DEP_1)
	v_mul_f32_e32 v41, v40, v38
	v_fma_f32 v79, -v37, v41, v40
	s_delay_alu instid0(VALU_DEP_1) | instskip(NEXT) | instid1(VALU_DEP_1)
	v_fmac_f32_e32 v41, v79, v38
	v_fma_f32 v37, -v37, v41, v40
	s_delay_alu instid0(VALU_DEP_1) | instskip(NEXT) | instid1(VALU_DEP_1)
	v_div_fmas_f32 v37, v37, v38, v41
	v_div_fixup_f32 v38, v37, v36, 1.0
	s_delay_alu instid0(VALU_DEP_1)
	v_mul_f32_e64 v39, v39, -v38
.LBB148_68:                             ;   in Loop: Header=BB148_3 Depth=1
	s_or_b32 exec_lo, exec_lo, s6
	ds_store_b64 v75, v[38:39]
.LBB148_69:                             ;   in Loop: Header=BB148_3 Depth=1
	s_or_b32 exec_lo, exec_lo, s70
.LBB148_70:                             ;   in Loop: Header=BB148_3 Depth=1
	s_and_not1_saveexec_b32 s6, s8
	s_cbranch_execz .LBB148_72
; %bb.71:                               ;   in Loop: Header=BB148_3 Depth=1
	v_lshl_add_u64 v[36:37], v[16:17], 3, v[30:31]
	flat_load_b64 v[36:37], v[36:37]
	s_wait_loadcnt_dscnt 0x0
	v_pk_add_f32 v[36:37], v[36:37], 0 neg_lo:[1,1] neg_hi:[1,1]
	ds_store_b64 v75, v[36:37]
.LBB148_72:                             ;   in Loop: Header=BB148_3 Depth=1
	s_or_b32 exec_lo, exec_lo, s6
	s_mov_b32 s6, 0
.LBB148_73:                             ;   in Loop: Header=BB148_3 Depth=1
	s_delay_alu instid0(SALU_CYCLE_1)
	s_and_b32 vcc_lo, exec_lo, s6
	s_cbranch_vccz .LBB148_131
; %bb.74:                               ;   in Loop: Header=BB148_3 Depth=1
	v_readlane_b32 s8, v90, 15
	s_wait_xcnt 0x0
	s_and_saveexec_b32 s6, s8
	s_delay_alu instid0(SALU_CYCLE_1)
	s_xor_b32 s8, exec_lo, s6
	s_cbranch_execz .LBB148_86
; %bb.75:                               ;   in Loop: Header=BB148_3 Depth=1
	s_mov_b32 s6, exec_lo
	v_readlane_b32 s10, v90, 23
	s_and_b32 s10, s6, s10
	s_delay_alu instid0(SALU_CYCLE_1)
	s_xor_b32 s6, s10, s6
	s_mov_b32 exec_lo, s10
	s_cbranch_execz .LBB148_79
; %bb.76:                               ;   in Loop: Header=BB148_3 Depth=1
	v_readlane_b32 s13, v89, 14
	s_and_saveexec_b32 s10, s13
; %bb.77:                               ;   in Loop: Header=BB148_3 Depth=1
	ds_store_b64 v73, v[26:27]
; %bb.78:                               ;   in Loop: Header=BB148_3 Depth=1
	s_or_b32 exec_lo, exec_lo, s10
.LBB148_79:                             ;   in Loop: Header=BB148_3 Depth=1
	s_and_not1_saveexec_b32 s70, s6
	s_cbranch_execz .LBB148_85
; %bb.80:                               ;   in Loop: Header=BB148_3 Depth=1
	v_lshl_add_u64 v[36:37], v[10:11], 3, v[30:31]
                                        ; implicit-def: $vgpr38_vgpr39
	flat_load_b64 v[36:37], v[36:37]
	s_wait_loadcnt_dscnt 0x0
	v_cmp_ngt_f32_e64 s6, |v36|, |v37|
	s_wait_xcnt 0x0
	s_and_saveexec_b32 s10, s6
	s_delay_alu instid0(SALU_CYCLE_1)
	s_xor_b32 s6, exec_lo, s10
	s_cbranch_execz .LBB148_82
; %bb.81:                               ;   in Loop: Header=BB148_3 Depth=1
	v_div_scale_f32 v38, null, v37, v37, v36
	v_div_scale_f32 v41, vcc_lo, v36, v37, v36
	s_delay_alu instid0(VALU_DEP_2) | instskip(SKIP_1) | instid1(TRANS32_DEP_1)
	v_rcp_f32_e32 v39, v38
	v_nop
	v_fma_f32 v40, -v38, v39, 1.0
	s_delay_alu instid0(VALU_DEP_1) | instskip(NEXT) | instid1(VALU_DEP_1)
	v_fmac_f32_e32 v39, v40, v39
	v_mul_f32_e32 v40, v41, v39
	s_delay_alu instid0(VALU_DEP_1) | instskip(NEXT) | instid1(VALU_DEP_1)
	v_fma_f32 v79, -v38, v40, v41
	v_fmac_f32_e32 v40, v79, v39
	s_delay_alu instid0(VALU_DEP_1) | instskip(NEXT) | instid1(VALU_DEP_1)
	v_fma_f32 v38, -v38, v40, v41
	v_div_fmas_f32 v38, v38, v39, v40
	s_delay_alu instid0(VALU_DEP_1) | instskip(NEXT) | instid1(VALU_DEP_1)
	v_div_fixup_f32 v38, v38, v37, v36
	v_fmac_f32_e32 v37, v36, v38
	s_delay_alu instid0(VALU_DEP_1) | instskip(SKIP_1) | instid1(VALU_DEP_2)
	v_div_scale_f32 v36, null, v37, v37, 1.0
	v_div_scale_f32 v41, vcc_lo, 1.0, v37, 1.0
	v_rcp_f32_e32 v39, v36
	v_nop
	s_delay_alu instid0(TRANS32_DEP_1) | instskip(NEXT) | instid1(VALU_DEP_1)
	v_fma_f32 v40, -v36, v39, 1.0
	v_fmac_f32_e32 v39, v40, v39
	s_delay_alu instid0(VALU_DEP_1) | instskip(NEXT) | instid1(VALU_DEP_1)
	v_mul_f32_e32 v40, v41, v39
	v_fma_f32 v79, -v36, v40, v41
	s_delay_alu instid0(VALU_DEP_1) | instskip(NEXT) | instid1(VALU_DEP_1)
	v_fmac_f32_e32 v40, v79, v39
	v_fma_f32 v36, -v36, v40, v41
	s_delay_alu instid0(VALU_DEP_1) | instskip(NEXT) | instid1(VALU_DEP_1)
	v_div_fmas_f32 v36, v36, v39, v40
	v_div_fixup_f32 v36, v36, v37, 1.0
	s_delay_alu instid0(VALU_DEP_1)
	v_mul_f32_e32 v38, v38, v36
	v_xor_b32_e32 v39, 0x80000000, v36
                                        ; implicit-def: $vgpr36_vgpr37
.LBB148_82:                             ;   in Loop: Header=BB148_3 Depth=1
	s_and_not1_saveexec_b32 s6, s6
	s_cbranch_execz .LBB148_84
; %bb.83:                               ;   in Loop: Header=BB148_3 Depth=1
	v_div_scale_f32 v38, null, v36, v36, v37
	v_div_scale_f32 v41, vcc_lo, v37, v36, v37
	s_delay_alu instid0(VALU_DEP_2) | instskip(SKIP_1) | instid1(TRANS32_DEP_1)
	v_rcp_f32_e32 v39, v38
	v_nop
	v_fma_f32 v40, -v38, v39, 1.0
	s_delay_alu instid0(VALU_DEP_1) | instskip(NEXT) | instid1(VALU_DEP_1)
	v_fmac_f32_e32 v39, v40, v39
	v_mul_f32_e32 v40, v41, v39
	s_delay_alu instid0(VALU_DEP_1) | instskip(NEXT) | instid1(VALU_DEP_1)
	v_fma_f32 v79, -v38, v40, v41
	v_fmac_f32_e32 v40, v79, v39
	s_delay_alu instid0(VALU_DEP_1) | instskip(NEXT) | instid1(VALU_DEP_1)
	v_fma_f32 v38, -v38, v40, v41
	v_div_fmas_f32 v38, v38, v39, v40
	s_delay_alu instid0(VALU_DEP_1) | instskip(NEXT) | instid1(VALU_DEP_1)
	v_div_fixup_f32 v39, v38, v36, v37
	v_fmac_f32_e32 v36, v37, v39
	s_delay_alu instid0(VALU_DEP_1) | instskip(NEXT) | instid1(VALU_DEP_1)
	v_div_scale_f32 v37, null, v36, v36, 1.0
	v_rcp_f32_e32 v38, v37
	v_nop
	s_delay_alu instid0(TRANS32_DEP_1) | instskip(NEXT) | instid1(VALU_DEP_1)
	v_fma_f32 v40, -v37, v38, 1.0
	v_fmac_f32_e32 v38, v40, v38
	v_div_scale_f32 v40, vcc_lo, 1.0, v36, 1.0
	s_delay_alu instid0(VALU_DEP_1) | instskip(NEXT) | instid1(VALU_DEP_1)
	v_mul_f32_e32 v41, v40, v38
	v_fma_f32 v79, -v37, v41, v40
	s_delay_alu instid0(VALU_DEP_1) | instskip(NEXT) | instid1(VALU_DEP_1)
	v_fmac_f32_e32 v41, v79, v38
	v_fma_f32 v37, -v37, v41, v40
	s_delay_alu instid0(VALU_DEP_1) | instskip(NEXT) | instid1(VALU_DEP_1)
	v_div_fmas_f32 v37, v37, v38, v41
	v_div_fixup_f32 v38, v37, v36, 1.0
	s_delay_alu instid0(VALU_DEP_1)
	v_mul_f32_e64 v39, v39, -v38
.LBB148_84:                             ;   in Loop: Header=BB148_3 Depth=1
	s_or_b32 exec_lo, exec_lo, s6
	ds_store_b64 v73, v[38:39]
.LBB148_85:                             ;   in Loop: Header=BB148_3 Depth=1
	s_or_b32 exec_lo, exec_lo, s70
.LBB148_86:                             ;   in Loop: Header=BB148_3 Depth=1
	s_and_not1_saveexec_b32 s6, s8
	s_cbranch_execz .LBB148_88
; %bb.87:                               ;   in Loop: Header=BB148_3 Depth=1
	v_lshl_add_u64 v[36:37], v[10:11], 3, v[30:31]
	flat_load_b64 v[36:37], v[36:37]
	s_wait_loadcnt_dscnt 0x0
	v_pk_add_f32 v[36:37], v[36:37], 0 neg_lo:[1,1] neg_hi:[1,1]
	ds_store_b64 v73, v[36:37]
.LBB148_88:                             ;   in Loop: Header=BB148_3 Depth=1
	s_or_b32 exec_lo, exec_lo, s6
	v_readlane_b32 s8, v90, 17
	s_and_saveexec_b32 s6, s8
	s_delay_alu instid0(SALU_CYCLE_1)
	s_xor_b32 s8, exec_lo, s6
	s_cbranch_execz .LBB148_100
; %bb.89:                               ;   in Loop: Header=BB148_3 Depth=1
	s_mov_b32 s6, exec_lo
	v_readlane_b32 s10, v90, 25
	s_and_b32 s10, s6, s10
	s_delay_alu instid0(SALU_CYCLE_1)
	s_xor_b32 s6, s10, s6
	s_mov_b32 exec_lo, s10
	s_cbranch_execz .LBB148_93
; %bb.90:                               ;   in Loop: Header=BB148_3 Depth=1
	v_readlane_b32 s13, v89, 15
	s_and_saveexec_b32 s10, s13
; %bb.91:                               ;   in Loop: Header=BB148_3 Depth=1
	ds_store_b64 v66, v[26:27]
; %bb.92:                               ;   in Loop: Header=BB148_3 Depth=1
	s_or_b32 exec_lo, exec_lo, s10
.LBB148_93:                             ;   in Loop: Header=BB148_3 Depth=1
	s_and_not1_saveexec_b32 s70, s6
	s_cbranch_execz .LBB148_99
; %bb.94:                               ;   in Loop: Header=BB148_3 Depth=1
	v_lshl_add_u64 v[36:37], v[12:13], 3, v[30:31]
                                        ; implicit-def: $vgpr38_vgpr39
	flat_load_b64 v[36:37], v[36:37]
	s_wait_loadcnt_dscnt 0x0
	v_cmp_ngt_f32_e64 s6, |v36|, |v37|
	s_wait_xcnt 0x0
	s_and_saveexec_b32 s10, s6
	s_delay_alu instid0(SALU_CYCLE_1)
	s_xor_b32 s6, exec_lo, s10
	s_cbranch_execz .LBB148_96
; %bb.95:                               ;   in Loop: Header=BB148_3 Depth=1
	v_div_scale_f32 v38, null, v37, v37, v36
	v_div_scale_f32 v41, vcc_lo, v36, v37, v36
	s_delay_alu instid0(VALU_DEP_2) | instskip(SKIP_1) | instid1(TRANS32_DEP_1)
	v_rcp_f32_e32 v39, v38
	v_nop
	v_fma_f32 v40, -v38, v39, 1.0
	s_delay_alu instid0(VALU_DEP_1) | instskip(NEXT) | instid1(VALU_DEP_1)
	v_fmac_f32_e32 v39, v40, v39
	v_mul_f32_e32 v40, v41, v39
	s_delay_alu instid0(VALU_DEP_1) | instskip(NEXT) | instid1(VALU_DEP_1)
	v_fma_f32 v79, -v38, v40, v41
	v_fmac_f32_e32 v40, v79, v39
	s_delay_alu instid0(VALU_DEP_1) | instskip(NEXT) | instid1(VALU_DEP_1)
	v_fma_f32 v38, -v38, v40, v41
	v_div_fmas_f32 v38, v38, v39, v40
	s_delay_alu instid0(VALU_DEP_1) | instskip(NEXT) | instid1(VALU_DEP_1)
	v_div_fixup_f32 v38, v38, v37, v36
	v_fmac_f32_e32 v37, v36, v38
	s_delay_alu instid0(VALU_DEP_1) | instskip(SKIP_1) | instid1(VALU_DEP_2)
	v_div_scale_f32 v36, null, v37, v37, 1.0
	v_div_scale_f32 v41, vcc_lo, 1.0, v37, 1.0
	v_rcp_f32_e32 v39, v36
	v_nop
	s_delay_alu instid0(TRANS32_DEP_1) | instskip(NEXT) | instid1(VALU_DEP_1)
	v_fma_f32 v40, -v36, v39, 1.0
	v_fmac_f32_e32 v39, v40, v39
	s_delay_alu instid0(VALU_DEP_1) | instskip(NEXT) | instid1(VALU_DEP_1)
	v_mul_f32_e32 v40, v41, v39
	v_fma_f32 v79, -v36, v40, v41
	s_delay_alu instid0(VALU_DEP_1) | instskip(NEXT) | instid1(VALU_DEP_1)
	v_fmac_f32_e32 v40, v79, v39
	v_fma_f32 v36, -v36, v40, v41
	s_delay_alu instid0(VALU_DEP_1) | instskip(NEXT) | instid1(VALU_DEP_1)
	v_div_fmas_f32 v36, v36, v39, v40
	v_div_fixup_f32 v36, v36, v37, 1.0
	s_delay_alu instid0(VALU_DEP_1)
	v_mul_f32_e32 v38, v38, v36
	v_xor_b32_e32 v39, 0x80000000, v36
                                        ; implicit-def: $vgpr36_vgpr37
.LBB148_96:                             ;   in Loop: Header=BB148_3 Depth=1
	s_and_not1_saveexec_b32 s6, s6
	s_cbranch_execz .LBB148_98
; %bb.97:                               ;   in Loop: Header=BB148_3 Depth=1
	v_div_scale_f32 v38, null, v36, v36, v37
	v_div_scale_f32 v41, vcc_lo, v37, v36, v37
	s_delay_alu instid0(VALU_DEP_2) | instskip(SKIP_1) | instid1(TRANS32_DEP_1)
	v_rcp_f32_e32 v39, v38
	v_nop
	v_fma_f32 v40, -v38, v39, 1.0
	s_delay_alu instid0(VALU_DEP_1) | instskip(NEXT) | instid1(VALU_DEP_1)
	v_fmac_f32_e32 v39, v40, v39
	v_mul_f32_e32 v40, v41, v39
	s_delay_alu instid0(VALU_DEP_1) | instskip(NEXT) | instid1(VALU_DEP_1)
	v_fma_f32 v79, -v38, v40, v41
	v_fmac_f32_e32 v40, v79, v39
	s_delay_alu instid0(VALU_DEP_1) | instskip(NEXT) | instid1(VALU_DEP_1)
	v_fma_f32 v38, -v38, v40, v41
	v_div_fmas_f32 v38, v38, v39, v40
	s_delay_alu instid0(VALU_DEP_1) | instskip(NEXT) | instid1(VALU_DEP_1)
	v_div_fixup_f32 v39, v38, v36, v37
	v_fmac_f32_e32 v36, v37, v39
	s_delay_alu instid0(VALU_DEP_1) | instskip(NEXT) | instid1(VALU_DEP_1)
	v_div_scale_f32 v37, null, v36, v36, 1.0
	v_rcp_f32_e32 v38, v37
	v_nop
	s_delay_alu instid0(TRANS32_DEP_1) | instskip(NEXT) | instid1(VALU_DEP_1)
	v_fma_f32 v40, -v37, v38, 1.0
	v_fmac_f32_e32 v38, v40, v38
	v_div_scale_f32 v40, vcc_lo, 1.0, v36, 1.0
	s_delay_alu instid0(VALU_DEP_1) | instskip(NEXT) | instid1(VALU_DEP_1)
	v_mul_f32_e32 v41, v40, v38
	v_fma_f32 v79, -v37, v41, v40
	s_delay_alu instid0(VALU_DEP_1) | instskip(NEXT) | instid1(VALU_DEP_1)
	v_fmac_f32_e32 v41, v79, v38
	v_fma_f32 v37, -v37, v41, v40
	s_delay_alu instid0(VALU_DEP_1) | instskip(NEXT) | instid1(VALU_DEP_1)
	v_div_fmas_f32 v37, v37, v38, v41
	v_div_fixup_f32 v38, v37, v36, 1.0
	s_delay_alu instid0(VALU_DEP_1)
	v_mul_f32_e64 v39, v39, -v38
.LBB148_98:                             ;   in Loop: Header=BB148_3 Depth=1
	s_or_b32 exec_lo, exec_lo, s6
	ds_store_b64 v66, v[38:39]
.LBB148_99:                             ;   in Loop: Header=BB148_3 Depth=1
	s_or_b32 exec_lo, exec_lo, s70
.LBB148_100:                            ;   in Loop: Header=BB148_3 Depth=1
	s_and_not1_saveexec_b32 s6, s8
	s_cbranch_execz .LBB148_102
; %bb.101:                              ;   in Loop: Header=BB148_3 Depth=1
	v_lshl_add_u64 v[36:37], v[12:13], 3, v[30:31]
	flat_load_b64 v[36:37], v[36:37]
	s_wait_loadcnt_dscnt 0x0
	v_pk_add_f32 v[36:37], v[36:37], 0 neg_lo:[1,1] neg_hi:[1,1]
	ds_store_b64 v66, v[36:37]
.LBB148_102:                            ;   in Loop: Header=BB148_3 Depth=1
	s_or_b32 exec_lo, exec_lo, s6
	v_readlane_b32 s8, v90, 19
	s_and_saveexec_b32 s6, s8
	s_delay_alu instid0(SALU_CYCLE_1)
	s_xor_b32 s8, exec_lo, s6
	s_cbranch_execz .LBB148_114
; %bb.103:                              ;   in Loop: Header=BB148_3 Depth=1
	s_mov_b32 s6, exec_lo
	v_readlane_b32 s10, v90, 27
	s_and_b32 s10, s6, s10
	s_delay_alu instid0(SALU_CYCLE_1)
	s_xor_b32 s6, s10, s6
	s_mov_b32 exec_lo, s10
	s_cbranch_execz .LBB148_107
; %bb.104:                              ;   in Loop: Header=BB148_3 Depth=1
	v_readlane_b32 s13, v89, 16
	s_and_saveexec_b32 s10, s13
; %bb.105:                              ;   in Loop: Header=BB148_3 Depth=1
	ds_store_b64 v67, v[26:27]
; %bb.106:                              ;   in Loop: Header=BB148_3 Depth=1
	s_or_b32 exec_lo, exec_lo, s10
.LBB148_107:                            ;   in Loop: Header=BB148_3 Depth=1
	s_and_not1_saveexec_b32 s70, s6
	s_cbranch_execz .LBB148_113
; %bb.108:                              ;   in Loop: Header=BB148_3 Depth=1
	v_lshl_add_u64 v[36:37], v[14:15], 3, v[30:31]
                                        ; implicit-def: $vgpr38_vgpr39
	flat_load_b64 v[36:37], v[36:37]
	s_wait_loadcnt_dscnt 0x0
	v_cmp_ngt_f32_e64 s6, |v36|, |v37|
	s_wait_xcnt 0x0
	s_and_saveexec_b32 s10, s6
	s_delay_alu instid0(SALU_CYCLE_1)
	s_xor_b32 s6, exec_lo, s10
	s_cbranch_execz .LBB148_110
; %bb.109:                              ;   in Loop: Header=BB148_3 Depth=1
	v_div_scale_f32 v38, null, v37, v37, v36
	v_div_scale_f32 v41, vcc_lo, v36, v37, v36
	s_delay_alu instid0(VALU_DEP_2) | instskip(SKIP_1) | instid1(TRANS32_DEP_1)
	v_rcp_f32_e32 v39, v38
	v_nop
	v_fma_f32 v40, -v38, v39, 1.0
	s_delay_alu instid0(VALU_DEP_1) | instskip(NEXT) | instid1(VALU_DEP_1)
	v_fmac_f32_e32 v39, v40, v39
	v_mul_f32_e32 v40, v41, v39
	s_delay_alu instid0(VALU_DEP_1) | instskip(NEXT) | instid1(VALU_DEP_1)
	v_fma_f32 v79, -v38, v40, v41
	v_fmac_f32_e32 v40, v79, v39
	s_delay_alu instid0(VALU_DEP_1) | instskip(NEXT) | instid1(VALU_DEP_1)
	v_fma_f32 v38, -v38, v40, v41
	v_div_fmas_f32 v38, v38, v39, v40
	s_delay_alu instid0(VALU_DEP_1) | instskip(NEXT) | instid1(VALU_DEP_1)
	v_div_fixup_f32 v38, v38, v37, v36
	v_fmac_f32_e32 v37, v36, v38
	s_delay_alu instid0(VALU_DEP_1) | instskip(SKIP_1) | instid1(VALU_DEP_2)
	v_div_scale_f32 v36, null, v37, v37, 1.0
	v_div_scale_f32 v41, vcc_lo, 1.0, v37, 1.0
	v_rcp_f32_e32 v39, v36
	v_nop
	s_delay_alu instid0(TRANS32_DEP_1) | instskip(NEXT) | instid1(VALU_DEP_1)
	v_fma_f32 v40, -v36, v39, 1.0
	v_fmac_f32_e32 v39, v40, v39
	s_delay_alu instid0(VALU_DEP_1) | instskip(NEXT) | instid1(VALU_DEP_1)
	v_mul_f32_e32 v40, v41, v39
	v_fma_f32 v79, -v36, v40, v41
	s_delay_alu instid0(VALU_DEP_1) | instskip(NEXT) | instid1(VALU_DEP_1)
	v_fmac_f32_e32 v40, v79, v39
	v_fma_f32 v36, -v36, v40, v41
	s_delay_alu instid0(VALU_DEP_1) | instskip(NEXT) | instid1(VALU_DEP_1)
	v_div_fmas_f32 v36, v36, v39, v40
	v_div_fixup_f32 v36, v36, v37, 1.0
	s_delay_alu instid0(VALU_DEP_1)
	v_mul_f32_e32 v38, v38, v36
	v_xor_b32_e32 v39, 0x80000000, v36
                                        ; implicit-def: $vgpr36_vgpr37
.LBB148_110:                            ;   in Loop: Header=BB148_3 Depth=1
	s_and_not1_saveexec_b32 s6, s6
	s_cbranch_execz .LBB148_112
; %bb.111:                              ;   in Loop: Header=BB148_3 Depth=1
	v_div_scale_f32 v38, null, v36, v36, v37
	v_div_scale_f32 v41, vcc_lo, v37, v36, v37
	s_delay_alu instid0(VALU_DEP_2) | instskip(SKIP_1) | instid1(TRANS32_DEP_1)
	v_rcp_f32_e32 v39, v38
	v_nop
	v_fma_f32 v40, -v38, v39, 1.0
	s_delay_alu instid0(VALU_DEP_1) | instskip(NEXT) | instid1(VALU_DEP_1)
	v_fmac_f32_e32 v39, v40, v39
	v_mul_f32_e32 v40, v41, v39
	s_delay_alu instid0(VALU_DEP_1) | instskip(NEXT) | instid1(VALU_DEP_1)
	v_fma_f32 v79, -v38, v40, v41
	v_fmac_f32_e32 v40, v79, v39
	s_delay_alu instid0(VALU_DEP_1) | instskip(NEXT) | instid1(VALU_DEP_1)
	v_fma_f32 v38, -v38, v40, v41
	v_div_fmas_f32 v38, v38, v39, v40
	s_delay_alu instid0(VALU_DEP_1) | instskip(NEXT) | instid1(VALU_DEP_1)
	v_div_fixup_f32 v39, v38, v36, v37
	v_fmac_f32_e32 v36, v37, v39
	s_delay_alu instid0(VALU_DEP_1) | instskip(NEXT) | instid1(VALU_DEP_1)
	v_div_scale_f32 v37, null, v36, v36, 1.0
	v_rcp_f32_e32 v38, v37
	v_nop
	s_delay_alu instid0(TRANS32_DEP_1) | instskip(NEXT) | instid1(VALU_DEP_1)
	v_fma_f32 v40, -v37, v38, 1.0
	v_fmac_f32_e32 v38, v40, v38
	v_div_scale_f32 v40, vcc_lo, 1.0, v36, 1.0
	s_delay_alu instid0(VALU_DEP_1) | instskip(NEXT) | instid1(VALU_DEP_1)
	v_mul_f32_e32 v41, v40, v38
	v_fma_f32 v79, -v37, v41, v40
	s_delay_alu instid0(VALU_DEP_1) | instskip(NEXT) | instid1(VALU_DEP_1)
	v_fmac_f32_e32 v41, v79, v38
	v_fma_f32 v37, -v37, v41, v40
	s_delay_alu instid0(VALU_DEP_1) | instskip(NEXT) | instid1(VALU_DEP_1)
	v_div_fmas_f32 v37, v37, v38, v41
	v_div_fixup_f32 v38, v37, v36, 1.0
	s_delay_alu instid0(VALU_DEP_1)
	v_mul_f32_e64 v39, v39, -v38
.LBB148_112:                            ;   in Loop: Header=BB148_3 Depth=1
	s_or_b32 exec_lo, exec_lo, s6
	ds_store_b64 v67, v[38:39]
.LBB148_113:                            ;   in Loop: Header=BB148_3 Depth=1
	s_or_b32 exec_lo, exec_lo, s70
.LBB148_114:                            ;   in Loop: Header=BB148_3 Depth=1
	s_and_not1_saveexec_b32 s6, s8
	s_cbranch_execz .LBB148_116
; %bb.115:                              ;   in Loop: Header=BB148_3 Depth=1
	v_lshl_add_u64 v[36:37], v[14:15], 3, v[30:31]
	flat_load_b64 v[36:37], v[36:37]
	s_wait_loadcnt_dscnt 0x0
	v_pk_add_f32 v[36:37], v[36:37], 0 neg_lo:[1,1] neg_hi:[1,1]
	ds_store_b64 v67, v[36:37]
.LBB148_116:                            ;   in Loop: Header=BB148_3 Depth=1
	s_or_b32 exec_lo, exec_lo, s6
	v_readlane_b32 s8, v90, 21
	s_and_saveexec_b32 s6, s8
	s_delay_alu instid0(SALU_CYCLE_1)
	s_xor_b32 s8, exec_lo, s6
	s_cbranch_execz .LBB148_128
; %bb.117:                              ;   in Loop: Header=BB148_3 Depth=1
	s_mov_b32 s6, exec_lo
	v_readlane_b32 s10, v90, 29
	s_and_b32 s10, s6, s10
	s_delay_alu instid0(SALU_CYCLE_1)
	s_xor_b32 s6, s10, s6
	s_mov_b32 exec_lo, s10
	s_cbranch_execz .LBB148_121
; %bb.118:                              ;   in Loop: Header=BB148_3 Depth=1
	v_readlane_b32 s13, v89, 17
	s_and_saveexec_b32 s10, s13
; %bb.119:                              ;   in Loop: Header=BB148_3 Depth=1
	ds_store_b64 v75, v[26:27]
; %bb.120:                              ;   in Loop: Header=BB148_3 Depth=1
	s_or_b32 exec_lo, exec_lo, s10
.LBB148_121:                            ;   in Loop: Header=BB148_3 Depth=1
	s_and_not1_saveexec_b32 s70, s6
	s_cbranch_execz .LBB148_127
; %bb.122:                              ;   in Loop: Header=BB148_3 Depth=1
	v_lshl_add_u64 v[36:37], v[16:17], 3, v[30:31]
                                        ; implicit-def: $vgpr38_vgpr39
	flat_load_b64 v[36:37], v[36:37]
	s_wait_loadcnt_dscnt 0x0
	v_cmp_ngt_f32_e64 s6, |v36|, |v37|
	s_wait_xcnt 0x0
	s_and_saveexec_b32 s10, s6
	s_delay_alu instid0(SALU_CYCLE_1)
	s_xor_b32 s6, exec_lo, s10
	s_cbranch_execz .LBB148_124
; %bb.123:                              ;   in Loop: Header=BB148_3 Depth=1
	v_div_scale_f32 v38, null, v37, v37, v36
	v_div_scale_f32 v41, vcc_lo, v36, v37, v36
	s_delay_alu instid0(VALU_DEP_2) | instskip(SKIP_1) | instid1(TRANS32_DEP_1)
	v_rcp_f32_e32 v39, v38
	v_nop
	v_fma_f32 v40, -v38, v39, 1.0
	s_delay_alu instid0(VALU_DEP_1) | instskip(NEXT) | instid1(VALU_DEP_1)
	v_fmac_f32_e32 v39, v40, v39
	v_mul_f32_e32 v40, v41, v39
	s_delay_alu instid0(VALU_DEP_1) | instskip(NEXT) | instid1(VALU_DEP_1)
	v_fma_f32 v79, -v38, v40, v41
	v_fmac_f32_e32 v40, v79, v39
	s_delay_alu instid0(VALU_DEP_1) | instskip(NEXT) | instid1(VALU_DEP_1)
	v_fma_f32 v38, -v38, v40, v41
	v_div_fmas_f32 v38, v38, v39, v40
	s_delay_alu instid0(VALU_DEP_1) | instskip(NEXT) | instid1(VALU_DEP_1)
	v_div_fixup_f32 v38, v38, v37, v36
	v_fmac_f32_e32 v37, v36, v38
	s_delay_alu instid0(VALU_DEP_1) | instskip(SKIP_1) | instid1(VALU_DEP_2)
	v_div_scale_f32 v36, null, v37, v37, 1.0
	v_div_scale_f32 v41, vcc_lo, 1.0, v37, 1.0
	v_rcp_f32_e32 v39, v36
	v_nop
	s_delay_alu instid0(TRANS32_DEP_1) | instskip(NEXT) | instid1(VALU_DEP_1)
	v_fma_f32 v40, -v36, v39, 1.0
	v_fmac_f32_e32 v39, v40, v39
	s_delay_alu instid0(VALU_DEP_1) | instskip(NEXT) | instid1(VALU_DEP_1)
	v_mul_f32_e32 v40, v41, v39
	v_fma_f32 v79, -v36, v40, v41
	s_delay_alu instid0(VALU_DEP_1) | instskip(NEXT) | instid1(VALU_DEP_1)
	v_fmac_f32_e32 v40, v79, v39
	v_fma_f32 v36, -v36, v40, v41
	s_delay_alu instid0(VALU_DEP_1) | instskip(NEXT) | instid1(VALU_DEP_1)
	v_div_fmas_f32 v36, v36, v39, v40
	v_div_fixup_f32 v36, v36, v37, 1.0
	s_delay_alu instid0(VALU_DEP_1)
	v_mul_f32_e32 v38, v38, v36
	v_xor_b32_e32 v39, 0x80000000, v36
                                        ; implicit-def: $vgpr36_vgpr37
.LBB148_124:                            ;   in Loop: Header=BB148_3 Depth=1
	s_and_not1_saveexec_b32 s6, s6
	s_cbranch_execz .LBB148_126
; %bb.125:                              ;   in Loop: Header=BB148_3 Depth=1
	v_div_scale_f32 v38, null, v36, v36, v37
	v_div_scale_f32 v41, vcc_lo, v37, v36, v37
	s_delay_alu instid0(VALU_DEP_2) | instskip(SKIP_1) | instid1(TRANS32_DEP_1)
	v_rcp_f32_e32 v39, v38
	v_nop
	v_fma_f32 v40, -v38, v39, 1.0
	s_delay_alu instid0(VALU_DEP_1) | instskip(NEXT) | instid1(VALU_DEP_1)
	v_fmac_f32_e32 v39, v40, v39
	v_mul_f32_e32 v40, v41, v39
	s_delay_alu instid0(VALU_DEP_1) | instskip(NEXT) | instid1(VALU_DEP_1)
	v_fma_f32 v79, -v38, v40, v41
	v_fmac_f32_e32 v40, v79, v39
	s_delay_alu instid0(VALU_DEP_1) | instskip(NEXT) | instid1(VALU_DEP_1)
	v_fma_f32 v38, -v38, v40, v41
	v_div_fmas_f32 v38, v38, v39, v40
	s_delay_alu instid0(VALU_DEP_1) | instskip(NEXT) | instid1(VALU_DEP_1)
	v_div_fixup_f32 v39, v38, v36, v37
	v_fmac_f32_e32 v36, v37, v39
	s_delay_alu instid0(VALU_DEP_1) | instskip(NEXT) | instid1(VALU_DEP_1)
	v_div_scale_f32 v37, null, v36, v36, 1.0
	v_rcp_f32_e32 v38, v37
	v_nop
	s_delay_alu instid0(TRANS32_DEP_1) | instskip(NEXT) | instid1(VALU_DEP_1)
	v_fma_f32 v40, -v37, v38, 1.0
	v_fmac_f32_e32 v38, v40, v38
	v_div_scale_f32 v40, vcc_lo, 1.0, v36, 1.0
	s_delay_alu instid0(VALU_DEP_1) | instskip(NEXT) | instid1(VALU_DEP_1)
	v_mul_f32_e32 v41, v40, v38
	v_fma_f32 v79, -v37, v41, v40
	s_delay_alu instid0(VALU_DEP_1) | instskip(NEXT) | instid1(VALU_DEP_1)
	v_fmac_f32_e32 v41, v79, v38
	v_fma_f32 v37, -v37, v41, v40
	s_delay_alu instid0(VALU_DEP_1) | instskip(NEXT) | instid1(VALU_DEP_1)
	v_div_fmas_f32 v37, v37, v38, v41
	v_div_fixup_f32 v38, v37, v36, 1.0
	s_delay_alu instid0(VALU_DEP_1)
	v_mul_f32_e64 v39, v39, -v38
.LBB148_126:                            ;   in Loop: Header=BB148_3 Depth=1
	s_or_b32 exec_lo, exec_lo, s6
	ds_store_b64 v75, v[38:39]
.LBB148_127:                            ;   in Loop: Header=BB148_3 Depth=1
	s_or_b32 exec_lo, exec_lo, s70
.LBB148_128:                            ;   in Loop: Header=BB148_3 Depth=1
	s_and_not1_saveexec_b32 s6, s8
	s_cbranch_execz .LBB148_130
; %bb.129:                              ;   in Loop: Header=BB148_3 Depth=1
	v_lshl_add_u64 v[36:37], v[16:17], 3, v[30:31]
	flat_load_b64 v[36:37], v[36:37]
	s_wait_loadcnt_dscnt 0x0
	v_pk_add_f32 v[36:37], v[36:37], 0 neg_lo:[1,1] neg_hi:[1,1]
	ds_store_b64 v75, v[36:37]
.LBB148_130:                            ;   in Loop: Header=BB148_3 Depth=1
	s_or_b32 exec_lo, exec_lo, s6
.LBB148_131:                            ;   in Loop: Header=BB148_3 Depth=1
	s_delay_alu instid0(SALU_CYCLE_1)
	s_and_not1_b32 vcc_lo, exec_lo, s104
	s_wait_storecnt 0x0
	s_wait_loadcnt_dscnt 0x0
	s_barrier_signal -1
	s_barrier_wait -1
	s_cbranch_vccnz .LBB148_991
; %bb.132:                              ;   in Loop: Header=BB148_3 Depth=1
	s_and_saveexec_b32 s6, s14
	s_cbranch_execz .LBB148_134
; %bb.133:                              ;   in Loop: Header=BB148_3 Depth=1
	v_add_nc_u32_e64 v36, 0x1f0, 0
	ds_load_b64 v[40:41], v5 offset:32760
	ds_load_2addr_stride64_b64 v[36:39], v36 offset0:62 offset1:63
	s_wait_dscnt 0x0
	v_dual_mul_f32 v79, v41, v37 :: v_dual_mul_f32 v80, v40, v37
	s_delay_alu instid0(VALU_DEP_1) | instskip(NEXT) | instid1(VALU_DEP_1)
	v_xor_b32_e32 v82, 0x80000000, v79
	v_dual_fmac_f32 v80, v41, v36 :: v_dual_fmac_f32 v82, v40, v36
	s_delay_alu instid0(VALU_DEP_1) | instskip(NEXT) | instid1(VALU_DEP_1)
	v_pk_mul_f32 v[36:37], v[80:81], v[38:39] op_sel:[0,1] op_sel_hi:[0,0]
	v_pk_fma_f32 v[40:41], v[82:83], v[38:39], v[36:37] op_sel_hi:[0,1,1]
	v_pk_fma_f32 v[36:37], v[82:83], v[38:39], v[36:37] neg_lo:[0,0,1] neg_hi:[0,0,1]
	s_delay_alu instid0(VALU_DEP_2)
	v_mov_b32_e32 v37, v41
	ds_store_b64 v5, v[36:37] offset:32752
.LBB148_134:                            ;   in Loop: Header=BB148_3 Depth=1
	s_or_b32 exec_lo, exec_lo, s6
	v_dual_mov_b32 v36, 0 :: v_dual_mov_b32 v37, 0
	s_wait_dscnt 0x0
	s_barrier_signal -1
	s_barrier_wait -1
	global_wb scope:SCOPE_DEV
	s_wait_storecnt 0x0
	global_inv scope:SCOPE_DEV
	s_and_saveexec_b32 s6, s1
	s_cbranch_execz .LBB148_138
; %bb.135:                              ;   in Loop: Header=BB148_3 Depth=1
	ds_load_b64 v[36:37], v43 offset:32224
	ds_load_b64 v[38:39], v44 offset:32752
	s_wait_dscnt 0x0
	v_pk_mul_f32 v[40:41], v[38:39], v[36:37] op_sel:[1,1] op_sel_hi:[0,1]
	s_delay_alu instid0(VALU_DEP_1) | instskip(SKIP_1) | instid1(VALU_DEP_2)
	v_pk_fma_f32 v[80:81], v[38:39], v[36:37], v[40:41] op_sel_hi:[1,0,1]
	v_pk_fma_f32 v[36:37], v[38:39], v[36:37], v[40:41] neg_lo:[0,0,1] neg_hi:[0,0,1]
	v_mov_b32_e32 v37, v81
	s_delay_alu instid0(VALU_DEP_1)
	v_pk_add_f32 v[36:37], v[36:37], 0 op_sel_hi:[1,0]
	s_and_saveexec_b32 s8, s15
	s_cbranch_execz .LBB148_137
; %bb.136:                              ;   in Loop: Header=BB148_3 Depth=1
	ds_load_b64 v[38:39], v45 offset:32736
	ds_load_b64 v[40:41], v5 offset:32760
	s_wait_dscnt 0x0
	v_pk_mul_f32 v[80:81], v[40:41], v[38:39] op_sel:[1,1] op_sel_hi:[0,1]
	s_delay_alu instid0(VALU_DEP_1) | instskip(SKIP_1) | instid1(VALU_DEP_2)
	v_pk_fma_f32 v[82:83], v[40:41], v[38:39], v[80:81] op_sel_hi:[1,0,1]
	v_pk_fma_f32 v[38:39], v[40:41], v[38:39], v[80:81] neg_lo:[0,0,1] neg_hi:[0,0,1]
	v_mov_b32_e32 v39, v83
	s_delay_alu instid0(VALU_DEP_1)
	v_pk_add_f32 v[36:37], v[36:37], v[38:39]
.LBB148_137:                            ;   in Loop: Header=BB148_3 Depth=1
	s_or_b32 exec_lo, exec_lo, s8
.LBB148_138:                            ;   in Loop: Header=BB148_3 Depth=1
	s_delay_alu instid0(SALU_CYCLE_1)
	s_or_b32 exec_lo, exec_lo, s6
	s_and_saveexec_b32 s6, vcc_hi
	s_cbranch_execz .LBB148_140
; %bb.139:                              ;   in Loop: Header=BB148_3 Depth=1
	ds_load_b64 v[38:39], v5 offset:31720
	s_wait_dscnt 0x0
	v_pk_mul_f32 v[40:41], v[36:37], v[38:39] op_sel:[1,1] op_sel_hi:[1,0]
	s_delay_alu instid0(VALU_DEP_1) | instskip(SKIP_1) | instid1(VALU_DEP_2)
	v_pk_fma_f32 v[80:81], v[36:37], v[38:39], v[40:41] op_sel_hi:[0,1,1]
	v_pk_fma_f32 v[36:37], v[36:37], v[38:39], v[40:41] neg_lo:[0,0,1] neg_hi:[0,0,1]
	v_mov_b32_e32 v37, v81
	s_delay_alu instid0(VALU_DEP_1)
	v_pk_add_f32 v[38:39], v[36:37], 0 neg_lo:[1,1] neg_hi:[1,1]
	ds_store_b64 v3, v[38:39]
.LBB148_140:                            ;   in Loop: Header=BB148_3 Depth=1
	s_or_b32 exec_lo, exec_lo, s6
	s_wait_loadcnt_dscnt 0x0
	s_barrier_signal -1
	s_barrier_wait -1
	s_and_saveexec_b32 s6, s43
	s_cbranch_execz .LBB148_142
; %bb.141:                              ;   in Loop: Header=BB148_3 Depth=1
	ds_load_b64 v[38:39], v5 offset:31712
	ds_load_b64 v[40:41], v3
	s_wait_dscnt 0x0
	v_pk_mul_f32 v[80:81], v[40:41], v[38:39] op_sel:[1,1] op_sel_hi:[0,1]
	s_delay_alu instid0(VALU_DEP_1) | instskip(SKIP_1) | instid1(VALU_DEP_2)
	v_pk_fma_f32 v[82:83], v[40:41], v[38:39], v[80:81] op_sel_hi:[1,0,1]
	v_pk_fma_f32 v[38:39], v[40:41], v[38:39], v[80:81] neg_lo:[0,0,1] neg_hi:[0,0,1]
	v_mov_b32_e32 v39, v83
	s_delay_alu instid0(VALU_DEP_1)
	v_pk_add_f32 v[36:37], v[36:37], v[38:39] neg_lo:[0,1] neg_hi:[0,1]
.LBB148_142:                            ;   in Loop: Header=BB148_3 Depth=1
	s_or_b32 exec_lo, exec_lo, s6
	s_barrier_signal -1
	s_barrier_wait -1
	s_and_saveexec_b32 s6, s43
	s_cbranch_execz .LBB148_144
; %bb.143:                              ;   in Loop: Header=BB148_3 Depth=1
	ds_load_b64 v[38:39], v5 offset:31200
	s_wait_dscnt 0x0
	v_pk_mul_f32 v[40:41], v[36:37], v[38:39] op_sel:[1,1] op_sel_hi:[1,0]
	s_delay_alu instid0(VALU_DEP_1) | instskip(SKIP_1) | instid1(VALU_DEP_2)
	v_pk_fma_f32 v[80:81], v[36:37], v[38:39], v[40:41] op_sel_hi:[0,1,1]
	v_pk_fma_f32 v[36:37], v[36:37], v[38:39], v[40:41] neg_lo:[0,0,1] neg_hi:[0,0,1]
	v_mov_b32_e32 v37, v81
	s_delay_alu instid0(VALU_DEP_1)
	v_pk_add_f32 v[38:39], v[36:37], 0 neg_lo:[1,1] neg_hi:[1,1]
	ds_store_b64 v3, v[38:39]
.LBB148_144:                            ;   in Loop: Header=BB148_3 Depth=1
	s_or_b32 exec_lo, exec_lo, s6
	s_wait_dscnt 0x0
	s_barrier_signal -1
	s_barrier_wait -1
	s_barrier_signal -1
	s_barrier_wait -1
	s_and_saveexec_b32 s6, s1
; %bb.145:                              ;   in Loop: Header=BB148_3 Depth=1
	ds_store_b64 v46, v[36:37] offset:32736
; %bb.146:                              ;   in Loop: Header=BB148_3 Depth=1
	s_or_b32 exec_lo, exec_lo, s6
	s_wait_dscnt 0x0
	s_barrier_signal -1
	s_barrier_wait -1
	s_barrier_signal -1
	s_barrier_wait -1
	s_and_saveexec_b32 s6, s14
	s_cbranch_execz .LBB148_148
; %bb.147:                              ;   in Loop: Header=BB148_3 Depth=1
	v_add_nc_u32_e64 v36, 0x1e0, 0
	ds_load_b64 v[40:41], v5 offset:31720
	ds_load_2addr_stride64_b64 v[36:39], v36 offset0:60 offset1:61
	s_wait_dscnt 0x0
	v_dual_mul_f32 v79, v41, v37 :: v_dual_mul_f32 v80, v40, v37
	s_delay_alu instid0(VALU_DEP_1) | instskip(NEXT) | instid1(VALU_DEP_1)
	v_xor_b32_e32 v82, 0x80000000, v79
	v_dual_fmac_f32 v80, v41, v36 :: v_dual_fmac_f32 v82, v40, v36
	s_delay_alu instid0(VALU_DEP_1) | instskip(NEXT) | instid1(VALU_DEP_1)
	v_pk_mul_f32 v[36:37], v[80:81], v[38:39] op_sel:[0,1] op_sel_hi:[0,0]
	v_pk_fma_f32 v[40:41], v[82:83], v[38:39], v[36:37] op_sel_hi:[0,1,1]
	v_pk_fma_f32 v[36:37], v[82:83], v[38:39], v[36:37] neg_lo:[0,0,1] neg_hi:[0,0,1]
	s_delay_alu instid0(VALU_DEP_2)
	v_mov_b32_e32 v37, v41
	ds_store_b64 v5, v[36:37] offset:31712
.LBB148_148:                            ;   in Loop: Header=BB148_3 Depth=1
	s_or_b32 exec_lo, exec_lo, s6
	v_mov_b64_e32 v[36:37], 0
	s_wait_dscnt 0x0
	s_barrier_signal -1
	s_barrier_wait -1
	global_wb scope:SCOPE_DEV
	s_wait_storecnt 0x0
	global_inv scope:SCOPE_DEV
	s_and_saveexec_b32 s8, s2
	s_cbranch_execz .LBB148_154
; %bb.149:                              ;   in Loop: Header=BB148_3 Depth=1
	ds_load_b64 v[36:37], v48 offset:31168
	ds_load_b64 v[38:39], v49 offset:32736
	s_wait_dscnt 0x0
	v_dual_mul_f32 v40, v39, v37 :: v_dual_mul_f32 v37, v38, v37
	s_delay_alu instid0(VALU_DEP_1) | instskip(NEXT) | instid1(VALU_DEP_1)
	v_dual_fma_f32 v38, v38, v36, -v40 :: v_dual_fmac_f32 v37, v39, v36
	v_dual_add_f32 v36, 0, v38 :: v_dual_add_f32 v37, 0, v37
	s_and_saveexec_b32 s6, s16
	s_cbranch_execnz .LBB148_1048
; %bb.150:                              ;   in Loop: Header=BB148_3 Depth=1
	s_or_b32 exec_lo, exec_lo, s6
	s_and_saveexec_b32 s6, s17
	s_cbranch_execnz .LBB148_1049
.LBB148_151:                            ;   in Loop: Header=BB148_3 Depth=1
	s_or_b32 exec_lo, exec_lo, s6
	s_and_saveexec_b32 s6, s1
	s_cbranch_execz .LBB148_153
.LBB148_152:                            ;   in Loop: Header=BB148_3 Depth=1
	ds_load_b64 v[38:39], v45 offset:32704
	ds_load_b64 v[40:41], v5 offset:32760
	s_wait_dscnt 0x0
	v_dual_mul_f32 v79, v41, v39 :: v_dual_mul_f32 v39, v40, v39
	s_delay_alu instid0(VALU_DEP_1) | instskip(NEXT) | instid1(VALU_DEP_1)
	v_fmac_f32_e32 v39, v41, v38
	v_dual_fma_f32 v40, v40, v38, -v79 :: v_dual_add_f32 v37, v37, v39
	s_delay_alu instid0(VALU_DEP_1)
	v_add_f32_e32 v36, v36, v40
.LBB148_153:                            ;   in Loop: Header=BB148_3 Depth=1
	s_or_b32 exec_lo, exec_lo, s6
.LBB148_154:                            ;   in Loop: Header=BB148_3 Depth=1
	s_delay_alu instid0(SALU_CYCLE_1)
	s_or_b32 exec_lo, exec_lo, s8
	s_and_saveexec_b32 s6, s44
	s_cbranch_execz .LBB148_156
; %bb.155:                              ;   in Loop: Header=BB148_3 Depth=1
	ds_load_b64 v[38:39], v5 offset:30680
	s_wait_dscnt 0x0
	v_dual_mul_f32 v40, v37, v38 :: v_dual_mul_f32 v80, v37, v39
	s_delay_alu instid0(VALU_DEP_1) | instskip(NEXT) | instid1(VALU_DEP_2)
	v_pk_fma_f32 v[40:41], v[36:37], v[38:39], v[40:41] op_sel:[1,0,0] op_sel_hi:[0,1,0]
	v_pk_fma_f32 v[36:37], v[36:37], v[38:39], v[80:81] op_sel_hi:[1,1,0] neg_lo:[0,0,1] neg_hi:[0,0,1]
	s_delay_alu instid0(VALU_DEP_2) | instskip(NEXT) | instid1(VALU_DEP_1)
	v_mov_b32_e32 v37, v41
	v_pk_add_f32 v[38:39], v[36:37], 0 neg_lo:[1,1] neg_hi:[1,1]
	ds_store_b64 v47, v[38:39]
.LBB148_156:                            ;   in Loop: Header=BB148_3 Depth=1
	s_or_b32 exec_lo, exec_lo, s6
	s_wait_loadcnt_dscnt 0x0
	s_barrier_signal -1
	s_barrier_wait -1
	s_and_saveexec_b32 s6, s45
	s_cbranch_execz .LBB148_158
; %bb.157:                              ;   in Loop: Header=BB148_3 Depth=1
	ds_load_b64 v[38:39], v48 offset:30656
	ds_load_b64 v[40:41], v47
	s_wait_dscnt 0x0
	v_pk_mul_f32 v[80:81], v[40:41], v[38:39] op_sel:[1,1] op_sel_hi:[0,1]
	s_delay_alu instid0(VALU_DEP_1) | instskip(SKIP_1) | instid1(VALU_DEP_2)
	v_pk_fma_f32 v[82:83], v[40:41], v[38:39], v[80:81] op_sel_hi:[1,0,1]
	v_pk_fma_f32 v[38:39], v[40:41], v[38:39], v[80:81] neg_lo:[0,0,1] neg_hi:[0,0,1]
	v_mov_b32_e32 v39, v83
	s_delay_alu instid0(VALU_DEP_1)
	v_pk_add_f32 v[36:37], v[36:37], v[38:39] neg_lo:[0,1] neg_hi:[0,1]
.LBB148_158:                            ;   in Loop: Header=BB148_3 Depth=1
	s_or_b32 exec_lo, exec_lo, s6
	s_barrier_signal -1
	s_barrier_wait -1
	s_and_saveexec_b32 s6, s46
	s_cbranch_execz .LBB148_160
; %bb.159:                              ;   in Loop: Header=BB148_3 Depth=1
	ds_load_b64 v[38:39], v5 offset:30160
	s_wait_dscnt 0x0
	v_pk_mul_f32 v[40:41], v[36:37], v[38:39] op_sel:[1,1] op_sel_hi:[1,0]
	s_delay_alu instid0(VALU_DEP_1) | instskip(SKIP_1) | instid1(VALU_DEP_2)
	v_pk_fma_f32 v[80:81], v[36:37], v[38:39], v[40:41] op_sel_hi:[0,1,1]
	v_pk_fma_f32 v[36:37], v[36:37], v[38:39], v[40:41] neg_lo:[0,0,1] neg_hi:[0,0,1]
	v_mov_b32_e32 v37, v81
	s_delay_alu instid0(VALU_DEP_1)
	v_pk_add_f32 v[38:39], v[36:37], 0 neg_lo:[1,1] neg_hi:[1,1]
	ds_store_b64 v47, v[38:39]
.LBB148_160:                            ;   in Loop: Header=BB148_3 Depth=1
	s_or_b32 exec_lo, exec_lo, s6
	s_wait_dscnt 0x0
	s_barrier_signal -1
	s_barrier_wait -1
	s_and_saveexec_b32 s6, s47
	s_cbranch_execz .LBB148_162
; %bb.161:                              ;   in Loop: Header=BB148_3 Depth=1
	ds_load_b64 v[38:39], v48 offset:30144
	ds_load_b64 v[40:41], v47
	s_wait_dscnt 0x0
	v_pk_mul_f32 v[80:81], v[40:41], v[38:39] op_sel:[1,1] op_sel_hi:[0,1]
	s_delay_alu instid0(VALU_DEP_1) | instskip(SKIP_1) | instid1(VALU_DEP_2)
	v_pk_fma_f32 v[82:83], v[40:41], v[38:39], v[80:81] op_sel_hi:[1,0,1]
	v_pk_fma_f32 v[38:39], v[40:41], v[38:39], v[80:81] neg_lo:[0,0,1] neg_hi:[0,0,1]
	v_mov_b32_e32 v39, v83
	s_delay_alu instid0(VALU_DEP_1)
	v_pk_add_f32 v[36:37], v[36:37], v[38:39] neg_lo:[0,1] neg_hi:[0,1]
.LBB148_162:                            ;   in Loop: Header=BB148_3 Depth=1
	s_or_b32 exec_lo, exec_lo, s6
	s_barrier_signal -1
	s_barrier_wait -1
	s_and_saveexec_b32 s6, s48
	s_cbranch_execz .LBB148_164
; %bb.163:                              ;   in Loop: Header=BB148_3 Depth=1
	ds_load_b64 v[38:39], v5 offset:29640
	s_wait_dscnt 0x0
	v_pk_mul_f32 v[40:41], v[36:37], v[38:39] op_sel:[1,1] op_sel_hi:[1,0]
	s_delay_alu instid0(VALU_DEP_1) | instskip(SKIP_1) | instid1(VALU_DEP_2)
	v_pk_fma_f32 v[80:81], v[36:37], v[38:39], v[40:41] op_sel_hi:[0,1,1]
	v_pk_fma_f32 v[36:37], v[36:37], v[38:39], v[40:41] neg_lo:[0,0,1] neg_hi:[0,0,1]
	v_mov_b32_e32 v37, v81
	s_delay_alu instid0(VALU_DEP_1)
	v_pk_add_f32 v[38:39], v[36:37], 0 neg_lo:[1,1] neg_hi:[1,1]
	ds_store_b64 v47, v[38:39]
.LBB148_164:                            ;   in Loop: Header=BB148_3 Depth=1
	s_or_b32 exec_lo, exec_lo, s6
	s_wait_dscnt 0x0
	;; [unrolled: 35-line block ×3, first 2 shown]
	s_barrier_signal -1
	s_barrier_wait -1
	s_barrier_signal -1
	s_barrier_wait -1
	s_and_saveexec_b32 s6, s2
; %bb.169:                              ;   in Loop: Header=BB148_3 Depth=1
	ds_store_b64 v50, v[36:37] offset:32704
; %bb.170:                              ;   in Loop: Header=BB148_3 Depth=1
	s_or_b32 exec_lo, exec_lo, s6
	s_wait_dscnt 0x0
	s_barrier_signal -1
	s_barrier_wait -1
	s_barrier_signal -1
	s_barrier_wait -1
	s_and_saveexec_b32 s6, s14
	s_cbranch_execz .LBB148_172
; %bb.171:                              ;   in Loop: Header=BB148_3 Depth=1
	v_add_nc_u32_e64 v36, 0x1d0, 0
	ds_load_b64 v[40:41], v5 offset:30680
	ds_load_2addr_stride64_b64 v[36:39], v36 offset0:58 offset1:59
	s_wait_dscnt 0x0
	v_dual_mul_f32 v79, v41, v37 :: v_dual_mul_f32 v80, v40, v37
	s_delay_alu instid0(VALU_DEP_1) | instskip(NEXT) | instid1(VALU_DEP_1)
	v_xor_b32_e32 v82, 0x80000000, v79
	v_dual_fmac_f32 v80, v41, v36 :: v_dual_fmac_f32 v82, v40, v36
	s_delay_alu instid0(VALU_DEP_1) | instskip(NEXT) | instid1(VALU_DEP_1)
	v_pk_mul_f32 v[36:37], v[80:81], v[38:39] op_sel:[0,1] op_sel_hi:[0,0]
	v_pk_fma_f32 v[40:41], v[82:83], v[38:39], v[36:37] op_sel_hi:[0,1,1]
	v_pk_fma_f32 v[36:37], v[82:83], v[38:39], v[36:37] neg_lo:[0,0,1] neg_hi:[0,0,1]
	s_delay_alu instid0(VALU_DEP_2)
	v_mov_b32_e32 v37, v41
	ds_store_b64 v5, v[36:37] offset:30672
.LBB148_172:                            ;   in Loop: Header=BB148_3 Depth=1
	s_or_b32 exec_lo, exec_lo, s6
	v_dual_mov_b32 v36, 0 :: v_dual_mov_b32 v37, 0
	s_wait_dscnt 0x0
	s_barrier_signal -1
	s_barrier_wait -1
	global_wb scope:SCOPE_DEV
	s_wait_storecnt 0x0
	global_inv scope:SCOPE_DEV
	s_and_saveexec_b32 s6, s1
	s_cbranch_execz .LBB148_176
; %bb.173:                              ;   in Loop: Header=BB148_3 Depth=1
	ds_load_b64 v[36:37], v43 offset:30144
	ds_load_b64 v[38:39], v44 offset:30672
	s_wait_dscnt 0x0
	v_pk_mul_f32 v[40:41], v[38:39], v[36:37] op_sel:[1,1] op_sel_hi:[0,1]
	s_delay_alu instid0(VALU_DEP_1) | instskip(SKIP_1) | instid1(VALU_DEP_2)
	v_pk_fma_f32 v[80:81], v[38:39], v[36:37], v[40:41] op_sel_hi:[1,0,1]
	v_pk_fma_f32 v[36:37], v[38:39], v[36:37], v[40:41] neg_lo:[0,0,1] neg_hi:[0,0,1]
	v_mov_b32_e32 v37, v81
	s_delay_alu instid0(VALU_DEP_1)
	v_pk_add_f32 v[36:37], v[36:37], 0 op_sel_hi:[1,0]
	s_and_saveexec_b32 s8, s15
	s_cbranch_execz .LBB148_175
; %bb.174:                              ;   in Loop: Header=BB148_3 Depth=1
	ds_load_b64 v[38:39], v45 offset:30656
	ds_load_b64 v[40:41], v5 offset:30680
	s_wait_dscnt 0x0
	v_pk_mul_f32 v[80:81], v[40:41], v[38:39] op_sel:[1,1] op_sel_hi:[0,1]
	s_delay_alu instid0(VALU_DEP_1) | instskip(SKIP_1) | instid1(VALU_DEP_2)
	v_pk_fma_f32 v[82:83], v[40:41], v[38:39], v[80:81] op_sel_hi:[1,0,1]
	v_pk_fma_f32 v[38:39], v[40:41], v[38:39], v[80:81] neg_lo:[0,0,1] neg_hi:[0,0,1]
	v_mov_b32_e32 v39, v83
	s_delay_alu instid0(VALU_DEP_1)
	v_pk_add_f32 v[36:37], v[36:37], v[38:39]
.LBB148_175:                            ;   in Loop: Header=BB148_3 Depth=1
	s_or_b32 exec_lo, exec_lo, s8
.LBB148_176:                            ;   in Loop: Header=BB148_3 Depth=1
	s_delay_alu instid0(SALU_CYCLE_1)
	s_or_b32 exec_lo, exec_lo, s6
	s_and_saveexec_b32 s6, vcc_hi
	s_cbranch_execz .LBB148_178
; %bb.177:                              ;   in Loop: Header=BB148_3 Depth=1
	ds_load_b64 v[38:39], v5 offset:29640
	s_wait_dscnt 0x0
	v_pk_mul_f32 v[40:41], v[36:37], v[38:39] op_sel:[1,1] op_sel_hi:[1,0]
	s_delay_alu instid0(VALU_DEP_1) | instskip(SKIP_1) | instid1(VALU_DEP_2)
	v_pk_fma_f32 v[80:81], v[36:37], v[38:39], v[40:41] op_sel_hi:[0,1,1]
	v_pk_fma_f32 v[36:37], v[36:37], v[38:39], v[40:41] neg_lo:[0,0,1] neg_hi:[0,0,1]
	v_mov_b32_e32 v37, v81
	s_delay_alu instid0(VALU_DEP_1)
	v_pk_add_f32 v[38:39], v[36:37], 0 neg_lo:[1,1] neg_hi:[1,1]
	ds_store_b64 v3, v[38:39]
.LBB148_178:                            ;   in Loop: Header=BB148_3 Depth=1
	s_or_b32 exec_lo, exec_lo, s6
	s_wait_loadcnt_dscnt 0x0
	s_barrier_signal -1
	s_barrier_wait -1
	s_and_saveexec_b32 s6, s43
	s_cbranch_execz .LBB148_180
; %bb.179:                              ;   in Loop: Header=BB148_3 Depth=1
	ds_load_b64 v[38:39], v5 offset:29632
	ds_load_b64 v[40:41], v3
	s_wait_dscnt 0x0
	v_pk_mul_f32 v[80:81], v[40:41], v[38:39] op_sel:[1,1] op_sel_hi:[0,1]
	s_delay_alu instid0(VALU_DEP_1) | instskip(SKIP_1) | instid1(VALU_DEP_2)
	v_pk_fma_f32 v[82:83], v[40:41], v[38:39], v[80:81] op_sel_hi:[1,0,1]
	v_pk_fma_f32 v[38:39], v[40:41], v[38:39], v[80:81] neg_lo:[0,0,1] neg_hi:[0,0,1]
	v_mov_b32_e32 v39, v83
	s_delay_alu instid0(VALU_DEP_1)
	v_pk_add_f32 v[36:37], v[36:37], v[38:39] neg_lo:[0,1] neg_hi:[0,1]
.LBB148_180:                            ;   in Loop: Header=BB148_3 Depth=1
	s_or_b32 exec_lo, exec_lo, s6
	s_barrier_signal -1
	s_barrier_wait -1
	s_and_saveexec_b32 s6, s43
	s_cbranch_execz .LBB148_182
; %bb.181:                              ;   in Loop: Header=BB148_3 Depth=1
	ds_load_b64 v[38:39], v5 offset:29120
	s_wait_dscnt 0x0
	v_pk_mul_f32 v[40:41], v[36:37], v[38:39] op_sel:[1,1] op_sel_hi:[1,0]
	s_delay_alu instid0(VALU_DEP_1) | instskip(SKIP_1) | instid1(VALU_DEP_2)
	v_pk_fma_f32 v[80:81], v[36:37], v[38:39], v[40:41] op_sel_hi:[0,1,1]
	v_pk_fma_f32 v[36:37], v[36:37], v[38:39], v[40:41] neg_lo:[0,0,1] neg_hi:[0,0,1]
	v_mov_b32_e32 v37, v81
	s_delay_alu instid0(VALU_DEP_1)
	v_pk_add_f32 v[38:39], v[36:37], 0 neg_lo:[1,1] neg_hi:[1,1]
	ds_store_b64 v3, v[38:39]
.LBB148_182:                            ;   in Loop: Header=BB148_3 Depth=1
	s_or_b32 exec_lo, exec_lo, s6
	s_wait_dscnt 0x0
	s_barrier_signal -1
	s_barrier_wait -1
	s_barrier_signal -1
	s_barrier_wait -1
	s_and_saveexec_b32 s6, s1
; %bb.183:                              ;   in Loop: Header=BB148_3 Depth=1
	ds_store_b64 v46, v[36:37] offset:30656
; %bb.184:                              ;   in Loop: Header=BB148_3 Depth=1
	s_or_b32 exec_lo, exec_lo, s6
	s_wait_dscnt 0x0
	s_barrier_signal -1
	s_barrier_wait -1
	s_barrier_signal -1
	s_barrier_wait -1
	s_and_saveexec_b32 s6, s14
	s_cbranch_execz .LBB148_186
; %bb.185:                              ;   in Loop: Header=BB148_3 Depth=1
	v_add_nc_u32_e64 v36, 0x1c0, 0
	ds_load_b64 v[40:41], v5 offset:29640
	ds_load_2addr_stride64_b64 v[36:39], v36 offset0:56 offset1:57
	s_wait_dscnt 0x0
	v_dual_mul_f32 v79, v41, v37 :: v_dual_mul_f32 v80, v40, v37
	s_delay_alu instid0(VALU_DEP_1) | instskip(NEXT) | instid1(VALU_DEP_1)
	v_xor_b32_e32 v82, 0x80000000, v79
	v_dual_fmac_f32 v80, v41, v36 :: v_dual_fmac_f32 v82, v40, v36
	s_delay_alu instid0(VALU_DEP_1) | instskip(NEXT) | instid1(VALU_DEP_1)
	v_pk_mul_f32 v[36:37], v[80:81], v[38:39] op_sel:[0,1] op_sel_hi:[0,0]
	v_pk_fma_f32 v[40:41], v[82:83], v[38:39], v[36:37] op_sel_hi:[0,1,1]
	v_pk_fma_f32 v[36:37], v[82:83], v[38:39], v[36:37] neg_lo:[0,0,1] neg_hi:[0,0,1]
	s_delay_alu instid0(VALU_DEP_2)
	v_mov_b32_e32 v37, v41
	ds_store_b64 v5, v[36:37] offset:29632
.LBB148_186:                            ;   in Loop: Header=BB148_3 Depth=1
	s_or_b32 exec_lo, exec_lo, s6
	v_mov_b64_e32 v[36:37], 0
	s_wait_dscnt 0x0
	s_barrier_signal -1
	s_barrier_wait -1
	global_wb scope:SCOPE_DEV
	s_wait_storecnt 0x0
	global_inv scope:SCOPE_DEV
	s_and_saveexec_b32 s8, s3
	s_cbranch_execz .LBB148_196
; %bb.187:                              ;   in Loop: Header=BB148_3 Depth=1
	ds_load_b64 v[36:37], v52 offset:29056
	ds_load_b64 v[38:39], v53 offset:32704
	s_wait_dscnt 0x0
	v_dual_mul_f32 v40, v39, v37 :: v_dual_mul_f32 v37, v38, v37
	s_delay_alu instid0(VALU_DEP_1) | instskip(NEXT) | instid1(VALU_DEP_1)
	v_dual_fma_f32 v38, v38, v36, -v40 :: v_dual_fmac_f32 v37, v39, v36
	v_dual_add_f32 v36, 0, v38 :: v_dual_add_f32 v37, 0, v37
	s_and_saveexec_b32 s6, s18
	s_cbranch_execnz .LBB148_1050
; %bb.188:                              ;   in Loop: Header=BB148_3 Depth=1
	s_or_b32 exec_lo, exec_lo, s6
	s_and_saveexec_b32 s6, s19
	s_cbranch_execnz .LBB148_1051
.LBB148_189:                            ;   in Loop: Header=BB148_3 Depth=1
	s_or_b32 exec_lo, exec_lo, s6
	s_and_saveexec_b32 s6, s20
	s_cbranch_execnz .LBB148_1052
.LBB148_190:                            ;   in Loop: Header=BB148_3 Depth=1
	s_or_b32 exec_lo, exec_lo, s6
	s_and_saveexec_b32 s6, s21
	s_cbranch_execnz .LBB148_1053
.LBB148_191:                            ;   in Loop: Header=BB148_3 Depth=1
	s_or_b32 exec_lo, exec_lo, s6
	s_and_saveexec_b32 s6, s22
	s_cbranch_execnz .LBB148_1054
.LBB148_192:                            ;   in Loop: Header=BB148_3 Depth=1
	s_or_b32 exec_lo, exec_lo, s6
	s_and_saveexec_b32 s6, s2
	s_cbranch_execnz .LBB148_1055
.LBB148_193:                            ;   in Loop: Header=BB148_3 Depth=1
	s_or_b32 exec_lo, exec_lo, s6
	s_and_saveexec_b32 s6, s17
	s_cbranch_execz .LBB148_195
.LBB148_194:                            ;   in Loop: Header=BB148_3 Depth=1
	ds_load_b64 v[38:39], v45 offset:32640
	ds_load_b64 v[40:41], v5 offset:32760
	s_wait_dscnt 0x0
	v_dual_mul_f32 v79, v41, v39 :: v_dual_mul_f32 v81, v40, v39
	s_delay_alu instid0(VALU_DEP_1) | instskip(NEXT) | instid1(VALU_DEP_1)
	v_dual_fma_f32 v80, v40, v38, -v79 :: v_dual_fmac_f32 v81, v41, v38
	v_pk_add_f32 v[36:37], v[36:37], v[80:81]
.LBB148_195:                            ;   in Loop: Header=BB148_3 Depth=1
	s_or_b32 exec_lo, exec_lo, s6
.LBB148_196:                            ;   in Loop: Header=BB148_3 Depth=1
	s_delay_alu instid0(SALU_CYCLE_1)
	s_or_b32 exec_lo, exec_lo, s8
	s_and_saveexec_b32 s6, s50
	s_cbranch_execz .LBB148_198
; %bb.197:                              ;   in Loop: Header=BB148_3 Depth=1
	ds_load_b64 v[38:39], v5 offset:28600
	s_wait_dscnt 0x0
	v_pk_mul_f32 v[40:41], v[36:37], v[38:39] op_sel:[1,1] op_sel_hi:[1,0]
	s_delay_alu instid0(VALU_DEP_1) | instskip(SKIP_1) | instid1(VALU_DEP_2)
	v_pk_fma_f32 v[80:81], v[36:37], v[38:39], v[40:41] op_sel_hi:[0,1,1]
	v_pk_fma_f32 v[36:37], v[36:37], v[38:39], v[40:41] neg_lo:[0,0,1] neg_hi:[0,0,1]
	v_mov_b32_e32 v37, v81
	s_delay_alu instid0(VALU_DEP_1)
	v_pk_add_f32 v[38:39], v[36:37], 0 neg_lo:[1,1] neg_hi:[1,1]
	ds_store_b64 v51, v[38:39]
.LBB148_198:                            ;   in Loop: Header=BB148_3 Depth=1
	s_or_b32 exec_lo, exec_lo, s6
	s_wait_loadcnt_dscnt 0x0
	s_barrier_signal -1
	s_barrier_wait -1
	s_and_saveexec_b32 s6, s51
	s_cbranch_execz .LBB148_200
; %bb.199:                              ;   in Loop: Header=BB148_3 Depth=1
	ds_load_b64 v[38:39], v52 offset:28544
	ds_load_b64 v[40:41], v51
	s_wait_dscnt 0x0
	v_pk_mul_f32 v[80:81], v[40:41], v[38:39] op_sel:[1,1] op_sel_hi:[0,1]
	s_delay_alu instid0(VALU_DEP_1) | instskip(SKIP_1) | instid1(VALU_DEP_2)
	v_pk_fma_f32 v[82:83], v[40:41], v[38:39], v[80:81] op_sel_hi:[1,0,1]
	v_pk_fma_f32 v[38:39], v[40:41], v[38:39], v[80:81] neg_lo:[0,0,1] neg_hi:[0,0,1]
	v_mov_b32_e32 v39, v83
	s_delay_alu instid0(VALU_DEP_1)
	v_pk_add_f32 v[36:37], v[36:37], v[38:39] neg_lo:[0,1] neg_hi:[0,1]
.LBB148_200:                            ;   in Loop: Header=BB148_3 Depth=1
	s_or_b32 exec_lo, exec_lo, s6
	s_barrier_signal -1
	s_barrier_wait -1
	s_and_saveexec_b32 s6, s52
	s_cbranch_execz .LBB148_202
; %bb.201:                              ;   in Loop: Header=BB148_3 Depth=1
	ds_load_b64 v[38:39], v5 offset:28080
	s_wait_dscnt 0x0
	v_pk_mul_f32 v[40:41], v[36:37], v[38:39] op_sel:[1,1] op_sel_hi:[1,0]
	s_delay_alu instid0(VALU_DEP_1) | instskip(SKIP_1) | instid1(VALU_DEP_2)
	v_pk_fma_f32 v[80:81], v[36:37], v[38:39], v[40:41] op_sel_hi:[0,1,1]
	v_pk_fma_f32 v[36:37], v[36:37], v[38:39], v[40:41] neg_lo:[0,0,1] neg_hi:[0,0,1]
	v_mov_b32_e32 v37, v81
	s_delay_alu instid0(VALU_DEP_1)
	v_pk_add_f32 v[38:39], v[36:37], 0 neg_lo:[1,1] neg_hi:[1,1]
	ds_store_b64 v51, v[38:39]
.LBB148_202:                            ;   in Loop: Header=BB148_3 Depth=1
	s_or_b32 exec_lo, exec_lo, s6
	s_wait_dscnt 0x0
	s_barrier_signal -1
	s_barrier_wait -1
	s_and_saveexec_b32 s6, s53
	s_cbranch_execz .LBB148_204
; %bb.203:                              ;   in Loop: Header=BB148_3 Depth=1
	ds_load_b64 v[38:39], v52 offset:28032
	ds_load_b64 v[40:41], v51
	s_wait_dscnt 0x0
	v_pk_mul_f32 v[80:81], v[40:41], v[38:39] op_sel:[1,1] op_sel_hi:[0,1]
	s_delay_alu instid0(VALU_DEP_1) | instskip(SKIP_1) | instid1(VALU_DEP_2)
	v_pk_fma_f32 v[82:83], v[40:41], v[38:39], v[80:81] op_sel_hi:[1,0,1]
	v_pk_fma_f32 v[38:39], v[40:41], v[38:39], v[80:81] neg_lo:[0,0,1] neg_hi:[0,0,1]
	v_mov_b32_e32 v39, v83
	s_delay_alu instid0(VALU_DEP_1)
	v_pk_add_f32 v[36:37], v[36:37], v[38:39] neg_lo:[0,1] neg_hi:[0,1]
.LBB148_204:                            ;   in Loop: Header=BB148_3 Depth=1
	s_or_b32 exec_lo, exec_lo, s6
	s_barrier_signal -1
	s_barrier_wait -1
	s_and_saveexec_b32 s6, s54
	s_cbranch_execz .LBB148_206
; %bb.205:                              ;   in Loop: Header=BB148_3 Depth=1
	ds_load_b64 v[38:39], v5 offset:27560
	s_wait_dscnt 0x0
	v_pk_mul_f32 v[40:41], v[36:37], v[38:39] op_sel:[1,1] op_sel_hi:[1,0]
	s_delay_alu instid0(VALU_DEP_1) | instskip(SKIP_1) | instid1(VALU_DEP_2)
	v_pk_fma_f32 v[80:81], v[36:37], v[38:39], v[40:41] op_sel_hi:[0,1,1]
	v_pk_fma_f32 v[36:37], v[36:37], v[38:39], v[40:41] neg_lo:[0,0,1] neg_hi:[0,0,1]
	v_mov_b32_e32 v37, v81
	s_delay_alu instid0(VALU_DEP_1)
	v_pk_add_f32 v[38:39], v[36:37], 0 neg_lo:[1,1] neg_hi:[1,1]
	ds_store_b64 v51, v[38:39]
.LBB148_206:                            ;   in Loop: Header=BB148_3 Depth=1
	s_or_b32 exec_lo, exec_lo, s6
	s_wait_dscnt 0x0
	s_barrier_signal -1
	s_barrier_wait -1
	s_and_saveexec_b32 s6, s55
	s_cbranch_execz .LBB148_208
; %bb.207:                              ;   in Loop: Header=BB148_3 Depth=1
	ds_load_b64 v[38:39], v52 offset:27520
	ds_load_b64 v[40:41], v51
	s_wait_dscnt 0x0
	v_pk_mul_f32 v[80:81], v[40:41], v[38:39] op_sel:[1,1] op_sel_hi:[0,1]
	s_delay_alu instid0(VALU_DEP_1) | instskip(SKIP_1) | instid1(VALU_DEP_2)
	v_pk_fma_f32 v[82:83], v[40:41], v[38:39], v[80:81] op_sel_hi:[1,0,1]
	v_pk_fma_f32 v[38:39], v[40:41], v[38:39], v[80:81] neg_lo:[0,0,1] neg_hi:[0,0,1]
	v_mov_b32_e32 v39, v83
	s_delay_alu instid0(VALU_DEP_1)
	v_pk_add_f32 v[36:37], v[36:37], v[38:39] neg_lo:[0,1] neg_hi:[0,1]
.LBB148_208:                            ;   in Loop: Header=BB148_3 Depth=1
	s_or_b32 exec_lo, exec_lo, s6
	s_barrier_signal -1
	s_barrier_wait -1
	s_and_saveexec_b32 s6, s56
	s_cbranch_execz .LBB148_210
; %bb.209:                              ;   in Loop: Header=BB148_3 Depth=1
	ds_load_b64 v[38:39], v5 offset:27040
	s_wait_dscnt 0x0
	v_pk_mul_f32 v[40:41], v[36:37], v[38:39]
	v_pk_mul_f32 v[36:37], v[36:37], v[38:39] op_sel:[1,0] op_sel_hi:[0,1]
	s_delay_alu instid0(VALU_DEP_1) | instskip(NEXT) | instid1(VALU_DEP_3)
	v_dual_mov_b32 v38, v40 :: v_dual_mov_b32 v39, v36
	v_mov_b32_e32 v36, v41
	s_delay_alu instid0(VALU_DEP_1) | instskip(SKIP_1) | instid1(VALU_DEP_2)
	v_pk_add_f32 v[40:41], v[38:39], v[36:37]
	v_pk_add_f32 v[36:37], v[38:39], v[36:37] neg_lo:[0,1] neg_hi:[0,1]
	v_mov_b32_e32 v37, v41
	s_delay_alu instid0(VALU_DEP_1)
	v_pk_add_f32 v[38:39], v[36:37], 0 neg_lo:[1,1] neg_hi:[1,1]
	ds_store_b64 v51, v[38:39]
.LBB148_210:                            ;   in Loop: Header=BB148_3 Depth=1
	s_or_b32 exec_lo, exec_lo, s6
	s_wait_dscnt 0x0
	s_barrier_signal -1
	s_barrier_wait -1
	s_and_saveexec_b32 s6, s57
	s_cbranch_execz .LBB148_212
; %bb.211:                              ;   in Loop: Header=BB148_3 Depth=1
	ds_load_b64 v[38:39], v52 offset:27008
	ds_load_b64 v[40:41], v51
	s_wait_dscnt 0x0
	v_dual_mul_f32 v79, v41, v39 :: v_dual_mul_f32 v39, v40, v39
	s_delay_alu instid0(VALU_DEP_1) | instskip(NEXT) | instid1(VALU_DEP_1)
	v_fmac_f32_e32 v39, v41, v38
	v_dual_fma_f32 v40, v40, v38, -v79 :: v_dual_sub_f32 v37, v37, v39
	s_delay_alu instid0(VALU_DEP_1)
	v_sub_f32_e32 v36, v36, v40
.LBB148_212:                            ;   in Loop: Header=BB148_3 Depth=1
	s_or_b32 exec_lo, exec_lo, s6
	s_barrier_signal -1
	s_barrier_wait -1
	s_and_saveexec_b32 s6, s58
	s_cbranch_execz .LBB148_214
; %bb.213:                              ;   in Loop: Header=BB148_3 Depth=1
	ds_load_b64 v[38:39], v5 offset:26520
	s_wait_dscnt 0x0
	v_dual_mul_f32 v40, v37, v38 :: v_dual_mul_f32 v80, v37, v39
	s_delay_alu instid0(VALU_DEP_1) | instskip(NEXT) | instid1(VALU_DEP_2)
	v_pk_fma_f32 v[40:41], v[36:37], v[38:39], v[40:41] op_sel:[1,0,0] op_sel_hi:[0,1,0]
	v_pk_fma_f32 v[36:37], v[36:37], v[38:39], v[80:81] op_sel_hi:[1,1,0] neg_lo:[0,0,1] neg_hi:[0,0,1]
	s_delay_alu instid0(VALU_DEP_2) | instskip(NEXT) | instid1(VALU_DEP_1)
	v_mov_b32_e32 v37, v41
	v_pk_add_f32 v[38:39], v[36:37], 0 neg_lo:[1,1] neg_hi:[1,1]
	ds_store_b64 v51, v[38:39]
.LBB148_214:                            ;   in Loop: Header=BB148_3 Depth=1
	s_or_b32 exec_lo, exec_lo, s6
	s_wait_dscnt 0x0
	s_barrier_signal -1
	s_barrier_wait -1
	s_and_saveexec_b32 s6, s59
	s_cbranch_execz .LBB148_216
; %bb.215:                              ;   in Loop: Header=BB148_3 Depth=1
	ds_load_b64 v[38:39], v52 offset:26496
	ds_load_b64 v[40:41], v51
	s_wait_dscnt 0x0
	v_pk_mul_f32 v[80:81], v[40:41], v[38:39] op_sel:[1,1] op_sel_hi:[0,1]
	s_delay_alu instid0(VALU_DEP_1) | instskip(SKIP_1) | instid1(VALU_DEP_2)
	v_pk_fma_f32 v[82:83], v[40:41], v[38:39], v[80:81] op_sel_hi:[1,0,1]
	v_pk_fma_f32 v[38:39], v[40:41], v[38:39], v[80:81] neg_lo:[0,0,1] neg_hi:[0,0,1]
	v_mov_b32_e32 v39, v83
	s_delay_alu instid0(VALU_DEP_1)
	v_pk_add_f32 v[36:37], v[36:37], v[38:39] neg_lo:[0,1] neg_hi:[0,1]
.LBB148_216:                            ;   in Loop: Header=BB148_3 Depth=1
	s_or_b32 exec_lo, exec_lo, s6
	s_barrier_signal -1
	s_barrier_wait -1
	s_and_saveexec_b32 s6, s60
	s_cbranch_execz .LBB148_218
; %bb.217:                              ;   in Loop: Header=BB148_3 Depth=1
	ds_load_b64 v[38:39], v5 offset:26000
	s_wait_dscnt 0x0
	v_pk_mul_f32 v[40:41], v[36:37], v[38:39] op_sel:[1,1] op_sel_hi:[1,0]
	s_delay_alu instid0(VALU_DEP_1) | instskip(SKIP_1) | instid1(VALU_DEP_2)
	v_pk_fma_f32 v[80:81], v[36:37], v[38:39], v[40:41] op_sel_hi:[0,1,1]
	v_pk_fma_f32 v[36:37], v[36:37], v[38:39], v[40:41] neg_lo:[0,0,1] neg_hi:[0,0,1]
	v_mov_b32_e32 v37, v81
	s_delay_alu instid0(VALU_DEP_1)
	v_pk_add_f32 v[38:39], v[36:37], 0 neg_lo:[1,1] neg_hi:[1,1]
	ds_store_b64 v51, v[38:39]
.LBB148_218:                            ;   in Loop: Header=BB148_3 Depth=1
	s_or_b32 exec_lo, exec_lo, s6
	s_wait_dscnt 0x0
	s_barrier_signal -1
	s_barrier_wait -1
	s_and_saveexec_b32 s6, s61
	s_cbranch_execz .LBB148_220
; %bb.219:                              ;   in Loop: Header=BB148_3 Depth=1
	ds_load_b64 v[38:39], v52 offset:25984
	ds_load_b64 v[40:41], v51
	s_wait_dscnt 0x0
	v_pk_mul_f32 v[80:81], v[40:41], v[38:39] op_sel:[1,1] op_sel_hi:[0,1]
	s_delay_alu instid0(VALU_DEP_1) | instskip(SKIP_1) | instid1(VALU_DEP_2)
	v_pk_fma_f32 v[82:83], v[40:41], v[38:39], v[80:81] op_sel_hi:[1,0,1]
	v_pk_fma_f32 v[38:39], v[40:41], v[38:39], v[80:81] neg_lo:[0,0,1] neg_hi:[0,0,1]
	v_mov_b32_e32 v39, v83
	s_delay_alu instid0(VALU_DEP_1)
	v_pk_add_f32 v[36:37], v[36:37], v[38:39] neg_lo:[0,1] neg_hi:[0,1]
.LBB148_220:                            ;   in Loop: Header=BB148_3 Depth=1
	s_or_b32 exec_lo, exec_lo, s6
	s_barrier_signal -1
	s_barrier_wait -1
	s_and_saveexec_b32 s6, s62
	s_cbranch_execz .LBB148_222
; %bb.221:                              ;   in Loop: Header=BB148_3 Depth=1
	ds_load_b64 v[38:39], v5 offset:25480
	s_wait_dscnt 0x0
	v_pk_mul_f32 v[40:41], v[36:37], v[38:39] op_sel:[1,1] op_sel_hi:[1,0]
	s_delay_alu instid0(VALU_DEP_1) | instskip(SKIP_1) | instid1(VALU_DEP_2)
	v_pk_fma_f32 v[80:81], v[36:37], v[38:39], v[40:41] op_sel_hi:[0,1,1]
	v_pk_fma_f32 v[36:37], v[36:37], v[38:39], v[40:41] neg_lo:[0,0,1] neg_hi:[0,0,1]
	v_mov_b32_e32 v37, v81
	s_delay_alu instid0(VALU_DEP_1)
	v_pk_add_f32 v[38:39], v[36:37], 0 neg_lo:[1,1] neg_hi:[1,1]
	ds_store_b64 v51, v[38:39]
.LBB148_222:                            ;   in Loop: Header=BB148_3 Depth=1
	s_or_b32 exec_lo, exec_lo, s6
	s_wait_dscnt 0x0
	s_barrier_signal -1
	s_barrier_wait -1
	s_and_saveexec_b32 s6, s63
	s_cbranch_execz .LBB148_224
; %bb.223:                              ;   in Loop: Header=BB148_3 Depth=1
	ds_load_b64 v[38:39], v5 offset:25472
	ds_load_b64 v[40:41], v51
	s_wait_dscnt 0x0
	v_pk_mul_f32 v[80:81], v[40:41], v[38:39] op_sel:[1,1] op_sel_hi:[0,1]
	s_delay_alu instid0(VALU_DEP_1) | instskip(SKIP_1) | instid1(VALU_DEP_2)
	v_pk_fma_f32 v[82:83], v[40:41], v[38:39], v[80:81] op_sel_hi:[1,0,1]
	v_pk_fma_f32 v[38:39], v[40:41], v[38:39], v[80:81] neg_lo:[0,0,1] neg_hi:[0,0,1]
	v_mov_b32_e32 v39, v83
	s_delay_alu instid0(VALU_DEP_1)
	v_pk_add_f32 v[36:37], v[36:37], v[38:39] neg_lo:[0,1] neg_hi:[0,1]
.LBB148_224:                            ;   in Loop: Header=BB148_3 Depth=1
	s_or_b32 exec_lo, exec_lo, s6
	s_barrier_signal -1
	s_barrier_wait -1
	s_and_saveexec_b32 s6, s63
	s_cbranch_execz .LBB148_226
; %bb.225:                              ;   in Loop: Header=BB148_3 Depth=1
	ds_load_b64 v[38:39], v5 offset:24960
	s_wait_dscnt 0x0
	v_pk_mul_f32 v[40:41], v[36:37], v[38:39] op_sel:[1,1] op_sel_hi:[1,0]
	s_delay_alu instid0(VALU_DEP_1) | instskip(SKIP_1) | instid1(VALU_DEP_2)
	v_pk_fma_f32 v[80:81], v[36:37], v[38:39], v[40:41] op_sel_hi:[0,1,1]
	v_pk_fma_f32 v[36:37], v[36:37], v[38:39], v[40:41] neg_lo:[0,0,1] neg_hi:[0,0,1]
	v_mov_b32_e32 v37, v81
	s_delay_alu instid0(VALU_DEP_1)
	v_pk_add_f32 v[38:39], v[36:37], 0 neg_lo:[1,1] neg_hi:[1,1]
	ds_store_b64 v51, v[38:39]
.LBB148_226:                            ;   in Loop: Header=BB148_3 Depth=1
	s_or_b32 exec_lo, exec_lo, s6
	s_wait_dscnt 0x0
	s_barrier_signal -1
	s_barrier_wait -1
	s_barrier_signal -1
	s_barrier_wait -1
	s_and_saveexec_b32 s6, s3
; %bb.227:                              ;   in Loop: Header=BB148_3 Depth=1
	ds_store_b64 v54, v[36:37] offset:32640
; %bb.228:                              ;   in Loop: Header=BB148_3 Depth=1
	s_or_b32 exec_lo, exec_lo, s6
	s_wait_dscnt 0x0
	s_barrier_signal -1
	s_barrier_wait -1
	s_barrier_signal -1
	s_barrier_wait -1
	s_and_saveexec_b32 s6, s14
	s_cbranch_execz .LBB148_230
; %bb.229:                              ;   in Loop: Header=BB148_3 Depth=1
	v_add_nc_u32_e64 v36, 0x1b0, 0
	ds_load_b64 v[40:41], v5 offset:28600
	ds_load_2addr_stride64_b64 v[36:39], v36 offset0:54 offset1:55
	s_wait_dscnt 0x0
	v_dual_mul_f32 v79, v41, v37 :: v_dual_mul_f32 v80, v40, v37
	s_delay_alu instid0(VALU_DEP_1) | instskip(NEXT) | instid1(VALU_DEP_1)
	v_xor_b32_e32 v82, 0x80000000, v79
	v_dual_fmac_f32 v80, v41, v36 :: v_dual_fmac_f32 v82, v40, v36
	s_delay_alu instid0(VALU_DEP_1) | instskip(NEXT) | instid1(VALU_DEP_1)
	v_pk_mul_f32 v[36:37], v[80:81], v[38:39] op_sel:[0,1] op_sel_hi:[0,0]
	v_pk_fma_f32 v[40:41], v[82:83], v[38:39], v[36:37] op_sel_hi:[0,1,1]
	v_pk_fma_f32 v[36:37], v[82:83], v[38:39], v[36:37] neg_lo:[0,0,1] neg_hi:[0,0,1]
	s_delay_alu instid0(VALU_DEP_2)
	v_mov_b32_e32 v37, v41
	ds_store_b64 v5, v[36:37] offset:28592
.LBB148_230:                            ;   in Loop: Header=BB148_3 Depth=1
	s_or_b32 exec_lo, exec_lo, s6
	v_dual_mov_b32 v36, 0 :: v_dual_mov_b32 v37, 0
	s_wait_dscnt 0x0
	s_barrier_signal -1
	s_barrier_wait -1
	global_wb scope:SCOPE_DEV
	s_wait_storecnt 0x0
	global_inv scope:SCOPE_DEV
	s_and_saveexec_b32 s6, s1
	s_cbranch_execz .LBB148_234
; %bb.231:                              ;   in Loop: Header=BB148_3 Depth=1
	ds_load_b64 v[36:37], v43 offset:28064
	ds_load_b64 v[38:39], v44 offset:28592
	s_wait_dscnt 0x0
	v_pk_mul_f32 v[40:41], v[38:39], v[36:37] op_sel:[1,1] op_sel_hi:[0,1]
	s_delay_alu instid0(VALU_DEP_1) | instskip(SKIP_1) | instid1(VALU_DEP_2)
	v_pk_fma_f32 v[80:81], v[38:39], v[36:37], v[40:41] op_sel_hi:[1,0,1]
	v_pk_fma_f32 v[36:37], v[38:39], v[36:37], v[40:41] neg_lo:[0,0,1] neg_hi:[0,0,1]
	v_mov_b32_e32 v37, v81
	s_delay_alu instid0(VALU_DEP_1)
	v_pk_add_f32 v[36:37], v[36:37], 0 op_sel_hi:[1,0]
	s_and_saveexec_b32 s8, s15
	s_cbranch_execz .LBB148_233
; %bb.232:                              ;   in Loop: Header=BB148_3 Depth=1
	ds_load_b64 v[38:39], v45 offset:28576
	ds_load_b64 v[40:41], v5 offset:28600
	s_wait_dscnt 0x0
	v_pk_mul_f32 v[80:81], v[40:41], v[38:39] op_sel:[1,1] op_sel_hi:[0,1]
	s_delay_alu instid0(VALU_DEP_1) | instskip(SKIP_1) | instid1(VALU_DEP_2)
	v_pk_fma_f32 v[82:83], v[40:41], v[38:39], v[80:81] op_sel_hi:[1,0,1]
	v_pk_fma_f32 v[38:39], v[40:41], v[38:39], v[80:81] neg_lo:[0,0,1] neg_hi:[0,0,1]
	v_mov_b32_e32 v39, v83
	s_delay_alu instid0(VALU_DEP_1)
	v_pk_add_f32 v[36:37], v[36:37], v[38:39]
.LBB148_233:                            ;   in Loop: Header=BB148_3 Depth=1
	s_or_b32 exec_lo, exec_lo, s8
.LBB148_234:                            ;   in Loop: Header=BB148_3 Depth=1
	s_delay_alu instid0(SALU_CYCLE_1)
	s_or_b32 exec_lo, exec_lo, s6
	s_and_saveexec_b32 s6, vcc_hi
	s_cbranch_execz .LBB148_236
; %bb.235:                              ;   in Loop: Header=BB148_3 Depth=1
	ds_load_b64 v[38:39], v5 offset:27560
	s_wait_dscnt 0x0
	v_pk_mul_f32 v[40:41], v[36:37], v[38:39] op_sel:[1,1] op_sel_hi:[1,0]
	s_delay_alu instid0(VALU_DEP_1) | instskip(SKIP_1) | instid1(VALU_DEP_2)
	v_pk_fma_f32 v[80:81], v[36:37], v[38:39], v[40:41] op_sel_hi:[0,1,1]
	v_pk_fma_f32 v[36:37], v[36:37], v[38:39], v[40:41] neg_lo:[0,0,1] neg_hi:[0,0,1]
	v_mov_b32_e32 v37, v81
	s_delay_alu instid0(VALU_DEP_1)
	v_pk_add_f32 v[38:39], v[36:37], 0 neg_lo:[1,1] neg_hi:[1,1]
	ds_store_b64 v3, v[38:39]
.LBB148_236:                            ;   in Loop: Header=BB148_3 Depth=1
	s_or_b32 exec_lo, exec_lo, s6
	s_wait_loadcnt_dscnt 0x0
	s_barrier_signal -1
	s_barrier_wait -1
	s_and_saveexec_b32 s6, s43
	s_cbranch_execz .LBB148_238
; %bb.237:                              ;   in Loop: Header=BB148_3 Depth=1
	ds_load_b64 v[38:39], v5 offset:27552
	ds_load_b64 v[40:41], v3
	s_wait_dscnt 0x0
	v_pk_mul_f32 v[80:81], v[40:41], v[38:39] op_sel:[1,1] op_sel_hi:[0,1]
	s_delay_alu instid0(VALU_DEP_1) | instskip(SKIP_1) | instid1(VALU_DEP_2)
	v_pk_fma_f32 v[82:83], v[40:41], v[38:39], v[80:81] op_sel_hi:[1,0,1]
	v_pk_fma_f32 v[38:39], v[40:41], v[38:39], v[80:81] neg_lo:[0,0,1] neg_hi:[0,0,1]
	v_mov_b32_e32 v39, v83
	s_delay_alu instid0(VALU_DEP_1)
	v_pk_add_f32 v[36:37], v[36:37], v[38:39] neg_lo:[0,1] neg_hi:[0,1]
.LBB148_238:                            ;   in Loop: Header=BB148_3 Depth=1
	s_or_b32 exec_lo, exec_lo, s6
	s_barrier_signal -1
	s_barrier_wait -1
	s_and_saveexec_b32 s6, s43
	s_cbranch_execz .LBB148_240
; %bb.239:                              ;   in Loop: Header=BB148_3 Depth=1
	ds_load_b64 v[38:39], v5 offset:27040
	s_wait_dscnt 0x0
	v_pk_mul_f32 v[40:41], v[36:37], v[38:39] op_sel:[1,1] op_sel_hi:[1,0]
	s_delay_alu instid0(VALU_DEP_1) | instskip(SKIP_1) | instid1(VALU_DEP_2)
	v_pk_fma_f32 v[80:81], v[36:37], v[38:39], v[40:41] op_sel_hi:[0,1,1]
	v_pk_fma_f32 v[36:37], v[36:37], v[38:39], v[40:41] neg_lo:[0,0,1] neg_hi:[0,0,1]
	v_mov_b32_e32 v37, v81
	s_delay_alu instid0(VALU_DEP_1)
	v_pk_add_f32 v[38:39], v[36:37], 0 neg_lo:[1,1] neg_hi:[1,1]
	ds_store_b64 v3, v[38:39]
.LBB148_240:                            ;   in Loop: Header=BB148_3 Depth=1
	s_or_b32 exec_lo, exec_lo, s6
	s_wait_dscnt 0x0
	s_barrier_signal -1
	s_barrier_wait -1
	s_barrier_signal -1
	s_barrier_wait -1
	s_and_saveexec_b32 s6, s1
; %bb.241:                              ;   in Loop: Header=BB148_3 Depth=1
	ds_store_b64 v46, v[36:37] offset:28576
; %bb.242:                              ;   in Loop: Header=BB148_3 Depth=1
	s_or_b32 exec_lo, exec_lo, s6
	s_wait_dscnt 0x0
	s_barrier_signal -1
	s_barrier_wait -1
	s_barrier_signal -1
	s_barrier_wait -1
	s_and_saveexec_b32 s6, s14
	s_cbranch_execz .LBB148_244
; %bb.243:                              ;   in Loop: Header=BB148_3 Depth=1
	v_add_nc_u32_e64 v36, 0x1a0, 0
	ds_load_b64 v[40:41], v5 offset:27560
	ds_load_2addr_stride64_b64 v[36:39], v36 offset0:52 offset1:53
	s_wait_dscnt 0x0
	v_dual_mul_f32 v79, v41, v37 :: v_dual_mul_f32 v80, v40, v37
	s_delay_alu instid0(VALU_DEP_1) | instskip(NEXT) | instid1(VALU_DEP_1)
	v_xor_b32_e32 v82, 0x80000000, v79
	v_dual_fmac_f32 v80, v41, v36 :: v_dual_fmac_f32 v82, v40, v36
	s_delay_alu instid0(VALU_DEP_1) | instskip(NEXT) | instid1(VALU_DEP_1)
	v_pk_mul_f32 v[36:37], v[80:81], v[38:39] op_sel:[0,1] op_sel_hi:[0,0]
	v_pk_fma_f32 v[40:41], v[82:83], v[38:39], v[36:37] op_sel_hi:[0,1,1]
	v_pk_fma_f32 v[36:37], v[82:83], v[38:39], v[36:37] neg_lo:[0,0,1] neg_hi:[0,0,1]
	s_delay_alu instid0(VALU_DEP_2)
	v_mov_b32_e32 v37, v41
	ds_store_b64 v5, v[36:37] offset:27552
.LBB148_244:                            ;   in Loop: Header=BB148_3 Depth=1
	s_or_b32 exec_lo, exec_lo, s6
	v_mov_b64_e32 v[36:37], 0
	s_wait_dscnt 0x0
	s_barrier_signal -1
	s_barrier_wait -1
	global_wb scope:SCOPE_DEV
	s_wait_storecnt 0x0
	global_inv scope:SCOPE_DEV
	s_and_saveexec_b32 s8, s2
	s_cbranch_execz .LBB148_250
; %bb.245:                              ;   in Loop: Header=BB148_3 Depth=1
	ds_load_b64 v[36:37], v48 offset:27008
	ds_load_b64 v[38:39], v49 offset:28576
	s_wait_dscnt 0x0
	v_dual_mul_f32 v40, v39, v37 :: v_dual_mul_f32 v37, v38, v37
	s_delay_alu instid0(VALU_DEP_1) | instskip(NEXT) | instid1(VALU_DEP_1)
	v_dual_fma_f32 v38, v38, v36, -v40 :: v_dual_fmac_f32 v37, v39, v36
	v_dual_add_f32 v36, 0, v38 :: v_dual_add_f32 v37, 0, v37
	s_and_saveexec_b32 s6, s16
	s_cbranch_execnz .LBB148_1056
; %bb.246:                              ;   in Loop: Header=BB148_3 Depth=1
	s_or_b32 exec_lo, exec_lo, s6
	s_and_saveexec_b32 s6, s17
	s_cbranch_execnz .LBB148_1057
.LBB148_247:                            ;   in Loop: Header=BB148_3 Depth=1
	s_or_b32 exec_lo, exec_lo, s6
	s_and_saveexec_b32 s6, s1
	s_cbranch_execz .LBB148_249
.LBB148_248:                            ;   in Loop: Header=BB148_3 Depth=1
	ds_load_b64 v[38:39], v45 offset:28544
	ds_load_b64 v[40:41], v5 offset:28600
	s_wait_dscnt 0x0
	v_dual_mul_f32 v79, v41, v39 :: v_dual_mul_f32 v39, v40, v39
	s_delay_alu instid0(VALU_DEP_1) | instskip(NEXT) | instid1(VALU_DEP_1)
	v_fmac_f32_e32 v39, v41, v38
	v_dual_fma_f32 v40, v40, v38, -v79 :: v_dual_add_f32 v37, v37, v39
	s_delay_alu instid0(VALU_DEP_1)
	v_add_f32_e32 v36, v36, v40
.LBB148_249:                            ;   in Loop: Header=BB148_3 Depth=1
	s_or_b32 exec_lo, exec_lo, s6
.LBB148_250:                            ;   in Loop: Header=BB148_3 Depth=1
	s_delay_alu instid0(SALU_CYCLE_1)
	s_or_b32 exec_lo, exec_lo, s8
	s_and_saveexec_b32 s6, s44
	s_cbranch_execz .LBB148_252
; %bb.251:                              ;   in Loop: Header=BB148_3 Depth=1
	ds_load_b64 v[38:39], v5 offset:26520
	s_wait_dscnt 0x0
	v_dual_mul_f32 v40, v37, v38 :: v_dual_mul_f32 v80, v37, v39
	s_delay_alu instid0(VALU_DEP_1) | instskip(NEXT) | instid1(VALU_DEP_2)
	v_pk_fma_f32 v[40:41], v[36:37], v[38:39], v[40:41] op_sel:[1,0,0] op_sel_hi:[0,1,0]
	v_pk_fma_f32 v[36:37], v[36:37], v[38:39], v[80:81] op_sel_hi:[1,1,0] neg_lo:[0,0,1] neg_hi:[0,0,1]
	s_delay_alu instid0(VALU_DEP_2) | instskip(NEXT) | instid1(VALU_DEP_1)
	v_mov_b32_e32 v37, v41
	v_pk_add_f32 v[38:39], v[36:37], 0 neg_lo:[1,1] neg_hi:[1,1]
	ds_store_b64 v47, v[38:39]
.LBB148_252:                            ;   in Loop: Header=BB148_3 Depth=1
	s_or_b32 exec_lo, exec_lo, s6
	s_wait_loadcnt_dscnt 0x0
	s_barrier_signal -1
	s_barrier_wait -1
	s_and_saveexec_b32 s6, s45
	s_cbranch_execz .LBB148_254
; %bb.253:                              ;   in Loop: Header=BB148_3 Depth=1
	ds_load_b64 v[38:39], v48 offset:26496
	ds_load_b64 v[40:41], v47
	s_wait_dscnt 0x0
	v_pk_mul_f32 v[80:81], v[40:41], v[38:39] op_sel:[1,1] op_sel_hi:[0,1]
	s_delay_alu instid0(VALU_DEP_1) | instskip(SKIP_1) | instid1(VALU_DEP_2)
	v_pk_fma_f32 v[82:83], v[40:41], v[38:39], v[80:81] op_sel_hi:[1,0,1]
	v_pk_fma_f32 v[38:39], v[40:41], v[38:39], v[80:81] neg_lo:[0,0,1] neg_hi:[0,0,1]
	v_mov_b32_e32 v39, v83
	s_delay_alu instid0(VALU_DEP_1)
	v_pk_add_f32 v[36:37], v[36:37], v[38:39] neg_lo:[0,1] neg_hi:[0,1]
.LBB148_254:                            ;   in Loop: Header=BB148_3 Depth=1
	s_or_b32 exec_lo, exec_lo, s6
	s_barrier_signal -1
	s_barrier_wait -1
	s_and_saveexec_b32 s6, s46
	s_cbranch_execz .LBB148_256
; %bb.255:                              ;   in Loop: Header=BB148_3 Depth=1
	ds_load_b64 v[38:39], v5 offset:26000
	s_wait_dscnt 0x0
	v_pk_mul_f32 v[40:41], v[36:37], v[38:39] op_sel:[1,1] op_sel_hi:[1,0]
	s_delay_alu instid0(VALU_DEP_1) | instskip(SKIP_1) | instid1(VALU_DEP_2)
	v_pk_fma_f32 v[80:81], v[36:37], v[38:39], v[40:41] op_sel_hi:[0,1,1]
	v_pk_fma_f32 v[36:37], v[36:37], v[38:39], v[40:41] neg_lo:[0,0,1] neg_hi:[0,0,1]
	v_mov_b32_e32 v37, v81
	s_delay_alu instid0(VALU_DEP_1)
	v_pk_add_f32 v[38:39], v[36:37], 0 neg_lo:[1,1] neg_hi:[1,1]
	ds_store_b64 v47, v[38:39]
.LBB148_256:                            ;   in Loop: Header=BB148_3 Depth=1
	s_or_b32 exec_lo, exec_lo, s6
	s_wait_dscnt 0x0
	s_barrier_signal -1
	s_barrier_wait -1
	s_and_saveexec_b32 s6, s47
	s_cbranch_execz .LBB148_258
; %bb.257:                              ;   in Loop: Header=BB148_3 Depth=1
	ds_load_b64 v[38:39], v48 offset:25984
	ds_load_b64 v[40:41], v47
	s_wait_dscnt 0x0
	v_pk_mul_f32 v[80:81], v[40:41], v[38:39] op_sel:[1,1] op_sel_hi:[0,1]
	s_delay_alu instid0(VALU_DEP_1) | instskip(SKIP_1) | instid1(VALU_DEP_2)
	v_pk_fma_f32 v[82:83], v[40:41], v[38:39], v[80:81] op_sel_hi:[1,0,1]
	v_pk_fma_f32 v[38:39], v[40:41], v[38:39], v[80:81] neg_lo:[0,0,1] neg_hi:[0,0,1]
	v_mov_b32_e32 v39, v83
	s_delay_alu instid0(VALU_DEP_1)
	v_pk_add_f32 v[36:37], v[36:37], v[38:39] neg_lo:[0,1] neg_hi:[0,1]
.LBB148_258:                            ;   in Loop: Header=BB148_3 Depth=1
	s_or_b32 exec_lo, exec_lo, s6
	s_barrier_signal -1
	s_barrier_wait -1
	s_and_saveexec_b32 s6, s48
	s_cbranch_execz .LBB148_260
; %bb.259:                              ;   in Loop: Header=BB148_3 Depth=1
	ds_load_b64 v[38:39], v5 offset:25480
	s_wait_dscnt 0x0
	v_pk_mul_f32 v[40:41], v[36:37], v[38:39] op_sel:[1,1] op_sel_hi:[1,0]
	s_delay_alu instid0(VALU_DEP_1) | instskip(SKIP_1) | instid1(VALU_DEP_2)
	v_pk_fma_f32 v[80:81], v[36:37], v[38:39], v[40:41] op_sel_hi:[0,1,1]
	v_pk_fma_f32 v[36:37], v[36:37], v[38:39], v[40:41] neg_lo:[0,0,1] neg_hi:[0,0,1]
	v_mov_b32_e32 v37, v81
	s_delay_alu instid0(VALU_DEP_1)
	v_pk_add_f32 v[38:39], v[36:37], 0 neg_lo:[1,1] neg_hi:[1,1]
	ds_store_b64 v47, v[38:39]
.LBB148_260:                            ;   in Loop: Header=BB148_3 Depth=1
	s_or_b32 exec_lo, exec_lo, s6
	s_wait_dscnt 0x0
	;; [unrolled: 35-line block ×3, first 2 shown]
	s_barrier_signal -1
	s_barrier_wait -1
	s_barrier_signal -1
	s_barrier_wait -1
	s_and_saveexec_b32 s6, s2
; %bb.265:                              ;   in Loop: Header=BB148_3 Depth=1
	ds_store_b64 v50, v[36:37] offset:28544
; %bb.266:                              ;   in Loop: Header=BB148_3 Depth=1
	s_or_b32 exec_lo, exec_lo, s6
	s_wait_dscnt 0x0
	s_barrier_signal -1
	s_barrier_wait -1
	s_barrier_signal -1
	s_barrier_wait -1
	s_and_saveexec_b32 s6, s14
	s_cbranch_execz .LBB148_268
; %bb.267:                              ;   in Loop: Header=BB148_3 Depth=1
	v_add_nc_u32_e64 v36, 0x190, 0
	ds_load_b64 v[40:41], v5 offset:26520
	ds_load_2addr_stride64_b64 v[36:39], v36 offset0:50 offset1:51
	s_wait_dscnt 0x0
	v_dual_mul_f32 v79, v41, v37 :: v_dual_mul_f32 v80, v40, v37
	s_delay_alu instid0(VALU_DEP_1) | instskip(NEXT) | instid1(VALU_DEP_1)
	v_xor_b32_e32 v82, 0x80000000, v79
	v_dual_fmac_f32 v80, v41, v36 :: v_dual_fmac_f32 v82, v40, v36
	s_delay_alu instid0(VALU_DEP_1) | instskip(NEXT) | instid1(VALU_DEP_1)
	v_pk_mul_f32 v[36:37], v[80:81], v[38:39] op_sel:[0,1] op_sel_hi:[0,0]
	v_pk_fma_f32 v[40:41], v[82:83], v[38:39], v[36:37] op_sel_hi:[0,1,1]
	v_pk_fma_f32 v[36:37], v[82:83], v[38:39], v[36:37] neg_lo:[0,0,1] neg_hi:[0,0,1]
	s_delay_alu instid0(VALU_DEP_2)
	v_mov_b32_e32 v37, v41
	ds_store_b64 v5, v[36:37] offset:26512
.LBB148_268:                            ;   in Loop: Header=BB148_3 Depth=1
	s_or_b32 exec_lo, exec_lo, s6
	v_dual_mov_b32 v36, 0 :: v_dual_mov_b32 v37, 0
	s_wait_dscnt 0x0
	s_barrier_signal -1
	s_barrier_wait -1
	global_wb scope:SCOPE_DEV
	s_wait_storecnt 0x0
	global_inv scope:SCOPE_DEV
	s_and_saveexec_b32 s6, s1
	s_cbranch_execz .LBB148_272
; %bb.269:                              ;   in Loop: Header=BB148_3 Depth=1
	ds_load_b64 v[36:37], v43 offset:25984
	ds_load_b64 v[38:39], v44 offset:26512
	s_wait_dscnt 0x0
	v_pk_mul_f32 v[40:41], v[38:39], v[36:37] op_sel:[1,1] op_sel_hi:[0,1]
	s_delay_alu instid0(VALU_DEP_1) | instskip(SKIP_1) | instid1(VALU_DEP_2)
	v_pk_fma_f32 v[80:81], v[38:39], v[36:37], v[40:41] op_sel_hi:[1,0,1]
	v_pk_fma_f32 v[36:37], v[38:39], v[36:37], v[40:41] neg_lo:[0,0,1] neg_hi:[0,0,1]
	v_mov_b32_e32 v37, v81
	s_delay_alu instid0(VALU_DEP_1)
	v_pk_add_f32 v[36:37], v[36:37], 0 op_sel_hi:[1,0]
	s_and_saveexec_b32 s8, s15
	s_cbranch_execz .LBB148_271
; %bb.270:                              ;   in Loop: Header=BB148_3 Depth=1
	ds_load_b64 v[38:39], v45 offset:26496
	ds_load_b64 v[40:41], v5 offset:26520
	s_wait_dscnt 0x0
	v_pk_mul_f32 v[80:81], v[40:41], v[38:39] op_sel:[1,1] op_sel_hi:[0,1]
	s_delay_alu instid0(VALU_DEP_1) | instskip(SKIP_1) | instid1(VALU_DEP_2)
	v_pk_fma_f32 v[82:83], v[40:41], v[38:39], v[80:81] op_sel_hi:[1,0,1]
	v_pk_fma_f32 v[38:39], v[40:41], v[38:39], v[80:81] neg_lo:[0,0,1] neg_hi:[0,0,1]
	v_mov_b32_e32 v39, v83
	s_delay_alu instid0(VALU_DEP_1)
	v_pk_add_f32 v[36:37], v[36:37], v[38:39]
.LBB148_271:                            ;   in Loop: Header=BB148_3 Depth=1
	s_or_b32 exec_lo, exec_lo, s8
.LBB148_272:                            ;   in Loop: Header=BB148_3 Depth=1
	s_delay_alu instid0(SALU_CYCLE_1)
	s_or_b32 exec_lo, exec_lo, s6
	s_and_saveexec_b32 s6, vcc_hi
	s_cbranch_execz .LBB148_274
; %bb.273:                              ;   in Loop: Header=BB148_3 Depth=1
	ds_load_b64 v[38:39], v5 offset:25480
	s_wait_dscnt 0x0
	v_pk_mul_f32 v[40:41], v[36:37], v[38:39] op_sel:[1,1] op_sel_hi:[1,0]
	s_delay_alu instid0(VALU_DEP_1) | instskip(SKIP_1) | instid1(VALU_DEP_2)
	v_pk_fma_f32 v[80:81], v[36:37], v[38:39], v[40:41] op_sel_hi:[0,1,1]
	v_pk_fma_f32 v[36:37], v[36:37], v[38:39], v[40:41] neg_lo:[0,0,1] neg_hi:[0,0,1]
	v_mov_b32_e32 v37, v81
	s_delay_alu instid0(VALU_DEP_1)
	v_pk_add_f32 v[38:39], v[36:37], 0 neg_lo:[1,1] neg_hi:[1,1]
	ds_store_b64 v3, v[38:39]
.LBB148_274:                            ;   in Loop: Header=BB148_3 Depth=1
	s_or_b32 exec_lo, exec_lo, s6
	s_wait_loadcnt_dscnt 0x0
	s_barrier_signal -1
	s_barrier_wait -1
	s_and_saveexec_b32 s6, s43
	s_cbranch_execz .LBB148_276
; %bb.275:                              ;   in Loop: Header=BB148_3 Depth=1
	ds_load_b64 v[38:39], v5 offset:25472
	ds_load_b64 v[40:41], v3
	s_wait_dscnt 0x0
	v_pk_mul_f32 v[80:81], v[40:41], v[38:39] op_sel:[1,1] op_sel_hi:[0,1]
	s_delay_alu instid0(VALU_DEP_1) | instskip(SKIP_1) | instid1(VALU_DEP_2)
	v_pk_fma_f32 v[82:83], v[40:41], v[38:39], v[80:81] op_sel_hi:[1,0,1]
	v_pk_fma_f32 v[38:39], v[40:41], v[38:39], v[80:81] neg_lo:[0,0,1] neg_hi:[0,0,1]
	v_mov_b32_e32 v39, v83
	s_delay_alu instid0(VALU_DEP_1)
	v_pk_add_f32 v[36:37], v[36:37], v[38:39] neg_lo:[0,1] neg_hi:[0,1]
.LBB148_276:                            ;   in Loop: Header=BB148_3 Depth=1
	s_or_b32 exec_lo, exec_lo, s6
	s_barrier_signal -1
	s_barrier_wait -1
	s_and_saveexec_b32 s6, s43
	s_cbranch_execz .LBB148_278
; %bb.277:                              ;   in Loop: Header=BB148_3 Depth=1
	ds_load_b64 v[38:39], v5 offset:24960
	s_wait_dscnt 0x0
	v_pk_mul_f32 v[40:41], v[36:37], v[38:39] op_sel:[1,1] op_sel_hi:[1,0]
	s_delay_alu instid0(VALU_DEP_1) | instskip(SKIP_1) | instid1(VALU_DEP_2)
	v_pk_fma_f32 v[80:81], v[36:37], v[38:39], v[40:41] op_sel_hi:[0,1,1]
	v_pk_fma_f32 v[36:37], v[36:37], v[38:39], v[40:41] neg_lo:[0,0,1] neg_hi:[0,0,1]
	v_mov_b32_e32 v37, v81
	s_delay_alu instid0(VALU_DEP_1)
	v_pk_add_f32 v[38:39], v[36:37], 0 neg_lo:[1,1] neg_hi:[1,1]
	ds_store_b64 v3, v[38:39]
.LBB148_278:                            ;   in Loop: Header=BB148_3 Depth=1
	s_or_b32 exec_lo, exec_lo, s6
	s_wait_dscnt 0x0
	s_barrier_signal -1
	s_barrier_wait -1
	s_barrier_signal -1
	s_barrier_wait -1
	s_and_saveexec_b32 s6, s1
; %bb.279:                              ;   in Loop: Header=BB148_3 Depth=1
	ds_store_b64 v46, v[36:37] offset:26496
; %bb.280:                              ;   in Loop: Header=BB148_3 Depth=1
	s_or_b32 exec_lo, exec_lo, s6
	s_wait_dscnt 0x0
	s_barrier_signal -1
	s_barrier_wait -1
	s_barrier_signal -1
	s_barrier_wait -1
	s_and_saveexec_b32 s6, s14
	s_cbranch_execz .LBB148_282
; %bb.281:                              ;   in Loop: Header=BB148_3 Depth=1
	v_add_nc_u32_e64 v36, 0x180, 0
	ds_load_b64 v[40:41], v5 offset:25480
	ds_load_2addr_stride64_b64 v[36:39], v36 offset0:48 offset1:49
	s_wait_dscnt 0x0
	v_dual_mul_f32 v79, v41, v37 :: v_dual_mul_f32 v80, v40, v37
	s_delay_alu instid0(VALU_DEP_1) | instskip(NEXT) | instid1(VALU_DEP_1)
	v_xor_b32_e32 v82, 0x80000000, v79
	v_dual_fmac_f32 v80, v41, v36 :: v_dual_fmac_f32 v82, v40, v36
	s_delay_alu instid0(VALU_DEP_1) | instskip(NEXT) | instid1(VALU_DEP_1)
	v_pk_mul_f32 v[36:37], v[80:81], v[38:39] op_sel:[0,1] op_sel_hi:[0,0]
	v_pk_fma_f32 v[40:41], v[82:83], v[38:39], v[36:37] op_sel_hi:[0,1,1]
	v_pk_fma_f32 v[36:37], v[82:83], v[38:39], v[36:37] neg_lo:[0,0,1] neg_hi:[0,0,1]
	s_delay_alu instid0(VALU_DEP_2)
	v_mov_b32_e32 v37, v41
	ds_store_b64 v5, v[36:37] offset:25472
.LBB148_282:                            ;   in Loop: Header=BB148_3 Depth=1
	s_or_b32 exec_lo, exec_lo, s6
	v_mov_b64_e32 v[36:37], 0
	s_wait_dscnt 0x0
	s_barrier_signal -1
	s_barrier_wait -1
	global_wb scope:SCOPE_DEV
	s_wait_storecnt 0x0
	global_inv scope:SCOPE_DEV
	s_and_saveexec_b32 s70, s4
	s_cbranch_execz .LBB148_310
; %bb.283:                              ;   in Loop: Header=BB148_3 Depth=1
	ds_load_b64 v[36:37], v56 offset:24832
	ds_load_b64 v[38:39], v57 offset:32640
	s_wait_dscnt 0x0
	v_dual_mul_f32 v40, v39, v37 :: v_dual_mul_f32 v37, v38, v37
	s_delay_alu instid0(VALU_DEP_1) | instskip(NEXT) | instid1(VALU_DEP_1)
	v_dual_fma_f32 v38, v38, v36, -v40 :: v_dual_fmac_f32 v37, v39, v36
	v_dual_add_f32 v36, 0, v38 :: v_dual_add_f32 v37, 0, v37
	s_mov_b32 s6, exec_lo
	v_readlane_b32 s8, v90, 30
	s_and_b32 s8, s6, s8
	s_delay_alu instid0(SALU_CYCLE_1)
	s_mov_b32 exec_lo, s8
	s_cbranch_execz .LBB148_285
; %bb.284:                              ;   in Loop: Header=BB148_3 Depth=1
	ds_load_b64 v[38:39], v56 offset:25344
	ds_load_b64 v[40:41], v57 offset:32648
	s_wait_dscnt 0x0
	v_dual_mul_f32 v79, v41, v39 :: v_dual_mul_f32 v39, v40, v39
	s_delay_alu instid0(VALU_DEP_1) | instskip(NEXT) | instid1(VALU_DEP_1)
	v_fmac_f32_e32 v39, v41, v38
	v_dual_fma_f32 v40, v40, v38, -v79 :: v_dual_add_f32 v37, v37, v39
	s_delay_alu instid0(VALU_DEP_1)
	v_add_f32_e32 v36, v36, v40
.LBB148_285:                            ;   in Loop: Header=BB148_3 Depth=1
	s_or_b32 exec_lo, exec_lo, s6
	s_delay_alu instid0(SALU_CYCLE_1) | instskip(SKIP_2) | instid1(SALU_CYCLE_1)
	s_mov_b32 s6, exec_lo
	v_readlane_b32 s8, v90, 31
	s_and_b32 s8, s6, s8
	s_mov_b32 exec_lo, s8
	s_cbranch_execz .LBB148_287
; %bb.286:                              ;   in Loop: Header=BB148_3 Depth=1
	ds_load_b64 v[38:39], v56 offset:25856
	ds_load_b64 v[40:41], v57 offset:32656
	s_wait_dscnt 0x0
	v_dual_mul_f32 v79, v41, v39 :: v_dual_mul_f32 v39, v40, v39
	s_delay_alu instid0(VALU_DEP_1) | instskip(NEXT) | instid1(VALU_DEP_1)
	v_fmac_f32_e32 v39, v41, v38
	v_dual_fma_f32 v40, v40, v38, -v79 :: v_dual_add_f32 v37, v37, v39
	s_delay_alu instid0(VALU_DEP_1)
	v_add_f32_e32 v36, v36, v40
.LBB148_287:                            ;   in Loop: Header=BB148_3 Depth=1
	s_or_b32 exec_lo, exec_lo, s6
	s_delay_alu instid0(SALU_CYCLE_1) | instskip(SKIP_2) | instid1(SALU_CYCLE_1)
	s_mov_b32 s6, exec_lo
	v_readlane_b32 s8, v89, 0
	s_and_b32 s8, s6, s8
	;; [unrolled: 18-line block ×10, first 2 shown]
	s_mov_b32 exec_lo, s8
	s_cbranch_execnz .LBB148_1058
; %bb.304:                              ;   in Loop: Header=BB148_3 Depth=1
	s_or_b32 exec_lo, exec_lo, s6
	s_and_saveexec_b32 s6, s3
	s_cbranch_execnz .LBB148_1059
.LBB148_305:                            ;   in Loop: Header=BB148_3 Depth=1
	s_or_b32 exec_lo, exec_lo, s6
	s_and_saveexec_b32 s6, s19
	s_cbranch_execnz .LBB148_1060
.LBB148_306:                            ;   in Loop: Header=BB148_3 Depth=1
	s_or_b32 exec_lo, exec_lo, s6
	s_and_saveexec_b32 s6, s21
	s_cbranch_execnz .LBB148_1061
.LBB148_307:                            ;   in Loop: Header=BB148_3 Depth=1
	s_or_b32 exec_lo, exec_lo, s6
	s_and_saveexec_b32 s6, s2
	s_cbranch_execz .LBB148_309
.LBB148_308:                            ;   in Loop: Header=BB148_3 Depth=1
	ds_load_b64 v[38:39], v45 offset:32512
	ds_load_b64 v[40:41], v5 offset:32760
	s_wait_dscnt 0x0
	v_dual_mul_f32 v79, v41, v39 :: v_dual_mul_f32 v81, v40, v39
	s_delay_alu instid0(VALU_DEP_1) | instskip(NEXT) | instid1(VALU_DEP_1)
	v_dual_fma_f32 v80, v40, v38, -v79 :: v_dual_fmac_f32 v81, v41, v38
	v_pk_add_f32 v[36:37], v[36:37], v[80:81]
.LBB148_309:                            ;   in Loop: Header=BB148_3 Depth=1
	s_or_b32 exec_lo, exec_lo, s6
.LBB148_310:                            ;   in Loop: Header=BB148_3 Depth=1
	s_delay_alu instid0(SALU_CYCLE_1) | instskip(NEXT) | instid1(SALU_CYCLE_1)
	s_or_b32 exec_lo, exec_lo, s70
	s_mov_b32 s6, exec_lo
	v_readlane_b32 s8, v90, 1
	s_and_b32 s8, s6, s8
	s_delay_alu instid0(SALU_CYCLE_1)
	s_mov_b32 exec_lo, s8
	s_cbranch_execz .LBB148_312
; %bb.311:                              ;   in Loop: Header=BB148_3 Depth=1
	ds_load_b64 v[38:39], v5 offset:24440
	s_wait_dscnt 0x0
	v_pk_mul_f32 v[40:41], v[36:37], v[38:39] op_sel:[1,1] op_sel_hi:[1,0]
	s_delay_alu instid0(VALU_DEP_1) | instskip(SKIP_1) | instid1(VALU_DEP_2)
	v_pk_fma_f32 v[80:81], v[36:37], v[38:39], v[40:41] op_sel_hi:[0,1,1]
	v_pk_fma_f32 v[36:37], v[36:37], v[38:39], v[40:41] neg_lo:[0,0,1] neg_hi:[0,0,1]
	v_mov_b32_e32 v37, v81
	s_delay_alu instid0(VALU_DEP_1)
	v_pk_add_f32 v[38:39], v[36:37], 0 neg_lo:[1,1] neg_hi:[1,1]
	ds_store_b64 v55, v[38:39]
.LBB148_312:                            ;   in Loop: Header=BB148_3 Depth=1
	s_or_b32 exec_lo, exec_lo, s6
	s_wait_loadcnt_dscnt 0x0
	s_barrier_signal -1
	s_barrier_wait -1
	s_mov_b32 s6, exec_lo
	v_readlane_b32 s8, v90, 2
	s_and_b32 s8, s6, s8
	s_delay_alu instid0(SALU_CYCLE_1)
	s_mov_b32 exec_lo, s8
	s_cbranch_execz .LBB148_314
; %bb.313:                              ;   in Loop: Header=BB148_3 Depth=1
	ds_load_b64 v[38:39], v56 offset:24320
	ds_load_b64 v[40:41], v55
	s_wait_dscnt 0x0
	v_pk_mul_f32 v[80:81], v[40:41], v[38:39] op_sel:[1,1] op_sel_hi:[0,1]
	s_delay_alu instid0(VALU_DEP_1) | instskip(SKIP_1) | instid1(VALU_DEP_2)
	v_pk_fma_f32 v[82:83], v[40:41], v[38:39], v[80:81] op_sel_hi:[1,0,1]
	v_pk_fma_f32 v[38:39], v[40:41], v[38:39], v[80:81] neg_lo:[0,0,1] neg_hi:[0,0,1]
	v_mov_b32_e32 v39, v83
	s_delay_alu instid0(VALU_DEP_1)
	v_pk_add_f32 v[36:37], v[36:37], v[38:39] neg_lo:[0,1] neg_hi:[0,1]
.LBB148_314:                            ;   in Loop: Header=BB148_3 Depth=1
	s_or_b32 exec_lo, exec_lo, s6
	s_barrier_signal -1
	s_barrier_wait -1
	s_mov_b32 s6, exec_lo
	v_readlane_b32 s8, v90, 3
	s_and_b32 s8, s6, s8
	s_delay_alu instid0(SALU_CYCLE_1)
	s_mov_b32 exec_lo, s8
	s_cbranch_execz .LBB148_316
; %bb.315:                              ;   in Loop: Header=BB148_3 Depth=1
	ds_load_b64 v[38:39], v5 offset:23920
	s_wait_dscnt 0x0
	v_pk_mul_f32 v[40:41], v[36:37], v[38:39] op_sel:[1,1] op_sel_hi:[1,0]
	s_delay_alu instid0(VALU_DEP_1) | instskip(SKIP_1) | instid1(VALU_DEP_2)
	v_pk_fma_f32 v[80:81], v[36:37], v[38:39], v[40:41] op_sel_hi:[0,1,1]
	v_pk_fma_f32 v[36:37], v[36:37], v[38:39], v[40:41] neg_lo:[0,0,1] neg_hi:[0,0,1]
	v_mov_b32_e32 v37, v81
	s_delay_alu instid0(VALU_DEP_1)
	v_pk_add_f32 v[38:39], v[36:37], 0 neg_lo:[1,1] neg_hi:[1,1]
	ds_store_b64 v55, v[38:39]
.LBB148_316:                            ;   in Loop: Header=BB148_3 Depth=1
	s_or_b32 exec_lo, exec_lo, s6
	s_wait_dscnt 0x0
	s_barrier_signal -1
	s_barrier_wait -1
	s_mov_b32 s6, exec_lo
	v_readlane_b32 s8, v90, 4
	s_and_b32 s8, s6, s8
	s_delay_alu instid0(SALU_CYCLE_1)
	s_mov_b32 exec_lo, s8
	s_cbranch_execz .LBB148_318
; %bb.317:                              ;   in Loop: Header=BB148_3 Depth=1
	ds_load_b64 v[38:39], v56 offset:23808
	ds_load_b64 v[40:41], v55
	s_wait_dscnt 0x0
	v_pk_mul_f32 v[80:81], v[40:41], v[38:39] op_sel:[1,1] op_sel_hi:[0,1]
	s_delay_alu instid0(VALU_DEP_1) | instskip(SKIP_1) | instid1(VALU_DEP_2)
	v_pk_fma_f32 v[82:83], v[40:41], v[38:39], v[80:81] op_sel_hi:[1,0,1]
	v_pk_fma_f32 v[38:39], v[40:41], v[38:39], v[80:81] neg_lo:[0,0,1] neg_hi:[0,0,1]
	v_mov_b32_e32 v39, v83
	s_delay_alu instid0(VALU_DEP_1)
	v_pk_add_f32 v[36:37], v[36:37], v[38:39] neg_lo:[0,1] neg_hi:[0,1]
.LBB148_318:                            ;   in Loop: Header=BB148_3 Depth=1
	s_or_b32 exec_lo, exec_lo, s6
	s_barrier_signal -1
	s_barrier_wait -1
	s_mov_b32 s6, exec_lo
	v_readlane_b32 s8, v90, 5
	s_and_b32 s8, s6, s8
	s_delay_alu instid0(SALU_CYCLE_1)
	s_mov_b32 exec_lo, s8
	s_cbranch_execz .LBB148_320
; %bb.319:                              ;   in Loop: Header=BB148_3 Depth=1
	ds_load_b64 v[38:39], v5 offset:23400
	s_wait_dscnt 0x0
	v_pk_mul_f32 v[40:41], v[36:37], v[38:39] op_sel:[1,1] op_sel_hi:[1,0]
	s_delay_alu instid0(VALU_DEP_1) | instskip(SKIP_1) | instid1(VALU_DEP_2)
	v_pk_fma_f32 v[80:81], v[36:37], v[38:39], v[40:41] op_sel_hi:[0,1,1]
	v_pk_fma_f32 v[36:37], v[36:37], v[38:39], v[40:41] neg_lo:[0,0,1] neg_hi:[0,0,1]
	v_mov_b32_e32 v37, v81
	s_delay_alu instid0(VALU_DEP_1)
	v_pk_add_f32 v[38:39], v[36:37], 0 neg_lo:[1,1] neg_hi:[1,1]
	ds_store_b64 v55, v[38:39]
.LBB148_320:                            ;   in Loop: Header=BB148_3 Depth=1
	s_or_b32 exec_lo, exec_lo, s6
	s_wait_dscnt 0x0
	s_barrier_signal -1
	s_barrier_wait -1
	s_mov_b32 s6, exec_lo
	v_readlane_b32 s8, v90, 6
	s_and_b32 s8, s6, s8
	s_delay_alu instid0(SALU_CYCLE_1)
	s_mov_b32 exec_lo, s8
	s_cbranch_execz .LBB148_322
; %bb.321:                              ;   in Loop: Header=BB148_3 Depth=1
	ds_load_b64 v[38:39], v56 offset:23296
	ds_load_b64 v[40:41], v55
	s_wait_dscnt 0x0
	v_pk_mul_f32 v[80:81], v[40:41], v[38:39] op_sel:[1,1] op_sel_hi:[0,1]
	s_delay_alu instid0(VALU_DEP_1) | instskip(SKIP_1) | instid1(VALU_DEP_2)
	v_pk_fma_f32 v[82:83], v[40:41], v[38:39], v[80:81] op_sel_hi:[1,0,1]
	v_pk_fma_f32 v[38:39], v[40:41], v[38:39], v[80:81] neg_lo:[0,0,1] neg_hi:[0,0,1]
	v_mov_b32_e32 v39, v83
	s_delay_alu instid0(VALU_DEP_1)
	v_pk_add_f32 v[36:37], v[36:37], v[38:39] neg_lo:[0,1] neg_hi:[0,1]
.LBB148_322:                            ;   in Loop: Header=BB148_3 Depth=1
	s_or_b32 exec_lo, exec_lo, s6
	s_delay_alu instid0(VALU_DEP_1)
	v_dual_mov_b32 v38, v37 :: v_dual_mov_b32 v39, v36
	s_barrier_signal -1
	s_barrier_wait -1
	s_mov_b32 s6, exec_lo
	v_readlane_b32 s8, v90, 7
	s_and_b32 s8, s6, s8
	s_delay_alu instid0(SALU_CYCLE_1)
	s_mov_b32 exec_lo, s8
	s_cbranch_execz .LBB148_324
; %bb.323:                              ;   in Loop: Header=BB148_3 Depth=1
	ds_load_b64 v[40:41], v5 offset:22880
	s_wait_dscnt 0x0
	v_dual_mul_f32 v80, v39, v41 :: v_dual_mul_f32 v82, v37, v41
	s_delay_alu instid0(VALU_DEP_1) | instskip(NEXT) | instid1(VALU_DEP_2)
	v_pk_fma_f32 v[38:39], v[38:39], v[40:41], v[80:81] op_sel_hi:[1,1,0]
	v_pk_fma_f32 v[36:37], v[36:37], v[40:41], v[82:83] op_sel_hi:[1,1,0] neg_lo:[0,0,1] neg_hi:[0,0,1]
	s_delay_alu instid0(VALU_DEP_1) | instskip(NEXT) | instid1(VALU_DEP_1)
	v_dual_mov_b32 v37, v38 :: v_dual_mov_b32 v39, v36
	v_pk_add_f32 v[40:41], v[36:37], 0 neg_lo:[1,1] neg_hi:[1,1]
	ds_store_b64 v55, v[40:41]
.LBB148_324:                            ;   in Loop: Header=BB148_3 Depth=1
	s_or_b32 exec_lo, exec_lo, s6
	s_wait_dscnt 0x0
	s_barrier_signal -1
	s_barrier_wait -1
	s_mov_b32 s6, exec_lo
	v_readlane_b32 s8, v90, 8
	s_and_b32 s8, s6, s8
	s_delay_alu instid0(SALU_CYCLE_1)
	s_mov_b32 exec_lo, s8
	s_cbranch_execz .LBB148_326
; %bb.325:                              ;   in Loop: Header=BB148_3 Depth=1
	ds_load_b64 v[36:37], v56 offset:22784
	ds_load_b64 v[40:41], v55
	s_wait_dscnt 0x0
	v_dual_mul_f32 v79, v41, v37 :: v_dual_mul_f32 v80, v40, v37
	s_delay_alu instid0(VALU_DEP_1) | instskip(NEXT) | instid1(VALU_DEP_1)
	v_dual_fma_f32 v81, v40, v36, -v79 :: v_dual_fmac_f32 v80, v41, v36
	v_pk_add_f32 v[38:39], v[38:39], v[80:81] neg_lo:[0,1] neg_hi:[0,1]
.LBB148_326:                            ;   in Loop: Header=BB148_3 Depth=1
	s_or_b32 exec_lo, exec_lo, s6
	s_barrier_signal -1
	s_barrier_wait -1
	s_mov_b32 s6, exec_lo
	v_readlane_b32 s8, v90, 9
	s_and_b32 s8, s6, s8
	s_delay_alu instid0(SALU_CYCLE_1)
	s_mov_b32 exec_lo, s8
	s_cbranch_execz .LBB148_328
; %bb.327:                              ;   in Loop: Header=BB148_3 Depth=1
	ds_load_b64 v[36:37], v5 offset:22360
	s_wait_dscnt 0x0
	v_pk_mul_f32 v[40:41], v[38:39], v[36:37] op_sel_hi:[0,1]
	s_delay_alu instid0(VALU_DEP_1) | instskip(SKIP_1) | instid1(VALU_DEP_2)
	v_pk_fma_f32 v[80:81], v[38:39], v[36:37], v[40:41] op_sel:[1,1,0] op_sel_hi:[1,0,1] neg_lo:[0,0,1] neg_hi:[0,0,1]
	v_pk_fma_f32 v[38:39], v[38:39], v[36:37], v[40:41] op_sel:[1,1,0] op_sel_hi:[1,0,1]
	v_mov_b32_e32 v39, v81
	s_delay_alu instid0(VALU_DEP_2)
	v_xor_b32_e32 v37, 0x80000000, v38
	v_xor_b32_e32 v36, 0x80000000, v81
	ds_store_b64 v55, v[36:37]
.LBB148_328:                            ;   in Loop: Header=BB148_3 Depth=1
	s_or_b32 exec_lo, exec_lo, s6
	s_wait_dscnt 0x0
	s_barrier_signal -1
	s_barrier_wait -1
	s_and_saveexec_b32 s6, s25
	s_cbranch_execz .LBB148_330
; %bb.329:                              ;   in Loop: Header=BB148_3 Depth=1
	ds_load_b64 v[36:37], v56 offset:22272
	ds_load_b64 v[40:41], v55
	s_wait_dscnt 0x0
	v_pk_mul_f32 v[80:81], v[40:41], v[36:37] op_sel:[0,1]
	s_delay_alu instid0(VALU_DEP_1) | instskip(SKIP_1) | instid1(VALU_DEP_2)
	v_pk_fma_f32 v[82:83], v[40:41], v[36:37], v[80:81] op_sel:[1,0,0] op_sel_hi:[0,0,1] neg_lo:[0,0,1] neg_hi:[0,0,1]
	v_pk_fma_f32 v[36:37], v[40:41], v[36:37], v[80:81] op_sel:[1,0,0] op_sel_hi:[0,1,1]
	v_mov_b32_e32 v37, v83
	s_delay_alu instid0(VALU_DEP_1)
	v_pk_add_f32 v[38:39], v[38:39], v[36:37] neg_lo:[0,1] neg_hi:[0,1]
.LBB148_330:                            ;   in Loop: Header=BB148_3 Depth=1
	s_or_b32 exec_lo, exec_lo, s6
	s_barrier_signal -1
	s_barrier_wait -1
	s_and_saveexec_b32 s6, s27
	s_cbranch_execz .LBB148_332
; %bb.331:                              ;   in Loop: Header=BB148_3 Depth=1
	ds_load_b64 v[36:37], v5 offset:21840
	s_wait_dscnt 0x0
	v_pk_mul_f32 v[40:41], v[38:39], v[36:37] op_sel_hi:[0,1]
	s_delay_alu instid0(VALU_DEP_1) | instskip(SKIP_1) | instid1(VALU_DEP_2)
	v_pk_fma_f32 v[80:81], v[38:39], v[36:37], v[40:41] op_sel:[1,1,0] op_sel_hi:[1,0,1] neg_lo:[0,0,1] neg_hi:[0,0,1]
	v_pk_fma_f32 v[38:39], v[38:39], v[36:37], v[40:41] op_sel:[1,1,0] op_sel_hi:[1,0,1]
	v_mov_b32_e32 v39, v81
	s_delay_alu instid0(VALU_DEP_2)
	v_xor_b32_e32 v37, 0x80000000, v38
	v_xor_b32_e32 v36, 0x80000000, v81
	ds_store_b64 v55, v[36:37]
.LBB148_332:                            ;   in Loop: Header=BB148_3 Depth=1
	s_or_b32 exec_lo, exec_lo, s6
	s_wait_dscnt 0x0
	s_barrier_signal -1
	s_barrier_wait -1
	s_and_saveexec_b32 s6, s29
	s_cbranch_execz .LBB148_334
; %bb.333:                              ;   in Loop: Header=BB148_3 Depth=1
	ds_load_b64 v[36:37], v56 offset:21760
	ds_load_b64 v[40:41], v55
	s_wait_dscnt 0x0
	v_pk_mul_f32 v[80:81], v[40:41], v[36:37] op_sel:[0,1]
	s_delay_alu instid0(VALU_DEP_1) | instskip(SKIP_1) | instid1(VALU_DEP_2)
	v_pk_fma_f32 v[82:83], v[40:41], v[36:37], v[80:81] op_sel:[1,0,0] op_sel_hi:[0,0,1] neg_lo:[0,0,1] neg_hi:[0,0,1]
	v_pk_fma_f32 v[36:37], v[40:41], v[36:37], v[80:81] op_sel:[1,0,0] op_sel_hi:[0,1,1]
	v_mov_b32_e32 v37, v83
	s_delay_alu instid0(VALU_DEP_1)
	v_pk_add_f32 v[38:39], v[38:39], v[36:37] neg_lo:[0,1] neg_hi:[0,1]
.LBB148_334:                            ;   in Loop: Header=BB148_3 Depth=1
	s_or_b32 exec_lo, exec_lo, s6
	s_barrier_signal -1
	s_barrier_wait -1
	s_and_saveexec_b32 s6, s31
	s_cbranch_execz .LBB148_336
; %bb.335:                              ;   in Loop: Header=BB148_3 Depth=1
	ds_load_b64 v[36:37], v5 offset:21320
	s_wait_dscnt 0x0
	v_pk_mul_f32 v[40:41], v[38:39], v[36:37] op_sel_hi:[0,1]
	s_delay_alu instid0(VALU_DEP_1) | instskip(SKIP_1) | instid1(VALU_DEP_2)
	v_pk_fma_f32 v[80:81], v[38:39], v[36:37], v[40:41] op_sel:[1,1,0] op_sel_hi:[1,0,1] neg_lo:[0,0,1] neg_hi:[0,0,1]
	v_pk_fma_f32 v[38:39], v[38:39], v[36:37], v[40:41] op_sel:[1,1,0] op_sel_hi:[1,0,1]
	v_mov_b32_e32 v39, v81
	s_delay_alu instid0(VALU_DEP_2)
	v_xor_b32_e32 v37, 0x80000000, v38
	v_xor_b32_e32 v36, 0x80000000, v81
	ds_store_b64 v55, v[36:37]
.LBB148_336:                            ;   in Loop: Header=BB148_3 Depth=1
	s_or_b32 exec_lo, exec_lo, s6
	s_wait_dscnt 0x0
	s_barrier_signal -1
	s_barrier_wait -1
	s_and_saveexec_b32 s6, s34
	s_cbranch_execz .LBB148_338
; %bb.337:                              ;   in Loop: Header=BB148_3 Depth=1
	ds_load_b64 v[36:37], v56 offset:21248
	ds_load_b64 v[40:41], v55
	s_wait_dscnt 0x0
	v_pk_mul_f32 v[80:81], v[40:41], v[36:37] op_sel:[0,1]
	s_delay_alu instid0(VALU_DEP_1) | instskip(SKIP_1) | instid1(VALU_DEP_2)
	v_pk_fma_f32 v[82:83], v[40:41], v[36:37], v[80:81] op_sel:[1,0,0] op_sel_hi:[0,0,1] neg_lo:[0,0,1] neg_hi:[0,0,1]
	v_pk_fma_f32 v[36:37], v[40:41], v[36:37], v[80:81] op_sel:[1,0,0] op_sel_hi:[0,1,1]
	v_mov_b32_e32 v37, v83
	s_delay_alu instid0(VALU_DEP_1)
	v_pk_add_f32 v[38:39], v[38:39], v[36:37] neg_lo:[0,1] neg_hi:[0,1]
.LBB148_338:                            ;   in Loop: Header=BB148_3 Depth=1
	s_or_b32 exec_lo, exec_lo, s6
	s_delay_alu instid0(VALU_DEP_1)
	v_dual_mov_b32 v36, v39 :: v_dual_mov_b32 v37, v38
	s_barrier_signal -1
	s_barrier_wait -1
	s_and_saveexec_b32 s6, s38
	s_cbranch_execz .LBB148_340
; %bb.339:                              ;   in Loop: Header=BB148_3 Depth=1
	ds_load_b64 v[40:41], v5 offset:20800
	s_wait_dscnt 0x0
	v_dual_mul_f32 v80, v38, v40 :: v_dual_mul_f32 v82, v37, v41
	s_delay_alu instid0(VALU_DEP_1) | instskip(NEXT) | instid1(VALU_DEP_2)
	v_pk_fma_f32 v[38:39], v[38:39], v[40:41], v[80:81] op_sel_hi:[1,1,0]
	v_pk_fma_f32 v[36:37], v[36:37], v[40:41], v[82:83] op_sel_hi:[1,1,0] neg_lo:[0,0,1] neg_hi:[0,0,1]
	s_delay_alu instid0(VALU_DEP_2) | instskip(NEXT) | instid1(VALU_DEP_1)
	v_mov_b32_e32 v37, v39
	v_pk_add_f32 v[38:39], v[36:37], 0 neg_lo:[1,1] neg_hi:[1,1]
	ds_store_b64 v55, v[38:39]
.LBB148_340:                            ;   in Loop: Header=BB148_3 Depth=1
	s_or_b32 exec_lo, exec_lo, s6
	s_wait_dscnt 0x0
	s_barrier_signal -1
	s_barrier_wait -1
	s_and_saveexec_b32 s6, s39
	s_cbranch_execz .LBB148_342
; %bb.341:                              ;   in Loop: Header=BB148_3 Depth=1
	ds_load_b64 v[38:39], v56 offset:20736
	ds_load_b64 v[40:41], v55
	s_wait_dscnt 0x0
	v_dual_mul_f32 v79, v41, v39 :: v_dual_mul_f32 v81, v40, v39
	s_delay_alu instid0(VALU_DEP_1) | instskip(NEXT) | instid1(VALU_DEP_1)
	v_dual_fma_f32 v80, v40, v38, -v79 :: v_dual_fmac_f32 v81, v41, v38
	v_pk_add_f32 v[36:37], v[36:37], v[80:81] neg_lo:[0,1] neg_hi:[0,1]
.LBB148_342:                            ;   in Loop: Header=BB148_3 Depth=1
	s_or_b32 exec_lo, exec_lo, s6
	s_barrier_signal -1
	s_barrier_wait -1
	s_and_saveexec_b32 s6, s40
	s_cbranch_execz .LBB148_344
; %bb.343:                              ;   in Loop: Header=BB148_3 Depth=1
	ds_load_b64 v[38:39], v5 offset:20280
	s_wait_dscnt 0x0
	v_pk_mul_f32 v[40:41], v[36:37], v[38:39] op_sel:[1,1] op_sel_hi:[1,0]
	s_delay_alu instid0(VALU_DEP_1) | instskip(SKIP_1) | instid1(VALU_DEP_2)
	v_pk_fma_f32 v[80:81], v[36:37], v[38:39], v[40:41] op_sel_hi:[0,1,1]
	v_pk_fma_f32 v[36:37], v[36:37], v[38:39], v[40:41] neg_lo:[0,0,1] neg_hi:[0,0,1]
	v_mov_b32_e32 v37, v81
	s_delay_alu instid0(VALU_DEP_1)
	v_pk_add_f32 v[38:39], v[36:37], 0 neg_lo:[1,1] neg_hi:[1,1]
	ds_store_b64 v55, v[38:39]
.LBB148_344:                            ;   in Loop: Header=BB148_3 Depth=1
	s_or_b32 exec_lo, exec_lo, s6
	s_wait_dscnt 0x0
	s_barrier_signal -1
	s_barrier_wait -1
	s_and_saveexec_b32 s6, s41
	s_cbranch_execz .LBB148_346
; %bb.345:                              ;   in Loop: Header=BB148_3 Depth=1
	ds_load_b64 v[38:39], v56 offset:20224
	ds_load_b64 v[40:41], v55
	s_wait_dscnt 0x0
	v_pk_mul_f32 v[80:81], v[40:41], v[38:39] op_sel:[1,1] op_sel_hi:[0,1]
	s_delay_alu instid0(VALU_DEP_1) | instskip(SKIP_1) | instid1(VALU_DEP_2)
	v_pk_fma_f32 v[82:83], v[40:41], v[38:39], v[80:81] op_sel_hi:[1,0,1]
	v_pk_fma_f32 v[38:39], v[40:41], v[38:39], v[80:81] neg_lo:[0,0,1] neg_hi:[0,0,1]
	v_mov_b32_e32 v39, v83
	s_delay_alu instid0(VALU_DEP_1)
	v_pk_add_f32 v[36:37], v[36:37], v[38:39] neg_lo:[0,1] neg_hi:[0,1]
.LBB148_346:                            ;   in Loop: Header=BB148_3 Depth=1
	s_or_b32 exec_lo, exec_lo, s6
	s_barrier_signal -1
	s_barrier_wait -1
	s_and_saveexec_b32 s6, s9
	s_cbranch_execz .LBB148_348
; %bb.347:                              ;   in Loop: Header=BB148_3 Depth=1
	ds_load_b64 v[38:39], v5 offset:19760
	s_wait_dscnt 0x0
	v_pk_mul_f32 v[40:41], v[36:37], v[38:39] op_sel:[1,1] op_sel_hi:[1,0]
	s_delay_alu instid0(VALU_DEP_1) | instskip(SKIP_1) | instid1(VALU_DEP_2)
	v_pk_fma_f32 v[80:81], v[36:37], v[38:39], v[40:41] op_sel_hi:[0,1,1]
	v_pk_fma_f32 v[36:37], v[36:37], v[38:39], v[40:41] neg_lo:[0,0,1] neg_hi:[0,0,1]
	v_mov_b32_e32 v37, v81
	s_delay_alu instid0(VALU_DEP_1)
	v_pk_add_f32 v[38:39], v[36:37], 0 neg_lo:[1,1] neg_hi:[1,1]
	ds_store_b64 v55, v[38:39]
.LBB148_348:                            ;   in Loop: Header=BB148_3 Depth=1
	s_or_b32 exec_lo, exec_lo, s6
	s_wait_dscnt 0x0
	s_barrier_signal -1
	s_barrier_wait -1
	s_and_saveexec_b32 s6, s42
	s_cbranch_execz .LBB148_350
; %bb.349:                              ;   in Loop: Header=BB148_3 Depth=1
	ds_load_b64 v[38:39], v56 offset:19712
	ds_load_b64 v[40:41], v55
	s_wait_dscnt 0x0
	v_pk_mul_f32 v[80:81], v[40:41], v[38:39] op_sel:[1,1] op_sel_hi:[0,1]
	s_delay_alu instid0(VALU_DEP_1) | instskip(SKIP_1) | instid1(VALU_DEP_2)
	v_pk_fma_f32 v[82:83], v[40:41], v[38:39], v[80:81] op_sel_hi:[1,0,1]
	v_pk_fma_f32 v[38:39], v[40:41], v[38:39], v[80:81] neg_lo:[0,0,1] neg_hi:[0,0,1]
	v_mov_b32_e32 v39, v83
	s_delay_alu instid0(VALU_DEP_1)
	v_pk_add_f32 v[36:37], v[36:37], v[38:39] neg_lo:[0,1] neg_hi:[0,1]
.LBB148_350:                            ;   in Loop: Header=BB148_3 Depth=1
	;; [unrolled: 35-line block ×3, first 2 shown]
	s_or_b32 exec_lo, exec_lo, s6
	s_barrier_signal -1
	s_barrier_wait -1
	s_and_saveexec_b32 s6, s28
	s_cbranch_execz .LBB148_356
; %bb.355:                              ;   in Loop: Header=BB148_3 Depth=1
	ds_load_b64 v[38:39], v5 offset:18720
	s_wait_dscnt 0x0
	v_pk_mul_f32 v[40:41], v[36:37], v[38:39]
	v_pk_mul_f32 v[36:37], v[36:37], v[38:39] op_sel:[1,0] op_sel_hi:[0,1]
	s_delay_alu instid0(VALU_DEP_1) | instskip(NEXT) | instid1(VALU_DEP_3)
	v_dual_mov_b32 v38, v40 :: v_dual_mov_b32 v39, v36
	v_mov_b32_e32 v36, v41
	s_delay_alu instid0(VALU_DEP_1) | instskip(SKIP_1) | instid1(VALU_DEP_2)
	v_pk_add_f32 v[40:41], v[38:39], v[36:37]
	v_pk_add_f32 v[36:37], v[38:39], v[36:37] neg_lo:[0,1] neg_hi:[0,1]
	v_mov_b32_e32 v37, v41
	s_delay_alu instid0(VALU_DEP_1)
	v_pk_add_f32 v[38:39], v[36:37], 0 neg_lo:[1,1] neg_hi:[1,1]
	ds_store_b64 v55, v[38:39]
.LBB148_356:                            ;   in Loop: Header=BB148_3 Depth=1
	s_or_b32 exec_lo, exec_lo, s6
	s_wait_dscnt 0x0
	s_barrier_signal -1
	s_barrier_wait -1
	s_and_saveexec_b32 s6, s30
	s_cbranch_execz .LBB148_358
; %bb.357:                              ;   in Loop: Header=BB148_3 Depth=1
	ds_load_b64 v[38:39], v56 offset:18688
	ds_load_b64 v[40:41], v55
	s_wait_dscnt 0x0
	v_dual_mul_f32 v79, v41, v39 :: v_dual_mul_f32 v39, v40, v39
	s_delay_alu instid0(VALU_DEP_1) | instskip(NEXT) | instid1(VALU_DEP_1)
	v_fmac_f32_e32 v39, v41, v38
	v_dual_fma_f32 v40, v40, v38, -v79 :: v_dual_sub_f32 v37, v37, v39
	s_delay_alu instid0(VALU_DEP_1)
	v_sub_f32_e32 v36, v36, v40
.LBB148_358:                            ;   in Loop: Header=BB148_3 Depth=1
	s_or_b32 exec_lo, exec_lo, s6
	s_barrier_signal -1
	s_barrier_wait -1
	s_and_saveexec_b32 s6, s33
	s_cbranch_execz .LBB148_360
; %bb.359:                              ;   in Loop: Header=BB148_3 Depth=1
	ds_load_b64 v[38:39], v5 offset:18200
	s_wait_dscnt 0x0
	v_dual_mul_f32 v40, v37, v38 :: v_dual_mul_f32 v80, v37, v39
	s_delay_alu instid0(VALU_DEP_1) | instskip(NEXT) | instid1(VALU_DEP_2)
	v_pk_fma_f32 v[40:41], v[36:37], v[38:39], v[40:41] op_sel:[1,0,0] op_sel_hi:[0,1,0]
	v_pk_fma_f32 v[36:37], v[36:37], v[38:39], v[80:81] op_sel_hi:[1,1,0] neg_lo:[0,0,1] neg_hi:[0,0,1]
	s_delay_alu instid0(VALU_DEP_2) | instskip(NEXT) | instid1(VALU_DEP_1)
	v_mov_b32_e32 v37, v41
	v_pk_add_f32 v[38:39], v[36:37], 0 neg_lo:[1,1] neg_hi:[1,1]
	ds_store_b64 v55, v[38:39]
.LBB148_360:                            ;   in Loop: Header=BB148_3 Depth=1
	s_or_b32 exec_lo, exec_lo, s6
	s_wait_dscnt 0x0
	s_barrier_signal -1
	s_barrier_wait -1
	s_and_saveexec_b32 s6, s103
	s_cbranch_execz .LBB148_362
; %bb.361:                              ;   in Loop: Header=BB148_3 Depth=1
	ds_load_b64 v[38:39], v56 offset:18176
	ds_load_b64 v[40:41], v55
	s_wait_dscnt 0x0
	v_pk_mul_f32 v[80:81], v[40:41], v[38:39] op_sel:[1,1] op_sel_hi:[0,1]
	s_delay_alu instid0(VALU_DEP_1) | instskip(SKIP_1) | instid1(VALU_DEP_2)
	v_pk_fma_f32 v[82:83], v[40:41], v[38:39], v[80:81] op_sel_hi:[1,0,1]
	v_pk_fma_f32 v[38:39], v[40:41], v[38:39], v[80:81] neg_lo:[0,0,1] neg_hi:[0,0,1]
	v_mov_b32_e32 v39, v83
	s_delay_alu instid0(VALU_DEP_1)
	v_pk_add_f32 v[36:37], v[36:37], v[38:39] neg_lo:[0,1] neg_hi:[0,1]
.LBB148_362:                            ;   in Loop: Header=BB148_3 Depth=1
	s_or_b32 exec_lo, exec_lo, s6
	s_barrier_signal -1
	s_barrier_wait -1
	s_and_saveexec_b32 s6, s64
	s_cbranch_execz .LBB148_364
; %bb.363:                              ;   in Loop: Header=BB148_3 Depth=1
	ds_load_b64 v[38:39], v5 offset:17680
	s_wait_dscnt 0x0
	v_pk_mul_f32 v[40:41], v[36:37], v[38:39] op_sel:[1,1] op_sel_hi:[1,0]
	s_delay_alu instid0(VALU_DEP_1) | instskip(SKIP_1) | instid1(VALU_DEP_2)
	v_pk_fma_f32 v[80:81], v[36:37], v[38:39], v[40:41] op_sel_hi:[0,1,1]
	v_pk_fma_f32 v[36:37], v[36:37], v[38:39], v[40:41] neg_lo:[0,0,1] neg_hi:[0,0,1]
	v_mov_b32_e32 v37, v81
	s_delay_alu instid0(VALU_DEP_1)
	v_pk_add_f32 v[38:39], v[36:37], 0 neg_lo:[1,1] neg_hi:[1,1]
	ds_store_b64 v55, v[38:39]
.LBB148_364:                            ;   in Loop: Header=BB148_3 Depth=1
	s_or_b32 exec_lo, exec_lo, s6
	s_wait_dscnt 0x0
	s_barrier_signal -1
	s_barrier_wait -1
	s_and_saveexec_b32 s6, s65
	s_cbranch_execz .LBB148_366
; %bb.365:                              ;   in Loop: Header=BB148_3 Depth=1
	ds_load_b64 v[38:39], v56 offset:17664
	ds_load_b64 v[40:41], v55
	s_wait_dscnt 0x0
	v_pk_mul_f32 v[80:81], v[40:41], v[38:39] op_sel:[1,1] op_sel_hi:[0,1]
	s_delay_alu instid0(VALU_DEP_1) | instskip(SKIP_1) | instid1(VALU_DEP_2)
	v_pk_fma_f32 v[82:83], v[40:41], v[38:39], v[80:81] op_sel_hi:[1,0,1]
	v_pk_fma_f32 v[38:39], v[40:41], v[38:39], v[80:81] neg_lo:[0,0,1] neg_hi:[0,0,1]
	v_mov_b32_e32 v39, v83
	s_delay_alu instid0(VALU_DEP_1)
	v_pk_add_f32 v[36:37], v[36:37], v[38:39] neg_lo:[0,1] neg_hi:[0,1]
.LBB148_366:                            ;   in Loop: Header=BB148_3 Depth=1
	s_or_b32 exec_lo, exec_lo, s6
	s_barrier_signal -1
	s_barrier_wait -1
	s_and_saveexec_b32 s6, s66
	s_cbranch_execz .LBB148_368
; %bb.367:                              ;   in Loop: Header=BB148_3 Depth=1
	ds_load_b64 v[38:39], v5 offset:17160
	s_wait_dscnt 0x0
	v_pk_mul_f32 v[40:41], v[36:37], v[38:39] op_sel:[1,1] op_sel_hi:[1,0]
	s_delay_alu instid0(VALU_DEP_1) | instskip(SKIP_1) | instid1(VALU_DEP_2)
	v_pk_fma_f32 v[80:81], v[36:37], v[38:39], v[40:41] op_sel_hi:[0,1,1]
	v_pk_fma_f32 v[36:37], v[36:37], v[38:39], v[40:41] neg_lo:[0,0,1] neg_hi:[0,0,1]
	v_mov_b32_e32 v37, v81
	s_delay_alu instid0(VALU_DEP_1)
	v_pk_add_f32 v[38:39], v[36:37], 0 neg_lo:[1,1] neg_hi:[1,1]
	ds_store_b64 v55, v[38:39]
.LBB148_368:                            ;   in Loop: Header=BB148_3 Depth=1
	s_or_b32 exec_lo, exec_lo, s6
	s_wait_dscnt 0x0
	s_barrier_signal -1
	s_barrier_wait -1
	s_and_saveexec_b32 s6, s67
	s_cbranch_execz .LBB148_370
; %bb.369:                              ;   in Loop: Header=BB148_3 Depth=1
	ds_load_b64 v[38:39], v5 offset:17152
	ds_load_b64 v[40:41], v55
	s_wait_dscnt 0x0
	v_pk_mul_f32 v[80:81], v[40:41], v[38:39] op_sel:[1,1] op_sel_hi:[0,1]
	s_delay_alu instid0(VALU_DEP_1) | instskip(SKIP_1) | instid1(VALU_DEP_2)
	v_pk_fma_f32 v[82:83], v[40:41], v[38:39], v[80:81] op_sel_hi:[1,0,1]
	v_pk_fma_f32 v[38:39], v[40:41], v[38:39], v[80:81] neg_lo:[0,0,1] neg_hi:[0,0,1]
	v_mov_b32_e32 v39, v83
	s_delay_alu instid0(VALU_DEP_1)
	v_pk_add_f32 v[36:37], v[36:37], v[38:39] neg_lo:[0,1] neg_hi:[0,1]
.LBB148_370:                            ;   in Loop: Header=BB148_3 Depth=1
	s_or_b32 exec_lo, exec_lo, s6
	s_barrier_signal -1
	s_barrier_wait -1
	s_and_saveexec_b32 s6, s67
	s_cbranch_execz .LBB148_372
; %bb.371:                              ;   in Loop: Header=BB148_3 Depth=1
	ds_load_b64 v[38:39], v5 offset:16640
	s_wait_dscnt 0x0
	v_pk_mul_f32 v[40:41], v[36:37], v[38:39] op_sel:[1,1] op_sel_hi:[1,0]
	s_delay_alu instid0(VALU_DEP_1) | instskip(SKIP_1) | instid1(VALU_DEP_2)
	v_pk_fma_f32 v[80:81], v[36:37], v[38:39], v[40:41] op_sel_hi:[0,1,1]
	v_pk_fma_f32 v[36:37], v[36:37], v[38:39], v[40:41] neg_lo:[0,0,1] neg_hi:[0,0,1]
	v_mov_b32_e32 v37, v81
	s_delay_alu instid0(VALU_DEP_1)
	v_pk_add_f32 v[38:39], v[36:37], 0 neg_lo:[1,1] neg_hi:[1,1]
	ds_store_b64 v55, v[38:39]
.LBB148_372:                            ;   in Loop: Header=BB148_3 Depth=1
	s_or_b32 exec_lo, exec_lo, s6
	s_wait_dscnt 0x0
	s_barrier_signal -1
	s_barrier_wait -1
	s_barrier_signal -1
	s_barrier_wait -1
	s_and_saveexec_b32 s6, s4
; %bb.373:                              ;   in Loop: Header=BB148_3 Depth=1
	ds_store_b64 v59, v[36:37] offset:32512
; %bb.374:                              ;   in Loop: Header=BB148_3 Depth=1
	s_or_b32 exec_lo, exec_lo, s6
	s_wait_dscnt 0x0
	s_barrier_signal -1
	s_barrier_wait -1
	s_barrier_signal -1
	s_barrier_wait -1
	s_and_saveexec_b32 s6, s14
	s_cbranch_execz .LBB148_376
; %bb.375:                              ;   in Loop: Header=BB148_3 Depth=1
	v_add_nc_u32_e64 v36, 0x170, 0
	ds_load_b64 v[40:41], v5 offset:24440
	ds_load_2addr_stride64_b64 v[36:39], v36 offset0:46 offset1:47
	s_wait_dscnt 0x0
	v_dual_mul_f32 v79, v41, v37 :: v_dual_mul_f32 v80, v40, v37
	s_delay_alu instid0(VALU_DEP_1) | instskip(NEXT) | instid1(VALU_DEP_1)
	v_xor_b32_e32 v82, 0x80000000, v79
	v_dual_fmac_f32 v80, v41, v36 :: v_dual_fmac_f32 v82, v40, v36
	s_delay_alu instid0(VALU_DEP_1) | instskip(NEXT) | instid1(VALU_DEP_1)
	v_pk_mul_f32 v[36:37], v[80:81], v[38:39] op_sel:[0,1] op_sel_hi:[0,0]
	v_pk_fma_f32 v[40:41], v[82:83], v[38:39], v[36:37] op_sel_hi:[0,1,1]
	v_pk_fma_f32 v[36:37], v[82:83], v[38:39], v[36:37] neg_lo:[0,0,1] neg_hi:[0,0,1]
	s_delay_alu instid0(VALU_DEP_2)
	v_mov_b32_e32 v37, v41
	ds_store_b64 v5, v[36:37] offset:24432
.LBB148_376:                            ;   in Loop: Header=BB148_3 Depth=1
	s_or_b32 exec_lo, exec_lo, s6
	v_dual_mov_b32 v36, 0 :: v_dual_mov_b32 v37, 0
	s_wait_dscnt 0x0
	s_barrier_signal -1
	s_barrier_wait -1
	global_wb scope:SCOPE_DEV
	s_wait_storecnt 0x0
	global_inv scope:SCOPE_DEV
	s_and_saveexec_b32 s6, s1
	s_cbranch_execz .LBB148_380
; %bb.377:                              ;   in Loop: Header=BB148_3 Depth=1
	ds_load_b64 v[36:37], v43 offset:23904
	ds_load_b64 v[38:39], v44 offset:24432
	s_wait_dscnt 0x0
	v_pk_mul_f32 v[40:41], v[38:39], v[36:37] op_sel:[1,1] op_sel_hi:[0,1]
	s_delay_alu instid0(VALU_DEP_1) | instskip(SKIP_1) | instid1(VALU_DEP_2)
	v_pk_fma_f32 v[80:81], v[38:39], v[36:37], v[40:41] op_sel_hi:[1,0,1]
	v_pk_fma_f32 v[36:37], v[38:39], v[36:37], v[40:41] neg_lo:[0,0,1] neg_hi:[0,0,1]
	v_mov_b32_e32 v37, v81
	s_delay_alu instid0(VALU_DEP_1)
	v_pk_add_f32 v[36:37], v[36:37], 0 op_sel_hi:[1,0]
	s_and_saveexec_b32 s8, s15
	s_cbranch_execz .LBB148_379
; %bb.378:                              ;   in Loop: Header=BB148_3 Depth=1
	ds_load_b64 v[38:39], v45 offset:24416
	ds_load_b64 v[40:41], v5 offset:24440
	s_wait_dscnt 0x0
	v_pk_mul_f32 v[80:81], v[40:41], v[38:39] op_sel:[1,1] op_sel_hi:[0,1]
	s_delay_alu instid0(VALU_DEP_1) | instskip(SKIP_1) | instid1(VALU_DEP_2)
	v_pk_fma_f32 v[82:83], v[40:41], v[38:39], v[80:81] op_sel_hi:[1,0,1]
	v_pk_fma_f32 v[38:39], v[40:41], v[38:39], v[80:81] neg_lo:[0,0,1] neg_hi:[0,0,1]
	v_mov_b32_e32 v39, v83
	s_delay_alu instid0(VALU_DEP_1)
	v_pk_add_f32 v[36:37], v[36:37], v[38:39]
.LBB148_379:                            ;   in Loop: Header=BB148_3 Depth=1
	s_or_b32 exec_lo, exec_lo, s8
.LBB148_380:                            ;   in Loop: Header=BB148_3 Depth=1
	s_delay_alu instid0(SALU_CYCLE_1)
	s_or_b32 exec_lo, exec_lo, s6
	s_and_saveexec_b32 s6, vcc_hi
	s_cbranch_execz .LBB148_382
; %bb.381:                              ;   in Loop: Header=BB148_3 Depth=1
	ds_load_b64 v[38:39], v5 offset:23400
	s_wait_dscnt 0x0
	v_pk_mul_f32 v[40:41], v[36:37], v[38:39] op_sel:[1,1] op_sel_hi:[1,0]
	s_delay_alu instid0(VALU_DEP_1) | instskip(SKIP_1) | instid1(VALU_DEP_2)
	v_pk_fma_f32 v[80:81], v[36:37], v[38:39], v[40:41] op_sel_hi:[0,1,1]
	v_pk_fma_f32 v[36:37], v[36:37], v[38:39], v[40:41] neg_lo:[0,0,1] neg_hi:[0,0,1]
	v_mov_b32_e32 v37, v81
	s_delay_alu instid0(VALU_DEP_1)
	v_pk_add_f32 v[38:39], v[36:37], 0 neg_lo:[1,1] neg_hi:[1,1]
	ds_store_b64 v3, v[38:39]
.LBB148_382:                            ;   in Loop: Header=BB148_3 Depth=1
	s_or_b32 exec_lo, exec_lo, s6
	s_wait_loadcnt_dscnt 0x0
	s_barrier_signal -1
	s_barrier_wait -1
	s_and_saveexec_b32 s6, s43
	s_cbranch_execz .LBB148_384
; %bb.383:                              ;   in Loop: Header=BB148_3 Depth=1
	ds_load_b64 v[38:39], v5 offset:23392
	ds_load_b64 v[40:41], v3
	s_wait_dscnt 0x0
	v_pk_mul_f32 v[80:81], v[40:41], v[38:39] op_sel:[1,1] op_sel_hi:[0,1]
	s_delay_alu instid0(VALU_DEP_1) | instskip(SKIP_1) | instid1(VALU_DEP_2)
	v_pk_fma_f32 v[82:83], v[40:41], v[38:39], v[80:81] op_sel_hi:[1,0,1]
	v_pk_fma_f32 v[38:39], v[40:41], v[38:39], v[80:81] neg_lo:[0,0,1] neg_hi:[0,0,1]
	v_mov_b32_e32 v39, v83
	s_delay_alu instid0(VALU_DEP_1)
	v_pk_add_f32 v[36:37], v[36:37], v[38:39] neg_lo:[0,1] neg_hi:[0,1]
.LBB148_384:                            ;   in Loop: Header=BB148_3 Depth=1
	s_or_b32 exec_lo, exec_lo, s6
	s_barrier_signal -1
	s_barrier_wait -1
	s_and_saveexec_b32 s6, s43
	s_cbranch_execz .LBB148_386
; %bb.385:                              ;   in Loop: Header=BB148_3 Depth=1
	ds_load_b64 v[38:39], v5 offset:22880
	s_wait_dscnt 0x0
	v_pk_mul_f32 v[40:41], v[36:37], v[38:39] op_sel:[1,1] op_sel_hi:[1,0]
	s_delay_alu instid0(VALU_DEP_1) | instskip(SKIP_1) | instid1(VALU_DEP_2)
	v_pk_fma_f32 v[80:81], v[36:37], v[38:39], v[40:41] op_sel_hi:[0,1,1]
	v_pk_fma_f32 v[36:37], v[36:37], v[38:39], v[40:41] neg_lo:[0,0,1] neg_hi:[0,0,1]
	v_mov_b32_e32 v37, v81
	s_delay_alu instid0(VALU_DEP_1)
	v_pk_add_f32 v[38:39], v[36:37], 0 neg_lo:[1,1] neg_hi:[1,1]
	ds_store_b64 v3, v[38:39]
.LBB148_386:                            ;   in Loop: Header=BB148_3 Depth=1
	s_or_b32 exec_lo, exec_lo, s6
	s_wait_dscnt 0x0
	s_barrier_signal -1
	s_barrier_wait -1
	s_barrier_signal -1
	s_barrier_wait -1
	s_and_saveexec_b32 s6, s1
; %bb.387:                              ;   in Loop: Header=BB148_3 Depth=1
	ds_store_b64 v46, v[36:37] offset:24416
; %bb.388:                              ;   in Loop: Header=BB148_3 Depth=1
	s_or_b32 exec_lo, exec_lo, s6
	s_wait_dscnt 0x0
	s_barrier_signal -1
	s_barrier_wait -1
	s_barrier_signal -1
	s_barrier_wait -1
	s_and_saveexec_b32 s6, s14
	s_cbranch_execz .LBB148_390
; %bb.389:                              ;   in Loop: Header=BB148_3 Depth=1
	v_add_nc_u32_e64 v36, 0x160, 0
	ds_load_b64 v[40:41], v5 offset:23400
	ds_load_2addr_stride64_b64 v[36:39], v36 offset0:44 offset1:45
	s_wait_dscnt 0x0
	v_dual_mul_f32 v79, v41, v37 :: v_dual_mul_f32 v80, v40, v37
	s_delay_alu instid0(VALU_DEP_1) | instskip(NEXT) | instid1(VALU_DEP_1)
	v_xor_b32_e32 v82, 0x80000000, v79
	v_dual_fmac_f32 v80, v41, v36 :: v_dual_fmac_f32 v82, v40, v36
	s_delay_alu instid0(VALU_DEP_1) | instskip(NEXT) | instid1(VALU_DEP_1)
	v_pk_mul_f32 v[36:37], v[80:81], v[38:39] op_sel:[0,1] op_sel_hi:[0,0]
	v_pk_fma_f32 v[40:41], v[82:83], v[38:39], v[36:37] op_sel_hi:[0,1,1]
	v_pk_fma_f32 v[36:37], v[82:83], v[38:39], v[36:37] neg_lo:[0,0,1] neg_hi:[0,0,1]
	s_delay_alu instid0(VALU_DEP_2)
	v_mov_b32_e32 v37, v41
	ds_store_b64 v5, v[36:37] offset:23392
.LBB148_390:                            ;   in Loop: Header=BB148_3 Depth=1
	s_or_b32 exec_lo, exec_lo, s6
	v_mov_b64_e32 v[36:37], 0
	s_wait_dscnt 0x0
	s_barrier_signal -1
	s_barrier_wait -1
	global_wb scope:SCOPE_DEV
	s_wait_storecnt 0x0
	global_inv scope:SCOPE_DEV
	s_and_saveexec_b32 s8, s2
	s_cbranch_execz .LBB148_396
; %bb.391:                              ;   in Loop: Header=BB148_3 Depth=1
	ds_load_b64 v[36:37], v48 offset:22848
	ds_load_b64 v[38:39], v49 offset:24416
	s_wait_dscnt 0x0
	v_dual_mul_f32 v40, v39, v37 :: v_dual_mul_f32 v37, v38, v37
	s_delay_alu instid0(VALU_DEP_1) | instskip(NEXT) | instid1(VALU_DEP_1)
	v_dual_fma_f32 v38, v38, v36, -v40 :: v_dual_fmac_f32 v37, v39, v36
	v_dual_add_f32 v36, 0, v38 :: v_dual_add_f32 v37, 0, v37
	s_and_saveexec_b32 s6, s16
	s_cbranch_execnz .LBB148_1062
; %bb.392:                              ;   in Loop: Header=BB148_3 Depth=1
	s_or_b32 exec_lo, exec_lo, s6
	s_and_saveexec_b32 s6, s17
	s_cbranch_execnz .LBB148_1063
.LBB148_393:                            ;   in Loop: Header=BB148_3 Depth=1
	s_or_b32 exec_lo, exec_lo, s6
	s_and_saveexec_b32 s6, s1
	s_cbranch_execz .LBB148_395
.LBB148_394:                            ;   in Loop: Header=BB148_3 Depth=1
	ds_load_b64 v[38:39], v45 offset:24384
	ds_load_b64 v[40:41], v5 offset:24440
	s_wait_dscnt 0x0
	v_dual_mul_f32 v79, v41, v39 :: v_dual_mul_f32 v39, v40, v39
	s_delay_alu instid0(VALU_DEP_1) | instskip(NEXT) | instid1(VALU_DEP_1)
	v_fmac_f32_e32 v39, v41, v38
	v_dual_fma_f32 v40, v40, v38, -v79 :: v_dual_add_f32 v37, v37, v39
	s_delay_alu instid0(VALU_DEP_1)
	v_add_f32_e32 v36, v36, v40
.LBB148_395:                            ;   in Loop: Header=BB148_3 Depth=1
	s_or_b32 exec_lo, exec_lo, s6
.LBB148_396:                            ;   in Loop: Header=BB148_3 Depth=1
	s_delay_alu instid0(SALU_CYCLE_1)
	s_or_b32 exec_lo, exec_lo, s8
	s_and_saveexec_b32 s6, s44
	s_cbranch_execz .LBB148_398
; %bb.397:                              ;   in Loop: Header=BB148_3 Depth=1
	ds_load_b64 v[38:39], v5 offset:22360
	s_wait_dscnt 0x0
	v_dual_mul_f32 v40, v37, v38 :: v_dual_mul_f32 v80, v37, v39
	s_delay_alu instid0(VALU_DEP_1) | instskip(NEXT) | instid1(VALU_DEP_2)
	v_pk_fma_f32 v[40:41], v[36:37], v[38:39], v[40:41] op_sel:[1,0,0] op_sel_hi:[0,1,0]
	v_pk_fma_f32 v[36:37], v[36:37], v[38:39], v[80:81] op_sel_hi:[1,1,0] neg_lo:[0,0,1] neg_hi:[0,0,1]
	s_delay_alu instid0(VALU_DEP_2) | instskip(NEXT) | instid1(VALU_DEP_1)
	v_mov_b32_e32 v37, v41
	v_pk_add_f32 v[38:39], v[36:37], 0 neg_lo:[1,1] neg_hi:[1,1]
	ds_store_b64 v47, v[38:39]
.LBB148_398:                            ;   in Loop: Header=BB148_3 Depth=1
	s_or_b32 exec_lo, exec_lo, s6
	s_wait_loadcnt_dscnt 0x0
	s_barrier_signal -1
	s_barrier_wait -1
	s_and_saveexec_b32 s6, s45
	s_cbranch_execz .LBB148_400
; %bb.399:                              ;   in Loop: Header=BB148_3 Depth=1
	ds_load_b64 v[38:39], v48 offset:22336
	ds_load_b64 v[40:41], v47
	s_wait_dscnt 0x0
	v_pk_mul_f32 v[80:81], v[40:41], v[38:39] op_sel:[1,1] op_sel_hi:[0,1]
	s_delay_alu instid0(VALU_DEP_1) | instskip(SKIP_1) | instid1(VALU_DEP_2)
	v_pk_fma_f32 v[82:83], v[40:41], v[38:39], v[80:81] op_sel_hi:[1,0,1]
	v_pk_fma_f32 v[38:39], v[40:41], v[38:39], v[80:81] neg_lo:[0,0,1] neg_hi:[0,0,1]
	v_mov_b32_e32 v39, v83
	s_delay_alu instid0(VALU_DEP_1)
	v_pk_add_f32 v[36:37], v[36:37], v[38:39] neg_lo:[0,1] neg_hi:[0,1]
.LBB148_400:                            ;   in Loop: Header=BB148_3 Depth=1
	s_or_b32 exec_lo, exec_lo, s6
	s_barrier_signal -1
	s_barrier_wait -1
	s_and_saveexec_b32 s6, s46
	s_cbranch_execz .LBB148_402
; %bb.401:                              ;   in Loop: Header=BB148_3 Depth=1
	ds_load_b64 v[38:39], v5 offset:21840
	s_wait_dscnt 0x0
	v_pk_mul_f32 v[40:41], v[36:37], v[38:39] op_sel:[1,1] op_sel_hi:[1,0]
	s_delay_alu instid0(VALU_DEP_1) | instskip(SKIP_1) | instid1(VALU_DEP_2)
	v_pk_fma_f32 v[80:81], v[36:37], v[38:39], v[40:41] op_sel_hi:[0,1,1]
	v_pk_fma_f32 v[36:37], v[36:37], v[38:39], v[40:41] neg_lo:[0,0,1] neg_hi:[0,0,1]
	v_mov_b32_e32 v37, v81
	s_delay_alu instid0(VALU_DEP_1)
	v_pk_add_f32 v[38:39], v[36:37], 0 neg_lo:[1,1] neg_hi:[1,1]
	ds_store_b64 v47, v[38:39]
.LBB148_402:                            ;   in Loop: Header=BB148_3 Depth=1
	s_or_b32 exec_lo, exec_lo, s6
	s_wait_dscnt 0x0
	s_barrier_signal -1
	s_barrier_wait -1
	s_and_saveexec_b32 s6, s47
	s_cbranch_execz .LBB148_404
; %bb.403:                              ;   in Loop: Header=BB148_3 Depth=1
	ds_load_b64 v[38:39], v48 offset:21824
	ds_load_b64 v[40:41], v47
	s_wait_dscnt 0x0
	v_pk_mul_f32 v[80:81], v[40:41], v[38:39] op_sel:[1,1] op_sel_hi:[0,1]
	s_delay_alu instid0(VALU_DEP_1) | instskip(SKIP_1) | instid1(VALU_DEP_2)
	v_pk_fma_f32 v[82:83], v[40:41], v[38:39], v[80:81] op_sel_hi:[1,0,1]
	v_pk_fma_f32 v[38:39], v[40:41], v[38:39], v[80:81] neg_lo:[0,0,1] neg_hi:[0,0,1]
	v_mov_b32_e32 v39, v83
	s_delay_alu instid0(VALU_DEP_1)
	v_pk_add_f32 v[36:37], v[36:37], v[38:39] neg_lo:[0,1] neg_hi:[0,1]
.LBB148_404:                            ;   in Loop: Header=BB148_3 Depth=1
	s_or_b32 exec_lo, exec_lo, s6
	s_barrier_signal -1
	s_barrier_wait -1
	s_and_saveexec_b32 s6, s48
	s_cbranch_execz .LBB148_406
; %bb.405:                              ;   in Loop: Header=BB148_3 Depth=1
	ds_load_b64 v[38:39], v5 offset:21320
	s_wait_dscnt 0x0
	v_pk_mul_f32 v[40:41], v[36:37], v[38:39] op_sel:[1,1] op_sel_hi:[1,0]
	s_delay_alu instid0(VALU_DEP_1) | instskip(SKIP_1) | instid1(VALU_DEP_2)
	v_pk_fma_f32 v[80:81], v[36:37], v[38:39], v[40:41] op_sel_hi:[0,1,1]
	v_pk_fma_f32 v[36:37], v[36:37], v[38:39], v[40:41] neg_lo:[0,0,1] neg_hi:[0,0,1]
	v_mov_b32_e32 v37, v81
	s_delay_alu instid0(VALU_DEP_1)
	v_pk_add_f32 v[38:39], v[36:37], 0 neg_lo:[1,1] neg_hi:[1,1]
	ds_store_b64 v47, v[38:39]
.LBB148_406:                            ;   in Loop: Header=BB148_3 Depth=1
	s_or_b32 exec_lo, exec_lo, s6
	s_wait_dscnt 0x0
	;; [unrolled: 35-line block ×3, first 2 shown]
	s_barrier_signal -1
	s_barrier_wait -1
	s_barrier_signal -1
	s_barrier_wait -1
	s_and_saveexec_b32 s6, s2
; %bb.411:                              ;   in Loop: Header=BB148_3 Depth=1
	ds_store_b64 v50, v[36:37] offset:24384
; %bb.412:                              ;   in Loop: Header=BB148_3 Depth=1
	s_or_b32 exec_lo, exec_lo, s6
	s_wait_dscnt 0x0
	s_barrier_signal -1
	s_barrier_wait -1
	s_barrier_signal -1
	s_barrier_wait -1
	s_and_saveexec_b32 s6, s14
	s_cbranch_execz .LBB148_414
; %bb.413:                              ;   in Loop: Header=BB148_3 Depth=1
	v_add_nc_u32_e64 v36, 0x150, 0
	ds_load_b64 v[40:41], v5 offset:22360
	ds_load_2addr_stride64_b64 v[36:39], v36 offset0:42 offset1:43
	s_wait_dscnt 0x0
	v_dual_mul_f32 v79, v41, v37 :: v_dual_mul_f32 v80, v40, v37
	s_delay_alu instid0(VALU_DEP_1) | instskip(NEXT) | instid1(VALU_DEP_1)
	v_xor_b32_e32 v82, 0x80000000, v79
	v_dual_fmac_f32 v80, v41, v36 :: v_dual_fmac_f32 v82, v40, v36
	s_delay_alu instid0(VALU_DEP_1) | instskip(NEXT) | instid1(VALU_DEP_1)
	v_pk_mul_f32 v[36:37], v[80:81], v[38:39] op_sel:[0,1] op_sel_hi:[0,0]
	v_pk_fma_f32 v[40:41], v[82:83], v[38:39], v[36:37] op_sel_hi:[0,1,1]
	v_pk_fma_f32 v[36:37], v[82:83], v[38:39], v[36:37] neg_lo:[0,0,1] neg_hi:[0,0,1]
	s_delay_alu instid0(VALU_DEP_2)
	v_mov_b32_e32 v37, v41
	ds_store_b64 v5, v[36:37] offset:22352
.LBB148_414:                            ;   in Loop: Header=BB148_3 Depth=1
	s_or_b32 exec_lo, exec_lo, s6
	v_dual_mov_b32 v36, 0 :: v_dual_mov_b32 v37, 0
	s_wait_dscnt 0x0
	s_barrier_signal -1
	s_barrier_wait -1
	global_wb scope:SCOPE_DEV
	s_wait_storecnt 0x0
	global_inv scope:SCOPE_DEV
	s_and_saveexec_b32 s6, s1
	s_cbranch_execz .LBB148_418
; %bb.415:                              ;   in Loop: Header=BB148_3 Depth=1
	ds_load_b64 v[36:37], v43 offset:21824
	ds_load_b64 v[38:39], v44 offset:22352
	s_wait_dscnt 0x0
	v_pk_mul_f32 v[40:41], v[38:39], v[36:37] op_sel:[1,1] op_sel_hi:[0,1]
	s_delay_alu instid0(VALU_DEP_1) | instskip(SKIP_1) | instid1(VALU_DEP_2)
	v_pk_fma_f32 v[80:81], v[38:39], v[36:37], v[40:41] op_sel_hi:[1,0,1]
	v_pk_fma_f32 v[36:37], v[38:39], v[36:37], v[40:41] neg_lo:[0,0,1] neg_hi:[0,0,1]
	v_mov_b32_e32 v37, v81
	s_delay_alu instid0(VALU_DEP_1)
	v_pk_add_f32 v[36:37], v[36:37], 0 op_sel_hi:[1,0]
	s_and_saveexec_b32 s8, s15
	s_cbranch_execz .LBB148_417
; %bb.416:                              ;   in Loop: Header=BB148_3 Depth=1
	ds_load_b64 v[38:39], v45 offset:22336
	ds_load_b64 v[40:41], v5 offset:22360
	s_wait_dscnt 0x0
	v_pk_mul_f32 v[80:81], v[40:41], v[38:39] op_sel:[1,1] op_sel_hi:[0,1]
	s_delay_alu instid0(VALU_DEP_1) | instskip(SKIP_1) | instid1(VALU_DEP_2)
	v_pk_fma_f32 v[82:83], v[40:41], v[38:39], v[80:81] op_sel_hi:[1,0,1]
	v_pk_fma_f32 v[38:39], v[40:41], v[38:39], v[80:81] neg_lo:[0,0,1] neg_hi:[0,0,1]
	v_mov_b32_e32 v39, v83
	s_delay_alu instid0(VALU_DEP_1)
	v_pk_add_f32 v[36:37], v[36:37], v[38:39]
.LBB148_417:                            ;   in Loop: Header=BB148_3 Depth=1
	s_or_b32 exec_lo, exec_lo, s8
.LBB148_418:                            ;   in Loop: Header=BB148_3 Depth=1
	s_delay_alu instid0(SALU_CYCLE_1)
	s_or_b32 exec_lo, exec_lo, s6
	s_and_saveexec_b32 s6, vcc_hi
	s_cbranch_execz .LBB148_420
; %bb.419:                              ;   in Loop: Header=BB148_3 Depth=1
	ds_load_b64 v[38:39], v5 offset:21320
	s_wait_dscnt 0x0
	v_pk_mul_f32 v[40:41], v[36:37], v[38:39] op_sel:[1,1] op_sel_hi:[1,0]
	s_delay_alu instid0(VALU_DEP_1) | instskip(SKIP_1) | instid1(VALU_DEP_2)
	v_pk_fma_f32 v[80:81], v[36:37], v[38:39], v[40:41] op_sel_hi:[0,1,1]
	v_pk_fma_f32 v[36:37], v[36:37], v[38:39], v[40:41] neg_lo:[0,0,1] neg_hi:[0,0,1]
	v_mov_b32_e32 v37, v81
	s_delay_alu instid0(VALU_DEP_1)
	v_pk_add_f32 v[38:39], v[36:37], 0 neg_lo:[1,1] neg_hi:[1,1]
	ds_store_b64 v3, v[38:39]
.LBB148_420:                            ;   in Loop: Header=BB148_3 Depth=1
	s_or_b32 exec_lo, exec_lo, s6
	s_wait_loadcnt_dscnt 0x0
	s_barrier_signal -1
	s_barrier_wait -1
	s_and_saveexec_b32 s6, s43
	s_cbranch_execz .LBB148_422
; %bb.421:                              ;   in Loop: Header=BB148_3 Depth=1
	ds_load_b64 v[38:39], v5 offset:21312
	ds_load_b64 v[40:41], v3
	s_wait_dscnt 0x0
	v_pk_mul_f32 v[80:81], v[40:41], v[38:39] op_sel:[1,1] op_sel_hi:[0,1]
	s_delay_alu instid0(VALU_DEP_1) | instskip(SKIP_1) | instid1(VALU_DEP_2)
	v_pk_fma_f32 v[82:83], v[40:41], v[38:39], v[80:81] op_sel_hi:[1,0,1]
	v_pk_fma_f32 v[38:39], v[40:41], v[38:39], v[80:81] neg_lo:[0,0,1] neg_hi:[0,0,1]
	v_mov_b32_e32 v39, v83
	s_delay_alu instid0(VALU_DEP_1)
	v_pk_add_f32 v[36:37], v[36:37], v[38:39] neg_lo:[0,1] neg_hi:[0,1]
.LBB148_422:                            ;   in Loop: Header=BB148_3 Depth=1
	s_or_b32 exec_lo, exec_lo, s6
	s_barrier_signal -1
	s_barrier_wait -1
	s_and_saveexec_b32 s6, s43
	s_cbranch_execz .LBB148_424
; %bb.423:                              ;   in Loop: Header=BB148_3 Depth=1
	ds_load_b64 v[38:39], v5 offset:20800
	s_wait_dscnt 0x0
	v_pk_mul_f32 v[40:41], v[36:37], v[38:39] op_sel:[1,1] op_sel_hi:[1,0]
	s_delay_alu instid0(VALU_DEP_1) | instskip(SKIP_1) | instid1(VALU_DEP_2)
	v_pk_fma_f32 v[80:81], v[36:37], v[38:39], v[40:41] op_sel_hi:[0,1,1]
	v_pk_fma_f32 v[36:37], v[36:37], v[38:39], v[40:41] neg_lo:[0,0,1] neg_hi:[0,0,1]
	v_mov_b32_e32 v37, v81
	s_delay_alu instid0(VALU_DEP_1)
	v_pk_add_f32 v[38:39], v[36:37], 0 neg_lo:[1,1] neg_hi:[1,1]
	ds_store_b64 v3, v[38:39]
.LBB148_424:                            ;   in Loop: Header=BB148_3 Depth=1
	s_or_b32 exec_lo, exec_lo, s6
	s_wait_dscnt 0x0
	s_barrier_signal -1
	s_barrier_wait -1
	s_barrier_signal -1
	s_barrier_wait -1
	s_and_saveexec_b32 s6, s1
; %bb.425:                              ;   in Loop: Header=BB148_3 Depth=1
	ds_store_b64 v46, v[36:37] offset:22336
; %bb.426:                              ;   in Loop: Header=BB148_3 Depth=1
	s_or_b32 exec_lo, exec_lo, s6
	s_wait_dscnt 0x0
	s_barrier_signal -1
	s_barrier_wait -1
	s_barrier_signal -1
	s_barrier_wait -1
	s_and_saveexec_b32 s6, s14
	s_cbranch_execz .LBB148_428
; %bb.427:                              ;   in Loop: Header=BB148_3 Depth=1
	v_add_nc_u32_e64 v36, 0x140, 0
	ds_load_b64 v[40:41], v5 offset:21320
	ds_load_2addr_stride64_b64 v[36:39], v36 offset0:40 offset1:41
	s_wait_dscnt 0x0
	v_dual_mul_f32 v79, v41, v37 :: v_dual_mul_f32 v80, v40, v37
	s_delay_alu instid0(VALU_DEP_1) | instskip(NEXT) | instid1(VALU_DEP_1)
	v_xor_b32_e32 v82, 0x80000000, v79
	v_dual_fmac_f32 v80, v41, v36 :: v_dual_fmac_f32 v82, v40, v36
	s_delay_alu instid0(VALU_DEP_1) | instskip(NEXT) | instid1(VALU_DEP_1)
	v_pk_mul_f32 v[36:37], v[80:81], v[38:39] op_sel:[0,1] op_sel_hi:[0,0]
	v_pk_fma_f32 v[40:41], v[82:83], v[38:39], v[36:37] op_sel_hi:[0,1,1]
	v_pk_fma_f32 v[36:37], v[82:83], v[38:39], v[36:37] neg_lo:[0,0,1] neg_hi:[0,0,1]
	s_delay_alu instid0(VALU_DEP_2)
	v_mov_b32_e32 v37, v41
	ds_store_b64 v5, v[36:37] offset:21312
.LBB148_428:                            ;   in Loop: Header=BB148_3 Depth=1
	s_or_b32 exec_lo, exec_lo, s6
	v_mov_b64_e32 v[36:37], 0
	s_wait_dscnt 0x0
	s_barrier_signal -1
	s_barrier_wait -1
	global_wb scope:SCOPE_DEV
	s_wait_storecnt 0x0
	global_inv scope:SCOPE_DEV
	s_and_saveexec_b32 s8, s3
	s_cbranch_execz .LBB148_438
; %bb.429:                              ;   in Loop: Header=BB148_3 Depth=1
	ds_load_b64 v[36:37], v52 offset:20736
	ds_load_b64 v[38:39], v53 offset:24384
	s_wait_dscnt 0x0
	v_dual_mul_f32 v40, v39, v37 :: v_dual_mul_f32 v37, v38, v37
	s_delay_alu instid0(VALU_DEP_1) | instskip(NEXT) | instid1(VALU_DEP_1)
	v_dual_fma_f32 v38, v38, v36, -v40 :: v_dual_fmac_f32 v37, v39, v36
	v_dual_add_f32 v36, 0, v38 :: v_dual_add_f32 v37, 0, v37
	s_and_saveexec_b32 s6, s18
	s_cbranch_execnz .LBB148_1064
; %bb.430:                              ;   in Loop: Header=BB148_3 Depth=1
	s_or_b32 exec_lo, exec_lo, s6
	s_and_saveexec_b32 s6, s19
	s_cbranch_execnz .LBB148_1065
.LBB148_431:                            ;   in Loop: Header=BB148_3 Depth=1
	s_or_b32 exec_lo, exec_lo, s6
	s_and_saveexec_b32 s6, s20
	s_cbranch_execnz .LBB148_1066
.LBB148_432:                            ;   in Loop: Header=BB148_3 Depth=1
	s_or_b32 exec_lo, exec_lo, s6
	s_and_saveexec_b32 s6, s21
	s_cbranch_execnz .LBB148_1067
.LBB148_433:                            ;   in Loop: Header=BB148_3 Depth=1
	s_or_b32 exec_lo, exec_lo, s6
	s_and_saveexec_b32 s6, s22
	s_cbranch_execnz .LBB148_1068
.LBB148_434:                            ;   in Loop: Header=BB148_3 Depth=1
	s_or_b32 exec_lo, exec_lo, s6
	s_and_saveexec_b32 s6, s2
	s_cbranch_execnz .LBB148_1069
.LBB148_435:                            ;   in Loop: Header=BB148_3 Depth=1
	s_or_b32 exec_lo, exec_lo, s6
	s_and_saveexec_b32 s6, s17
	s_cbranch_execz .LBB148_437
.LBB148_436:                            ;   in Loop: Header=BB148_3 Depth=1
	ds_load_b64 v[38:39], v45 offset:24320
	ds_load_b64 v[40:41], v5 offset:24440
	s_wait_dscnt 0x0
	v_dual_mul_f32 v79, v41, v39 :: v_dual_mul_f32 v81, v40, v39
	s_delay_alu instid0(VALU_DEP_1) | instskip(NEXT) | instid1(VALU_DEP_1)
	v_dual_fma_f32 v80, v40, v38, -v79 :: v_dual_fmac_f32 v81, v41, v38
	v_pk_add_f32 v[36:37], v[36:37], v[80:81]
.LBB148_437:                            ;   in Loop: Header=BB148_3 Depth=1
	s_or_b32 exec_lo, exec_lo, s6
.LBB148_438:                            ;   in Loop: Header=BB148_3 Depth=1
	s_delay_alu instid0(SALU_CYCLE_1)
	s_or_b32 exec_lo, exec_lo, s8
	s_and_saveexec_b32 s6, s50
	s_cbranch_execz .LBB148_440
; %bb.439:                              ;   in Loop: Header=BB148_3 Depth=1
	ds_load_b64 v[38:39], v5 offset:20280
	s_wait_dscnt 0x0
	v_pk_mul_f32 v[40:41], v[36:37], v[38:39] op_sel:[1,1] op_sel_hi:[1,0]
	s_delay_alu instid0(VALU_DEP_1) | instskip(SKIP_1) | instid1(VALU_DEP_2)
	v_pk_fma_f32 v[80:81], v[36:37], v[38:39], v[40:41] op_sel_hi:[0,1,1]
	v_pk_fma_f32 v[36:37], v[36:37], v[38:39], v[40:41] neg_lo:[0,0,1] neg_hi:[0,0,1]
	v_mov_b32_e32 v37, v81
	s_delay_alu instid0(VALU_DEP_1)
	v_pk_add_f32 v[38:39], v[36:37], 0 neg_lo:[1,1] neg_hi:[1,1]
	ds_store_b64 v51, v[38:39]
.LBB148_440:                            ;   in Loop: Header=BB148_3 Depth=1
	s_or_b32 exec_lo, exec_lo, s6
	s_wait_loadcnt_dscnt 0x0
	s_barrier_signal -1
	s_barrier_wait -1
	s_and_saveexec_b32 s6, s51
	s_cbranch_execz .LBB148_442
; %bb.441:                              ;   in Loop: Header=BB148_3 Depth=1
	ds_load_b64 v[38:39], v52 offset:20224
	ds_load_b64 v[40:41], v51
	s_wait_dscnt 0x0
	v_pk_mul_f32 v[80:81], v[40:41], v[38:39] op_sel:[1,1] op_sel_hi:[0,1]
	s_delay_alu instid0(VALU_DEP_1) | instskip(SKIP_1) | instid1(VALU_DEP_2)
	v_pk_fma_f32 v[82:83], v[40:41], v[38:39], v[80:81] op_sel_hi:[1,0,1]
	v_pk_fma_f32 v[38:39], v[40:41], v[38:39], v[80:81] neg_lo:[0,0,1] neg_hi:[0,0,1]
	v_mov_b32_e32 v39, v83
	s_delay_alu instid0(VALU_DEP_1)
	v_pk_add_f32 v[36:37], v[36:37], v[38:39] neg_lo:[0,1] neg_hi:[0,1]
.LBB148_442:                            ;   in Loop: Header=BB148_3 Depth=1
	s_or_b32 exec_lo, exec_lo, s6
	s_barrier_signal -1
	s_barrier_wait -1
	s_and_saveexec_b32 s6, s52
	s_cbranch_execz .LBB148_444
; %bb.443:                              ;   in Loop: Header=BB148_3 Depth=1
	ds_load_b64 v[38:39], v5 offset:19760
	s_wait_dscnt 0x0
	v_pk_mul_f32 v[40:41], v[36:37], v[38:39] op_sel:[1,1] op_sel_hi:[1,0]
	s_delay_alu instid0(VALU_DEP_1) | instskip(SKIP_1) | instid1(VALU_DEP_2)
	v_pk_fma_f32 v[80:81], v[36:37], v[38:39], v[40:41] op_sel_hi:[0,1,1]
	v_pk_fma_f32 v[36:37], v[36:37], v[38:39], v[40:41] neg_lo:[0,0,1] neg_hi:[0,0,1]
	v_mov_b32_e32 v37, v81
	s_delay_alu instid0(VALU_DEP_1)
	v_pk_add_f32 v[38:39], v[36:37], 0 neg_lo:[1,1] neg_hi:[1,1]
	ds_store_b64 v51, v[38:39]
.LBB148_444:                            ;   in Loop: Header=BB148_3 Depth=1
	s_or_b32 exec_lo, exec_lo, s6
	s_wait_dscnt 0x0
	s_barrier_signal -1
	s_barrier_wait -1
	s_and_saveexec_b32 s6, s53
	s_cbranch_execz .LBB148_446
; %bb.445:                              ;   in Loop: Header=BB148_3 Depth=1
	ds_load_b64 v[38:39], v52 offset:19712
	ds_load_b64 v[40:41], v51
	s_wait_dscnt 0x0
	v_pk_mul_f32 v[80:81], v[40:41], v[38:39] op_sel:[1,1] op_sel_hi:[0,1]
	s_delay_alu instid0(VALU_DEP_1) | instskip(SKIP_1) | instid1(VALU_DEP_2)
	v_pk_fma_f32 v[82:83], v[40:41], v[38:39], v[80:81] op_sel_hi:[1,0,1]
	v_pk_fma_f32 v[38:39], v[40:41], v[38:39], v[80:81] neg_lo:[0,0,1] neg_hi:[0,0,1]
	v_mov_b32_e32 v39, v83
	s_delay_alu instid0(VALU_DEP_1)
	v_pk_add_f32 v[36:37], v[36:37], v[38:39] neg_lo:[0,1] neg_hi:[0,1]
.LBB148_446:                            ;   in Loop: Header=BB148_3 Depth=1
	s_or_b32 exec_lo, exec_lo, s6
	s_barrier_signal -1
	s_barrier_wait -1
	s_and_saveexec_b32 s6, s54
	s_cbranch_execz .LBB148_448
; %bb.447:                              ;   in Loop: Header=BB148_3 Depth=1
	ds_load_b64 v[38:39], v5 offset:19240
	s_wait_dscnt 0x0
	v_pk_mul_f32 v[40:41], v[36:37], v[38:39] op_sel:[1,1] op_sel_hi:[1,0]
	s_delay_alu instid0(VALU_DEP_1) | instskip(SKIP_1) | instid1(VALU_DEP_2)
	v_pk_fma_f32 v[80:81], v[36:37], v[38:39], v[40:41] op_sel_hi:[0,1,1]
	v_pk_fma_f32 v[36:37], v[36:37], v[38:39], v[40:41] neg_lo:[0,0,1] neg_hi:[0,0,1]
	v_mov_b32_e32 v37, v81
	s_delay_alu instid0(VALU_DEP_1)
	v_pk_add_f32 v[38:39], v[36:37], 0 neg_lo:[1,1] neg_hi:[1,1]
	ds_store_b64 v51, v[38:39]
.LBB148_448:                            ;   in Loop: Header=BB148_3 Depth=1
	s_or_b32 exec_lo, exec_lo, s6
	s_wait_dscnt 0x0
	s_barrier_signal -1
	s_barrier_wait -1
	s_and_saveexec_b32 s6, s55
	s_cbranch_execz .LBB148_450
; %bb.449:                              ;   in Loop: Header=BB148_3 Depth=1
	ds_load_b64 v[38:39], v52 offset:19200
	ds_load_b64 v[40:41], v51
	s_wait_dscnt 0x0
	v_pk_mul_f32 v[80:81], v[40:41], v[38:39] op_sel:[1,1] op_sel_hi:[0,1]
	s_delay_alu instid0(VALU_DEP_1) | instskip(SKIP_1) | instid1(VALU_DEP_2)
	v_pk_fma_f32 v[82:83], v[40:41], v[38:39], v[80:81] op_sel_hi:[1,0,1]
	v_pk_fma_f32 v[38:39], v[40:41], v[38:39], v[80:81] neg_lo:[0,0,1] neg_hi:[0,0,1]
	v_mov_b32_e32 v39, v83
	s_delay_alu instid0(VALU_DEP_1)
	v_pk_add_f32 v[36:37], v[36:37], v[38:39] neg_lo:[0,1] neg_hi:[0,1]
.LBB148_450:                            ;   in Loop: Header=BB148_3 Depth=1
	s_or_b32 exec_lo, exec_lo, s6
	s_barrier_signal -1
	s_barrier_wait -1
	s_and_saveexec_b32 s6, s56
	s_cbranch_execz .LBB148_452
; %bb.451:                              ;   in Loop: Header=BB148_3 Depth=1
	ds_load_b64 v[38:39], v5 offset:18720
	s_wait_dscnt 0x0
	v_pk_mul_f32 v[40:41], v[36:37], v[38:39]
	v_pk_mul_f32 v[36:37], v[36:37], v[38:39] op_sel:[1,0] op_sel_hi:[0,1]
	s_delay_alu instid0(VALU_DEP_1) | instskip(NEXT) | instid1(VALU_DEP_3)
	v_dual_mov_b32 v38, v40 :: v_dual_mov_b32 v39, v36
	v_mov_b32_e32 v36, v41
	s_delay_alu instid0(VALU_DEP_1) | instskip(SKIP_1) | instid1(VALU_DEP_2)
	v_pk_add_f32 v[40:41], v[38:39], v[36:37]
	v_pk_add_f32 v[36:37], v[38:39], v[36:37] neg_lo:[0,1] neg_hi:[0,1]
	v_mov_b32_e32 v37, v41
	s_delay_alu instid0(VALU_DEP_1)
	v_pk_add_f32 v[38:39], v[36:37], 0 neg_lo:[1,1] neg_hi:[1,1]
	ds_store_b64 v51, v[38:39]
.LBB148_452:                            ;   in Loop: Header=BB148_3 Depth=1
	s_or_b32 exec_lo, exec_lo, s6
	s_wait_dscnt 0x0
	s_barrier_signal -1
	s_barrier_wait -1
	s_and_saveexec_b32 s6, s57
	s_cbranch_execz .LBB148_454
; %bb.453:                              ;   in Loop: Header=BB148_3 Depth=1
	ds_load_b64 v[38:39], v52 offset:18688
	ds_load_b64 v[40:41], v51
	s_wait_dscnt 0x0
	v_dual_mul_f32 v79, v41, v39 :: v_dual_mul_f32 v39, v40, v39
	s_delay_alu instid0(VALU_DEP_1) | instskip(NEXT) | instid1(VALU_DEP_1)
	v_fmac_f32_e32 v39, v41, v38
	v_dual_fma_f32 v40, v40, v38, -v79 :: v_dual_sub_f32 v37, v37, v39
	s_delay_alu instid0(VALU_DEP_1)
	v_sub_f32_e32 v36, v36, v40
.LBB148_454:                            ;   in Loop: Header=BB148_3 Depth=1
	s_or_b32 exec_lo, exec_lo, s6
	s_barrier_signal -1
	s_barrier_wait -1
	s_and_saveexec_b32 s6, s58
	s_cbranch_execz .LBB148_456
; %bb.455:                              ;   in Loop: Header=BB148_3 Depth=1
	ds_load_b64 v[38:39], v5 offset:18200
	s_wait_dscnt 0x0
	v_dual_mul_f32 v40, v37, v38 :: v_dual_mul_f32 v80, v37, v39
	s_delay_alu instid0(VALU_DEP_1) | instskip(NEXT) | instid1(VALU_DEP_2)
	v_pk_fma_f32 v[40:41], v[36:37], v[38:39], v[40:41] op_sel:[1,0,0] op_sel_hi:[0,1,0]
	v_pk_fma_f32 v[36:37], v[36:37], v[38:39], v[80:81] op_sel_hi:[1,1,0] neg_lo:[0,0,1] neg_hi:[0,0,1]
	s_delay_alu instid0(VALU_DEP_2) | instskip(NEXT) | instid1(VALU_DEP_1)
	v_mov_b32_e32 v37, v41
	v_pk_add_f32 v[38:39], v[36:37], 0 neg_lo:[1,1] neg_hi:[1,1]
	ds_store_b64 v51, v[38:39]
.LBB148_456:                            ;   in Loop: Header=BB148_3 Depth=1
	s_or_b32 exec_lo, exec_lo, s6
	s_wait_dscnt 0x0
	s_barrier_signal -1
	s_barrier_wait -1
	s_and_saveexec_b32 s6, s59
	s_cbranch_execz .LBB148_458
; %bb.457:                              ;   in Loop: Header=BB148_3 Depth=1
	ds_load_b64 v[38:39], v52 offset:18176
	ds_load_b64 v[40:41], v51
	s_wait_dscnt 0x0
	v_pk_mul_f32 v[80:81], v[40:41], v[38:39] op_sel:[1,1] op_sel_hi:[0,1]
	s_delay_alu instid0(VALU_DEP_1) | instskip(SKIP_1) | instid1(VALU_DEP_2)
	v_pk_fma_f32 v[82:83], v[40:41], v[38:39], v[80:81] op_sel_hi:[1,0,1]
	v_pk_fma_f32 v[38:39], v[40:41], v[38:39], v[80:81] neg_lo:[0,0,1] neg_hi:[0,0,1]
	v_mov_b32_e32 v39, v83
	s_delay_alu instid0(VALU_DEP_1)
	v_pk_add_f32 v[36:37], v[36:37], v[38:39] neg_lo:[0,1] neg_hi:[0,1]
.LBB148_458:                            ;   in Loop: Header=BB148_3 Depth=1
	s_or_b32 exec_lo, exec_lo, s6
	s_barrier_signal -1
	s_barrier_wait -1
	s_and_saveexec_b32 s6, s60
	s_cbranch_execz .LBB148_460
; %bb.459:                              ;   in Loop: Header=BB148_3 Depth=1
	ds_load_b64 v[38:39], v5 offset:17680
	s_wait_dscnt 0x0
	v_pk_mul_f32 v[40:41], v[36:37], v[38:39] op_sel:[1,1] op_sel_hi:[1,0]
	s_delay_alu instid0(VALU_DEP_1) | instskip(SKIP_1) | instid1(VALU_DEP_2)
	v_pk_fma_f32 v[80:81], v[36:37], v[38:39], v[40:41] op_sel_hi:[0,1,1]
	v_pk_fma_f32 v[36:37], v[36:37], v[38:39], v[40:41] neg_lo:[0,0,1] neg_hi:[0,0,1]
	v_mov_b32_e32 v37, v81
	s_delay_alu instid0(VALU_DEP_1)
	v_pk_add_f32 v[38:39], v[36:37], 0 neg_lo:[1,1] neg_hi:[1,1]
	ds_store_b64 v51, v[38:39]
.LBB148_460:                            ;   in Loop: Header=BB148_3 Depth=1
	s_or_b32 exec_lo, exec_lo, s6
	s_wait_dscnt 0x0
	s_barrier_signal -1
	s_barrier_wait -1
	s_and_saveexec_b32 s6, s61
	s_cbranch_execz .LBB148_462
; %bb.461:                              ;   in Loop: Header=BB148_3 Depth=1
	ds_load_b64 v[38:39], v52 offset:17664
	ds_load_b64 v[40:41], v51
	s_wait_dscnt 0x0
	v_pk_mul_f32 v[80:81], v[40:41], v[38:39] op_sel:[1,1] op_sel_hi:[0,1]
	s_delay_alu instid0(VALU_DEP_1) | instskip(SKIP_1) | instid1(VALU_DEP_2)
	v_pk_fma_f32 v[82:83], v[40:41], v[38:39], v[80:81] op_sel_hi:[1,0,1]
	v_pk_fma_f32 v[38:39], v[40:41], v[38:39], v[80:81] neg_lo:[0,0,1] neg_hi:[0,0,1]
	v_mov_b32_e32 v39, v83
	s_delay_alu instid0(VALU_DEP_1)
	v_pk_add_f32 v[36:37], v[36:37], v[38:39] neg_lo:[0,1] neg_hi:[0,1]
.LBB148_462:                            ;   in Loop: Header=BB148_3 Depth=1
	s_or_b32 exec_lo, exec_lo, s6
	s_barrier_signal -1
	s_barrier_wait -1
	s_and_saveexec_b32 s6, s62
	s_cbranch_execz .LBB148_464
; %bb.463:                              ;   in Loop: Header=BB148_3 Depth=1
	ds_load_b64 v[38:39], v5 offset:17160
	s_wait_dscnt 0x0
	v_pk_mul_f32 v[40:41], v[36:37], v[38:39] op_sel:[1,1] op_sel_hi:[1,0]
	s_delay_alu instid0(VALU_DEP_1) | instskip(SKIP_1) | instid1(VALU_DEP_2)
	v_pk_fma_f32 v[80:81], v[36:37], v[38:39], v[40:41] op_sel_hi:[0,1,1]
	v_pk_fma_f32 v[36:37], v[36:37], v[38:39], v[40:41] neg_lo:[0,0,1] neg_hi:[0,0,1]
	v_mov_b32_e32 v37, v81
	s_delay_alu instid0(VALU_DEP_1)
	v_pk_add_f32 v[38:39], v[36:37], 0 neg_lo:[1,1] neg_hi:[1,1]
	ds_store_b64 v51, v[38:39]
.LBB148_464:                            ;   in Loop: Header=BB148_3 Depth=1
	;; [unrolled: 35-line block ×3, first 2 shown]
	s_or_b32 exec_lo, exec_lo, s6
	s_wait_dscnt 0x0
	s_barrier_signal -1
	s_barrier_wait -1
	s_barrier_signal -1
	s_barrier_wait -1
	s_and_saveexec_b32 s6, s3
; %bb.469:                              ;   in Loop: Header=BB148_3 Depth=1
	ds_store_b64 v54, v[36:37] offset:24320
; %bb.470:                              ;   in Loop: Header=BB148_3 Depth=1
	s_or_b32 exec_lo, exec_lo, s6
	s_wait_dscnt 0x0
	s_barrier_signal -1
	s_barrier_wait -1
	s_barrier_signal -1
	s_barrier_wait -1
	s_and_saveexec_b32 s6, s14
	s_cbranch_execz .LBB148_472
; %bb.471:                              ;   in Loop: Header=BB148_3 Depth=1
	v_add_nc_u32_e64 v36, 0x130, 0
	ds_load_b64 v[40:41], v5 offset:20280
	ds_load_2addr_stride64_b64 v[36:39], v36 offset0:38 offset1:39
	s_wait_dscnt 0x0
	v_dual_mul_f32 v79, v41, v37 :: v_dual_mul_f32 v80, v40, v37
	s_delay_alu instid0(VALU_DEP_1) | instskip(NEXT) | instid1(VALU_DEP_1)
	v_xor_b32_e32 v82, 0x80000000, v79
	v_dual_fmac_f32 v80, v41, v36 :: v_dual_fmac_f32 v82, v40, v36
	s_delay_alu instid0(VALU_DEP_1) | instskip(NEXT) | instid1(VALU_DEP_1)
	v_pk_mul_f32 v[36:37], v[80:81], v[38:39] op_sel:[0,1] op_sel_hi:[0,0]
	v_pk_fma_f32 v[40:41], v[82:83], v[38:39], v[36:37] op_sel_hi:[0,1,1]
	v_pk_fma_f32 v[36:37], v[82:83], v[38:39], v[36:37] neg_lo:[0,0,1] neg_hi:[0,0,1]
	s_delay_alu instid0(VALU_DEP_2)
	v_mov_b32_e32 v37, v41
	ds_store_b64 v5, v[36:37] offset:20272
.LBB148_472:                            ;   in Loop: Header=BB148_3 Depth=1
	s_or_b32 exec_lo, exec_lo, s6
	v_dual_mov_b32 v36, 0 :: v_dual_mov_b32 v37, 0
	s_wait_dscnt 0x0
	s_barrier_signal -1
	s_barrier_wait -1
	global_wb scope:SCOPE_DEV
	s_wait_storecnt 0x0
	global_inv scope:SCOPE_DEV
	s_and_saveexec_b32 s6, s1
	s_cbranch_execz .LBB148_476
; %bb.473:                              ;   in Loop: Header=BB148_3 Depth=1
	ds_load_b64 v[36:37], v43 offset:19744
	ds_load_b64 v[38:39], v44 offset:20272
	s_wait_dscnt 0x0
	v_pk_mul_f32 v[40:41], v[38:39], v[36:37] op_sel:[1,1] op_sel_hi:[0,1]
	s_delay_alu instid0(VALU_DEP_1) | instskip(SKIP_1) | instid1(VALU_DEP_2)
	v_pk_fma_f32 v[80:81], v[38:39], v[36:37], v[40:41] op_sel_hi:[1,0,1]
	v_pk_fma_f32 v[36:37], v[38:39], v[36:37], v[40:41] neg_lo:[0,0,1] neg_hi:[0,0,1]
	v_mov_b32_e32 v37, v81
	s_delay_alu instid0(VALU_DEP_1)
	v_pk_add_f32 v[36:37], v[36:37], 0 op_sel_hi:[1,0]
	s_and_saveexec_b32 s8, s15
	s_cbranch_execz .LBB148_475
; %bb.474:                              ;   in Loop: Header=BB148_3 Depth=1
	ds_load_b64 v[38:39], v45 offset:20256
	ds_load_b64 v[40:41], v5 offset:20280
	s_wait_dscnt 0x0
	v_pk_mul_f32 v[80:81], v[40:41], v[38:39] op_sel:[1,1] op_sel_hi:[0,1]
	s_delay_alu instid0(VALU_DEP_1) | instskip(SKIP_1) | instid1(VALU_DEP_2)
	v_pk_fma_f32 v[82:83], v[40:41], v[38:39], v[80:81] op_sel_hi:[1,0,1]
	v_pk_fma_f32 v[38:39], v[40:41], v[38:39], v[80:81] neg_lo:[0,0,1] neg_hi:[0,0,1]
	v_mov_b32_e32 v39, v83
	s_delay_alu instid0(VALU_DEP_1)
	v_pk_add_f32 v[36:37], v[36:37], v[38:39]
.LBB148_475:                            ;   in Loop: Header=BB148_3 Depth=1
	s_or_b32 exec_lo, exec_lo, s8
.LBB148_476:                            ;   in Loop: Header=BB148_3 Depth=1
	s_delay_alu instid0(SALU_CYCLE_1)
	s_or_b32 exec_lo, exec_lo, s6
	s_and_saveexec_b32 s6, vcc_hi
	s_cbranch_execz .LBB148_478
; %bb.477:                              ;   in Loop: Header=BB148_3 Depth=1
	ds_load_b64 v[38:39], v5 offset:19240
	s_wait_dscnt 0x0
	v_pk_mul_f32 v[40:41], v[36:37], v[38:39] op_sel:[1,1] op_sel_hi:[1,0]
	s_delay_alu instid0(VALU_DEP_1) | instskip(SKIP_1) | instid1(VALU_DEP_2)
	v_pk_fma_f32 v[80:81], v[36:37], v[38:39], v[40:41] op_sel_hi:[0,1,1]
	v_pk_fma_f32 v[36:37], v[36:37], v[38:39], v[40:41] neg_lo:[0,0,1] neg_hi:[0,0,1]
	v_mov_b32_e32 v37, v81
	s_delay_alu instid0(VALU_DEP_1)
	v_pk_add_f32 v[38:39], v[36:37], 0 neg_lo:[1,1] neg_hi:[1,1]
	ds_store_b64 v3, v[38:39]
.LBB148_478:                            ;   in Loop: Header=BB148_3 Depth=1
	s_or_b32 exec_lo, exec_lo, s6
	s_wait_loadcnt_dscnt 0x0
	s_barrier_signal -1
	s_barrier_wait -1
	s_and_saveexec_b32 s6, s43
	s_cbranch_execz .LBB148_480
; %bb.479:                              ;   in Loop: Header=BB148_3 Depth=1
	ds_load_b64 v[38:39], v5 offset:19232
	ds_load_b64 v[40:41], v3
	s_wait_dscnt 0x0
	v_pk_mul_f32 v[80:81], v[40:41], v[38:39] op_sel:[1,1] op_sel_hi:[0,1]
	s_delay_alu instid0(VALU_DEP_1) | instskip(SKIP_1) | instid1(VALU_DEP_2)
	v_pk_fma_f32 v[82:83], v[40:41], v[38:39], v[80:81] op_sel_hi:[1,0,1]
	v_pk_fma_f32 v[38:39], v[40:41], v[38:39], v[80:81] neg_lo:[0,0,1] neg_hi:[0,0,1]
	v_mov_b32_e32 v39, v83
	s_delay_alu instid0(VALU_DEP_1)
	v_pk_add_f32 v[36:37], v[36:37], v[38:39] neg_lo:[0,1] neg_hi:[0,1]
.LBB148_480:                            ;   in Loop: Header=BB148_3 Depth=1
	s_or_b32 exec_lo, exec_lo, s6
	s_barrier_signal -1
	s_barrier_wait -1
	s_and_saveexec_b32 s6, s43
	s_cbranch_execz .LBB148_482
; %bb.481:                              ;   in Loop: Header=BB148_3 Depth=1
	ds_load_b64 v[38:39], v5 offset:18720
	s_wait_dscnt 0x0
	v_pk_mul_f32 v[40:41], v[36:37], v[38:39] op_sel:[1,1] op_sel_hi:[1,0]
	s_delay_alu instid0(VALU_DEP_1) | instskip(SKIP_1) | instid1(VALU_DEP_2)
	v_pk_fma_f32 v[80:81], v[36:37], v[38:39], v[40:41] op_sel_hi:[0,1,1]
	v_pk_fma_f32 v[36:37], v[36:37], v[38:39], v[40:41] neg_lo:[0,0,1] neg_hi:[0,0,1]
	v_mov_b32_e32 v37, v81
	s_delay_alu instid0(VALU_DEP_1)
	v_pk_add_f32 v[38:39], v[36:37], 0 neg_lo:[1,1] neg_hi:[1,1]
	ds_store_b64 v3, v[38:39]
.LBB148_482:                            ;   in Loop: Header=BB148_3 Depth=1
	s_or_b32 exec_lo, exec_lo, s6
	s_wait_dscnt 0x0
	s_barrier_signal -1
	s_barrier_wait -1
	s_barrier_signal -1
	s_barrier_wait -1
	s_and_saveexec_b32 s6, s1
; %bb.483:                              ;   in Loop: Header=BB148_3 Depth=1
	ds_store_b64 v46, v[36:37] offset:20256
; %bb.484:                              ;   in Loop: Header=BB148_3 Depth=1
	s_or_b32 exec_lo, exec_lo, s6
	s_wait_dscnt 0x0
	s_barrier_signal -1
	s_barrier_wait -1
	s_barrier_signal -1
	s_barrier_wait -1
	s_and_saveexec_b32 s6, s14
	s_cbranch_execz .LBB148_486
; %bb.485:                              ;   in Loop: Header=BB148_3 Depth=1
	v_add_nc_u32_e64 v36, 0x120, 0
	ds_load_b64 v[40:41], v5 offset:19240
	ds_load_2addr_stride64_b64 v[36:39], v36 offset0:36 offset1:37
	s_wait_dscnt 0x0
	v_dual_mul_f32 v79, v41, v37 :: v_dual_mul_f32 v80, v40, v37
	s_delay_alu instid0(VALU_DEP_1) | instskip(NEXT) | instid1(VALU_DEP_1)
	v_xor_b32_e32 v82, 0x80000000, v79
	v_dual_fmac_f32 v80, v41, v36 :: v_dual_fmac_f32 v82, v40, v36
	s_delay_alu instid0(VALU_DEP_1) | instskip(NEXT) | instid1(VALU_DEP_1)
	v_pk_mul_f32 v[36:37], v[80:81], v[38:39] op_sel:[0,1] op_sel_hi:[0,0]
	v_pk_fma_f32 v[40:41], v[82:83], v[38:39], v[36:37] op_sel_hi:[0,1,1]
	v_pk_fma_f32 v[36:37], v[82:83], v[38:39], v[36:37] neg_lo:[0,0,1] neg_hi:[0,0,1]
	s_delay_alu instid0(VALU_DEP_2)
	v_mov_b32_e32 v37, v41
	ds_store_b64 v5, v[36:37] offset:19232
.LBB148_486:                            ;   in Loop: Header=BB148_3 Depth=1
	s_or_b32 exec_lo, exec_lo, s6
	v_mov_b64_e32 v[36:37], 0
	s_wait_dscnt 0x0
	s_barrier_signal -1
	s_barrier_wait -1
	global_wb scope:SCOPE_DEV
	s_wait_storecnt 0x0
	global_inv scope:SCOPE_DEV
	s_and_saveexec_b32 s8, s2
	s_cbranch_execz .LBB148_492
; %bb.487:                              ;   in Loop: Header=BB148_3 Depth=1
	ds_load_b64 v[36:37], v48 offset:18688
	ds_load_b64 v[38:39], v49 offset:20256
	s_wait_dscnt 0x0
	v_dual_mul_f32 v40, v39, v37 :: v_dual_mul_f32 v37, v38, v37
	s_delay_alu instid0(VALU_DEP_1) | instskip(NEXT) | instid1(VALU_DEP_1)
	v_dual_fma_f32 v38, v38, v36, -v40 :: v_dual_fmac_f32 v37, v39, v36
	v_dual_add_f32 v36, 0, v38 :: v_dual_add_f32 v37, 0, v37
	s_and_saveexec_b32 s6, s16
	s_cbranch_execnz .LBB148_1070
; %bb.488:                              ;   in Loop: Header=BB148_3 Depth=1
	s_or_b32 exec_lo, exec_lo, s6
	s_and_saveexec_b32 s6, s17
	s_cbranch_execnz .LBB148_1071
.LBB148_489:                            ;   in Loop: Header=BB148_3 Depth=1
	s_or_b32 exec_lo, exec_lo, s6
	s_and_saveexec_b32 s6, s1
	s_cbranch_execz .LBB148_491
.LBB148_490:                            ;   in Loop: Header=BB148_3 Depth=1
	ds_load_b64 v[38:39], v45 offset:20224
	ds_load_b64 v[40:41], v5 offset:20280
	s_wait_dscnt 0x0
	v_dual_mul_f32 v79, v41, v39 :: v_dual_mul_f32 v39, v40, v39
	s_delay_alu instid0(VALU_DEP_1) | instskip(NEXT) | instid1(VALU_DEP_1)
	v_fmac_f32_e32 v39, v41, v38
	v_dual_fma_f32 v40, v40, v38, -v79 :: v_dual_add_f32 v37, v37, v39
	s_delay_alu instid0(VALU_DEP_1)
	v_add_f32_e32 v36, v36, v40
.LBB148_491:                            ;   in Loop: Header=BB148_3 Depth=1
	s_or_b32 exec_lo, exec_lo, s6
.LBB148_492:                            ;   in Loop: Header=BB148_3 Depth=1
	s_delay_alu instid0(SALU_CYCLE_1)
	s_or_b32 exec_lo, exec_lo, s8
	s_and_saveexec_b32 s6, s44
	s_cbranch_execz .LBB148_494
; %bb.493:                              ;   in Loop: Header=BB148_3 Depth=1
	ds_load_b64 v[38:39], v5 offset:18200
	s_wait_dscnt 0x0
	v_dual_mul_f32 v40, v37, v38 :: v_dual_mul_f32 v80, v37, v39
	s_delay_alu instid0(VALU_DEP_1) | instskip(NEXT) | instid1(VALU_DEP_2)
	v_pk_fma_f32 v[40:41], v[36:37], v[38:39], v[40:41] op_sel:[1,0,0] op_sel_hi:[0,1,0]
	v_pk_fma_f32 v[36:37], v[36:37], v[38:39], v[80:81] op_sel_hi:[1,1,0] neg_lo:[0,0,1] neg_hi:[0,0,1]
	s_delay_alu instid0(VALU_DEP_2) | instskip(NEXT) | instid1(VALU_DEP_1)
	v_mov_b32_e32 v37, v41
	v_pk_add_f32 v[38:39], v[36:37], 0 neg_lo:[1,1] neg_hi:[1,1]
	ds_store_b64 v47, v[38:39]
.LBB148_494:                            ;   in Loop: Header=BB148_3 Depth=1
	s_or_b32 exec_lo, exec_lo, s6
	s_wait_loadcnt_dscnt 0x0
	s_barrier_signal -1
	s_barrier_wait -1
	s_and_saveexec_b32 s6, s45
	s_cbranch_execz .LBB148_496
; %bb.495:                              ;   in Loop: Header=BB148_3 Depth=1
	ds_load_b64 v[38:39], v48 offset:18176
	ds_load_b64 v[40:41], v47
	s_wait_dscnt 0x0
	v_pk_mul_f32 v[80:81], v[40:41], v[38:39] op_sel:[1,1] op_sel_hi:[0,1]
	s_delay_alu instid0(VALU_DEP_1) | instskip(SKIP_1) | instid1(VALU_DEP_2)
	v_pk_fma_f32 v[82:83], v[40:41], v[38:39], v[80:81] op_sel_hi:[1,0,1]
	v_pk_fma_f32 v[38:39], v[40:41], v[38:39], v[80:81] neg_lo:[0,0,1] neg_hi:[0,0,1]
	v_mov_b32_e32 v39, v83
	s_delay_alu instid0(VALU_DEP_1)
	v_pk_add_f32 v[36:37], v[36:37], v[38:39] neg_lo:[0,1] neg_hi:[0,1]
.LBB148_496:                            ;   in Loop: Header=BB148_3 Depth=1
	s_or_b32 exec_lo, exec_lo, s6
	s_barrier_signal -1
	s_barrier_wait -1
	s_and_saveexec_b32 s6, s46
	s_cbranch_execz .LBB148_498
; %bb.497:                              ;   in Loop: Header=BB148_3 Depth=1
	ds_load_b64 v[38:39], v5 offset:17680
	s_wait_dscnt 0x0
	v_pk_mul_f32 v[40:41], v[36:37], v[38:39] op_sel:[1,1] op_sel_hi:[1,0]
	s_delay_alu instid0(VALU_DEP_1) | instskip(SKIP_1) | instid1(VALU_DEP_2)
	v_pk_fma_f32 v[80:81], v[36:37], v[38:39], v[40:41] op_sel_hi:[0,1,1]
	v_pk_fma_f32 v[36:37], v[36:37], v[38:39], v[40:41] neg_lo:[0,0,1] neg_hi:[0,0,1]
	v_mov_b32_e32 v37, v81
	s_delay_alu instid0(VALU_DEP_1)
	v_pk_add_f32 v[38:39], v[36:37], 0 neg_lo:[1,1] neg_hi:[1,1]
	ds_store_b64 v47, v[38:39]
.LBB148_498:                            ;   in Loop: Header=BB148_3 Depth=1
	s_or_b32 exec_lo, exec_lo, s6
	s_wait_dscnt 0x0
	s_barrier_signal -1
	s_barrier_wait -1
	s_and_saveexec_b32 s6, s47
	s_cbranch_execz .LBB148_500
; %bb.499:                              ;   in Loop: Header=BB148_3 Depth=1
	ds_load_b64 v[38:39], v48 offset:17664
	ds_load_b64 v[40:41], v47
	s_wait_dscnt 0x0
	v_pk_mul_f32 v[80:81], v[40:41], v[38:39] op_sel:[1,1] op_sel_hi:[0,1]
	s_delay_alu instid0(VALU_DEP_1) | instskip(SKIP_1) | instid1(VALU_DEP_2)
	v_pk_fma_f32 v[82:83], v[40:41], v[38:39], v[80:81] op_sel_hi:[1,0,1]
	v_pk_fma_f32 v[38:39], v[40:41], v[38:39], v[80:81] neg_lo:[0,0,1] neg_hi:[0,0,1]
	v_mov_b32_e32 v39, v83
	s_delay_alu instid0(VALU_DEP_1)
	v_pk_add_f32 v[36:37], v[36:37], v[38:39] neg_lo:[0,1] neg_hi:[0,1]
.LBB148_500:                            ;   in Loop: Header=BB148_3 Depth=1
	s_or_b32 exec_lo, exec_lo, s6
	s_barrier_signal -1
	s_barrier_wait -1
	s_and_saveexec_b32 s6, s48
	s_cbranch_execz .LBB148_502
; %bb.501:                              ;   in Loop: Header=BB148_3 Depth=1
	ds_load_b64 v[38:39], v5 offset:17160
	s_wait_dscnt 0x0
	v_pk_mul_f32 v[40:41], v[36:37], v[38:39] op_sel:[1,1] op_sel_hi:[1,0]
	s_delay_alu instid0(VALU_DEP_1) | instskip(SKIP_1) | instid1(VALU_DEP_2)
	v_pk_fma_f32 v[80:81], v[36:37], v[38:39], v[40:41] op_sel_hi:[0,1,1]
	v_pk_fma_f32 v[36:37], v[36:37], v[38:39], v[40:41] neg_lo:[0,0,1] neg_hi:[0,0,1]
	v_mov_b32_e32 v37, v81
	s_delay_alu instid0(VALU_DEP_1)
	v_pk_add_f32 v[38:39], v[36:37], 0 neg_lo:[1,1] neg_hi:[1,1]
	ds_store_b64 v47, v[38:39]
.LBB148_502:                            ;   in Loop: Header=BB148_3 Depth=1
	s_or_b32 exec_lo, exec_lo, s6
	s_wait_dscnt 0x0
	;; [unrolled: 35-line block ×3, first 2 shown]
	s_barrier_signal -1
	s_barrier_wait -1
	s_barrier_signal -1
	s_barrier_wait -1
	s_and_saveexec_b32 s6, s2
; %bb.507:                              ;   in Loop: Header=BB148_3 Depth=1
	ds_store_b64 v50, v[36:37] offset:20224
; %bb.508:                              ;   in Loop: Header=BB148_3 Depth=1
	s_or_b32 exec_lo, exec_lo, s6
	s_wait_dscnt 0x0
	s_barrier_signal -1
	s_barrier_wait -1
	s_barrier_signal -1
	s_barrier_wait -1
	s_and_saveexec_b32 s6, s14
	s_cbranch_execz .LBB148_510
; %bb.509:                              ;   in Loop: Header=BB148_3 Depth=1
	v_add_nc_u32_e64 v36, 0x110, 0
	ds_load_b64 v[40:41], v5 offset:18200
	ds_load_2addr_stride64_b64 v[36:39], v36 offset0:34 offset1:35
	s_wait_dscnt 0x0
	v_dual_mul_f32 v79, v41, v37 :: v_dual_mul_f32 v80, v40, v37
	s_delay_alu instid0(VALU_DEP_1) | instskip(NEXT) | instid1(VALU_DEP_1)
	v_xor_b32_e32 v82, 0x80000000, v79
	v_dual_fmac_f32 v80, v41, v36 :: v_dual_fmac_f32 v82, v40, v36
	s_delay_alu instid0(VALU_DEP_1) | instskip(NEXT) | instid1(VALU_DEP_1)
	v_pk_mul_f32 v[36:37], v[80:81], v[38:39] op_sel:[0,1] op_sel_hi:[0,0]
	v_pk_fma_f32 v[40:41], v[82:83], v[38:39], v[36:37] op_sel_hi:[0,1,1]
	v_pk_fma_f32 v[36:37], v[82:83], v[38:39], v[36:37] neg_lo:[0,0,1] neg_hi:[0,0,1]
	s_delay_alu instid0(VALU_DEP_2)
	v_mov_b32_e32 v37, v41
	ds_store_b64 v5, v[36:37] offset:18192
.LBB148_510:                            ;   in Loop: Header=BB148_3 Depth=1
	s_or_b32 exec_lo, exec_lo, s6
	v_dual_mov_b32 v36, 0 :: v_dual_mov_b32 v37, 0
	s_wait_dscnt 0x0
	s_barrier_signal -1
	s_barrier_wait -1
	global_wb scope:SCOPE_DEV
	s_wait_storecnt 0x0
	global_inv scope:SCOPE_DEV
	s_and_saveexec_b32 s6, s1
	s_cbranch_execz .LBB148_514
; %bb.511:                              ;   in Loop: Header=BB148_3 Depth=1
	ds_load_b64 v[36:37], v43 offset:17664
	ds_load_b64 v[38:39], v44 offset:18192
	s_wait_dscnt 0x0
	v_pk_mul_f32 v[40:41], v[38:39], v[36:37] op_sel:[1,1] op_sel_hi:[0,1]
	s_delay_alu instid0(VALU_DEP_1) | instskip(SKIP_1) | instid1(VALU_DEP_2)
	v_pk_fma_f32 v[80:81], v[38:39], v[36:37], v[40:41] op_sel_hi:[1,0,1]
	v_pk_fma_f32 v[36:37], v[38:39], v[36:37], v[40:41] neg_lo:[0,0,1] neg_hi:[0,0,1]
	v_mov_b32_e32 v37, v81
	s_delay_alu instid0(VALU_DEP_1)
	v_pk_add_f32 v[36:37], v[36:37], 0 op_sel_hi:[1,0]
	s_and_saveexec_b32 s8, s15
	s_cbranch_execz .LBB148_513
; %bb.512:                              ;   in Loop: Header=BB148_3 Depth=1
	ds_load_b64 v[38:39], v45 offset:18176
	ds_load_b64 v[40:41], v5 offset:18200
	s_wait_dscnt 0x0
	v_pk_mul_f32 v[80:81], v[40:41], v[38:39] op_sel:[1,1] op_sel_hi:[0,1]
	s_delay_alu instid0(VALU_DEP_1) | instskip(SKIP_1) | instid1(VALU_DEP_2)
	v_pk_fma_f32 v[82:83], v[40:41], v[38:39], v[80:81] op_sel_hi:[1,0,1]
	v_pk_fma_f32 v[38:39], v[40:41], v[38:39], v[80:81] neg_lo:[0,0,1] neg_hi:[0,0,1]
	v_mov_b32_e32 v39, v83
	s_delay_alu instid0(VALU_DEP_1)
	v_pk_add_f32 v[36:37], v[36:37], v[38:39]
.LBB148_513:                            ;   in Loop: Header=BB148_3 Depth=1
	s_or_b32 exec_lo, exec_lo, s8
.LBB148_514:                            ;   in Loop: Header=BB148_3 Depth=1
	s_delay_alu instid0(SALU_CYCLE_1)
	s_or_b32 exec_lo, exec_lo, s6
	s_and_saveexec_b32 s6, vcc_hi
	s_cbranch_execz .LBB148_516
; %bb.515:                              ;   in Loop: Header=BB148_3 Depth=1
	ds_load_b64 v[38:39], v5 offset:17160
	s_wait_dscnt 0x0
	v_pk_mul_f32 v[40:41], v[36:37], v[38:39] op_sel:[1,1] op_sel_hi:[1,0]
	s_delay_alu instid0(VALU_DEP_1) | instskip(SKIP_1) | instid1(VALU_DEP_2)
	v_pk_fma_f32 v[80:81], v[36:37], v[38:39], v[40:41] op_sel_hi:[0,1,1]
	v_pk_fma_f32 v[36:37], v[36:37], v[38:39], v[40:41] neg_lo:[0,0,1] neg_hi:[0,0,1]
	v_mov_b32_e32 v37, v81
	s_delay_alu instid0(VALU_DEP_1)
	v_pk_add_f32 v[38:39], v[36:37], 0 neg_lo:[1,1] neg_hi:[1,1]
	ds_store_b64 v3, v[38:39]
.LBB148_516:                            ;   in Loop: Header=BB148_3 Depth=1
	s_or_b32 exec_lo, exec_lo, s6
	s_wait_loadcnt_dscnt 0x0
	s_barrier_signal -1
	s_barrier_wait -1
	s_and_saveexec_b32 s6, s43
	s_cbranch_execz .LBB148_518
; %bb.517:                              ;   in Loop: Header=BB148_3 Depth=1
	ds_load_b64 v[38:39], v5 offset:17152
	ds_load_b64 v[40:41], v3
	s_wait_dscnt 0x0
	v_pk_mul_f32 v[80:81], v[40:41], v[38:39] op_sel:[1,1] op_sel_hi:[0,1]
	s_delay_alu instid0(VALU_DEP_1) | instskip(SKIP_1) | instid1(VALU_DEP_2)
	v_pk_fma_f32 v[82:83], v[40:41], v[38:39], v[80:81] op_sel_hi:[1,0,1]
	v_pk_fma_f32 v[38:39], v[40:41], v[38:39], v[80:81] neg_lo:[0,0,1] neg_hi:[0,0,1]
	v_mov_b32_e32 v39, v83
	s_delay_alu instid0(VALU_DEP_1)
	v_pk_add_f32 v[36:37], v[36:37], v[38:39] neg_lo:[0,1] neg_hi:[0,1]
.LBB148_518:                            ;   in Loop: Header=BB148_3 Depth=1
	s_or_b32 exec_lo, exec_lo, s6
	s_barrier_signal -1
	s_barrier_wait -1
	s_and_saveexec_b32 s6, s43
	s_cbranch_execz .LBB148_520
; %bb.519:                              ;   in Loop: Header=BB148_3 Depth=1
	ds_load_b64 v[38:39], v5 offset:16640
	s_wait_dscnt 0x0
	v_pk_mul_f32 v[40:41], v[36:37], v[38:39] op_sel:[1,1] op_sel_hi:[1,0]
	s_delay_alu instid0(VALU_DEP_1) | instskip(SKIP_1) | instid1(VALU_DEP_2)
	v_pk_fma_f32 v[80:81], v[36:37], v[38:39], v[40:41] op_sel_hi:[0,1,1]
	v_pk_fma_f32 v[36:37], v[36:37], v[38:39], v[40:41] neg_lo:[0,0,1] neg_hi:[0,0,1]
	v_mov_b32_e32 v37, v81
	s_delay_alu instid0(VALU_DEP_1)
	v_pk_add_f32 v[38:39], v[36:37], 0 neg_lo:[1,1] neg_hi:[1,1]
	ds_store_b64 v3, v[38:39]
.LBB148_520:                            ;   in Loop: Header=BB148_3 Depth=1
	s_or_b32 exec_lo, exec_lo, s6
	s_wait_dscnt 0x0
	s_barrier_signal -1
	s_barrier_wait -1
	s_barrier_signal -1
	s_barrier_wait -1
	s_and_saveexec_b32 s6, s1
; %bb.521:                              ;   in Loop: Header=BB148_3 Depth=1
	ds_store_b64 v46, v[36:37] offset:18176
; %bb.522:                              ;   in Loop: Header=BB148_3 Depth=1
	s_or_b32 exec_lo, exec_lo, s6
	s_wait_dscnt 0x0
	s_barrier_signal -1
	s_barrier_wait -1
	s_barrier_signal -1
	s_barrier_wait -1
	s_and_saveexec_b32 s6, s14
	s_cbranch_execz .LBB148_524
; %bb.523:                              ;   in Loop: Header=BB148_3 Depth=1
	v_add_nc_u32_e64 v36, 0x100, 0
	ds_load_b64 v[40:41], v5 offset:17160
	ds_load_2addr_stride64_b64 v[36:39], v36 offset0:32 offset1:33
	s_wait_dscnt 0x0
	v_dual_mul_f32 v79, v41, v37 :: v_dual_mul_f32 v80, v40, v37
	s_delay_alu instid0(VALU_DEP_1) | instskip(NEXT) | instid1(VALU_DEP_1)
	v_xor_b32_e32 v82, 0x80000000, v79
	v_dual_fmac_f32 v80, v41, v36 :: v_dual_fmac_f32 v82, v40, v36
	s_delay_alu instid0(VALU_DEP_1) | instskip(NEXT) | instid1(VALU_DEP_1)
	v_pk_mul_f32 v[36:37], v[80:81], v[38:39] op_sel:[0,1] op_sel_hi:[0,0]
	v_pk_fma_f32 v[40:41], v[82:83], v[38:39], v[36:37] op_sel_hi:[0,1,1]
	v_pk_fma_f32 v[36:37], v[82:83], v[38:39], v[36:37] neg_lo:[0,0,1] neg_hi:[0,0,1]
	s_delay_alu instid0(VALU_DEP_2)
	v_mov_b32_e32 v37, v41
	ds_store_b64 v5, v[36:37] offset:17152
.LBB148_524:                            ;   in Loop: Header=BB148_3 Depth=1
	s_or_b32 exec_lo, exec_lo, s6
	v_mov_b64_e32 v[36:37], 0
	s_wait_dscnt 0x0
	s_barrier_signal -1
	s_barrier_wait -1
	global_wb scope:SCOPE_DEV
	s_wait_storecnt 0x0
	global_inv scope:SCOPE_DEV
	s_and_saveexec_b32 s70, s35
	s_cbranch_execz .LBB148_586
; %bb.525:                              ;   in Loop: Header=BB148_3 Depth=1
	ds_load_b64 v[36:37], v61 offset:16384
	ds_load_b64 v[38:39], v62 offset:32512
	s_wait_dscnt 0x0
	v_dual_mul_f32 v40, v39, v37 :: v_dual_mul_f32 v37, v38, v37
	s_delay_alu instid0(VALU_DEP_1) | instskip(NEXT) | instid1(VALU_DEP_1)
	v_dual_fma_f32 v38, v38, v36, -v40 :: v_dual_fmac_f32 v37, v39, v36
	v_dual_add_f32 v36, 0, v38 :: v_dual_add_f32 v37, 0, v37
	s_mov_b32 s6, exec_lo
	v_readlane_b32 s8, v89, 18
	s_and_b32 s8, s6, s8
	s_delay_alu instid0(SALU_CYCLE_1)
	s_mov_b32 exec_lo, s8
	s_cbranch_execz .LBB148_527
; %bb.526:                              ;   in Loop: Header=BB148_3 Depth=1
	ds_load_b64 v[38:39], v61 offset:16896
	ds_load_b64 v[40:41], v62 offset:32520
	s_wait_dscnt 0x0
	v_dual_mul_f32 v79, v41, v39 :: v_dual_mul_f32 v39, v40, v39
	s_delay_alu instid0(VALU_DEP_1) | instskip(NEXT) | instid1(VALU_DEP_1)
	v_fmac_f32_e32 v39, v41, v38
	v_dual_fma_f32 v40, v40, v38, -v79 :: v_dual_add_f32 v37, v37, v39
	s_delay_alu instid0(VALU_DEP_1)
	v_add_f32_e32 v36, v36, v40
.LBB148_527:                            ;   in Loop: Header=BB148_3 Depth=1
	s_or_b32 exec_lo, exec_lo, s6
	s_delay_alu instid0(SALU_CYCLE_1) | instskip(SKIP_2) | instid1(SALU_CYCLE_1)
	s_mov_b32 s6, exec_lo
	v_readlane_b32 s8, v89, 19
	s_and_b32 s8, s6, s8
	s_mov_b32 exec_lo, s8
	s_cbranch_execz .LBB148_529
; %bb.528:                              ;   in Loop: Header=BB148_3 Depth=1
	ds_load_b64 v[38:39], v61 offset:17408
	ds_load_b64 v[40:41], v62 offset:32528
	s_wait_dscnt 0x0
	v_dual_mul_f32 v79, v41, v39 :: v_dual_mul_f32 v39, v40, v39
	s_delay_alu instid0(VALU_DEP_1) | instskip(NEXT) | instid1(VALU_DEP_1)
	v_fmac_f32_e32 v39, v41, v38
	v_dual_fma_f32 v40, v40, v38, -v79 :: v_dual_add_f32 v37, v37, v39
	s_delay_alu instid0(VALU_DEP_1)
	v_add_f32_e32 v36, v36, v40
.LBB148_529:                            ;   in Loop: Header=BB148_3 Depth=1
	s_or_b32 exec_lo, exec_lo, s6
	s_delay_alu instid0(SALU_CYCLE_1) | instskip(SKIP_2) | instid1(SALU_CYCLE_1)
	s_mov_b32 s6, exec_lo
	v_readlane_b32 s8, v89, 20
	s_and_b32 s8, s6, s8
	;; [unrolled: 18-line block ×22, first 2 shown]
	s_mov_b32 exec_lo, s8
	s_cbranch_execz .LBB148_571
; %bb.570:                              ;   in Loop: Header=BB148_3 Depth=1
	ds_load_b64 v[38:39], v61 offset:28160
	ds_load_b64 v[40:41], v62 offset:32696
	s_wait_dscnt 0x0
	v_dual_mul_f32 v79, v41, v39 :: v_dual_mul_f32 v39, v40, v39
	s_delay_alu instid0(VALU_DEP_1) | instskip(NEXT) | instid1(VALU_DEP_1)
	v_fmac_f32_e32 v39, v41, v38
	v_dual_fma_f32 v40, v40, v38, -v79 :: v_dual_add_f32 v37, v37, v39
	s_delay_alu instid0(VALU_DEP_1)
	v_add_f32_e32 v36, v36, v40
.LBB148_571:                            ;   in Loop: Header=BB148_3 Depth=1
	s_or_b32 exec_lo, exec_lo, s6
	s_and_saveexec_b32 s6, s4
	s_cbranch_execz .LBB148_573
; %bb.572:                              ;   in Loop: Header=BB148_3 Depth=1
	ds_load_b64 v[38:39], v61 offset:28672
	ds_load_b64 v[40:41], v62 offset:32704
	s_wait_dscnt 0x0
	v_dual_mul_f32 v79, v41, v39 :: v_dual_mul_f32 v39, v40, v39
	s_delay_alu instid0(VALU_DEP_1) | instskip(NEXT) | instid1(VALU_DEP_1)
	v_fmac_f32_e32 v39, v41, v38
	v_dual_fma_f32 v40, v40, v38, -v79 :: v_dual_add_f32 v37, v37, v39
	s_delay_alu instid0(VALU_DEP_1)
	v_add_f32_e32 v36, v36, v40
.LBB148_573:                            ;   in Loop: Header=BB148_3 Depth=1
	s_or_b32 exec_lo, exec_lo, s6
	s_delay_alu instid0(SALU_CYCLE_1) | instskip(SKIP_2) | instid1(SALU_CYCLE_1)
	s_mov_b32 s6, exec_lo
	v_readlane_b32 s8, v90, 31
	s_and_b32 s8, s6, s8
	s_mov_b32 exec_lo, s8
	s_cbranch_execz .LBB148_575
; %bb.574:                              ;   in Loop: Header=BB148_3 Depth=1
	ds_load_b64 v[38:39], v61 offset:29184
	ds_load_b64 v[40:41], v62 offset:32712
	s_wait_dscnt 0x0
	v_dual_mul_f32 v79, v41, v39 :: v_dual_mul_f32 v39, v40, v39
	s_delay_alu instid0(VALU_DEP_1) | instskip(NEXT) | instid1(VALU_DEP_1)
	v_fmac_f32_e32 v39, v41, v38
	v_dual_fma_f32 v40, v40, v38, -v79 :: v_dual_add_f32 v37, v37, v39
	s_delay_alu instid0(VALU_DEP_1)
	v_add_f32_e32 v36, v36, v40
.LBB148_575:                            ;   in Loop: Header=BB148_3 Depth=1
	s_or_b32 exec_lo, exec_lo, s6
	s_delay_alu instid0(SALU_CYCLE_1) | instskip(SKIP_2) | instid1(SALU_CYCLE_1)
	s_mov_b32 s6, exec_lo
	v_readlane_b32 s8, v89, 1
	s_and_b32 s8, s6, s8
	s_mov_b32 exec_lo, s8
	s_cbranch_execz .LBB148_577
; %bb.576:                              ;   in Loop: Header=BB148_3 Depth=1
	ds_load_b64 v[38:39], v61 offset:29696
	ds_load_b64 v[40:41], v62 offset:32720
	s_wait_dscnt 0x0
	v_dual_mul_f32 v79, v41, v39 :: v_dual_mul_f32 v39, v40, v39
	s_delay_alu instid0(VALU_DEP_1) | instskip(NEXT) | instid1(VALU_DEP_1)
	v_fmac_f32_e32 v39, v41, v38
	v_dual_fma_f32 v40, v40, v38, -v79 :: v_dual_add_f32 v37, v37, v39
	s_delay_alu instid0(VALU_DEP_1)
	v_add_f32_e32 v36, v36, v40
.LBB148_577:                            ;   in Loop: Header=BB148_3 Depth=1
	s_or_b32 exec_lo, exec_lo, s6
	s_delay_alu instid0(SALU_CYCLE_1) | instskip(SKIP_2) | instid1(SALU_CYCLE_1)
	s_mov_b32 s6, exec_lo
	v_readlane_b32 s8, v89, 3
	s_and_b32 s8, s6, s8
	s_mov_b32 exec_lo, s8
	s_cbranch_execz .LBB148_579
; %bb.578:                              ;   in Loop: Header=BB148_3 Depth=1
	ds_load_b64 v[38:39], v61 offset:30208
	ds_load_b64 v[40:41], v62 offset:32728
	s_wait_dscnt 0x0
	v_dual_mul_f32 v79, v41, v39 :: v_dual_mul_f32 v39, v40, v39
	s_delay_alu instid0(VALU_DEP_1) | instskip(NEXT) | instid1(VALU_DEP_1)
	v_fmac_f32_e32 v39, v41, v38
	v_dual_fma_f32 v40, v40, v38, -v79 :: v_dual_add_f32 v37, v37, v39
	s_delay_alu instid0(VALU_DEP_1)
	v_add_f32_e32 v36, v36, v40
.LBB148_579:                            ;   in Loop: Header=BB148_3 Depth=1
	s_or_b32 exec_lo, exec_lo, s6
	s_delay_alu instid0(SALU_CYCLE_1) | instskip(SKIP_2) | instid1(SALU_CYCLE_1)
	s_mov_b32 s6, exec_lo
	v_readlane_b32 s8, v89, 5
	s_and_b32 s8, s6, s8
	s_mov_b32 exec_lo, s8
	s_cbranch_execz .LBB148_581
; %bb.580:                              ;   in Loop: Header=BB148_3 Depth=1
	ds_load_b64 v[38:39], v61 offset:30720
	ds_load_b64 v[40:41], v62 offset:32736
	s_wait_dscnt 0x0
	v_dual_mul_f32 v79, v41, v39 :: v_dual_mul_f32 v81, v40, v39
	s_delay_alu instid0(VALU_DEP_1) | instskip(NEXT) | instid1(VALU_DEP_1)
	v_dual_fma_f32 v80, v40, v38, -v79 :: v_dual_fmac_f32 v81, v41, v38
	v_pk_add_f32 v[36:37], v[36:37], v[80:81]
.LBB148_581:                            ;   in Loop: Header=BB148_3 Depth=1
	s_or_b32 exec_lo, exec_lo, s6
	s_delay_alu instid0(SALU_CYCLE_1) | instskip(SKIP_2) | instid1(SALU_CYCLE_1)
	s_mov_b32 s6, exec_lo
	v_readlane_b32 s8, v89, 7
	s_and_b32 s8, s6, s8
	s_mov_b32 exec_lo, s8
	s_cbranch_execnz .LBB148_1072
; %bb.582:                              ;   in Loop: Header=BB148_3 Depth=1
	s_or_b32 exec_lo, exec_lo, s6
	s_and_saveexec_b32 s6, s3
	s_cbranch_execnz .LBB148_1073
.LBB148_583:                            ;   in Loop: Header=BB148_3 Depth=1
	s_or_b32 exec_lo, exec_lo, s6
	s_and_saveexec_b32 s6, s21
	s_delay_alu instid0(SALU_CYCLE_1)
	s_xor_b32 s6, exec_lo, s6
	s_cbranch_execz .LBB148_585
.LBB148_584:                            ;   in Loop: Header=BB148_3 Depth=1
	ds_load_b64 v[38:39], v61 offset:32256
	ds_load_b64 v[40:41], v62 offset:32760
	s_wait_dscnt 0x0
	v_pk_mul_f32 v[80:81], v[40:41], v[38:39] op_sel:[1,1] op_sel_hi:[0,1]
	s_delay_alu instid0(VALU_DEP_1) | instskip(SKIP_1) | instid1(VALU_DEP_2)
	v_pk_fma_f32 v[82:83], v[40:41], v[38:39], v[80:81] op_sel_hi:[1,0,1]
	v_pk_fma_f32 v[38:39], v[40:41], v[38:39], v[80:81] neg_lo:[0,0,1] neg_hi:[0,0,1]
	v_mov_b32_e32 v39, v83
	s_delay_alu instid0(VALU_DEP_1)
	v_pk_add_f32 v[36:37], v[36:37], v[38:39]
.LBB148_585:                            ;   in Loop: Header=BB148_3 Depth=1
	s_or_b32 exec_lo, exec_lo, s6
.LBB148_586:                            ;   in Loop: Header=BB148_3 Depth=1
	s_delay_alu instid0(SALU_CYCLE_1)
	s_or_b32 exec_lo, exec_lo, s70
	v_dual_mov_b32 v38, v78 :: v_dual_mov_b32 v39, v76
	s_mov_b32 s8, 31
	s_branch .LBB148_588
.LBB148_587:                            ;   in Loop: Header=BB148_588 Depth=2
	s_or_b32 exec_lo, exec_lo, s6
	v_add_nc_u32_e32 v39, 0xfffffc00, v39
	v_add_nc_u32_e32 v38, 2, v38
	s_add_co_i32 s8, s8, -2
	s_cmp_eq_u32 s70, 0
	s_barrier_signal -1
	s_barrier_wait -1
	s_cbranch_scc1 .LBB148_596
.LBB148_588:                            ;   Parent Loop BB148_3 Depth=1
                                        ; =>  This Inner Loop Header: Depth=2
	s_delay_alu instid0(VALU_DEP_1) | instskip(SKIP_1) | instid1(SALU_CYCLE_1)
	v_cmp_eq_u32_e32 vcc_lo, 0, v38
	s_and_b32 s10, s7, vcc_lo
	s_and_saveexec_b32 s6, s10
	s_cbranch_execz .LBB148_590
; %bb.589:                              ;   in Loop: Header=BB148_588 Depth=2
	ds_load_b64 v[40:41], v77
	s_wait_dscnt 0x0
	v_pk_mul_f32 v[80:81], v[36:37], v[40:41] op_sel:[1,1] op_sel_hi:[1,0]
	s_delay_alu instid0(VALU_DEP_1) | instskip(SKIP_1) | instid1(VALU_DEP_2)
	v_pk_fma_f32 v[82:83], v[36:37], v[40:41], v[80:81] op_sel_hi:[0,1,1]
	v_pk_fma_f32 v[36:37], v[36:37], v[40:41], v[80:81] neg_lo:[0,0,1] neg_hi:[0,0,1]
	v_mov_b32_e32 v37, v83
	s_delay_alu instid0(VALU_DEP_1)
	v_pk_add_f32 v[40:41], v[36:37], 0 neg_lo:[1,1] neg_hi:[1,1]
	ds_store_b64 v60, v[40:41]
.LBB148_590:                            ;   in Loop: Header=BB148_588 Depth=2
	s_or_b32 exec_lo, exec_lo, s6
	v_cmp_gt_u32_e32 vcc_lo, s8, v58
	s_wait_loadcnt_dscnt 0x0
	s_barrier_signal -1
	s_barrier_wait -1
	s_and_b32 s10, s7, vcc_lo
	s_delay_alu instid0(SALU_CYCLE_1)
	s_and_saveexec_b32 s6, s10
	s_cbranch_execz .LBB148_592
; %bb.591:                              ;   in Loop: Header=BB148_588 Depth=2
	ds_load_b64 v[40:41], v39 offset:512
	ds_load_b64 v[80:81], v60
	s_wait_dscnt 0x0
	v_pk_mul_f32 v[82:83], v[80:81], v[40:41] op_sel:[1,1] op_sel_hi:[0,1]
	s_delay_alu instid0(VALU_DEP_1) | instskip(SKIP_1) | instid1(VALU_DEP_2)
	v_pk_fma_f32 v[84:85], v[80:81], v[40:41], v[82:83] op_sel_hi:[1,0,1]
	v_pk_fma_f32 v[40:41], v[80:81], v[40:41], v[82:83] neg_lo:[0,0,1] neg_hi:[0,0,1]
	v_mov_b32_e32 v41, v85
	s_delay_alu instid0(VALU_DEP_1)
	v_pk_add_f32 v[36:37], v[36:37], v[40:41] neg_lo:[0,1] neg_hi:[0,1]
.LBB148_592:                            ;   in Loop: Header=BB148_588 Depth=2
	s_or_b32 exec_lo, exec_lo, s6
	s_add_co_i32 s70, s8, -1
	s_delay_alu instid0(SALU_CYCLE_1) | instskip(SKIP_3) | instid1(SALU_CYCLE_1)
	v_cmp_eq_u32_e32 vcc_lo, s70, v58
	s_barrier_signal -1
	s_barrier_wait -1
	s_and_b32 s10, s7, vcc_lo
	s_and_saveexec_b32 s6, s10
	s_cbranch_execz .LBB148_594
; %bb.593:                              ;   in Loop: Header=BB148_588 Depth=2
	ds_load_b64 v[40:41], v77
	s_wait_dscnt 0x0
	v_pk_mul_f32 v[80:81], v[36:37], v[40:41] op_sel:[1,1] op_sel_hi:[1,0]
	s_delay_alu instid0(VALU_DEP_1) | instskip(SKIP_1) | instid1(VALU_DEP_2)
	v_pk_fma_f32 v[82:83], v[36:37], v[40:41], v[80:81] op_sel_hi:[0,1,1]
	v_pk_fma_f32 v[36:37], v[36:37], v[40:41], v[80:81] neg_lo:[0,0,1] neg_hi:[0,0,1]
	v_mov_b32_e32 v37, v83
	s_delay_alu instid0(VALU_DEP_1)
	v_pk_add_f32 v[40:41], v[36:37], 0 neg_lo:[1,1] neg_hi:[1,1]
	ds_store_b64 v60, v[40:41]
.LBB148_594:                            ;   in Loop: Header=BB148_588 Depth=2
	s_or_b32 exec_lo, exec_lo, s6
	v_cmp_gt_u32_e32 vcc_lo, s70, v58
	s_wait_dscnt 0x0
	s_barrier_signal -1
	s_barrier_wait -1
	s_and_b32 s10, s7, vcc_lo
	s_delay_alu instid0(SALU_CYCLE_1)
	s_and_saveexec_b32 s6, s10
	s_cbranch_execz .LBB148_587
; %bb.595:                              ;   in Loop: Header=BB148_588 Depth=2
	ds_load_b64 v[40:41], v39
	ds_load_b64 v[80:81], v60
	s_wait_dscnt 0x0
	v_pk_mul_f32 v[82:83], v[80:81], v[40:41] op_sel:[1,1] op_sel_hi:[0,1]
	s_delay_alu instid0(VALU_DEP_1) | instskip(SKIP_1) | instid1(VALU_DEP_2)
	v_pk_fma_f32 v[84:85], v[80:81], v[40:41], v[82:83] op_sel_hi:[1,0,1]
	v_pk_fma_f32 v[40:41], v[80:81], v[40:41], v[82:83] neg_lo:[0,0,1] neg_hi:[0,0,1]
	v_mov_b32_e32 v41, v85
	s_delay_alu instid0(VALU_DEP_1)
	v_pk_add_f32 v[36:37], v[36:37], v[40:41] neg_lo:[0,1] neg_hi:[0,1]
	s_branch .LBB148_587
.LBB148_596:                            ;   in Loop: Header=BB148_3 Depth=1
	s_and_saveexec_b32 s6, s35
; %bb.597:                              ;   in Loop: Header=BB148_3 Depth=1
	ds_store_b64 v63, v[36:37] offset:32256
; %bb.598:                              ;   in Loop: Header=BB148_3 Depth=1
	s_or_b32 exec_lo, exec_lo, s6
	s_wait_dscnt 0x0
	s_barrier_signal -1
	s_barrier_wait -1
	s_barrier_signal -1
	s_barrier_wait -1
	s_and_saveexec_b32 s6, s14
	s_cbranch_execz .LBB148_600
; %bb.599:                              ;   in Loop: Header=BB148_3 Depth=1
	v_add_nc_u32_e64 v36, 0xf0, 0
	ds_load_b64 v[40:41], v5 offset:16120
	ds_load_2addr_stride64_b64 v[36:39], v36 offset0:30 offset1:31
	s_wait_dscnt 0x0
	v_dual_mul_f32 v79, v41, v37 :: v_dual_mul_f32 v80, v40, v37
	s_delay_alu instid0(VALU_DEP_1) | instskip(NEXT) | instid1(VALU_DEP_1)
	v_xor_b32_e32 v82, 0x80000000, v79
	v_dual_fmac_f32 v80, v41, v36 :: v_dual_fmac_f32 v82, v40, v36
	s_delay_alu instid0(VALU_DEP_1) | instskip(NEXT) | instid1(VALU_DEP_1)
	v_pk_mul_f32 v[36:37], v[80:81], v[38:39] op_sel:[0,1] op_sel_hi:[0,0]
	v_pk_fma_f32 v[40:41], v[82:83], v[38:39], v[36:37] op_sel_hi:[0,1,1]
	v_pk_fma_f32 v[36:37], v[82:83], v[38:39], v[36:37] neg_lo:[0,0,1] neg_hi:[0,0,1]
	s_delay_alu instid0(VALU_DEP_2)
	v_mov_b32_e32 v37, v41
	ds_store_b64 v5, v[36:37] offset:16112
.LBB148_600:                            ;   in Loop: Header=BB148_3 Depth=1
	s_or_b32 exec_lo, exec_lo, s6
	v_dual_mov_b32 v36, 0 :: v_dual_mov_b32 v37, 0
	s_wait_dscnt 0x0
	s_barrier_signal -1
	s_barrier_wait -1
	global_wb scope:SCOPE_DEV
	s_wait_storecnt 0x0
	global_inv scope:SCOPE_DEV
	s_and_saveexec_b32 s6, s1
	s_cbranch_execz .LBB148_604
; %bb.601:                              ;   in Loop: Header=BB148_3 Depth=1
	ds_load_b64 v[36:37], v43 offset:15584
	ds_load_b64 v[38:39], v44 offset:16112
	s_wait_dscnt 0x0
	v_pk_mul_f32 v[40:41], v[38:39], v[36:37] op_sel:[1,1] op_sel_hi:[0,1]
	s_delay_alu instid0(VALU_DEP_1) | instskip(SKIP_1) | instid1(VALU_DEP_2)
	v_pk_fma_f32 v[80:81], v[38:39], v[36:37], v[40:41] op_sel_hi:[1,0,1]
	v_pk_fma_f32 v[36:37], v[38:39], v[36:37], v[40:41] neg_lo:[0,0,1] neg_hi:[0,0,1]
	v_mov_b32_e32 v37, v81
	s_delay_alu instid0(VALU_DEP_1)
	v_pk_add_f32 v[36:37], v[36:37], 0 op_sel_hi:[1,0]
	s_and_saveexec_b32 s8, s15
	s_cbranch_execz .LBB148_603
; %bb.602:                              ;   in Loop: Header=BB148_3 Depth=1
	ds_load_b64 v[38:39], v45 offset:16096
	ds_load_b64 v[40:41], v5 offset:16120
	s_wait_dscnt 0x0
	v_pk_mul_f32 v[80:81], v[40:41], v[38:39] op_sel:[1,1] op_sel_hi:[0,1]
	s_delay_alu instid0(VALU_DEP_1) | instskip(SKIP_1) | instid1(VALU_DEP_2)
	v_pk_fma_f32 v[82:83], v[40:41], v[38:39], v[80:81] op_sel_hi:[1,0,1]
	v_pk_fma_f32 v[38:39], v[40:41], v[38:39], v[80:81] neg_lo:[0,0,1] neg_hi:[0,0,1]
	v_mov_b32_e32 v39, v83
	s_delay_alu instid0(VALU_DEP_1)
	v_pk_add_f32 v[36:37], v[36:37], v[38:39]
.LBB148_603:                            ;   in Loop: Header=BB148_3 Depth=1
	s_or_b32 exec_lo, exec_lo, s8
.LBB148_604:                            ;   in Loop: Header=BB148_3 Depth=1
	s_delay_alu instid0(SALU_CYCLE_1)
	s_or_b32 exec_lo, exec_lo, s6
	s_and_saveexec_b32 s6, vcc_hi
	s_cbranch_execz .LBB148_606
; %bb.605:                              ;   in Loop: Header=BB148_3 Depth=1
	ds_load_b64 v[38:39], v5 offset:15080
	s_wait_dscnt 0x0
	v_pk_mul_f32 v[40:41], v[36:37], v[38:39] op_sel:[1,1] op_sel_hi:[1,0]
	s_delay_alu instid0(VALU_DEP_1) | instskip(SKIP_1) | instid1(VALU_DEP_2)
	v_pk_fma_f32 v[80:81], v[36:37], v[38:39], v[40:41] op_sel_hi:[0,1,1]
	v_pk_fma_f32 v[36:37], v[36:37], v[38:39], v[40:41] neg_lo:[0,0,1] neg_hi:[0,0,1]
	v_mov_b32_e32 v37, v81
	s_delay_alu instid0(VALU_DEP_1)
	v_pk_add_f32 v[38:39], v[36:37], 0 neg_lo:[1,1] neg_hi:[1,1]
	ds_store_b64 v3, v[38:39]
.LBB148_606:                            ;   in Loop: Header=BB148_3 Depth=1
	s_or_b32 exec_lo, exec_lo, s6
	s_wait_loadcnt_dscnt 0x0
	s_barrier_signal -1
	s_barrier_wait -1
	s_and_saveexec_b32 s6, s43
	s_cbranch_execz .LBB148_608
; %bb.607:                              ;   in Loop: Header=BB148_3 Depth=1
	ds_load_b64 v[38:39], v5 offset:15072
	ds_load_b64 v[40:41], v3
	s_wait_dscnt 0x0
	v_pk_mul_f32 v[80:81], v[40:41], v[38:39] op_sel:[1,1] op_sel_hi:[0,1]
	s_delay_alu instid0(VALU_DEP_1) | instskip(SKIP_1) | instid1(VALU_DEP_2)
	v_pk_fma_f32 v[82:83], v[40:41], v[38:39], v[80:81] op_sel_hi:[1,0,1]
	v_pk_fma_f32 v[38:39], v[40:41], v[38:39], v[80:81] neg_lo:[0,0,1] neg_hi:[0,0,1]
	v_mov_b32_e32 v39, v83
	s_delay_alu instid0(VALU_DEP_1)
	v_pk_add_f32 v[36:37], v[36:37], v[38:39] neg_lo:[0,1] neg_hi:[0,1]
.LBB148_608:                            ;   in Loop: Header=BB148_3 Depth=1
	s_or_b32 exec_lo, exec_lo, s6
	s_barrier_signal -1
	s_barrier_wait -1
	s_and_saveexec_b32 s6, s43
	s_cbranch_execz .LBB148_610
; %bb.609:                              ;   in Loop: Header=BB148_3 Depth=1
	ds_load_b64 v[38:39], v5 offset:14560
	s_wait_dscnt 0x0
	v_pk_mul_f32 v[40:41], v[36:37], v[38:39] op_sel:[1,1] op_sel_hi:[1,0]
	s_delay_alu instid0(VALU_DEP_1) | instskip(SKIP_1) | instid1(VALU_DEP_2)
	v_pk_fma_f32 v[80:81], v[36:37], v[38:39], v[40:41] op_sel_hi:[0,1,1]
	v_pk_fma_f32 v[36:37], v[36:37], v[38:39], v[40:41] neg_lo:[0,0,1] neg_hi:[0,0,1]
	v_mov_b32_e32 v37, v81
	s_delay_alu instid0(VALU_DEP_1)
	v_pk_add_f32 v[38:39], v[36:37], 0 neg_lo:[1,1] neg_hi:[1,1]
	ds_store_b64 v3, v[38:39]
.LBB148_610:                            ;   in Loop: Header=BB148_3 Depth=1
	s_or_b32 exec_lo, exec_lo, s6
	s_wait_dscnt 0x0
	s_barrier_signal -1
	s_barrier_wait -1
	s_barrier_signal -1
	s_barrier_wait -1
	s_and_saveexec_b32 s6, s1
; %bb.611:                              ;   in Loop: Header=BB148_3 Depth=1
	ds_store_b64 v46, v[36:37] offset:16096
; %bb.612:                              ;   in Loop: Header=BB148_3 Depth=1
	s_or_b32 exec_lo, exec_lo, s6
	s_wait_dscnt 0x0
	s_barrier_signal -1
	s_barrier_wait -1
	s_barrier_signal -1
	s_barrier_wait -1
	s_and_saveexec_b32 s6, s14
	s_cbranch_execz .LBB148_614
; %bb.613:                              ;   in Loop: Header=BB148_3 Depth=1
	v_add_nc_u32_e64 v36, 0xe0, 0
	ds_load_b64 v[40:41], v5 offset:15080
	ds_load_2addr_stride64_b64 v[36:39], v36 offset0:28 offset1:29
	s_wait_dscnt 0x0
	v_dual_mul_f32 v79, v41, v37 :: v_dual_mul_f32 v80, v40, v37
	s_delay_alu instid0(VALU_DEP_1) | instskip(NEXT) | instid1(VALU_DEP_1)
	v_xor_b32_e32 v82, 0x80000000, v79
	v_dual_fmac_f32 v80, v41, v36 :: v_dual_fmac_f32 v82, v40, v36
	s_delay_alu instid0(VALU_DEP_1) | instskip(NEXT) | instid1(VALU_DEP_1)
	v_pk_mul_f32 v[36:37], v[80:81], v[38:39] op_sel:[0,1] op_sel_hi:[0,0]
	v_pk_fma_f32 v[40:41], v[82:83], v[38:39], v[36:37] op_sel_hi:[0,1,1]
	v_pk_fma_f32 v[36:37], v[82:83], v[38:39], v[36:37] neg_lo:[0,0,1] neg_hi:[0,0,1]
	s_delay_alu instid0(VALU_DEP_2)
	v_mov_b32_e32 v37, v41
	ds_store_b64 v5, v[36:37] offset:15072
.LBB148_614:                            ;   in Loop: Header=BB148_3 Depth=1
	s_or_b32 exec_lo, exec_lo, s6
	v_mov_b64_e32 v[36:37], 0
	s_wait_dscnt 0x0
	s_barrier_signal -1
	s_barrier_wait -1
	global_wb scope:SCOPE_DEV
	s_wait_storecnt 0x0
	global_inv scope:SCOPE_DEV
	s_and_saveexec_b32 s8, s2
	s_cbranch_execz .LBB148_620
; %bb.615:                              ;   in Loop: Header=BB148_3 Depth=1
	ds_load_b64 v[36:37], v48 offset:14528
	ds_load_b64 v[38:39], v49 offset:16096
	s_wait_dscnt 0x0
	v_dual_mul_f32 v40, v39, v37 :: v_dual_mul_f32 v37, v38, v37
	s_delay_alu instid0(VALU_DEP_1) | instskip(NEXT) | instid1(VALU_DEP_1)
	v_dual_fma_f32 v38, v38, v36, -v40 :: v_dual_fmac_f32 v37, v39, v36
	v_dual_add_f32 v36, 0, v38 :: v_dual_add_f32 v37, 0, v37
	s_and_saveexec_b32 s6, s16
	s_cbranch_execnz .LBB148_1074
; %bb.616:                              ;   in Loop: Header=BB148_3 Depth=1
	s_or_b32 exec_lo, exec_lo, s6
	s_and_saveexec_b32 s6, s17
	s_cbranch_execnz .LBB148_1075
.LBB148_617:                            ;   in Loop: Header=BB148_3 Depth=1
	s_or_b32 exec_lo, exec_lo, s6
	s_and_saveexec_b32 s6, s1
	s_cbranch_execz .LBB148_619
.LBB148_618:                            ;   in Loop: Header=BB148_3 Depth=1
	ds_load_b64 v[38:39], v45 offset:16064
	ds_load_b64 v[40:41], v5 offset:16120
	s_wait_dscnt 0x0
	v_dual_mul_f32 v79, v41, v39 :: v_dual_mul_f32 v39, v40, v39
	s_delay_alu instid0(VALU_DEP_1) | instskip(NEXT) | instid1(VALU_DEP_1)
	v_fmac_f32_e32 v39, v41, v38
	v_dual_fma_f32 v40, v40, v38, -v79 :: v_dual_add_f32 v37, v37, v39
	s_delay_alu instid0(VALU_DEP_1)
	v_add_f32_e32 v36, v36, v40
.LBB148_619:                            ;   in Loop: Header=BB148_3 Depth=1
	s_or_b32 exec_lo, exec_lo, s6
.LBB148_620:                            ;   in Loop: Header=BB148_3 Depth=1
	s_delay_alu instid0(SALU_CYCLE_1)
	s_or_b32 exec_lo, exec_lo, s8
	s_and_saveexec_b32 s6, s44
	s_cbranch_execz .LBB148_622
; %bb.621:                              ;   in Loop: Header=BB148_3 Depth=1
	ds_load_b64 v[38:39], v5 offset:14040
	s_wait_dscnt 0x0
	v_dual_mul_f32 v40, v37, v38 :: v_dual_mul_f32 v80, v37, v39
	s_delay_alu instid0(VALU_DEP_1) | instskip(NEXT) | instid1(VALU_DEP_2)
	v_pk_fma_f32 v[40:41], v[36:37], v[38:39], v[40:41] op_sel:[1,0,0] op_sel_hi:[0,1,0]
	v_pk_fma_f32 v[36:37], v[36:37], v[38:39], v[80:81] op_sel_hi:[1,1,0] neg_lo:[0,0,1] neg_hi:[0,0,1]
	s_delay_alu instid0(VALU_DEP_2) | instskip(NEXT) | instid1(VALU_DEP_1)
	v_mov_b32_e32 v37, v41
	v_pk_add_f32 v[38:39], v[36:37], 0 neg_lo:[1,1] neg_hi:[1,1]
	ds_store_b64 v47, v[38:39]
.LBB148_622:                            ;   in Loop: Header=BB148_3 Depth=1
	s_or_b32 exec_lo, exec_lo, s6
	s_wait_loadcnt_dscnt 0x0
	s_barrier_signal -1
	s_barrier_wait -1
	s_and_saveexec_b32 s6, s45
	s_cbranch_execz .LBB148_624
; %bb.623:                              ;   in Loop: Header=BB148_3 Depth=1
	ds_load_b64 v[38:39], v48 offset:14016
	ds_load_b64 v[40:41], v47
	s_wait_dscnt 0x0
	v_pk_mul_f32 v[80:81], v[40:41], v[38:39] op_sel:[1,1] op_sel_hi:[0,1]
	s_delay_alu instid0(VALU_DEP_1) | instskip(SKIP_1) | instid1(VALU_DEP_2)
	v_pk_fma_f32 v[82:83], v[40:41], v[38:39], v[80:81] op_sel_hi:[1,0,1]
	v_pk_fma_f32 v[38:39], v[40:41], v[38:39], v[80:81] neg_lo:[0,0,1] neg_hi:[0,0,1]
	v_mov_b32_e32 v39, v83
	s_delay_alu instid0(VALU_DEP_1)
	v_pk_add_f32 v[36:37], v[36:37], v[38:39] neg_lo:[0,1] neg_hi:[0,1]
.LBB148_624:                            ;   in Loop: Header=BB148_3 Depth=1
	s_or_b32 exec_lo, exec_lo, s6
	s_barrier_signal -1
	s_barrier_wait -1
	s_and_saveexec_b32 s6, s46
	s_cbranch_execz .LBB148_626
; %bb.625:                              ;   in Loop: Header=BB148_3 Depth=1
	ds_load_b64 v[38:39], v5 offset:13520
	s_wait_dscnt 0x0
	v_pk_mul_f32 v[40:41], v[36:37], v[38:39] op_sel:[1,1] op_sel_hi:[1,0]
	s_delay_alu instid0(VALU_DEP_1) | instskip(SKIP_1) | instid1(VALU_DEP_2)
	v_pk_fma_f32 v[80:81], v[36:37], v[38:39], v[40:41] op_sel_hi:[0,1,1]
	v_pk_fma_f32 v[36:37], v[36:37], v[38:39], v[40:41] neg_lo:[0,0,1] neg_hi:[0,0,1]
	v_mov_b32_e32 v37, v81
	s_delay_alu instid0(VALU_DEP_1)
	v_pk_add_f32 v[38:39], v[36:37], 0 neg_lo:[1,1] neg_hi:[1,1]
	ds_store_b64 v47, v[38:39]
.LBB148_626:                            ;   in Loop: Header=BB148_3 Depth=1
	s_or_b32 exec_lo, exec_lo, s6
	s_wait_dscnt 0x0
	s_barrier_signal -1
	s_barrier_wait -1
	s_and_saveexec_b32 s6, s47
	s_cbranch_execz .LBB148_628
; %bb.627:                              ;   in Loop: Header=BB148_3 Depth=1
	ds_load_b64 v[38:39], v48 offset:13504
	ds_load_b64 v[40:41], v47
	s_wait_dscnt 0x0
	v_pk_mul_f32 v[80:81], v[40:41], v[38:39] op_sel:[1,1] op_sel_hi:[0,1]
	s_delay_alu instid0(VALU_DEP_1) | instskip(SKIP_1) | instid1(VALU_DEP_2)
	v_pk_fma_f32 v[82:83], v[40:41], v[38:39], v[80:81] op_sel_hi:[1,0,1]
	v_pk_fma_f32 v[38:39], v[40:41], v[38:39], v[80:81] neg_lo:[0,0,1] neg_hi:[0,0,1]
	v_mov_b32_e32 v39, v83
	s_delay_alu instid0(VALU_DEP_1)
	v_pk_add_f32 v[36:37], v[36:37], v[38:39] neg_lo:[0,1] neg_hi:[0,1]
.LBB148_628:                            ;   in Loop: Header=BB148_3 Depth=1
	s_or_b32 exec_lo, exec_lo, s6
	s_barrier_signal -1
	s_barrier_wait -1
	s_and_saveexec_b32 s6, s48
	s_cbranch_execz .LBB148_630
; %bb.629:                              ;   in Loop: Header=BB148_3 Depth=1
	ds_load_b64 v[38:39], v5 offset:13000
	s_wait_dscnt 0x0
	v_pk_mul_f32 v[40:41], v[36:37], v[38:39] op_sel:[1,1] op_sel_hi:[1,0]
	s_delay_alu instid0(VALU_DEP_1) | instskip(SKIP_1) | instid1(VALU_DEP_2)
	v_pk_fma_f32 v[80:81], v[36:37], v[38:39], v[40:41] op_sel_hi:[0,1,1]
	v_pk_fma_f32 v[36:37], v[36:37], v[38:39], v[40:41] neg_lo:[0,0,1] neg_hi:[0,0,1]
	v_mov_b32_e32 v37, v81
	s_delay_alu instid0(VALU_DEP_1)
	v_pk_add_f32 v[38:39], v[36:37], 0 neg_lo:[1,1] neg_hi:[1,1]
	ds_store_b64 v47, v[38:39]
.LBB148_630:                            ;   in Loop: Header=BB148_3 Depth=1
	s_or_b32 exec_lo, exec_lo, s6
	s_wait_dscnt 0x0
	;; [unrolled: 35-line block ×3, first 2 shown]
	s_barrier_signal -1
	s_barrier_wait -1
	s_barrier_signal -1
	s_barrier_wait -1
	s_and_saveexec_b32 s6, s2
; %bb.635:                              ;   in Loop: Header=BB148_3 Depth=1
	ds_store_b64 v50, v[36:37] offset:16064
; %bb.636:                              ;   in Loop: Header=BB148_3 Depth=1
	s_or_b32 exec_lo, exec_lo, s6
	s_wait_dscnt 0x0
	s_barrier_signal -1
	s_barrier_wait -1
	s_barrier_signal -1
	s_barrier_wait -1
	s_and_saveexec_b32 s6, s14
	s_cbranch_execz .LBB148_638
; %bb.637:                              ;   in Loop: Header=BB148_3 Depth=1
	v_add_nc_u32_e64 v36, 0xd0, 0
	ds_load_b64 v[40:41], v5 offset:14040
	ds_load_2addr_stride64_b64 v[36:39], v36 offset0:26 offset1:27
	s_wait_dscnt 0x0
	v_dual_mul_f32 v79, v41, v37 :: v_dual_mul_f32 v80, v40, v37
	s_delay_alu instid0(VALU_DEP_1) | instskip(NEXT) | instid1(VALU_DEP_1)
	v_xor_b32_e32 v82, 0x80000000, v79
	v_dual_fmac_f32 v80, v41, v36 :: v_dual_fmac_f32 v82, v40, v36
	s_delay_alu instid0(VALU_DEP_1) | instskip(NEXT) | instid1(VALU_DEP_1)
	v_pk_mul_f32 v[36:37], v[80:81], v[38:39] op_sel:[0,1] op_sel_hi:[0,0]
	v_pk_fma_f32 v[40:41], v[82:83], v[38:39], v[36:37] op_sel_hi:[0,1,1]
	v_pk_fma_f32 v[36:37], v[82:83], v[38:39], v[36:37] neg_lo:[0,0,1] neg_hi:[0,0,1]
	s_delay_alu instid0(VALU_DEP_2)
	v_mov_b32_e32 v37, v41
	ds_store_b64 v5, v[36:37] offset:14032
.LBB148_638:                            ;   in Loop: Header=BB148_3 Depth=1
	s_or_b32 exec_lo, exec_lo, s6
	v_dual_mov_b32 v36, 0 :: v_dual_mov_b32 v37, 0
	s_wait_dscnt 0x0
	s_barrier_signal -1
	s_barrier_wait -1
	global_wb scope:SCOPE_DEV
	s_wait_storecnt 0x0
	global_inv scope:SCOPE_DEV
	s_and_saveexec_b32 s6, s1
	s_cbranch_execz .LBB148_642
; %bb.639:                              ;   in Loop: Header=BB148_3 Depth=1
	ds_load_b64 v[36:37], v43 offset:13504
	ds_load_b64 v[38:39], v44 offset:14032
	s_wait_dscnt 0x0
	v_pk_mul_f32 v[40:41], v[38:39], v[36:37] op_sel:[1,1] op_sel_hi:[0,1]
	s_delay_alu instid0(VALU_DEP_1) | instskip(SKIP_1) | instid1(VALU_DEP_2)
	v_pk_fma_f32 v[80:81], v[38:39], v[36:37], v[40:41] op_sel_hi:[1,0,1]
	v_pk_fma_f32 v[36:37], v[38:39], v[36:37], v[40:41] neg_lo:[0,0,1] neg_hi:[0,0,1]
	v_mov_b32_e32 v37, v81
	s_delay_alu instid0(VALU_DEP_1)
	v_pk_add_f32 v[36:37], v[36:37], 0 op_sel_hi:[1,0]
	s_and_saveexec_b32 s8, s15
	s_cbranch_execz .LBB148_641
; %bb.640:                              ;   in Loop: Header=BB148_3 Depth=1
	ds_load_b64 v[38:39], v45 offset:14016
	ds_load_b64 v[40:41], v5 offset:14040
	s_wait_dscnt 0x0
	v_pk_mul_f32 v[80:81], v[40:41], v[38:39] op_sel:[1,1] op_sel_hi:[0,1]
	s_delay_alu instid0(VALU_DEP_1) | instskip(SKIP_1) | instid1(VALU_DEP_2)
	v_pk_fma_f32 v[82:83], v[40:41], v[38:39], v[80:81] op_sel_hi:[1,0,1]
	v_pk_fma_f32 v[38:39], v[40:41], v[38:39], v[80:81] neg_lo:[0,0,1] neg_hi:[0,0,1]
	v_mov_b32_e32 v39, v83
	s_delay_alu instid0(VALU_DEP_1)
	v_pk_add_f32 v[36:37], v[36:37], v[38:39]
.LBB148_641:                            ;   in Loop: Header=BB148_3 Depth=1
	s_or_b32 exec_lo, exec_lo, s8
.LBB148_642:                            ;   in Loop: Header=BB148_3 Depth=1
	s_delay_alu instid0(SALU_CYCLE_1)
	s_or_b32 exec_lo, exec_lo, s6
	s_and_saveexec_b32 s6, vcc_hi
	s_cbranch_execz .LBB148_644
; %bb.643:                              ;   in Loop: Header=BB148_3 Depth=1
	ds_load_b64 v[38:39], v5 offset:13000
	s_wait_dscnt 0x0
	v_pk_mul_f32 v[40:41], v[36:37], v[38:39] op_sel:[1,1] op_sel_hi:[1,0]
	s_delay_alu instid0(VALU_DEP_1) | instskip(SKIP_1) | instid1(VALU_DEP_2)
	v_pk_fma_f32 v[80:81], v[36:37], v[38:39], v[40:41] op_sel_hi:[0,1,1]
	v_pk_fma_f32 v[36:37], v[36:37], v[38:39], v[40:41] neg_lo:[0,0,1] neg_hi:[0,0,1]
	v_mov_b32_e32 v37, v81
	s_delay_alu instid0(VALU_DEP_1)
	v_pk_add_f32 v[38:39], v[36:37], 0 neg_lo:[1,1] neg_hi:[1,1]
	ds_store_b64 v3, v[38:39]
.LBB148_644:                            ;   in Loop: Header=BB148_3 Depth=1
	s_or_b32 exec_lo, exec_lo, s6
	s_wait_loadcnt_dscnt 0x0
	s_barrier_signal -1
	s_barrier_wait -1
	s_and_saveexec_b32 s6, s43
	s_cbranch_execz .LBB148_646
; %bb.645:                              ;   in Loop: Header=BB148_3 Depth=1
	ds_load_b64 v[38:39], v5 offset:12992
	ds_load_b64 v[40:41], v3
	s_wait_dscnt 0x0
	v_pk_mul_f32 v[80:81], v[40:41], v[38:39] op_sel:[1,1] op_sel_hi:[0,1]
	s_delay_alu instid0(VALU_DEP_1) | instskip(SKIP_1) | instid1(VALU_DEP_2)
	v_pk_fma_f32 v[82:83], v[40:41], v[38:39], v[80:81] op_sel_hi:[1,0,1]
	v_pk_fma_f32 v[38:39], v[40:41], v[38:39], v[80:81] neg_lo:[0,0,1] neg_hi:[0,0,1]
	v_mov_b32_e32 v39, v83
	s_delay_alu instid0(VALU_DEP_1)
	v_pk_add_f32 v[36:37], v[36:37], v[38:39] neg_lo:[0,1] neg_hi:[0,1]
.LBB148_646:                            ;   in Loop: Header=BB148_3 Depth=1
	s_or_b32 exec_lo, exec_lo, s6
	s_barrier_signal -1
	s_barrier_wait -1
	s_and_saveexec_b32 s6, s43
	s_cbranch_execz .LBB148_648
; %bb.647:                              ;   in Loop: Header=BB148_3 Depth=1
	ds_load_b64 v[38:39], v5 offset:12480
	s_wait_dscnt 0x0
	v_pk_mul_f32 v[40:41], v[36:37], v[38:39] op_sel:[1,1] op_sel_hi:[1,0]
	s_delay_alu instid0(VALU_DEP_1) | instskip(SKIP_1) | instid1(VALU_DEP_2)
	v_pk_fma_f32 v[80:81], v[36:37], v[38:39], v[40:41] op_sel_hi:[0,1,1]
	v_pk_fma_f32 v[36:37], v[36:37], v[38:39], v[40:41] neg_lo:[0,0,1] neg_hi:[0,0,1]
	v_mov_b32_e32 v37, v81
	s_delay_alu instid0(VALU_DEP_1)
	v_pk_add_f32 v[38:39], v[36:37], 0 neg_lo:[1,1] neg_hi:[1,1]
	ds_store_b64 v3, v[38:39]
.LBB148_648:                            ;   in Loop: Header=BB148_3 Depth=1
	s_or_b32 exec_lo, exec_lo, s6
	s_wait_dscnt 0x0
	s_barrier_signal -1
	s_barrier_wait -1
	s_barrier_signal -1
	s_barrier_wait -1
	s_and_saveexec_b32 s6, s1
; %bb.649:                              ;   in Loop: Header=BB148_3 Depth=1
	ds_store_b64 v46, v[36:37] offset:14016
; %bb.650:                              ;   in Loop: Header=BB148_3 Depth=1
	s_or_b32 exec_lo, exec_lo, s6
	s_wait_dscnt 0x0
	s_barrier_signal -1
	s_barrier_wait -1
	s_barrier_signal -1
	s_barrier_wait -1
	s_and_saveexec_b32 s6, s14
	s_cbranch_execz .LBB148_652
; %bb.651:                              ;   in Loop: Header=BB148_3 Depth=1
	v_add_nc_u32_e64 v36, 0xc0, 0
	ds_load_b64 v[40:41], v5 offset:13000
	ds_load_2addr_stride64_b64 v[36:39], v36 offset0:24 offset1:25
	s_wait_dscnt 0x0
	v_dual_mul_f32 v79, v41, v37 :: v_dual_mul_f32 v80, v40, v37
	s_delay_alu instid0(VALU_DEP_1) | instskip(NEXT) | instid1(VALU_DEP_1)
	v_xor_b32_e32 v82, 0x80000000, v79
	v_dual_fmac_f32 v80, v41, v36 :: v_dual_fmac_f32 v82, v40, v36
	s_delay_alu instid0(VALU_DEP_1) | instskip(NEXT) | instid1(VALU_DEP_1)
	v_pk_mul_f32 v[36:37], v[80:81], v[38:39] op_sel:[0,1] op_sel_hi:[0,0]
	v_pk_fma_f32 v[40:41], v[82:83], v[38:39], v[36:37] op_sel_hi:[0,1,1]
	v_pk_fma_f32 v[36:37], v[82:83], v[38:39], v[36:37] neg_lo:[0,0,1] neg_hi:[0,0,1]
	s_delay_alu instid0(VALU_DEP_2)
	v_mov_b32_e32 v37, v41
	ds_store_b64 v5, v[36:37] offset:12992
.LBB148_652:                            ;   in Loop: Header=BB148_3 Depth=1
	s_or_b32 exec_lo, exec_lo, s6
	v_mov_b64_e32 v[36:37], 0
	s_wait_dscnt 0x0
	s_barrier_signal -1
	s_barrier_wait -1
	global_wb scope:SCOPE_DEV
	s_wait_storecnt 0x0
	global_inv scope:SCOPE_DEV
	s_and_saveexec_b32 s8, s3
	s_cbranch_execz .LBB148_662
; %bb.653:                              ;   in Loop: Header=BB148_3 Depth=1
	ds_load_b64 v[36:37], v52 offset:12416
	ds_load_b64 v[38:39], v53 offset:16064
	s_wait_dscnt 0x0
	v_dual_mul_f32 v40, v39, v37 :: v_dual_mul_f32 v37, v38, v37
	s_delay_alu instid0(VALU_DEP_1) | instskip(NEXT) | instid1(VALU_DEP_1)
	v_dual_fma_f32 v38, v38, v36, -v40 :: v_dual_fmac_f32 v37, v39, v36
	v_dual_add_f32 v36, 0, v38 :: v_dual_add_f32 v37, 0, v37
	s_and_saveexec_b32 s6, s18
	s_cbranch_execnz .LBB148_1076
; %bb.654:                              ;   in Loop: Header=BB148_3 Depth=1
	s_or_b32 exec_lo, exec_lo, s6
	s_and_saveexec_b32 s6, s19
	s_cbranch_execnz .LBB148_1077
.LBB148_655:                            ;   in Loop: Header=BB148_3 Depth=1
	s_or_b32 exec_lo, exec_lo, s6
	s_and_saveexec_b32 s6, s20
	s_cbranch_execnz .LBB148_1078
.LBB148_656:                            ;   in Loop: Header=BB148_3 Depth=1
	s_or_b32 exec_lo, exec_lo, s6
	s_and_saveexec_b32 s6, s21
	s_cbranch_execnz .LBB148_1079
.LBB148_657:                            ;   in Loop: Header=BB148_3 Depth=1
	s_or_b32 exec_lo, exec_lo, s6
	s_and_saveexec_b32 s6, s22
	s_cbranch_execnz .LBB148_1080
.LBB148_658:                            ;   in Loop: Header=BB148_3 Depth=1
	s_or_b32 exec_lo, exec_lo, s6
	s_and_saveexec_b32 s6, s2
	s_cbranch_execnz .LBB148_1081
.LBB148_659:                            ;   in Loop: Header=BB148_3 Depth=1
	s_or_b32 exec_lo, exec_lo, s6
	s_and_saveexec_b32 s6, s17
	s_cbranch_execz .LBB148_661
.LBB148_660:                            ;   in Loop: Header=BB148_3 Depth=1
	ds_load_b64 v[38:39], v45 offset:16000
	ds_load_b64 v[40:41], v5 offset:16120
	s_wait_dscnt 0x0
	v_dual_mul_f32 v79, v41, v39 :: v_dual_mul_f32 v81, v40, v39
	s_delay_alu instid0(VALU_DEP_1) | instskip(NEXT) | instid1(VALU_DEP_1)
	v_dual_fma_f32 v80, v40, v38, -v79 :: v_dual_fmac_f32 v81, v41, v38
	v_pk_add_f32 v[36:37], v[36:37], v[80:81]
.LBB148_661:                            ;   in Loop: Header=BB148_3 Depth=1
	s_or_b32 exec_lo, exec_lo, s6
.LBB148_662:                            ;   in Loop: Header=BB148_3 Depth=1
	s_delay_alu instid0(SALU_CYCLE_1)
	s_or_b32 exec_lo, exec_lo, s8
	s_and_saveexec_b32 s6, s50
	s_cbranch_execz .LBB148_664
; %bb.663:                              ;   in Loop: Header=BB148_3 Depth=1
	ds_load_b64 v[38:39], v5 offset:11960
	s_wait_dscnt 0x0
	v_pk_mul_f32 v[40:41], v[36:37], v[38:39] op_sel:[1,1] op_sel_hi:[1,0]
	s_delay_alu instid0(VALU_DEP_1) | instskip(SKIP_1) | instid1(VALU_DEP_2)
	v_pk_fma_f32 v[80:81], v[36:37], v[38:39], v[40:41] op_sel_hi:[0,1,1]
	v_pk_fma_f32 v[36:37], v[36:37], v[38:39], v[40:41] neg_lo:[0,0,1] neg_hi:[0,0,1]
	v_mov_b32_e32 v37, v81
	s_delay_alu instid0(VALU_DEP_1)
	v_pk_add_f32 v[38:39], v[36:37], 0 neg_lo:[1,1] neg_hi:[1,1]
	ds_store_b64 v51, v[38:39]
.LBB148_664:                            ;   in Loop: Header=BB148_3 Depth=1
	s_or_b32 exec_lo, exec_lo, s6
	s_wait_loadcnt_dscnt 0x0
	s_barrier_signal -1
	s_barrier_wait -1
	s_and_saveexec_b32 s6, s51
	s_cbranch_execz .LBB148_666
; %bb.665:                              ;   in Loop: Header=BB148_3 Depth=1
	ds_load_b64 v[38:39], v52 offset:11904
	ds_load_b64 v[40:41], v51
	s_wait_dscnt 0x0
	v_pk_mul_f32 v[80:81], v[40:41], v[38:39] op_sel:[1,1] op_sel_hi:[0,1]
	s_delay_alu instid0(VALU_DEP_1) | instskip(SKIP_1) | instid1(VALU_DEP_2)
	v_pk_fma_f32 v[82:83], v[40:41], v[38:39], v[80:81] op_sel_hi:[1,0,1]
	v_pk_fma_f32 v[38:39], v[40:41], v[38:39], v[80:81] neg_lo:[0,0,1] neg_hi:[0,0,1]
	v_mov_b32_e32 v39, v83
	s_delay_alu instid0(VALU_DEP_1)
	v_pk_add_f32 v[36:37], v[36:37], v[38:39] neg_lo:[0,1] neg_hi:[0,1]
.LBB148_666:                            ;   in Loop: Header=BB148_3 Depth=1
	s_or_b32 exec_lo, exec_lo, s6
	s_barrier_signal -1
	s_barrier_wait -1
	s_and_saveexec_b32 s6, s52
	s_cbranch_execz .LBB148_668
; %bb.667:                              ;   in Loop: Header=BB148_3 Depth=1
	ds_load_b64 v[38:39], v5 offset:11440
	s_wait_dscnt 0x0
	v_pk_mul_f32 v[40:41], v[36:37], v[38:39] op_sel:[1,1] op_sel_hi:[1,0]
	s_delay_alu instid0(VALU_DEP_1) | instskip(SKIP_1) | instid1(VALU_DEP_2)
	v_pk_fma_f32 v[80:81], v[36:37], v[38:39], v[40:41] op_sel_hi:[0,1,1]
	v_pk_fma_f32 v[36:37], v[36:37], v[38:39], v[40:41] neg_lo:[0,0,1] neg_hi:[0,0,1]
	v_mov_b32_e32 v37, v81
	s_delay_alu instid0(VALU_DEP_1)
	v_pk_add_f32 v[38:39], v[36:37], 0 neg_lo:[1,1] neg_hi:[1,1]
	ds_store_b64 v51, v[38:39]
.LBB148_668:                            ;   in Loop: Header=BB148_3 Depth=1
	s_or_b32 exec_lo, exec_lo, s6
	s_wait_dscnt 0x0
	s_barrier_signal -1
	s_barrier_wait -1
	s_and_saveexec_b32 s6, s53
	s_cbranch_execz .LBB148_670
; %bb.669:                              ;   in Loop: Header=BB148_3 Depth=1
	ds_load_b64 v[38:39], v52 offset:11392
	ds_load_b64 v[40:41], v51
	s_wait_dscnt 0x0
	v_pk_mul_f32 v[80:81], v[40:41], v[38:39] op_sel:[1,1] op_sel_hi:[0,1]
	s_delay_alu instid0(VALU_DEP_1) | instskip(SKIP_1) | instid1(VALU_DEP_2)
	v_pk_fma_f32 v[82:83], v[40:41], v[38:39], v[80:81] op_sel_hi:[1,0,1]
	v_pk_fma_f32 v[38:39], v[40:41], v[38:39], v[80:81] neg_lo:[0,0,1] neg_hi:[0,0,1]
	v_mov_b32_e32 v39, v83
	s_delay_alu instid0(VALU_DEP_1)
	v_pk_add_f32 v[36:37], v[36:37], v[38:39] neg_lo:[0,1] neg_hi:[0,1]
.LBB148_670:                            ;   in Loop: Header=BB148_3 Depth=1
	s_or_b32 exec_lo, exec_lo, s6
	s_barrier_signal -1
	s_barrier_wait -1
	s_and_saveexec_b32 s6, s54
	s_cbranch_execz .LBB148_672
; %bb.671:                              ;   in Loop: Header=BB148_3 Depth=1
	ds_load_b64 v[38:39], v5 offset:10920
	s_wait_dscnt 0x0
	v_pk_mul_f32 v[40:41], v[36:37], v[38:39] op_sel:[1,1] op_sel_hi:[1,0]
	s_delay_alu instid0(VALU_DEP_1) | instskip(SKIP_1) | instid1(VALU_DEP_2)
	v_pk_fma_f32 v[80:81], v[36:37], v[38:39], v[40:41] op_sel_hi:[0,1,1]
	v_pk_fma_f32 v[36:37], v[36:37], v[38:39], v[40:41] neg_lo:[0,0,1] neg_hi:[0,0,1]
	v_mov_b32_e32 v37, v81
	s_delay_alu instid0(VALU_DEP_1)
	v_pk_add_f32 v[38:39], v[36:37], 0 neg_lo:[1,1] neg_hi:[1,1]
	ds_store_b64 v51, v[38:39]
.LBB148_672:                            ;   in Loop: Header=BB148_3 Depth=1
	s_or_b32 exec_lo, exec_lo, s6
	s_wait_dscnt 0x0
	s_barrier_signal -1
	s_barrier_wait -1
	s_and_saveexec_b32 s6, s55
	s_cbranch_execz .LBB148_674
; %bb.673:                              ;   in Loop: Header=BB148_3 Depth=1
	ds_load_b64 v[38:39], v52 offset:10880
	ds_load_b64 v[40:41], v51
	s_wait_dscnt 0x0
	v_pk_mul_f32 v[80:81], v[40:41], v[38:39] op_sel:[1,1] op_sel_hi:[0,1]
	s_delay_alu instid0(VALU_DEP_1) | instskip(SKIP_1) | instid1(VALU_DEP_2)
	v_pk_fma_f32 v[82:83], v[40:41], v[38:39], v[80:81] op_sel_hi:[1,0,1]
	v_pk_fma_f32 v[38:39], v[40:41], v[38:39], v[80:81] neg_lo:[0,0,1] neg_hi:[0,0,1]
	v_mov_b32_e32 v39, v83
	s_delay_alu instid0(VALU_DEP_1)
	v_pk_add_f32 v[36:37], v[36:37], v[38:39] neg_lo:[0,1] neg_hi:[0,1]
.LBB148_674:                            ;   in Loop: Header=BB148_3 Depth=1
	s_or_b32 exec_lo, exec_lo, s6
	s_barrier_signal -1
	s_barrier_wait -1
	s_and_saveexec_b32 s6, s56
	s_cbranch_execz .LBB148_676
; %bb.675:                              ;   in Loop: Header=BB148_3 Depth=1
	ds_load_b64 v[38:39], v5 offset:10400
	s_wait_dscnt 0x0
	v_pk_mul_f32 v[40:41], v[36:37], v[38:39]
	v_pk_mul_f32 v[36:37], v[36:37], v[38:39] op_sel:[1,0] op_sel_hi:[0,1]
	s_delay_alu instid0(VALU_DEP_1) | instskip(NEXT) | instid1(VALU_DEP_3)
	v_dual_mov_b32 v38, v40 :: v_dual_mov_b32 v39, v36
	v_mov_b32_e32 v36, v41
	s_delay_alu instid0(VALU_DEP_1) | instskip(SKIP_1) | instid1(VALU_DEP_2)
	v_pk_add_f32 v[40:41], v[38:39], v[36:37]
	v_pk_add_f32 v[36:37], v[38:39], v[36:37] neg_lo:[0,1] neg_hi:[0,1]
	v_mov_b32_e32 v37, v41
	s_delay_alu instid0(VALU_DEP_1)
	v_pk_add_f32 v[38:39], v[36:37], 0 neg_lo:[1,1] neg_hi:[1,1]
	ds_store_b64 v51, v[38:39]
.LBB148_676:                            ;   in Loop: Header=BB148_3 Depth=1
	s_or_b32 exec_lo, exec_lo, s6
	s_wait_dscnt 0x0
	s_barrier_signal -1
	s_barrier_wait -1
	s_and_saveexec_b32 s6, s57
	s_cbranch_execz .LBB148_678
; %bb.677:                              ;   in Loop: Header=BB148_3 Depth=1
	ds_load_b64 v[38:39], v52 offset:10368
	ds_load_b64 v[40:41], v51
	s_wait_dscnt 0x0
	v_dual_mul_f32 v79, v41, v39 :: v_dual_mul_f32 v39, v40, v39
	s_delay_alu instid0(VALU_DEP_1) | instskip(NEXT) | instid1(VALU_DEP_1)
	v_fmac_f32_e32 v39, v41, v38
	v_dual_fma_f32 v40, v40, v38, -v79 :: v_dual_sub_f32 v37, v37, v39
	s_delay_alu instid0(VALU_DEP_1)
	v_sub_f32_e32 v36, v36, v40
.LBB148_678:                            ;   in Loop: Header=BB148_3 Depth=1
	s_or_b32 exec_lo, exec_lo, s6
	s_barrier_signal -1
	s_barrier_wait -1
	s_and_saveexec_b32 s6, s58
	s_cbranch_execz .LBB148_680
; %bb.679:                              ;   in Loop: Header=BB148_3 Depth=1
	ds_load_b64 v[38:39], v5 offset:9880
	s_wait_dscnt 0x0
	v_dual_mul_f32 v40, v37, v38 :: v_dual_mul_f32 v80, v37, v39
	s_delay_alu instid0(VALU_DEP_1) | instskip(NEXT) | instid1(VALU_DEP_2)
	v_pk_fma_f32 v[40:41], v[36:37], v[38:39], v[40:41] op_sel:[1,0,0] op_sel_hi:[0,1,0]
	v_pk_fma_f32 v[36:37], v[36:37], v[38:39], v[80:81] op_sel_hi:[1,1,0] neg_lo:[0,0,1] neg_hi:[0,0,1]
	s_delay_alu instid0(VALU_DEP_2) | instskip(NEXT) | instid1(VALU_DEP_1)
	v_mov_b32_e32 v37, v41
	v_pk_add_f32 v[38:39], v[36:37], 0 neg_lo:[1,1] neg_hi:[1,1]
	ds_store_b64 v51, v[38:39]
.LBB148_680:                            ;   in Loop: Header=BB148_3 Depth=1
	s_or_b32 exec_lo, exec_lo, s6
	s_wait_dscnt 0x0
	s_barrier_signal -1
	s_barrier_wait -1
	s_and_saveexec_b32 s6, s59
	s_cbranch_execz .LBB148_682
; %bb.681:                              ;   in Loop: Header=BB148_3 Depth=1
	ds_load_b64 v[38:39], v52 offset:9856
	ds_load_b64 v[40:41], v51
	s_wait_dscnt 0x0
	v_pk_mul_f32 v[80:81], v[40:41], v[38:39] op_sel:[1,1] op_sel_hi:[0,1]
	s_delay_alu instid0(VALU_DEP_1) | instskip(SKIP_1) | instid1(VALU_DEP_2)
	v_pk_fma_f32 v[82:83], v[40:41], v[38:39], v[80:81] op_sel_hi:[1,0,1]
	v_pk_fma_f32 v[38:39], v[40:41], v[38:39], v[80:81] neg_lo:[0,0,1] neg_hi:[0,0,1]
	v_mov_b32_e32 v39, v83
	s_delay_alu instid0(VALU_DEP_1)
	v_pk_add_f32 v[36:37], v[36:37], v[38:39] neg_lo:[0,1] neg_hi:[0,1]
.LBB148_682:                            ;   in Loop: Header=BB148_3 Depth=1
	s_or_b32 exec_lo, exec_lo, s6
	s_barrier_signal -1
	s_barrier_wait -1
	s_and_saveexec_b32 s6, s60
	s_cbranch_execz .LBB148_684
; %bb.683:                              ;   in Loop: Header=BB148_3 Depth=1
	ds_load_b64 v[38:39], v5 offset:9360
	s_wait_dscnt 0x0
	v_pk_mul_f32 v[40:41], v[36:37], v[38:39] op_sel:[1,1] op_sel_hi:[1,0]
	s_delay_alu instid0(VALU_DEP_1) | instskip(SKIP_1) | instid1(VALU_DEP_2)
	v_pk_fma_f32 v[80:81], v[36:37], v[38:39], v[40:41] op_sel_hi:[0,1,1]
	v_pk_fma_f32 v[36:37], v[36:37], v[38:39], v[40:41] neg_lo:[0,0,1] neg_hi:[0,0,1]
	v_mov_b32_e32 v37, v81
	s_delay_alu instid0(VALU_DEP_1)
	v_pk_add_f32 v[38:39], v[36:37], 0 neg_lo:[1,1] neg_hi:[1,1]
	ds_store_b64 v51, v[38:39]
.LBB148_684:                            ;   in Loop: Header=BB148_3 Depth=1
	s_or_b32 exec_lo, exec_lo, s6
	s_wait_dscnt 0x0
	s_barrier_signal -1
	s_barrier_wait -1
	s_and_saveexec_b32 s6, s61
	s_cbranch_execz .LBB148_686
; %bb.685:                              ;   in Loop: Header=BB148_3 Depth=1
	ds_load_b64 v[38:39], v52 offset:9344
	ds_load_b64 v[40:41], v51
	s_wait_dscnt 0x0
	v_pk_mul_f32 v[80:81], v[40:41], v[38:39] op_sel:[1,1] op_sel_hi:[0,1]
	s_delay_alu instid0(VALU_DEP_1) | instskip(SKIP_1) | instid1(VALU_DEP_2)
	v_pk_fma_f32 v[82:83], v[40:41], v[38:39], v[80:81] op_sel_hi:[1,0,1]
	v_pk_fma_f32 v[38:39], v[40:41], v[38:39], v[80:81] neg_lo:[0,0,1] neg_hi:[0,0,1]
	v_mov_b32_e32 v39, v83
	s_delay_alu instid0(VALU_DEP_1)
	v_pk_add_f32 v[36:37], v[36:37], v[38:39] neg_lo:[0,1] neg_hi:[0,1]
.LBB148_686:                            ;   in Loop: Header=BB148_3 Depth=1
	s_or_b32 exec_lo, exec_lo, s6
	s_barrier_signal -1
	s_barrier_wait -1
	s_and_saveexec_b32 s6, s62
	s_cbranch_execz .LBB148_688
; %bb.687:                              ;   in Loop: Header=BB148_3 Depth=1
	ds_load_b64 v[38:39], v5 offset:8840
	s_wait_dscnt 0x0
	v_pk_mul_f32 v[40:41], v[36:37], v[38:39] op_sel:[1,1] op_sel_hi:[1,0]
	s_delay_alu instid0(VALU_DEP_1) | instskip(SKIP_1) | instid1(VALU_DEP_2)
	v_pk_fma_f32 v[80:81], v[36:37], v[38:39], v[40:41] op_sel_hi:[0,1,1]
	v_pk_fma_f32 v[36:37], v[36:37], v[38:39], v[40:41] neg_lo:[0,0,1] neg_hi:[0,0,1]
	v_mov_b32_e32 v37, v81
	s_delay_alu instid0(VALU_DEP_1)
	v_pk_add_f32 v[38:39], v[36:37], 0 neg_lo:[1,1] neg_hi:[1,1]
	ds_store_b64 v51, v[38:39]
.LBB148_688:                            ;   in Loop: Header=BB148_3 Depth=1
	;; [unrolled: 35-line block ×3, first 2 shown]
	s_or_b32 exec_lo, exec_lo, s6
	s_wait_dscnt 0x0
	s_barrier_signal -1
	s_barrier_wait -1
	s_barrier_signal -1
	s_barrier_wait -1
	s_and_saveexec_b32 s6, s3
; %bb.693:                              ;   in Loop: Header=BB148_3 Depth=1
	ds_store_b64 v54, v[36:37] offset:16000
; %bb.694:                              ;   in Loop: Header=BB148_3 Depth=1
	s_or_b32 exec_lo, exec_lo, s6
	s_wait_dscnt 0x0
	s_barrier_signal -1
	s_barrier_wait -1
	s_barrier_signal -1
	s_barrier_wait -1
	s_and_saveexec_b32 s6, s14
	s_cbranch_execz .LBB148_696
; %bb.695:                              ;   in Loop: Header=BB148_3 Depth=1
	v_add_nc_u32_e64 v36, 0xb0, 0
	ds_load_b64 v[40:41], v5 offset:11960
	ds_load_2addr_stride64_b64 v[36:39], v36 offset0:22 offset1:23
	s_wait_dscnt 0x0
	v_dual_mul_f32 v79, v41, v37 :: v_dual_mul_f32 v80, v40, v37
	s_delay_alu instid0(VALU_DEP_1) | instskip(NEXT) | instid1(VALU_DEP_1)
	v_xor_b32_e32 v82, 0x80000000, v79
	v_dual_fmac_f32 v80, v41, v36 :: v_dual_fmac_f32 v82, v40, v36
	s_delay_alu instid0(VALU_DEP_1) | instskip(NEXT) | instid1(VALU_DEP_1)
	v_pk_mul_f32 v[36:37], v[80:81], v[38:39] op_sel:[0,1] op_sel_hi:[0,0]
	v_pk_fma_f32 v[40:41], v[82:83], v[38:39], v[36:37] op_sel_hi:[0,1,1]
	v_pk_fma_f32 v[36:37], v[82:83], v[38:39], v[36:37] neg_lo:[0,0,1] neg_hi:[0,0,1]
	s_delay_alu instid0(VALU_DEP_2)
	v_mov_b32_e32 v37, v41
	ds_store_b64 v5, v[36:37] offset:11952
.LBB148_696:                            ;   in Loop: Header=BB148_3 Depth=1
	s_or_b32 exec_lo, exec_lo, s6
	v_dual_mov_b32 v36, 0 :: v_dual_mov_b32 v37, 0
	s_wait_dscnt 0x0
	s_barrier_signal -1
	s_barrier_wait -1
	global_wb scope:SCOPE_DEV
	s_wait_storecnt 0x0
	global_inv scope:SCOPE_DEV
	s_and_saveexec_b32 s6, s1
	s_cbranch_execz .LBB148_700
; %bb.697:                              ;   in Loop: Header=BB148_3 Depth=1
	ds_load_b64 v[36:37], v43 offset:11424
	ds_load_b64 v[38:39], v44 offset:11952
	s_wait_dscnt 0x0
	v_pk_mul_f32 v[40:41], v[38:39], v[36:37] op_sel:[1,1] op_sel_hi:[0,1]
	s_delay_alu instid0(VALU_DEP_1) | instskip(SKIP_1) | instid1(VALU_DEP_2)
	v_pk_fma_f32 v[80:81], v[38:39], v[36:37], v[40:41] op_sel_hi:[1,0,1]
	v_pk_fma_f32 v[36:37], v[38:39], v[36:37], v[40:41] neg_lo:[0,0,1] neg_hi:[0,0,1]
	v_mov_b32_e32 v37, v81
	s_delay_alu instid0(VALU_DEP_1)
	v_pk_add_f32 v[36:37], v[36:37], 0 op_sel_hi:[1,0]
	s_and_saveexec_b32 s8, s15
	s_cbranch_execz .LBB148_699
; %bb.698:                              ;   in Loop: Header=BB148_3 Depth=1
	ds_load_b64 v[38:39], v45 offset:11936
	ds_load_b64 v[40:41], v5 offset:11960
	s_wait_dscnt 0x0
	v_pk_mul_f32 v[80:81], v[40:41], v[38:39] op_sel:[1,1] op_sel_hi:[0,1]
	s_delay_alu instid0(VALU_DEP_1) | instskip(SKIP_1) | instid1(VALU_DEP_2)
	v_pk_fma_f32 v[82:83], v[40:41], v[38:39], v[80:81] op_sel_hi:[1,0,1]
	v_pk_fma_f32 v[38:39], v[40:41], v[38:39], v[80:81] neg_lo:[0,0,1] neg_hi:[0,0,1]
	v_mov_b32_e32 v39, v83
	s_delay_alu instid0(VALU_DEP_1)
	v_pk_add_f32 v[36:37], v[36:37], v[38:39]
.LBB148_699:                            ;   in Loop: Header=BB148_3 Depth=1
	s_or_b32 exec_lo, exec_lo, s8
.LBB148_700:                            ;   in Loop: Header=BB148_3 Depth=1
	s_delay_alu instid0(SALU_CYCLE_1)
	s_or_b32 exec_lo, exec_lo, s6
	s_and_saveexec_b32 s6, vcc_hi
	s_cbranch_execz .LBB148_702
; %bb.701:                              ;   in Loop: Header=BB148_3 Depth=1
	ds_load_b64 v[38:39], v5 offset:10920
	s_wait_dscnt 0x0
	v_pk_mul_f32 v[40:41], v[36:37], v[38:39] op_sel:[1,1] op_sel_hi:[1,0]
	s_delay_alu instid0(VALU_DEP_1) | instskip(SKIP_1) | instid1(VALU_DEP_2)
	v_pk_fma_f32 v[80:81], v[36:37], v[38:39], v[40:41] op_sel_hi:[0,1,1]
	v_pk_fma_f32 v[36:37], v[36:37], v[38:39], v[40:41] neg_lo:[0,0,1] neg_hi:[0,0,1]
	v_mov_b32_e32 v37, v81
	s_delay_alu instid0(VALU_DEP_1)
	v_pk_add_f32 v[38:39], v[36:37], 0 neg_lo:[1,1] neg_hi:[1,1]
	ds_store_b64 v3, v[38:39]
.LBB148_702:                            ;   in Loop: Header=BB148_3 Depth=1
	s_or_b32 exec_lo, exec_lo, s6
	s_wait_loadcnt_dscnt 0x0
	s_barrier_signal -1
	s_barrier_wait -1
	s_and_saveexec_b32 s6, s43
	s_cbranch_execz .LBB148_704
; %bb.703:                              ;   in Loop: Header=BB148_3 Depth=1
	ds_load_b64 v[38:39], v5 offset:10912
	ds_load_b64 v[40:41], v3
	s_wait_dscnt 0x0
	v_pk_mul_f32 v[80:81], v[40:41], v[38:39] op_sel:[1,1] op_sel_hi:[0,1]
	s_delay_alu instid0(VALU_DEP_1) | instskip(SKIP_1) | instid1(VALU_DEP_2)
	v_pk_fma_f32 v[82:83], v[40:41], v[38:39], v[80:81] op_sel_hi:[1,0,1]
	v_pk_fma_f32 v[38:39], v[40:41], v[38:39], v[80:81] neg_lo:[0,0,1] neg_hi:[0,0,1]
	v_mov_b32_e32 v39, v83
	s_delay_alu instid0(VALU_DEP_1)
	v_pk_add_f32 v[36:37], v[36:37], v[38:39] neg_lo:[0,1] neg_hi:[0,1]
.LBB148_704:                            ;   in Loop: Header=BB148_3 Depth=1
	s_or_b32 exec_lo, exec_lo, s6
	s_barrier_signal -1
	s_barrier_wait -1
	s_and_saveexec_b32 s6, s43
	s_cbranch_execz .LBB148_706
; %bb.705:                              ;   in Loop: Header=BB148_3 Depth=1
	ds_load_b64 v[38:39], v5 offset:10400
	s_wait_dscnt 0x0
	v_pk_mul_f32 v[40:41], v[36:37], v[38:39] op_sel:[1,1] op_sel_hi:[1,0]
	s_delay_alu instid0(VALU_DEP_1) | instskip(SKIP_1) | instid1(VALU_DEP_2)
	v_pk_fma_f32 v[80:81], v[36:37], v[38:39], v[40:41] op_sel_hi:[0,1,1]
	v_pk_fma_f32 v[36:37], v[36:37], v[38:39], v[40:41] neg_lo:[0,0,1] neg_hi:[0,0,1]
	v_mov_b32_e32 v37, v81
	s_delay_alu instid0(VALU_DEP_1)
	v_pk_add_f32 v[38:39], v[36:37], 0 neg_lo:[1,1] neg_hi:[1,1]
	ds_store_b64 v3, v[38:39]
.LBB148_706:                            ;   in Loop: Header=BB148_3 Depth=1
	s_or_b32 exec_lo, exec_lo, s6
	s_wait_dscnt 0x0
	s_barrier_signal -1
	s_barrier_wait -1
	s_barrier_signal -1
	s_barrier_wait -1
	s_and_saveexec_b32 s6, s1
; %bb.707:                              ;   in Loop: Header=BB148_3 Depth=1
	ds_store_b64 v46, v[36:37] offset:11936
; %bb.708:                              ;   in Loop: Header=BB148_3 Depth=1
	s_or_b32 exec_lo, exec_lo, s6
	s_wait_dscnt 0x0
	s_barrier_signal -1
	s_barrier_wait -1
	s_barrier_signal -1
	s_barrier_wait -1
	s_and_saveexec_b32 s6, s14
	s_cbranch_execz .LBB148_710
; %bb.709:                              ;   in Loop: Header=BB148_3 Depth=1
	v_add_nc_u32_e64 v36, 0xa0, 0
	ds_load_b64 v[40:41], v5 offset:10920
	ds_load_2addr_stride64_b64 v[36:39], v36 offset0:20 offset1:21
	s_wait_dscnt 0x0
	v_dual_mul_f32 v79, v41, v37 :: v_dual_mul_f32 v80, v40, v37
	s_delay_alu instid0(VALU_DEP_1) | instskip(NEXT) | instid1(VALU_DEP_1)
	v_xor_b32_e32 v82, 0x80000000, v79
	v_dual_fmac_f32 v80, v41, v36 :: v_dual_fmac_f32 v82, v40, v36
	s_delay_alu instid0(VALU_DEP_1) | instskip(NEXT) | instid1(VALU_DEP_1)
	v_pk_mul_f32 v[36:37], v[80:81], v[38:39] op_sel:[0,1] op_sel_hi:[0,0]
	v_pk_fma_f32 v[40:41], v[82:83], v[38:39], v[36:37] op_sel_hi:[0,1,1]
	v_pk_fma_f32 v[36:37], v[82:83], v[38:39], v[36:37] neg_lo:[0,0,1] neg_hi:[0,0,1]
	s_delay_alu instid0(VALU_DEP_2)
	v_mov_b32_e32 v37, v41
	ds_store_b64 v5, v[36:37] offset:10912
.LBB148_710:                            ;   in Loop: Header=BB148_3 Depth=1
	s_or_b32 exec_lo, exec_lo, s6
	v_mov_b64_e32 v[36:37], 0
	s_wait_dscnt 0x0
	s_barrier_signal -1
	s_barrier_wait -1
	global_wb scope:SCOPE_DEV
	s_wait_storecnt 0x0
	global_inv scope:SCOPE_DEV
	s_and_saveexec_b32 s8, s2
	s_cbranch_execz .LBB148_716
; %bb.711:                              ;   in Loop: Header=BB148_3 Depth=1
	ds_load_b64 v[36:37], v48 offset:10368
	ds_load_b64 v[38:39], v49 offset:11936
	s_wait_dscnt 0x0
	v_dual_mul_f32 v40, v39, v37 :: v_dual_mul_f32 v37, v38, v37
	s_delay_alu instid0(VALU_DEP_1) | instskip(NEXT) | instid1(VALU_DEP_1)
	v_dual_fma_f32 v38, v38, v36, -v40 :: v_dual_fmac_f32 v37, v39, v36
	v_dual_add_f32 v36, 0, v38 :: v_dual_add_f32 v37, 0, v37
	s_and_saveexec_b32 s6, s16
	s_cbranch_execnz .LBB148_1082
; %bb.712:                              ;   in Loop: Header=BB148_3 Depth=1
	s_or_b32 exec_lo, exec_lo, s6
	s_and_saveexec_b32 s6, s17
	s_cbranch_execnz .LBB148_1083
.LBB148_713:                            ;   in Loop: Header=BB148_3 Depth=1
	s_or_b32 exec_lo, exec_lo, s6
	s_and_saveexec_b32 s6, s1
	s_cbranch_execz .LBB148_715
.LBB148_714:                            ;   in Loop: Header=BB148_3 Depth=1
	ds_load_b64 v[38:39], v45 offset:11904
	ds_load_b64 v[40:41], v5 offset:11960
	s_wait_dscnt 0x0
	v_dual_mul_f32 v79, v41, v39 :: v_dual_mul_f32 v39, v40, v39
	s_delay_alu instid0(VALU_DEP_1) | instskip(NEXT) | instid1(VALU_DEP_1)
	v_fmac_f32_e32 v39, v41, v38
	v_dual_fma_f32 v40, v40, v38, -v79 :: v_dual_add_f32 v37, v37, v39
	s_delay_alu instid0(VALU_DEP_1)
	v_add_f32_e32 v36, v36, v40
.LBB148_715:                            ;   in Loop: Header=BB148_3 Depth=1
	s_or_b32 exec_lo, exec_lo, s6
.LBB148_716:                            ;   in Loop: Header=BB148_3 Depth=1
	s_delay_alu instid0(SALU_CYCLE_1)
	s_or_b32 exec_lo, exec_lo, s8
	s_and_saveexec_b32 s6, s44
	s_cbranch_execz .LBB148_718
; %bb.717:                              ;   in Loop: Header=BB148_3 Depth=1
	ds_load_b64 v[38:39], v5 offset:9880
	s_wait_dscnt 0x0
	v_dual_mul_f32 v40, v37, v38 :: v_dual_mul_f32 v80, v37, v39
	s_delay_alu instid0(VALU_DEP_1) | instskip(NEXT) | instid1(VALU_DEP_2)
	v_pk_fma_f32 v[40:41], v[36:37], v[38:39], v[40:41] op_sel:[1,0,0] op_sel_hi:[0,1,0]
	v_pk_fma_f32 v[36:37], v[36:37], v[38:39], v[80:81] op_sel_hi:[1,1,0] neg_lo:[0,0,1] neg_hi:[0,0,1]
	s_delay_alu instid0(VALU_DEP_2) | instskip(NEXT) | instid1(VALU_DEP_1)
	v_mov_b32_e32 v37, v41
	v_pk_add_f32 v[38:39], v[36:37], 0 neg_lo:[1,1] neg_hi:[1,1]
	ds_store_b64 v47, v[38:39]
.LBB148_718:                            ;   in Loop: Header=BB148_3 Depth=1
	s_or_b32 exec_lo, exec_lo, s6
	s_wait_loadcnt_dscnt 0x0
	s_barrier_signal -1
	s_barrier_wait -1
	s_and_saveexec_b32 s6, s45
	s_cbranch_execz .LBB148_720
; %bb.719:                              ;   in Loop: Header=BB148_3 Depth=1
	ds_load_b64 v[38:39], v48 offset:9856
	ds_load_b64 v[40:41], v47
	s_wait_dscnt 0x0
	v_pk_mul_f32 v[80:81], v[40:41], v[38:39] op_sel:[1,1] op_sel_hi:[0,1]
	s_delay_alu instid0(VALU_DEP_1) | instskip(SKIP_1) | instid1(VALU_DEP_2)
	v_pk_fma_f32 v[82:83], v[40:41], v[38:39], v[80:81] op_sel_hi:[1,0,1]
	v_pk_fma_f32 v[38:39], v[40:41], v[38:39], v[80:81] neg_lo:[0,0,1] neg_hi:[0,0,1]
	v_mov_b32_e32 v39, v83
	s_delay_alu instid0(VALU_DEP_1)
	v_pk_add_f32 v[36:37], v[36:37], v[38:39] neg_lo:[0,1] neg_hi:[0,1]
.LBB148_720:                            ;   in Loop: Header=BB148_3 Depth=1
	s_or_b32 exec_lo, exec_lo, s6
	s_barrier_signal -1
	s_barrier_wait -1
	s_and_saveexec_b32 s6, s46
	s_cbranch_execz .LBB148_722
; %bb.721:                              ;   in Loop: Header=BB148_3 Depth=1
	ds_load_b64 v[38:39], v5 offset:9360
	s_wait_dscnt 0x0
	v_pk_mul_f32 v[40:41], v[36:37], v[38:39] op_sel:[1,1] op_sel_hi:[1,0]
	s_delay_alu instid0(VALU_DEP_1) | instskip(SKIP_1) | instid1(VALU_DEP_2)
	v_pk_fma_f32 v[80:81], v[36:37], v[38:39], v[40:41] op_sel_hi:[0,1,1]
	v_pk_fma_f32 v[36:37], v[36:37], v[38:39], v[40:41] neg_lo:[0,0,1] neg_hi:[0,0,1]
	v_mov_b32_e32 v37, v81
	s_delay_alu instid0(VALU_DEP_1)
	v_pk_add_f32 v[38:39], v[36:37], 0 neg_lo:[1,1] neg_hi:[1,1]
	ds_store_b64 v47, v[38:39]
.LBB148_722:                            ;   in Loop: Header=BB148_3 Depth=1
	s_or_b32 exec_lo, exec_lo, s6
	s_wait_dscnt 0x0
	s_barrier_signal -1
	s_barrier_wait -1
	s_and_saveexec_b32 s6, s47
	s_cbranch_execz .LBB148_724
; %bb.723:                              ;   in Loop: Header=BB148_3 Depth=1
	ds_load_b64 v[38:39], v48 offset:9344
	ds_load_b64 v[40:41], v47
	s_wait_dscnt 0x0
	v_pk_mul_f32 v[80:81], v[40:41], v[38:39] op_sel:[1,1] op_sel_hi:[0,1]
	s_delay_alu instid0(VALU_DEP_1) | instskip(SKIP_1) | instid1(VALU_DEP_2)
	v_pk_fma_f32 v[82:83], v[40:41], v[38:39], v[80:81] op_sel_hi:[1,0,1]
	v_pk_fma_f32 v[38:39], v[40:41], v[38:39], v[80:81] neg_lo:[0,0,1] neg_hi:[0,0,1]
	v_mov_b32_e32 v39, v83
	s_delay_alu instid0(VALU_DEP_1)
	v_pk_add_f32 v[36:37], v[36:37], v[38:39] neg_lo:[0,1] neg_hi:[0,1]
.LBB148_724:                            ;   in Loop: Header=BB148_3 Depth=1
	s_or_b32 exec_lo, exec_lo, s6
	s_barrier_signal -1
	s_barrier_wait -1
	s_and_saveexec_b32 s6, s48
	s_cbranch_execz .LBB148_726
; %bb.725:                              ;   in Loop: Header=BB148_3 Depth=1
	ds_load_b64 v[38:39], v5 offset:8840
	s_wait_dscnt 0x0
	v_pk_mul_f32 v[40:41], v[36:37], v[38:39] op_sel:[1,1] op_sel_hi:[1,0]
	s_delay_alu instid0(VALU_DEP_1) | instskip(SKIP_1) | instid1(VALU_DEP_2)
	v_pk_fma_f32 v[80:81], v[36:37], v[38:39], v[40:41] op_sel_hi:[0,1,1]
	v_pk_fma_f32 v[36:37], v[36:37], v[38:39], v[40:41] neg_lo:[0,0,1] neg_hi:[0,0,1]
	v_mov_b32_e32 v37, v81
	s_delay_alu instid0(VALU_DEP_1)
	v_pk_add_f32 v[38:39], v[36:37], 0 neg_lo:[1,1] neg_hi:[1,1]
	ds_store_b64 v47, v[38:39]
.LBB148_726:                            ;   in Loop: Header=BB148_3 Depth=1
	s_or_b32 exec_lo, exec_lo, s6
	s_wait_dscnt 0x0
	;; [unrolled: 35-line block ×3, first 2 shown]
	s_barrier_signal -1
	s_barrier_wait -1
	s_barrier_signal -1
	s_barrier_wait -1
	s_and_saveexec_b32 s6, s2
; %bb.731:                              ;   in Loop: Header=BB148_3 Depth=1
	ds_store_b64 v50, v[36:37] offset:11904
; %bb.732:                              ;   in Loop: Header=BB148_3 Depth=1
	s_or_b32 exec_lo, exec_lo, s6
	s_wait_dscnt 0x0
	s_barrier_signal -1
	s_barrier_wait -1
	s_barrier_signal -1
	s_barrier_wait -1
	s_and_saveexec_b32 s6, s14
	s_cbranch_execz .LBB148_734
; %bb.733:                              ;   in Loop: Header=BB148_3 Depth=1
	v_add_nc_u32_e64 v36, 0x90, 0
	ds_load_b64 v[40:41], v5 offset:9880
	ds_load_2addr_stride64_b64 v[36:39], v36 offset0:18 offset1:19
	s_wait_dscnt 0x0
	v_dual_mul_f32 v79, v41, v37 :: v_dual_mul_f32 v80, v40, v37
	s_delay_alu instid0(VALU_DEP_1) | instskip(NEXT) | instid1(VALU_DEP_1)
	v_xor_b32_e32 v82, 0x80000000, v79
	v_dual_fmac_f32 v80, v41, v36 :: v_dual_fmac_f32 v82, v40, v36
	s_delay_alu instid0(VALU_DEP_1) | instskip(NEXT) | instid1(VALU_DEP_1)
	v_pk_mul_f32 v[36:37], v[80:81], v[38:39] op_sel:[0,1] op_sel_hi:[0,0]
	v_pk_fma_f32 v[40:41], v[82:83], v[38:39], v[36:37] op_sel_hi:[0,1,1]
	v_pk_fma_f32 v[36:37], v[82:83], v[38:39], v[36:37] neg_lo:[0,0,1] neg_hi:[0,0,1]
	s_delay_alu instid0(VALU_DEP_2)
	v_mov_b32_e32 v37, v41
	ds_store_b64 v5, v[36:37] offset:9872
.LBB148_734:                            ;   in Loop: Header=BB148_3 Depth=1
	s_or_b32 exec_lo, exec_lo, s6
	v_dual_mov_b32 v36, 0 :: v_dual_mov_b32 v37, 0
	s_wait_dscnt 0x0
	s_barrier_signal -1
	s_barrier_wait -1
	global_wb scope:SCOPE_DEV
	s_wait_storecnt 0x0
	global_inv scope:SCOPE_DEV
	s_and_saveexec_b32 s6, s1
	s_cbranch_execz .LBB148_738
; %bb.735:                              ;   in Loop: Header=BB148_3 Depth=1
	ds_load_b64 v[36:37], v43 offset:9344
	ds_load_b64 v[38:39], v44 offset:9872
	s_wait_dscnt 0x0
	v_pk_mul_f32 v[40:41], v[38:39], v[36:37] op_sel:[1,1] op_sel_hi:[0,1]
	s_delay_alu instid0(VALU_DEP_1) | instskip(SKIP_1) | instid1(VALU_DEP_2)
	v_pk_fma_f32 v[80:81], v[38:39], v[36:37], v[40:41] op_sel_hi:[1,0,1]
	v_pk_fma_f32 v[36:37], v[38:39], v[36:37], v[40:41] neg_lo:[0,0,1] neg_hi:[0,0,1]
	v_mov_b32_e32 v37, v81
	s_delay_alu instid0(VALU_DEP_1)
	v_pk_add_f32 v[36:37], v[36:37], 0 op_sel_hi:[1,0]
	s_and_saveexec_b32 s8, s15
	s_cbranch_execz .LBB148_737
; %bb.736:                              ;   in Loop: Header=BB148_3 Depth=1
	ds_load_b64 v[38:39], v45 offset:9856
	ds_load_b64 v[40:41], v5 offset:9880
	s_wait_dscnt 0x0
	v_pk_mul_f32 v[80:81], v[40:41], v[38:39] op_sel:[1,1] op_sel_hi:[0,1]
	s_delay_alu instid0(VALU_DEP_1) | instskip(SKIP_1) | instid1(VALU_DEP_2)
	v_pk_fma_f32 v[82:83], v[40:41], v[38:39], v[80:81] op_sel_hi:[1,0,1]
	v_pk_fma_f32 v[38:39], v[40:41], v[38:39], v[80:81] neg_lo:[0,0,1] neg_hi:[0,0,1]
	v_mov_b32_e32 v39, v83
	s_delay_alu instid0(VALU_DEP_1)
	v_pk_add_f32 v[36:37], v[36:37], v[38:39]
.LBB148_737:                            ;   in Loop: Header=BB148_3 Depth=1
	s_or_b32 exec_lo, exec_lo, s8
.LBB148_738:                            ;   in Loop: Header=BB148_3 Depth=1
	s_delay_alu instid0(SALU_CYCLE_1)
	s_or_b32 exec_lo, exec_lo, s6
	s_and_saveexec_b32 s6, vcc_hi
	s_cbranch_execz .LBB148_740
; %bb.739:                              ;   in Loop: Header=BB148_3 Depth=1
	ds_load_b64 v[38:39], v5 offset:8840
	s_wait_dscnt 0x0
	v_pk_mul_f32 v[40:41], v[36:37], v[38:39] op_sel:[1,1] op_sel_hi:[1,0]
	s_delay_alu instid0(VALU_DEP_1) | instskip(SKIP_1) | instid1(VALU_DEP_2)
	v_pk_fma_f32 v[80:81], v[36:37], v[38:39], v[40:41] op_sel_hi:[0,1,1]
	v_pk_fma_f32 v[36:37], v[36:37], v[38:39], v[40:41] neg_lo:[0,0,1] neg_hi:[0,0,1]
	v_mov_b32_e32 v37, v81
	s_delay_alu instid0(VALU_DEP_1)
	v_pk_add_f32 v[38:39], v[36:37], 0 neg_lo:[1,1] neg_hi:[1,1]
	ds_store_b64 v3, v[38:39]
.LBB148_740:                            ;   in Loop: Header=BB148_3 Depth=1
	s_or_b32 exec_lo, exec_lo, s6
	s_wait_loadcnt_dscnt 0x0
	s_barrier_signal -1
	s_barrier_wait -1
	s_and_saveexec_b32 s6, s43
	s_cbranch_execz .LBB148_742
; %bb.741:                              ;   in Loop: Header=BB148_3 Depth=1
	ds_load_b64 v[38:39], v5 offset:8832
	ds_load_b64 v[40:41], v3
	s_wait_dscnt 0x0
	v_pk_mul_f32 v[80:81], v[40:41], v[38:39] op_sel:[1,1] op_sel_hi:[0,1]
	s_delay_alu instid0(VALU_DEP_1) | instskip(SKIP_1) | instid1(VALU_DEP_2)
	v_pk_fma_f32 v[82:83], v[40:41], v[38:39], v[80:81] op_sel_hi:[1,0,1]
	v_pk_fma_f32 v[38:39], v[40:41], v[38:39], v[80:81] neg_lo:[0,0,1] neg_hi:[0,0,1]
	v_mov_b32_e32 v39, v83
	s_delay_alu instid0(VALU_DEP_1)
	v_pk_add_f32 v[36:37], v[36:37], v[38:39] neg_lo:[0,1] neg_hi:[0,1]
.LBB148_742:                            ;   in Loop: Header=BB148_3 Depth=1
	s_or_b32 exec_lo, exec_lo, s6
	s_barrier_signal -1
	s_barrier_wait -1
	s_and_saveexec_b32 s6, s43
	s_cbranch_execz .LBB148_744
; %bb.743:                              ;   in Loop: Header=BB148_3 Depth=1
	ds_load_b64 v[38:39], v5 offset:8320
	s_wait_dscnt 0x0
	v_pk_mul_f32 v[40:41], v[36:37], v[38:39] op_sel:[1,1] op_sel_hi:[1,0]
	s_delay_alu instid0(VALU_DEP_1) | instskip(SKIP_1) | instid1(VALU_DEP_2)
	v_pk_fma_f32 v[80:81], v[36:37], v[38:39], v[40:41] op_sel_hi:[0,1,1]
	v_pk_fma_f32 v[36:37], v[36:37], v[38:39], v[40:41] neg_lo:[0,0,1] neg_hi:[0,0,1]
	v_mov_b32_e32 v37, v81
	s_delay_alu instid0(VALU_DEP_1)
	v_pk_add_f32 v[38:39], v[36:37], 0 neg_lo:[1,1] neg_hi:[1,1]
	ds_store_b64 v3, v[38:39]
.LBB148_744:                            ;   in Loop: Header=BB148_3 Depth=1
	s_or_b32 exec_lo, exec_lo, s6
	s_wait_dscnt 0x0
	s_barrier_signal -1
	s_barrier_wait -1
	s_barrier_signal -1
	s_barrier_wait -1
	s_and_saveexec_b32 s6, s1
; %bb.745:                              ;   in Loop: Header=BB148_3 Depth=1
	ds_store_b64 v46, v[36:37] offset:9856
; %bb.746:                              ;   in Loop: Header=BB148_3 Depth=1
	s_or_b32 exec_lo, exec_lo, s6
	s_wait_dscnt 0x0
	s_barrier_signal -1
	s_barrier_wait -1
	s_barrier_signal -1
	s_barrier_wait -1
	s_and_saveexec_b32 s6, s14
	s_cbranch_execz .LBB148_748
; %bb.747:                              ;   in Loop: Header=BB148_3 Depth=1
	v_add_nc_u32_e64 v36, 0x80, 0
	ds_load_b64 v[40:41], v5 offset:8840
	ds_load_2addr_stride64_b64 v[36:39], v36 offset0:16 offset1:17
	s_wait_dscnt 0x0
	v_dual_mul_f32 v79, v41, v37 :: v_dual_mul_f32 v80, v40, v37
	s_delay_alu instid0(VALU_DEP_1) | instskip(NEXT) | instid1(VALU_DEP_1)
	v_xor_b32_e32 v82, 0x80000000, v79
	v_dual_fmac_f32 v80, v41, v36 :: v_dual_fmac_f32 v82, v40, v36
	s_delay_alu instid0(VALU_DEP_1) | instskip(NEXT) | instid1(VALU_DEP_1)
	v_pk_mul_f32 v[36:37], v[80:81], v[38:39] op_sel:[0,1] op_sel_hi:[0,0]
	v_pk_fma_f32 v[40:41], v[82:83], v[38:39], v[36:37] op_sel_hi:[0,1,1]
	v_pk_fma_f32 v[36:37], v[82:83], v[38:39], v[36:37] neg_lo:[0,0,1] neg_hi:[0,0,1]
	s_delay_alu instid0(VALU_DEP_2)
	v_mov_b32_e32 v37, v41
	ds_store_b64 v5, v[36:37] offset:8832
.LBB148_748:                            ;   in Loop: Header=BB148_3 Depth=1
	s_or_b32 exec_lo, exec_lo, s6
	v_mov_b64_e32 v[36:37], 0
	s_wait_dscnt 0x0
	s_barrier_signal -1
	s_barrier_wait -1
	global_wb scope:SCOPE_DEV
	s_wait_storecnt 0x0
	global_inv scope:SCOPE_DEV
	s_and_saveexec_b32 s70, s4
	s_cbranch_execz .LBB148_776
; %bb.749:                              ;   in Loop: Header=BB148_3 Depth=1
	ds_load_b64 v[36:37], v56 offset:8192
	ds_load_b64 v[38:39], v57 offset:16000
	s_wait_dscnt 0x0
	v_dual_mul_f32 v40, v39, v37 :: v_dual_mul_f32 v37, v38, v37
	s_delay_alu instid0(VALU_DEP_1) | instskip(NEXT) | instid1(VALU_DEP_1)
	v_dual_fma_f32 v38, v38, v36, -v40 :: v_dual_fmac_f32 v37, v39, v36
	v_dual_add_f32 v36, 0, v38 :: v_dual_add_f32 v37, 0, v37
	s_mov_b32 s6, exec_lo
	v_readlane_b32 s8, v90, 30
	s_and_b32 s8, s6, s8
	s_delay_alu instid0(SALU_CYCLE_1)
	s_mov_b32 exec_lo, s8
	s_cbranch_execz .LBB148_751
; %bb.750:                              ;   in Loop: Header=BB148_3 Depth=1
	ds_load_b64 v[38:39], v56 offset:8704
	ds_load_b64 v[40:41], v57 offset:16008
	s_wait_dscnt 0x0
	v_dual_mul_f32 v79, v41, v39 :: v_dual_mul_f32 v39, v40, v39
	s_delay_alu instid0(VALU_DEP_1) | instskip(NEXT) | instid1(VALU_DEP_1)
	v_fmac_f32_e32 v39, v41, v38
	v_dual_fma_f32 v40, v40, v38, -v79 :: v_dual_add_f32 v37, v37, v39
	s_delay_alu instid0(VALU_DEP_1)
	v_add_f32_e32 v36, v36, v40
.LBB148_751:                            ;   in Loop: Header=BB148_3 Depth=1
	s_or_b32 exec_lo, exec_lo, s6
	s_delay_alu instid0(SALU_CYCLE_1) | instskip(SKIP_2) | instid1(SALU_CYCLE_1)
	s_mov_b32 s6, exec_lo
	v_readlane_b32 s8, v90, 31
	s_and_b32 s8, s6, s8
	s_mov_b32 exec_lo, s8
	s_cbranch_execz .LBB148_753
; %bb.752:                              ;   in Loop: Header=BB148_3 Depth=1
	ds_load_b64 v[38:39], v56 offset:9216
	ds_load_b64 v[40:41], v57 offset:16016
	s_wait_dscnt 0x0
	v_dual_mul_f32 v79, v41, v39 :: v_dual_mul_f32 v39, v40, v39
	s_delay_alu instid0(VALU_DEP_1) | instskip(NEXT) | instid1(VALU_DEP_1)
	v_fmac_f32_e32 v39, v41, v38
	v_dual_fma_f32 v40, v40, v38, -v79 :: v_dual_add_f32 v37, v37, v39
	s_delay_alu instid0(VALU_DEP_1)
	v_add_f32_e32 v36, v36, v40
.LBB148_753:                            ;   in Loop: Header=BB148_3 Depth=1
	s_or_b32 exec_lo, exec_lo, s6
	s_delay_alu instid0(SALU_CYCLE_1) | instskip(SKIP_2) | instid1(SALU_CYCLE_1)
	s_mov_b32 s6, exec_lo
	v_readlane_b32 s8, v89, 0
	s_and_b32 s8, s6, s8
	;; [unrolled: 18-line block ×10, first 2 shown]
	s_mov_b32 exec_lo, s8
	s_cbranch_execnz .LBB148_1084
; %bb.770:                              ;   in Loop: Header=BB148_3 Depth=1
	s_or_b32 exec_lo, exec_lo, s6
	s_and_saveexec_b32 s6, s3
	s_cbranch_execnz .LBB148_1085
.LBB148_771:                            ;   in Loop: Header=BB148_3 Depth=1
	s_or_b32 exec_lo, exec_lo, s6
	s_and_saveexec_b32 s6, s19
	s_cbranch_execnz .LBB148_1086
.LBB148_772:                            ;   in Loop: Header=BB148_3 Depth=1
	s_or_b32 exec_lo, exec_lo, s6
	s_and_saveexec_b32 s6, s21
	s_cbranch_execnz .LBB148_1087
.LBB148_773:                            ;   in Loop: Header=BB148_3 Depth=1
	s_or_b32 exec_lo, exec_lo, s6
	s_and_saveexec_b32 s6, s2
	s_cbranch_execz .LBB148_775
.LBB148_774:                            ;   in Loop: Header=BB148_3 Depth=1
	ds_load_b64 v[38:39], v45 offset:15872
	ds_load_b64 v[40:41], v5 offset:16120
	s_wait_dscnt 0x0
	v_dual_mul_f32 v79, v41, v39 :: v_dual_mul_f32 v81, v40, v39
	s_delay_alu instid0(VALU_DEP_1) | instskip(NEXT) | instid1(VALU_DEP_1)
	v_dual_fma_f32 v80, v40, v38, -v79 :: v_dual_fmac_f32 v81, v41, v38
	v_pk_add_f32 v[36:37], v[36:37], v[80:81]
.LBB148_775:                            ;   in Loop: Header=BB148_3 Depth=1
	s_or_b32 exec_lo, exec_lo, s6
.LBB148_776:                            ;   in Loop: Header=BB148_3 Depth=1
	s_delay_alu instid0(SALU_CYCLE_1) | instskip(NEXT) | instid1(SALU_CYCLE_1)
	s_or_b32 exec_lo, exec_lo, s70
	s_mov_b32 s6, exec_lo
	v_readlane_b32 s8, v90, 1
	s_and_b32 s8, s6, s8
	s_delay_alu instid0(SALU_CYCLE_1)
	s_mov_b32 exec_lo, s8
	s_cbranch_execz .LBB148_778
; %bb.777:                              ;   in Loop: Header=BB148_3 Depth=1
	ds_load_b64 v[38:39], v5 offset:7800
	s_wait_dscnt 0x0
	v_pk_mul_f32 v[40:41], v[36:37], v[38:39] op_sel:[1,1] op_sel_hi:[1,0]
	s_delay_alu instid0(VALU_DEP_1) | instskip(SKIP_1) | instid1(VALU_DEP_2)
	v_pk_fma_f32 v[80:81], v[36:37], v[38:39], v[40:41] op_sel_hi:[0,1,1]
	v_pk_fma_f32 v[36:37], v[36:37], v[38:39], v[40:41] neg_lo:[0,0,1] neg_hi:[0,0,1]
	v_mov_b32_e32 v37, v81
	s_delay_alu instid0(VALU_DEP_1)
	v_pk_add_f32 v[38:39], v[36:37], 0 neg_lo:[1,1] neg_hi:[1,1]
	ds_store_b64 v55, v[38:39]
.LBB148_778:                            ;   in Loop: Header=BB148_3 Depth=1
	s_or_b32 exec_lo, exec_lo, s6
	s_wait_loadcnt_dscnt 0x0
	s_barrier_signal -1
	s_barrier_wait -1
	s_mov_b32 s6, exec_lo
	v_readlane_b32 s8, v90, 2
	s_and_b32 s8, s6, s8
	s_delay_alu instid0(SALU_CYCLE_1)
	s_mov_b32 exec_lo, s8
	s_cbranch_execz .LBB148_780
; %bb.779:                              ;   in Loop: Header=BB148_3 Depth=1
	ds_load_b64 v[38:39], v56 offset:7680
	ds_load_b64 v[40:41], v55
	s_wait_dscnt 0x0
	v_pk_mul_f32 v[80:81], v[40:41], v[38:39] op_sel:[1,1] op_sel_hi:[0,1]
	s_delay_alu instid0(VALU_DEP_1) | instskip(SKIP_1) | instid1(VALU_DEP_2)
	v_pk_fma_f32 v[82:83], v[40:41], v[38:39], v[80:81] op_sel_hi:[1,0,1]
	v_pk_fma_f32 v[38:39], v[40:41], v[38:39], v[80:81] neg_lo:[0,0,1] neg_hi:[0,0,1]
	v_mov_b32_e32 v39, v83
	s_delay_alu instid0(VALU_DEP_1)
	v_pk_add_f32 v[36:37], v[36:37], v[38:39] neg_lo:[0,1] neg_hi:[0,1]
.LBB148_780:                            ;   in Loop: Header=BB148_3 Depth=1
	s_or_b32 exec_lo, exec_lo, s6
	s_barrier_signal -1
	s_barrier_wait -1
	s_mov_b32 s6, exec_lo
	v_readlane_b32 s8, v90, 3
	s_and_b32 s8, s6, s8
	s_delay_alu instid0(SALU_CYCLE_1)
	s_mov_b32 exec_lo, s8
	s_cbranch_execz .LBB148_782
; %bb.781:                              ;   in Loop: Header=BB148_3 Depth=1
	ds_load_b64 v[38:39], v5 offset:7280
	s_wait_dscnt 0x0
	v_pk_mul_f32 v[40:41], v[36:37], v[38:39] op_sel:[1,1] op_sel_hi:[1,0]
	s_delay_alu instid0(VALU_DEP_1) | instskip(SKIP_1) | instid1(VALU_DEP_2)
	v_pk_fma_f32 v[80:81], v[36:37], v[38:39], v[40:41] op_sel_hi:[0,1,1]
	v_pk_fma_f32 v[36:37], v[36:37], v[38:39], v[40:41] neg_lo:[0,0,1] neg_hi:[0,0,1]
	v_mov_b32_e32 v37, v81
	s_delay_alu instid0(VALU_DEP_1)
	v_pk_add_f32 v[38:39], v[36:37], 0 neg_lo:[1,1] neg_hi:[1,1]
	ds_store_b64 v55, v[38:39]
.LBB148_782:                            ;   in Loop: Header=BB148_3 Depth=1
	s_or_b32 exec_lo, exec_lo, s6
	s_wait_dscnt 0x0
	s_barrier_signal -1
	s_barrier_wait -1
	s_mov_b32 s6, exec_lo
	v_readlane_b32 s8, v90, 4
	s_and_b32 s8, s6, s8
	s_delay_alu instid0(SALU_CYCLE_1)
	s_mov_b32 exec_lo, s8
	s_cbranch_execz .LBB148_784
; %bb.783:                              ;   in Loop: Header=BB148_3 Depth=1
	ds_load_b64 v[38:39], v56 offset:7168
	ds_load_b64 v[40:41], v55
	s_wait_dscnt 0x0
	v_pk_mul_f32 v[80:81], v[40:41], v[38:39] op_sel:[1,1] op_sel_hi:[0,1]
	s_delay_alu instid0(VALU_DEP_1) | instskip(SKIP_1) | instid1(VALU_DEP_2)
	v_pk_fma_f32 v[82:83], v[40:41], v[38:39], v[80:81] op_sel_hi:[1,0,1]
	v_pk_fma_f32 v[38:39], v[40:41], v[38:39], v[80:81] neg_lo:[0,0,1] neg_hi:[0,0,1]
	v_mov_b32_e32 v39, v83
	s_delay_alu instid0(VALU_DEP_1)
	v_pk_add_f32 v[36:37], v[36:37], v[38:39] neg_lo:[0,1] neg_hi:[0,1]
.LBB148_784:                            ;   in Loop: Header=BB148_3 Depth=1
	s_or_b32 exec_lo, exec_lo, s6
	s_barrier_signal -1
	s_barrier_wait -1
	s_mov_b32 s6, exec_lo
	v_readlane_b32 s8, v90, 5
	s_and_b32 s8, s6, s8
	s_delay_alu instid0(SALU_CYCLE_1)
	s_mov_b32 exec_lo, s8
	s_cbranch_execz .LBB148_786
; %bb.785:                              ;   in Loop: Header=BB148_3 Depth=1
	ds_load_b64 v[38:39], v5 offset:6760
	s_wait_dscnt 0x0
	v_pk_mul_f32 v[40:41], v[36:37], v[38:39] op_sel:[1,1] op_sel_hi:[1,0]
	s_delay_alu instid0(VALU_DEP_1) | instskip(SKIP_1) | instid1(VALU_DEP_2)
	v_pk_fma_f32 v[80:81], v[36:37], v[38:39], v[40:41] op_sel_hi:[0,1,1]
	v_pk_fma_f32 v[36:37], v[36:37], v[38:39], v[40:41] neg_lo:[0,0,1] neg_hi:[0,0,1]
	v_mov_b32_e32 v37, v81
	s_delay_alu instid0(VALU_DEP_1)
	v_pk_add_f32 v[38:39], v[36:37], 0 neg_lo:[1,1] neg_hi:[1,1]
	ds_store_b64 v55, v[38:39]
.LBB148_786:                            ;   in Loop: Header=BB148_3 Depth=1
	s_or_b32 exec_lo, exec_lo, s6
	s_wait_dscnt 0x0
	s_barrier_signal -1
	s_barrier_wait -1
	s_mov_b32 s6, exec_lo
	v_readlane_b32 s8, v90, 6
	s_and_b32 s8, s6, s8
	s_delay_alu instid0(SALU_CYCLE_1)
	s_mov_b32 exec_lo, s8
	s_cbranch_execz .LBB148_788
; %bb.787:                              ;   in Loop: Header=BB148_3 Depth=1
	ds_load_b64 v[38:39], v56 offset:6656
	ds_load_b64 v[40:41], v55
	s_wait_dscnt 0x0
	v_pk_mul_f32 v[80:81], v[40:41], v[38:39] op_sel:[1,1] op_sel_hi:[0,1]
	s_delay_alu instid0(VALU_DEP_1) | instskip(SKIP_1) | instid1(VALU_DEP_2)
	v_pk_fma_f32 v[82:83], v[40:41], v[38:39], v[80:81] op_sel_hi:[1,0,1]
	v_pk_fma_f32 v[38:39], v[40:41], v[38:39], v[80:81] neg_lo:[0,0,1] neg_hi:[0,0,1]
	v_mov_b32_e32 v39, v83
	s_delay_alu instid0(VALU_DEP_1)
	v_pk_add_f32 v[36:37], v[36:37], v[38:39] neg_lo:[0,1] neg_hi:[0,1]
.LBB148_788:                            ;   in Loop: Header=BB148_3 Depth=1
	s_or_b32 exec_lo, exec_lo, s6
	s_delay_alu instid0(VALU_DEP_1)
	v_dual_mov_b32 v38, v37 :: v_dual_mov_b32 v39, v36
	s_barrier_signal -1
	s_barrier_wait -1
	s_mov_b32 s6, exec_lo
	v_readlane_b32 s8, v90, 7
	s_and_b32 s8, s6, s8
	s_delay_alu instid0(SALU_CYCLE_1)
	s_mov_b32 exec_lo, s8
	s_cbranch_execz .LBB148_790
; %bb.789:                              ;   in Loop: Header=BB148_3 Depth=1
	ds_load_b64 v[40:41], v5 offset:6240
	s_wait_dscnt 0x0
	v_dual_mul_f32 v80, v39, v41 :: v_dual_mul_f32 v82, v37, v41
	s_delay_alu instid0(VALU_DEP_1) | instskip(NEXT) | instid1(VALU_DEP_2)
	v_pk_fma_f32 v[38:39], v[38:39], v[40:41], v[80:81] op_sel_hi:[1,1,0]
	v_pk_fma_f32 v[36:37], v[36:37], v[40:41], v[82:83] op_sel_hi:[1,1,0] neg_lo:[0,0,1] neg_hi:[0,0,1]
	s_delay_alu instid0(VALU_DEP_1) | instskip(NEXT) | instid1(VALU_DEP_1)
	v_dual_mov_b32 v37, v38 :: v_dual_mov_b32 v39, v36
	v_pk_add_f32 v[40:41], v[36:37], 0 neg_lo:[1,1] neg_hi:[1,1]
	ds_store_b64 v55, v[40:41]
.LBB148_790:                            ;   in Loop: Header=BB148_3 Depth=1
	s_or_b32 exec_lo, exec_lo, s6
	s_wait_dscnt 0x0
	s_barrier_signal -1
	s_barrier_wait -1
	s_mov_b32 s6, exec_lo
	v_readlane_b32 s8, v90, 8
	s_and_b32 s8, s6, s8
	s_delay_alu instid0(SALU_CYCLE_1)
	s_mov_b32 exec_lo, s8
	s_cbranch_execz .LBB148_792
; %bb.791:                              ;   in Loop: Header=BB148_3 Depth=1
	ds_load_b64 v[36:37], v56 offset:6144
	ds_load_b64 v[40:41], v55
	s_wait_dscnt 0x0
	v_dual_mul_f32 v79, v41, v37 :: v_dual_mul_f32 v80, v40, v37
	s_delay_alu instid0(VALU_DEP_1) | instskip(NEXT) | instid1(VALU_DEP_1)
	v_dual_fma_f32 v81, v40, v36, -v79 :: v_dual_fmac_f32 v80, v41, v36
	v_pk_add_f32 v[38:39], v[38:39], v[80:81] neg_lo:[0,1] neg_hi:[0,1]
.LBB148_792:                            ;   in Loop: Header=BB148_3 Depth=1
	s_or_b32 exec_lo, exec_lo, s6
	s_barrier_signal -1
	s_barrier_wait -1
	s_mov_b32 s6, exec_lo
	v_readlane_b32 s8, v90, 9
	s_and_b32 s8, s6, s8
	s_delay_alu instid0(SALU_CYCLE_1)
	s_mov_b32 exec_lo, s8
	s_cbranch_execz .LBB148_794
; %bb.793:                              ;   in Loop: Header=BB148_3 Depth=1
	ds_load_b64 v[36:37], v5 offset:5720
	s_wait_dscnt 0x0
	v_pk_mul_f32 v[40:41], v[38:39], v[36:37] op_sel_hi:[0,1]
	s_delay_alu instid0(VALU_DEP_1) | instskip(SKIP_1) | instid1(VALU_DEP_2)
	v_pk_fma_f32 v[80:81], v[38:39], v[36:37], v[40:41] op_sel:[1,1,0] op_sel_hi:[1,0,1] neg_lo:[0,0,1] neg_hi:[0,0,1]
	v_pk_fma_f32 v[38:39], v[38:39], v[36:37], v[40:41] op_sel:[1,1,0] op_sel_hi:[1,0,1]
	v_mov_b32_e32 v39, v81
	s_delay_alu instid0(VALU_DEP_2)
	v_xor_b32_e32 v37, 0x80000000, v38
	v_xor_b32_e32 v36, 0x80000000, v81
	ds_store_b64 v55, v[36:37]
.LBB148_794:                            ;   in Loop: Header=BB148_3 Depth=1
	s_or_b32 exec_lo, exec_lo, s6
	s_wait_dscnt 0x0
	s_barrier_signal -1
	s_barrier_wait -1
	s_and_saveexec_b32 s6, s25
	s_cbranch_execz .LBB148_796
; %bb.795:                              ;   in Loop: Header=BB148_3 Depth=1
	ds_load_b64 v[36:37], v56 offset:5632
	ds_load_b64 v[40:41], v55
	s_wait_dscnt 0x0
	v_pk_mul_f32 v[80:81], v[40:41], v[36:37] op_sel:[0,1]
	s_delay_alu instid0(VALU_DEP_1) | instskip(SKIP_1) | instid1(VALU_DEP_2)
	v_pk_fma_f32 v[82:83], v[40:41], v[36:37], v[80:81] op_sel:[1,0,0] op_sel_hi:[0,0,1] neg_lo:[0,0,1] neg_hi:[0,0,1]
	v_pk_fma_f32 v[36:37], v[40:41], v[36:37], v[80:81] op_sel:[1,0,0] op_sel_hi:[0,1,1]
	v_mov_b32_e32 v37, v83
	s_delay_alu instid0(VALU_DEP_1)
	v_pk_add_f32 v[38:39], v[38:39], v[36:37] neg_lo:[0,1] neg_hi:[0,1]
.LBB148_796:                            ;   in Loop: Header=BB148_3 Depth=1
	s_or_b32 exec_lo, exec_lo, s6
	s_barrier_signal -1
	s_barrier_wait -1
	s_and_saveexec_b32 s6, s27
	s_cbranch_execz .LBB148_798
; %bb.797:                              ;   in Loop: Header=BB148_3 Depth=1
	ds_load_b64 v[36:37], v5 offset:5200
	s_wait_dscnt 0x0
	v_pk_mul_f32 v[40:41], v[38:39], v[36:37] op_sel_hi:[0,1]
	s_delay_alu instid0(VALU_DEP_1) | instskip(SKIP_1) | instid1(VALU_DEP_2)
	v_pk_fma_f32 v[80:81], v[38:39], v[36:37], v[40:41] op_sel:[1,1,0] op_sel_hi:[1,0,1] neg_lo:[0,0,1] neg_hi:[0,0,1]
	v_pk_fma_f32 v[38:39], v[38:39], v[36:37], v[40:41] op_sel:[1,1,0] op_sel_hi:[1,0,1]
	v_mov_b32_e32 v39, v81
	s_delay_alu instid0(VALU_DEP_2)
	v_xor_b32_e32 v37, 0x80000000, v38
	v_xor_b32_e32 v36, 0x80000000, v81
	ds_store_b64 v55, v[36:37]
.LBB148_798:                            ;   in Loop: Header=BB148_3 Depth=1
	s_or_b32 exec_lo, exec_lo, s6
	s_wait_dscnt 0x0
	s_barrier_signal -1
	s_barrier_wait -1
	s_and_saveexec_b32 s6, s29
	s_cbranch_execz .LBB148_800
; %bb.799:                              ;   in Loop: Header=BB148_3 Depth=1
	ds_load_b64 v[36:37], v56 offset:5120
	ds_load_b64 v[40:41], v55
	s_wait_dscnt 0x0
	v_pk_mul_f32 v[80:81], v[40:41], v[36:37] op_sel:[0,1]
	s_delay_alu instid0(VALU_DEP_1) | instskip(SKIP_1) | instid1(VALU_DEP_2)
	v_pk_fma_f32 v[82:83], v[40:41], v[36:37], v[80:81] op_sel:[1,0,0] op_sel_hi:[0,0,1] neg_lo:[0,0,1] neg_hi:[0,0,1]
	v_pk_fma_f32 v[36:37], v[40:41], v[36:37], v[80:81] op_sel:[1,0,0] op_sel_hi:[0,1,1]
	v_mov_b32_e32 v37, v83
	s_delay_alu instid0(VALU_DEP_1)
	v_pk_add_f32 v[38:39], v[38:39], v[36:37] neg_lo:[0,1] neg_hi:[0,1]
.LBB148_800:                            ;   in Loop: Header=BB148_3 Depth=1
	s_or_b32 exec_lo, exec_lo, s6
	s_barrier_signal -1
	s_barrier_wait -1
	s_and_saveexec_b32 s6, s31
	s_cbranch_execz .LBB148_802
; %bb.801:                              ;   in Loop: Header=BB148_3 Depth=1
	ds_load_b64 v[36:37], v5 offset:4680
	s_wait_dscnt 0x0
	v_pk_mul_f32 v[40:41], v[38:39], v[36:37] op_sel_hi:[0,1]
	s_delay_alu instid0(VALU_DEP_1) | instskip(SKIP_1) | instid1(VALU_DEP_2)
	v_pk_fma_f32 v[80:81], v[38:39], v[36:37], v[40:41] op_sel:[1,1,0] op_sel_hi:[1,0,1] neg_lo:[0,0,1] neg_hi:[0,0,1]
	v_pk_fma_f32 v[38:39], v[38:39], v[36:37], v[40:41] op_sel:[1,1,0] op_sel_hi:[1,0,1]
	v_mov_b32_e32 v39, v81
	s_delay_alu instid0(VALU_DEP_2)
	v_xor_b32_e32 v37, 0x80000000, v38
	v_xor_b32_e32 v36, 0x80000000, v81
	ds_store_b64 v55, v[36:37]
.LBB148_802:                            ;   in Loop: Header=BB148_3 Depth=1
	s_or_b32 exec_lo, exec_lo, s6
	s_wait_dscnt 0x0
	s_barrier_signal -1
	s_barrier_wait -1
	s_and_saveexec_b32 s6, s34
	s_cbranch_execz .LBB148_804
; %bb.803:                              ;   in Loop: Header=BB148_3 Depth=1
	ds_load_b64 v[36:37], v56 offset:4608
	ds_load_b64 v[40:41], v55
	s_wait_dscnt 0x0
	v_pk_mul_f32 v[80:81], v[40:41], v[36:37] op_sel:[0,1]
	s_delay_alu instid0(VALU_DEP_1) | instskip(SKIP_1) | instid1(VALU_DEP_2)
	v_pk_fma_f32 v[82:83], v[40:41], v[36:37], v[80:81] op_sel:[1,0,0] op_sel_hi:[0,0,1] neg_lo:[0,0,1] neg_hi:[0,0,1]
	v_pk_fma_f32 v[36:37], v[40:41], v[36:37], v[80:81] op_sel:[1,0,0] op_sel_hi:[0,1,1]
	v_mov_b32_e32 v37, v83
	s_delay_alu instid0(VALU_DEP_1)
	v_pk_add_f32 v[38:39], v[38:39], v[36:37] neg_lo:[0,1] neg_hi:[0,1]
.LBB148_804:                            ;   in Loop: Header=BB148_3 Depth=1
	s_or_b32 exec_lo, exec_lo, s6
	s_delay_alu instid0(VALU_DEP_1)
	v_dual_mov_b32 v36, v39 :: v_dual_mov_b32 v37, v38
	s_barrier_signal -1
	s_barrier_wait -1
	s_and_saveexec_b32 s6, s38
	s_cbranch_execz .LBB148_806
; %bb.805:                              ;   in Loop: Header=BB148_3 Depth=1
	ds_load_b64 v[40:41], v5 offset:4160
	s_wait_dscnt 0x0
	v_dual_mul_f32 v80, v38, v40 :: v_dual_mul_f32 v82, v37, v41
	s_delay_alu instid0(VALU_DEP_1) | instskip(NEXT) | instid1(VALU_DEP_2)
	v_pk_fma_f32 v[38:39], v[38:39], v[40:41], v[80:81] op_sel_hi:[1,1,0]
	v_pk_fma_f32 v[36:37], v[36:37], v[40:41], v[82:83] op_sel_hi:[1,1,0] neg_lo:[0,0,1] neg_hi:[0,0,1]
	s_delay_alu instid0(VALU_DEP_2) | instskip(NEXT) | instid1(VALU_DEP_1)
	v_mov_b32_e32 v37, v39
	v_pk_add_f32 v[38:39], v[36:37], 0 neg_lo:[1,1] neg_hi:[1,1]
	ds_store_b64 v55, v[38:39]
.LBB148_806:                            ;   in Loop: Header=BB148_3 Depth=1
	s_or_b32 exec_lo, exec_lo, s6
	s_wait_dscnt 0x0
	s_barrier_signal -1
	s_barrier_wait -1
	s_and_saveexec_b32 s6, s39
	s_cbranch_execz .LBB148_808
; %bb.807:                              ;   in Loop: Header=BB148_3 Depth=1
	ds_load_b64 v[38:39], v56 offset:4096
	ds_load_b64 v[40:41], v55
	s_wait_dscnt 0x0
	v_dual_mul_f32 v79, v41, v39 :: v_dual_mul_f32 v81, v40, v39
	s_delay_alu instid0(VALU_DEP_1) | instskip(NEXT) | instid1(VALU_DEP_1)
	v_dual_fma_f32 v80, v40, v38, -v79 :: v_dual_fmac_f32 v81, v41, v38
	v_pk_add_f32 v[36:37], v[36:37], v[80:81] neg_lo:[0,1] neg_hi:[0,1]
.LBB148_808:                            ;   in Loop: Header=BB148_3 Depth=1
	s_or_b32 exec_lo, exec_lo, s6
	s_barrier_signal -1
	s_barrier_wait -1
	s_and_saveexec_b32 s6, s40
	s_cbranch_execz .LBB148_810
; %bb.809:                              ;   in Loop: Header=BB148_3 Depth=1
	ds_load_b64 v[38:39], v5 offset:3640
	s_wait_dscnt 0x0
	v_pk_mul_f32 v[40:41], v[36:37], v[38:39] op_sel:[1,1] op_sel_hi:[1,0]
	s_delay_alu instid0(VALU_DEP_1) | instskip(SKIP_1) | instid1(VALU_DEP_2)
	v_pk_fma_f32 v[80:81], v[36:37], v[38:39], v[40:41] op_sel_hi:[0,1,1]
	v_pk_fma_f32 v[36:37], v[36:37], v[38:39], v[40:41] neg_lo:[0,0,1] neg_hi:[0,0,1]
	v_mov_b32_e32 v37, v81
	s_delay_alu instid0(VALU_DEP_1)
	v_pk_add_f32 v[38:39], v[36:37], 0 neg_lo:[1,1] neg_hi:[1,1]
	ds_store_b64 v55, v[38:39]
.LBB148_810:                            ;   in Loop: Header=BB148_3 Depth=1
	s_or_b32 exec_lo, exec_lo, s6
	s_wait_dscnt 0x0
	s_barrier_signal -1
	s_barrier_wait -1
	s_and_saveexec_b32 s6, s41
	s_cbranch_execz .LBB148_812
; %bb.811:                              ;   in Loop: Header=BB148_3 Depth=1
	ds_load_b64 v[38:39], v56 offset:3584
	ds_load_b64 v[40:41], v55
	s_wait_dscnt 0x0
	v_pk_mul_f32 v[80:81], v[40:41], v[38:39] op_sel:[1,1] op_sel_hi:[0,1]
	s_delay_alu instid0(VALU_DEP_1) | instskip(SKIP_1) | instid1(VALU_DEP_2)
	v_pk_fma_f32 v[82:83], v[40:41], v[38:39], v[80:81] op_sel_hi:[1,0,1]
	v_pk_fma_f32 v[38:39], v[40:41], v[38:39], v[80:81] neg_lo:[0,0,1] neg_hi:[0,0,1]
	v_mov_b32_e32 v39, v83
	s_delay_alu instid0(VALU_DEP_1)
	v_pk_add_f32 v[36:37], v[36:37], v[38:39] neg_lo:[0,1] neg_hi:[0,1]
.LBB148_812:                            ;   in Loop: Header=BB148_3 Depth=1
	s_or_b32 exec_lo, exec_lo, s6
	s_barrier_signal -1
	s_barrier_wait -1
	s_and_saveexec_b32 s6, s9
	s_cbranch_execz .LBB148_814
; %bb.813:                              ;   in Loop: Header=BB148_3 Depth=1
	ds_load_b64 v[38:39], v5 offset:3120
	s_wait_dscnt 0x0
	v_pk_mul_f32 v[40:41], v[36:37], v[38:39] op_sel:[1,1] op_sel_hi:[1,0]
	s_delay_alu instid0(VALU_DEP_1) | instskip(SKIP_1) | instid1(VALU_DEP_2)
	v_pk_fma_f32 v[80:81], v[36:37], v[38:39], v[40:41] op_sel_hi:[0,1,1]
	v_pk_fma_f32 v[36:37], v[36:37], v[38:39], v[40:41] neg_lo:[0,0,1] neg_hi:[0,0,1]
	v_mov_b32_e32 v37, v81
	s_delay_alu instid0(VALU_DEP_1)
	v_pk_add_f32 v[38:39], v[36:37], 0 neg_lo:[1,1] neg_hi:[1,1]
	ds_store_b64 v55, v[38:39]
.LBB148_814:                            ;   in Loop: Header=BB148_3 Depth=1
	s_or_b32 exec_lo, exec_lo, s6
	s_wait_dscnt 0x0
	s_barrier_signal -1
	s_barrier_wait -1
	s_and_saveexec_b32 s6, s42
	s_cbranch_execz .LBB148_816
; %bb.815:                              ;   in Loop: Header=BB148_3 Depth=1
	ds_load_b64 v[38:39], v56 offset:3072
	ds_load_b64 v[40:41], v55
	s_wait_dscnt 0x0
	v_pk_mul_f32 v[80:81], v[40:41], v[38:39] op_sel:[1,1] op_sel_hi:[0,1]
	s_delay_alu instid0(VALU_DEP_1) | instskip(SKIP_1) | instid1(VALU_DEP_2)
	v_pk_fma_f32 v[82:83], v[40:41], v[38:39], v[80:81] op_sel_hi:[1,0,1]
	v_pk_fma_f32 v[38:39], v[40:41], v[38:39], v[80:81] neg_lo:[0,0,1] neg_hi:[0,0,1]
	v_mov_b32_e32 v39, v83
	s_delay_alu instid0(VALU_DEP_1)
	v_pk_add_f32 v[36:37], v[36:37], v[38:39] neg_lo:[0,1] neg_hi:[0,1]
.LBB148_816:                            ;   in Loop: Header=BB148_3 Depth=1
	;; [unrolled: 35-line block ×3, first 2 shown]
	s_or_b32 exec_lo, exec_lo, s6
	s_barrier_signal -1
	s_barrier_wait -1
	s_and_saveexec_b32 s6, s28
	s_cbranch_execz .LBB148_822
; %bb.821:                              ;   in Loop: Header=BB148_3 Depth=1
	ds_load_b64 v[38:39], v5 offset:2080
	s_wait_dscnt 0x0
	v_pk_mul_f32 v[40:41], v[36:37], v[38:39]
	v_pk_mul_f32 v[36:37], v[36:37], v[38:39] op_sel:[1,0] op_sel_hi:[0,1]
	s_delay_alu instid0(VALU_DEP_1) | instskip(NEXT) | instid1(VALU_DEP_3)
	v_dual_mov_b32 v38, v40 :: v_dual_mov_b32 v39, v36
	v_mov_b32_e32 v36, v41
	s_delay_alu instid0(VALU_DEP_1) | instskip(SKIP_1) | instid1(VALU_DEP_2)
	v_pk_add_f32 v[40:41], v[38:39], v[36:37]
	v_pk_add_f32 v[36:37], v[38:39], v[36:37] neg_lo:[0,1] neg_hi:[0,1]
	v_mov_b32_e32 v37, v41
	s_delay_alu instid0(VALU_DEP_1)
	v_pk_add_f32 v[38:39], v[36:37], 0 neg_lo:[1,1] neg_hi:[1,1]
	ds_store_b64 v55, v[38:39]
.LBB148_822:                            ;   in Loop: Header=BB148_3 Depth=1
	s_or_b32 exec_lo, exec_lo, s6
	s_wait_dscnt 0x0
	s_barrier_signal -1
	s_barrier_wait -1
	s_and_saveexec_b32 s6, s30
	s_cbranch_execz .LBB148_824
; %bb.823:                              ;   in Loop: Header=BB148_3 Depth=1
	ds_load_b64 v[38:39], v56 offset:2048
	ds_load_b64 v[40:41], v55
	s_wait_dscnt 0x0
	v_dual_mul_f32 v79, v41, v39 :: v_dual_mul_f32 v39, v40, v39
	s_delay_alu instid0(VALU_DEP_1) | instskip(NEXT) | instid1(VALU_DEP_1)
	v_fmac_f32_e32 v39, v41, v38
	v_dual_fma_f32 v40, v40, v38, -v79 :: v_dual_sub_f32 v37, v37, v39
	s_delay_alu instid0(VALU_DEP_1)
	v_sub_f32_e32 v36, v36, v40
.LBB148_824:                            ;   in Loop: Header=BB148_3 Depth=1
	s_or_b32 exec_lo, exec_lo, s6
	s_barrier_signal -1
	s_barrier_wait -1
	s_and_saveexec_b32 s6, s33
	s_cbranch_execz .LBB148_826
; %bb.825:                              ;   in Loop: Header=BB148_3 Depth=1
	ds_load_b64 v[38:39], v5 offset:1560
	s_wait_dscnt 0x0
	v_dual_mul_f32 v40, v37, v38 :: v_dual_mul_f32 v80, v37, v39
	s_delay_alu instid0(VALU_DEP_1) | instskip(NEXT) | instid1(VALU_DEP_2)
	v_pk_fma_f32 v[40:41], v[36:37], v[38:39], v[40:41] op_sel:[1,0,0] op_sel_hi:[0,1,0]
	v_pk_fma_f32 v[36:37], v[36:37], v[38:39], v[80:81] op_sel_hi:[1,1,0] neg_lo:[0,0,1] neg_hi:[0,0,1]
	s_delay_alu instid0(VALU_DEP_2) | instskip(NEXT) | instid1(VALU_DEP_1)
	v_mov_b32_e32 v37, v41
	v_pk_add_f32 v[38:39], v[36:37], 0 neg_lo:[1,1] neg_hi:[1,1]
	ds_store_b64 v55, v[38:39]
.LBB148_826:                            ;   in Loop: Header=BB148_3 Depth=1
	s_or_b32 exec_lo, exec_lo, s6
	s_wait_dscnt 0x0
	s_barrier_signal -1
	s_barrier_wait -1
	s_and_saveexec_b32 s6, s103
	s_cbranch_execz .LBB148_828
; %bb.827:                              ;   in Loop: Header=BB148_3 Depth=1
	ds_load_b64 v[38:39], v56 offset:1536
	ds_load_b64 v[40:41], v55
	s_wait_dscnt 0x0
	v_pk_mul_f32 v[80:81], v[40:41], v[38:39] op_sel:[1,1] op_sel_hi:[0,1]
	s_delay_alu instid0(VALU_DEP_1) | instskip(SKIP_1) | instid1(VALU_DEP_2)
	v_pk_fma_f32 v[82:83], v[40:41], v[38:39], v[80:81] op_sel_hi:[1,0,1]
	v_pk_fma_f32 v[38:39], v[40:41], v[38:39], v[80:81] neg_lo:[0,0,1] neg_hi:[0,0,1]
	v_mov_b32_e32 v39, v83
	s_delay_alu instid0(VALU_DEP_1)
	v_pk_add_f32 v[36:37], v[36:37], v[38:39] neg_lo:[0,1] neg_hi:[0,1]
.LBB148_828:                            ;   in Loop: Header=BB148_3 Depth=1
	s_or_b32 exec_lo, exec_lo, s6
	s_barrier_signal -1
	s_barrier_wait -1
	s_and_saveexec_b32 s6, s64
	s_cbranch_execz .LBB148_830
; %bb.829:                              ;   in Loop: Header=BB148_3 Depth=1
	ds_load_b64 v[38:39], v5 offset:1040
	s_wait_dscnt 0x0
	v_pk_mul_f32 v[40:41], v[36:37], v[38:39] op_sel:[1,1] op_sel_hi:[1,0]
	s_delay_alu instid0(VALU_DEP_1) | instskip(SKIP_1) | instid1(VALU_DEP_2)
	v_pk_fma_f32 v[80:81], v[36:37], v[38:39], v[40:41] op_sel_hi:[0,1,1]
	v_pk_fma_f32 v[36:37], v[36:37], v[38:39], v[40:41] neg_lo:[0,0,1] neg_hi:[0,0,1]
	v_mov_b32_e32 v37, v81
	s_delay_alu instid0(VALU_DEP_1)
	v_pk_add_f32 v[38:39], v[36:37], 0 neg_lo:[1,1] neg_hi:[1,1]
	ds_store_b64 v55, v[38:39]
.LBB148_830:                            ;   in Loop: Header=BB148_3 Depth=1
	s_or_b32 exec_lo, exec_lo, s6
	s_wait_dscnt 0x0
	s_barrier_signal -1
	s_barrier_wait -1
	s_and_saveexec_b32 s6, s65
	s_cbranch_execz .LBB148_832
; %bb.831:                              ;   in Loop: Header=BB148_3 Depth=1
	ds_load_b64 v[38:39], v56 offset:1024
	ds_load_b64 v[40:41], v55
	s_wait_dscnt 0x0
	v_pk_mul_f32 v[80:81], v[40:41], v[38:39] op_sel:[1,1] op_sel_hi:[0,1]
	s_delay_alu instid0(VALU_DEP_1) | instskip(SKIP_1) | instid1(VALU_DEP_2)
	v_pk_fma_f32 v[82:83], v[40:41], v[38:39], v[80:81] op_sel_hi:[1,0,1]
	v_pk_fma_f32 v[38:39], v[40:41], v[38:39], v[80:81] neg_lo:[0,0,1] neg_hi:[0,0,1]
	v_mov_b32_e32 v39, v83
	s_delay_alu instid0(VALU_DEP_1)
	v_pk_add_f32 v[36:37], v[36:37], v[38:39] neg_lo:[0,1] neg_hi:[0,1]
.LBB148_832:                            ;   in Loop: Header=BB148_3 Depth=1
	s_or_b32 exec_lo, exec_lo, s6
	s_barrier_signal -1
	s_barrier_wait -1
	s_and_saveexec_b32 s6, s66
	s_cbranch_execz .LBB148_834
; %bb.833:                              ;   in Loop: Header=BB148_3 Depth=1
	ds_load_b64 v[38:39], v5 offset:520
	s_wait_dscnt 0x0
	v_pk_mul_f32 v[40:41], v[36:37], v[38:39] op_sel:[1,1] op_sel_hi:[1,0]
	s_delay_alu instid0(VALU_DEP_1) | instskip(SKIP_1) | instid1(VALU_DEP_2)
	v_pk_fma_f32 v[80:81], v[36:37], v[38:39], v[40:41] op_sel_hi:[0,1,1]
	v_pk_fma_f32 v[36:37], v[36:37], v[38:39], v[40:41] neg_lo:[0,0,1] neg_hi:[0,0,1]
	v_mov_b32_e32 v37, v81
	s_delay_alu instid0(VALU_DEP_1)
	v_pk_add_f32 v[38:39], v[36:37], 0 neg_lo:[1,1] neg_hi:[1,1]
	ds_store_b64 v55, v[38:39]
.LBB148_834:                            ;   in Loop: Header=BB148_3 Depth=1
	s_or_b32 exec_lo, exec_lo, s6
	s_wait_dscnt 0x0
	s_barrier_signal -1
	s_barrier_wait -1
	s_and_saveexec_b32 s6, s67
	s_cbranch_execz .LBB148_836
; %bb.835:                              ;   in Loop: Header=BB148_3 Depth=1
	ds_load_b64 v[38:39], v5 offset:512
	ds_load_b64 v[40:41], v55
	s_wait_dscnt 0x0
	v_pk_mul_f32 v[80:81], v[40:41], v[38:39] op_sel:[1,1] op_sel_hi:[0,1]
	s_delay_alu instid0(VALU_DEP_1) | instskip(SKIP_1) | instid1(VALU_DEP_2)
	v_pk_fma_f32 v[82:83], v[40:41], v[38:39], v[80:81] op_sel_hi:[1,0,1]
	v_pk_fma_f32 v[38:39], v[40:41], v[38:39], v[80:81] neg_lo:[0,0,1] neg_hi:[0,0,1]
	v_mov_b32_e32 v39, v83
	s_delay_alu instid0(VALU_DEP_1)
	v_pk_add_f32 v[36:37], v[36:37], v[38:39] neg_lo:[0,1] neg_hi:[0,1]
.LBB148_836:                            ;   in Loop: Header=BB148_3 Depth=1
	s_or_b32 exec_lo, exec_lo, s6
	s_barrier_signal -1
	s_barrier_wait -1
	s_and_saveexec_b32 s6, s67
	s_cbranch_execz .LBB148_838
; %bb.837:                              ;   in Loop: Header=BB148_3 Depth=1
	ds_load_b64 v[38:39], v5
	s_wait_dscnt 0x0
	v_pk_mul_f32 v[40:41], v[36:37], v[38:39] op_sel:[1,1] op_sel_hi:[1,0]
	s_delay_alu instid0(VALU_DEP_1) | instskip(SKIP_1) | instid1(VALU_DEP_2)
	v_pk_fma_f32 v[80:81], v[36:37], v[38:39], v[40:41] op_sel_hi:[0,1,1]
	v_pk_fma_f32 v[36:37], v[36:37], v[38:39], v[40:41] neg_lo:[0,0,1] neg_hi:[0,0,1]
	v_mov_b32_e32 v37, v81
	s_delay_alu instid0(VALU_DEP_1)
	v_pk_add_f32 v[38:39], v[36:37], 0 neg_lo:[1,1] neg_hi:[1,1]
	ds_store_b64 v55, v[38:39]
.LBB148_838:                            ;   in Loop: Header=BB148_3 Depth=1
	s_or_b32 exec_lo, exec_lo, s6
	s_wait_dscnt 0x0
	s_barrier_signal -1
	s_barrier_wait -1
	s_barrier_signal -1
	s_barrier_wait -1
	s_and_saveexec_b32 s6, s4
; %bb.839:                              ;   in Loop: Header=BB148_3 Depth=1
	ds_store_b64 v59, v[36:37] offset:15872
; %bb.840:                              ;   in Loop: Header=BB148_3 Depth=1
	s_or_b32 exec_lo, exec_lo, s6
	s_wait_dscnt 0x0
	s_barrier_signal -1
	s_barrier_wait -1
	s_barrier_signal -1
	s_barrier_wait -1
	s_and_saveexec_b32 s6, s14
	s_cbranch_execz .LBB148_842
; %bb.841:                              ;   in Loop: Header=BB148_3 Depth=1
	v_add_nc_u32_e64 v36, 0x70, 0
	ds_load_b64 v[40:41], v5 offset:7800
	ds_load_2addr_stride64_b64 v[36:39], v36 offset0:14 offset1:15
	s_wait_dscnt 0x0
	v_dual_mul_f32 v79, v41, v37 :: v_dual_mul_f32 v80, v40, v37
	s_delay_alu instid0(VALU_DEP_1) | instskip(NEXT) | instid1(VALU_DEP_1)
	v_xor_b32_e32 v82, 0x80000000, v79
	v_dual_fmac_f32 v80, v41, v36 :: v_dual_fmac_f32 v82, v40, v36
	s_delay_alu instid0(VALU_DEP_1) | instskip(NEXT) | instid1(VALU_DEP_1)
	v_pk_mul_f32 v[36:37], v[80:81], v[38:39] op_sel:[0,1] op_sel_hi:[0,0]
	v_pk_fma_f32 v[40:41], v[82:83], v[38:39], v[36:37] op_sel_hi:[0,1,1]
	v_pk_fma_f32 v[36:37], v[82:83], v[38:39], v[36:37] neg_lo:[0,0,1] neg_hi:[0,0,1]
	s_delay_alu instid0(VALU_DEP_2)
	v_mov_b32_e32 v37, v41
	ds_store_b64 v5, v[36:37] offset:7792
.LBB148_842:                            ;   in Loop: Header=BB148_3 Depth=1
	s_or_b32 exec_lo, exec_lo, s6
	v_dual_mov_b32 v36, 0 :: v_dual_mov_b32 v37, 0
	s_wait_dscnt 0x0
	s_barrier_signal -1
	s_barrier_wait -1
	global_wb scope:SCOPE_DEV
	s_wait_storecnt 0x0
	global_inv scope:SCOPE_DEV
	s_and_saveexec_b32 s6, s1
	s_cbranch_execz .LBB148_846
; %bb.843:                              ;   in Loop: Header=BB148_3 Depth=1
	ds_load_b64 v[36:37], v43 offset:7264
	ds_load_b64 v[38:39], v44 offset:7792
	s_wait_dscnt 0x0
	v_pk_mul_f32 v[40:41], v[38:39], v[36:37] op_sel:[1,1] op_sel_hi:[0,1]
	s_delay_alu instid0(VALU_DEP_1) | instskip(SKIP_1) | instid1(VALU_DEP_2)
	v_pk_fma_f32 v[80:81], v[38:39], v[36:37], v[40:41] op_sel_hi:[1,0,1]
	v_pk_fma_f32 v[36:37], v[38:39], v[36:37], v[40:41] neg_lo:[0,0,1] neg_hi:[0,0,1]
	v_mov_b32_e32 v37, v81
	s_delay_alu instid0(VALU_DEP_1)
	v_pk_add_f32 v[36:37], v[36:37], 0 op_sel_hi:[1,0]
	s_and_saveexec_b32 s8, s15
	s_cbranch_execz .LBB148_845
; %bb.844:                              ;   in Loop: Header=BB148_3 Depth=1
	ds_load_b64 v[38:39], v45 offset:7776
	ds_load_b64 v[40:41], v5 offset:7800
	s_wait_dscnt 0x0
	v_pk_mul_f32 v[80:81], v[40:41], v[38:39] op_sel:[1,1] op_sel_hi:[0,1]
	s_delay_alu instid0(VALU_DEP_1) | instskip(SKIP_1) | instid1(VALU_DEP_2)
	v_pk_fma_f32 v[82:83], v[40:41], v[38:39], v[80:81] op_sel_hi:[1,0,1]
	v_pk_fma_f32 v[38:39], v[40:41], v[38:39], v[80:81] neg_lo:[0,0,1] neg_hi:[0,0,1]
	v_mov_b32_e32 v39, v83
	s_delay_alu instid0(VALU_DEP_1)
	v_pk_add_f32 v[36:37], v[36:37], v[38:39]
.LBB148_845:                            ;   in Loop: Header=BB148_3 Depth=1
	s_or_b32 exec_lo, exec_lo, s8
.LBB148_846:                            ;   in Loop: Header=BB148_3 Depth=1
	s_delay_alu instid0(SALU_CYCLE_1)
	s_or_b32 exec_lo, exec_lo, s6
	s_and_saveexec_b32 s6, vcc_hi
	s_cbranch_execz .LBB148_848
; %bb.847:                              ;   in Loop: Header=BB148_3 Depth=1
	ds_load_b64 v[38:39], v5 offset:6760
	s_wait_dscnt 0x0
	v_pk_mul_f32 v[40:41], v[36:37], v[38:39] op_sel:[1,1] op_sel_hi:[1,0]
	s_delay_alu instid0(VALU_DEP_1) | instskip(SKIP_1) | instid1(VALU_DEP_2)
	v_pk_fma_f32 v[80:81], v[36:37], v[38:39], v[40:41] op_sel_hi:[0,1,1]
	v_pk_fma_f32 v[36:37], v[36:37], v[38:39], v[40:41] neg_lo:[0,0,1] neg_hi:[0,0,1]
	v_mov_b32_e32 v37, v81
	s_delay_alu instid0(VALU_DEP_1)
	v_pk_add_f32 v[38:39], v[36:37], 0 neg_lo:[1,1] neg_hi:[1,1]
	ds_store_b64 v3, v[38:39]
.LBB148_848:                            ;   in Loop: Header=BB148_3 Depth=1
	s_or_b32 exec_lo, exec_lo, s6
	s_wait_loadcnt_dscnt 0x0
	s_barrier_signal -1
	s_barrier_wait -1
	s_and_saveexec_b32 s6, s43
	s_cbranch_execz .LBB148_850
; %bb.849:                              ;   in Loop: Header=BB148_3 Depth=1
	ds_load_b64 v[38:39], v5 offset:6752
	ds_load_b64 v[40:41], v3
	s_wait_dscnt 0x0
	v_pk_mul_f32 v[80:81], v[40:41], v[38:39] op_sel:[1,1] op_sel_hi:[0,1]
	s_delay_alu instid0(VALU_DEP_1) | instskip(SKIP_1) | instid1(VALU_DEP_2)
	v_pk_fma_f32 v[82:83], v[40:41], v[38:39], v[80:81] op_sel_hi:[1,0,1]
	v_pk_fma_f32 v[38:39], v[40:41], v[38:39], v[80:81] neg_lo:[0,0,1] neg_hi:[0,0,1]
	v_mov_b32_e32 v39, v83
	s_delay_alu instid0(VALU_DEP_1)
	v_pk_add_f32 v[36:37], v[36:37], v[38:39] neg_lo:[0,1] neg_hi:[0,1]
.LBB148_850:                            ;   in Loop: Header=BB148_3 Depth=1
	s_or_b32 exec_lo, exec_lo, s6
	s_barrier_signal -1
	s_barrier_wait -1
	s_and_saveexec_b32 s6, s43
	s_cbranch_execz .LBB148_852
; %bb.851:                              ;   in Loop: Header=BB148_3 Depth=1
	ds_load_b64 v[38:39], v5 offset:6240
	s_wait_dscnt 0x0
	v_pk_mul_f32 v[40:41], v[36:37], v[38:39] op_sel:[1,1] op_sel_hi:[1,0]
	s_delay_alu instid0(VALU_DEP_1) | instskip(SKIP_1) | instid1(VALU_DEP_2)
	v_pk_fma_f32 v[80:81], v[36:37], v[38:39], v[40:41] op_sel_hi:[0,1,1]
	v_pk_fma_f32 v[36:37], v[36:37], v[38:39], v[40:41] neg_lo:[0,0,1] neg_hi:[0,0,1]
	v_mov_b32_e32 v37, v81
	s_delay_alu instid0(VALU_DEP_1)
	v_pk_add_f32 v[38:39], v[36:37], 0 neg_lo:[1,1] neg_hi:[1,1]
	ds_store_b64 v3, v[38:39]
.LBB148_852:                            ;   in Loop: Header=BB148_3 Depth=1
	s_or_b32 exec_lo, exec_lo, s6
	s_wait_dscnt 0x0
	s_barrier_signal -1
	s_barrier_wait -1
	s_barrier_signal -1
	s_barrier_wait -1
	s_and_saveexec_b32 s6, s1
; %bb.853:                              ;   in Loop: Header=BB148_3 Depth=1
	ds_store_b64 v46, v[36:37] offset:7776
; %bb.854:                              ;   in Loop: Header=BB148_3 Depth=1
	s_or_b32 exec_lo, exec_lo, s6
	s_wait_dscnt 0x0
	s_barrier_signal -1
	s_barrier_wait -1
	s_barrier_signal -1
	s_barrier_wait -1
	s_and_saveexec_b32 s6, s14
	s_cbranch_execz .LBB148_856
; %bb.855:                              ;   in Loop: Header=BB148_3 Depth=1
	v_add_nc_u32_e64 v36, 0x60, 0
	ds_load_b64 v[40:41], v5 offset:6760
	ds_load_2addr_stride64_b64 v[36:39], v36 offset0:12 offset1:13
	s_wait_dscnt 0x0
	v_dual_mul_f32 v79, v41, v37 :: v_dual_mul_f32 v80, v40, v37
	s_delay_alu instid0(VALU_DEP_1) | instskip(NEXT) | instid1(VALU_DEP_1)
	v_xor_b32_e32 v82, 0x80000000, v79
	v_dual_fmac_f32 v80, v41, v36 :: v_dual_fmac_f32 v82, v40, v36
	s_delay_alu instid0(VALU_DEP_1) | instskip(NEXT) | instid1(VALU_DEP_1)
	v_pk_mul_f32 v[36:37], v[80:81], v[38:39] op_sel:[0,1] op_sel_hi:[0,0]
	v_pk_fma_f32 v[40:41], v[82:83], v[38:39], v[36:37] op_sel_hi:[0,1,1]
	v_pk_fma_f32 v[36:37], v[82:83], v[38:39], v[36:37] neg_lo:[0,0,1] neg_hi:[0,0,1]
	s_delay_alu instid0(VALU_DEP_2)
	v_mov_b32_e32 v37, v41
	ds_store_b64 v5, v[36:37] offset:6752
.LBB148_856:                            ;   in Loop: Header=BB148_3 Depth=1
	s_or_b32 exec_lo, exec_lo, s6
	v_mov_b64_e32 v[36:37], 0
	s_wait_dscnt 0x0
	s_barrier_signal -1
	s_barrier_wait -1
	global_wb scope:SCOPE_DEV
	s_wait_storecnt 0x0
	global_inv scope:SCOPE_DEV
	s_and_saveexec_b32 s8, s2
	s_cbranch_execz .LBB148_862
; %bb.857:                              ;   in Loop: Header=BB148_3 Depth=1
	ds_load_b64 v[36:37], v48 offset:6208
	ds_load_b64 v[38:39], v49 offset:7776
	s_wait_dscnt 0x0
	v_dual_mul_f32 v40, v39, v37 :: v_dual_mul_f32 v37, v38, v37
	s_delay_alu instid0(VALU_DEP_1) | instskip(NEXT) | instid1(VALU_DEP_1)
	v_dual_fma_f32 v38, v38, v36, -v40 :: v_dual_fmac_f32 v37, v39, v36
	v_dual_add_f32 v36, 0, v38 :: v_dual_add_f32 v37, 0, v37
	s_and_saveexec_b32 s6, s16
	s_cbranch_execnz .LBB148_1088
; %bb.858:                              ;   in Loop: Header=BB148_3 Depth=1
	s_or_b32 exec_lo, exec_lo, s6
	s_and_saveexec_b32 s6, s17
	s_cbranch_execnz .LBB148_1089
.LBB148_859:                            ;   in Loop: Header=BB148_3 Depth=1
	s_or_b32 exec_lo, exec_lo, s6
	s_and_saveexec_b32 s6, s1
	s_cbranch_execz .LBB148_861
.LBB148_860:                            ;   in Loop: Header=BB148_3 Depth=1
	ds_load_b64 v[38:39], v45 offset:7744
	ds_load_b64 v[40:41], v5 offset:7800
	s_wait_dscnt 0x0
	v_dual_mul_f32 v79, v41, v39 :: v_dual_mul_f32 v39, v40, v39
	s_delay_alu instid0(VALU_DEP_1) | instskip(NEXT) | instid1(VALU_DEP_1)
	v_fmac_f32_e32 v39, v41, v38
	v_dual_fma_f32 v40, v40, v38, -v79 :: v_dual_add_f32 v37, v37, v39
	s_delay_alu instid0(VALU_DEP_1)
	v_add_f32_e32 v36, v36, v40
.LBB148_861:                            ;   in Loop: Header=BB148_3 Depth=1
	s_or_b32 exec_lo, exec_lo, s6
.LBB148_862:                            ;   in Loop: Header=BB148_3 Depth=1
	s_delay_alu instid0(SALU_CYCLE_1)
	s_or_b32 exec_lo, exec_lo, s8
	s_and_saveexec_b32 s6, s44
	s_cbranch_execz .LBB148_864
; %bb.863:                              ;   in Loop: Header=BB148_3 Depth=1
	ds_load_b64 v[38:39], v5 offset:5720
	s_wait_dscnt 0x0
	v_dual_mul_f32 v40, v37, v38 :: v_dual_mul_f32 v80, v37, v39
	s_delay_alu instid0(VALU_DEP_1) | instskip(NEXT) | instid1(VALU_DEP_2)
	v_pk_fma_f32 v[40:41], v[36:37], v[38:39], v[40:41] op_sel:[1,0,0] op_sel_hi:[0,1,0]
	v_pk_fma_f32 v[36:37], v[36:37], v[38:39], v[80:81] op_sel_hi:[1,1,0] neg_lo:[0,0,1] neg_hi:[0,0,1]
	s_delay_alu instid0(VALU_DEP_2) | instskip(NEXT) | instid1(VALU_DEP_1)
	v_mov_b32_e32 v37, v41
	v_pk_add_f32 v[38:39], v[36:37], 0 neg_lo:[1,1] neg_hi:[1,1]
	ds_store_b64 v47, v[38:39]
.LBB148_864:                            ;   in Loop: Header=BB148_3 Depth=1
	s_or_b32 exec_lo, exec_lo, s6
	s_wait_loadcnt_dscnt 0x0
	s_barrier_signal -1
	s_barrier_wait -1
	s_and_saveexec_b32 s6, s45
	s_cbranch_execz .LBB148_866
; %bb.865:                              ;   in Loop: Header=BB148_3 Depth=1
	ds_load_b64 v[38:39], v48 offset:5696
	ds_load_b64 v[40:41], v47
	s_wait_dscnt 0x0
	v_pk_mul_f32 v[80:81], v[40:41], v[38:39] op_sel:[1,1] op_sel_hi:[0,1]
	s_delay_alu instid0(VALU_DEP_1) | instskip(SKIP_1) | instid1(VALU_DEP_2)
	v_pk_fma_f32 v[82:83], v[40:41], v[38:39], v[80:81] op_sel_hi:[1,0,1]
	v_pk_fma_f32 v[38:39], v[40:41], v[38:39], v[80:81] neg_lo:[0,0,1] neg_hi:[0,0,1]
	v_mov_b32_e32 v39, v83
	s_delay_alu instid0(VALU_DEP_1)
	v_pk_add_f32 v[36:37], v[36:37], v[38:39] neg_lo:[0,1] neg_hi:[0,1]
.LBB148_866:                            ;   in Loop: Header=BB148_3 Depth=1
	s_or_b32 exec_lo, exec_lo, s6
	s_barrier_signal -1
	s_barrier_wait -1
	s_and_saveexec_b32 s6, s46
	s_cbranch_execz .LBB148_868
; %bb.867:                              ;   in Loop: Header=BB148_3 Depth=1
	ds_load_b64 v[38:39], v5 offset:5200
	s_wait_dscnt 0x0
	v_pk_mul_f32 v[40:41], v[36:37], v[38:39] op_sel:[1,1] op_sel_hi:[1,0]
	s_delay_alu instid0(VALU_DEP_1) | instskip(SKIP_1) | instid1(VALU_DEP_2)
	v_pk_fma_f32 v[80:81], v[36:37], v[38:39], v[40:41] op_sel_hi:[0,1,1]
	v_pk_fma_f32 v[36:37], v[36:37], v[38:39], v[40:41] neg_lo:[0,0,1] neg_hi:[0,0,1]
	v_mov_b32_e32 v37, v81
	s_delay_alu instid0(VALU_DEP_1)
	v_pk_add_f32 v[38:39], v[36:37], 0 neg_lo:[1,1] neg_hi:[1,1]
	ds_store_b64 v47, v[38:39]
.LBB148_868:                            ;   in Loop: Header=BB148_3 Depth=1
	s_or_b32 exec_lo, exec_lo, s6
	s_wait_dscnt 0x0
	s_barrier_signal -1
	s_barrier_wait -1
	s_and_saveexec_b32 s6, s47
	s_cbranch_execz .LBB148_870
; %bb.869:                              ;   in Loop: Header=BB148_3 Depth=1
	ds_load_b64 v[38:39], v48 offset:5184
	ds_load_b64 v[40:41], v47
	s_wait_dscnt 0x0
	v_pk_mul_f32 v[80:81], v[40:41], v[38:39] op_sel:[1,1] op_sel_hi:[0,1]
	s_delay_alu instid0(VALU_DEP_1) | instskip(SKIP_1) | instid1(VALU_DEP_2)
	v_pk_fma_f32 v[82:83], v[40:41], v[38:39], v[80:81] op_sel_hi:[1,0,1]
	v_pk_fma_f32 v[38:39], v[40:41], v[38:39], v[80:81] neg_lo:[0,0,1] neg_hi:[0,0,1]
	v_mov_b32_e32 v39, v83
	s_delay_alu instid0(VALU_DEP_1)
	v_pk_add_f32 v[36:37], v[36:37], v[38:39] neg_lo:[0,1] neg_hi:[0,1]
.LBB148_870:                            ;   in Loop: Header=BB148_3 Depth=1
	s_or_b32 exec_lo, exec_lo, s6
	s_barrier_signal -1
	s_barrier_wait -1
	s_and_saveexec_b32 s6, s48
	s_cbranch_execz .LBB148_872
; %bb.871:                              ;   in Loop: Header=BB148_3 Depth=1
	ds_load_b64 v[38:39], v5 offset:4680
	s_wait_dscnt 0x0
	v_pk_mul_f32 v[40:41], v[36:37], v[38:39] op_sel:[1,1] op_sel_hi:[1,0]
	s_delay_alu instid0(VALU_DEP_1) | instskip(SKIP_1) | instid1(VALU_DEP_2)
	v_pk_fma_f32 v[80:81], v[36:37], v[38:39], v[40:41] op_sel_hi:[0,1,1]
	v_pk_fma_f32 v[36:37], v[36:37], v[38:39], v[40:41] neg_lo:[0,0,1] neg_hi:[0,0,1]
	v_mov_b32_e32 v37, v81
	s_delay_alu instid0(VALU_DEP_1)
	v_pk_add_f32 v[38:39], v[36:37], 0 neg_lo:[1,1] neg_hi:[1,1]
	ds_store_b64 v47, v[38:39]
.LBB148_872:                            ;   in Loop: Header=BB148_3 Depth=1
	s_or_b32 exec_lo, exec_lo, s6
	s_wait_dscnt 0x0
	;; [unrolled: 35-line block ×3, first 2 shown]
	s_barrier_signal -1
	s_barrier_wait -1
	s_barrier_signal -1
	s_barrier_wait -1
	s_and_saveexec_b32 s6, s2
; %bb.877:                              ;   in Loop: Header=BB148_3 Depth=1
	ds_store_b64 v50, v[36:37] offset:7744
; %bb.878:                              ;   in Loop: Header=BB148_3 Depth=1
	s_or_b32 exec_lo, exec_lo, s6
	s_wait_dscnt 0x0
	s_barrier_signal -1
	s_barrier_wait -1
	s_barrier_signal -1
	s_barrier_wait -1
	s_and_saveexec_b32 s6, s14
	s_cbranch_execz .LBB148_880
; %bb.879:                              ;   in Loop: Header=BB148_3 Depth=1
	v_add_nc_u32_e64 v36, 0x50, 0
	ds_load_b64 v[40:41], v5 offset:5720
	ds_load_2addr_stride64_b64 v[36:39], v36 offset0:10 offset1:11
	s_wait_dscnt 0x0
	v_dual_mul_f32 v79, v41, v37 :: v_dual_mul_f32 v80, v40, v37
	s_delay_alu instid0(VALU_DEP_1) | instskip(NEXT) | instid1(VALU_DEP_1)
	v_xor_b32_e32 v82, 0x80000000, v79
	v_dual_fmac_f32 v80, v41, v36 :: v_dual_fmac_f32 v82, v40, v36
	s_delay_alu instid0(VALU_DEP_1) | instskip(NEXT) | instid1(VALU_DEP_1)
	v_pk_mul_f32 v[36:37], v[80:81], v[38:39] op_sel:[0,1] op_sel_hi:[0,0]
	v_pk_fma_f32 v[40:41], v[82:83], v[38:39], v[36:37] op_sel_hi:[0,1,1]
	v_pk_fma_f32 v[36:37], v[82:83], v[38:39], v[36:37] neg_lo:[0,0,1] neg_hi:[0,0,1]
	s_delay_alu instid0(VALU_DEP_2)
	v_mov_b32_e32 v37, v41
	ds_store_b64 v5, v[36:37] offset:5712
.LBB148_880:                            ;   in Loop: Header=BB148_3 Depth=1
	s_or_b32 exec_lo, exec_lo, s6
	v_dual_mov_b32 v36, 0 :: v_dual_mov_b32 v37, 0
	s_wait_dscnt 0x0
	s_barrier_signal -1
	s_barrier_wait -1
	global_wb scope:SCOPE_DEV
	s_wait_storecnt 0x0
	global_inv scope:SCOPE_DEV
	s_and_saveexec_b32 s6, s1
	s_cbranch_execz .LBB148_884
; %bb.881:                              ;   in Loop: Header=BB148_3 Depth=1
	ds_load_b64 v[36:37], v43 offset:5184
	ds_load_b64 v[38:39], v44 offset:5712
	s_wait_dscnt 0x0
	v_pk_mul_f32 v[40:41], v[38:39], v[36:37] op_sel:[1,1] op_sel_hi:[0,1]
	s_delay_alu instid0(VALU_DEP_1) | instskip(SKIP_1) | instid1(VALU_DEP_2)
	v_pk_fma_f32 v[80:81], v[38:39], v[36:37], v[40:41] op_sel_hi:[1,0,1]
	v_pk_fma_f32 v[36:37], v[38:39], v[36:37], v[40:41] neg_lo:[0,0,1] neg_hi:[0,0,1]
	v_mov_b32_e32 v37, v81
	s_delay_alu instid0(VALU_DEP_1)
	v_pk_add_f32 v[36:37], v[36:37], 0 op_sel_hi:[1,0]
	s_and_saveexec_b32 s8, s15
	s_cbranch_execz .LBB148_883
; %bb.882:                              ;   in Loop: Header=BB148_3 Depth=1
	ds_load_b64 v[38:39], v45 offset:5696
	ds_load_b64 v[40:41], v5 offset:5720
	s_wait_dscnt 0x0
	v_pk_mul_f32 v[80:81], v[40:41], v[38:39] op_sel:[1,1] op_sel_hi:[0,1]
	s_delay_alu instid0(VALU_DEP_1) | instskip(SKIP_1) | instid1(VALU_DEP_2)
	v_pk_fma_f32 v[82:83], v[40:41], v[38:39], v[80:81] op_sel_hi:[1,0,1]
	v_pk_fma_f32 v[38:39], v[40:41], v[38:39], v[80:81] neg_lo:[0,0,1] neg_hi:[0,0,1]
	v_mov_b32_e32 v39, v83
	s_delay_alu instid0(VALU_DEP_1)
	v_pk_add_f32 v[36:37], v[36:37], v[38:39]
.LBB148_883:                            ;   in Loop: Header=BB148_3 Depth=1
	s_or_b32 exec_lo, exec_lo, s8
.LBB148_884:                            ;   in Loop: Header=BB148_3 Depth=1
	s_delay_alu instid0(SALU_CYCLE_1)
	s_or_b32 exec_lo, exec_lo, s6
	s_and_saveexec_b32 s6, vcc_hi
	s_cbranch_execz .LBB148_886
; %bb.885:                              ;   in Loop: Header=BB148_3 Depth=1
	ds_load_b64 v[38:39], v5 offset:4680
	s_wait_dscnt 0x0
	v_pk_mul_f32 v[40:41], v[36:37], v[38:39] op_sel:[1,1] op_sel_hi:[1,0]
	s_delay_alu instid0(VALU_DEP_1) | instskip(SKIP_1) | instid1(VALU_DEP_2)
	v_pk_fma_f32 v[80:81], v[36:37], v[38:39], v[40:41] op_sel_hi:[0,1,1]
	v_pk_fma_f32 v[36:37], v[36:37], v[38:39], v[40:41] neg_lo:[0,0,1] neg_hi:[0,0,1]
	v_mov_b32_e32 v37, v81
	s_delay_alu instid0(VALU_DEP_1)
	v_pk_add_f32 v[38:39], v[36:37], 0 neg_lo:[1,1] neg_hi:[1,1]
	ds_store_b64 v3, v[38:39]
.LBB148_886:                            ;   in Loop: Header=BB148_3 Depth=1
	s_or_b32 exec_lo, exec_lo, s6
	s_wait_loadcnt_dscnt 0x0
	s_barrier_signal -1
	s_barrier_wait -1
	s_and_saveexec_b32 s6, s43
	s_cbranch_execz .LBB148_888
; %bb.887:                              ;   in Loop: Header=BB148_3 Depth=1
	ds_load_b64 v[38:39], v5 offset:4672
	ds_load_b64 v[40:41], v3
	s_wait_dscnt 0x0
	v_pk_mul_f32 v[80:81], v[40:41], v[38:39] op_sel:[1,1] op_sel_hi:[0,1]
	s_delay_alu instid0(VALU_DEP_1) | instskip(SKIP_1) | instid1(VALU_DEP_2)
	v_pk_fma_f32 v[82:83], v[40:41], v[38:39], v[80:81] op_sel_hi:[1,0,1]
	v_pk_fma_f32 v[38:39], v[40:41], v[38:39], v[80:81] neg_lo:[0,0,1] neg_hi:[0,0,1]
	v_mov_b32_e32 v39, v83
	s_delay_alu instid0(VALU_DEP_1)
	v_pk_add_f32 v[36:37], v[36:37], v[38:39] neg_lo:[0,1] neg_hi:[0,1]
.LBB148_888:                            ;   in Loop: Header=BB148_3 Depth=1
	s_or_b32 exec_lo, exec_lo, s6
	s_barrier_signal -1
	s_barrier_wait -1
	s_and_saveexec_b32 s6, s43
	s_cbranch_execz .LBB148_890
; %bb.889:                              ;   in Loop: Header=BB148_3 Depth=1
	ds_load_b64 v[38:39], v5 offset:4160
	s_wait_dscnt 0x0
	v_pk_mul_f32 v[40:41], v[36:37], v[38:39] op_sel:[1,1] op_sel_hi:[1,0]
	s_delay_alu instid0(VALU_DEP_1) | instskip(SKIP_1) | instid1(VALU_DEP_2)
	v_pk_fma_f32 v[80:81], v[36:37], v[38:39], v[40:41] op_sel_hi:[0,1,1]
	v_pk_fma_f32 v[36:37], v[36:37], v[38:39], v[40:41] neg_lo:[0,0,1] neg_hi:[0,0,1]
	v_mov_b32_e32 v37, v81
	s_delay_alu instid0(VALU_DEP_1)
	v_pk_add_f32 v[38:39], v[36:37], 0 neg_lo:[1,1] neg_hi:[1,1]
	ds_store_b64 v3, v[38:39]
.LBB148_890:                            ;   in Loop: Header=BB148_3 Depth=1
	s_or_b32 exec_lo, exec_lo, s6
	s_wait_dscnt 0x0
	s_barrier_signal -1
	s_barrier_wait -1
	s_barrier_signal -1
	s_barrier_wait -1
	s_and_saveexec_b32 s6, s1
; %bb.891:                              ;   in Loop: Header=BB148_3 Depth=1
	ds_store_b64 v46, v[36:37] offset:5696
; %bb.892:                              ;   in Loop: Header=BB148_3 Depth=1
	s_or_b32 exec_lo, exec_lo, s6
	s_wait_dscnt 0x0
	s_barrier_signal -1
	s_barrier_wait -1
	s_barrier_signal -1
	s_barrier_wait -1
	s_and_saveexec_b32 s6, s14
	s_cbranch_execz .LBB148_894
; %bb.893:                              ;   in Loop: Header=BB148_3 Depth=1
	v_add_nc_u32_e64 v36, 64, 0
	ds_load_b64 v[40:41], v5 offset:4680
	ds_load_2addr_stride64_b64 v[36:39], v36 offset0:8 offset1:9
	s_wait_dscnt 0x0
	v_dual_mul_f32 v79, v41, v37 :: v_dual_mul_f32 v80, v40, v37
	s_delay_alu instid0(VALU_DEP_1) | instskip(NEXT) | instid1(VALU_DEP_1)
	v_xor_b32_e32 v82, 0x80000000, v79
	v_dual_fmac_f32 v80, v41, v36 :: v_dual_fmac_f32 v82, v40, v36
	s_delay_alu instid0(VALU_DEP_1) | instskip(NEXT) | instid1(VALU_DEP_1)
	v_pk_mul_f32 v[36:37], v[80:81], v[38:39] op_sel:[0,1] op_sel_hi:[0,0]
	v_pk_fma_f32 v[40:41], v[82:83], v[38:39], v[36:37] op_sel_hi:[0,1,1]
	v_pk_fma_f32 v[36:37], v[82:83], v[38:39], v[36:37] neg_lo:[0,0,1] neg_hi:[0,0,1]
	s_delay_alu instid0(VALU_DEP_2)
	v_mov_b32_e32 v37, v41
	ds_store_b64 v5, v[36:37] offset:4672
.LBB148_894:                            ;   in Loop: Header=BB148_3 Depth=1
	s_or_b32 exec_lo, exec_lo, s6
	v_mov_b64_e32 v[36:37], 0
	s_wait_dscnt 0x0
	s_barrier_signal -1
	s_barrier_wait -1
	global_wb scope:SCOPE_DEV
	s_wait_storecnt 0x0
	global_inv scope:SCOPE_DEV
	s_and_saveexec_b32 s8, s3
	s_cbranch_execz .LBB148_904
; %bb.895:                              ;   in Loop: Header=BB148_3 Depth=1
	ds_load_b64 v[36:37], v52 offset:4096
	ds_load_b64 v[38:39], v53 offset:7744
	s_wait_dscnt 0x0
	v_dual_mul_f32 v40, v39, v37 :: v_dual_mul_f32 v37, v38, v37
	s_delay_alu instid0(VALU_DEP_1) | instskip(NEXT) | instid1(VALU_DEP_1)
	v_dual_fma_f32 v38, v38, v36, -v40 :: v_dual_fmac_f32 v37, v39, v36
	v_dual_add_f32 v36, 0, v38 :: v_dual_add_f32 v37, 0, v37
	s_and_saveexec_b32 s6, s18
	s_cbranch_execnz .LBB148_1090
; %bb.896:                              ;   in Loop: Header=BB148_3 Depth=1
	s_or_b32 exec_lo, exec_lo, s6
	s_and_saveexec_b32 s6, s19
	s_cbranch_execnz .LBB148_1091
.LBB148_897:                            ;   in Loop: Header=BB148_3 Depth=1
	s_or_b32 exec_lo, exec_lo, s6
	s_and_saveexec_b32 s6, s20
	s_cbranch_execnz .LBB148_1092
.LBB148_898:                            ;   in Loop: Header=BB148_3 Depth=1
	s_or_b32 exec_lo, exec_lo, s6
	s_and_saveexec_b32 s6, s21
	s_cbranch_execnz .LBB148_1093
.LBB148_899:                            ;   in Loop: Header=BB148_3 Depth=1
	s_or_b32 exec_lo, exec_lo, s6
	s_and_saveexec_b32 s6, s22
	s_cbranch_execnz .LBB148_1094
.LBB148_900:                            ;   in Loop: Header=BB148_3 Depth=1
	s_or_b32 exec_lo, exec_lo, s6
	s_and_saveexec_b32 s6, s2
	s_cbranch_execnz .LBB148_1095
.LBB148_901:                            ;   in Loop: Header=BB148_3 Depth=1
	s_or_b32 exec_lo, exec_lo, s6
	s_and_saveexec_b32 s6, s17
	s_cbranch_execz .LBB148_903
.LBB148_902:                            ;   in Loop: Header=BB148_3 Depth=1
	ds_load_b64 v[38:39], v45 offset:7680
	ds_load_b64 v[40:41], v5 offset:7800
	s_wait_dscnt 0x0
	v_dual_mul_f32 v79, v41, v39 :: v_dual_mul_f32 v81, v40, v39
	s_delay_alu instid0(VALU_DEP_1) | instskip(NEXT) | instid1(VALU_DEP_1)
	v_dual_fma_f32 v80, v40, v38, -v79 :: v_dual_fmac_f32 v81, v41, v38
	v_pk_add_f32 v[36:37], v[36:37], v[80:81]
.LBB148_903:                            ;   in Loop: Header=BB148_3 Depth=1
	s_or_b32 exec_lo, exec_lo, s6
.LBB148_904:                            ;   in Loop: Header=BB148_3 Depth=1
	s_delay_alu instid0(SALU_CYCLE_1)
	s_or_b32 exec_lo, exec_lo, s8
	s_and_saveexec_b32 s6, s50
	s_cbranch_execz .LBB148_906
; %bb.905:                              ;   in Loop: Header=BB148_3 Depth=1
	ds_load_b64 v[38:39], v5 offset:3640
	s_wait_dscnt 0x0
	v_pk_mul_f32 v[40:41], v[36:37], v[38:39] op_sel:[1,1] op_sel_hi:[1,0]
	s_delay_alu instid0(VALU_DEP_1) | instskip(SKIP_1) | instid1(VALU_DEP_2)
	v_pk_fma_f32 v[80:81], v[36:37], v[38:39], v[40:41] op_sel_hi:[0,1,1]
	v_pk_fma_f32 v[36:37], v[36:37], v[38:39], v[40:41] neg_lo:[0,0,1] neg_hi:[0,0,1]
	v_mov_b32_e32 v37, v81
	s_delay_alu instid0(VALU_DEP_1)
	v_pk_add_f32 v[38:39], v[36:37], 0 neg_lo:[1,1] neg_hi:[1,1]
	ds_store_b64 v51, v[38:39]
.LBB148_906:                            ;   in Loop: Header=BB148_3 Depth=1
	s_or_b32 exec_lo, exec_lo, s6
	s_wait_loadcnt_dscnt 0x0
	s_barrier_signal -1
	s_barrier_wait -1
	s_and_saveexec_b32 s6, s51
	s_cbranch_execz .LBB148_908
; %bb.907:                              ;   in Loop: Header=BB148_3 Depth=1
	ds_load_b64 v[38:39], v52 offset:3584
	ds_load_b64 v[40:41], v51
	s_wait_dscnt 0x0
	v_pk_mul_f32 v[80:81], v[40:41], v[38:39] op_sel:[1,1] op_sel_hi:[0,1]
	s_delay_alu instid0(VALU_DEP_1) | instskip(SKIP_1) | instid1(VALU_DEP_2)
	v_pk_fma_f32 v[82:83], v[40:41], v[38:39], v[80:81] op_sel_hi:[1,0,1]
	v_pk_fma_f32 v[38:39], v[40:41], v[38:39], v[80:81] neg_lo:[0,0,1] neg_hi:[0,0,1]
	v_mov_b32_e32 v39, v83
	s_delay_alu instid0(VALU_DEP_1)
	v_pk_add_f32 v[36:37], v[36:37], v[38:39] neg_lo:[0,1] neg_hi:[0,1]
.LBB148_908:                            ;   in Loop: Header=BB148_3 Depth=1
	s_or_b32 exec_lo, exec_lo, s6
	s_barrier_signal -1
	s_barrier_wait -1
	s_and_saveexec_b32 s6, s52
	s_cbranch_execz .LBB148_910
; %bb.909:                              ;   in Loop: Header=BB148_3 Depth=1
	ds_load_b64 v[38:39], v5 offset:3120
	s_wait_dscnt 0x0
	v_pk_mul_f32 v[40:41], v[36:37], v[38:39] op_sel:[1,1] op_sel_hi:[1,0]
	s_delay_alu instid0(VALU_DEP_1) | instskip(SKIP_1) | instid1(VALU_DEP_2)
	v_pk_fma_f32 v[80:81], v[36:37], v[38:39], v[40:41] op_sel_hi:[0,1,1]
	v_pk_fma_f32 v[36:37], v[36:37], v[38:39], v[40:41] neg_lo:[0,0,1] neg_hi:[0,0,1]
	v_mov_b32_e32 v37, v81
	s_delay_alu instid0(VALU_DEP_1)
	v_pk_add_f32 v[38:39], v[36:37], 0 neg_lo:[1,1] neg_hi:[1,1]
	ds_store_b64 v51, v[38:39]
.LBB148_910:                            ;   in Loop: Header=BB148_3 Depth=1
	s_or_b32 exec_lo, exec_lo, s6
	s_wait_dscnt 0x0
	s_barrier_signal -1
	s_barrier_wait -1
	s_and_saveexec_b32 s6, s53
	s_cbranch_execz .LBB148_912
; %bb.911:                              ;   in Loop: Header=BB148_3 Depth=1
	ds_load_b64 v[38:39], v52 offset:3072
	ds_load_b64 v[40:41], v51
	s_wait_dscnt 0x0
	v_pk_mul_f32 v[80:81], v[40:41], v[38:39] op_sel:[1,1] op_sel_hi:[0,1]
	s_delay_alu instid0(VALU_DEP_1) | instskip(SKIP_1) | instid1(VALU_DEP_2)
	v_pk_fma_f32 v[82:83], v[40:41], v[38:39], v[80:81] op_sel_hi:[1,0,1]
	v_pk_fma_f32 v[38:39], v[40:41], v[38:39], v[80:81] neg_lo:[0,0,1] neg_hi:[0,0,1]
	v_mov_b32_e32 v39, v83
	s_delay_alu instid0(VALU_DEP_1)
	v_pk_add_f32 v[36:37], v[36:37], v[38:39] neg_lo:[0,1] neg_hi:[0,1]
.LBB148_912:                            ;   in Loop: Header=BB148_3 Depth=1
	s_or_b32 exec_lo, exec_lo, s6
	s_barrier_signal -1
	s_barrier_wait -1
	s_and_saveexec_b32 s6, s54
	s_cbranch_execz .LBB148_914
; %bb.913:                              ;   in Loop: Header=BB148_3 Depth=1
	ds_load_b64 v[38:39], v5 offset:2600
	s_wait_dscnt 0x0
	v_pk_mul_f32 v[40:41], v[36:37], v[38:39] op_sel:[1,1] op_sel_hi:[1,0]
	s_delay_alu instid0(VALU_DEP_1) | instskip(SKIP_1) | instid1(VALU_DEP_2)
	v_pk_fma_f32 v[80:81], v[36:37], v[38:39], v[40:41] op_sel_hi:[0,1,1]
	v_pk_fma_f32 v[36:37], v[36:37], v[38:39], v[40:41] neg_lo:[0,0,1] neg_hi:[0,0,1]
	v_mov_b32_e32 v37, v81
	s_delay_alu instid0(VALU_DEP_1)
	v_pk_add_f32 v[38:39], v[36:37], 0 neg_lo:[1,1] neg_hi:[1,1]
	ds_store_b64 v51, v[38:39]
.LBB148_914:                            ;   in Loop: Header=BB148_3 Depth=1
	s_or_b32 exec_lo, exec_lo, s6
	s_wait_dscnt 0x0
	s_barrier_signal -1
	s_barrier_wait -1
	s_and_saveexec_b32 s6, s55
	s_cbranch_execz .LBB148_916
; %bb.915:                              ;   in Loop: Header=BB148_3 Depth=1
	ds_load_b64 v[38:39], v52 offset:2560
	ds_load_b64 v[40:41], v51
	s_wait_dscnt 0x0
	v_pk_mul_f32 v[80:81], v[40:41], v[38:39] op_sel:[1,1] op_sel_hi:[0,1]
	s_delay_alu instid0(VALU_DEP_1) | instskip(SKIP_1) | instid1(VALU_DEP_2)
	v_pk_fma_f32 v[82:83], v[40:41], v[38:39], v[80:81] op_sel_hi:[1,0,1]
	v_pk_fma_f32 v[38:39], v[40:41], v[38:39], v[80:81] neg_lo:[0,0,1] neg_hi:[0,0,1]
	v_mov_b32_e32 v39, v83
	s_delay_alu instid0(VALU_DEP_1)
	v_pk_add_f32 v[36:37], v[36:37], v[38:39] neg_lo:[0,1] neg_hi:[0,1]
.LBB148_916:                            ;   in Loop: Header=BB148_3 Depth=1
	s_or_b32 exec_lo, exec_lo, s6
	s_barrier_signal -1
	s_barrier_wait -1
	s_and_saveexec_b32 s6, s56
	s_cbranch_execz .LBB148_918
; %bb.917:                              ;   in Loop: Header=BB148_3 Depth=1
	ds_load_b64 v[38:39], v5 offset:2080
	s_wait_dscnt 0x0
	v_pk_mul_f32 v[40:41], v[36:37], v[38:39]
	v_pk_mul_f32 v[36:37], v[36:37], v[38:39] op_sel:[1,0] op_sel_hi:[0,1]
	s_delay_alu instid0(VALU_DEP_1) | instskip(NEXT) | instid1(VALU_DEP_3)
	v_dual_mov_b32 v38, v40 :: v_dual_mov_b32 v39, v36
	v_mov_b32_e32 v36, v41
	s_delay_alu instid0(VALU_DEP_1) | instskip(SKIP_1) | instid1(VALU_DEP_2)
	v_pk_add_f32 v[40:41], v[38:39], v[36:37]
	v_pk_add_f32 v[36:37], v[38:39], v[36:37] neg_lo:[0,1] neg_hi:[0,1]
	v_mov_b32_e32 v37, v41
	s_delay_alu instid0(VALU_DEP_1)
	v_pk_add_f32 v[38:39], v[36:37], 0 neg_lo:[1,1] neg_hi:[1,1]
	ds_store_b64 v51, v[38:39]
.LBB148_918:                            ;   in Loop: Header=BB148_3 Depth=1
	s_or_b32 exec_lo, exec_lo, s6
	s_wait_dscnt 0x0
	s_barrier_signal -1
	s_barrier_wait -1
	s_and_saveexec_b32 s6, s57
	s_cbranch_execz .LBB148_920
; %bb.919:                              ;   in Loop: Header=BB148_3 Depth=1
	ds_load_b64 v[38:39], v52 offset:2048
	ds_load_b64 v[40:41], v51
	s_wait_dscnt 0x0
	v_dual_mul_f32 v79, v41, v39 :: v_dual_mul_f32 v39, v40, v39
	s_delay_alu instid0(VALU_DEP_1) | instskip(NEXT) | instid1(VALU_DEP_1)
	v_fmac_f32_e32 v39, v41, v38
	v_dual_fma_f32 v40, v40, v38, -v79 :: v_dual_sub_f32 v37, v37, v39
	s_delay_alu instid0(VALU_DEP_1)
	v_sub_f32_e32 v36, v36, v40
.LBB148_920:                            ;   in Loop: Header=BB148_3 Depth=1
	s_or_b32 exec_lo, exec_lo, s6
	s_barrier_signal -1
	s_barrier_wait -1
	s_and_saveexec_b32 s6, s58
	s_cbranch_execz .LBB148_922
; %bb.921:                              ;   in Loop: Header=BB148_3 Depth=1
	ds_load_b64 v[38:39], v5 offset:1560
	s_wait_dscnt 0x0
	v_dual_mul_f32 v40, v37, v38 :: v_dual_mul_f32 v80, v37, v39
	s_delay_alu instid0(VALU_DEP_1) | instskip(NEXT) | instid1(VALU_DEP_2)
	v_pk_fma_f32 v[40:41], v[36:37], v[38:39], v[40:41] op_sel:[1,0,0] op_sel_hi:[0,1,0]
	v_pk_fma_f32 v[36:37], v[36:37], v[38:39], v[80:81] op_sel_hi:[1,1,0] neg_lo:[0,0,1] neg_hi:[0,0,1]
	s_delay_alu instid0(VALU_DEP_2) | instskip(NEXT) | instid1(VALU_DEP_1)
	v_mov_b32_e32 v37, v41
	v_pk_add_f32 v[38:39], v[36:37], 0 neg_lo:[1,1] neg_hi:[1,1]
	ds_store_b64 v51, v[38:39]
.LBB148_922:                            ;   in Loop: Header=BB148_3 Depth=1
	s_or_b32 exec_lo, exec_lo, s6
	s_wait_dscnt 0x0
	s_barrier_signal -1
	s_barrier_wait -1
	s_and_saveexec_b32 s6, s59
	s_cbranch_execz .LBB148_924
; %bb.923:                              ;   in Loop: Header=BB148_3 Depth=1
	ds_load_b64 v[38:39], v52 offset:1536
	ds_load_b64 v[40:41], v51
	s_wait_dscnt 0x0
	v_pk_mul_f32 v[80:81], v[40:41], v[38:39] op_sel:[1,1] op_sel_hi:[0,1]
	s_delay_alu instid0(VALU_DEP_1) | instskip(SKIP_1) | instid1(VALU_DEP_2)
	v_pk_fma_f32 v[82:83], v[40:41], v[38:39], v[80:81] op_sel_hi:[1,0,1]
	v_pk_fma_f32 v[38:39], v[40:41], v[38:39], v[80:81] neg_lo:[0,0,1] neg_hi:[0,0,1]
	v_mov_b32_e32 v39, v83
	s_delay_alu instid0(VALU_DEP_1)
	v_pk_add_f32 v[36:37], v[36:37], v[38:39] neg_lo:[0,1] neg_hi:[0,1]
.LBB148_924:                            ;   in Loop: Header=BB148_3 Depth=1
	s_or_b32 exec_lo, exec_lo, s6
	s_barrier_signal -1
	s_barrier_wait -1
	s_and_saveexec_b32 s6, s60
	s_cbranch_execz .LBB148_926
; %bb.925:                              ;   in Loop: Header=BB148_3 Depth=1
	ds_load_b64 v[38:39], v5 offset:1040
	s_wait_dscnt 0x0
	v_pk_mul_f32 v[40:41], v[36:37], v[38:39] op_sel:[1,1] op_sel_hi:[1,0]
	s_delay_alu instid0(VALU_DEP_1) | instskip(SKIP_1) | instid1(VALU_DEP_2)
	v_pk_fma_f32 v[80:81], v[36:37], v[38:39], v[40:41] op_sel_hi:[0,1,1]
	v_pk_fma_f32 v[36:37], v[36:37], v[38:39], v[40:41] neg_lo:[0,0,1] neg_hi:[0,0,1]
	v_mov_b32_e32 v37, v81
	s_delay_alu instid0(VALU_DEP_1)
	v_pk_add_f32 v[38:39], v[36:37], 0 neg_lo:[1,1] neg_hi:[1,1]
	ds_store_b64 v51, v[38:39]
.LBB148_926:                            ;   in Loop: Header=BB148_3 Depth=1
	s_or_b32 exec_lo, exec_lo, s6
	s_wait_dscnt 0x0
	s_barrier_signal -1
	s_barrier_wait -1
	s_and_saveexec_b32 s6, s61
	s_cbranch_execz .LBB148_928
; %bb.927:                              ;   in Loop: Header=BB148_3 Depth=1
	ds_load_b64 v[38:39], v52 offset:1024
	ds_load_b64 v[40:41], v51
	s_wait_dscnt 0x0
	v_pk_mul_f32 v[80:81], v[40:41], v[38:39] op_sel:[1,1] op_sel_hi:[0,1]
	s_delay_alu instid0(VALU_DEP_1) | instskip(SKIP_1) | instid1(VALU_DEP_2)
	v_pk_fma_f32 v[82:83], v[40:41], v[38:39], v[80:81] op_sel_hi:[1,0,1]
	v_pk_fma_f32 v[38:39], v[40:41], v[38:39], v[80:81] neg_lo:[0,0,1] neg_hi:[0,0,1]
	v_mov_b32_e32 v39, v83
	s_delay_alu instid0(VALU_DEP_1)
	v_pk_add_f32 v[36:37], v[36:37], v[38:39] neg_lo:[0,1] neg_hi:[0,1]
.LBB148_928:                            ;   in Loop: Header=BB148_3 Depth=1
	s_or_b32 exec_lo, exec_lo, s6
	s_barrier_signal -1
	s_barrier_wait -1
	s_and_saveexec_b32 s6, s62
	s_cbranch_execz .LBB148_930
; %bb.929:                              ;   in Loop: Header=BB148_3 Depth=1
	ds_load_b64 v[38:39], v5 offset:520
	s_wait_dscnt 0x0
	v_pk_mul_f32 v[40:41], v[36:37], v[38:39] op_sel:[1,1] op_sel_hi:[1,0]
	s_delay_alu instid0(VALU_DEP_1) | instskip(SKIP_1) | instid1(VALU_DEP_2)
	v_pk_fma_f32 v[80:81], v[36:37], v[38:39], v[40:41] op_sel_hi:[0,1,1]
	v_pk_fma_f32 v[36:37], v[36:37], v[38:39], v[40:41] neg_lo:[0,0,1] neg_hi:[0,0,1]
	v_mov_b32_e32 v37, v81
	s_delay_alu instid0(VALU_DEP_1)
	v_pk_add_f32 v[38:39], v[36:37], 0 neg_lo:[1,1] neg_hi:[1,1]
	ds_store_b64 v51, v[38:39]
.LBB148_930:                            ;   in Loop: Header=BB148_3 Depth=1
	s_or_b32 exec_lo, exec_lo, s6
	s_wait_dscnt 0x0
	s_barrier_signal -1
	s_barrier_wait -1
	s_and_saveexec_b32 s6, s63
	s_cbranch_execz .LBB148_932
; %bb.931:                              ;   in Loop: Header=BB148_3 Depth=1
	ds_load_b64 v[38:39], v5 offset:512
	ds_load_b64 v[40:41], v51
	s_wait_dscnt 0x0
	v_pk_mul_f32 v[80:81], v[40:41], v[38:39] op_sel:[1,1] op_sel_hi:[0,1]
	s_delay_alu instid0(VALU_DEP_1) | instskip(SKIP_1) | instid1(VALU_DEP_2)
	v_pk_fma_f32 v[82:83], v[40:41], v[38:39], v[80:81] op_sel_hi:[1,0,1]
	v_pk_fma_f32 v[38:39], v[40:41], v[38:39], v[80:81] neg_lo:[0,0,1] neg_hi:[0,0,1]
	v_mov_b32_e32 v39, v83
	s_delay_alu instid0(VALU_DEP_1)
	v_pk_add_f32 v[36:37], v[36:37], v[38:39] neg_lo:[0,1] neg_hi:[0,1]
.LBB148_932:                            ;   in Loop: Header=BB148_3 Depth=1
	s_or_b32 exec_lo, exec_lo, s6
	s_barrier_signal -1
	s_barrier_wait -1
	s_and_saveexec_b32 s6, s63
	s_cbranch_execz .LBB148_934
; %bb.933:                              ;   in Loop: Header=BB148_3 Depth=1
	ds_load_b64 v[38:39], v5
	s_wait_dscnt 0x0
	v_pk_mul_f32 v[40:41], v[36:37], v[38:39] op_sel:[1,1] op_sel_hi:[1,0]
	s_delay_alu instid0(VALU_DEP_1) | instskip(SKIP_1) | instid1(VALU_DEP_2)
	v_pk_fma_f32 v[80:81], v[36:37], v[38:39], v[40:41] op_sel_hi:[0,1,1]
	v_pk_fma_f32 v[36:37], v[36:37], v[38:39], v[40:41] neg_lo:[0,0,1] neg_hi:[0,0,1]
	v_mov_b32_e32 v37, v81
	s_delay_alu instid0(VALU_DEP_1)
	v_pk_add_f32 v[38:39], v[36:37], 0 neg_lo:[1,1] neg_hi:[1,1]
	ds_store_b64 v51, v[38:39]
.LBB148_934:                            ;   in Loop: Header=BB148_3 Depth=1
	s_or_b32 exec_lo, exec_lo, s6
	s_wait_dscnt 0x0
	s_barrier_signal -1
	s_barrier_wait -1
	s_barrier_signal -1
	s_barrier_wait -1
	s_and_saveexec_b32 s6, s3
; %bb.935:                              ;   in Loop: Header=BB148_3 Depth=1
	ds_store_b64 v54, v[36:37] offset:7680
; %bb.936:                              ;   in Loop: Header=BB148_3 Depth=1
	s_or_b32 exec_lo, exec_lo, s6
	s_wait_dscnt 0x0
	s_barrier_signal -1
	s_barrier_wait -1
	s_barrier_signal -1
	s_barrier_wait -1
	s_and_saveexec_b32 s6, s14
	s_cbranch_execz .LBB148_938
; %bb.937:                              ;   in Loop: Header=BB148_3 Depth=1
	v_add_nc_u32_e64 v36, 48, 0
	ds_load_b64 v[40:41], v5 offset:3640
	ds_load_2addr_stride64_b64 v[36:39], v36 offset0:6 offset1:7
	s_wait_dscnt 0x0
	v_dual_mul_f32 v79, v41, v37 :: v_dual_mul_f32 v80, v40, v37
	s_delay_alu instid0(VALU_DEP_1) | instskip(NEXT) | instid1(VALU_DEP_1)
	v_xor_b32_e32 v82, 0x80000000, v79
	v_dual_fmac_f32 v80, v41, v36 :: v_dual_fmac_f32 v82, v40, v36
	s_delay_alu instid0(VALU_DEP_1) | instskip(NEXT) | instid1(VALU_DEP_1)
	v_pk_mul_f32 v[36:37], v[80:81], v[38:39] op_sel:[0,1] op_sel_hi:[0,0]
	v_pk_fma_f32 v[40:41], v[82:83], v[38:39], v[36:37] op_sel_hi:[0,1,1]
	v_pk_fma_f32 v[36:37], v[82:83], v[38:39], v[36:37] neg_lo:[0,0,1] neg_hi:[0,0,1]
	s_delay_alu instid0(VALU_DEP_2)
	v_mov_b32_e32 v37, v41
	ds_store_b64 v5, v[36:37] offset:3632
.LBB148_938:                            ;   in Loop: Header=BB148_3 Depth=1
	s_or_b32 exec_lo, exec_lo, s6
	v_dual_mov_b32 v36, 0 :: v_dual_mov_b32 v37, 0
	s_wait_dscnt 0x0
	s_barrier_signal -1
	s_barrier_wait -1
	global_wb scope:SCOPE_DEV
	s_wait_storecnt 0x0
	global_inv scope:SCOPE_DEV
	s_and_saveexec_b32 s6, s1
	s_cbranch_execz .LBB148_942
; %bb.939:                              ;   in Loop: Header=BB148_3 Depth=1
	ds_load_b64 v[36:37], v43 offset:3104
	ds_load_b64 v[38:39], v44 offset:3632
	s_wait_dscnt 0x0
	v_pk_mul_f32 v[40:41], v[38:39], v[36:37] op_sel:[1,1] op_sel_hi:[0,1]
	s_delay_alu instid0(VALU_DEP_1) | instskip(SKIP_1) | instid1(VALU_DEP_2)
	v_pk_fma_f32 v[80:81], v[38:39], v[36:37], v[40:41] op_sel_hi:[1,0,1]
	v_pk_fma_f32 v[36:37], v[38:39], v[36:37], v[40:41] neg_lo:[0,0,1] neg_hi:[0,0,1]
	v_mov_b32_e32 v37, v81
	s_delay_alu instid0(VALU_DEP_1)
	v_pk_add_f32 v[36:37], v[36:37], 0 op_sel_hi:[1,0]
	s_and_saveexec_b32 s8, s15
	s_cbranch_execz .LBB148_941
; %bb.940:                              ;   in Loop: Header=BB148_3 Depth=1
	ds_load_b64 v[38:39], v45 offset:3616
	ds_load_b64 v[40:41], v5 offset:3640
	s_wait_dscnt 0x0
	v_pk_mul_f32 v[80:81], v[40:41], v[38:39] op_sel:[1,1] op_sel_hi:[0,1]
	s_delay_alu instid0(VALU_DEP_1) | instskip(SKIP_1) | instid1(VALU_DEP_2)
	v_pk_fma_f32 v[82:83], v[40:41], v[38:39], v[80:81] op_sel_hi:[1,0,1]
	v_pk_fma_f32 v[38:39], v[40:41], v[38:39], v[80:81] neg_lo:[0,0,1] neg_hi:[0,0,1]
	v_mov_b32_e32 v39, v83
	s_delay_alu instid0(VALU_DEP_1)
	v_pk_add_f32 v[36:37], v[36:37], v[38:39]
.LBB148_941:                            ;   in Loop: Header=BB148_3 Depth=1
	s_or_b32 exec_lo, exec_lo, s8
.LBB148_942:                            ;   in Loop: Header=BB148_3 Depth=1
	s_delay_alu instid0(SALU_CYCLE_1)
	s_or_b32 exec_lo, exec_lo, s6
	s_and_saveexec_b32 s6, vcc_hi
	s_cbranch_execz .LBB148_944
; %bb.943:                              ;   in Loop: Header=BB148_3 Depth=1
	ds_load_b64 v[38:39], v5 offset:2600
	s_wait_dscnt 0x0
	v_pk_mul_f32 v[40:41], v[36:37], v[38:39] op_sel:[1,1] op_sel_hi:[1,0]
	s_delay_alu instid0(VALU_DEP_1) | instskip(SKIP_1) | instid1(VALU_DEP_2)
	v_pk_fma_f32 v[80:81], v[36:37], v[38:39], v[40:41] op_sel_hi:[0,1,1]
	v_pk_fma_f32 v[36:37], v[36:37], v[38:39], v[40:41] neg_lo:[0,0,1] neg_hi:[0,0,1]
	v_mov_b32_e32 v37, v81
	s_delay_alu instid0(VALU_DEP_1)
	v_pk_add_f32 v[38:39], v[36:37], 0 neg_lo:[1,1] neg_hi:[1,1]
	ds_store_b64 v3, v[38:39]
.LBB148_944:                            ;   in Loop: Header=BB148_3 Depth=1
	s_or_b32 exec_lo, exec_lo, s6
	s_wait_loadcnt_dscnt 0x0
	s_barrier_signal -1
	s_barrier_wait -1
	s_and_saveexec_b32 s6, s43
	s_cbranch_execz .LBB148_946
; %bb.945:                              ;   in Loop: Header=BB148_3 Depth=1
	ds_load_b64 v[38:39], v5 offset:2592
	ds_load_b64 v[40:41], v3
	s_wait_dscnt 0x0
	v_pk_mul_f32 v[80:81], v[40:41], v[38:39] op_sel:[1,1] op_sel_hi:[0,1]
	s_delay_alu instid0(VALU_DEP_1) | instskip(SKIP_1) | instid1(VALU_DEP_2)
	v_pk_fma_f32 v[82:83], v[40:41], v[38:39], v[80:81] op_sel_hi:[1,0,1]
	v_pk_fma_f32 v[38:39], v[40:41], v[38:39], v[80:81] neg_lo:[0,0,1] neg_hi:[0,0,1]
	v_mov_b32_e32 v39, v83
	s_delay_alu instid0(VALU_DEP_1)
	v_pk_add_f32 v[36:37], v[36:37], v[38:39] neg_lo:[0,1] neg_hi:[0,1]
.LBB148_946:                            ;   in Loop: Header=BB148_3 Depth=1
	s_or_b32 exec_lo, exec_lo, s6
	s_barrier_signal -1
	s_barrier_wait -1
	s_and_saveexec_b32 s6, s43
	s_cbranch_execz .LBB148_948
; %bb.947:                              ;   in Loop: Header=BB148_3 Depth=1
	ds_load_b64 v[38:39], v5 offset:2080
	s_wait_dscnt 0x0
	v_pk_mul_f32 v[40:41], v[36:37], v[38:39] op_sel:[1,1] op_sel_hi:[1,0]
	s_delay_alu instid0(VALU_DEP_1) | instskip(SKIP_1) | instid1(VALU_DEP_2)
	v_pk_fma_f32 v[80:81], v[36:37], v[38:39], v[40:41] op_sel_hi:[0,1,1]
	v_pk_fma_f32 v[36:37], v[36:37], v[38:39], v[40:41] neg_lo:[0,0,1] neg_hi:[0,0,1]
	v_mov_b32_e32 v37, v81
	s_delay_alu instid0(VALU_DEP_1)
	v_pk_add_f32 v[38:39], v[36:37], 0 neg_lo:[1,1] neg_hi:[1,1]
	ds_store_b64 v3, v[38:39]
.LBB148_948:                            ;   in Loop: Header=BB148_3 Depth=1
	s_or_b32 exec_lo, exec_lo, s6
	s_wait_dscnt 0x0
	s_barrier_signal -1
	s_barrier_wait -1
	s_barrier_signal -1
	s_barrier_wait -1
	s_and_saveexec_b32 s6, s1
; %bb.949:                              ;   in Loop: Header=BB148_3 Depth=1
	ds_store_b64 v46, v[36:37] offset:3616
; %bb.950:                              ;   in Loop: Header=BB148_3 Depth=1
	s_or_b32 exec_lo, exec_lo, s6
	s_wait_dscnt 0x0
	s_barrier_signal -1
	s_barrier_wait -1
	s_barrier_signal -1
	s_barrier_wait -1
	s_and_saveexec_b32 s6, s14
	s_cbranch_execz .LBB148_952
; %bb.951:                              ;   in Loop: Header=BB148_3 Depth=1
	v_add_nc_u32_e64 v36, 32, 0
	ds_load_b64 v[40:41], v5 offset:2600
	ds_load_2addr_stride64_b64 v[36:39], v36 offset0:4 offset1:5
	s_wait_dscnt 0x0
	v_dual_mul_f32 v79, v41, v37 :: v_dual_mul_f32 v80, v40, v37
	s_delay_alu instid0(VALU_DEP_1) | instskip(NEXT) | instid1(VALU_DEP_1)
	v_xor_b32_e32 v82, 0x80000000, v79
	v_dual_fmac_f32 v80, v41, v36 :: v_dual_fmac_f32 v82, v40, v36
	s_delay_alu instid0(VALU_DEP_1) | instskip(NEXT) | instid1(VALU_DEP_1)
	v_pk_mul_f32 v[36:37], v[80:81], v[38:39] op_sel:[0,1] op_sel_hi:[0,0]
	v_pk_fma_f32 v[40:41], v[82:83], v[38:39], v[36:37] op_sel_hi:[0,1,1]
	v_pk_fma_f32 v[36:37], v[82:83], v[38:39], v[36:37] neg_lo:[0,0,1] neg_hi:[0,0,1]
	s_delay_alu instid0(VALU_DEP_2)
	v_mov_b32_e32 v37, v41
	ds_store_b64 v5, v[36:37] offset:2592
.LBB148_952:                            ;   in Loop: Header=BB148_3 Depth=1
	s_or_b32 exec_lo, exec_lo, s6
	v_mov_b64_e32 v[36:37], 0
	s_wait_dscnt 0x0
	s_barrier_signal -1
	s_barrier_wait -1
	global_wb scope:SCOPE_DEV
	s_wait_storecnt 0x0
	global_inv scope:SCOPE_DEV
	s_and_saveexec_b32 s8, s2
	s_cbranch_execz .LBB148_958
; %bb.953:                              ;   in Loop: Header=BB148_3 Depth=1
	ds_load_b64 v[36:37], v48 offset:2048
	ds_load_b64 v[38:39], v49 offset:3616
	s_wait_dscnt 0x0
	v_dual_mul_f32 v40, v39, v37 :: v_dual_mul_f32 v37, v38, v37
	s_delay_alu instid0(VALU_DEP_1) | instskip(NEXT) | instid1(VALU_DEP_1)
	v_dual_fma_f32 v38, v38, v36, -v40 :: v_dual_fmac_f32 v37, v39, v36
	v_dual_add_f32 v36, 0, v38 :: v_dual_add_f32 v37, 0, v37
	s_and_saveexec_b32 s6, s16
	s_cbranch_execnz .LBB148_1096
; %bb.954:                              ;   in Loop: Header=BB148_3 Depth=1
	s_or_b32 exec_lo, exec_lo, s6
	s_and_saveexec_b32 s6, s17
	s_cbranch_execnz .LBB148_1097
.LBB148_955:                            ;   in Loop: Header=BB148_3 Depth=1
	s_or_b32 exec_lo, exec_lo, s6
	s_and_saveexec_b32 s6, s1
	s_cbranch_execz .LBB148_957
.LBB148_956:                            ;   in Loop: Header=BB148_3 Depth=1
	ds_load_b64 v[38:39], v45 offset:3584
	ds_load_b64 v[40:41], v5 offset:3640
	s_wait_dscnt 0x0
	v_dual_mul_f32 v79, v41, v39 :: v_dual_mul_f32 v39, v40, v39
	s_delay_alu instid0(VALU_DEP_1) | instskip(NEXT) | instid1(VALU_DEP_1)
	v_fmac_f32_e32 v39, v41, v38
	v_dual_fma_f32 v40, v40, v38, -v79 :: v_dual_add_f32 v37, v37, v39
	s_delay_alu instid0(VALU_DEP_1)
	v_add_f32_e32 v36, v36, v40
.LBB148_957:                            ;   in Loop: Header=BB148_3 Depth=1
	s_or_b32 exec_lo, exec_lo, s6
.LBB148_958:                            ;   in Loop: Header=BB148_3 Depth=1
	s_delay_alu instid0(SALU_CYCLE_1)
	s_or_b32 exec_lo, exec_lo, s8
	s_and_saveexec_b32 s6, s44
	s_cbranch_execz .LBB148_960
; %bb.959:                              ;   in Loop: Header=BB148_3 Depth=1
	ds_load_b64 v[38:39], v5 offset:1560
	s_wait_dscnt 0x0
	v_dual_mul_f32 v40, v37, v38 :: v_dual_mul_f32 v80, v37, v39
	s_delay_alu instid0(VALU_DEP_1) | instskip(NEXT) | instid1(VALU_DEP_2)
	v_pk_fma_f32 v[40:41], v[36:37], v[38:39], v[40:41] op_sel:[1,0,0] op_sel_hi:[0,1,0]
	v_pk_fma_f32 v[36:37], v[36:37], v[38:39], v[80:81] op_sel_hi:[1,1,0] neg_lo:[0,0,1] neg_hi:[0,0,1]
	s_delay_alu instid0(VALU_DEP_2) | instskip(NEXT) | instid1(VALU_DEP_1)
	v_mov_b32_e32 v37, v41
	v_pk_add_f32 v[38:39], v[36:37], 0 neg_lo:[1,1] neg_hi:[1,1]
	ds_store_b64 v47, v[38:39]
.LBB148_960:                            ;   in Loop: Header=BB148_3 Depth=1
	s_or_b32 exec_lo, exec_lo, s6
	s_wait_loadcnt_dscnt 0x0
	s_barrier_signal -1
	s_barrier_wait -1
	s_and_saveexec_b32 s6, s45
	s_cbranch_execz .LBB148_962
; %bb.961:                              ;   in Loop: Header=BB148_3 Depth=1
	ds_load_b64 v[38:39], v48 offset:1536
	ds_load_b64 v[40:41], v47
	s_wait_dscnt 0x0
	v_pk_mul_f32 v[80:81], v[40:41], v[38:39] op_sel:[1,1] op_sel_hi:[0,1]
	s_delay_alu instid0(VALU_DEP_1) | instskip(SKIP_1) | instid1(VALU_DEP_2)
	v_pk_fma_f32 v[82:83], v[40:41], v[38:39], v[80:81] op_sel_hi:[1,0,1]
	v_pk_fma_f32 v[38:39], v[40:41], v[38:39], v[80:81] neg_lo:[0,0,1] neg_hi:[0,0,1]
	v_mov_b32_e32 v39, v83
	s_delay_alu instid0(VALU_DEP_1)
	v_pk_add_f32 v[36:37], v[36:37], v[38:39] neg_lo:[0,1] neg_hi:[0,1]
.LBB148_962:                            ;   in Loop: Header=BB148_3 Depth=1
	s_or_b32 exec_lo, exec_lo, s6
	s_barrier_signal -1
	s_barrier_wait -1
	s_and_saveexec_b32 s6, s46
	s_cbranch_execz .LBB148_964
; %bb.963:                              ;   in Loop: Header=BB148_3 Depth=1
	ds_load_b64 v[38:39], v5 offset:1040
	s_wait_dscnt 0x0
	v_pk_mul_f32 v[40:41], v[36:37], v[38:39] op_sel:[1,1] op_sel_hi:[1,0]
	s_delay_alu instid0(VALU_DEP_1) | instskip(SKIP_1) | instid1(VALU_DEP_2)
	v_pk_fma_f32 v[80:81], v[36:37], v[38:39], v[40:41] op_sel_hi:[0,1,1]
	v_pk_fma_f32 v[36:37], v[36:37], v[38:39], v[40:41] neg_lo:[0,0,1] neg_hi:[0,0,1]
	v_mov_b32_e32 v37, v81
	s_delay_alu instid0(VALU_DEP_1)
	v_pk_add_f32 v[38:39], v[36:37], 0 neg_lo:[1,1] neg_hi:[1,1]
	ds_store_b64 v47, v[38:39]
.LBB148_964:                            ;   in Loop: Header=BB148_3 Depth=1
	s_or_b32 exec_lo, exec_lo, s6
	s_wait_dscnt 0x0
	s_barrier_signal -1
	s_barrier_wait -1
	s_and_saveexec_b32 s6, s47
	s_cbranch_execz .LBB148_966
; %bb.965:                              ;   in Loop: Header=BB148_3 Depth=1
	ds_load_b64 v[38:39], v48 offset:1024
	ds_load_b64 v[40:41], v47
	s_wait_dscnt 0x0
	v_pk_mul_f32 v[80:81], v[40:41], v[38:39] op_sel:[1,1] op_sel_hi:[0,1]
	s_delay_alu instid0(VALU_DEP_1) | instskip(SKIP_1) | instid1(VALU_DEP_2)
	v_pk_fma_f32 v[82:83], v[40:41], v[38:39], v[80:81] op_sel_hi:[1,0,1]
	v_pk_fma_f32 v[38:39], v[40:41], v[38:39], v[80:81] neg_lo:[0,0,1] neg_hi:[0,0,1]
	v_mov_b32_e32 v39, v83
	s_delay_alu instid0(VALU_DEP_1)
	v_pk_add_f32 v[36:37], v[36:37], v[38:39] neg_lo:[0,1] neg_hi:[0,1]
.LBB148_966:                            ;   in Loop: Header=BB148_3 Depth=1
	s_or_b32 exec_lo, exec_lo, s6
	s_barrier_signal -1
	s_barrier_wait -1
	s_and_saveexec_b32 s6, s48
	s_cbranch_execz .LBB148_968
; %bb.967:                              ;   in Loop: Header=BB148_3 Depth=1
	ds_load_b64 v[38:39], v5 offset:520
	s_wait_dscnt 0x0
	v_pk_mul_f32 v[40:41], v[36:37], v[38:39] op_sel:[1,1] op_sel_hi:[1,0]
	s_delay_alu instid0(VALU_DEP_1) | instskip(SKIP_1) | instid1(VALU_DEP_2)
	v_pk_fma_f32 v[80:81], v[36:37], v[38:39], v[40:41] op_sel_hi:[0,1,1]
	v_pk_fma_f32 v[36:37], v[36:37], v[38:39], v[40:41] neg_lo:[0,0,1] neg_hi:[0,0,1]
	v_mov_b32_e32 v37, v81
	s_delay_alu instid0(VALU_DEP_1)
	v_pk_add_f32 v[38:39], v[36:37], 0 neg_lo:[1,1] neg_hi:[1,1]
	ds_store_b64 v47, v[38:39]
.LBB148_968:                            ;   in Loop: Header=BB148_3 Depth=1
	s_or_b32 exec_lo, exec_lo, s6
	s_wait_dscnt 0x0
	s_barrier_signal -1
	s_barrier_wait -1
	s_and_saveexec_b32 s6, s49
	s_cbranch_execz .LBB148_970
; %bb.969:                              ;   in Loop: Header=BB148_3 Depth=1
	ds_load_b64 v[38:39], v5 offset:512
	ds_load_b64 v[40:41], v47
	s_wait_dscnt 0x0
	v_pk_mul_f32 v[80:81], v[40:41], v[38:39] op_sel:[1,1] op_sel_hi:[0,1]
	s_delay_alu instid0(VALU_DEP_1) | instskip(SKIP_1) | instid1(VALU_DEP_2)
	v_pk_fma_f32 v[82:83], v[40:41], v[38:39], v[80:81] op_sel_hi:[1,0,1]
	v_pk_fma_f32 v[38:39], v[40:41], v[38:39], v[80:81] neg_lo:[0,0,1] neg_hi:[0,0,1]
	v_mov_b32_e32 v39, v83
	s_delay_alu instid0(VALU_DEP_1)
	v_pk_add_f32 v[36:37], v[36:37], v[38:39] neg_lo:[0,1] neg_hi:[0,1]
.LBB148_970:                            ;   in Loop: Header=BB148_3 Depth=1
	s_or_b32 exec_lo, exec_lo, s6
	s_barrier_signal -1
	s_barrier_wait -1
	s_and_saveexec_b32 s6, s49
	s_cbranch_execz .LBB148_972
; %bb.971:                              ;   in Loop: Header=BB148_3 Depth=1
	ds_load_b64 v[38:39], v5
	s_wait_dscnt 0x0
	v_pk_mul_f32 v[40:41], v[36:37], v[38:39] op_sel:[1,1] op_sel_hi:[1,0]
	s_delay_alu instid0(VALU_DEP_1) | instskip(SKIP_1) | instid1(VALU_DEP_2)
	v_pk_fma_f32 v[80:81], v[36:37], v[38:39], v[40:41] op_sel_hi:[0,1,1]
	v_pk_fma_f32 v[36:37], v[36:37], v[38:39], v[40:41] neg_lo:[0,0,1] neg_hi:[0,0,1]
	v_mov_b32_e32 v37, v81
	s_delay_alu instid0(VALU_DEP_1)
	v_pk_add_f32 v[38:39], v[36:37], 0 neg_lo:[1,1] neg_hi:[1,1]
	ds_store_b64 v47, v[38:39]
.LBB148_972:                            ;   in Loop: Header=BB148_3 Depth=1
	s_or_b32 exec_lo, exec_lo, s6
	s_wait_dscnt 0x0
	s_barrier_signal -1
	s_barrier_wait -1
	s_barrier_signal -1
	s_barrier_wait -1
	s_and_saveexec_b32 s6, s2
; %bb.973:                              ;   in Loop: Header=BB148_3 Depth=1
	ds_store_b64 v50, v[36:37] offset:3584
; %bb.974:                              ;   in Loop: Header=BB148_3 Depth=1
	s_or_b32 exec_lo, exec_lo, s6
	s_wait_dscnt 0x0
	s_barrier_signal -1
	s_barrier_wait -1
	s_barrier_signal -1
	s_barrier_wait -1
	s_and_saveexec_b32 s6, s14
	s_cbranch_execz .LBB148_976
; %bb.975:                              ;   in Loop: Header=BB148_3 Depth=1
	ds_load_2addr_b64 v[36:39], v5 offset0:130 offset1:194
	ds_load_b64 v[40:41], v5 offset:1560
	s_wait_dscnt 0x0
	v_dual_mul_f32 v79, v41, v37 :: v_dual_mul_f32 v80, v40, v37
	s_delay_alu instid0(VALU_DEP_1) | instskip(NEXT) | instid1(VALU_DEP_1)
	v_xor_b32_e32 v82, 0x80000000, v79
	v_dual_fmac_f32 v80, v41, v36 :: v_dual_fmac_f32 v82, v40, v36
	s_delay_alu instid0(VALU_DEP_1) | instskip(NEXT) | instid1(VALU_DEP_1)
	v_pk_mul_f32 v[36:37], v[80:81], v[38:39] op_sel:[0,1] op_sel_hi:[0,0]
	v_pk_fma_f32 v[40:41], v[82:83], v[38:39], v[36:37] op_sel_hi:[0,1,1]
	v_pk_fma_f32 v[36:37], v[82:83], v[38:39], v[36:37] neg_lo:[0,0,1] neg_hi:[0,0,1]
	s_delay_alu instid0(VALU_DEP_2)
	v_mov_b32_e32 v37, v41
	ds_store_b64 v5, v[36:37] offset:1552
.LBB148_976:                            ;   in Loop: Header=BB148_3 Depth=1
	s_or_b32 exec_lo, exec_lo, s6
	v_dual_mov_b32 v36, 0 :: v_dual_mov_b32 v37, 0
	s_wait_dscnt 0x0
	s_barrier_signal -1
	s_barrier_wait -1
	global_wb scope:SCOPE_DEV
	s_wait_storecnt 0x0
	global_inv scope:SCOPE_DEV
	s_and_saveexec_b32 s6, s1
	s_cbranch_execz .LBB148_980
; %bb.977:                              ;   in Loop: Header=BB148_3 Depth=1
	ds_load_b64 v[36:37], v43 offset:1024
	ds_load_b64 v[38:39], v44 offset:1552
	s_wait_dscnt 0x0
	v_pk_mul_f32 v[40:41], v[38:39], v[36:37] op_sel:[1,1] op_sel_hi:[0,1]
	s_delay_alu instid0(VALU_DEP_1) | instskip(SKIP_1) | instid1(VALU_DEP_2)
	v_pk_fma_f32 v[80:81], v[38:39], v[36:37], v[40:41] op_sel_hi:[1,0,1]
	v_pk_fma_f32 v[36:37], v[38:39], v[36:37], v[40:41] neg_lo:[0,0,1] neg_hi:[0,0,1]
	v_mov_b32_e32 v37, v81
	s_delay_alu instid0(VALU_DEP_1)
	v_pk_add_f32 v[36:37], v[36:37], 0 op_sel_hi:[1,0]
	s_and_saveexec_b32 s8, s15
	s_cbranch_execz .LBB148_979
; %bb.978:                              ;   in Loop: Header=BB148_3 Depth=1
	ds_load_b64 v[38:39], v45 offset:1536
	ds_load_b64 v[40:41], v5 offset:1560
	s_wait_dscnt 0x0
	v_pk_mul_f32 v[80:81], v[40:41], v[38:39] op_sel:[1,1] op_sel_hi:[0,1]
	s_delay_alu instid0(VALU_DEP_1) | instskip(SKIP_1) | instid1(VALU_DEP_2)
	v_pk_fma_f32 v[82:83], v[40:41], v[38:39], v[80:81] op_sel_hi:[1,0,1]
	v_pk_fma_f32 v[38:39], v[40:41], v[38:39], v[80:81] neg_lo:[0,0,1] neg_hi:[0,0,1]
	v_mov_b32_e32 v39, v83
	s_delay_alu instid0(VALU_DEP_1)
	v_pk_add_f32 v[36:37], v[36:37], v[38:39]
.LBB148_979:                            ;   in Loop: Header=BB148_3 Depth=1
	s_or_b32 exec_lo, exec_lo, s8
.LBB148_980:                            ;   in Loop: Header=BB148_3 Depth=1
	s_delay_alu instid0(SALU_CYCLE_1)
	s_or_b32 exec_lo, exec_lo, s6
	s_and_saveexec_b32 s6, vcc_hi
	s_cbranch_execz .LBB148_982
; %bb.981:                              ;   in Loop: Header=BB148_3 Depth=1
	ds_load_b64 v[38:39], v5 offset:520
	s_wait_dscnt 0x0
	v_pk_mul_f32 v[40:41], v[36:37], v[38:39] op_sel:[1,1] op_sel_hi:[1,0]
	s_delay_alu instid0(VALU_DEP_1) | instskip(SKIP_1) | instid1(VALU_DEP_2)
	v_pk_fma_f32 v[80:81], v[36:37], v[38:39], v[40:41] op_sel_hi:[0,1,1]
	v_pk_fma_f32 v[36:37], v[36:37], v[38:39], v[40:41] neg_lo:[0,0,1] neg_hi:[0,0,1]
	v_mov_b32_e32 v37, v81
	s_delay_alu instid0(VALU_DEP_1)
	v_pk_add_f32 v[38:39], v[36:37], 0 neg_lo:[1,1] neg_hi:[1,1]
	ds_store_b64 v3, v[38:39]
.LBB148_982:                            ;   in Loop: Header=BB148_3 Depth=1
	s_or_b32 exec_lo, exec_lo, s6
	s_wait_loadcnt_dscnt 0x0
	s_barrier_signal -1
	s_barrier_wait -1
	s_and_saveexec_b32 s6, s43
	s_cbranch_execz .LBB148_984
; %bb.983:                              ;   in Loop: Header=BB148_3 Depth=1
	ds_load_b64 v[38:39], v5 offset:512
	ds_load_b64 v[40:41], v3
	s_wait_dscnt 0x0
	v_pk_mul_f32 v[80:81], v[40:41], v[38:39] op_sel:[1,1] op_sel_hi:[0,1]
	s_delay_alu instid0(VALU_DEP_1) | instskip(SKIP_1) | instid1(VALU_DEP_2)
	v_pk_fma_f32 v[82:83], v[40:41], v[38:39], v[80:81] op_sel_hi:[1,0,1]
	v_pk_fma_f32 v[38:39], v[40:41], v[38:39], v[80:81] neg_lo:[0,0,1] neg_hi:[0,0,1]
	v_mov_b32_e32 v39, v83
	s_delay_alu instid0(VALU_DEP_1)
	v_pk_add_f32 v[36:37], v[36:37], v[38:39] neg_lo:[0,1] neg_hi:[0,1]
.LBB148_984:                            ;   in Loop: Header=BB148_3 Depth=1
	s_or_b32 exec_lo, exec_lo, s6
	s_barrier_signal -1
	s_barrier_wait -1
	s_and_saveexec_b32 s6, s43
	s_cbranch_execz .LBB148_986
; %bb.985:                              ;   in Loop: Header=BB148_3 Depth=1
	ds_load_b64 v[38:39], v5
	s_wait_dscnt 0x0
	v_pk_mul_f32 v[40:41], v[36:37], v[38:39] op_sel:[1,1] op_sel_hi:[1,0]
	s_delay_alu instid0(VALU_DEP_1) | instskip(SKIP_1) | instid1(VALU_DEP_2)
	v_pk_fma_f32 v[80:81], v[36:37], v[38:39], v[40:41] op_sel_hi:[0,1,1]
	v_pk_fma_f32 v[36:37], v[36:37], v[38:39], v[40:41] neg_lo:[0,0,1] neg_hi:[0,0,1]
	v_mov_b32_e32 v37, v81
	s_delay_alu instid0(VALU_DEP_1)
	v_pk_add_f32 v[38:39], v[36:37], 0 neg_lo:[1,1] neg_hi:[1,1]
	ds_store_b64 v3, v[38:39]
.LBB148_986:                            ;   in Loop: Header=BB148_3 Depth=1
	s_or_b32 exec_lo, exec_lo, s6
	s_wait_dscnt 0x0
	s_barrier_signal -1
	s_barrier_wait -1
	s_barrier_signal -1
	s_barrier_wait -1
	s_and_saveexec_b32 s6, s1
; %bb.987:                              ;   in Loop: Header=BB148_3 Depth=1
	ds_store_b64 v46, v[36:37] offset:1536
; %bb.988:                              ;   in Loop: Header=BB148_3 Depth=1
	s_or_b32 exec_lo, exec_lo, s6
	s_wait_dscnt 0x0
	s_barrier_signal -1
	s_barrier_wait -1
	s_barrier_signal -1
	s_barrier_wait -1
	s_and_saveexec_b32 s6, s14
	s_cbranch_execz .LBB148_990
; %bb.989:                              ;   in Loop: Header=BB148_3 Depth=1
	ds_load_2addr_stride64_b64 v[36:39], v5 offset1:1
	ds_load_b64 v[40:41], v5 offset:520
	s_wait_dscnt 0x0
	v_dual_mul_f32 v79, v41, v37 :: v_dual_mul_f32 v80, v40, v37
	s_delay_alu instid0(VALU_DEP_1) | instskip(NEXT) | instid1(VALU_DEP_1)
	v_xor_b32_e32 v82, 0x80000000, v79
	v_dual_fmac_f32 v80, v41, v36 :: v_dual_fmac_f32 v82, v40, v36
	s_delay_alu instid0(VALU_DEP_1) | instskip(NEXT) | instid1(VALU_DEP_1)
	v_pk_mul_f32 v[36:37], v[80:81], v[38:39] op_sel:[0,1] op_sel_hi:[0,0]
	v_pk_fma_f32 v[40:41], v[82:83], v[38:39], v[36:37] op_sel_hi:[0,1,1]
	v_pk_fma_f32 v[36:37], v[82:83], v[38:39], v[36:37] neg_lo:[0,0,1] neg_hi:[0,0,1]
	s_delay_alu instid0(VALU_DEP_2)
	v_mov_b32_e32 v37, v41
	ds_store_b64 v5, v[36:37] offset:512
.LBB148_990:                            ;   in Loop: Header=BB148_3 Depth=1
	s_or_b32 exec_lo, exec_lo, s6
.LBB148_991:                            ;   in Loop: Header=BB148_3 Depth=1
	v_add_nc_u64_e32 v[34:35], s[76:77], v[34:35]
	v_mov_b64_e32 v[36:37], 0
	s_wait_dscnt 0x0
	s_barrier_signal -1
	s_barrier_wait -1
	s_and_saveexec_b32 s6, s69
	s_cbranch_execz .LBB148_993
; %bb.992:                              ;   in Loop: Header=BB148_3 Depth=1
	v_lshl_add_u64 v[36:37], v[24:25], 3, v[34:35]
	flat_load_b64 v[36:37], v[36:37]
	s_wait_loadcnt_dscnt 0x0
	v_pk_mul_f32 v[38:39], v[32:33], v[36:37] op_sel:[1,0] neg_lo:[1,0]
	s_delay_alu instid0(VALU_DEP_1)
	v_pk_fma_f32 v[36:37], v[32:33], v[36:37], v[38:39] op_sel:[0,0,1] op_sel_hi:[0,1,0] neg_lo:[1,0,0] neg_hi:[1,0,0]
.LBB148_993:                            ;   in Loop: Header=BB148_3 Depth=1
	s_or_b32 exec_lo, exec_lo, s6
	s_delay_alu instid0(SALU_CYCLE_1)
	s_and_not1_b32 vcc_lo, exec_lo, s12
	s_cbranch_vccnz .LBB148_1012
; %bb.994:                              ;   in Loop: Header=BB148_3 Depth=1
	v_lshl_add_u64 v[30:31], v[6:7], 3, v[30:31]
	v_mov_b32_e32 v40, -1
	s_lshl_b64 s[98:99], s[84:85], 2
	s_mov_b32 s8, 0
	s_add_nc_u64 s[98:99], s[90:91], s[98:99]
	s_branch .LBB148_996
.LBB148_995:                            ;   in Loop: Header=BB148_996 Depth=2
	s_or_b32 exec_lo, exec_lo, s6
	s_add_co_i32 s8, s8, 1
	s_delay_alu instid0(SALU_CYCLE_1)
	s_cmp_eq_u32 s8, s100
	s_cbranch_scc1 .LBB148_1012
.LBB148_996:                            ;   Parent Loop BB148_3 Depth=1
                                        ; =>  This Loop Header: Depth=2
                                        ;       Child Loop BB148_998 Depth 3
	v_cmp_gt_i32_e32 vcc_lo, s8, v40
	s_and_b32 s10, s36, vcc_lo
	s_delay_alu instid0(SALU_CYCLE_1)
	s_and_saveexec_b32 s6, s10
	s_cbranch_execz .LBB148_999
; %bb.997:                              ;   in Loop: Header=BB148_996 Depth=2
	global_load_b32 v40, v5, s[98:99]
	s_wait_loadcnt 0x0
	v_cmp_le_i32_e32 vcc_lo, s8, v40
	s_cbranch_vccnz .LBB148_999
.LBB148_998:                            ;   Parent Loop BB148_3 Depth=1
                                        ;     Parent Loop BB148_996 Depth=2
                                        ; =>    This Inner Loop Header: Depth=3
	global_wb scope:SCOPE_DEV
	s_wait_storecnt 0x0
	global_inv scope:SCOPE_DEV
	global_load_b32 v40, v5, s[98:99]
	s_wait_loadcnt 0x0
	v_cmp_gt_i32_e32 vcc_lo, s8, v40
	s_cbranch_vccnz .LBB148_998
.LBB148_999:                            ;   in Loop: Header=BB148_996 Depth=2
	s_or_b32 exec_lo, exec_lo, s6
	s_sub_co_i32 s6, s101, s8
	global_wb scope:SCOPE_DEV
	s_wait_storecnt 0x0
	global_inv scope:SCOPE_DEV
	s_lshl_b32 s70, s6, 6
	s_wait_loadcnt 0x0
	s_barrier_signal -1
	s_barrier_wait -1
	s_and_saveexec_b32 s10, s37
	s_cbranch_execz .LBB148_1004
; %bb.1000:                             ;   in Loop: Header=BB148_996 Depth=2
	s_ashr_i32 vcc_lo, s70, 31
	s_delay_alu instid0(SALU_CYCLE_1) | instskip(NEXT) | instid1(VALU_DEP_1)
	v_dual_mov_b32 v33, vcc_lo :: v_dual_bitop2_b32 v32, s70, v4 bitop3:0x54
	v_cmp_le_i64_e32 vcc_lo, s[86:87], v[32:33]
	s_and_saveexec_b32 s13, vcc_lo
	s_delay_alu instid0(SALU_CYCLE_1)
	s_xor_b32 vcc_lo, exec_lo, s13
; %bb.1001:                             ;   in Loop: Header=BB148_996 Depth=2
	ds_store_b64 v70, v[26:27]
                                        ; implicit-def: $vgpr32_vgpr33
; %bb.1002:                             ;   in Loop: Header=BB148_996 Depth=2
	s_and_not1_saveexec_b32 s13, vcc_lo
	s_cbranch_execz .LBB148_1004
; %bb.1003:                             ;   in Loop: Header=BB148_996 Depth=2
	v_mul_u64_e32 v[32:33], s[78:79], v[32:33]
	s_delay_alu instid0(VALU_DEP_1)
	v_lshl_add_u64 v[32:33], v[32:33], 3, v[34:35]
	flat_load_b64 v[32:33], v[32:33]
	s_wait_loadcnt_dscnt 0x0
	ds_store_b64 v70, v[32:33]
.LBB148_1004:                           ;   in Loop: Header=BB148_996 Depth=2
	s_or_b32 exec_lo, exec_lo, s10
	v_add_nc_u32_e32 v32, s70, v42
	s_cmp_eq_u32 s6, s11
	s_wait_dscnt 0x0
	s_cselect_b32 vcc_lo, -1, 0
	s_barrier_signal -1
	v_ashrrev_i32_e32 v33, 31, v32
	v_cmp_gt_i32_e64 s70, s86, v32
	s_barrier_wait -1
	s_delay_alu instid0(VALU_DEP_2) | instskip(SKIP_1) | instid1(VALU_DEP_1)
	v_mul_u64_e32 v[38:39], s[88:89], v[32:33]
	s_and_b32 s10, s0, s70
	v_lshl_add_u64 v[38:39], v[38:39], 3, v[30:31]
	s_and_saveexec_b32 s6, s10
	s_cbranch_execz .LBB148_1006
; %bb.1005:                             ;   in Loop: Header=BB148_996 Depth=2
	s_delay_alu instid0(VALU_DEP_1) | instskip(SKIP_4) | instid1(VALU_DEP_1)
	v_dual_cndmask_b32 v81, v39, v19 :: v_dual_cndmask_b32 v80, v38, v18
	ds_load_b64 v[82:83], v69
	flat_load_b64 v[80:81], v[80:81]
	s_wait_loadcnt_dscnt 0x0
	v_dual_mul_f32 v33, v83, v81 :: v_dual_mul_f32 v41, v82, v81
	v_fmac_f32_e32 v41, v83, v80
	s_delay_alu instid0(VALU_DEP_1) | instskip(NEXT) | instid1(VALU_DEP_1)
	v_dual_fma_f32 v33, v82, v80, -v33 :: v_dual_add_f32 v37, v37, v41
	v_add_f32_e32 v36, v36, v33
.LBB148_1006:                           ;   in Loop: Header=BB148_996 Depth=2
	s_or_b32 exec_lo, exec_lo, s6
	v_add_nc_u32_e32 v33, 16, v32
	s_delay_alu instid0(VALU_DEP_1) | instskip(SKIP_1) | instid1(SALU_CYCLE_1)
	v_cmp_gt_i32_e64 s70, s86, v33
	s_and_b32 s10, s0, s70
	s_and_saveexec_b32 s6, s10
	s_cbranch_execz .LBB148_1008
; %bb.1007:                             ;   in Loop: Header=BB148_996 Depth=2
	v_add_nc_u64_e32 v[80:81], s[92:93], v[38:39]
	ds_load_b64 v[82:83], v69 offset:128
	v_dual_cndmask_b32 v81, v81, v21 :: v_dual_cndmask_b32 v80, v80, v20
	flat_load_b64 v[80:81], v[80:81]
	s_wait_loadcnt_dscnt 0x0
	v_dual_mul_f32 v33, v83, v81 :: v_dual_mul_f32 v41, v82, v81
	s_delay_alu instid0(VALU_DEP_1) | instskip(NEXT) | instid1(VALU_DEP_1)
	v_fmac_f32_e32 v41, v83, v80
	v_dual_fma_f32 v33, v82, v80, -v33 :: v_dual_add_f32 v37, v37, v41
	s_delay_alu instid0(VALU_DEP_1)
	v_add_f32_e32 v36, v36, v33
.LBB148_1008:                           ;   in Loop: Header=BB148_996 Depth=2
	s_or_b32 exec_lo, exec_lo, s6
	v_add_nc_u32_e32 v33, 32, v32
	s_delay_alu instid0(VALU_DEP_1) | instskip(SKIP_1) | instid1(SALU_CYCLE_1)
	v_cmp_gt_i32_e64 s70, s86, v33
	s_and_b32 s10, s0, s70
	s_and_saveexec_b32 s6, s10
	s_cbranch_execz .LBB148_1010
; %bb.1009:                             ;   in Loop: Header=BB148_996 Depth=2
	v_add_nc_u64_e32 v[80:81], s[94:95], v[38:39]
	ds_load_b64 v[82:83], v69 offset:256
	v_dual_cndmask_b32 v81, v81, v23 :: v_dual_cndmask_b32 v80, v80, v22
	flat_load_b64 v[80:81], v[80:81]
	s_wait_loadcnt_dscnt 0x0
	v_dual_mul_f32 v33, v83, v81 :: v_dual_mul_f32 v85, v82, v81
	s_delay_alu instid0(VALU_DEP_1) | instskip(NEXT) | instid1(VALU_DEP_2)
	v_fma_f32 v84, v82, v80, -v33
	v_fmac_f32_e32 v85, v83, v80
	s_delay_alu instid0(VALU_DEP_1)
	v_pk_add_f32 v[36:37], v[36:37], v[84:85]
.LBB148_1010:                           ;   in Loop: Header=BB148_996 Depth=2
	s_or_b32 exec_lo, exec_lo, s6
	v_add_nc_u32_e32 v32, 48, v32
	s_delay_alu instid0(VALU_DEP_1) | instskip(SKIP_1) | instid1(SALU_CYCLE_1)
	v_cmp_gt_i32_e64 s70, s86, v32
	s_and_b32 s10, s0, s70
	s_and_saveexec_b32 s6, s10
	s_cbranch_execz .LBB148_995
; %bb.1011:                             ;   in Loop: Header=BB148_996 Depth=2
	v_add_nc_u64_e32 v[32:33], s[96:97], v[38:39]
	ds_load_b64 v[38:39], v69 offset:384
	v_dual_cndmask_b32 v33, v33, v29 :: v_dual_cndmask_b32 v32, v32, v28
	flat_load_b64 v[32:33], v[32:33]
	s_wait_loadcnt_dscnt 0x0
	v_pk_mul_f32 v[80:81], v[38:39], v[32:33] op_sel:[1,1] op_sel_hi:[0,1]
	s_delay_alu instid0(VALU_DEP_1) | instskip(SKIP_1) | instid1(VALU_DEP_2)
	v_pk_fma_f32 v[82:83], v[38:39], v[32:33], v[80:81] op_sel_hi:[1,0,1]
	v_pk_fma_f32 v[32:33], v[38:39], v[32:33], v[80:81] neg_lo:[0,0,1] neg_hi:[0,0,1]
	v_mov_b32_e32 v33, v83
	s_delay_alu instid0(VALU_DEP_1)
	v_pk_add_f32 v[36:37], v[36:37], v[32:33]
	s_branch .LBB148_995
.LBB148_1012:                           ;   in Loop: Header=BB148_3 Depth=1
	ds_store_b64 v71, v[36:37]
	s_wait_dscnt 0x0
	s_barrier_signal -1
	s_barrier_wait -1
	s_and_saveexec_b32 s6, s5
	s_cbranch_execz .LBB148_1014
; %bb.1013:                             ;   in Loop: Header=BB148_3 Depth=1
	ds_load_2addr_stride64_b64 v[30:33], v72 offset0:1 offset1:2
	ds_load_2addr_stride64_b64 v[38:41], v72 offset0:3 offset1:4
	;; [unrolled: 1-line block ×3, first 2 shown]
	s_wait_dscnt 0x2
	v_pk_add_f32 v[30:31], v[36:37], v[30:31]
	s_delay_alu instid0(VALU_DEP_1) | instskip(SKIP_3) | instid1(VALU_DEP_1)
	v_pk_add_f32 v[36:37], v[30:31], v[32:33]
	ds_load_2addr_stride64_b64 v[30:33], v72 offset0:7 offset1:8
	s_wait_dscnt 0x2
	v_pk_add_f32 v[36:37], v[36:37], v[38:39]
	v_pk_add_f32 v[40:41], v[36:37], v[40:41]
	ds_load_2addr_stride64_b64 v[36:39], v72 offset0:9 offset1:10
	s_wait_dscnt 0x2
	v_pk_add_f32 v[40:41], v[40:41], v[80:81]
	s_delay_alu instid0(VALU_DEP_1) | instskip(SKIP_3) | instid1(VALU_DEP_1)
	v_pk_add_f32 v[40:41], v[40:41], v[82:83]
	ds_load_2addr_stride64_b64 v[80:83], v72 offset0:11 offset1:12
	s_wait_dscnt 0x2
	v_pk_add_f32 v[30:31], v[40:41], v[30:31]
	v_pk_add_f32 v[40:41], v[30:31], v[32:33]
	ds_load_2addr_stride64_b64 v[30:33], v72 offset0:13 offset1:14
	s_wait_dscnt 0x2
	v_pk_add_f32 v[36:37], v[40:41], v[36:37]
	s_delay_alu instid0(VALU_DEP_1) | instskip(SKIP_3) | instid1(VALU_DEP_1)
	v_pk_add_f32 v[36:37], v[36:37], v[38:39]
	ds_load_b64 v[38:39], v72 offset:7680
	s_wait_dscnt 0x2
	v_pk_add_f32 v[36:37], v[36:37], v[80:81]
	v_pk_add_f32 v[36:37], v[36:37], v[82:83]
	s_wait_dscnt 0x1
	s_delay_alu instid0(VALU_DEP_1) | instskip(NEXT) | instid1(VALU_DEP_1)
	v_pk_add_f32 v[30:31], v[36:37], v[30:31]
	v_pk_add_f32 v[30:31], v[30:31], v[32:33]
	s_wait_dscnt 0x0
	s_delay_alu instid0(VALU_DEP_1) | instskip(NEXT) | instid1(VALU_DEP_1)
	v_pk_add_f32 v[30:31], v[30:31], v[38:39]
	v_cndmask_b32_e64 v37, -v31, 0, s68
	s_delay_alu instid0(VALU_DEP_2)
	v_cndmask_b32_e64 v36, -v30, 0, s68
.LBB148_1014:                           ;   in Loop: Header=BB148_3 Depth=1
	s_or_b32 exec_lo, exec_lo, s6
	s_delay_alu instid0(SALU_CYCLE_1)
	s_and_not1_b32 vcc_lo, exec_lo, s104
	s_cbranch_vccnz .LBB148_1027
; %bb.1015:                             ;   in Loop: Header=BB148_3 Depth=1
	s_and_saveexec_b32 s6, s5
; %bb.1016:                             ;   in Loop: Header=BB148_3 Depth=1
	ds_store_b64 v74, v[36:37]
; %bb.1017:                             ;   in Loop: Header=BB148_3 Depth=1
	s_or_b32 exec_lo, exec_lo, s6
	v_mov_b64_e32 v[30:31], 0
	s_wait_dscnt 0x0
	s_barrier_signal -1
	s_barrier_wait -1
	s_mov_b32 s6, exec_lo
	v_readlane_b32 s8, v89, 9
	s_and_b32 s8, s6, s8
	s_delay_alu instid0(SALU_CYCLE_1)
	s_mov_b32 exec_lo, s8
	s_cbranch_execz .LBB148_1019
; %bb.1018:                             ;   in Loop: Header=BB148_3 Depth=1
	ds_load_b64 v[30:31], v73
	ds_load_b64 v[32:33], v69
	s_wait_dscnt 0x0
	v_dual_mul_f32 v38, v33, v31 :: v_dual_mul_f32 v31, v32, v31
	s_delay_alu instid0(VALU_DEP_1) | instskip(NEXT) | instid1(VALU_DEP_1)
	v_dual_fma_f32 v32, v32, v30, -v38 :: v_dual_fmac_f32 v31, v33, v30
	v_dual_add_f32 v30, 0, v32 :: v_dual_add_f32 v31, 0, v31
.LBB148_1019:                           ;   in Loop: Header=BB148_3 Depth=1
	s_or_b32 exec_lo, exec_lo, s6
	s_delay_alu instid0(SALU_CYCLE_1) | instskip(SKIP_2) | instid1(SALU_CYCLE_1)
	s_mov_b32 s6, exec_lo
	v_readlane_b32 s8, v89, 10
	s_and_b32 s8, s6, s8
	s_mov_b32 exec_lo, s8
	s_cbranch_execz .LBB148_1021
; %bb.1020:                             ;   in Loop: Header=BB148_3 Depth=1
	ds_load_b64 v[32:33], v73 offset:8192
	ds_load_b64 v[38:39], v69 offset:128
	s_wait_dscnt 0x0
	v_dual_mul_f32 v40, v39, v33 :: v_dual_mul_f32 v41, v38, v33
	s_delay_alu instid0(VALU_DEP_1) | instskip(NEXT) | instid1(VALU_DEP_1)
	v_dual_fma_f32 v40, v38, v32, -v40 :: v_dual_fmac_f32 v41, v39, v32
	v_pk_add_f32 v[30:31], v[30:31], v[40:41]
.LBB148_1021:                           ;   in Loop: Header=BB148_3 Depth=1
	s_or_b32 exec_lo, exec_lo, s6
	s_delay_alu instid0(SALU_CYCLE_1) | instskip(SKIP_2) | instid1(SALU_CYCLE_1)
	s_mov_b32 s6, exec_lo
	v_readlane_b32 s8, v89, 11
	s_and_b32 s8, s6, s8
	s_mov_b32 exec_lo, s8
	s_cbranch_execz .LBB148_1023
; %bb.1022:                             ;   in Loop: Header=BB148_3 Depth=1
	ds_load_b64 v[32:33], v73 offset:16384
	ds_load_b64 v[38:39], v69 offset:256
	s_wait_dscnt 0x0
	v_pk_mul_f32 v[40:41], v[38:39], v[32:33] op_sel:[1,1] op_sel_hi:[0,1]
	s_delay_alu instid0(VALU_DEP_1) | instskip(SKIP_1) | instid1(VALU_DEP_2)
	v_pk_fma_f32 v[80:81], v[38:39], v[32:33], v[40:41] op_sel_hi:[1,0,1]
	v_pk_fma_f32 v[32:33], v[38:39], v[32:33], v[40:41] neg_lo:[0,0,1] neg_hi:[0,0,1]
	v_mov_b32_e32 v33, v81
	s_delay_alu instid0(VALU_DEP_1)
	v_pk_add_f32 v[30:31], v[30:31], v[32:33]
.LBB148_1023:                           ;   in Loop: Header=BB148_3 Depth=1
	s_or_b32 exec_lo, exec_lo, s6
	s_delay_alu instid0(SALU_CYCLE_1) | instskip(SKIP_2) | instid1(SALU_CYCLE_1)
	s_mov_b32 s6, exec_lo
	v_readlane_b32 s8, v89, 12
	s_and_b32 s8, s6, s8
	s_mov_b32 exec_lo, s8
	s_cbranch_execz .LBB148_1025
; %bb.1024:                             ;   in Loop: Header=BB148_3 Depth=1
	ds_load_b64 v[32:33], v73 offset:24576
	ds_load_b64 v[38:39], v69 offset:384
	s_wait_dscnt 0x0
	v_pk_mul_f32 v[40:41], v[38:39], v[32:33] op_sel:[1,1] op_sel_hi:[0,1]
	s_delay_alu instid0(VALU_DEP_1) | instskip(SKIP_1) | instid1(VALU_DEP_2)
	v_pk_fma_f32 v[80:81], v[38:39], v[32:33], v[40:41] op_sel_hi:[1,0,1]
	v_pk_fma_f32 v[32:33], v[38:39], v[32:33], v[40:41] neg_lo:[0,0,1] neg_hi:[0,0,1]
	v_mov_b32_e32 v33, v81
	s_delay_alu instid0(VALU_DEP_1)
	v_pk_add_f32 v[30:31], v[30:31], v[32:33]
.LBB148_1025:                           ;   in Loop: Header=BB148_3 Depth=1
	s_or_b32 exec_lo, exec_lo, s6
	s_mov_b32 s8, 0
	s_mov_b32 s70, 0
	ds_store_b64 v71, v[30:31]
	s_wait_dscnt 0x0
	s_barrier_signal -1
	s_barrier_wait -1
                                        ; implicit-def: $vgpr32_vgpr33
	s_and_saveexec_b32 s6, s5
	s_cbranch_execz .LBB148_1044
; %bb.1026:                             ;   in Loop: Header=BB148_3 Depth=1
	ds_load_2addr_stride64_b64 v[38:41], v72 offset0:1 offset1:2
	ds_load_2addr_stride64_b64 v[80:83], v72 offset0:3 offset1:4
	;; [unrolled: 1-line block ×3, first 2 shown]
	s_mov_b32 s70, exec_lo
	s_wait_dscnt 0x2
	v_pk_add_f32 v[30:31], v[30:31], v[38:39]
	s_delay_alu instid0(VALU_DEP_1) | instskip(SKIP_3) | instid1(VALU_DEP_1)
	v_pk_add_f32 v[38:39], v[30:31], v[40:41]
	ds_load_2addr_stride64_b64 v[30:33], v72 offset0:7 offset1:8
	s_wait_dscnt 0x2
	v_pk_add_f32 v[38:39], v[38:39], v[80:81]
	v_pk_add_f32 v[80:81], v[38:39], v[82:83]
	ds_load_2addr_stride64_b64 v[38:41], v72 offset0:9 offset1:10
	s_wait_dscnt 0x2
	v_pk_add_f32 v[80:81], v[80:81], v[84:85]
	s_delay_alu instid0(VALU_DEP_1) | instskip(SKIP_3) | instid1(VALU_DEP_1)
	v_pk_add_f32 v[84:85], v[80:81], v[86:87]
	ds_load_2addr_stride64_b64 v[80:83], v72 offset0:11 offset1:12
	s_wait_dscnt 0x2
	v_pk_add_f32 v[30:31], v[84:85], v[30:31]
	v_pk_add_f32 v[30:31], v[30:31], v[32:33]
	s_wait_dscnt 0x1
	s_delay_alu instid0(VALU_DEP_1)
	v_pk_add_f32 v[38:39], v[30:31], v[38:39]
	ds_load_2addr_stride64_b64 v[30:33], v72 offset0:13 offset1:14
	v_pk_add_f32 v[38:39], v[38:39], v[40:41]
	ds_load_b64 v[40:41], v72 offset:7680
	s_wait_dscnt 0x2
	v_pk_add_f32 v[38:39], v[38:39], v[80:81]
	s_delay_alu instid0(VALU_DEP_1) | instskip(SKIP_1) | instid1(VALU_DEP_1)
	v_pk_add_f32 v[38:39], v[38:39], v[82:83]
	s_wait_dscnt 0x1
	v_pk_add_f32 v[30:31], v[38:39], v[30:31]
	s_delay_alu instid0(VALU_DEP_1) | instskip(SKIP_1) | instid1(VALU_DEP_1)
	v_pk_add_f32 v[30:31], v[30:31], v[32:33]
	s_wait_dscnt 0x0
	v_pk_add_f32 v[32:33], v[30:31], v[40:41]
	s_or_b32 exec_lo, exec_lo, s6
	s_delay_alu instid0(SALU_CYCLE_1)
	s_and_b32 vcc_lo, exec_lo, s8
	s_cbranch_vccnz .LBB148_1028
	s_branch .LBB148_1045
.LBB148_1027:                           ;   in Loop: Header=BB148_3 Depth=1
	s_mov_b32 s70, 0
                                        ; implicit-def: $vgpr32_vgpr33
	s_cbranch_execz .LBB148_1045
.LBB148_1028:                           ;   in Loop: Header=BB148_3 Depth=1
	v_mov_b32_e32 v30, v65
	s_mov_b32 s8, 63
	s_branch .LBB148_1030
.LBB148_1029:                           ;   in Loop: Header=BB148_1030 Depth=2
	s_or_b32 exec_lo, exec_lo, s6
	v_add_nc_u32_e32 v30, 0xfffffc00, v30
	s_add_co_i32 s8, s8, -2
	s_cmp_lg_u32 s98, 0
	s_barrier_signal -1
	s_barrier_wait -1
	s_cbranch_scc0 .LBB148_1038
.LBB148_1030:                           ;   Parent Loop BB148_3 Depth=1
                                        ; =>  This Inner Loop Header: Depth=2
	s_delay_alu instid0(VALU_DEP_1) | instskip(SKIP_1) | instid1(SALU_CYCLE_1)
	v_cmp_eq_u32_e32 vcc_lo, 0xffff8200, v30
	s_and_b32 s10, s5, vcc_lo
	s_and_saveexec_b32 s6, s10
	s_cbranch_execz .LBB148_1032
; %bb.1031:                             ;   in Loop: Header=BB148_1030 Depth=2
	ds_load_b64 v[32:33], v64
	s_wait_dscnt 0x0
	v_pk_mul_f32 v[38:39], v[36:37], v[32:33] op_sel:[1,1] op_sel_hi:[1,0]
	s_delay_alu instid0(VALU_DEP_1) | instskip(SKIP_1) | instid1(VALU_DEP_2)
	v_pk_fma_f32 v[40:41], v[36:37], v[32:33], v[38:39] op_sel_hi:[0,1,1]
	v_pk_fma_f32 v[32:33], v[36:37], v[32:33], v[38:39] neg_lo:[0,0,1] neg_hi:[0,0,1]
	v_mov_b32_e32 v33, v41
	s_delay_alu instid0(VALU_DEP_1)
	v_mov_b64_e32 v[36:37], v[32:33]
	ds_store_b64 v5, v[32:33] offset:41472
.LBB148_1032:                           ;   in Loop: Header=BB148_1030 Depth=2
	s_or_b32 exec_lo, exec_lo, s6
	v_cmp_gt_u32_e32 vcc_lo, s8, v2
	v_add_nc_u32_e32 v31, v68, v30
	s_wait_dscnt 0x0
	s_barrier_signal -1
	s_barrier_wait -1
	s_and_b32 s10, s5, vcc_lo
	s_delay_alu instid0(SALU_CYCLE_1)
	s_and_saveexec_b32 s6, s10
	s_cbranch_execz .LBB148_1034
; %bb.1033:                             ;   in Loop: Header=BB148_1030 Depth=2
	ds_load_b64 v[32:33], v31 offset:512
	ds_load_b64 v[38:39], v5 offset:41472
	s_wait_dscnt 0x0
	v_pk_mul_f32 v[40:41], v[38:39], v[32:33] op_sel:[1,1] op_sel_hi:[0,1]
	s_delay_alu instid0(VALU_DEP_1) | instskip(SKIP_1) | instid1(VALU_DEP_2)
	v_pk_fma_f32 v[80:81], v[38:39], v[32:33], v[40:41] op_sel_hi:[1,0,1]
	v_pk_fma_f32 v[32:33], v[38:39], v[32:33], v[40:41] neg_lo:[0,0,1] neg_hi:[0,0,1]
	v_mov_b32_e32 v33, v81
	s_delay_alu instid0(VALU_DEP_1)
	v_pk_add_f32 v[36:37], v[36:37], v[32:33]
.LBB148_1034:                           ;   in Loop: Header=BB148_1030 Depth=2
	s_or_b32 exec_lo, exec_lo, s6
	s_add_co_i32 s98, s8, -1
	s_delay_alu instid0(SALU_CYCLE_1) | instskip(SKIP_3) | instid1(SALU_CYCLE_1)
	v_cmp_eq_u32_e32 vcc_lo, s98, v2
	s_barrier_signal -1
	s_barrier_wait -1
	s_and_b32 s10, s5, vcc_lo
	s_and_saveexec_b32 s6, s10
	s_cbranch_execz .LBB148_1036
; %bb.1035:                             ;   in Loop: Header=BB148_1030 Depth=2
	ds_load_b64 v[32:33], v64
	s_wait_dscnt 0x0
	v_pk_mul_f32 v[38:39], v[36:37], v[32:33] op_sel:[1,1] op_sel_hi:[1,0]
	s_delay_alu instid0(VALU_DEP_1) | instskip(SKIP_1) | instid1(VALU_DEP_2)
	v_pk_fma_f32 v[40:41], v[36:37], v[32:33], v[38:39] op_sel_hi:[0,1,1]
	v_pk_fma_f32 v[32:33], v[36:37], v[32:33], v[38:39] neg_lo:[0,0,1] neg_hi:[0,0,1]
	v_mov_b32_e32 v33, v41
	s_delay_alu instid0(VALU_DEP_1)
	v_mov_b64_e32 v[36:37], v[32:33]
	ds_store_b64 v5, v[32:33] offset:41472
.LBB148_1036:                           ;   in Loop: Header=BB148_1030 Depth=2
	s_or_b32 exec_lo, exec_lo, s6
	v_cmp_gt_u32_e32 vcc_lo, s98, v2
	s_wait_dscnt 0x0
	s_barrier_signal -1
	s_barrier_wait -1
	s_and_b32 s10, s5, vcc_lo
	s_delay_alu instid0(SALU_CYCLE_1)
	s_and_saveexec_b32 s6, s10
	s_cbranch_execz .LBB148_1029
; %bb.1037:                             ;   in Loop: Header=BB148_1030 Depth=2
	ds_load_b64 v[32:33], v31
	ds_load_b64 v[38:39], v5 offset:41472
	s_wait_dscnt 0x0
	v_pk_mul_f32 v[40:41], v[38:39], v[32:33] op_sel:[1,1] op_sel_hi:[0,1]
	s_delay_alu instid0(VALU_DEP_1) | instskip(SKIP_1) | instid1(VALU_DEP_2)
	v_pk_fma_f32 v[80:81], v[38:39], v[32:33], v[40:41] op_sel_hi:[1,0,1]
	v_pk_fma_f32 v[32:33], v[38:39], v[32:33], v[40:41] neg_lo:[0,0,1] neg_hi:[0,0,1]
	v_mov_b32_e32 v33, v81
	s_delay_alu instid0(VALU_DEP_1)
	v_pk_add_f32 v[36:37], v[36:37], v[32:33]
	s_branch .LBB148_1029
.LBB148_1038:                           ;   in Loop: Header=BB148_3 Depth=1
	s_and_b32 vcc_lo, exec_lo, s102
	s_mov_b32 s6, -1
	s_cbranch_vccnz .LBB148_1046
; %bb.1039:                             ;   in Loop: Header=BB148_3 Depth=1
	s_and_not1_b32 vcc_lo, exec_lo, s6
	s_cbranch_vccz .LBB148_1047
.LBB148_1040:                           ;   in Loop: Header=BB148_3 Depth=1
	s_and_saveexec_b32 s6, s70
	s_cbranch_execz .LBB148_1042
.LBB148_1041:                           ;   in Loop: Header=BB148_3 Depth=1
	v_lshl_add_u64 v[30:31], v[0:1], 3, v[34:35]
	flat_store_b64 v[30:31], v[36:37]
.LBB148_1042:                           ;   in Loop: Header=BB148_3 Depth=1
	s_wait_xcnt 0x0
	s_or_b32 exec_lo, exec_lo, s6
	global_wb scope:SCOPE_DEV
	s_wait_storecnt_dscnt 0x0
	global_inv scope:SCOPE_DEV
	s_wait_loadcnt 0x0
	s_barrier_signal -1
	s_barrier_wait -1
	s_and_saveexec_b32 s6, s36
	s_cbranch_execz .LBB148_2
; %bb.1043:                             ;   in Loop: Header=BB148_3 Depth=1
	s_lshl_b64 s[98:99], s[84:85], 2
	s_delay_alu instid0(SALU_CYCLE_1)
	s_add_nc_u64 s[98:99], s[90:91], s[98:99]
	global_load_b32 v30, v5, s[98:99]
	s_wait_loadcnt 0x0
	v_add_nc_u32_e32 v30, 1, v30
	global_store_b32 v5, v30, s[98:99]
	s_branch .LBB148_2
.LBB148_1044:                           ;   in Loop: Header=BB148_3 Depth=1
	s_or_b32 exec_lo, exec_lo, s6
	s_delay_alu instid0(SALU_CYCLE_1)
	s_and_b32 vcc_lo, exec_lo, s8
	s_cbranch_vccnz .LBB148_1028
.LBB148_1045:                           ;   in Loop: Header=BB148_3 Depth=1
	v_mov_b64_e32 v[36:37], v[32:33]
	s_and_saveexec_b32 s6, s70
	s_cbranch_execnz .LBB148_1041
	s_branch .LBB148_1042
.LBB148_1046:                           ;   in Loop: Header=BB148_3 Depth=1
	s_and_not1_b32 s8, s70, exec_lo
	s_and_b32 s10, s5, exec_lo
	s_delay_alu instid0(SALU_CYCLE_1)
	s_or_b32 s70, s8, s10
	s_cbranch_execnz .LBB148_1040
.LBB148_1047:                           ;   in Loop: Header=BB148_3 Depth=1
	v_readlane_b32 s8, v90, 10
	s_and_not1_b32 s6, s70, exec_lo
	s_and_b32 s8, s8, exec_lo
	s_delay_alu instid0(SALU_CYCLE_1) | instskip(NEXT) | instid1(SALU_CYCLE_1)
	s_or_b32 s70, s6, s8
	s_and_saveexec_b32 s6, s70
	s_cbranch_execnz .LBB148_1041
	s_branch .LBB148_1042
.LBB148_1048:                           ;   in Loop: Header=BB148_3 Depth=1
	ds_load_b64 v[38:39], v48 offset:31680
	ds_load_b64 v[40:41], v49 offset:32744
	s_wait_dscnt 0x0
	v_dual_mul_f32 v79, v41, v39 :: v_dual_mul_f32 v39, v40, v39
	s_delay_alu instid0(VALU_DEP_1) | instskip(NEXT) | instid1(VALU_DEP_1)
	v_fmac_f32_e32 v39, v41, v38
	v_dual_fma_f32 v40, v40, v38, -v79 :: v_dual_add_f32 v37, v37, v39
	s_delay_alu instid0(VALU_DEP_1)
	v_add_f32_e32 v36, v36, v40
	s_or_b32 exec_lo, exec_lo, s6
	s_and_saveexec_b32 s6, s17
	s_cbranch_execz .LBB148_151
.LBB148_1049:                           ;   in Loop: Header=BB148_3 Depth=1
	ds_load_b64 v[38:39], v48 offset:32192
	ds_load_b64 v[40:41], v49 offset:32752
	s_wait_dscnt 0x0
	v_dual_mul_f32 v79, v41, v39 :: v_dual_mul_f32 v39, v40, v39
	s_delay_alu instid0(VALU_DEP_1) | instskip(NEXT) | instid1(VALU_DEP_1)
	v_fmac_f32_e32 v39, v41, v38
	v_dual_fma_f32 v40, v40, v38, -v79 :: v_dual_add_f32 v37, v37, v39
	s_delay_alu instid0(VALU_DEP_1)
	v_add_f32_e32 v36, v36, v40
	s_or_b32 exec_lo, exec_lo, s6
	s_and_saveexec_b32 s6, s1
	s_cbranch_execnz .LBB148_152
	s_branch .LBB148_153
.LBB148_1050:                           ;   in Loop: Header=BB148_3 Depth=1
	ds_load_b64 v[38:39], v52 offset:29568
	ds_load_b64 v[40:41], v53 offset:32712
	s_wait_dscnt 0x0
	v_dual_mul_f32 v79, v41, v39 :: v_dual_mul_f32 v39, v40, v39
	s_delay_alu instid0(VALU_DEP_1) | instskip(NEXT) | instid1(VALU_DEP_1)
	v_fmac_f32_e32 v39, v41, v38
	v_dual_fma_f32 v40, v40, v38, -v79 :: v_dual_add_f32 v37, v37, v39
	s_delay_alu instid0(VALU_DEP_1)
	v_add_f32_e32 v36, v36, v40
	s_or_b32 exec_lo, exec_lo, s6
	s_and_saveexec_b32 s6, s19
	s_cbranch_execz .LBB148_189
.LBB148_1051:                           ;   in Loop: Header=BB148_3 Depth=1
	ds_load_b64 v[38:39], v52 offset:30080
	ds_load_b64 v[40:41], v53 offset:32720
	s_wait_dscnt 0x0
	v_dual_mul_f32 v79, v41, v39 :: v_dual_mul_f32 v39, v40, v39
	s_delay_alu instid0(VALU_DEP_1) | instskip(NEXT) | instid1(VALU_DEP_1)
	v_fmac_f32_e32 v39, v41, v38
	v_dual_fma_f32 v40, v40, v38, -v79 :: v_dual_add_f32 v37, v37, v39
	s_delay_alu instid0(VALU_DEP_1)
	v_add_f32_e32 v36, v36, v40
	s_or_b32 exec_lo, exec_lo, s6
	s_and_saveexec_b32 s6, s20
	s_cbranch_execz .LBB148_190
.LBB148_1052:                           ;   in Loop: Header=BB148_3 Depth=1
	ds_load_b64 v[38:39], v52 offset:30592
	ds_load_b64 v[40:41], v53 offset:32728
	s_wait_dscnt 0x0
	v_dual_mul_f32 v79, v41, v39 :: v_dual_mul_f32 v39, v40, v39
	s_delay_alu instid0(VALU_DEP_1) | instskip(NEXT) | instid1(VALU_DEP_1)
	v_fmac_f32_e32 v39, v41, v38
	v_dual_fma_f32 v40, v40, v38, -v79 :: v_dual_add_f32 v37, v37, v39
	s_delay_alu instid0(VALU_DEP_1)
	v_add_f32_e32 v36, v36, v40
	s_or_b32 exec_lo, exec_lo, s6
	s_and_saveexec_b32 s6, s21
	s_cbranch_execz .LBB148_191
.LBB148_1053:                           ;   in Loop: Header=BB148_3 Depth=1
	ds_load_b64 v[38:39], v52 offset:31104
	ds_load_b64 v[40:41], v53 offset:32736
	s_wait_dscnt 0x0
	v_dual_mul_f32 v79, v41, v39 :: v_dual_mul_f32 v39, v40, v39
	s_delay_alu instid0(VALU_DEP_1) | instskip(NEXT) | instid1(VALU_DEP_1)
	v_fmac_f32_e32 v39, v41, v38
	v_dual_fma_f32 v40, v40, v38, -v79 :: v_dual_add_f32 v37, v37, v39
	s_delay_alu instid0(VALU_DEP_1)
	v_add_f32_e32 v36, v36, v40
	s_or_b32 exec_lo, exec_lo, s6
	s_and_saveexec_b32 s6, s22
	s_cbranch_execz .LBB148_192
.LBB148_1054:                           ;   in Loop: Header=BB148_3 Depth=1
	ds_load_b64 v[38:39], v52 offset:31616
	ds_load_b64 v[40:41], v53 offset:32744
	s_wait_dscnt 0x0
	v_dual_mul_f32 v79, v41, v39 :: v_dual_mul_f32 v39, v40, v39
	s_delay_alu instid0(VALU_DEP_1) | instskip(NEXT) | instid1(VALU_DEP_1)
	v_fmac_f32_e32 v39, v41, v38
	v_dual_fma_f32 v40, v40, v38, -v79 :: v_dual_add_f32 v37, v37, v39
	s_delay_alu instid0(VALU_DEP_1)
	v_add_f32_e32 v36, v36, v40
	s_or_b32 exec_lo, exec_lo, s6
	s_and_saveexec_b32 s6, s2
	s_cbranch_execz .LBB148_193
.LBB148_1055:                           ;   in Loop: Header=BB148_3 Depth=1
	ds_load_b64 v[38:39], v52 offset:32128
	ds_load_b64 v[40:41], v53 offset:32752
	s_wait_dscnt 0x0
	v_dual_mul_f32 v79, v41, v39 :: v_dual_mul_f32 v39, v40, v39
	s_delay_alu instid0(VALU_DEP_1) | instskip(NEXT) | instid1(VALU_DEP_1)
	v_fmac_f32_e32 v39, v41, v38
	v_dual_fma_f32 v40, v40, v38, -v79 :: v_dual_add_f32 v37, v37, v39
	s_delay_alu instid0(VALU_DEP_1)
	v_add_f32_e32 v36, v36, v40
	s_or_b32 exec_lo, exec_lo, s6
	s_and_saveexec_b32 s6, s17
	s_cbranch_execnz .LBB148_194
	s_branch .LBB148_195
.LBB148_1056:                           ;   in Loop: Header=BB148_3 Depth=1
	ds_load_b64 v[38:39], v48 offset:27520
	ds_load_b64 v[40:41], v49 offset:28584
	s_wait_dscnt 0x0
	v_dual_mul_f32 v79, v41, v39 :: v_dual_mul_f32 v39, v40, v39
	s_delay_alu instid0(VALU_DEP_1) | instskip(NEXT) | instid1(VALU_DEP_1)
	v_fmac_f32_e32 v39, v41, v38
	v_dual_fma_f32 v40, v40, v38, -v79 :: v_dual_add_f32 v37, v37, v39
	s_delay_alu instid0(VALU_DEP_1)
	v_add_f32_e32 v36, v36, v40
	s_or_b32 exec_lo, exec_lo, s6
	s_and_saveexec_b32 s6, s17
	s_cbranch_execz .LBB148_247
.LBB148_1057:                           ;   in Loop: Header=BB148_3 Depth=1
	ds_load_b64 v[38:39], v48 offset:28032
	ds_load_b64 v[40:41], v49 offset:28592
	s_wait_dscnt 0x0
	v_dual_mul_f32 v79, v41, v39 :: v_dual_mul_f32 v39, v40, v39
	s_delay_alu instid0(VALU_DEP_1) | instskip(NEXT) | instid1(VALU_DEP_1)
	v_fmac_f32_e32 v39, v41, v38
	v_dual_fma_f32 v40, v40, v38, -v79 :: v_dual_add_f32 v37, v37, v39
	s_delay_alu instid0(VALU_DEP_1)
	v_add_f32_e32 v36, v36, v40
	s_or_b32 exec_lo, exec_lo, s6
	s_and_saveexec_b32 s6, s1
	s_cbranch_execnz .LBB148_248
	s_branch .LBB148_249
.LBB148_1058:                           ;   in Loop: Header=BB148_3 Depth=1
	ds_load_b64 v[38:39], v56 offset:30464
	ds_load_b64 v[40:41], v57 offset:32728
	s_wait_dscnt 0x0
	v_dual_mul_f32 v79, v41, v39 :: v_dual_mul_f32 v39, v40, v39
	s_delay_alu instid0(VALU_DEP_1) | instskip(NEXT) | instid1(VALU_DEP_1)
	v_fmac_f32_e32 v39, v41, v38
	v_dual_fma_f32 v40, v40, v38, -v79 :: v_dual_add_f32 v37, v37, v39
	s_delay_alu instid0(VALU_DEP_1)
	v_add_f32_e32 v36, v36, v40
	s_or_b32 exec_lo, exec_lo, s6
	s_and_saveexec_b32 s6, s3
	s_cbranch_execz .LBB148_305
.LBB148_1059:                           ;   in Loop: Header=BB148_3 Depth=1
	ds_load_b64 v[38:39], v56 offset:30976
	ds_load_b64 v[40:41], v57 offset:32736
	s_wait_dscnt 0x0
	v_dual_mul_f32 v79, v41, v39 :: v_dual_mul_f32 v39, v40, v39
	s_delay_alu instid0(VALU_DEP_1) | instskip(NEXT) | instid1(VALU_DEP_1)
	v_fmac_f32_e32 v39, v41, v38
	v_dual_fma_f32 v40, v40, v38, -v79 :: v_dual_add_f32 v37, v37, v39
	s_delay_alu instid0(VALU_DEP_1)
	v_add_f32_e32 v36, v36, v40
	s_or_b32 exec_lo, exec_lo, s6
	s_and_saveexec_b32 s6, s19
	s_cbranch_execz .LBB148_306
.LBB148_1060:                           ;   in Loop: Header=BB148_3 Depth=1
	ds_load_b64 v[38:39], v56 offset:31488
	ds_load_b64 v[40:41], v57 offset:32744
	s_wait_dscnt 0x0
	v_dual_mul_f32 v79, v41, v39 :: v_dual_mul_f32 v39, v40, v39
	s_delay_alu instid0(VALU_DEP_1) | instskip(NEXT) | instid1(VALU_DEP_1)
	v_fmac_f32_e32 v39, v41, v38
	v_dual_fma_f32 v40, v40, v38, -v79 :: v_dual_add_f32 v37, v37, v39
	s_delay_alu instid0(VALU_DEP_1)
	v_add_f32_e32 v36, v36, v40
	s_or_b32 exec_lo, exec_lo, s6
	s_and_saveexec_b32 s6, s21
	s_cbranch_execz .LBB148_307
.LBB148_1061:                           ;   in Loop: Header=BB148_3 Depth=1
	ds_load_b64 v[38:39], v56 offset:32000
	ds_load_b64 v[40:41], v57 offset:32752
	s_wait_dscnt 0x0
	v_dual_mul_f32 v79, v41, v39 :: v_dual_mul_f32 v39, v40, v39
	s_delay_alu instid0(VALU_DEP_1) | instskip(NEXT) | instid1(VALU_DEP_1)
	v_fmac_f32_e32 v39, v41, v38
	v_dual_fma_f32 v40, v40, v38, -v79 :: v_dual_add_f32 v37, v37, v39
	s_delay_alu instid0(VALU_DEP_1)
	v_add_f32_e32 v36, v36, v40
	s_or_b32 exec_lo, exec_lo, s6
	s_and_saveexec_b32 s6, s2
	s_cbranch_execnz .LBB148_308
	s_branch .LBB148_309
.LBB148_1062:                           ;   in Loop: Header=BB148_3 Depth=1
	ds_load_b64 v[38:39], v48 offset:23360
	ds_load_b64 v[40:41], v49 offset:24424
	s_wait_dscnt 0x0
	v_dual_mul_f32 v79, v41, v39 :: v_dual_mul_f32 v39, v40, v39
	s_delay_alu instid0(VALU_DEP_1) | instskip(NEXT) | instid1(VALU_DEP_1)
	v_fmac_f32_e32 v39, v41, v38
	v_dual_fma_f32 v40, v40, v38, -v79 :: v_dual_add_f32 v37, v37, v39
	s_delay_alu instid0(VALU_DEP_1)
	v_add_f32_e32 v36, v36, v40
	s_or_b32 exec_lo, exec_lo, s6
	s_and_saveexec_b32 s6, s17
	s_cbranch_execz .LBB148_393
.LBB148_1063:                           ;   in Loop: Header=BB148_3 Depth=1
	ds_load_b64 v[38:39], v48 offset:23872
	ds_load_b64 v[40:41], v49 offset:24432
	s_wait_dscnt 0x0
	v_dual_mul_f32 v79, v41, v39 :: v_dual_mul_f32 v39, v40, v39
	s_delay_alu instid0(VALU_DEP_1) | instskip(NEXT) | instid1(VALU_DEP_1)
	v_fmac_f32_e32 v39, v41, v38
	v_dual_fma_f32 v40, v40, v38, -v79 :: v_dual_add_f32 v37, v37, v39
	s_delay_alu instid0(VALU_DEP_1)
	v_add_f32_e32 v36, v36, v40
	s_or_b32 exec_lo, exec_lo, s6
	s_and_saveexec_b32 s6, s1
	s_cbranch_execnz .LBB148_394
	s_branch .LBB148_395
.LBB148_1064:                           ;   in Loop: Header=BB148_3 Depth=1
	ds_load_b64 v[38:39], v52 offset:21248
	ds_load_b64 v[40:41], v53 offset:24392
	s_wait_dscnt 0x0
	v_dual_mul_f32 v79, v41, v39 :: v_dual_mul_f32 v39, v40, v39
	s_delay_alu instid0(VALU_DEP_1) | instskip(NEXT) | instid1(VALU_DEP_1)
	v_fmac_f32_e32 v39, v41, v38
	v_dual_fma_f32 v40, v40, v38, -v79 :: v_dual_add_f32 v37, v37, v39
	s_delay_alu instid0(VALU_DEP_1)
	v_add_f32_e32 v36, v36, v40
	s_or_b32 exec_lo, exec_lo, s6
	s_and_saveexec_b32 s6, s19
	s_cbranch_execz .LBB148_431
.LBB148_1065:                           ;   in Loop: Header=BB148_3 Depth=1
	ds_load_b64 v[38:39], v52 offset:21760
	ds_load_b64 v[40:41], v53 offset:24400
	s_wait_dscnt 0x0
	v_dual_mul_f32 v79, v41, v39 :: v_dual_mul_f32 v39, v40, v39
	s_delay_alu instid0(VALU_DEP_1) | instskip(NEXT) | instid1(VALU_DEP_1)
	v_fmac_f32_e32 v39, v41, v38
	v_dual_fma_f32 v40, v40, v38, -v79 :: v_dual_add_f32 v37, v37, v39
	s_delay_alu instid0(VALU_DEP_1)
	v_add_f32_e32 v36, v36, v40
	s_or_b32 exec_lo, exec_lo, s6
	s_and_saveexec_b32 s6, s20
	s_cbranch_execz .LBB148_432
.LBB148_1066:                           ;   in Loop: Header=BB148_3 Depth=1
	ds_load_b64 v[38:39], v52 offset:22272
	ds_load_b64 v[40:41], v53 offset:24408
	s_wait_dscnt 0x0
	v_dual_mul_f32 v79, v41, v39 :: v_dual_mul_f32 v39, v40, v39
	s_delay_alu instid0(VALU_DEP_1) | instskip(NEXT) | instid1(VALU_DEP_1)
	v_fmac_f32_e32 v39, v41, v38
	v_dual_fma_f32 v40, v40, v38, -v79 :: v_dual_add_f32 v37, v37, v39
	s_delay_alu instid0(VALU_DEP_1)
	v_add_f32_e32 v36, v36, v40
	s_or_b32 exec_lo, exec_lo, s6
	s_and_saveexec_b32 s6, s21
	s_cbranch_execz .LBB148_433
.LBB148_1067:                           ;   in Loop: Header=BB148_3 Depth=1
	ds_load_b64 v[38:39], v52 offset:22784
	ds_load_b64 v[40:41], v53 offset:24416
	s_wait_dscnt 0x0
	v_dual_mul_f32 v79, v41, v39 :: v_dual_mul_f32 v39, v40, v39
	s_delay_alu instid0(VALU_DEP_1) | instskip(NEXT) | instid1(VALU_DEP_1)
	v_fmac_f32_e32 v39, v41, v38
	v_dual_fma_f32 v40, v40, v38, -v79 :: v_dual_add_f32 v37, v37, v39
	s_delay_alu instid0(VALU_DEP_1)
	v_add_f32_e32 v36, v36, v40
	s_or_b32 exec_lo, exec_lo, s6
	s_and_saveexec_b32 s6, s22
	s_cbranch_execz .LBB148_434
.LBB148_1068:                           ;   in Loop: Header=BB148_3 Depth=1
	ds_load_b64 v[38:39], v52 offset:23296
	ds_load_b64 v[40:41], v53 offset:24424
	s_wait_dscnt 0x0
	v_dual_mul_f32 v79, v41, v39 :: v_dual_mul_f32 v39, v40, v39
	s_delay_alu instid0(VALU_DEP_1) | instskip(NEXT) | instid1(VALU_DEP_1)
	v_fmac_f32_e32 v39, v41, v38
	v_dual_fma_f32 v40, v40, v38, -v79 :: v_dual_add_f32 v37, v37, v39
	s_delay_alu instid0(VALU_DEP_1)
	v_add_f32_e32 v36, v36, v40
	s_or_b32 exec_lo, exec_lo, s6
	s_and_saveexec_b32 s6, s2
	s_cbranch_execz .LBB148_435
.LBB148_1069:                           ;   in Loop: Header=BB148_3 Depth=1
	ds_load_b64 v[38:39], v52 offset:23808
	ds_load_b64 v[40:41], v53 offset:24432
	s_wait_dscnt 0x0
	v_dual_mul_f32 v79, v41, v39 :: v_dual_mul_f32 v39, v40, v39
	s_delay_alu instid0(VALU_DEP_1) | instskip(NEXT) | instid1(VALU_DEP_1)
	v_fmac_f32_e32 v39, v41, v38
	v_dual_fma_f32 v40, v40, v38, -v79 :: v_dual_add_f32 v37, v37, v39
	s_delay_alu instid0(VALU_DEP_1)
	v_add_f32_e32 v36, v36, v40
	s_or_b32 exec_lo, exec_lo, s6
	s_and_saveexec_b32 s6, s17
	s_cbranch_execnz .LBB148_436
	s_branch .LBB148_437
.LBB148_1070:                           ;   in Loop: Header=BB148_3 Depth=1
	ds_load_b64 v[38:39], v48 offset:19200
	ds_load_b64 v[40:41], v49 offset:20264
	s_wait_dscnt 0x0
	v_dual_mul_f32 v79, v41, v39 :: v_dual_mul_f32 v39, v40, v39
	s_delay_alu instid0(VALU_DEP_1) | instskip(NEXT) | instid1(VALU_DEP_1)
	v_fmac_f32_e32 v39, v41, v38
	v_dual_fma_f32 v40, v40, v38, -v79 :: v_dual_add_f32 v37, v37, v39
	s_delay_alu instid0(VALU_DEP_1)
	v_add_f32_e32 v36, v36, v40
	s_or_b32 exec_lo, exec_lo, s6
	s_and_saveexec_b32 s6, s17
	s_cbranch_execz .LBB148_489
.LBB148_1071:                           ;   in Loop: Header=BB148_3 Depth=1
	ds_load_b64 v[38:39], v48 offset:19712
	ds_load_b64 v[40:41], v49 offset:20272
	s_wait_dscnt 0x0
	v_dual_mul_f32 v79, v41, v39 :: v_dual_mul_f32 v39, v40, v39
	s_delay_alu instid0(VALU_DEP_1) | instskip(NEXT) | instid1(VALU_DEP_1)
	v_fmac_f32_e32 v39, v41, v38
	v_dual_fma_f32 v40, v40, v38, -v79 :: v_dual_add_f32 v37, v37, v39
	s_delay_alu instid0(VALU_DEP_1)
	v_add_f32_e32 v36, v36, v40
	s_or_b32 exec_lo, exec_lo, s6
	s_and_saveexec_b32 s6, s1
	s_cbranch_execnz .LBB148_490
	s_branch .LBB148_491
.LBB148_1072:                           ;   in Loop: Header=BB148_3 Depth=1
	ds_load_b64 v[38:39], v61 offset:31232
	ds_load_b64 v[40:41], v62 offset:32744
	s_wait_dscnt 0x0
	v_pk_mul_f32 v[80:81], v[40:41], v[38:39] op_sel:[1,1] op_sel_hi:[0,1]
	s_delay_alu instid0(VALU_DEP_1) | instskip(SKIP_1) | instid1(VALU_DEP_2)
	v_pk_fma_f32 v[82:83], v[40:41], v[38:39], v[80:81] op_sel_hi:[1,0,1]
	v_pk_fma_f32 v[38:39], v[40:41], v[38:39], v[80:81] neg_lo:[0,0,1] neg_hi:[0,0,1]
	v_mov_b32_e32 v39, v83
	s_delay_alu instid0(VALU_DEP_1)
	v_pk_add_f32 v[36:37], v[36:37], v[38:39]
	s_or_b32 exec_lo, exec_lo, s6
	s_and_saveexec_b32 s6, s3
	s_cbranch_execz .LBB148_583
.LBB148_1073:                           ;   in Loop: Header=BB148_3 Depth=1
	ds_load_b64 v[38:39], v61 offset:31744
	ds_load_b64 v[40:41], v62 offset:32752
	s_wait_dscnt 0x0
	v_pk_mul_f32 v[80:81], v[40:41], v[38:39] op_sel:[1,1] op_sel_hi:[0,1]
	s_delay_alu instid0(VALU_DEP_1) | instskip(SKIP_1) | instid1(VALU_DEP_2)
	v_pk_fma_f32 v[82:83], v[40:41], v[38:39], v[80:81] op_sel_hi:[1,0,1]
	v_pk_fma_f32 v[38:39], v[40:41], v[38:39], v[80:81] neg_lo:[0,0,1] neg_hi:[0,0,1]
	v_mov_b32_e32 v39, v83
	s_delay_alu instid0(VALU_DEP_1) | instskip(SKIP_2) | instid1(SALU_CYCLE_1)
	v_pk_add_f32 v[36:37], v[36:37], v[38:39]
	s_or_b32 exec_lo, exec_lo, s6
	s_and_saveexec_b32 s6, s21
	s_xor_b32 s6, exec_lo, s6
	s_cbranch_execnz .LBB148_584
	s_branch .LBB148_585
.LBB148_1074:                           ;   in Loop: Header=BB148_3 Depth=1
	ds_load_b64 v[38:39], v48 offset:15040
	ds_load_b64 v[40:41], v49 offset:16104
	s_wait_dscnt 0x0
	v_dual_mul_f32 v79, v41, v39 :: v_dual_mul_f32 v39, v40, v39
	s_delay_alu instid0(VALU_DEP_1) | instskip(NEXT) | instid1(VALU_DEP_1)
	v_fmac_f32_e32 v39, v41, v38
	v_dual_fma_f32 v40, v40, v38, -v79 :: v_dual_add_f32 v37, v37, v39
	s_delay_alu instid0(VALU_DEP_1)
	v_add_f32_e32 v36, v36, v40
	s_or_b32 exec_lo, exec_lo, s6
	s_and_saveexec_b32 s6, s17
	s_cbranch_execz .LBB148_617
.LBB148_1075:                           ;   in Loop: Header=BB148_3 Depth=1
	ds_load_b64 v[38:39], v48 offset:15552
	ds_load_b64 v[40:41], v49 offset:16112
	s_wait_dscnt 0x0
	v_dual_mul_f32 v79, v41, v39 :: v_dual_mul_f32 v39, v40, v39
	s_delay_alu instid0(VALU_DEP_1) | instskip(NEXT) | instid1(VALU_DEP_1)
	v_fmac_f32_e32 v39, v41, v38
	v_dual_fma_f32 v40, v40, v38, -v79 :: v_dual_add_f32 v37, v37, v39
	s_delay_alu instid0(VALU_DEP_1)
	v_add_f32_e32 v36, v36, v40
	s_or_b32 exec_lo, exec_lo, s6
	s_and_saveexec_b32 s6, s1
	s_cbranch_execnz .LBB148_618
	s_branch .LBB148_619
.LBB148_1076:                           ;   in Loop: Header=BB148_3 Depth=1
	ds_load_b64 v[38:39], v52 offset:12928
	ds_load_b64 v[40:41], v53 offset:16072
	s_wait_dscnt 0x0
	v_dual_mul_f32 v79, v41, v39 :: v_dual_mul_f32 v39, v40, v39
	s_delay_alu instid0(VALU_DEP_1) | instskip(NEXT) | instid1(VALU_DEP_1)
	v_fmac_f32_e32 v39, v41, v38
	v_dual_fma_f32 v40, v40, v38, -v79 :: v_dual_add_f32 v37, v37, v39
	s_delay_alu instid0(VALU_DEP_1)
	v_add_f32_e32 v36, v36, v40
	s_or_b32 exec_lo, exec_lo, s6
	s_and_saveexec_b32 s6, s19
	s_cbranch_execz .LBB148_655
.LBB148_1077:                           ;   in Loop: Header=BB148_3 Depth=1
	ds_load_b64 v[38:39], v52 offset:13440
	ds_load_b64 v[40:41], v53 offset:16080
	s_wait_dscnt 0x0
	v_dual_mul_f32 v79, v41, v39 :: v_dual_mul_f32 v39, v40, v39
	s_delay_alu instid0(VALU_DEP_1) | instskip(NEXT) | instid1(VALU_DEP_1)
	v_fmac_f32_e32 v39, v41, v38
	v_dual_fma_f32 v40, v40, v38, -v79 :: v_dual_add_f32 v37, v37, v39
	s_delay_alu instid0(VALU_DEP_1)
	v_add_f32_e32 v36, v36, v40
	s_or_b32 exec_lo, exec_lo, s6
	s_and_saveexec_b32 s6, s20
	s_cbranch_execz .LBB148_656
.LBB148_1078:                           ;   in Loop: Header=BB148_3 Depth=1
	ds_load_b64 v[38:39], v52 offset:13952
	ds_load_b64 v[40:41], v53 offset:16088
	s_wait_dscnt 0x0
	v_dual_mul_f32 v79, v41, v39 :: v_dual_mul_f32 v39, v40, v39
	s_delay_alu instid0(VALU_DEP_1) | instskip(NEXT) | instid1(VALU_DEP_1)
	v_fmac_f32_e32 v39, v41, v38
	v_dual_fma_f32 v40, v40, v38, -v79 :: v_dual_add_f32 v37, v37, v39
	s_delay_alu instid0(VALU_DEP_1)
	v_add_f32_e32 v36, v36, v40
	s_or_b32 exec_lo, exec_lo, s6
	s_and_saveexec_b32 s6, s21
	s_cbranch_execz .LBB148_657
.LBB148_1079:                           ;   in Loop: Header=BB148_3 Depth=1
	ds_load_b64 v[38:39], v52 offset:14464
	ds_load_b64 v[40:41], v53 offset:16096
	s_wait_dscnt 0x0
	v_dual_mul_f32 v79, v41, v39 :: v_dual_mul_f32 v39, v40, v39
	s_delay_alu instid0(VALU_DEP_1) | instskip(NEXT) | instid1(VALU_DEP_1)
	v_fmac_f32_e32 v39, v41, v38
	v_dual_fma_f32 v40, v40, v38, -v79 :: v_dual_add_f32 v37, v37, v39
	s_delay_alu instid0(VALU_DEP_1)
	v_add_f32_e32 v36, v36, v40
	s_or_b32 exec_lo, exec_lo, s6
	s_and_saveexec_b32 s6, s22
	s_cbranch_execz .LBB148_658
.LBB148_1080:                           ;   in Loop: Header=BB148_3 Depth=1
	ds_load_b64 v[38:39], v52 offset:14976
	ds_load_b64 v[40:41], v53 offset:16104
	s_wait_dscnt 0x0
	v_dual_mul_f32 v79, v41, v39 :: v_dual_mul_f32 v39, v40, v39
	s_delay_alu instid0(VALU_DEP_1) | instskip(NEXT) | instid1(VALU_DEP_1)
	v_fmac_f32_e32 v39, v41, v38
	v_dual_fma_f32 v40, v40, v38, -v79 :: v_dual_add_f32 v37, v37, v39
	s_delay_alu instid0(VALU_DEP_1)
	v_add_f32_e32 v36, v36, v40
	s_or_b32 exec_lo, exec_lo, s6
	s_and_saveexec_b32 s6, s2
	s_cbranch_execz .LBB148_659
.LBB148_1081:                           ;   in Loop: Header=BB148_3 Depth=1
	ds_load_b64 v[38:39], v52 offset:15488
	ds_load_b64 v[40:41], v53 offset:16112
	s_wait_dscnt 0x0
	v_dual_mul_f32 v79, v41, v39 :: v_dual_mul_f32 v39, v40, v39
	s_delay_alu instid0(VALU_DEP_1) | instskip(NEXT) | instid1(VALU_DEP_1)
	v_fmac_f32_e32 v39, v41, v38
	v_dual_fma_f32 v40, v40, v38, -v79 :: v_dual_add_f32 v37, v37, v39
	s_delay_alu instid0(VALU_DEP_1)
	v_add_f32_e32 v36, v36, v40
	s_or_b32 exec_lo, exec_lo, s6
	s_and_saveexec_b32 s6, s17
	s_cbranch_execnz .LBB148_660
	s_branch .LBB148_661
.LBB148_1082:                           ;   in Loop: Header=BB148_3 Depth=1
	ds_load_b64 v[38:39], v48 offset:10880
	ds_load_b64 v[40:41], v49 offset:11944
	s_wait_dscnt 0x0
	v_dual_mul_f32 v79, v41, v39 :: v_dual_mul_f32 v39, v40, v39
	s_delay_alu instid0(VALU_DEP_1) | instskip(NEXT) | instid1(VALU_DEP_1)
	v_fmac_f32_e32 v39, v41, v38
	v_dual_fma_f32 v40, v40, v38, -v79 :: v_dual_add_f32 v37, v37, v39
	s_delay_alu instid0(VALU_DEP_1)
	v_add_f32_e32 v36, v36, v40
	s_or_b32 exec_lo, exec_lo, s6
	s_and_saveexec_b32 s6, s17
	s_cbranch_execz .LBB148_713
.LBB148_1083:                           ;   in Loop: Header=BB148_3 Depth=1
	ds_load_b64 v[38:39], v48 offset:11392
	ds_load_b64 v[40:41], v49 offset:11952
	s_wait_dscnt 0x0
	v_dual_mul_f32 v79, v41, v39 :: v_dual_mul_f32 v39, v40, v39
	s_delay_alu instid0(VALU_DEP_1) | instskip(NEXT) | instid1(VALU_DEP_1)
	v_fmac_f32_e32 v39, v41, v38
	v_dual_fma_f32 v40, v40, v38, -v79 :: v_dual_add_f32 v37, v37, v39
	s_delay_alu instid0(VALU_DEP_1)
	v_add_f32_e32 v36, v36, v40
	s_or_b32 exec_lo, exec_lo, s6
	s_and_saveexec_b32 s6, s1
	s_cbranch_execnz .LBB148_714
	s_branch .LBB148_715
.LBB148_1084:                           ;   in Loop: Header=BB148_3 Depth=1
	ds_load_b64 v[38:39], v56 offset:13824
	ds_load_b64 v[40:41], v57 offset:16088
	s_wait_dscnt 0x0
	v_dual_mul_f32 v79, v41, v39 :: v_dual_mul_f32 v39, v40, v39
	s_delay_alu instid0(VALU_DEP_1) | instskip(NEXT) | instid1(VALU_DEP_1)
	v_fmac_f32_e32 v39, v41, v38
	v_dual_fma_f32 v40, v40, v38, -v79 :: v_dual_add_f32 v37, v37, v39
	s_delay_alu instid0(VALU_DEP_1)
	v_add_f32_e32 v36, v36, v40
	s_or_b32 exec_lo, exec_lo, s6
	s_and_saveexec_b32 s6, s3
	s_cbranch_execz .LBB148_771
.LBB148_1085:                           ;   in Loop: Header=BB148_3 Depth=1
	ds_load_b64 v[38:39], v56 offset:14336
	ds_load_b64 v[40:41], v57 offset:16096
	s_wait_dscnt 0x0
	v_dual_mul_f32 v79, v41, v39 :: v_dual_mul_f32 v39, v40, v39
	s_delay_alu instid0(VALU_DEP_1) | instskip(NEXT) | instid1(VALU_DEP_1)
	v_fmac_f32_e32 v39, v41, v38
	v_dual_fma_f32 v40, v40, v38, -v79 :: v_dual_add_f32 v37, v37, v39
	s_delay_alu instid0(VALU_DEP_1)
	v_add_f32_e32 v36, v36, v40
	s_or_b32 exec_lo, exec_lo, s6
	s_and_saveexec_b32 s6, s19
	s_cbranch_execz .LBB148_772
.LBB148_1086:                           ;   in Loop: Header=BB148_3 Depth=1
	ds_load_b64 v[38:39], v56 offset:14848
	ds_load_b64 v[40:41], v57 offset:16104
	s_wait_dscnt 0x0
	v_dual_mul_f32 v79, v41, v39 :: v_dual_mul_f32 v39, v40, v39
	s_delay_alu instid0(VALU_DEP_1) | instskip(NEXT) | instid1(VALU_DEP_1)
	v_fmac_f32_e32 v39, v41, v38
	v_dual_fma_f32 v40, v40, v38, -v79 :: v_dual_add_f32 v37, v37, v39
	s_delay_alu instid0(VALU_DEP_1)
	v_add_f32_e32 v36, v36, v40
	s_or_b32 exec_lo, exec_lo, s6
	s_and_saveexec_b32 s6, s21
	s_cbranch_execz .LBB148_773
.LBB148_1087:                           ;   in Loop: Header=BB148_3 Depth=1
	ds_load_b64 v[38:39], v56 offset:15360
	ds_load_b64 v[40:41], v57 offset:16112
	s_wait_dscnt 0x0
	v_dual_mul_f32 v79, v41, v39 :: v_dual_mul_f32 v39, v40, v39
	s_delay_alu instid0(VALU_DEP_1) | instskip(NEXT) | instid1(VALU_DEP_1)
	v_fmac_f32_e32 v39, v41, v38
	v_dual_fma_f32 v40, v40, v38, -v79 :: v_dual_add_f32 v37, v37, v39
	s_delay_alu instid0(VALU_DEP_1)
	v_add_f32_e32 v36, v36, v40
	s_or_b32 exec_lo, exec_lo, s6
	s_and_saveexec_b32 s6, s2
	s_cbranch_execnz .LBB148_774
	s_branch .LBB148_775
.LBB148_1088:                           ;   in Loop: Header=BB148_3 Depth=1
	ds_load_b64 v[38:39], v48 offset:6720
	ds_load_b64 v[40:41], v49 offset:7784
	s_wait_dscnt 0x0
	v_dual_mul_f32 v79, v41, v39 :: v_dual_mul_f32 v39, v40, v39
	s_delay_alu instid0(VALU_DEP_1) | instskip(NEXT) | instid1(VALU_DEP_1)
	v_fmac_f32_e32 v39, v41, v38
	v_dual_fma_f32 v40, v40, v38, -v79 :: v_dual_add_f32 v37, v37, v39
	s_delay_alu instid0(VALU_DEP_1)
	v_add_f32_e32 v36, v36, v40
	s_or_b32 exec_lo, exec_lo, s6
	s_and_saveexec_b32 s6, s17
	s_cbranch_execz .LBB148_859
.LBB148_1089:                           ;   in Loop: Header=BB148_3 Depth=1
	ds_load_b64 v[38:39], v48 offset:7232
	ds_load_b64 v[40:41], v49 offset:7792
	s_wait_dscnt 0x0
	v_dual_mul_f32 v79, v41, v39 :: v_dual_mul_f32 v39, v40, v39
	s_delay_alu instid0(VALU_DEP_1) | instskip(NEXT) | instid1(VALU_DEP_1)
	v_fmac_f32_e32 v39, v41, v38
	v_dual_fma_f32 v40, v40, v38, -v79 :: v_dual_add_f32 v37, v37, v39
	s_delay_alu instid0(VALU_DEP_1)
	v_add_f32_e32 v36, v36, v40
	s_or_b32 exec_lo, exec_lo, s6
	s_and_saveexec_b32 s6, s1
	s_cbranch_execnz .LBB148_860
	s_branch .LBB148_861
.LBB148_1090:                           ;   in Loop: Header=BB148_3 Depth=1
	ds_load_b64 v[38:39], v52 offset:4608
	ds_load_b64 v[40:41], v53 offset:7752
	s_wait_dscnt 0x0
	v_dual_mul_f32 v79, v41, v39 :: v_dual_mul_f32 v39, v40, v39
	s_delay_alu instid0(VALU_DEP_1) | instskip(NEXT) | instid1(VALU_DEP_1)
	v_fmac_f32_e32 v39, v41, v38
	v_dual_fma_f32 v40, v40, v38, -v79 :: v_dual_add_f32 v37, v37, v39
	s_delay_alu instid0(VALU_DEP_1)
	v_add_f32_e32 v36, v36, v40
	s_or_b32 exec_lo, exec_lo, s6
	s_and_saveexec_b32 s6, s19
	s_cbranch_execz .LBB148_897
.LBB148_1091:                           ;   in Loop: Header=BB148_3 Depth=1
	ds_load_b64 v[38:39], v52 offset:5120
	ds_load_b64 v[40:41], v53 offset:7760
	s_wait_dscnt 0x0
	v_dual_mul_f32 v79, v41, v39 :: v_dual_mul_f32 v39, v40, v39
	s_delay_alu instid0(VALU_DEP_1) | instskip(NEXT) | instid1(VALU_DEP_1)
	v_fmac_f32_e32 v39, v41, v38
	v_dual_fma_f32 v40, v40, v38, -v79 :: v_dual_add_f32 v37, v37, v39
	s_delay_alu instid0(VALU_DEP_1)
	v_add_f32_e32 v36, v36, v40
	s_or_b32 exec_lo, exec_lo, s6
	s_and_saveexec_b32 s6, s20
	s_cbranch_execz .LBB148_898
.LBB148_1092:                           ;   in Loop: Header=BB148_3 Depth=1
	ds_load_b64 v[38:39], v52 offset:5632
	ds_load_b64 v[40:41], v53 offset:7768
	s_wait_dscnt 0x0
	v_dual_mul_f32 v79, v41, v39 :: v_dual_mul_f32 v39, v40, v39
	s_delay_alu instid0(VALU_DEP_1) | instskip(NEXT) | instid1(VALU_DEP_1)
	v_fmac_f32_e32 v39, v41, v38
	v_dual_fma_f32 v40, v40, v38, -v79 :: v_dual_add_f32 v37, v37, v39
	s_delay_alu instid0(VALU_DEP_1)
	v_add_f32_e32 v36, v36, v40
	s_or_b32 exec_lo, exec_lo, s6
	s_and_saveexec_b32 s6, s21
	s_cbranch_execz .LBB148_899
.LBB148_1093:                           ;   in Loop: Header=BB148_3 Depth=1
	ds_load_b64 v[38:39], v52 offset:6144
	ds_load_b64 v[40:41], v53 offset:7776
	s_wait_dscnt 0x0
	v_dual_mul_f32 v79, v41, v39 :: v_dual_mul_f32 v39, v40, v39
	s_delay_alu instid0(VALU_DEP_1) | instskip(NEXT) | instid1(VALU_DEP_1)
	v_fmac_f32_e32 v39, v41, v38
	v_dual_fma_f32 v40, v40, v38, -v79 :: v_dual_add_f32 v37, v37, v39
	s_delay_alu instid0(VALU_DEP_1)
	v_add_f32_e32 v36, v36, v40
	s_or_b32 exec_lo, exec_lo, s6
	s_and_saveexec_b32 s6, s22
	s_cbranch_execz .LBB148_900
.LBB148_1094:                           ;   in Loop: Header=BB148_3 Depth=1
	ds_load_b64 v[38:39], v52 offset:6656
	ds_load_b64 v[40:41], v53 offset:7784
	s_wait_dscnt 0x0
	v_dual_mul_f32 v79, v41, v39 :: v_dual_mul_f32 v39, v40, v39
	s_delay_alu instid0(VALU_DEP_1) | instskip(NEXT) | instid1(VALU_DEP_1)
	v_fmac_f32_e32 v39, v41, v38
	v_dual_fma_f32 v40, v40, v38, -v79 :: v_dual_add_f32 v37, v37, v39
	s_delay_alu instid0(VALU_DEP_1)
	v_add_f32_e32 v36, v36, v40
	s_or_b32 exec_lo, exec_lo, s6
	s_and_saveexec_b32 s6, s2
	s_cbranch_execz .LBB148_901
.LBB148_1095:                           ;   in Loop: Header=BB148_3 Depth=1
	ds_load_b64 v[38:39], v52 offset:7168
	ds_load_b64 v[40:41], v53 offset:7792
	s_wait_dscnt 0x0
	v_dual_mul_f32 v79, v41, v39 :: v_dual_mul_f32 v39, v40, v39
	s_delay_alu instid0(VALU_DEP_1) | instskip(NEXT) | instid1(VALU_DEP_1)
	v_fmac_f32_e32 v39, v41, v38
	v_dual_fma_f32 v40, v40, v38, -v79 :: v_dual_add_f32 v37, v37, v39
	s_delay_alu instid0(VALU_DEP_1)
	v_add_f32_e32 v36, v36, v40
	s_or_b32 exec_lo, exec_lo, s6
	s_and_saveexec_b32 s6, s17
	s_cbranch_execnz .LBB148_902
	s_branch .LBB148_903
.LBB148_1096:                           ;   in Loop: Header=BB148_3 Depth=1
	ds_load_b64 v[38:39], v48 offset:2560
	ds_load_b64 v[40:41], v49 offset:3624
	s_wait_dscnt 0x0
	v_dual_mul_f32 v79, v41, v39 :: v_dual_mul_f32 v39, v40, v39
	s_delay_alu instid0(VALU_DEP_1) | instskip(NEXT) | instid1(VALU_DEP_1)
	v_fmac_f32_e32 v39, v41, v38
	v_dual_fma_f32 v40, v40, v38, -v79 :: v_dual_add_f32 v37, v37, v39
	s_delay_alu instid0(VALU_DEP_1)
	v_add_f32_e32 v36, v36, v40
	s_or_b32 exec_lo, exec_lo, s6
	s_and_saveexec_b32 s6, s17
	s_cbranch_execz .LBB148_955
.LBB148_1097:                           ;   in Loop: Header=BB148_3 Depth=1
	ds_load_b64 v[38:39], v48 offset:3072
	ds_load_b64 v[40:41], v49 offset:3632
	s_wait_dscnt 0x0
	v_dual_mul_f32 v79, v41, v39 :: v_dual_mul_f32 v39, v40, v39
	s_delay_alu instid0(VALU_DEP_1) | instskip(NEXT) | instid1(VALU_DEP_1)
	v_fmac_f32_e32 v39, v41, v38
	v_dual_fma_f32 v40, v40, v38, -v79 :: v_dual_add_f32 v37, v37, v39
	s_delay_alu instid0(VALU_DEP_1)
	v_add_f32_e32 v36, v36, v40
	s_or_b32 exec_lo, exec_lo, s6
	s_and_saveexec_b32 s6, s1
	s_cbranch_execnz .LBB148_956
	s_branch .LBB148_957
.LBB148_1098:
	s_endpgm
	.section	.rodata,"a",@progbits
	.p2align	6, 0x0
	.amdhsa_kernel _ZL19rocblas_trsv_deviceILi64ELi16ELb0ELb0ELb0ELb0E19rocblas_complex_numIfEPKS1_PKS3_PKPS1_EviT7_lllT6_T8_lllPii
		.amdhsa_group_segment_fixed_size 41480
		.amdhsa_private_segment_fixed_size 48
		.amdhsa_kernarg_size 352
		.amdhsa_user_sgpr_count 2
		.amdhsa_user_sgpr_dispatch_ptr 0
		.amdhsa_user_sgpr_queue_ptr 0
		.amdhsa_user_sgpr_kernarg_segment_ptr 1
		.amdhsa_user_sgpr_dispatch_id 0
		.amdhsa_user_sgpr_kernarg_preload_length 0
		.amdhsa_user_sgpr_kernarg_preload_offset 0
		.amdhsa_user_sgpr_private_segment_size 0
		.amdhsa_wavefront_size32 1
		.amdhsa_uses_dynamic_stack 0
		.amdhsa_enable_private_segment 1
		.amdhsa_system_sgpr_workgroup_id_x 1
		.amdhsa_system_sgpr_workgroup_id_y 0
		.amdhsa_system_sgpr_workgroup_id_z 1
		.amdhsa_system_sgpr_workgroup_info 0
		.amdhsa_system_vgpr_workitem_id 1
		.amdhsa_next_free_vgpr 91
		.amdhsa_next_free_sgpr 105
		.amdhsa_named_barrier_count 0
		.amdhsa_reserve_vcc 1
		.amdhsa_float_round_mode_32 0
		.amdhsa_float_round_mode_16_64 0
		.amdhsa_float_denorm_mode_32 3
		.amdhsa_float_denorm_mode_16_64 3
		.amdhsa_fp16_overflow 0
		.amdhsa_memory_ordered 1
		.amdhsa_forward_progress 1
		.amdhsa_inst_pref_size 255
		.amdhsa_round_robin_scheduling 0
		.amdhsa_exception_fp_ieee_invalid_op 0
		.amdhsa_exception_fp_denorm_src 0
		.amdhsa_exception_fp_ieee_div_zero 0
		.amdhsa_exception_fp_ieee_overflow 0
		.amdhsa_exception_fp_ieee_underflow 0
		.amdhsa_exception_fp_ieee_inexact 0
		.amdhsa_exception_int_div_zero 0
	.end_amdhsa_kernel
	.section	.text._ZL19rocblas_trsv_deviceILi64ELi16ELb0ELb0ELb0ELb0E19rocblas_complex_numIfEPKS1_PKS3_PKPS1_EviT7_lllT6_T8_lllPii,"axG",@progbits,_ZL19rocblas_trsv_deviceILi64ELi16ELb0ELb0ELb0ELb0E19rocblas_complex_numIfEPKS1_PKS3_PKPS1_EviT7_lllT6_T8_lllPii,comdat
.Lfunc_end148:
	.size	_ZL19rocblas_trsv_deviceILi64ELi16ELb0ELb0ELb0ELb0E19rocblas_complex_numIfEPKS1_PKS3_PKPS1_EviT7_lllT6_T8_lllPii, .Lfunc_end148-_ZL19rocblas_trsv_deviceILi64ELi16ELb0ELb0ELb0ELb0E19rocblas_complex_numIfEPKS1_PKS3_PKPS1_EviT7_lllT6_T8_lllPii
                                        ; -- End function
	.set _ZL19rocblas_trsv_deviceILi64ELi16ELb0ELb0ELb0ELb0E19rocblas_complex_numIfEPKS1_PKS3_PKPS1_EviT7_lllT6_T8_lllPii.num_vgpr, 91
	.set _ZL19rocblas_trsv_deviceILi64ELi16ELb0ELb0ELb0ELb0E19rocblas_complex_numIfEPKS1_PKS3_PKPS1_EviT7_lllT6_T8_lllPii.num_agpr, 0
	.set _ZL19rocblas_trsv_deviceILi64ELi16ELb0ELb0ELb0ELb0E19rocblas_complex_numIfEPKS1_PKS3_PKPS1_EviT7_lllT6_T8_lllPii.numbered_sgpr, 105
	.set _ZL19rocblas_trsv_deviceILi64ELi16ELb0ELb0ELb0ELb0E19rocblas_complex_numIfEPKS1_PKS3_PKPS1_EviT7_lllT6_T8_lllPii.num_named_barrier, 0
	.set _ZL19rocblas_trsv_deviceILi64ELi16ELb0ELb0ELb0ELb0E19rocblas_complex_numIfEPKS1_PKS3_PKPS1_EviT7_lllT6_T8_lllPii.private_seg_size, 48
	.set _ZL19rocblas_trsv_deviceILi64ELi16ELb0ELb0ELb0ELb0E19rocblas_complex_numIfEPKS1_PKS3_PKPS1_EviT7_lllT6_T8_lllPii.uses_vcc, 1
	.set _ZL19rocblas_trsv_deviceILi64ELi16ELb0ELb0ELb0ELb0E19rocblas_complex_numIfEPKS1_PKS3_PKPS1_EviT7_lllT6_T8_lllPii.uses_flat_scratch, 0
	.set _ZL19rocblas_trsv_deviceILi64ELi16ELb0ELb0ELb0ELb0E19rocblas_complex_numIfEPKS1_PKS3_PKPS1_EviT7_lllT6_T8_lllPii.has_dyn_sized_stack, 0
	.set _ZL19rocblas_trsv_deviceILi64ELi16ELb0ELb0ELb0ELb0E19rocblas_complex_numIfEPKS1_PKS3_PKPS1_EviT7_lllT6_T8_lllPii.has_recursion, 0
	.set _ZL19rocblas_trsv_deviceILi64ELi16ELb0ELb0ELb0ELb0E19rocblas_complex_numIfEPKS1_PKS3_PKPS1_EviT7_lllT6_T8_lllPii.has_indirect_call, 0
	.section	.AMDGPU.csdata,"",@progbits
; Kernel info:
; codeLenInByte = 51792
; TotalNumSgprs: 107
; NumVgprs: 91
; ScratchSize: 48
; MemoryBound: 0
; FloatMode: 240
; IeeeMode: 1
; LDSByteSize: 41480 bytes/workgroup (compile time only)
; SGPRBlocks: 0
; VGPRBlocks: 5
; NumSGPRsForWavesPerEU: 107
; NumVGPRsForWavesPerEU: 91
; NamedBarCnt: 0
; Occupancy: 10
; WaveLimiterHint : 1
; COMPUTE_PGM_RSRC2:SCRATCH_EN: 1
; COMPUTE_PGM_RSRC2:USER_SGPR: 2
; COMPUTE_PGM_RSRC2:TRAP_HANDLER: 0
; COMPUTE_PGM_RSRC2:TGID_X_EN: 1
; COMPUTE_PGM_RSRC2:TGID_Y_EN: 0
; COMPUTE_PGM_RSRC2:TGID_Z_EN: 1
; COMPUTE_PGM_RSRC2:TIDIG_COMP_CNT: 1
	.section	.text._ZL19rocblas_trsv_deviceILi64ELi16ELb0ELb1ELb0ELb0E19rocblas_complex_numIfEPKS1_PKS3_PKPS1_EviT7_lllT6_T8_lllPii,"axG",@progbits,_ZL19rocblas_trsv_deviceILi64ELi16ELb0ELb1ELb0ELb0E19rocblas_complex_numIfEPKS1_PKS3_PKPS1_EviT7_lllT6_T8_lllPii,comdat
	.globl	_ZL19rocblas_trsv_deviceILi64ELi16ELb0ELb1ELb0ELb0E19rocblas_complex_numIfEPKS1_PKS3_PKPS1_EviT7_lllT6_T8_lllPii ; -- Begin function _ZL19rocblas_trsv_deviceILi64ELi16ELb0ELb1ELb0ELb0E19rocblas_complex_numIfEPKS1_PKS3_PKPS1_EviT7_lllT6_T8_lllPii
	.p2align	8
	.type	_ZL19rocblas_trsv_deviceILi64ELi16ELb0ELb1ELb0ELb0E19rocblas_complex_numIfEPKS1_PKS3_PKPS1_EviT7_lllT6_T8_lllPii,@function
_ZL19rocblas_trsv_deviceILi64ELi16ELb0ELb1ELb0ELb0E19rocblas_complex_numIfEPKS1_PKS3_PKPS1_EviT7_lllT6_T8_lllPii: ; @_ZL19rocblas_trsv_deviceILi64ELi16ELb0ELb1ELb0ELb0E19rocblas_complex_numIfEPKS1_PKS3_PKPS1_EviT7_lllT6_T8_lllPii
; %bb.0:
	s_load_b32 s67, s[0:1], 0x58
	s_bfe_u32 s2, ttmp6, 0x40014
	s_lshr_b32 s3, ttmp7, 16
	s_add_co_i32 s2, s2, 1
	s_bfe_u32 s5, ttmp6, 0x40008
	s_mul_i32 s4, s3, s2
	s_getreg_b32 s2, hwreg(HW_REG_IB_STS2, 6, 4)
	s_add_co_i32 s5, s5, s4
	s_cmp_eq_u32 s2, 0
	s_mov_b32 s81, 0
	s_cselect_b32 s80, s3, s5
	s_wait_kmcnt 0x0
	s_cmp_ge_u32 s80, s67
	s_cbranch_scc1 .LBB149_1160
; %bb.1:
	s_clause 0x2
	s_load_b32 s3, s[0:1], 0x6c
	s_load_b32 s86, s[0:1], 0x0
	s_load_b64 s[12:13], s[0:1], 0x18
	s_bfe_u32 s5, ttmp6, 0x4000c
	s_and_b32 s4, ttmp6, 15
	s_add_co_i32 s5, s5, 1
	s_load_b256 s[68:75], s[0:1], 0x28
	s_mul_i32 s5, ttmp9, s5
	s_load_b64 s[82:83], s[0:1], 0x50
	s_add_co_i32 s4, s4, s5
	s_cmp_eq_u32 s2, 0
	s_load_b128 s[76:79], s[0:1], 0x8
	s_cselect_b32 s87, ttmp9, s4
	v_bfe_u32 v48, v0, 10, 10
	v_and_b32_e32 v2, 0x3ff, v0
	v_mov_b32_e32 v1, 0
	v_sub_co_u32 v49, s5, s87, 1
	s_delay_alu instid0(VALU_DEP_3)
	v_dual_add_nc_u32 v33, 32, v48 :: v_dual_lshlrev_b32 v71, 3, v2
	s_wait_kmcnt 0x0
	s_and_b32 s0, s3, 0xffff
	s_add_co_i32 s1, s86, -1
	s_ashr_i32 s2, s86, 31
	s_ashr_i32 s3, s1, 31
	s_lshr_b32 s2, s2, 26
	s_lshr_b32 s3, s3, 26
	s_add_co_i32 s2, s86, s2
	s_add_co_i32 s1, s1, s3
	s_and_not1_b32 s2, s2, 63
	s_ashr_i32 s1, s1, 6
	s_sub_co_i32 s15, s86, s2
	s_cmp_eq_u32 s1, s87
	v_lshlrev_b32_e32 v22, 6, v2
	s_cselect_b32 s1, -1, 0
	s_cmp_lg_u32 s15, 0
	v_dual_mov_b32 v5, v1 :: v_dual_mov_b32 v3, v1
	s_cselect_b32 s4, -1, 0
	s_lshl_b32 s16, s87, 6
	s_add_nc_u64 s[2:3], s[12:13], 1
	v_dual_add_nc_u32 v23, s16, v48 :: v_dual_add_nc_u32 v18, s16, v2
	v_add_nc_u32_e32 v32, 16, v48
	s_and_b32 s11, s4, s1
	v_mad_u32_u24 v4, v48, s0, v2
	s_delay_alu instid0(VALU_DEP_3)
	v_subrev_nc_u32_e32 v6, 64, v23
	v_ashrrev_i32_e32 v19, 31, v18
	s_xor_b32 s0, s5, -1
	s_xor_b32 s89, s11, -1
	v_mad_nc_u64_u32 v[20:21], s2, s16, v[2:3]
	v_lshl_add_u32 v34, v48, 6, v2
	v_add_nc_u32_e32 v3, v48, v22
	s_cmp_lt_i32 s87, 5
	v_add_nc_u32_e32 v10, v32, v22
	v_lshl_add_u32 v11, v32, 6, v2
	s_cselect_b32 vcc_lo, -1, 0
	v_dual_cndmask_b32 v24, v34, v3 :: v_dual_ashrrev_i32 v7, 31, v6
	s_or_b32 vcc_lo, vcc_lo, s11
	s_delay_alu instid0(VALU_DEP_2) | instid1(SALU_CYCLE_1)
	v_dual_lshrrev_b32 v3, 10, v0 :: v_dual_cndmask_b32 v25, v11, v10, vcc_lo
	v_dual_lshrrev_b32 v10, 1, v34 :: v_dual_bitop2_b32 v11, 1, v0 bitop3:0x40
	s_ashr_i32 s17, s16, 31
	s_delay_alu instid0(VALU_DEP_2) | instskip(SKIP_1) | instid1(VALU_DEP_2)
	v_bitop3_b32 v35, v0, v3, 0x3ff bitop3:0xa8
	s_mul_i32 s1, s2, s17
	v_lshlrev_b32_e32 v50, 3, v11
	v_lshl_add_u32 v3, v10, 3, 0x8000
	v_lshlrev_b32_e32 v10, 9, v10
	s_mul_i32 s2, s3, s16
	v_cmp_eq_u32_e64 s3, 1, v11
	v_add3_u32 v21, s1, s2, v21
	v_cmp_gt_u32_e64 s1, 4, v34
	v_cmp_eq_u32_e64 s4, 0, v11
	v_dual_sub_nc_u32 v51, 0, v10 :: v_dual_sub_nc_u32 v52, v50, v10
	v_dual_lshrrev_b32 v11, 2, v34 :: v_dual_bitop2_b32 v10, 3, v0 bitop3:0x40
	v_cmp_eq_u32_e64 s2, 0, v48
	v_cmp_gt_u32_e64 s5, 2, v2
	s_and_b32 s91, s3, s1
	s_and_b32 s92, s4, s1
	v_dual_lshlrev_b32 v12, 9, v11 :: v_dual_lshlrev_b32 v54, 3, v10
	v_cmp_gt_u32_e64 s3, 16, v34
	v_cmp_eq_u32_e64 s4, 3, v10
	s_and_b32 s93, s2, s5
	v_lshl_add_u32 v53, v11, 3, 0x8000
	v_sub_nc_u32_e32 v55, 0, v12
	v_cmp_ne_u32_e64 s5, 3, v10
	s_and_b32 s94, s4, s3
	v_cmp_eq_u32_e64 s4, 2, v10
	v_cmp_gt_u32_e64 s6, 2, v10
	v_cmp_eq_u32_e64 s7, 1, v10
	v_cmp_eq_u32_e64 s8, 0, v10
	v_dual_sub_nc_u32 v57, v54, v12 :: v_dual_bitop2_b32 v10, -8, v34 bitop3:0x40
	v_lshlrev_b32_e32 v11, 6, v34
	s_and_b32 s96, s4, s3
	v_cmp_gt_u32_e64 s4, 4, v2
	v_add_nc_u32_e32 v38, 48, v48
	v_subrev_nc_u32_e32 v14, 48, v23
	v_subrev_nc_u32_e32 v15, 32, v23
	v_add_max_i32_e64 v39, v23, -16, v18
	v_add_nc_u32_e32 v23, v33, v22
	v_lshl_add_u32 v27, v33, 6, v2
	v_add_nc_u32_e32 v58, 0x8000, v10
	v_and_b32_e32 v10, 0xfffffe00, v11
	v_and_b32_e32 v12, 7, v0
	s_and_b32 s95, s5, s3
	s_and_b32 s97, s6, s3
	;; [unrolled: 1-line block ×3, first 2 shown]
	v_cmp_gt_u32_e64 s4, 64, v34
	v_sub_nc_u32_e32 v60, 0, v10
	v_cmp_eq_u32_e64 s5, 7, v12
	v_cmp_ne_u32_e64 s6, 7, v12
	s_and_b32 s98, s7, s3
	v_dual_lshlrev_b32 v59, 3, v12 :: v_dual_lshrrev_b32 v11, 4, v34
	s_and_b32 s101, s5, s4
	v_cmp_gt_u32_e64 s5, 6, v12
	s_and_b32 s102, s6, s4
	v_cmp_eq_u32_e64 s6, 5, v12
	v_cmp_eq_u32_e64 s7, 6, v12
	v_dual_sub_nc_u32 v61, v59, v10 :: v_dual_bitop2_b32 v10, 15, v0 bitop3:0x40
	s_and_b32 s104, s5, s4
	v_cmp_eq_u32_e64 s5, 4, v12
	s_and_b32 vcc_hi, s6, s4
	v_cmp_eq_u32_e64 s6, 3, v12
	s_and_b32 s103, s7, s4
	v_cmp_gt_u32_e64 s7, 5, v12
	s_and_b32 s41, s5, s4
	v_cmp_gt_u32_e64 s5, 3, v12
	;; [unrolled: 2-line block ×4, first 2 shown]
	s_and_b32 s44, s5, s4
	v_cmp_eq_u32_e64 s5, 0, v12
	s_and_b32 s46, s6, s4
	v_cmp_gt_u32_e64 s6, 8, v2
	s_and_b32 s40, s7, s4
	v_cmp_eq_u32_e64 s7, 2, v12
	s_and_b32 s48, s5, s4
	v_cmp_gt_u32_e64 s5, 0x100, v34
	s_and_b32 s49, s2, s6
	v_cmp_eq_u32_e64 s6, 15, v10
                                        ; implicit-def: $vgpr108 : SGPR spill to VGPR lane
	s_and_b32 s42, s8, s4
	v_writelane_b32 v108, s0, 0
	v_cmp_eq_u32_e64 s8, 1, v12
	s_and_b32 s45, s7, s4
	v_cmp_ne_u32_e64 s7, 15, v10
	s_and_b32 s6, s6, s5
	v_cmp_gt_u32_e64 s10, 14, v10
	v_writelane_b32 v108, s6, 1
	s_and_b32 s47, s8, s4
	v_cmp_eq_u32_e64 s8, 14, v10
	s_and_b32 s6, s7, s5
	v_cmp_le_i32_e64 s14, s15, v2
	v_writelane_b32 v108, s6, 2
	v_cmp_eq_u32_e64 s6, 13, v10
	s_and_b32 s7, s8, s5
	v_cmp_eq_u32_e64 s8, 12, v10
	s_and_b32 s53, s14, s11
	v_writelane_b32 v108, s7, 3
	s_and_b32 s7, s10, s5
	s_and_b32 s6, s6, s5
	v_cmp_eq_u32_e64 s10, 11, v10
	s_and_b32 s56, s8, s5
	v_writelane_b32 v108, s7, 4
	v_cmp_gt_u32_e64 s7, 13, v10
	v_cmp_gt_u32_e64 s8, 10, v10
	s_and_b32 s58, s10, s5
	v_cmp_gt_u32_e64 s10, 9, v10
	v_writelane_b32 v108, s6, 5
	v_cmp_gt_u32_e64 s6, 12, v10
	s_and_b32 s7, s7, s5
	s_and_b32 s61, s8, s5
	;; [unrolled: 1-line block ×3, first 2 shown]
	v_writelane_b32 v108, s7, 6
	s_and_b32 s57, s6, s5
	v_cmp_eq_u32_e64 s6, 10, v10
	v_cmp_gt_u32_e64 s7, 11, v10
	v_cmp_eq_u32_e64 s8, 7, v10
	v_cmp_eq_u32_e64 s10, 6, v10
	v_cmp_gt_i32_e64 s9, s15, v2
	s_and_b32 s60, s6, s5
	v_cmp_eq_u32_e64 s6, 8, v10
	s_and_b32 s59, s7, s5
	v_cmp_eq_u32_e64 s7, 9, v10
	s_and_b32 s25, s8, s5
	s_and_b32 s29, s10, s5
	s_and_b32 s64, s6, s5
	v_cmp_gt_u32_e64 s6, 7, v10
	s_and_b32 s62, s7, s5
	v_cmp_gt_u32_e64 s7, 8, v10
	v_cmp_gt_u32_e64 s8, 5, v10
	;; [unrolled: 1-line block ×3, first 2 shown]
	s_and_b32 s27, s6, s5
	v_cmp_eq_u32_e64 s6, 5, v10
	s_and_b32 s65, s7, s5
	v_cmp_gt_u32_e64 s7, 6, v10
	s_and_b32 s36, s8, s5
	s_and_b32 s28, s10, s5
	;; [unrolled: 1-line block ×3, first 2 shown]
	v_cmp_eq_u32_e64 s6, 3, v10
	s_and_b32 s31, s7, s5
	v_cmp_eq_u32_e64 s7, 4, v10
	v_cmp_eq_u32_e64 s8, 2, v10
	;; [unrolled: 1-line block ×3, first 2 shown]
	s_and_b32 s30, s6, s5
	v_cmp_gt_u32_e64 s6, 2, v10
	s_and_b32 s26, s7, s5
	v_cmp_gt_u32_e64 s7, 3, v10
	v_lshl_add_u32 v62, v11, 3, 0x8000
	v_dual_lshlrev_b32 v11, 9, v11 :: v_dual_lshlrev_b32 v63, 3, v10
	s_and_b32 s88, s6, s5
	v_cmp_gt_u32_e64 s6, 16, v2
	s_and_b32 s33, s7, s5
	v_cmp_eq_u32_e64 s7, 0, v10
	s_xor_b32 s90, vcc_lo, -1
	s_and_b32 s35, s8, s5
	s_and_b32 s52, s2, s6
	v_cmp_gt_u32_e64 s6, 32, v2
	s_and_b32 s51, s7, s5
	s_xor_b32 s7, s53, -1
	s_and_b32 s50, s10, s5
	s_and_b32 s54, s2, s7
	;; [unrolled: 1-line block ×3, first 2 shown]
	s_cmp_gt_i32 s87, 0
	v_writelane_b32 v108, s6, 7
	v_dual_sub_nc_u32 v64, 0, v11 :: v_dual_lshrrev_b32 v10, 5, v34
	v_dual_sub_nc_u32 v66, v63, v11 :: v_dual_bitop2_b32 v65, 31, v0 bitop3:0x40
	s_cselect_b32 s55, -1, 0
	s_and_b32 s9, s2, s9
	v_cmp_gt_i32_e64 s0, s86, v18
	v_writelane_b32 v108, s9, 8
	v_cmp_gt_i32_e64 s9, s86, v6
	v_dual_lshlrev_b32 v0, 9, v10 :: v_dual_lshlrev_b32 v67, 3, v65
	v_cmp_gt_i32_e64 s10, s86, v14
	v_cndmask_b32_e32 v23, v27, v23, vcc_lo
	s_and_b32 s9, s9, s0
	v_dual_sub_nc_u32 v69, 0, v0 :: v_dual_sub_nc_u32 v70, v67, v0
	v_writelane_b32 v108, s9, 9
	v_dual_add_nc_u32 v0, s16, v4 :: v_dual_add_nc_u32 v22, v38, v22
	v_lshl_add_u32 v27, v38, 6, v2
	v_cmp_gt_i32_e64 s11, s86, v15
	s_and_b32 s9, s10, s0
	v_lshlrev_b32_e32 v80, 3, v25
	v_writelane_b32 v108, s9, 10
	v_cndmask_b32_e32 v22, v27, v22, vcc_lo
	v_cmp_le_i32_e32 vcc_lo, s15, v48
	v_cmp_ge_u32_e64 s6, v2, v48
	s_and_b32 s9, s11, s0
	v_cmp_ge_u32_e64 s7, v2, v32
	v_writelane_b32 v108, s9, 11
	v_cmp_le_i32_e64 s9, s15, v32
	s_or_b32 s11, vcc_lo, s14
	v_cmp_le_i32_e64 s10, s15, v33
	s_or_b32 s11, s11, s6
	v_cmp_ge_u32_e64 s8, v2, v33
	v_writelane_b32 v108, s11, 12
	s_or_b32 s9, s9, s14
	v_cmp_le_i32_e32 vcc_lo, s15, v38
	s_or_b32 s9, s9, s7
	s_or_b32 s10, s10, s14
	v_writelane_b32 v108, s9, 13
	v_cmp_ge_u32_e64 s9, v2, v38
	s_or_b32 s10, s10, s8
	s_or_b32 s11, vcc_lo, s14
	v_mul_u64_e32 v[8:9], s[12:13], v[18:19]
	v_writelane_b32 v108, s10, 14
	s_or_b32 s10, s11, s9
	v_cmp_ne_u32_e64 s11, v2, v32
	v_lshl_add_u32 v68, v10, 3, 0x8000
	v_mul_u64_e32 v[10:11], s[74:75], v[18:19]
	v_writelane_b32 v108, s10, 15
	v_cmp_ne_u32_e64 s10, v2, v48
	v_mad_nc_u64_u32 v[12:13], s12, v48, v[20:21]
	v_mad_nc_u64_u32 v[14:15], s12, v32, v[20:21]
	;; [unrolled: 1-line block ×4, first 2 shown]
	v_writelane_b32 v108, s10, 16
	s_or_b32 s10, s14, s10
	v_cmp_ne_u32_e64 s12, v2, v33
	v_mad_u32_u24 v72, 0x1f8, v2, v71
	v_add_nc_u64_e32 v[16:17], s[16:17], v[4:5]
	v_writelane_b32 v108, s10, 17
	s_or_b32 s10, s14, s11
	v_mad_u32 v13, s13, v48, v13
	v_mad_u32 v15, s13, v32, v15
	v_mad_u32 v19, s13, v33, v19
	v_writelane_b32 v108, s11, 18
	v_mad_u32 v21, s13, v38, v21
	v_cmp_ne_u32_e64 s13, v2, v38
	v_mad_i32_i24 v73, 0xfffffe08, v2, v72
	v_mul_i32_i24_e32 v56, 0xfffffe08, v2
	v_writelane_b32 v108, s10, 19
	s_or_b32 s10, s14, s12
                                        ; implicit-def: $vgpr99 : SGPR spill to VGPR lane
	v_dual_lshlrev_b32 v77, 3, v24 :: v_dual_bitop2_b32 v40, v32, v2 bitop3:0x54
	v_mad_u32_u24 v5, 0x1f8, v2, v73
	v_writelane_b32 v108, s12, 20
	v_mul_lo_u32 v24, v56, 6
	v_dual_lshlrev_b32 v82, 3, v23 :: v_dual_bitop2_b32 v41, v33, v2 bitop3:0x54
	s_delay_alu instid0(VALU_DEP_4)
	v_mad_i32_i24 v74, 0xfffffe08, v2, v5
	v_writelane_b32 v108, s10, 21
	s_or_b32 s10, s14, s13
	v_mbcnt_lo_u32_b32 v23, -1, 0
	v_mul_u32_u24_e32 v26, 0x1f8, v2
	v_mad_u32_u24 v75, 0x1f8, v2, v74
	v_writelane_b32 v108, s13, 22
	s_delay_alu instid0(VALU_DEP_4) | instskip(NEXT) | instid1(VALU_DEP_4)
	v_dual_mov_b32 v36, 0 :: v_dual_lshlrev_b32 v37, 20, v23
	v_mad_u32 v42, v26, 7, v24
	s_delay_alu instid0(VALU_DEP_4) | instskip(SKIP_3) | instid1(VALU_DEP_4)
	v_mad_i32_i24 v76, 0xfffffe08, v2, v75
	v_writelane_b32 v108, s10, 23
	v_cmp_le_i32_e64 s10, s86, v39
	v_dual_lshlrev_b32 v86, 3, v22 :: v_dual_lshlrev_b32 v24, 3, v48
	v_mad_u32_u24 v78, 0x1f8, v2, v76
	v_add_nc_u64_e32 v[22:23], src_flat_scratch_base_lo, v[36:37]
	s_delay_alu instid0(VALU_DEP_4)
	v_writelane_b32 v108, s10, 24
	v_cmp_gt_u32_e64 s10, 64, v35
	v_or_b32_e32 v88, 0xa000, v24
	v_mad_i32_i24 v79, 0xfffffe08, v2, v78
	v_or_b32_e32 v44, v38, v2
	v_mul_u64_e32 v[16:17], s[74:75], v[16:17]
	v_writelane_b32 v108, s10, 25
	v_cmp_gt_u32_e64 s10, 0xf0, v34
	v_mad_u32_u24 v81, 0x1f8, v2, v79
	v_mul_u64_e32 v[28:29], s[74:75], v[0:1]
	v_lshlrev_b32_e32 v45, 9, v65
	v_mul_u32_u24_e32 v43, 0x1f0, v2
	v_writelane_b32 v108, s10, 26
	v_cmp_gt_u32_e64 s10, 0xe0, v34
	v_mad_i32_i24 v83, 0xfffffe08, v2, v81
	v_mov_b64_e32 v[30:31], 0
	v_cmp_lt_u32_e32 vcc_lo, 0x3ff, v34
	v_lshl_add_u32 v90, v4, 3, 0xa000
	v_writelane_b32 v108, s10, 27
	v_cmp_gt_u32_e64 s10, 0xd0, v34
	v_mad_u32_u24 v84, 0x1f8, v2, v83
	v_lshl_add_u32 v91, v34, 3, 0x8000
	v_add_nc_u32_e32 v92, 0x8000, v71
	v_lshl_add_u32 v93, v48, 9, v83
	v_writelane_b32 v108, s10, 28
	v_cmp_gt_u32_e64 s10, 0xc0, v34
	v_mad_i32_i24 v85, 0xfffffe08, v2, v84
	v_or_b32_e32 v95, 0x3c00, v67
	v_subrev_nc_u32_e32 v96, 31, v65
	v_sub_nc_u32_e32 v98, v42, v43
	v_writelane_b32 v108, s10, 29
	v_cmp_gt_u32_e64 s10, 0xb0, v34
	v_mad_u32_u24 v87, 0x1f8, v2, v85
	v_mov_b32_e32 v36, 8
	v_cmp_eq_u32_e64 s15, 0, v35
	v_cmp_gt_u32_e64 s17, 2, v34
	v_writelane_b32 v108, s10, 30
	v_cmp_gt_u32_e64 s10, 0xa0, v34
	v_add_nc_u32_e32 v89, v87, v24
	v_add_nc_u64_e32 v[24:25], src_flat_scratch_base_lo, v[36:37]
	v_mov_b32_e32 v36, 16
	v_cmp_gt_u32_e64 s18, 12, v34
	v_writelane_b32 v108, s10, 31
	v_cmp_gt_u32_e64 s10, 0x90, v34
	v_cmp_gt_u32_e64 s19, 8, v34
	v_add_nc_u64_e32 v[26:27], src_flat_scratch_base_lo, v[36:37]
	v_dual_mov_b32 v36, 24 :: v_dual_add_nc_u32 v94, v88, v71
	v_add_nc_u32_e32 v97, v67, v45
	v_writelane_b32 v99, s10, 0
	v_cmp_gt_u32_e64 s10, 0x80, v34
	s_delay_alu instid0(VALU_DEP_4)
	v_add_nc_u64_e32 v[32:33], src_flat_scratch_base_lo, v[36:37]
	v_cmp_gt_u32_e64 s20, 56, v34
	v_cmp_gt_u32_e64 s21, 48, v34
	;; [unrolled: 1-line block ×3, first 2 shown]
	v_writelane_b32 v99, s10, 1
	v_cmp_gt_u32_e64 s10, 0x70, v34
	v_cmp_gt_u32_e64 s23, 32, v34
	;; [unrolled: 1-line block ×5, first 2 shown]
	v_writelane_b32 v99, s10, 2
	v_cmp_gt_u32_e64 s10, 0x50, v34
	v_cmp_eq_u32_e64 s38, 0, v4
	v_cmp_gt_u32_e64 s39, 64, v4
	s_xor_b32 s14, vcc_lo, -1
	s_lshl_b64 s[78:79], s[78:79], 3
	v_writelane_b32 v99, s10, 3
	v_cmp_gt_u32_e64 s10, 64, v40
	s_lshl_b64 s[72:73], s[72:73], 3
	v_writelane_b32 v99, s10, 4
	v_cmp_gt_u32_e64 s10, 64, v41
	s_delay_alu instid0(VALU_DEP_1) | instskip(SKIP_1) | instid1(VALU_DEP_1)
	v_writelane_b32 v99, s10, 5
	v_cmp_gt_u32_e64 s10, 64, v44
	v_writelane_b32 v99, s10, 6
	v_cmp_gt_u32_e64 s10, 0x3e0, v34
	s_delay_alu instid0(VALU_DEP_1) | instskip(SKIP_1) | instid1(VALU_DEP_1)
	v_writelane_b32 v99, s10, 7
	v_cmp_gt_u32_e64 s10, 0x3c0, v34
	;; [unrolled: 5-line block ×12, first 2 shown]
	v_writelane_b32 v99, s10, 28
	v_cmp_gt_u32_e64 s10, 0x120, v34
	s_delay_alu instid0(VALU_DEP_1)
	v_writelane_b32 v99, s10, 29
	s_branch .LBB149_3
.LBB149_2:                              ;   in Loop: Header=BB149_3 Depth=1
	s_wait_xcnt 0x0
	s_or_b32 exec_lo, exec_lo, s10
	s_add_co_i32 s80, s80, 0x10000
	global_wb scope:SCOPE_DEV
	s_wait_storecnt 0x0
	global_inv scope:SCOPE_DEV
	s_cmp_lt_u32 s80, s67
	s_cbranch_scc0 .LBB149_1160
.LBB149_3:                              ; =>This Loop Header: Depth=1
                                        ;     Child Loop BB149_570 Depth 2
                                        ;     Child Loop BB149_1010 Depth 2
                                        ;       Child Loop BB149_1012 Depth 3
                                        ;     Child Loop BB149_1041 Depth 2
	v_mov_b32_e32 v0, s80
	v_readlane_b32 s10, v108, 0
	s_clause 0x1
	global_load_b64 v[34:35], v0, s[76:77] scale_offset
	global_load_b64 v[38:39], v0, s[70:71] scale_offset
	global_load_b64 v[36:37], v1, s[68:69]
	s_and_not1_b32 vcc_lo, exec_lo, s10
	s_wait_loadcnt 0x2
	v_add_nc_u64_e32 v[40:41], s[78:79], v[34:35]
	s_delay_alu instid0(VALU_DEP_1)
	v_lshl_add_u64 v[34:35], v[8:9], 3, v[40:41]
	s_cbranch_vccz .LBB149_6
; %bb.4:                                ;   in Loop: Header=BB149_3 Depth=1
	s_and_not1_b32 vcc_lo, exec_lo, s89
	s_mov_b32 s10, -1
	s_cbranch_vccz .LBB149_17
.LBB149_5:                              ;   in Loop: Header=BB149_3 Depth=1
	s_and_b32 vcc_lo, exec_lo, s10
	s_cbranch_vccnz .LBB149_27
	s_branch .LBB149_84
.LBB149_6:                              ;   in Loop: Header=BB149_3 Depth=1
	s_delay_alu instid0(VALU_DEP_1)
	v_lshl_add_u64 v[42:43], v[6:7], 3, v[34:35]
	v_dual_mov_b32 v44, 0 :: v_dual_mov_b32 v46, 0
	v_mov_b32_e32 v47, 0
	v_readlane_b32 s11, v108, 9
	s_wait_loadcnt 0x0
	s_barrier_signal -1
	s_barrier_wait -1
	s_wait_xcnt 0x0
	s_and_saveexec_b32 s10, s11
	s_cbranch_execz .LBB149_8
; %bb.7:                                ;   in Loop: Header=BB149_3 Depth=1
	flat_load_b64 v[46:47], v[42:43]
.LBB149_8:                              ;   in Loop: Header=BB149_3 Depth=1
	s_wait_xcnt 0x0
	s_or_b32 exec_lo, exec_lo, s10
	v_mov_b32_e32 v45, 0
	v_readlane_b32 s11, v108, 10
	s_wait_loadcnt_dscnt 0x0
	scratch_store_b64 off, v[46:47], off
	s_wait_storecnt 0x0
	s_barrier_signal -1
	s_barrier_wait -1
	s_wait_xcnt 0x0
	s_and_saveexec_b32 s10, s11
	s_cbranch_execz .LBB149_10
; %bb.9:                                ;   in Loop: Header=BB149_3 Depth=1
	flat_load_b64 v[44:45], v[42:43] offset:128
.LBB149_10:                             ;   in Loop: Header=BB149_3 Depth=1
	s_wait_xcnt 0x0
	s_or_b32 exec_lo, exec_lo, s10
	s_wait_loadcnt_dscnt 0x0
	scratch_store_b64 off, v[44:45], off offset:8
	s_wait_xcnt 0x0
	v_dual_mov_b32 v44, 0 :: v_dual_mov_b32 v45, 0
	v_readlane_b32 s11, v108, 11
	s_wait_storecnt 0x0
	s_barrier_signal -1
	s_barrier_wait -1
	s_and_saveexec_b32 s10, s11
	s_cbranch_execz .LBB149_12
; %bb.11:                               ;   in Loop: Header=BB149_3 Depth=1
	flat_load_b64 v[44:45], v[42:43] offset:256
.LBB149_12:                             ;   in Loop: Header=BB149_3 Depth=1
	s_wait_xcnt 0x0
	s_or_b32 exec_lo, exec_lo, s10
	v_readlane_b32 s11, v108, 24
	s_wait_loadcnt_dscnt 0x0
	scratch_store_b64 off, v[44:45], off offset:16
	s_wait_storecnt 0x0
	s_barrier_signal -1
	s_barrier_wait -1
	s_wait_xcnt 0x0
	s_and_saveexec_b32 s10, s11
	s_delay_alu instid0(SALU_CYCLE_1)
	s_xor_b32 s10, exec_lo, s10
	s_cbranch_execz .LBB149_14
; %bb.13:                               ;   in Loop: Header=BB149_3 Depth=1
	scratch_store_b64 off, v[30:31], off offset:24
                                        ; implicit-def: $vgpr42_vgpr43
.LBB149_14:                             ;   in Loop: Header=BB149_3 Depth=1
	s_wait_xcnt 0x0
	s_and_not1_saveexec_b32 s10, s10
	s_cbranch_execz .LBB149_16
; %bb.15:                               ;   in Loop: Header=BB149_3 Depth=1
	flat_load_b64 v[42:43], v[42:43] offset:384
	s_wait_loadcnt_dscnt 0x0
	scratch_store_b64 off, v[42:43], off offset:24
.LBB149_16:                             ;   in Loop: Header=BB149_3 Depth=1
	s_wait_xcnt 0x0
	s_or_b32 exec_lo, exec_lo, s10
	s_delay_alu instid0(SALU_CYCLE_1)
	s_and_not1_b32 vcc_lo, exec_lo, s89
	s_mov_b32 s10, -1
	s_cbranch_vccnz .LBB149_5
.LBB149_17:                             ;   in Loop: Header=BB149_3 Depth=1
	s_wait_xcnt 0x0
	s_and_saveexec_b32 s10, s6
	s_delay_alu instid0(SALU_CYCLE_1)
	s_xor_b32 s16, exec_lo, s10
	s_cbranch_execnz .LBB149_1054
; %bb.18:                               ;   in Loop: Header=BB149_3 Depth=1
	s_and_not1_saveexec_b32 s10, s16
	s_cbranch_execnz .LBB149_1065
.LBB149_19:                             ;   in Loop: Header=BB149_3 Depth=1
	s_or_b32 exec_lo, exec_lo, s10
	s_and_saveexec_b32 s10, s7
	s_delay_alu instid0(SALU_CYCLE_1)
	s_xor_b32 s16, exec_lo, s10
	s_cbranch_execnz .LBB149_1066
.LBB149_20:                             ;   in Loop: Header=BB149_3 Depth=1
	s_and_not1_saveexec_b32 s10, s16
	s_cbranch_execnz .LBB149_1077
.LBB149_21:                             ;   in Loop: Header=BB149_3 Depth=1
	s_or_b32 exec_lo, exec_lo, s10
	s_and_saveexec_b32 s10, s8
	s_delay_alu instid0(SALU_CYCLE_1)
	s_xor_b32 s16, exec_lo, s10
	s_cbranch_execnz .LBB149_1078
.LBB149_22:                             ;   in Loop: Header=BB149_3 Depth=1
	s_and_not1_saveexec_b32 s10, s16
	s_cbranch_execnz .LBB149_1089
.LBB149_23:                             ;   in Loop: Header=BB149_3 Depth=1
	s_or_b32 exec_lo, exec_lo, s10
	s_and_saveexec_b32 s10, s9
	s_delay_alu instid0(SALU_CYCLE_1)
	s_xor_b32 s16, exec_lo, s10
	s_cbranch_execnz .LBB149_1090
.LBB149_24:                             ;   in Loop: Header=BB149_3 Depth=1
	s_and_not1_saveexec_b32 s10, s16
	s_cbranch_execz .LBB149_26
.LBB149_25:                             ;   in Loop: Header=BB149_3 Depth=1
	v_lshl_add_u64 v[42:43], v[20:21], 3, v[40:41]
	flat_load_b64 v[42:43], v[42:43]
	s_wait_loadcnt_dscnt 0x0
	v_pk_add_f32 v[42:43], v[42:43], 0 neg_lo:[1,1] neg_hi:[1,1]
	ds_store_b64 v86, v[42:43]
.LBB149_26:                             ;   in Loop: Header=BB149_3 Depth=1
	s_or_b32 exec_lo, exec_lo, s10
	s_branch .LBB149_84
.LBB149_27:                             ;   in Loop: Header=BB149_3 Depth=1
	v_readlane_b32 s11, v108, 12
	s_wait_xcnt 0x0
	s_and_saveexec_b32 s10, s11
	s_delay_alu instid0(SALU_CYCLE_1)
	s_xor_b32 s16, exec_lo, s10
	s_cbranch_execz .LBB149_39
; %bb.28:                               ;   in Loop: Header=BB149_3 Depth=1
	v_readlane_b32 s11, v108, 17
	s_and_saveexec_b32 s10, s11
	s_delay_alu instid0(SALU_CYCLE_1)
	s_xor_b32 s10, exec_lo, s10
	s_cbranch_execz .LBB149_32
; %bb.29:                               ;   in Loop: Header=BB149_3 Depth=1
	v_readlane_b32 s11, v108, 25
	s_and_saveexec_b32 s66, s11
; %bb.30:                               ;   in Loop: Header=BB149_3 Depth=1
	ds_store_b64 v89, v[30:31]
; %bb.31:                               ;   in Loop: Header=BB149_3 Depth=1
	s_or_b32 exec_lo, exec_lo, s66
.LBB149_32:                             ;   in Loop: Header=BB149_3 Depth=1
	s_and_not1_saveexec_b32 s66, s10
	s_cbranch_execz .LBB149_38
; %bb.33:                               ;   in Loop: Header=BB149_3 Depth=1
	v_lshl_add_u64 v[42:43], v[12:13], 3, v[40:41]
	s_mov_b32 s84, exec_lo
                                        ; implicit-def: $vgpr44_vgpr45
	flat_load_b64 v[42:43], v[42:43]
	s_wait_loadcnt_dscnt 0x0
	v_cmpx_ngt_f32_e64 |v42|, |v43|
	s_xor_b32 s84, exec_lo, s84
	s_cbranch_execz .LBB149_35
; %bb.34:                               ;   in Loop: Header=BB149_3 Depth=1
	v_div_scale_f32 v0, null, v43, v43, v42
	v_div_scale_f32 v46, vcc_lo, v42, v43, v42
	s_delay_alu instid0(VALU_DEP_2) | instskip(SKIP_1) | instid1(TRANS32_DEP_1)
	v_rcp_f32_e32 v44, v0
	v_nop
	v_fma_f32 v45, -v0, v44, 1.0
	s_delay_alu instid0(VALU_DEP_1) | instskip(NEXT) | instid1(VALU_DEP_1)
	v_fmac_f32_e32 v44, v45, v44
	v_mul_f32_e32 v45, v46, v44
	s_delay_alu instid0(VALU_DEP_1) | instskip(NEXT) | instid1(VALU_DEP_1)
	v_fma_f32 v47, -v0, v45, v46
	v_fmac_f32_e32 v45, v47, v44
	s_delay_alu instid0(VALU_DEP_1) | instskip(NEXT) | instid1(VALU_DEP_1)
	v_fma_f32 v0, -v0, v45, v46
	v_div_fmas_f32 v0, v0, v44, v45
	s_delay_alu instid0(VALU_DEP_1) | instskip(NEXT) | instid1(VALU_DEP_1)
	v_div_fixup_f32 v0, v0, v43, v42
	v_fmac_f32_e32 v43, v42, v0
	s_delay_alu instid0(VALU_DEP_1) | instskip(SKIP_1) | instid1(VALU_DEP_2)
	v_div_scale_f32 v42, null, v43, v43, 1.0
	v_div_scale_f32 v46, vcc_lo, 1.0, v43, 1.0
	v_rcp_f32_e32 v44, v42
	v_nop
	s_delay_alu instid0(TRANS32_DEP_1) | instskip(NEXT) | instid1(VALU_DEP_1)
	v_fma_f32 v45, -v42, v44, 1.0
	v_fmac_f32_e32 v44, v45, v44
	s_delay_alu instid0(VALU_DEP_1) | instskip(NEXT) | instid1(VALU_DEP_1)
	v_mul_f32_e32 v45, v46, v44
	v_fma_f32 v47, -v42, v45, v46
	s_delay_alu instid0(VALU_DEP_1) | instskip(NEXT) | instid1(VALU_DEP_1)
	v_fmac_f32_e32 v45, v47, v44
	v_fma_f32 v42, -v42, v45, v46
	s_delay_alu instid0(VALU_DEP_1) | instskip(NEXT) | instid1(VALU_DEP_1)
	v_div_fmas_f32 v42, v42, v44, v45
	v_div_fixup_f32 v42, v42, v43, 1.0
	s_delay_alu instid0(VALU_DEP_1)
	v_mul_f32_e32 v44, v0, v42
	v_xor_b32_e32 v45, 0x80000000, v42
                                        ; implicit-def: $vgpr42_vgpr43
.LBB149_35:                             ;   in Loop: Header=BB149_3 Depth=1
	s_and_not1_saveexec_b32 s84, s84
	s_cbranch_execz .LBB149_37
; %bb.36:                               ;   in Loop: Header=BB149_3 Depth=1
	v_div_scale_f32 v0, null, v42, v42, v43
	v_div_scale_f32 v46, vcc_lo, v43, v42, v43
	s_delay_alu instid0(VALU_DEP_2) | instskip(SKIP_1) | instid1(TRANS32_DEP_1)
	v_rcp_f32_e32 v44, v0
	v_nop
	v_fma_f32 v45, -v0, v44, 1.0
	s_delay_alu instid0(VALU_DEP_1) | instskip(NEXT) | instid1(VALU_DEP_1)
	v_fmac_f32_e32 v44, v45, v44
	v_mul_f32_e32 v45, v46, v44
	s_delay_alu instid0(VALU_DEP_1) | instskip(NEXT) | instid1(VALU_DEP_1)
	v_fma_f32 v47, -v0, v45, v46
	v_fmac_f32_e32 v45, v47, v44
	s_delay_alu instid0(VALU_DEP_1) | instskip(NEXT) | instid1(VALU_DEP_1)
	v_fma_f32 v0, -v0, v45, v46
	v_div_fmas_f32 v0, v0, v44, v45
	s_delay_alu instid0(VALU_DEP_1) | instskip(NEXT) | instid1(VALU_DEP_1)
	v_div_fixup_f32 v0, v0, v42, v43
	v_fmac_f32_e32 v42, v43, v0
	s_delay_alu instid0(VALU_DEP_1) | instskip(NEXT) | instid1(VALU_DEP_1)
	v_div_scale_f32 v43, null, v42, v42, 1.0
	v_rcp_f32_e32 v44, v43
	v_nop
	s_delay_alu instid0(TRANS32_DEP_1) | instskip(NEXT) | instid1(VALU_DEP_1)
	v_fma_f32 v45, -v43, v44, 1.0
	v_fmac_f32_e32 v44, v45, v44
	v_div_scale_f32 v45, vcc_lo, 1.0, v42, 1.0
	s_delay_alu instid0(VALU_DEP_1) | instskip(NEXT) | instid1(VALU_DEP_1)
	v_mul_f32_e32 v46, v45, v44
	v_fma_f32 v47, -v43, v46, v45
	s_delay_alu instid0(VALU_DEP_1) | instskip(NEXT) | instid1(VALU_DEP_1)
	v_fmac_f32_e32 v46, v47, v44
	v_fma_f32 v43, -v43, v46, v45
	s_delay_alu instid0(VALU_DEP_1) | instskip(NEXT) | instid1(VALU_DEP_1)
	v_div_fmas_f32 v43, v43, v44, v46
	v_div_fixup_f32 v44, v43, v42, 1.0
	s_delay_alu instid0(VALU_DEP_1)
	v_mul_f32_e64 v45, v0, -v44
.LBB149_37:                             ;   in Loop: Header=BB149_3 Depth=1
	s_or_b32 exec_lo, exec_lo, s84
	ds_store_b64 v89, v[44:45]
.LBB149_38:                             ;   in Loop: Header=BB149_3 Depth=1
	s_or_b32 exec_lo, exec_lo, s66
.LBB149_39:                             ;   in Loop: Header=BB149_3 Depth=1
	s_and_not1_saveexec_b32 s10, s16
	s_cbranch_execz .LBB149_41
; %bb.40:                               ;   in Loop: Header=BB149_3 Depth=1
	v_lshl_add_u64 v[42:43], v[12:13], 3, v[40:41]
	flat_load_b64 v[42:43], v[42:43]
	s_wait_loadcnt_dscnt 0x0
	v_pk_add_f32 v[42:43], v[42:43], 0 neg_lo:[1,1] neg_hi:[1,1]
	ds_store_b64 v89, v[42:43]
.LBB149_41:                             ;   in Loop: Header=BB149_3 Depth=1
	s_or_b32 exec_lo, exec_lo, s10
	v_readlane_b32 s11, v108, 13
	s_and_saveexec_b32 s10, s11
	s_delay_alu instid0(SALU_CYCLE_1)
	s_xor_b32 s16, exec_lo, s10
	s_cbranch_execz .LBB149_53
; %bb.42:                               ;   in Loop: Header=BB149_3 Depth=1
	v_readlane_b32 s11, v108, 19
	s_and_saveexec_b32 s10, s11
	s_delay_alu instid0(SALU_CYCLE_1)
	s_xor_b32 s10, exec_lo, s10
	s_cbranch_execz .LBB149_46
; %bb.43:                               ;   in Loop: Header=BB149_3 Depth=1
	v_readlane_b32 s11, v99, 4
	s_and_saveexec_b32 s66, s11
; %bb.44:                               ;   in Loop: Header=BB149_3 Depth=1
	ds_store_b64 v80, v[30:31]
; %bb.45:                               ;   in Loop: Header=BB149_3 Depth=1
	s_or_b32 exec_lo, exec_lo, s66
.LBB149_46:                             ;   in Loop: Header=BB149_3 Depth=1
	s_and_not1_saveexec_b32 s66, s10
	s_cbranch_execz .LBB149_52
; %bb.47:                               ;   in Loop: Header=BB149_3 Depth=1
	v_lshl_add_u64 v[42:43], v[14:15], 3, v[40:41]
	s_mov_b32 s84, exec_lo
                                        ; implicit-def: $vgpr44_vgpr45
	flat_load_b64 v[42:43], v[42:43]
	s_wait_loadcnt_dscnt 0x0
	v_cmpx_ngt_f32_e64 |v42|, |v43|
	s_xor_b32 s84, exec_lo, s84
	s_cbranch_execz .LBB149_49
; %bb.48:                               ;   in Loop: Header=BB149_3 Depth=1
	v_div_scale_f32 v0, null, v43, v43, v42
	v_div_scale_f32 v46, vcc_lo, v42, v43, v42
	s_delay_alu instid0(VALU_DEP_2) | instskip(SKIP_1) | instid1(TRANS32_DEP_1)
	v_rcp_f32_e32 v44, v0
	v_nop
	v_fma_f32 v45, -v0, v44, 1.0
	s_delay_alu instid0(VALU_DEP_1) | instskip(NEXT) | instid1(VALU_DEP_1)
	v_fmac_f32_e32 v44, v45, v44
	v_mul_f32_e32 v45, v46, v44
	s_delay_alu instid0(VALU_DEP_1) | instskip(NEXT) | instid1(VALU_DEP_1)
	v_fma_f32 v47, -v0, v45, v46
	v_fmac_f32_e32 v45, v47, v44
	s_delay_alu instid0(VALU_DEP_1) | instskip(NEXT) | instid1(VALU_DEP_1)
	v_fma_f32 v0, -v0, v45, v46
	v_div_fmas_f32 v0, v0, v44, v45
	s_delay_alu instid0(VALU_DEP_1) | instskip(NEXT) | instid1(VALU_DEP_1)
	v_div_fixup_f32 v0, v0, v43, v42
	v_fmac_f32_e32 v43, v42, v0
	s_delay_alu instid0(VALU_DEP_1) | instskip(SKIP_1) | instid1(VALU_DEP_2)
	v_div_scale_f32 v42, null, v43, v43, 1.0
	v_div_scale_f32 v46, vcc_lo, 1.0, v43, 1.0
	v_rcp_f32_e32 v44, v42
	v_nop
	s_delay_alu instid0(TRANS32_DEP_1) | instskip(NEXT) | instid1(VALU_DEP_1)
	v_fma_f32 v45, -v42, v44, 1.0
	v_fmac_f32_e32 v44, v45, v44
	s_delay_alu instid0(VALU_DEP_1) | instskip(NEXT) | instid1(VALU_DEP_1)
	v_mul_f32_e32 v45, v46, v44
	v_fma_f32 v47, -v42, v45, v46
	s_delay_alu instid0(VALU_DEP_1) | instskip(NEXT) | instid1(VALU_DEP_1)
	v_fmac_f32_e32 v45, v47, v44
	v_fma_f32 v42, -v42, v45, v46
	s_delay_alu instid0(VALU_DEP_1) | instskip(NEXT) | instid1(VALU_DEP_1)
	v_div_fmas_f32 v42, v42, v44, v45
	v_div_fixup_f32 v42, v42, v43, 1.0
	s_delay_alu instid0(VALU_DEP_1)
	v_mul_f32_e32 v44, v0, v42
	v_xor_b32_e32 v45, 0x80000000, v42
                                        ; implicit-def: $vgpr42_vgpr43
.LBB149_49:                             ;   in Loop: Header=BB149_3 Depth=1
	s_and_not1_saveexec_b32 s84, s84
	s_cbranch_execz .LBB149_51
; %bb.50:                               ;   in Loop: Header=BB149_3 Depth=1
	v_div_scale_f32 v0, null, v42, v42, v43
	v_div_scale_f32 v46, vcc_lo, v43, v42, v43
	s_delay_alu instid0(VALU_DEP_2) | instskip(SKIP_1) | instid1(TRANS32_DEP_1)
	v_rcp_f32_e32 v44, v0
	v_nop
	v_fma_f32 v45, -v0, v44, 1.0
	s_delay_alu instid0(VALU_DEP_1) | instskip(NEXT) | instid1(VALU_DEP_1)
	v_fmac_f32_e32 v44, v45, v44
	v_mul_f32_e32 v45, v46, v44
	s_delay_alu instid0(VALU_DEP_1) | instskip(NEXT) | instid1(VALU_DEP_1)
	v_fma_f32 v47, -v0, v45, v46
	v_fmac_f32_e32 v45, v47, v44
	s_delay_alu instid0(VALU_DEP_1) | instskip(NEXT) | instid1(VALU_DEP_1)
	v_fma_f32 v0, -v0, v45, v46
	v_div_fmas_f32 v0, v0, v44, v45
	s_delay_alu instid0(VALU_DEP_1) | instskip(NEXT) | instid1(VALU_DEP_1)
	v_div_fixup_f32 v0, v0, v42, v43
	v_fmac_f32_e32 v42, v43, v0
	s_delay_alu instid0(VALU_DEP_1) | instskip(NEXT) | instid1(VALU_DEP_1)
	v_div_scale_f32 v43, null, v42, v42, 1.0
	v_rcp_f32_e32 v44, v43
	v_nop
	s_delay_alu instid0(TRANS32_DEP_1) | instskip(NEXT) | instid1(VALU_DEP_1)
	v_fma_f32 v45, -v43, v44, 1.0
	v_fmac_f32_e32 v44, v45, v44
	v_div_scale_f32 v45, vcc_lo, 1.0, v42, 1.0
	s_delay_alu instid0(VALU_DEP_1) | instskip(NEXT) | instid1(VALU_DEP_1)
	v_mul_f32_e32 v46, v45, v44
	v_fma_f32 v47, -v43, v46, v45
	s_delay_alu instid0(VALU_DEP_1) | instskip(NEXT) | instid1(VALU_DEP_1)
	v_fmac_f32_e32 v46, v47, v44
	v_fma_f32 v43, -v43, v46, v45
	s_delay_alu instid0(VALU_DEP_1) | instskip(NEXT) | instid1(VALU_DEP_1)
	v_div_fmas_f32 v43, v43, v44, v46
	v_div_fixup_f32 v44, v43, v42, 1.0
	s_delay_alu instid0(VALU_DEP_1)
	v_mul_f32_e64 v45, v0, -v44
.LBB149_51:                             ;   in Loop: Header=BB149_3 Depth=1
	s_or_b32 exec_lo, exec_lo, s84
	ds_store_b64 v80, v[44:45]
.LBB149_52:                             ;   in Loop: Header=BB149_3 Depth=1
	s_or_b32 exec_lo, exec_lo, s66
.LBB149_53:                             ;   in Loop: Header=BB149_3 Depth=1
	s_and_not1_saveexec_b32 s10, s16
	s_cbranch_execz .LBB149_55
; %bb.54:                               ;   in Loop: Header=BB149_3 Depth=1
	v_lshl_add_u64 v[42:43], v[14:15], 3, v[40:41]
	flat_load_b64 v[42:43], v[42:43]
	s_wait_loadcnt_dscnt 0x0
	v_pk_add_f32 v[42:43], v[42:43], 0 neg_lo:[1,1] neg_hi:[1,1]
	ds_store_b64 v80, v[42:43]
.LBB149_55:                             ;   in Loop: Header=BB149_3 Depth=1
	s_or_b32 exec_lo, exec_lo, s10
	v_readlane_b32 s11, v108, 14
	s_and_saveexec_b32 s10, s11
	s_delay_alu instid0(SALU_CYCLE_1)
	s_xor_b32 s16, exec_lo, s10
	s_cbranch_execz .LBB149_67
; %bb.56:                               ;   in Loop: Header=BB149_3 Depth=1
	v_readlane_b32 s11, v108, 21
	s_and_saveexec_b32 s10, s11
	s_delay_alu instid0(SALU_CYCLE_1)
	s_xor_b32 s10, exec_lo, s10
	s_cbranch_execz .LBB149_60
; %bb.57:                               ;   in Loop: Header=BB149_3 Depth=1
	v_readlane_b32 s11, v99, 5
	s_and_saveexec_b32 s66, s11
; %bb.58:                               ;   in Loop: Header=BB149_3 Depth=1
	ds_store_b64 v82, v[30:31]
; %bb.59:                               ;   in Loop: Header=BB149_3 Depth=1
	s_or_b32 exec_lo, exec_lo, s66
.LBB149_60:                             ;   in Loop: Header=BB149_3 Depth=1
	s_and_not1_saveexec_b32 s66, s10
	s_cbranch_execz .LBB149_66
; %bb.61:                               ;   in Loop: Header=BB149_3 Depth=1
	v_lshl_add_u64 v[42:43], v[18:19], 3, v[40:41]
	s_mov_b32 s84, exec_lo
                                        ; implicit-def: $vgpr44_vgpr45
	flat_load_b64 v[42:43], v[42:43]
	s_wait_loadcnt_dscnt 0x0
	v_cmpx_ngt_f32_e64 |v42|, |v43|
	s_xor_b32 s84, exec_lo, s84
	s_cbranch_execz .LBB149_63
; %bb.62:                               ;   in Loop: Header=BB149_3 Depth=1
	v_div_scale_f32 v0, null, v43, v43, v42
	v_div_scale_f32 v46, vcc_lo, v42, v43, v42
	s_delay_alu instid0(VALU_DEP_2) | instskip(SKIP_1) | instid1(TRANS32_DEP_1)
	v_rcp_f32_e32 v44, v0
	v_nop
	v_fma_f32 v45, -v0, v44, 1.0
	s_delay_alu instid0(VALU_DEP_1) | instskip(NEXT) | instid1(VALU_DEP_1)
	v_fmac_f32_e32 v44, v45, v44
	v_mul_f32_e32 v45, v46, v44
	s_delay_alu instid0(VALU_DEP_1) | instskip(NEXT) | instid1(VALU_DEP_1)
	v_fma_f32 v47, -v0, v45, v46
	v_fmac_f32_e32 v45, v47, v44
	s_delay_alu instid0(VALU_DEP_1) | instskip(NEXT) | instid1(VALU_DEP_1)
	v_fma_f32 v0, -v0, v45, v46
	v_div_fmas_f32 v0, v0, v44, v45
	s_delay_alu instid0(VALU_DEP_1) | instskip(NEXT) | instid1(VALU_DEP_1)
	v_div_fixup_f32 v0, v0, v43, v42
	v_fmac_f32_e32 v43, v42, v0
	s_delay_alu instid0(VALU_DEP_1) | instskip(SKIP_1) | instid1(VALU_DEP_2)
	v_div_scale_f32 v42, null, v43, v43, 1.0
	v_div_scale_f32 v46, vcc_lo, 1.0, v43, 1.0
	v_rcp_f32_e32 v44, v42
	v_nop
	s_delay_alu instid0(TRANS32_DEP_1) | instskip(NEXT) | instid1(VALU_DEP_1)
	v_fma_f32 v45, -v42, v44, 1.0
	v_fmac_f32_e32 v44, v45, v44
	s_delay_alu instid0(VALU_DEP_1) | instskip(NEXT) | instid1(VALU_DEP_1)
	v_mul_f32_e32 v45, v46, v44
	v_fma_f32 v47, -v42, v45, v46
	s_delay_alu instid0(VALU_DEP_1) | instskip(NEXT) | instid1(VALU_DEP_1)
	v_fmac_f32_e32 v45, v47, v44
	v_fma_f32 v42, -v42, v45, v46
	s_delay_alu instid0(VALU_DEP_1) | instskip(NEXT) | instid1(VALU_DEP_1)
	v_div_fmas_f32 v42, v42, v44, v45
	v_div_fixup_f32 v42, v42, v43, 1.0
	s_delay_alu instid0(VALU_DEP_1)
	v_mul_f32_e32 v44, v0, v42
	v_xor_b32_e32 v45, 0x80000000, v42
                                        ; implicit-def: $vgpr42_vgpr43
.LBB149_63:                             ;   in Loop: Header=BB149_3 Depth=1
	s_and_not1_saveexec_b32 s84, s84
	s_cbranch_execz .LBB149_65
; %bb.64:                               ;   in Loop: Header=BB149_3 Depth=1
	v_div_scale_f32 v0, null, v42, v42, v43
	v_div_scale_f32 v46, vcc_lo, v43, v42, v43
	s_delay_alu instid0(VALU_DEP_2) | instskip(SKIP_1) | instid1(TRANS32_DEP_1)
	v_rcp_f32_e32 v44, v0
	v_nop
	v_fma_f32 v45, -v0, v44, 1.0
	s_delay_alu instid0(VALU_DEP_1) | instskip(NEXT) | instid1(VALU_DEP_1)
	v_fmac_f32_e32 v44, v45, v44
	v_mul_f32_e32 v45, v46, v44
	s_delay_alu instid0(VALU_DEP_1) | instskip(NEXT) | instid1(VALU_DEP_1)
	v_fma_f32 v47, -v0, v45, v46
	v_fmac_f32_e32 v45, v47, v44
	s_delay_alu instid0(VALU_DEP_1) | instskip(NEXT) | instid1(VALU_DEP_1)
	v_fma_f32 v0, -v0, v45, v46
	v_div_fmas_f32 v0, v0, v44, v45
	s_delay_alu instid0(VALU_DEP_1) | instskip(NEXT) | instid1(VALU_DEP_1)
	v_div_fixup_f32 v0, v0, v42, v43
	v_fmac_f32_e32 v42, v43, v0
	s_delay_alu instid0(VALU_DEP_1) | instskip(NEXT) | instid1(VALU_DEP_1)
	v_div_scale_f32 v43, null, v42, v42, 1.0
	v_rcp_f32_e32 v44, v43
	v_nop
	s_delay_alu instid0(TRANS32_DEP_1) | instskip(NEXT) | instid1(VALU_DEP_1)
	v_fma_f32 v45, -v43, v44, 1.0
	v_fmac_f32_e32 v44, v45, v44
	v_div_scale_f32 v45, vcc_lo, 1.0, v42, 1.0
	s_delay_alu instid0(VALU_DEP_1) | instskip(NEXT) | instid1(VALU_DEP_1)
	v_mul_f32_e32 v46, v45, v44
	v_fma_f32 v47, -v43, v46, v45
	s_delay_alu instid0(VALU_DEP_1) | instskip(NEXT) | instid1(VALU_DEP_1)
	v_fmac_f32_e32 v46, v47, v44
	v_fma_f32 v43, -v43, v46, v45
	s_delay_alu instid0(VALU_DEP_1) | instskip(NEXT) | instid1(VALU_DEP_1)
	v_div_fmas_f32 v43, v43, v44, v46
	v_div_fixup_f32 v44, v43, v42, 1.0
	s_delay_alu instid0(VALU_DEP_1)
	v_mul_f32_e64 v45, v0, -v44
.LBB149_65:                             ;   in Loop: Header=BB149_3 Depth=1
	s_or_b32 exec_lo, exec_lo, s84
	ds_store_b64 v82, v[44:45]
.LBB149_66:                             ;   in Loop: Header=BB149_3 Depth=1
	s_or_b32 exec_lo, exec_lo, s66
.LBB149_67:                             ;   in Loop: Header=BB149_3 Depth=1
	s_and_not1_saveexec_b32 s10, s16
	s_cbranch_execz .LBB149_69
; %bb.68:                               ;   in Loop: Header=BB149_3 Depth=1
	v_lshl_add_u64 v[42:43], v[18:19], 3, v[40:41]
	flat_load_b64 v[42:43], v[42:43]
	s_wait_loadcnt_dscnt 0x0
	v_pk_add_f32 v[42:43], v[42:43], 0 neg_lo:[1,1] neg_hi:[1,1]
	ds_store_b64 v82, v[42:43]
.LBB149_69:                             ;   in Loop: Header=BB149_3 Depth=1
	s_or_b32 exec_lo, exec_lo, s10
	v_readlane_b32 s11, v108, 15
	s_and_saveexec_b32 s10, s11
	s_delay_alu instid0(SALU_CYCLE_1)
	s_xor_b32 s16, exec_lo, s10
	s_cbranch_execz .LBB149_81
; %bb.70:                               ;   in Loop: Header=BB149_3 Depth=1
	v_readlane_b32 s11, v108, 23
	s_and_saveexec_b32 s10, s11
	s_delay_alu instid0(SALU_CYCLE_1)
	s_xor_b32 s10, exec_lo, s10
	s_cbranch_execz .LBB149_74
; %bb.71:                               ;   in Loop: Header=BB149_3 Depth=1
	v_readlane_b32 s11, v99, 6
	s_and_saveexec_b32 s66, s11
; %bb.72:                               ;   in Loop: Header=BB149_3 Depth=1
	ds_store_b64 v86, v[30:31]
; %bb.73:                               ;   in Loop: Header=BB149_3 Depth=1
	s_or_b32 exec_lo, exec_lo, s66
                                        ; implicit-def: $vgpr40_vgpr41
.LBB149_74:                             ;   in Loop: Header=BB149_3 Depth=1
	s_and_not1_saveexec_b32 s66, s10
	s_cbranch_execz .LBB149_80
; %bb.75:                               ;   in Loop: Header=BB149_3 Depth=1
	v_lshl_add_u64 v[40:41], v[20:21], 3, v[40:41]
	s_mov_b32 s84, exec_lo
                                        ; implicit-def: $vgpr42_vgpr43
	flat_load_b64 v[40:41], v[40:41]
	s_wait_loadcnt_dscnt 0x0
	v_cmpx_ngt_f32_e64 |v40|, |v41|
	s_xor_b32 s84, exec_lo, s84
	s_cbranch_execz .LBB149_77
; %bb.76:                               ;   in Loop: Header=BB149_3 Depth=1
	v_div_scale_f32 v0, null, v41, v41, v40
	v_div_scale_f32 v44, vcc_lo, v40, v41, v40
	s_delay_alu instid0(VALU_DEP_2) | instskip(SKIP_1) | instid1(TRANS32_DEP_1)
	v_rcp_f32_e32 v42, v0
	v_nop
	v_fma_f32 v43, -v0, v42, 1.0
	s_delay_alu instid0(VALU_DEP_1) | instskip(NEXT) | instid1(VALU_DEP_1)
	v_fmac_f32_e32 v42, v43, v42
	v_mul_f32_e32 v43, v44, v42
	s_delay_alu instid0(VALU_DEP_1) | instskip(NEXT) | instid1(VALU_DEP_1)
	v_fma_f32 v45, -v0, v43, v44
	v_fmac_f32_e32 v43, v45, v42
	s_delay_alu instid0(VALU_DEP_1) | instskip(NEXT) | instid1(VALU_DEP_1)
	v_fma_f32 v0, -v0, v43, v44
	v_div_fmas_f32 v0, v0, v42, v43
	s_delay_alu instid0(VALU_DEP_1) | instskip(NEXT) | instid1(VALU_DEP_1)
	v_div_fixup_f32 v0, v0, v41, v40
	v_fmac_f32_e32 v41, v40, v0
	s_delay_alu instid0(VALU_DEP_1) | instskip(SKIP_1) | instid1(VALU_DEP_2)
	v_div_scale_f32 v40, null, v41, v41, 1.0
	v_div_scale_f32 v44, vcc_lo, 1.0, v41, 1.0
	v_rcp_f32_e32 v42, v40
	v_nop
	s_delay_alu instid0(TRANS32_DEP_1) | instskip(NEXT) | instid1(VALU_DEP_1)
	v_fma_f32 v43, -v40, v42, 1.0
	v_fmac_f32_e32 v42, v43, v42
	s_delay_alu instid0(VALU_DEP_1) | instskip(NEXT) | instid1(VALU_DEP_1)
	v_mul_f32_e32 v43, v44, v42
	v_fma_f32 v45, -v40, v43, v44
	s_delay_alu instid0(VALU_DEP_1) | instskip(NEXT) | instid1(VALU_DEP_1)
	v_fmac_f32_e32 v43, v45, v42
	v_fma_f32 v40, -v40, v43, v44
	s_delay_alu instid0(VALU_DEP_1) | instskip(NEXT) | instid1(VALU_DEP_1)
	v_div_fmas_f32 v40, v40, v42, v43
	v_div_fixup_f32 v40, v40, v41, 1.0
	s_delay_alu instid0(VALU_DEP_1)
	v_mul_f32_e32 v42, v0, v40
	v_xor_b32_e32 v43, 0x80000000, v40
                                        ; implicit-def: $vgpr40_vgpr41
.LBB149_77:                             ;   in Loop: Header=BB149_3 Depth=1
	s_and_not1_saveexec_b32 s84, s84
	s_cbranch_execz .LBB149_79
; %bb.78:                               ;   in Loop: Header=BB149_3 Depth=1
	v_div_scale_f32 v0, null, v40, v40, v41
	v_div_scale_f32 v44, vcc_lo, v41, v40, v41
	s_delay_alu instid0(VALU_DEP_2) | instskip(SKIP_1) | instid1(TRANS32_DEP_1)
	v_rcp_f32_e32 v42, v0
	v_nop
	v_fma_f32 v43, -v0, v42, 1.0
	s_delay_alu instid0(VALU_DEP_1) | instskip(NEXT) | instid1(VALU_DEP_1)
	v_fmac_f32_e32 v42, v43, v42
	v_mul_f32_e32 v43, v44, v42
	s_delay_alu instid0(VALU_DEP_1) | instskip(NEXT) | instid1(VALU_DEP_1)
	v_fma_f32 v45, -v0, v43, v44
	v_fmac_f32_e32 v43, v45, v42
	s_delay_alu instid0(VALU_DEP_1) | instskip(NEXT) | instid1(VALU_DEP_1)
	v_fma_f32 v0, -v0, v43, v44
	v_div_fmas_f32 v0, v0, v42, v43
	s_delay_alu instid0(VALU_DEP_1) | instskip(NEXT) | instid1(VALU_DEP_1)
	v_div_fixup_f32 v0, v0, v40, v41
	v_fmac_f32_e32 v40, v41, v0
	s_delay_alu instid0(VALU_DEP_1) | instskip(NEXT) | instid1(VALU_DEP_1)
	v_div_scale_f32 v41, null, v40, v40, 1.0
	v_rcp_f32_e32 v42, v41
	v_nop
	s_delay_alu instid0(TRANS32_DEP_1) | instskip(NEXT) | instid1(VALU_DEP_1)
	v_fma_f32 v43, -v41, v42, 1.0
	v_fmac_f32_e32 v42, v43, v42
	v_div_scale_f32 v43, vcc_lo, 1.0, v40, 1.0
	s_delay_alu instid0(VALU_DEP_1) | instskip(NEXT) | instid1(VALU_DEP_1)
	v_mul_f32_e32 v44, v43, v42
	v_fma_f32 v45, -v41, v44, v43
	s_delay_alu instid0(VALU_DEP_1) | instskip(NEXT) | instid1(VALU_DEP_1)
	v_fmac_f32_e32 v44, v45, v42
	v_fma_f32 v41, -v41, v44, v43
	s_delay_alu instid0(VALU_DEP_1) | instskip(NEXT) | instid1(VALU_DEP_1)
	v_div_fmas_f32 v41, v41, v42, v44
	v_div_fixup_f32 v42, v41, v40, 1.0
	s_delay_alu instid0(VALU_DEP_1)
	v_mul_f32_e64 v43, v0, -v42
.LBB149_79:                             ;   in Loop: Header=BB149_3 Depth=1
	s_or_b32 exec_lo, exec_lo, s84
	ds_store_b64 v86, v[42:43]
.LBB149_80:                             ;   in Loop: Header=BB149_3 Depth=1
	s_or_b32 exec_lo, exec_lo, s66
                                        ; implicit-def: $vgpr40_vgpr41
.LBB149_81:                             ;   in Loop: Header=BB149_3 Depth=1
	s_and_not1_saveexec_b32 s10, s16
	s_cbranch_execz .LBB149_83
; %bb.82:                               ;   in Loop: Header=BB149_3 Depth=1
	v_lshl_add_u64 v[40:41], v[20:21], 3, v[40:41]
	flat_load_b64 v[40:41], v[40:41]
	s_wait_loadcnt_dscnt 0x0
	v_pk_add_f32 v[40:41], v[40:41], 0 neg_lo:[1,1] neg_hi:[1,1]
	ds_store_b64 v86, v[40:41]
.LBB149_83:                             ;   in Loop: Header=BB149_3 Depth=1
	s_or_b32 exec_lo, exec_lo, s10
.LBB149_84:                             ;   in Loop: Header=BB149_3 Depth=1
	s_delay_alu instid0(SALU_CYCLE_1)
	s_and_not1_b32 vcc_lo, exec_lo, s90
	s_wait_storecnt 0x0
	s_wait_loadcnt_dscnt 0x0
	s_barrier_signal -1
	s_barrier_wait -1
	s_cbranch_vccnz .LBB149_1005
; %bb.85:                               ;   in Loop: Header=BB149_3 Depth=1
	s_wait_xcnt 0x0
	s_and_saveexec_b32 s10, s15
	s_cbranch_execz .LBB149_87
; %bb.86:                               ;   in Loop: Header=BB149_3 Depth=1
	v_add_nc_u32_e64 v0, 0x1f0, 0
	ds_load_b64 v[44:45], v1 offset:32760
	ds_load_2addr_stride64_b64 v[40:43], v0 offset0:62 offset1:63
	s_wait_dscnt 0x0
	v_dual_mul_f32 v46, v45, v41 :: v_dual_mul_f32 v0, v44, v41
	s_delay_alu instid0(VALU_DEP_1) | instskip(NEXT) | instid1(VALU_DEP_1)
	v_xor_b32_e32 v46, 0x80000000, v46
	v_dual_fmac_f32 v0, v45, v40 :: v_dual_fmac_f32 v46, v44, v40
	s_delay_alu instid0(VALU_DEP_1) | instskip(SKIP_1) | instid1(VALU_DEP_2)
	v_pk_mul_f32 v[40:41], v[0:1], v[42:43] op_sel:[0,1] op_sel_hi:[0,0]
	v_add_nc_u32_e64 v0, 0x7800, 0
	v_pk_fma_f32 v[44:45], v[46:47], v[42:43], v[40:41] op_sel_hi:[0,1,1]
	v_pk_fma_f32 v[40:41], v[46:47], v[42:43], v[40:41] neg_lo:[0,0,1] neg_hi:[0,0,1]
	s_delay_alu instid0(VALU_DEP_2)
	v_mov_b32_e32 v41, v45
	ds_store_2addr_b64 v0, v[40:41], v[40:41] offset0:191 offset1:254
.LBB149_87:                             ;   in Loop: Header=BB149_3 Depth=1
	s_or_b32 exec_lo, exec_lo, s10
	v_dual_mov_b32 v40, 0 :: v_dual_mov_b32 v41, 0
	s_wait_dscnt 0x0
	s_barrier_signal -1
	s_barrier_wait -1
	global_wb scope:SCOPE_DEV
	s_wait_storecnt 0x0
	global_inv scope:SCOPE_DEV
	s_and_saveexec_b32 s16, s1
	s_cbranch_execz .LBB149_91
; %bb.88:                               ;   in Loop: Header=BB149_3 Depth=1
	ds_load_b64 v[40:41], v50 offset:32224
	ds_load_b64 v[42:43], v51 offset:32752
	s_wait_dscnt 0x0
	v_pk_mul_f32 v[44:45], v[42:43], v[40:41] op_sel:[1,1] op_sel_hi:[0,1]
	s_delay_alu instid0(VALU_DEP_1) | instskip(SKIP_1) | instid1(VALU_DEP_2)
	v_pk_fma_f32 v[46:47], v[42:43], v[40:41], v[44:45] op_sel_hi:[1,0,1]
	v_pk_fma_f32 v[40:41], v[42:43], v[40:41], v[44:45] neg_lo:[0,0,1] neg_hi:[0,0,1]
	v_mov_b32_e32 v41, v47
	s_delay_alu instid0(VALU_DEP_1)
	v_pk_add_f32 v[40:41], v[40:41], 0 op_sel_hi:[1,0]
	s_and_saveexec_b32 s10, s17
	s_cbranch_execz .LBB149_90
; %bb.89:                               ;   in Loop: Header=BB149_3 Depth=1
	ds_load_b64 v[42:43], v71 offset:32736
	ds_load_b64 v[44:45], v1 offset:32760
	s_wait_dscnt 0x0
	v_pk_mul_f32 v[46:47], v[44:45], v[42:43] op_sel:[1,1] op_sel_hi:[0,1]
	s_delay_alu instid0(VALU_DEP_1) | instskip(SKIP_1) | instid1(VALU_DEP_2)
	v_pk_fma_f32 v[100:101], v[44:45], v[42:43], v[46:47] op_sel_hi:[1,0,1]
	v_pk_fma_f32 v[42:43], v[44:45], v[42:43], v[46:47] neg_lo:[0,0,1] neg_hi:[0,0,1]
	v_mov_b32_e32 v43, v101
	s_delay_alu instid0(VALU_DEP_1)
	v_pk_add_f32 v[40:41], v[40:41], v[42:43]
.LBB149_90:                             ;   in Loop: Header=BB149_3 Depth=1
	s_or_b32 exec_lo, exec_lo, s10
.LBB149_91:                             ;   in Loop: Header=BB149_3 Depth=1
	s_delay_alu instid0(SALU_CYCLE_1)
	s_or_b32 exec_lo, exec_lo, s16
	s_and_saveexec_b32 s10, s91
	s_cbranch_execz .LBB149_93
; %bb.92:                               ;   in Loop: Header=BB149_3 Depth=1
	ds_load_b64 v[42:43], v1 offset:31720
	s_wait_dscnt 0x0
	v_pk_mul_f32 v[44:45], v[40:41], v[42:43] op_sel:[1,1] op_sel_hi:[1,0]
	s_delay_alu instid0(VALU_DEP_1) | instskip(SKIP_1) | instid1(VALU_DEP_2)
	v_pk_fma_f32 v[46:47], v[40:41], v[42:43], v[44:45] op_sel_hi:[0,1,1]
	v_pk_fma_f32 v[40:41], v[40:41], v[42:43], v[44:45] neg_lo:[0,0,1] neg_hi:[0,0,1]
	v_mov_b32_e32 v41, v47
	s_delay_alu instid0(VALU_DEP_1)
	v_pk_add_f32 v[42:43], v[40:41], 0 neg_lo:[1,1] neg_hi:[1,1]
	ds_store_b64 v3, v[42:43]
.LBB149_93:                             ;   in Loop: Header=BB149_3 Depth=1
	s_or_b32 exec_lo, exec_lo, s10
	s_wait_loadcnt_dscnt 0x0
	s_barrier_signal -1
	s_barrier_wait -1
	s_and_saveexec_b32 s10, s92
	s_cbranch_execz .LBB149_95
; %bb.94:                               ;   in Loop: Header=BB149_3 Depth=1
	ds_load_b64 v[42:43], v1 offset:31712
	ds_load_b64 v[44:45], v3
	s_wait_dscnt 0x0
	v_pk_mul_f32 v[46:47], v[44:45], v[42:43] op_sel:[1,1] op_sel_hi:[0,1]
	s_delay_alu instid0(VALU_DEP_1) | instskip(SKIP_1) | instid1(VALU_DEP_2)
	v_pk_fma_f32 v[100:101], v[44:45], v[42:43], v[46:47] op_sel_hi:[1,0,1]
	v_pk_fma_f32 v[42:43], v[44:45], v[42:43], v[46:47] neg_lo:[0,0,1] neg_hi:[0,0,1]
	v_mov_b32_e32 v43, v101
	s_delay_alu instid0(VALU_DEP_1)
	v_pk_add_f32 v[40:41], v[40:41], v[42:43] neg_lo:[0,1] neg_hi:[0,1]
.LBB149_95:                             ;   in Loop: Header=BB149_3 Depth=1
	s_or_b32 exec_lo, exec_lo, s10
	s_barrier_signal -1
	s_barrier_wait -1
	s_and_saveexec_b32 s10, s92
	s_cbranch_execz .LBB149_97
; %bb.96:                               ;   in Loop: Header=BB149_3 Depth=1
	ds_load_b64 v[42:43], v1 offset:31200
	s_wait_dscnt 0x0
	v_pk_mul_f32 v[44:45], v[40:41], v[42:43] op_sel:[1,1] op_sel_hi:[1,0]
	s_delay_alu instid0(VALU_DEP_1) | instskip(SKIP_1) | instid1(VALU_DEP_2)
	v_pk_fma_f32 v[46:47], v[40:41], v[42:43], v[44:45] op_sel_hi:[0,1,1]
	v_pk_fma_f32 v[40:41], v[40:41], v[42:43], v[44:45] neg_lo:[0,0,1] neg_hi:[0,0,1]
	v_mov_b32_e32 v41, v47
	s_delay_alu instid0(VALU_DEP_1)
	v_pk_add_f32 v[42:43], v[40:41], 0 neg_lo:[1,1] neg_hi:[1,1]
	ds_store_b64 v3, v[42:43]
.LBB149_97:                             ;   in Loop: Header=BB149_3 Depth=1
	s_or_b32 exec_lo, exec_lo, s10
	s_wait_dscnt 0x0
	s_barrier_signal -1
	s_barrier_wait -1
	s_barrier_signal -1
	s_barrier_wait -1
	s_and_saveexec_b32 s10, s1
; %bb.98:                               ;   in Loop: Header=BB149_3 Depth=1
	ds_store_b64 v52, v[40:41] offset:32736
; %bb.99:                               ;   in Loop: Header=BB149_3 Depth=1
	s_or_b32 exec_lo, exec_lo, s10
	s_wait_dscnt 0x0
	s_barrier_signal -1
	s_barrier_wait -1
	s_barrier_signal -1
	s_barrier_wait -1
	s_and_saveexec_b32 s10, s93
	s_cbranch_execz .LBB149_101
; %bb.100:                              ;   in Loop: Header=BB149_3 Depth=1
	ds_load_b64 v[40:41], v72 offset:32224
	s_wait_dscnt 0x0
	ds_store_b64 v71, v[40:41] offset:31216
	ds_load_b64 v[40:41], v72 offset:32232
	s_wait_dscnt 0x0
	ds_store_b64 v71, v[40:41] offset:31728
.LBB149_101:                            ;   in Loop: Header=BB149_3 Depth=1
	s_or_b32 exec_lo, exec_lo, s10
	s_wait_dscnt 0x0
	s_barrier_signal -1
	s_barrier_wait -1
	s_and_saveexec_b32 s10, s15
	s_cbranch_execz .LBB149_103
; %bb.102:                              ;   in Loop: Header=BB149_3 Depth=1
	v_add_nc_u32_e64 v0, 0x1e0, 0
	ds_load_b64 v[44:45], v1 offset:31720
	ds_load_2addr_stride64_b64 v[40:43], v0 offset0:60 offset1:61
	s_wait_dscnt 0x0
	v_dual_mul_f32 v46, v45, v41 :: v_dual_mul_f32 v0, v44, v41
	s_delay_alu instid0(VALU_DEP_1) | instskip(NEXT) | instid1(VALU_DEP_1)
	v_xor_b32_e32 v46, 0x80000000, v46
	v_dual_fmac_f32 v0, v45, v40 :: v_dual_fmac_f32 v46, v44, v40
	s_delay_alu instid0(VALU_DEP_1) | instskip(SKIP_1) | instid1(VALU_DEP_2)
	v_pk_mul_f32 v[40:41], v[0:1], v[42:43] op_sel:[0,1] op_sel_hi:[0,0]
	v_add_nc_u32_e64 v0, 0x7800, 0
	v_pk_fma_f32 v[44:45], v[46:47], v[42:43], v[40:41] op_sel_hi:[0,1,1]
	v_pk_fma_f32 v[40:41], v[46:47], v[42:43], v[40:41] neg_lo:[0,0,1] neg_hi:[0,0,1]
	s_delay_alu instid0(VALU_DEP_2)
	v_mov_b32_e32 v41, v45
	ds_store_2addr_b64 v0, v[40:41], v[40:41] offset0:61 offset1:124
.LBB149_103:                            ;   in Loop: Header=BB149_3 Depth=1
	s_or_b32 exec_lo, exec_lo, s10
	v_mov_b64_e32 v[40:41], 0
	s_wait_dscnt 0x0
	s_barrier_signal -1
	s_barrier_wait -1
	global_wb scope:SCOPE_DEV
	s_wait_storecnt 0x0
	global_inv scope:SCOPE_DEV
	s_and_saveexec_b32 s16, s3
	s_cbranch_execz .LBB149_109
; %bb.104:                              ;   in Loop: Header=BB149_3 Depth=1
	ds_load_b64 v[40:41], v54 offset:31168
	ds_load_b64 v[42:43], v55 offset:32736
	s_wait_dscnt 0x0
	v_dual_mul_f32 v0, v43, v41 :: v_dual_mul_f32 v41, v42, v41
	s_delay_alu instid0(VALU_DEP_1) | instskip(NEXT) | instid1(VALU_DEP_1)
	v_dual_fma_f32 v0, v42, v40, -v0 :: v_dual_fmac_f32 v41, v43, v40
	v_dual_add_f32 v40, 0, v0 :: v_dual_add_f32 v41, 0, v41
	s_and_saveexec_b32 s10, s18
	s_cbranch_execnz .LBB149_1109
; %bb.105:                              ;   in Loop: Header=BB149_3 Depth=1
	s_or_b32 exec_lo, exec_lo, s10
	s_and_saveexec_b32 s10, s19
	s_cbranch_execnz .LBB149_1110
.LBB149_106:                            ;   in Loop: Header=BB149_3 Depth=1
	s_or_b32 exec_lo, exec_lo, s10
	s_and_saveexec_b32 s10, s1
	s_cbranch_execz .LBB149_108
.LBB149_107:                            ;   in Loop: Header=BB149_3 Depth=1
	ds_load_b64 v[42:43], v73 offset:32704
	ds_load_b64 v[44:45], v1 offset:32760
	s_wait_dscnt 0x0
	v_dual_mul_f32 v0, v45, v43 :: v_dual_mul_f32 v43, v44, v43
	s_delay_alu instid0(VALU_DEP_1) | instskip(NEXT) | instid1(VALU_DEP_1)
	v_dual_fma_f32 v0, v44, v42, -v0 :: v_dual_fmac_f32 v43, v45, v42
	v_dual_add_f32 v40, v40, v0 :: v_dual_add_f32 v41, v41, v43
.LBB149_108:                            ;   in Loop: Header=BB149_3 Depth=1
	s_or_b32 exec_lo, exec_lo, s10
.LBB149_109:                            ;   in Loop: Header=BB149_3 Depth=1
	s_delay_alu instid0(SALU_CYCLE_1)
	s_or_b32 exec_lo, exec_lo, s16
	s_and_saveexec_b32 s10, s94
	s_cbranch_execz .LBB149_111
; %bb.110:                              ;   in Loop: Header=BB149_3 Depth=1
	ds_load_b64 v[42:43], v1 offset:30680
	s_wait_dscnt 0x0
	v_dual_mul_f32 v0, v41, v42 :: v_dual_mul_f32 v44, v41, v43
	s_delay_alu instid0(VALU_DEP_1) | instskip(NEXT) | instid1(VALU_DEP_2)
	v_pk_fma_f32 v[46:47], v[40:41], v[42:43], v[0:1] op_sel:[1,0,0] op_sel_hi:[0,1,0]
	v_pk_fma_f32 v[40:41], v[40:41], v[42:43], v[44:45] op_sel_hi:[1,1,0] neg_lo:[0,0,1] neg_hi:[0,0,1]
	s_delay_alu instid0(VALU_DEP_2) | instskip(NEXT) | instid1(VALU_DEP_1)
	v_mov_b32_e32 v41, v47
	v_pk_add_f32 v[42:43], v[40:41], 0 neg_lo:[1,1] neg_hi:[1,1]
	ds_store_b64 v53, v[42:43]
.LBB149_111:                            ;   in Loop: Header=BB149_3 Depth=1
	s_or_b32 exec_lo, exec_lo, s10
	s_wait_loadcnt_dscnt 0x0
	s_barrier_signal -1
	s_barrier_wait -1
	s_and_saveexec_b32 s10, s95
	s_cbranch_execz .LBB149_113
; %bb.112:                              ;   in Loop: Header=BB149_3 Depth=1
	ds_load_b64 v[42:43], v54 offset:30656
	ds_load_b64 v[44:45], v53
	s_wait_dscnt 0x0
	v_pk_mul_f32 v[46:47], v[44:45], v[42:43] op_sel:[1,1] op_sel_hi:[0,1]
	s_delay_alu instid0(VALU_DEP_1) | instskip(SKIP_1) | instid1(VALU_DEP_2)
	v_pk_fma_f32 v[100:101], v[44:45], v[42:43], v[46:47] op_sel_hi:[1,0,1]
	v_pk_fma_f32 v[42:43], v[44:45], v[42:43], v[46:47] neg_lo:[0,0,1] neg_hi:[0,0,1]
	v_mov_b32_e32 v43, v101
	s_delay_alu instid0(VALU_DEP_1)
	v_pk_add_f32 v[40:41], v[40:41], v[42:43] neg_lo:[0,1] neg_hi:[0,1]
.LBB149_113:                            ;   in Loop: Header=BB149_3 Depth=1
	s_or_b32 exec_lo, exec_lo, s10
	s_barrier_signal -1
	s_barrier_wait -1
	s_and_saveexec_b32 s10, s96
	s_cbranch_execz .LBB149_115
; %bb.114:                              ;   in Loop: Header=BB149_3 Depth=1
	ds_load_b64 v[42:43], v1 offset:30160
	s_wait_dscnt 0x0
	v_pk_mul_f32 v[44:45], v[40:41], v[42:43] op_sel:[1,1] op_sel_hi:[1,0]
	s_delay_alu instid0(VALU_DEP_1) | instskip(SKIP_1) | instid1(VALU_DEP_2)
	v_pk_fma_f32 v[46:47], v[40:41], v[42:43], v[44:45] op_sel_hi:[0,1,1]
	v_pk_fma_f32 v[40:41], v[40:41], v[42:43], v[44:45] neg_lo:[0,0,1] neg_hi:[0,0,1]
	v_mov_b32_e32 v41, v47
	s_delay_alu instid0(VALU_DEP_1)
	v_pk_add_f32 v[42:43], v[40:41], 0 neg_lo:[1,1] neg_hi:[1,1]
	ds_store_b64 v53, v[42:43]
.LBB149_115:                            ;   in Loop: Header=BB149_3 Depth=1
	s_or_b32 exec_lo, exec_lo, s10
	s_wait_dscnt 0x0
	s_barrier_signal -1
	s_barrier_wait -1
	s_and_saveexec_b32 s10, s97
	s_cbranch_execz .LBB149_117
; %bb.116:                              ;   in Loop: Header=BB149_3 Depth=1
	ds_load_b64 v[42:43], v54 offset:30144
	ds_load_b64 v[44:45], v53
	s_wait_dscnt 0x0
	v_pk_mul_f32 v[46:47], v[44:45], v[42:43] op_sel:[1,1] op_sel_hi:[0,1]
	s_delay_alu instid0(VALU_DEP_1) | instskip(SKIP_1) | instid1(VALU_DEP_2)
	v_pk_fma_f32 v[100:101], v[44:45], v[42:43], v[46:47] op_sel_hi:[1,0,1]
	v_pk_fma_f32 v[42:43], v[44:45], v[42:43], v[46:47] neg_lo:[0,0,1] neg_hi:[0,0,1]
	v_mov_b32_e32 v43, v101
	s_delay_alu instid0(VALU_DEP_1)
	v_pk_add_f32 v[40:41], v[40:41], v[42:43] neg_lo:[0,1] neg_hi:[0,1]
.LBB149_117:                            ;   in Loop: Header=BB149_3 Depth=1
	s_or_b32 exec_lo, exec_lo, s10
	s_barrier_signal -1
	s_barrier_wait -1
	s_and_saveexec_b32 s10, s98
	s_cbranch_execz .LBB149_119
; %bb.118:                              ;   in Loop: Header=BB149_3 Depth=1
	ds_load_b64 v[42:43], v1 offset:29640
	s_wait_dscnt 0x0
	v_pk_mul_f32 v[44:45], v[40:41], v[42:43] op_sel:[1,1] op_sel_hi:[1,0]
	s_delay_alu instid0(VALU_DEP_1) | instskip(SKIP_1) | instid1(VALU_DEP_2)
	v_pk_fma_f32 v[46:47], v[40:41], v[42:43], v[44:45] op_sel_hi:[0,1,1]
	v_pk_fma_f32 v[40:41], v[40:41], v[42:43], v[44:45] neg_lo:[0,0,1] neg_hi:[0,0,1]
	v_mov_b32_e32 v41, v47
	s_delay_alu instid0(VALU_DEP_1)
	v_pk_add_f32 v[42:43], v[40:41], 0 neg_lo:[1,1] neg_hi:[1,1]
	ds_store_b64 v53, v[42:43]
.LBB149_119:                            ;   in Loop: Header=BB149_3 Depth=1
	s_or_b32 exec_lo, exec_lo, s10
	s_wait_dscnt 0x0
	s_barrier_signal -1
	s_barrier_wait -1
	s_and_saveexec_b32 s10, s99
	s_cbranch_execz .LBB149_121
; %bb.120:                              ;   in Loop: Header=BB149_3 Depth=1
	ds_load_b64 v[42:43], v1 offset:29632
	ds_load_b64 v[44:45], v53
	s_wait_dscnt 0x0
	v_pk_mul_f32 v[46:47], v[44:45], v[42:43] op_sel:[1,1] op_sel_hi:[0,1]
	s_delay_alu instid0(VALU_DEP_1) | instskip(SKIP_1) | instid1(VALU_DEP_2)
	v_pk_fma_f32 v[100:101], v[44:45], v[42:43], v[46:47] op_sel_hi:[1,0,1]
	v_pk_fma_f32 v[42:43], v[44:45], v[42:43], v[46:47] neg_lo:[0,0,1] neg_hi:[0,0,1]
	v_mov_b32_e32 v43, v101
	s_delay_alu instid0(VALU_DEP_1)
	v_pk_add_f32 v[40:41], v[40:41], v[42:43] neg_lo:[0,1] neg_hi:[0,1]
.LBB149_121:                            ;   in Loop: Header=BB149_3 Depth=1
	s_or_b32 exec_lo, exec_lo, s10
	s_barrier_signal -1
	s_barrier_wait -1
	s_and_saveexec_b32 s10, s99
	s_cbranch_execz .LBB149_123
; %bb.122:                              ;   in Loop: Header=BB149_3 Depth=1
	ds_load_b64 v[42:43], v1 offset:29120
	s_wait_dscnt 0x0
	v_pk_mul_f32 v[44:45], v[40:41], v[42:43] op_sel:[1,1] op_sel_hi:[1,0]
	s_delay_alu instid0(VALU_DEP_1) | instskip(SKIP_1) | instid1(VALU_DEP_2)
	v_pk_fma_f32 v[46:47], v[40:41], v[42:43], v[44:45] op_sel_hi:[0,1,1]
	v_pk_fma_f32 v[40:41], v[40:41], v[42:43], v[44:45] neg_lo:[0,0,1] neg_hi:[0,0,1]
	v_mov_b32_e32 v41, v47
	s_delay_alu instid0(VALU_DEP_1)
	v_pk_add_f32 v[42:43], v[40:41], 0 neg_lo:[1,1] neg_hi:[1,1]
	ds_store_b64 v53, v[42:43]
.LBB149_123:                            ;   in Loop: Header=BB149_3 Depth=1
	s_or_b32 exec_lo, exec_lo, s10
	s_wait_dscnt 0x0
	s_barrier_signal -1
	s_barrier_wait -1
	s_barrier_signal -1
	s_barrier_wait -1
	s_and_saveexec_b32 s10, s3
; %bb.124:                              ;   in Loop: Header=BB149_3 Depth=1
	ds_store_b64 v57, v[40:41] offset:32704
; %bb.125:                              ;   in Loop: Header=BB149_3 Depth=1
	s_or_b32 exec_lo, exec_lo, s10
	s_wait_dscnt 0x0
	s_barrier_signal -1
	s_barrier_wait -1
	s_barrier_signal -1
	s_barrier_wait -1
	s_and_saveexec_b32 s10, s100
	s_cbranch_execz .LBB149_127
; %bb.126:                              ;   in Loop: Header=BB149_3 Depth=1
	ds_load_b64 v[40:41], v5 offset:31168
	s_wait_dscnt 0x0
	ds_store_b64 v74, v[40:41] offset:29152
	ds_load_b64 v[40:41], v5 offset:31176
	s_wait_dscnt 0x0
	ds_store_b64 v74, v[40:41] offset:29664
	;; [unrolled: 3-line block ×4, first 2 shown]
.LBB149_127:                            ;   in Loop: Header=BB149_3 Depth=1
	s_or_b32 exec_lo, exec_lo, s10
	s_wait_dscnt 0x0
	s_barrier_signal -1
	s_barrier_wait -1
	s_and_saveexec_b32 s10, s15
	s_cbranch_execz .LBB149_129
; %bb.128:                              ;   in Loop: Header=BB149_3 Depth=1
	v_add_nc_u32_e64 v0, 0x1d0, 0
	ds_load_b64 v[44:45], v1 offset:30680
	ds_load_2addr_stride64_b64 v[40:43], v0 offset0:58 offset1:59
	s_wait_dscnt 0x0
	v_dual_mul_f32 v46, v45, v41 :: v_dual_mul_f32 v0, v44, v41
	s_delay_alu instid0(VALU_DEP_1) | instskip(NEXT) | instid1(VALU_DEP_1)
	v_xor_b32_e32 v46, 0x80000000, v46
	v_dual_fmac_f32 v0, v45, v40 :: v_dual_fmac_f32 v46, v44, v40
	s_delay_alu instid0(VALU_DEP_1) | instskip(SKIP_1) | instid1(VALU_DEP_2)
	v_pk_mul_f32 v[40:41], v[0:1], v[42:43] op_sel:[0,1] op_sel_hi:[0,0]
	v_add_nc_u32_e64 v0, 0x7000, 0
	v_pk_fma_f32 v[44:45], v[46:47], v[42:43], v[40:41] op_sel_hi:[0,1,1]
	v_pk_fma_f32 v[40:41], v[46:47], v[42:43], v[40:41] neg_lo:[0,0,1] neg_hi:[0,0,1]
	s_delay_alu instid0(VALU_DEP_2)
	v_mov_b32_e32 v41, v45
	ds_store_2addr_b64 v0, v[40:41], v[40:41] offset0:187 offset1:250
.LBB149_129:                            ;   in Loop: Header=BB149_3 Depth=1
	s_or_b32 exec_lo, exec_lo, s10
	v_dual_mov_b32 v40, 0 :: v_dual_mov_b32 v41, 0
	s_wait_dscnt 0x0
	s_barrier_signal -1
	s_barrier_wait -1
	global_wb scope:SCOPE_DEV
	s_wait_storecnt 0x0
	global_inv scope:SCOPE_DEV
	s_and_saveexec_b32 s16, s1
	s_cbranch_execz .LBB149_133
; %bb.130:                              ;   in Loop: Header=BB149_3 Depth=1
	ds_load_b64 v[40:41], v50 offset:30144
	ds_load_b64 v[42:43], v51 offset:30672
	s_wait_dscnt 0x0
	v_pk_mul_f32 v[44:45], v[42:43], v[40:41] op_sel:[1,1] op_sel_hi:[0,1]
	s_delay_alu instid0(VALU_DEP_1) | instskip(SKIP_1) | instid1(VALU_DEP_2)
	v_pk_fma_f32 v[46:47], v[42:43], v[40:41], v[44:45] op_sel_hi:[1,0,1]
	v_pk_fma_f32 v[40:41], v[42:43], v[40:41], v[44:45] neg_lo:[0,0,1] neg_hi:[0,0,1]
	v_mov_b32_e32 v41, v47
	s_delay_alu instid0(VALU_DEP_1)
	v_pk_add_f32 v[40:41], v[40:41], 0 op_sel_hi:[1,0]
	s_and_saveexec_b32 s10, s17
	s_cbranch_execz .LBB149_132
; %bb.131:                              ;   in Loop: Header=BB149_3 Depth=1
	ds_load_b64 v[42:43], v74 offset:30656
	ds_load_b64 v[44:45], v1 offset:30680
	s_wait_dscnt 0x0
	v_pk_mul_f32 v[46:47], v[44:45], v[42:43] op_sel:[1,1] op_sel_hi:[0,1]
	s_delay_alu instid0(VALU_DEP_1) | instskip(SKIP_1) | instid1(VALU_DEP_2)
	v_pk_fma_f32 v[100:101], v[44:45], v[42:43], v[46:47] op_sel_hi:[1,0,1]
	v_pk_fma_f32 v[42:43], v[44:45], v[42:43], v[46:47] neg_lo:[0,0,1] neg_hi:[0,0,1]
	v_mov_b32_e32 v43, v101
	s_delay_alu instid0(VALU_DEP_1)
	v_pk_add_f32 v[40:41], v[40:41], v[42:43]
.LBB149_132:                            ;   in Loop: Header=BB149_3 Depth=1
	s_or_b32 exec_lo, exec_lo, s10
.LBB149_133:                            ;   in Loop: Header=BB149_3 Depth=1
	s_delay_alu instid0(SALU_CYCLE_1)
	s_or_b32 exec_lo, exec_lo, s16
	s_and_saveexec_b32 s10, s91
	s_cbranch_execz .LBB149_135
; %bb.134:                              ;   in Loop: Header=BB149_3 Depth=1
	ds_load_b64 v[42:43], v1 offset:29640
	s_wait_dscnt 0x0
	v_pk_mul_f32 v[44:45], v[40:41], v[42:43] op_sel:[1,1] op_sel_hi:[1,0]
	s_delay_alu instid0(VALU_DEP_1) | instskip(SKIP_1) | instid1(VALU_DEP_2)
	v_pk_fma_f32 v[46:47], v[40:41], v[42:43], v[44:45] op_sel_hi:[0,1,1]
	v_pk_fma_f32 v[40:41], v[40:41], v[42:43], v[44:45] neg_lo:[0,0,1] neg_hi:[0,0,1]
	v_mov_b32_e32 v41, v47
	s_delay_alu instid0(VALU_DEP_1)
	v_pk_add_f32 v[42:43], v[40:41], 0 neg_lo:[1,1] neg_hi:[1,1]
	ds_store_b64 v3, v[42:43]
.LBB149_135:                            ;   in Loop: Header=BB149_3 Depth=1
	s_or_b32 exec_lo, exec_lo, s10
	s_wait_loadcnt_dscnt 0x0
	s_barrier_signal -1
	s_barrier_wait -1
	s_and_saveexec_b32 s10, s92
	s_cbranch_execz .LBB149_137
; %bb.136:                              ;   in Loop: Header=BB149_3 Depth=1
	ds_load_b64 v[42:43], v1 offset:29632
	ds_load_b64 v[44:45], v3
	s_wait_dscnt 0x0
	v_pk_mul_f32 v[46:47], v[44:45], v[42:43] op_sel:[1,1] op_sel_hi:[0,1]
	s_delay_alu instid0(VALU_DEP_1) | instskip(SKIP_1) | instid1(VALU_DEP_2)
	v_pk_fma_f32 v[100:101], v[44:45], v[42:43], v[46:47] op_sel_hi:[1,0,1]
	v_pk_fma_f32 v[42:43], v[44:45], v[42:43], v[46:47] neg_lo:[0,0,1] neg_hi:[0,0,1]
	v_mov_b32_e32 v43, v101
	s_delay_alu instid0(VALU_DEP_1)
	v_pk_add_f32 v[40:41], v[40:41], v[42:43] neg_lo:[0,1] neg_hi:[0,1]
.LBB149_137:                            ;   in Loop: Header=BB149_3 Depth=1
	s_or_b32 exec_lo, exec_lo, s10
	s_barrier_signal -1
	s_barrier_wait -1
	s_and_saveexec_b32 s10, s92
	s_cbranch_execz .LBB149_139
; %bb.138:                              ;   in Loop: Header=BB149_3 Depth=1
	ds_load_b64 v[42:43], v1 offset:29120
	s_wait_dscnt 0x0
	v_pk_mul_f32 v[44:45], v[40:41], v[42:43] op_sel:[1,1] op_sel_hi:[1,0]
	s_delay_alu instid0(VALU_DEP_1) | instskip(SKIP_1) | instid1(VALU_DEP_2)
	v_pk_fma_f32 v[46:47], v[40:41], v[42:43], v[44:45] op_sel_hi:[0,1,1]
	v_pk_fma_f32 v[40:41], v[40:41], v[42:43], v[44:45] neg_lo:[0,0,1] neg_hi:[0,0,1]
	v_mov_b32_e32 v41, v47
	s_delay_alu instid0(VALU_DEP_1)
	v_pk_add_f32 v[42:43], v[40:41], 0 neg_lo:[1,1] neg_hi:[1,1]
	ds_store_b64 v3, v[42:43]
.LBB149_139:                            ;   in Loop: Header=BB149_3 Depth=1
	s_or_b32 exec_lo, exec_lo, s10
	s_wait_dscnt 0x0
	s_barrier_signal -1
	s_barrier_wait -1
	s_barrier_signal -1
	s_barrier_wait -1
	s_and_saveexec_b32 s10, s1
; %bb.140:                              ;   in Loop: Header=BB149_3 Depth=1
	ds_store_b64 v52, v[40:41] offset:30656
; %bb.141:                              ;   in Loop: Header=BB149_3 Depth=1
	s_or_b32 exec_lo, exec_lo, s10
	s_wait_dscnt 0x0
	s_barrier_signal -1
	s_barrier_wait -1
	s_barrier_signal -1
	s_barrier_wait -1
	s_and_saveexec_b32 s10, s93
	s_cbranch_execz .LBB149_143
; %bb.142:                              ;   in Loop: Header=BB149_3 Depth=1
	ds_load_b64 v[40:41], v75 offset:30144
	s_wait_dscnt 0x0
	ds_store_b64 v74, v[40:41] offset:29136
	ds_load_b64 v[40:41], v75 offset:30152
	s_wait_dscnt 0x0
	ds_store_b64 v74, v[40:41] offset:29648
.LBB149_143:                            ;   in Loop: Header=BB149_3 Depth=1
	s_or_b32 exec_lo, exec_lo, s10
	s_wait_dscnt 0x0
	s_barrier_signal -1
	s_barrier_wait -1
	s_and_saveexec_b32 s10, s15
	s_cbranch_execz .LBB149_145
; %bb.144:                              ;   in Loop: Header=BB149_3 Depth=1
	v_add_nc_u32_e64 v0, 0x1c0, 0
	ds_load_b64 v[44:45], v1 offset:29640
	ds_load_2addr_stride64_b64 v[40:43], v0 offset0:56 offset1:57
	s_wait_dscnt 0x0
	v_dual_mul_f32 v46, v45, v41 :: v_dual_mul_f32 v0, v44, v41
	s_delay_alu instid0(VALU_DEP_1) | instskip(NEXT) | instid1(VALU_DEP_1)
	v_xor_b32_e32 v46, 0x80000000, v46
	v_dual_fmac_f32 v0, v45, v40 :: v_dual_fmac_f32 v46, v44, v40
	s_delay_alu instid0(VALU_DEP_1) | instskip(SKIP_1) | instid1(VALU_DEP_2)
	v_pk_mul_f32 v[40:41], v[0:1], v[42:43] op_sel:[0,1] op_sel_hi:[0,0]
	v_add_nc_u32_e64 v0, 0x7000, 0
	v_pk_fma_f32 v[44:45], v[46:47], v[42:43], v[40:41] op_sel_hi:[0,1,1]
	v_pk_fma_f32 v[40:41], v[46:47], v[42:43], v[40:41] neg_lo:[0,0,1] neg_hi:[0,0,1]
	s_delay_alu instid0(VALU_DEP_2)
	v_mov_b32_e32 v41, v45
	ds_store_2addr_b64 v0, v[40:41], v[40:41] offset0:57 offset1:120
.LBB149_145:                            ;   in Loop: Header=BB149_3 Depth=1
	s_or_b32 exec_lo, exec_lo, s10
	v_mov_b64_e32 v[40:41], 0
	s_wait_dscnt 0x0
	s_barrier_signal -1
	s_barrier_wait -1
	global_wb scope:SCOPE_DEV
	s_wait_storecnt 0x0
	global_inv scope:SCOPE_DEV
	s_and_saveexec_b32 s16, s4
	s_cbranch_execz .LBB149_155
; %bb.146:                              ;   in Loop: Header=BB149_3 Depth=1
	ds_load_b64 v[40:41], v59 offset:29056
	ds_load_b64 v[42:43], v60 offset:32704
	s_wait_dscnt 0x0
	v_dual_mul_f32 v0, v43, v41 :: v_dual_mul_f32 v41, v42, v41
	s_delay_alu instid0(VALU_DEP_1) | instskip(NEXT) | instid1(VALU_DEP_1)
	v_dual_fma_f32 v0, v42, v40, -v0 :: v_dual_fmac_f32 v41, v43, v40
	v_dual_add_f32 v40, 0, v0 :: v_dual_add_f32 v41, 0, v41
	s_and_saveexec_b32 s10, s20
	s_cbranch_execnz .LBB149_1111
; %bb.147:                              ;   in Loop: Header=BB149_3 Depth=1
	s_or_b32 exec_lo, exec_lo, s10
	s_and_saveexec_b32 s10, s21
	s_cbranch_execnz .LBB149_1112
.LBB149_148:                            ;   in Loop: Header=BB149_3 Depth=1
	s_or_b32 exec_lo, exec_lo, s10
	s_and_saveexec_b32 s10, s22
	s_cbranch_execnz .LBB149_1113
.LBB149_149:                            ;   in Loop: Header=BB149_3 Depth=1
	s_or_b32 exec_lo, exec_lo, s10
	s_and_saveexec_b32 s10, s23
	s_cbranch_execnz .LBB149_1114
.LBB149_150:                            ;   in Loop: Header=BB149_3 Depth=1
	s_or_b32 exec_lo, exec_lo, s10
	s_and_saveexec_b32 s10, s24
	s_cbranch_execnz .LBB149_1115
.LBB149_151:                            ;   in Loop: Header=BB149_3 Depth=1
	s_or_b32 exec_lo, exec_lo, s10
	s_and_saveexec_b32 s10, s3
	s_cbranch_execnz .LBB149_1116
.LBB149_152:                            ;   in Loop: Header=BB149_3 Depth=1
	s_or_b32 exec_lo, exec_lo, s10
	s_and_saveexec_b32 s10, s19
	s_cbranch_execz .LBB149_154
.LBB149_153:                            ;   in Loop: Header=BB149_3 Depth=1
	ds_load_b64 v[42:43], v76 offset:32640
	ds_load_b64 v[44:45], v1 offset:32760
	s_wait_dscnt 0x0
	v_dual_mul_f32 v0, v45, v43 :: v_dual_mul_f32 v47, v44, v43
	s_delay_alu instid0(VALU_DEP_1) | instskip(NEXT) | instid1(VALU_DEP_1)
	v_dual_fma_f32 v46, v44, v42, -v0 :: v_dual_fmac_f32 v47, v45, v42
	v_pk_add_f32 v[40:41], v[40:41], v[46:47]
.LBB149_154:                            ;   in Loop: Header=BB149_3 Depth=1
	s_or_b32 exec_lo, exec_lo, s10
.LBB149_155:                            ;   in Loop: Header=BB149_3 Depth=1
	s_delay_alu instid0(SALU_CYCLE_1)
	s_or_b32 exec_lo, exec_lo, s16
	s_and_saveexec_b32 s10, s101
	s_cbranch_execz .LBB149_157
; %bb.156:                              ;   in Loop: Header=BB149_3 Depth=1
	ds_load_b64 v[42:43], v1 offset:28600
	s_wait_dscnt 0x0
	v_pk_mul_f32 v[44:45], v[40:41], v[42:43] op_sel:[1,1] op_sel_hi:[1,0]
	s_delay_alu instid0(VALU_DEP_1) | instskip(SKIP_1) | instid1(VALU_DEP_2)
	v_pk_fma_f32 v[46:47], v[40:41], v[42:43], v[44:45] op_sel_hi:[0,1,1]
	v_pk_fma_f32 v[40:41], v[40:41], v[42:43], v[44:45] neg_lo:[0,0,1] neg_hi:[0,0,1]
	v_mov_b32_e32 v41, v47
	s_delay_alu instid0(VALU_DEP_1)
	v_pk_add_f32 v[42:43], v[40:41], 0 neg_lo:[1,1] neg_hi:[1,1]
	ds_store_b64 v58, v[42:43]
.LBB149_157:                            ;   in Loop: Header=BB149_3 Depth=1
	s_or_b32 exec_lo, exec_lo, s10
	s_wait_loadcnt_dscnt 0x0
	s_barrier_signal -1
	s_barrier_wait -1
	s_and_saveexec_b32 s10, s102
	s_cbranch_execz .LBB149_159
; %bb.158:                              ;   in Loop: Header=BB149_3 Depth=1
	ds_load_b64 v[42:43], v59 offset:28544
	ds_load_b64 v[44:45], v58
	s_wait_dscnt 0x0
	v_pk_mul_f32 v[46:47], v[44:45], v[42:43] op_sel:[1,1] op_sel_hi:[0,1]
	s_delay_alu instid0(VALU_DEP_1) | instskip(SKIP_1) | instid1(VALU_DEP_2)
	v_pk_fma_f32 v[100:101], v[44:45], v[42:43], v[46:47] op_sel_hi:[1,0,1]
	v_pk_fma_f32 v[42:43], v[44:45], v[42:43], v[46:47] neg_lo:[0,0,1] neg_hi:[0,0,1]
	v_mov_b32_e32 v43, v101
	s_delay_alu instid0(VALU_DEP_1)
	v_pk_add_f32 v[40:41], v[40:41], v[42:43] neg_lo:[0,1] neg_hi:[0,1]
.LBB149_159:                            ;   in Loop: Header=BB149_3 Depth=1
	s_or_b32 exec_lo, exec_lo, s10
	s_barrier_signal -1
	s_barrier_wait -1
	s_and_saveexec_b32 s10, s103
	s_cbranch_execz .LBB149_161
; %bb.160:                              ;   in Loop: Header=BB149_3 Depth=1
	ds_load_b64 v[42:43], v1 offset:28080
	s_wait_dscnt 0x0
	v_pk_mul_f32 v[44:45], v[40:41], v[42:43] op_sel:[1,1] op_sel_hi:[1,0]
	s_delay_alu instid0(VALU_DEP_1) | instskip(SKIP_1) | instid1(VALU_DEP_2)
	v_pk_fma_f32 v[46:47], v[40:41], v[42:43], v[44:45] op_sel_hi:[0,1,1]
	v_pk_fma_f32 v[40:41], v[40:41], v[42:43], v[44:45] neg_lo:[0,0,1] neg_hi:[0,0,1]
	v_mov_b32_e32 v41, v47
	s_delay_alu instid0(VALU_DEP_1)
	v_pk_add_f32 v[42:43], v[40:41], 0 neg_lo:[1,1] neg_hi:[1,1]
	ds_store_b64 v58, v[42:43]
.LBB149_161:                            ;   in Loop: Header=BB149_3 Depth=1
	s_or_b32 exec_lo, exec_lo, s10
	s_wait_dscnt 0x0
	s_barrier_signal -1
	s_barrier_wait -1
	s_and_saveexec_b32 s10, s104
	s_cbranch_execz .LBB149_163
; %bb.162:                              ;   in Loop: Header=BB149_3 Depth=1
	ds_load_b64 v[42:43], v59 offset:28032
	ds_load_b64 v[44:45], v58
	s_wait_dscnt 0x0
	v_pk_mul_f32 v[46:47], v[44:45], v[42:43] op_sel:[1,1] op_sel_hi:[0,1]
	s_delay_alu instid0(VALU_DEP_1) | instskip(SKIP_1) | instid1(VALU_DEP_2)
	v_pk_fma_f32 v[100:101], v[44:45], v[42:43], v[46:47] op_sel_hi:[1,0,1]
	v_pk_fma_f32 v[42:43], v[44:45], v[42:43], v[46:47] neg_lo:[0,0,1] neg_hi:[0,0,1]
	v_mov_b32_e32 v43, v101
	s_delay_alu instid0(VALU_DEP_1)
	v_pk_add_f32 v[40:41], v[40:41], v[42:43] neg_lo:[0,1] neg_hi:[0,1]
.LBB149_163:                            ;   in Loop: Header=BB149_3 Depth=1
	s_or_b32 exec_lo, exec_lo, s10
	s_barrier_signal -1
	s_barrier_wait -1
	s_and_saveexec_b32 s10, vcc_hi
	s_cbranch_execz .LBB149_165
; %bb.164:                              ;   in Loop: Header=BB149_3 Depth=1
	ds_load_b64 v[42:43], v1 offset:27560
	s_wait_dscnt 0x0
	v_pk_mul_f32 v[44:45], v[40:41], v[42:43] op_sel:[1,1] op_sel_hi:[1,0]
	s_delay_alu instid0(VALU_DEP_1) | instskip(SKIP_1) | instid1(VALU_DEP_2)
	v_pk_fma_f32 v[46:47], v[40:41], v[42:43], v[44:45] op_sel_hi:[0,1,1]
	v_pk_fma_f32 v[40:41], v[40:41], v[42:43], v[44:45] neg_lo:[0,0,1] neg_hi:[0,0,1]
	v_mov_b32_e32 v41, v47
	s_delay_alu instid0(VALU_DEP_1)
	v_pk_add_f32 v[42:43], v[40:41], 0 neg_lo:[1,1] neg_hi:[1,1]
	ds_store_b64 v58, v[42:43]
.LBB149_165:                            ;   in Loop: Header=BB149_3 Depth=1
	s_or_b32 exec_lo, exec_lo, s10
	s_wait_dscnt 0x0
	s_barrier_signal -1
	s_barrier_wait -1
	s_and_saveexec_b32 s10, s40
	s_cbranch_execz .LBB149_167
; %bb.166:                              ;   in Loop: Header=BB149_3 Depth=1
	ds_load_b64 v[42:43], v59 offset:27520
	ds_load_b64 v[44:45], v58
	s_wait_dscnt 0x0
	v_pk_mul_f32 v[46:47], v[44:45], v[42:43] op_sel:[1,1] op_sel_hi:[0,1]
	s_delay_alu instid0(VALU_DEP_1) | instskip(SKIP_1) | instid1(VALU_DEP_2)
	v_pk_fma_f32 v[100:101], v[44:45], v[42:43], v[46:47] op_sel_hi:[1,0,1]
	v_pk_fma_f32 v[42:43], v[44:45], v[42:43], v[46:47] neg_lo:[0,0,1] neg_hi:[0,0,1]
	v_mov_b32_e32 v43, v101
	s_delay_alu instid0(VALU_DEP_1)
	v_pk_add_f32 v[40:41], v[40:41], v[42:43] neg_lo:[0,1] neg_hi:[0,1]
.LBB149_167:                            ;   in Loop: Header=BB149_3 Depth=1
	s_or_b32 exec_lo, exec_lo, s10
	s_barrier_signal -1
	s_barrier_wait -1
	s_and_saveexec_b32 s10, s41
	s_cbranch_execz .LBB149_169
; %bb.168:                              ;   in Loop: Header=BB149_3 Depth=1
	ds_load_b64 v[42:43], v1 offset:27040
	s_wait_dscnt 0x0
	v_pk_mul_f32 v[44:45], v[40:41], v[42:43]
	v_pk_mul_f32 v[40:41], v[40:41], v[42:43] op_sel:[1,0] op_sel_hi:[0,1]
	s_delay_alu instid0(VALU_DEP_1) | instskip(NEXT) | instid1(VALU_DEP_3)
	v_dual_mov_b32 v42, v44 :: v_dual_mov_b32 v43, v40
	v_mov_b32_e32 v40, v45
	s_delay_alu instid0(VALU_DEP_1) | instskip(SKIP_1) | instid1(VALU_DEP_2)
	v_pk_add_f32 v[44:45], v[42:43], v[40:41]
	v_pk_add_f32 v[40:41], v[42:43], v[40:41] neg_lo:[0,1] neg_hi:[0,1]
	v_mov_b32_e32 v41, v45
	s_delay_alu instid0(VALU_DEP_1)
	v_pk_add_f32 v[42:43], v[40:41], 0 neg_lo:[1,1] neg_hi:[1,1]
	ds_store_b64 v58, v[42:43]
.LBB149_169:                            ;   in Loop: Header=BB149_3 Depth=1
	s_or_b32 exec_lo, exec_lo, s10
	s_wait_dscnt 0x0
	s_barrier_signal -1
	s_barrier_wait -1
	s_and_saveexec_b32 s10, s42
	s_cbranch_execz .LBB149_171
; %bb.170:                              ;   in Loop: Header=BB149_3 Depth=1
	ds_load_b64 v[42:43], v59 offset:27008
	ds_load_b64 v[44:45], v58
	s_wait_dscnt 0x0
	v_dual_mul_f32 v0, v45, v43 :: v_dual_mul_f32 v43, v44, v43
	s_delay_alu instid0(VALU_DEP_1) | instskip(NEXT) | instid1(VALU_DEP_1)
	v_dual_fma_f32 v0, v44, v42, -v0 :: v_dual_fmac_f32 v43, v45, v42
	v_dual_sub_f32 v40, v40, v0 :: v_dual_sub_f32 v41, v41, v43
.LBB149_171:                            ;   in Loop: Header=BB149_3 Depth=1
	s_or_b32 exec_lo, exec_lo, s10
	s_barrier_signal -1
	s_barrier_wait -1
	s_and_saveexec_b32 s10, s43
	s_cbranch_execz .LBB149_173
; %bb.172:                              ;   in Loop: Header=BB149_3 Depth=1
	ds_load_b64 v[42:43], v1 offset:26520
	s_wait_dscnt 0x0
	v_dual_mul_f32 v0, v41, v42 :: v_dual_mul_f32 v44, v41, v43
	s_delay_alu instid0(VALU_DEP_1) | instskip(NEXT) | instid1(VALU_DEP_2)
	v_pk_fma_f32 v[46:47], v[40:41], v[42:43], v[0:1] op_sel:[1,0,0] op_sel_hi:[0,1,0]
	v_pk_fma_f32 v[40:41], v[40:41], v[42:43], v[44:45] op_sel_hi:[1,1,0] neg_lo:[0,0,1] neg_hi:[0,0,1]
	s_delay_alu instid0(VALU_DEP_2) | instskip(NEXT) | instid1(VALU_DEP_1)
	v_mov_b32_e32 v41, v47
	v_pk_add_f32 v[42:43], v[40:41], 0 neg_lo:[1,1] neg_hi:[1,1]
	ds_store_b64 v58, v[42:43]
.LBB149_173:                            ;   in Loop: Header=BB149_3 Depth=1
	s_or_b32 exec_lo, exec_lo, s10
	s_wait_dscnt 0x0
	s_barrier_signal -1
	s_barrier_wait -1
	s_and_saveexec_b32 s10, s44
	s_cbranch_execz .LBB149_175
; %bb.174:                              ;   in Loop: Header=BB149_3 Depth=1
	ds_load_b64 v[42:43], v59 offset:26496
	ds_load_b64 v[44:45], v58
	s_wait_dscnt 0x0
	v_pk_mul_f32 v[46:47], v[44:45], v[42:43] op_sel:[1,1] op_sel_hi:[0,1]
	s_delay_alu instid0(VALU_DEP_1) | instskip(SKIP_1) | instid1(VALU_DEP_2)
	v_pk_fma_f32 v[100:101], v[44:45], v[42:43], v[46:47] op_sel_hi:[1,0,1]
	v_pk_fma_f32 v[42:43], v[44:45], v[42:43], v[46:47] neg_lo:[0,0,1] neg_hi:[0,0,1]
	v_mov_b32_e32 v43, v101
	s_delay_alu instid0(VALU_DEP_1)
	v_pk_add_f32 v[40:41], v[40:41], v[42:43] neg_lo:[0,1] neg_hi:[0,1]
.LBB149_175:                            ;   in Loop: Header=BB149_3 Depth=1
	s_or_b32 exec_lo, exec_lo, s10
	s_barrier_signal -1
	s_barrier_wait -1
	s_and_saveexec_b32 s10, s45
	s_cbranch_execz .LBB149_177
; %bb.176:                              ;   in Loop: Header=BB149_3 Depth=1
	ds_load_b64 v[42:43], v1 offset:26000
	s_wait_dscnt 0x0
	v_pk_mul_f32 v[44:45], v[40:41], v[42:43] op_sel:[1,1] op_sel_hi:[1,0]
	s_delay_alu instid0(VALU_DEP_1) | instskip(SKIP_1) | instid1(VALU_DEP_2)
	v_pk_fma_f32 v[46:47], v[40:41], v[42:43], v[44:45] op_sel_hi:[0,1,1]
	v_pk_fma_f32 v[40:41], v[40:41], v[42:43], v[44:45] neg_lo:[0,0,1] neg_hi:[0,0,1]
	v_mov_b32_e32 v41, v47
	s_delay_alu instid0(VALU_DEP_1)
	v_pk_add_f32 v[42:43], v[40:41], 0 neg_lo:[1,1] neg_hi:[1,1]
	ds_store_b64 v58, v[42:43]
.LBB149_177:                            ;   in Loop: Header=BB149_3 Depth=1
	s_or_b32 exec_lo, exec_lo, s10
	s_wait_dscnt 0x0
	s_barrier_signal -1
	s_barrier_wait -1
	s_and_saveexec_b32 s10, s46
	s_cbranch_execz .LBB149_179
; %bb.178:                              ;   in Loop: Header=BB149_3 Depth=1
	ds_load_b64 v[42:43], v59 offset:25984
	ds_load_b64 v[44:45], v58
	s_wait_dscnt 0x0
	v_pk_mul_f32 v[46:47], v[44:45], v[42:43] op_sel:[1,1] op_sel_hi:[0,1]
	s_delay_alu instid0(VALU_DEP_1) | instskip(SKIP_1) | instid1(VALU_DEP_2)
	v_pk_fma_f32 v[100:101], v[44:45], v[42:43], v[46:47] op_sel_hi:[1,0,1]
	v_pk_fma_f32 v[42:43], v[44:45], v[42:43], v[46:47] neg_lo:[0,0,1] neg_hi:[0,0,1]
	v_mov_b32_e32 v43, v101
	s_delay_alu instid0(VALU_DEP_1)
	v_pk_add_f32 v[40:41], v[40:41], v[42:43] neg_lo:[0,1] neg_hi:[0,1]
.LBB149_179:                            ;   in Loop: Header=BB149_3 Depth=1
	s_or_b32 exec_lo, exec_lo, s10
	s_barrier_signal -1
	s_barrier_wait -1
	s_and_saveexec_b32 s10, s47
	s_cbranch_execz .LBB149_181
; %bb.180:                              ;   in Loop: Header=BB149_3 Depth=1
	ds_load_b64 v[42:43], v1 offset:25480
	s_wait_dscnt 0x0
	v_pk_mul_f32 v[44:45], v[40:41], v[42:43] op_sel:[1,1] op_sel_hi:[1,0]
	s_delay_alu instid0(VALU_DEP_1) | instskip(SKIP_1) | instid1(VALU_DEP_2)
	v_pk_fma_f32 v[46:47], v[40:41], v[42:43], v[44:45] op_sel_hi:[0,1,1]
	v_pk_fma_f32 v[40:41], v[40:41], v[42:43], v[44:45] neg_lo:[0,0,1] neg_hi:[0,0,1]
	v_mov_b32_e32 v41, v47
	s_delay_alu instid0(VALU_DEP_1)
	v_pk_add_f32 v[42:43], v[40:41], 0 neg_lo:[1,1] neg_hi:[1,1]
	ds_store_b64 v58, v[42:43]
.LBB149_181:                            ;   in Loop: Header=BB149_3 Depth=1
	;; [unrolled: 35-line block ×3, first 2 shown]
	s_or_b32 exec_lo, exec_lo, s10
	s_wait_dscnt 0x0
	s_barrier_signal -1
	s_barrier_wait -1
	s_barrier_signal -1
	s_barrier_wait -1
	s_and_saveexec_b32 s10, s4
; %bb.186:                              ;   in Loop: Header=BB149_3 Depth=1
	ds_store_b64 v61, v[40:41] offset:32640
; %bb.187:                              ;   in Loop: Header=BB149_3 Depth=1
	s_or_b32 exec_lo, exec_lo, s10
	s_wait_dscnt 0x0
	s_barrier_signal -1
	s_barrier_wait -1
	s_barrier_signal -1
	s_barrier_wait -1
	s_and_saveexec_b32 s10, s49
	s_cbranch_execz .LBB149_189
; %bb.188:                              ;   in Loop: Header=BB149_3 Depth=1
	ds_load_b64 v[40:41], v78 offset:29056
	s_wait_dscnt 0x0
	ds_store_b64 v79, v[40:41] offset:25024
	ds_load_b64 v[40:41], v78 offset:29064
	s_wait_dscnt 0x0
	ds_store_b64 v79, v[40:41] offset:25536
	;; [unrolled: 3-line block ×8, first 2 shown]
.LBB149_189:                            ;   in Loop: Header=BB149_3 Depth=1
	s_or_b32 exec_lo, exec_lo, s10
	s_wait_dscnt 0x0
	s_barrier_signal -1
	s_barrier_wait -1
	s_and_saveexec_b32 s10, s15
	s_cbranch_execz .LBB149_191
; %bb.190:                              ;   in Loop: Header=BB149_3 Depth=1
	v_add_nc_u32_e64 v0, 0x1b0, 0
	ds_load_b64 v[44:45], v1 offset:28600
	ds_load_2addr_stride64_b64 v[40:43], v0 offset0:54 offset1:55
	s_wait_dscnt 0x0
	v_dual_mul_f32 v46, v45, v41 :: v_dual_mul_f32 v0, v44, v41
	s_delay_alu instid0(VALU_DEP_1) | instskip(NEXT) | instid1(VALU_DEP_1)
	v_xor_b32_e32 v46, 0x80000000, v46
	v_dual_fmac_f32 v0, v45, v40 :: v_dual_fmac_f32 v46, v44, v40
	s_delay_alu instid0(VALU_DEP_1) | instskip(SKIP_1) | instid1(VALU_DEP_2)
	v_pk_mul_f32 v[40:41], v[0:1], v[42:43] op_sel:[0,1] op_sel_hi:[0,0]
	v_add_nc_u32_e64 v0, 0x6800, 0
	v_pk_fma_f32 v[44:45], v[46:47], v[42:43], v[40:41] op_sel_hi:[0,1,1]
	v_pk_fma_f32 v[40:41], v[46:47], v[42:43], v[40:41] neg_lo:[0,0,1] neg_hi:[0,0,1]
	s_delay_alu instid0(VALU_DEP_2)
	v_mov_b32_e32 v41, v45
	ds_store_2addr_b64 v0, v[40:41], v[40:41] offset0:183 offset1:246
.LBB149_191:                            ;   in Loop: Header=BB149_3 Depth=1
	s_or_b32 exec_lo, exec_lo, s10
	v_dual_mov_b32 v40, 0 :: v_dual_mov_b32 v41, 0
	s_wait_dscnt 0x0
	s_barrier_signal -1
	s_barrier_wait -1
	global_wb scope:SCOPE_DEV
	s_wait_storecnt 0x0
	global_inv scope:SCOPE_DEV
	s_and_saveexec_b32 s16, s1
	s_cbranch_execz .LBB149_195
; %bb.192:                              ;   in Loop: Header=BB149_3 Depth=1
	ds_load_b64 v[40:41], v50 offset:28064
	ds_load_b64 v[42:43], v51 offset:28592
	s_wait_dscnt 0x0
	v_pk_mul_f32 v[44:45], v[42:43], v[40:41] op_sel:[1,1] op_sel_hi:[0,1]
	s_delay_alu instid0(VALU_DEP_1) | instskip(SKIP_1) | instid1(VALU_DEP_2)
	v_pk_fma_f32 v[46:47], v[42:43], v[40:41], v[44:45] op_sel_hi:[1,0,1]
	v_pk_fma_f32 v[40:41], v[42:43], v[40:41], v[44:45] neg_lo:[0,0,1] neg_hi:[0,0,1]
	v_mov_b32_e32 v41, v47
	s_delay_alu instid0(VALU_DEP_1)
	v_pk_add_f32 v[40:41], v[40:41], 0 op_sel_hi:[1,0]
	s_and_saveexec_b32 s10, s17
	s_cbranch_execz .LBB149_194
; %bb.193:                              ;   in Loop: Header=BB149_3 Depth=1
	ds_load_b64 v[42:43], v79 offset:28576
	ds_load_b64 v[44:45], v1 offset:28600
	s_wait_dscnt 0x0
	v_pk_mul_f32 v[46:47], v[44:45], v[42:43] op_sel:[1,1] op_sel_hi:[0,1]
	s_delay_alu instid0(VALU_DEP_1) | instskip(SKIP_1) | instid1(VALU_DEP_2)
	v_pk_fma_f32 v[100:101], v[44:45], v[42:43], v[46:47] op_sel_hi:[1,0,1]
	v_pk_fma_f32 v[42:43], v[44:45], v[42:43], v[46:47] neg_lo:[0,0,1] neg_hi:[0,0,1]
	v_mov_b32_e32 v43, v101
	s_delay_alu instid0(VALU_DEP_1)
	v_pk_add_f32 v[40:41], v[40:41], v[42:43]
.LBB149_194:                            ;   in Loop: Header=BB149_3 Depth=1
	s_or_b32 exec_lo, exec_lo, s10
.LBB149_195:                            ;   in Loop: Header=BB149_3 Depth=1
	s_delay_alu instid0(SALU_CYCLE_1)
	s_or_b32 exec_lo, exec_lo, s16
	s_and_saveexec_b32 s10, s91
	s_cbranch_execz .LBB149_197
; %bb.196:                              ;   in Loop: Header=BB149_3 Depth=1
	ds_load_b64 v[42:43], v1 offset:27560
	s_wait_dscnt 0x0
	v_pk_mul_f32 v[44:45], v[40:41], v[42:43] op_sel:[1,1] op_sel_hi:[1,0]
	s_delay_alu instid0(VALU_DEP_1) | instskip(SKIP_1) | instid1(VALU_DEP_2)
	v_pk_fma_f32 v[46:47], v[40:41], v[42:43], v[44:45] op_sel_hi:[0,1,1]
	v_pk_fma_f32 v[40:41], v[40:41], v[42:43], v[44:45] neg_lo:[0,0,1] neg_hi:[0,0,1]
	v_mov_b32_e32 v41, v47
	s_delay_alu instid0(VALU_DEP_1)
	v_pk_add_f32 v[42:43], v[40:41], 0 neg_lo:[1,1] neg_hi:[1,1]
	ds_store_b64 v3, v[42:43]
.LBB149_197:                            ;   in Loop: Header=BB149_3 Depth=1
	s_or_b32 exec_lo, exec_lo, s10
	s_wait_loadcnt_dscnt 0x0
	s_barrier_signal -1
	s_barrier_wait -1
	s_and_saveexec_b32 s10, s92
	s_cbranch_execz .LBB149_199
; %bb.198:                              ;   in Loop: Header=BB149_3 Depth=1
	ds_load_b64 v[42:43], v1 offset:27552
	ds_load_b64 v[44:45], v3
	s_wait_dscnt 0x0
	v_pk_mul_f32 v[46:47], v[44:45], v[42:43] op_sel:[1,1] op_sel_hi:[0,1]
	s_delay_alu instid0(VALU_DEP_1) | instskip(SKIP_1) | instid1(VALU_DEP_2)
	v_pk_fma_f32 v[100:101], v[44:45], v[42:43], v[46:47] op_sel_hi:[1,0,1]
	v_pk_fma_f32 v[42:43], v[44:45], v[42:43], v[46:47] neg_lo:[0,0,1] neg_hi:[0,0,1]
	v_mov_b32_e32 v43, v101
	s_delay_alu instid0(VALU_DEP_1)
	v_pk_add_f32 v[40:41], v[40:41], v[42:43] neg_lo:[0,1] neg_hi:[0,1]
.LBB149_199:                            ;   in Loop: Header=BB149_3 Depth=1
	s_or_b32 exec_lo, exec_lo, s10
	s_barrier_signal -1
	s_barrier_wait -1
	s_and_saveexec_b32 s10, s92
	s_cbranch_execz .LBB149_201
; %bb.200:                              ;   in Loop: Header=BB149_3 Depth=1
	ds_load_b64 v[42:43], v1 offset:27040
	s_wait_dscnt 0x0
	v_pk_mul_f32 v[44:45], v[40:41], v[42:43] op_sel:[1,1] op_sel_hi:[1,0]
	s_delay_alu instid0(VALU_DEP_1) | instskip(SKIP_1) | instid1(VALU_DEP_2)
	v_pk_fma_f32 v[46:47], v[40:41], v[42:43], v[44:45] op_sel_hi:[0,1,1]
	v_pk_fma_f32 v[40:41], v[40:41], v[42:43], v[44:45] neg_lo:[0,0,1] neg_hi:[0,0,1]
	v_mov_b32_e32 v41, v47
	s_delay_alu instid0(VALU_DEP_1)
	v_pk_add_f32 v[42:43], v[40:41], 0 neg_lo:[1,1] neg_hi:[1,1]
	ds_store_b64 v3, v[42:43]
.LBB149_201:                            ;   in Loop: Header=BB149_3 Depth=1
	s_or_b32 exec_lo, exec_lo, s10
	s_wait_dscnt 0x0
	s_barrier_signal -1
	s_barrier_wait -1
	s_barrier_signal -1
	s_barrier_wait -1
	s_and_saveexec_b32 s10, s1
; %bb.202:                              ;   in Loop: Header=BB149_3 Depth=1
	ds_store_b64 v52, v[40:41] offset:28576
; %bb.203:                              ;   in Loop: Header=BB149_3 Depth=1
	s_or_b32 exec_lo, exec_lo, s10
	s_wait_dscnt 0x0
	s_barrier_signal -1
	s_barrier_wait -1
	s_barrier_signal -1
	s_barrier_wait -1
	s_and_saveexec_b32 s10, s93
	s_cbranch_execz .LBB149_205
; %bb.204:                              ;   in Loop: Header=BB149_3 Depth=1
	ds_load_b64 v[40:41], v81 offset:28064
	s_wait_dscnt 0x0
	ds_store_b64 v79, v[40:41] offset:27056
	ds_load_b64 v[40:41], v81 offset:28072
	s_wait_dscnt 0x0
	ds_store_b64 v79, v[40:41] offset:27568
.LBB149_205:                            ;   in Loop: Header=BB149_3 Depth=1
	s_or_b32 exec_lo, exec_lo, s10
	s_wait_dscnt 0x0
	s_barrier_signal -1
	s_barrier_wait -1
	s_and_saveexec_b32 s10, s15
	s_cbranch_execz .LBB149_207
; %bb.206:                              ;   in Loop: Header=BB149_3 Depth=1
	v_add_nc_u32_e64 v0, 0x1a0, 0
	ds_load_b64 v[44:45], v1 offset:27560
	ds_load_2addr_stride64_b64 v[40:43], v0 offset0:52 offset1:53
	s_wait_dscnt 0x0
	v_dual_mul_f32 v46, v45, v41 :: v_dual_mul_f32 v0, v44, v41
	s_delay_alu instid0(VALU_DEP_1) | instskip(NEXT) | instid1(VALU_DEP_1)
	v_xor_b32_e32 v46, 0x80000000, v46
	v_dual_fmac_f32 v0, v45, v40 :: v_dual_fmac_f32 v46, v44, v40
	s_delay_alu instid0(VALU_DEP_1) | instskip(SKIP_1) | instid1(VALU_DEP_2)
	v_pk_mul_f32 v[40:41], v[0:1], v[42:43] op_sel:[0,1] op_sel_hi:[0,0]
	v_add_nc_u32_e64 v0, 0x6800, 0
	v_pk_fma_f32 v[44:45], v[46:47], v[42:43], v[40:41] op_sel_hi:[0,1,1]
	v_pk_fma_f32 v[40:41], v[46:47], v[42:43], v[40:41] neg_lo:[0,0,1] neg_hi:[0,0,1]
	s_delay_alu instid0(VALU_DEP_2)
	v_mov_b32_e32 v41, v45
	ds_store_2addr_b64 v0, v[40:41], v[40:41] offset0:53 offset1:116
.LBB149_207:                            ;   in Loop: Header=BB149_3 Depth=1
	s_or_b32 exec_lo, exec_lo, s10
	v_mov_b64_e32 v[40:41], 0
	s_wait_dscnt 0x0
	s_barrier_signal -1
	s_barrier_wait -1
	global_wb scope:SCOPE_DEV
	s_wait_storecnt 0x0
	global_inv scope:SCOPE_DEV
	s_and_saveexec_b32 s16, s3
	s_cbranch_execz .LBB149_213
; %bb.208:                              ;   in Loop: Header=BB149_3 Depth=1
	ds_load_b64 v[40:41], v54 offset:27008
	ds_load_b64 v[42:43], v55 offset:28576
	s_wait_dscnt 0x0
	v_dual_mul_f32 v0, v43, v41 :: v_dual_mul_f32 v41, v42, v41
	s_delay_alu instid0(VALU_DEP_1) | instskip(NEXT) | instid1(VALU_DEP_1)
	v_dual_fma_f32 v0, v42, v40, -v0 :: v_dual_fmac_f32 v41, v43, v40
	v_dual_add_f32 v40, 0, v0 :: v_dual_add_f32 v41, 0, v41
	s_and_saveexec_b32 s10, s18
	s_cbranch_execnz .LBB149_1117
; %bb.209:                              ;   in Loop: Header=BB149_3 Depth=1
	s_or_b32 exec_lo, exec_lo, s10
	s_and_saveexec_b32 s10, s19
	s_cbranch_execnz .LBB149_1118
.LBB149_210:                            ;   in Loop: Header=BB149_3 Depth=1
	s_or_b32 exec_lo, exec_lo, s10
	s_and_saveexec_b32 s10, s1
	s_cbranch_execz .LBB149_212
.LBB149_211:                            ;   in Loop: Header=BB149_3 Depth=1
	ds_load_b64 v[42:43], v83 offset:28544
	ds_load_b64 v[44:45], v1 offset:28600
	s_wait_dscnt 0x0
	v_dual_mul_f32 v0, v45, v43 :: v_dual_mul_f32 v43, v44, v43
	s_delay_alu instid0(VALU_DEP_1) | instskip(NEXT) | instid1(VALU_DEP_1)
	v_dual_fma_f32 v0, v44, v42, -v0 :: v_dual_fmac_f32 v43, v45, v42
	v_dual_add_f32 v40, v40, v0 :: v_dual_add_f32 v41, v41, v43
.LBB149_212:                            ;   in Loop: Header=BB149_3 Depth=1
	s_or_b32 exec_lo, exec_lo, s10
.LBB149_213:                            ;   in Loop: Header=BB149_3 Depth=1
	s_delay_alu instid0(SALU_CYCLE_1)
	s_or_b32 exec_lo, exec_lo, s16
	s_and_saveexec_b32 s10, s94
	s_cbranch_execz .LBB149_215
; %bb.214:                              ;   in Loop: Header=BB149_3 Depth=1
	ds_load_b64 v[42:43], v1 offset:26520
	s_wait_dscnt 0x0
	v_dual_mul_f32 v0, v41, v42 :: v_dual_mul_f32 v44, v41, v43
	s_delay_alu instid0(VALU_DEP_1) | instskip(NEXT) | instid1(VALU_DEP_2)
	v_pk_fma_f32 v[46:47], v[40:41], v[42:43], v[0:1] op_sel:[1,0,0] op_sel_hi:[0,1,0]
	v_pk_fma_f32 v[40:41], v[40:41], v[42:43], v[44:45] op_sel_hi:[1,1,0] neg_lo:[0,0,1] neg_hi:[0,0,1]
	s_delay_alu instid0(VALU_DEP_2) | instskip(NEXT) | instid1(VALU_DEP_1)
	v_mov_b32_e32 v41, v47
	v_pk_add_f32 v[42:43], v[40:41], 0 neg_lo:[1,1] neg_hi:[1,1]
	ds_store_b64 v53, v[42:43]
.LBB149_215:                            ;   in Loop: Header=BB149_3 Depth=1
	s_or_b32 exec_lo, exec_lo, s10
	s_wait_loadcnt_dscnt 0x0
	s_barrier_signal -1
	s_barrier_wait -1
	s_and_saveexec_b32 s10, s95
	s_cbranch_execz .LBB149_217
; %bb.216:                              ;   in Loop: Header=BB149_3 Depth=1
	ds_load_b64 v[42:43], v54 offset:26496
	ds_load_b64 v[44:45], v53
	s_wait_dscnt 0x0
	v_pk_mul_f32 v[46:47], v[44:45], v[42:43] op_sel:[1,1] op_sel_hi:[0,1]
	s_delay_alu instid0(VALU_DEP_1) | instskip(SKIP_1) | instid1(VALU_DEP_2)
	v_pk_fma_f32 v[100:101], v[44:45], v[42:43], v[46:47] op_sel_hi:[1,0,1]
	v_pk_fma_f32 v[42:43], v[44:45], v[42:43], v[46:47] neg_lo:[0,0,1] neg_hi:[0,0,1]
	v_mov_b32_e32 v43, v101
	s_delay_alu instid0(VALU_DEP_1)
	v_pk_add_f32 v[40:41], v[40:41], v[42:43] neg_lo:[0,1] neg_hi:[0,1]
.LBB149_217:                            ;   in Loop: Header=BB149_3 Depth=1
	s_or_b32 exec_lo, exec_lo, s10
	s_barrier_signal -1
	s_barrier_wait -1
	s_and_saveexec_b32 s10, s96
	s_cbranch_execz .LBB149_219
; %bb.218:                              ;   in Loop: Header=BB149_3 Depth=1
	ds_load_b64 v[42:43], v1 offset:26000
	s_wait_dscnt 0x0
	v_pk_mul_f32 v[44:45], v[40:41], v[42:43] op_sel:[1,1] op_sel_hi:[1,0]
	s_delay_alu instid0(VALU_DEP_1) | instskip(SKIP_1) | instid1(VALU_DEP_2)
	v_pk_fma_f32 v[46:47], v[40:41], v[42:43], v[44:45] op_sel_hi:[0,1,1]
	v_pk_fma_f32 v[40:41], v[40:41], v[42:43], v[44:45] neg_lo:[0,0,1] neg_hi:[0,0,1]
	v_mov_b32_e32 v41, v47
	s_delay_alu instid0(VALU_DEP_1)
	v_pk_add_f32 v[42:43], v[40:41], 0 neg_lo:[1,1] neg_hi:[1,1]
	ds_store_b64 v53, v[42:43]
.LBB149_219:                            ;   in Loop: Header=BB149_3 Depth=1
	s_or_b32 exec_lo, exec_lo, s10
	s_wait_dscnt 0x0
	s_barrier_signal -1
	s_barrier_wait -1
	s_and_saveexec_b32 s10, s97
	s_cbranch_execz .LBB149_221
; %bb.220:                              ;   in Loop: Header=BB149_3 Depth=1
	ds_load_b64 v[42:43], v54 offset:25984
	ds_load_b64 v[44:45], v53
	s_wait_dscnt 0x0
	v_pk_mul_f32 v[46:47], v[44:45], v[42:43] op_sel:[1,1] op_sel_hi:[0,1]
	s_delay_alu instid0(VALU_DEP_1) | instskip(SKIP_1) | instid1(VALU_DEP_2)
	v_pk_fma_f32 v[100:101], v[44:45], v[42:43], v[46:47] op_sel_hi:[1,0,1]
	v_pk_fma_f32 v[42:43], v[44:45], v[42:43], v[46:47] neg_lo:[0,0,1] neg_hi:[0,0,1]
	v_mov_b32_e32 v43, v101
	s_delay_alu instid0(VALU_DEP_1)
	v_pk_add_f32 v[40:41], v[40:41], v[42:43] neg_lo:[0,1] neg_hi:[0,1]
.LBB149_221:                            ;   in Loop: Header=BB149_3 Depth=1
	s_or_b32 exec_lo, exec_lo, s10
	s_barrier_signal -1
	s_barrier_wait -1
	s_and_saveexec_b32 s10, s98
	s_cbranch_execz .LBB149_223
; %bb.222:                              ;   in Loop: Header=BB149_3 Depth=1
	ds_load_b64 v[42:43], v1 offset:25480
	s_wait_dscnt 0x0
	v_pk_mul_f32 v[44:45], v[40:41], v[42:43] op_sel:[1,1] op_sel_hi:[1,0]
	s_delay_alu instid0(VALU_DEP_1) | instskip(SKIP_1) | instid1(VALU_DEP_2)
	v_pk_fma_f32 v[46:47], v[40:41], v[42:43], v[44:45] op_sel_hi:[0,1,1]
	v_pk_fma_f32 v[40:41], v[40:41], v[42:43], v[44:45] neg_lo:[0,0,1] neg_hi:[0,0,1]
	v_mov_b32_e32 v41, v47
	s_delay_alu instid0(VALU_DEP_1)
	v_pk_add_f32 v[42:43], v[40:41], 0 neg_lo:[1,1] neg_hi:[1,1]
	ds_store_b64 v53, v[42:43]
.LBB149_223:                            ;   in Loop: Header=BB149_3 Depth=1
	s_or_b32 exec_lo, exec_lo, s10
	s_wait_dscnt 0x0
	;; [unrolled: 35-line block ×3, first 2 shown]
	s_barrier_signal -1
	s_barrier_wait -1
	s_barrier_signal -1
	s_barrier_wait -1
	s_and_saveexec_b32 s10, s3
; %bb.228:                              ;   in Loop: Header=BB149_3 Depth=1
	ds_store_b64 v57, v[40:41] offset:28544
; %bb.229:                              ;   in Loop: Header=BB149_3 Depth=1
	s_or_b32 exec_lo, exec_lo, s10
	s_wait_dscnt 0x0
	s_barrier_signal -1
	s_barrier_wait -1
	s_barrier_signal -1
	s_barrier_wait -1
	s_and_saveexec_b32 s10, s100
	s_cbranch_execz .LBB149_231
; %bb.230:                              ;   in Loop: Header=BB149_3 Depth=1
	ds_load_b64 v[40:41], v84 offset:27008
	s_wait_dscnt 0x0
	ds_store_b64 v85, v[40:41] offset:24992
	ds_load_b64 v[40:41], v84 offset:27016
	s_wait_dscnt 0x0
	ds_store_b64 v85, v[40:41] offset:25504
	;; [unrolled: 3-line block ×4, first 2 shown]
.LBB149_231:                            ;   in Loop: Header=BB149_3 Depth=1
	s_or_b32 exec_lo, exec_lo, s10
	s_wait_dscnt 0x0
	s_barrier_signal -1
	s_barrier_wait -1
	s_and_saveexec_b32 s10, s15
	s_cbranch_execz .LBB149_233
; %bb.232:                              ;   in Loop: Header=BB149_3 Depth=1
	v_add_nc_u32_e64 v0, 0x190, 0
	ds_load_b64 v[44:45], v1 offset:26520
	ds_load_2addr_stride64_b64 v[40:43], v0 offset0:50 offset1:51
	s_wait_dscnt 0x0
	v_dual_mul_f32 v46, v45, v41 :: v_dual_mul_f32 v0, v44, v41
	s_delay_alu instid0(VALU_DEP_1) | instskip(NEXT) | instid1(VALU_DEP_1)
	v_xor_b32_e32 v46, 0x80000000, v46
	v_dual_fmac_f32 v0, v45, v40 :: v_dual_fmac_f32 v46, v44, v40
	s_delay_alu instid0(VALU_DEP_1) | instskip(SKIP_1) | instid1(VALU_DEP_2)
	v_pk_mul_f32 v[40:41], v[0:1], v[42:43] op_sel:[0,1] op_sel_hi:[0,0]
	v_add_nc_u32_e64 v0, 0x6000, 0
	v_pk_fma_f32 v[44:45], v[46:47], v[42:43], v[40:41] op_sel_hi:[0,1,1]
	v_pk_fma_f32 v[40:41], v[46:47], v[42:43], v[40:41] neg_lo:[0,0,1] neg_hi:[0,0,1]
	s_delay_alu instid0(VALU_DEP_2)
	v_mov_b32_e32 v41, v45
	ds_store_2addr_b64 v0, v[40:41], v[40:41] offset0:179 offset1:242
.LBB149_233:                            ;   in Loop: Header=BB149_3 Depth=1
	s_or_b32 exec_lo, exec_lo, s10
	v_dual_mov_b32 v40, 0 :: v_dual_mov_b32 v41, 0
	s_wait_dscnt 0x0
	s_barrier_signal -1
	s_barrier_wait -1
	global_wb scope:SCOPE_DEV
	s_wait_storecnt 0x0
	global_inv scope:SCOPE_DEV
	s_and_saveexec_b32 s16, s1
	s_cbranch_execz .LBB149_237
; %bb.234:                              ;   in Loop: Header=BB149_3 Depth=1
	ds_load_b64 v[40:41], v50 offset:25984
	ds_load_b64 v[42:43], v51 offset:26512
	s_wait_dscnt 0x0
	v_pk_mul_f32 v[44:45], v[42:43], v[40:41] op_sel:[1,1] op_sel_hi:[0,1]
	s_delay_alu instid0(VALU_DEP_1) | instskip(SKIP_1) | instid1(VALU_DEP_2)
	v_pk_fma_f32 v[46:47], v[42:43], v[40:41], v[44:45] op_sel_hi:[1,0,1]
	v_pk_fma_f32 v[40:41], v[42:43], v[40:41], v[44:45] neg_lo:[0,0,1] neg_hi:[0,0,1]
	v_mov_b32_e32 v41, v47
	s_delay_alu instid0(VALU_DEP_1)
	v_pk_add_f32 v[40:41], v[40:41], 0 op_sel_hi:[1,0]
	s_and_saveexec_b32 s10, s17
	s_cbranch_execz .LBB149_236
; %bb.235:                              ;   in Loop: Header=BB149_3 Depth=1
	ds_load_b64 v[42:43], v85 offset:26496
	ds_load_b64 v[44:45], v1 offset:26520
	s_wait_dscnt 0x0
	v_pk_mul_f32 v[46:47], v[44:45], v[42:43] op_sel:[1,1] op_sel_hi:[0,1]
	s_delay_alu instid0(VALU_DEP_1) | instskip(SKIP_1) | instid1(VALU_DEP_2)
	v_pk_fma_f32 v[100:101], v[44:45], v[42:43], v[46:47] op_sel_hi:[1,0,1]
	v_pk_fma_f32 v[42:43], v[44:45], v[42:43], v[46:47] neg_lo:[0,0,1] neg_hi:[0,0,1]
	v_mov_b32_e32 v43, v101
	s_delay_alu instid0(VALU_DEP_1)
	v_pk_add_f32 v[40:41], v[40:41], v[42:43]
.LBB149_236:                            ;   in Loop: Header=BB149_3 Depth=1
	s_or_b32 exec_lo, exec_lo, s10
.LBB149_237:                            ;   in Loop: Header=BB149_3 Depth=1
	s_delay_alu instid0(SALU_CYCLE_1)
	s_or_b32 exec_lo, exec_lo, s16
	s_and_saveexec_b32 s10, s91
	s_cbranch_execz .LBB149_239
; %bb.238:                              ;   in Loop: Header=BB149_3 Depth=1
	ds_load_b64 v[42:43], v1 offset:25480
	s_wait_dscnt 0x0
	v_pk_mul_f32 v[44:45], v[40:41], v[42:43] op_sel:[1,1] op_sel_hi:[1,0]
	s_delay_alu instid0(VALU_DEP_1) | instskip(SKIP_1) | instid1(VALU_DEP_2)
	v_pk_fma_f32 v[46:47], v[40:41], v[42:43], v[44:45] op_sel_hi:[0,1,1]
	v_pk_fma_f32 v[40:41], v[40:41], v[42:43], v[44:45] neg_lo:[0,0,1] neg_hi:[0,0,1]
	v_mov_b32_e32 v41, v47
	s_delay_alu instid0(VALU_DEP_1)
	v_pk_add_f32 v[42:43], v[40:41], 0 neg_lo:[1,1] neg_hi:[1,1]
	ds_store_b64 v3, v[42:43]
.LBB149_239:                            ;   in Loop: Header=BB149_3 Depth=1
	s_or_b32 exec_lo, exec_lo, s10
	s_wait_loadcnt_dscnt 0x0
	s_barrier_signal -1
	s_barrier_wait -1
	s_and_saveexec_b32 s10, s92
	s_cbranch_execz .LBB149_241
; %bb.240:                              ;   in Loop: Header=BB149_3 Depth=1
	ds_load_b64 v[42:43], v1 offset:25472
	ds_load_b64 v[44:45], v3
	s_wait_dscnt 0x0
	v_pk_mul_f32 v[46:47], v[44:45], v[42:43] op_sel:[1,1] op_sel_hi:[0,1]
	s_delay_alu instid0(VALU_DEP_1) | instskip(SKIP_1) | instid1(VALU_DEP_2)
	v_pk_fma_f32 v[100:101], v[44:45], v[42:43], v[46:47] op_sel_hi:[1,0,1]
	v_pk_fma_f32 v[42:43], v[44:45], v[42:43], v[46:47] neg_lo:[0,0,1] neg_hi:[0,0,1]
	v_mov_b32_e32 v43, v101
	s_delay_alu instid0(VALU_DEP_1)
	v_pk_add_f32 v[40:41], v[40:41], v[42:43] neg_lo:[0,1] neg_hi:[0,1]
.LBB149_241:                            ;   in Loop: Header=BB149_3 Depth=1
	s_or_b32 exec_lo, exec_lo, s10
	s_barrier_signal -1
	s_barrier_wait -1
	s_and_saveexec_b32 s10, s92
	s_cbranch_execz .LBB149_243
; %bb.242:                              ;   in Loop: Header=BB149_3 Depth=1
	ds_load_b64 v[42:43], v1 offset:24960
	s_wait_dscnt 0x0
	v_pk_mul_f32 v[44:45], v[40:41], v[42:43] op_sel:[1,1] op_sel_hi:[1,0]
	s_delay_alu instid0(VALU_DEP_1) | instskip(SKIP_1) | instid1(VALU_DEP_2)
	v_pk_fma_f32 v[46:47], v[40:41], v[42:43], v[44:45] op_sel_hi:[0,1,1]
	v_pk_fma_f32 v[40:41], v[40:41], v[42:43], v[44:45] neg_lo:[0,0,1] neg_hi:[0,0,1]
	v_mov_b32_e32 v41, v47
	s_delay_alu instid0(VALU_DEP_1)
	v_pk_add_f32 v[42:43], v[40:41], 0 neg_lo:[1,1] neg_hi:[1,1]
	ds_store_b64 v3, v[42:43]
.LBB149_243:                            ;   in Loop: Header=BB149_3 Depth=1
	s_or_b32 exec_lo, exec_lo, s10
	s_wait_dscnt 0x0
	s_barrier_signal -1
	s_barrier_wait -1
	s_barrier_signal -1
	s_barrier_wait -1
	s_and_saveexec_b32 s10, s1
; %bb.244:                              ;   in Loop: Header=BB149_3 Depth=1
	ds_store_b64 v52, v[40:41] offset:26496
; %bb.245:                              ;   in Loop: Header=BB149_3 Depth=1
	s_or_b32 exec_lo, exec_lo, s10
	s_wait_dscnt 0x0
	s_barrier_signal -1
	s_barrier_wait -1
	s_barrier_signal -1
	s_barrier_wait -1
	s_and_saveexec_b32 s10, s93
	s_cbranch_execz .LBB149_247
; %bb.246:                              ;   in Loop: Header=BB149_3 Depth=1
	ds_load_b64 v[40:41], v87 offset:25984
	s_wait_dscnt 0x0
	ds_store_b64 v85, v[40:41] offset:24976
	ds_load_b64 v[40:41], v87 offset:25992
	s_wait_dscnt 0x0
	ds_store_b64 v85, v[40:41] offset:25488
.LBB149_247:                            ;   in Loop: Header=BB149_3 Depth=1
	s_or_b32 exec_lo, exec_lo, s10
	s_wait_dscnt 0x0
	s_barrier_signal -1
	s_barrier_wait -1
	s_and_saveexec_b32 s10, s15
	s_cbranch_execz .LBB149_249
; %bb.248:                              ;   in Loop: Header=BB149_3 Depth=1
	v_add_nc_u32_e64 v0, 0x180, 0
	ds_load_b64 v[44:45], v1 offset:25480
	ds_load_2addr_stride64_b64 v[40:43], v0 offset0:48 offset1:49
	s_wait_dscnt 0x0
	v_dual_mul_f32 v46, v45, v41 :: v_dual_mul_f32 v0, v44, v41
	s_delay_alu instid0(VALU_DEP_1) | instskip(NEXT) | instid1(VALU_DEP_1)
	v_xor_b32_e32 v46, 0x80000000, v46
	v_dual_fmac_f32 v0, v45, v40 :: v_dual_fmac_f32 v46, v44, v40
	s_delay_alu instid0(VALU_DEP_1) | instskip(SKIP_1) | instid1(VALU_DEP_2)
	v_pk_mul_f32 v[40:41], v[0:1], v[42:43] op_sel:[0,1] op_sel_hi:[0,0]
	v_add_nc_u32_e64 v0, 0x6000, 0
	v_pk_fma_f32 v[44:45], v[46:47], v[42:43], v[40:41] op_sel_hi:[0,1,1]
	v_pk_fma_f32 v[40:41], v[46:47], v[42:43], v[40:41] neg_lo:[0,0,1] neg_hi:[0,0,1]
	s_delay_alu instid0(VALU_DEP_2)
	v_mov_b32_e32 v41, v45
	ds_store_2addr_b64 v0, v[40:41], v[40:41] offset0:49 offset1:112
.LBB149_249:                            ;   in Loop: Header=BB149_3 Depth=1
	s_or_b32 exec_lo, exec_lo, s10
	v_mov_b64_e32 v[40:41], 0
	s_wait_dscnt 0x0
	s_barrier_signal -1
	s_barrier_wait -1
	global_wb scope:SCOPE_DEV
	s_wait_storecnt 0x0
	global_inv scope:SCOPE_DEV
	s_and_saveexec_b32 s66, s5
	s_cbranch_execz .LBB149_277
; %bb.250:                              ;   in Loop: Header=BB149_3 Depth=1
	ds_load_b64 v[40:41], v63 offset:24832
	ds_load_b64 v[42:43], v64 offset:32640
	v_readlane_b32 s11, v108, 26
	s_wait_dscnt 0x0
	v_dual_mul_f32 v0, v43, v41 :: v_dual_mul_f32 v41, v42, v41
	s_delay_alu instid0(VALU_DEP_1) | instskip(NEXT) | instid1(VALU_DEP_1)
	v_dual_fma_f32 v0, v42, v40, -v0 :: v_dual_fmac_f32 v41, v43, v40
	v_dual_add_f32 v40, 0, v0 :: v_dual_add_f32 v41, 0, v41
	s_and_saveexec_b32 s10, s11
	s_cbranch_execz .LBB149_252
; %bb.251:                              ;   in Loop: Header=BB149_3 Depth=1
	ds_load_b64 v[42:43], v63 offset:25344
	ds_load_b64 v[44:45], v64 offset:32648
	s_wait_dscnt 0x0
	v_dual_mul_f32 v0, v45, v43 :: v_dual_mul_f32 v43, v44, v43
	s_delay_alu instid0(VALU_DEP_1) | instskip(NEXT) | instid1(VALU_DEP_1)
	v_dual_fma_f32 v0, v44, v42, -v0 :: v_dual_fmac_f32 v43, v45, v42
	v_dual_add_f32 v40, v40, v0 :: v_dual_add_f32 v41, v41, v43
.LBB149_252:                            ;   in Loop: Header=BB149_3 Depth=1
	s_or_b32 exec_lo, exec_lo, s10
	v_readlane_b32 s11, v108, 27
	s_and_saveexec_b32 s10, s11
	s_cbranch_execz .LBB149_254
; %bb.253:                              ;   in Loop: Header=BB149_3 Depth=1
	ds_load_b64 v[42:43], v63 offset:25856
	ds_load_b64 v[44:45], v64 offset:32656
	s_wait_dscnt 0x0
	v_dual_mul_f32 v0, v45, v43 :: v_dual_mul_f32 v43, v44, v43
	s_delay_alu instid0(VALU_DEP_1) | instskip(NEXT) | instid1(VALU_DEP_1)
	v_dual_fma_f32 v0, v44, v42, -v0 :: v_dual_fmac_f32 v43, v45, v42
	v_dual_add_f32 v40, v40, v0 :: v_dual_add_f32 v41, v41, v43
.LBB149_254:                            ;   in Loop: Header=BB149_3 Depth=1
	s_or_b32 exec_lo, exec_lo, s10
	v_readlane_b32 s11, v108, 28
	;; [unrolled: 13-line block ×8, first 2 shown]
	s_and_saveexec_b32 s10, s11
	s_cbranch_execz .LBB149_268
; %bb.267:                              ;   in Loop: Header=BB149_3 Depth=1
	ds_load_b64 v[42:43], v63 offset:29440
	ds_load_b64 v[44:45], v64 offset:32712
	s_wait_dscnt 0x0
	v_dual_mul_f32 v0, v45, v43 :: v_dual_mul_f32 v43, v44, v43
	s_delay_alu instid0(VALU_DEP_1) | instskip(NEXT) | instid1(VALU_DEP_1)
	v_dual_fma_f32 v0, v44, v42, -v0 :: v_dual_fmac_f32 v43, v45, v42
	v_dual_add_f32 v40, v40, v0 :: v_dual_add_f32 v41, v41, v43
.LBB149_268:                            ;   in Loop: Header=BB149_3 Depth=1
	s_or_b32 exec_lo, exec_lo, s10
	s_and_saveexec_b32 s10, s13
	s_cbranch_execz .LBB149_270
; %bb.269:                              ;   in Loop: Header=BB149_3 Depth=1
	ds_load_b64 v[42:43], v63 offset:29952
	ds_load_b64 v[44:45], v64 offset:32720
	s_wait_dscnt 0x0
	v_dual_mul_f32 v0, v45, v43 :: v_dual_mul_f32 v43, v44, v43
	s_delay_alu instid0(VALU_DEP_1) | instskip(NEXT) | instid1(VALU_DEP_1)
	v_dual_fma_f32 v0, v44, v42, -v0 :: v_dual_fmac_f32 v43, v45, v42
	v_dual_add_f32 v40, v40, v0 :: v_dual_add_f32 v41, v41, v43
.LBB149_270:                            ;   in Loop: Header=BB149_3 Depth=1
	s_or_b32 exec_lo, exec_lo, s10
	v_readlane_b32 s11, v99, 3
	s_and_saveexec_b32 s10, s11
	s_cbranch_execnz .LBB149_1119
; %bb.271:                              ;   in Loop: Header=BB149_3 Depth=1
	s_or_b32 exec_lo, exec_lo, s10
	s_and_saveexec_b32 s10, s4
	s_cbranch_execnz .LBB149_1120
.LBB149_272:                            ;   in Loop: Header=BB149_3 Depth=1
	s_or_b32 exec_lo, exec_lo, s10
	s_and_saveexec_b32 s10, s21
	s_cbranch_execnz .LBB149_1121
.LBB149_273:                            ;   in Loop: Header=BB149_3 Depth=1
	s_or_b32 exec_lo, exec_lo, s10
	s_and_saveexec_b32 s10, s23
	s_cbranch_execnz .LBB149_1122
.LBB149_274:                            ;   in Loop: Header=BB149_3 Depth=1
	s_or_b32 exec_lo, exec_lo, s10
	s_and_saveexec_b32 s10, s3
	s_cbranch_execz .LBB149_276
.LBB149_275:                            ;   in Loop: Header=BB149_3 Depth=1
	ds_load_b64 v[42:43], v71 offset:32512
	ds_load_b64 v[44:45], v1 offset:32760
	s_wait_dscnt 0x0
	v_dual_mul_f32 v0, v45, v43 :: v_dual_mul_f32 v47, v44, v43
	s_delay_alu instid0(VALU_DEP_1) | instskip(NEXT) | instid1(VALU_DEP_1)
	v_dual_fma_f32 v46, v44, v42, -v0 :: v_dual_fmac_f32 v47, v45, v42
	v_pk_add_f32 v[40:41], v[40:41], v[46:47]
.LBB149_276:                            ;   in Loop: Header=BB149_3 Depth=1
	s_or_b32 exec_lo, exec_lo, s10
.LBB149_277:                            ;   in Loop: Header=BB149_3 Depth=1
	s_delay_alu instid0(SALU_CYCLE_1)
	s_or_b32 exec_lo, exec_lo, s66
	v_readlane_b32 s11, v108, 1
	s_and_saveexec_b32 s10, s11
	s_cbranch_execz .LBB149_279
; %bb.278:                              ;   in Loop: Header=BB149_3 Depth=1
	ds_load_b64 v[42:43], v1 offset:24440
	s_wait_dscnt 0x0
	v_pk_mul_f32 v[44:45], v[40:41], v[42:43] op_sel:[1,1] op_sel_hi:[1,0]
	s_delay_alu instid0(VALU_DEP_1) | instskip(SKIP_1) | instid1(VALU_DEP_2)
	v_pk_fma_f32 v[46:47], v[40:41], v[42:43], v[44:45] op_sel_hi:[0,1,1]
	v_pk_fma_f32 v[40:41], v[40:41], v[42:43], v[44:45] neg_lo:[0,0,1] neg_hi:[0,0,1]
	v_mov_b32_e32 v41, v47
	s_delay_alu instid0(VALU_DEP_1)
	v_pk_add_f32 v[42:43], v[40:41], 0 neg_lo:[1,1] neg_hi:[1,1]
	ds_store_b64 v62, v[42:43]
.LBB149_279:                            ;   in Loop: Header=BB149_3 Depth=1
	s_or_b32 exec_lo, exec_lo, s10
	v_readlane_b32 s11, v108, 2
	s_wait_loadcnt_dscnt 0x0
	s_barrier_signal -1
	s_barrier_wait -1
	s_and_saveexec_b32 s10, s11
	s_cbranch_execz .LBB149_281
; %bb.280:                              ;   in Loop: Header=BB149_3 Depth=1
	ds_load_b64 v[42:43], v63 offset:24320
	ds_load_b64 v[44:45], v62
	s_wait_dscnt 0x0
	v_pk_mul_f32 v[46:47], v[44:45], v[42:43] op_sel:[1,1] op_sel_hi:[0,1]
	s_delay_alu instid0(VALU_DEP_1) | instskip(SKIP_1) | instid1(VALU_DEP_2)
	v_pk_fma_f32 v[100:101], v[44:45], v[42:43], v[46:47] op_sel_hi:[1,0,1]
	v_pk_fma_f32 v[42:43], v[44:45], v[42:43], v[46:47] neg_lo:[0,0,1] neg_hi:[0,0,1]
	v_mov_b32_e32 v43, v101
	s_delay_alu instid0(VALU_DEP_1)
	v_pk_add_f32 v[40:41], v[40:41], v[42:43] neg_lo:[0,1] neg_hi:[0,1]
.LBB149_281:                            ;   in Loop: Header=BB149_3 Depth=1
	s_or_b32 exec_lo, exec_lo, s10
	v_readlane_b32 s11, v108, 3
	s_barrier_signal -1
	s_barrier_wait -1
	s_and_saveexec_b32 s10, s11
	s_cbranch_execz .LBB149_283
; %bb.282:                              ;   in Loop: Header=BB149_3 Depth=1
	ds_load_b64 v[42:43], v1 offset:23920
	s_wait_dscnt 0x0
	v_pk_mul_f32 v[44:45], v[40:41], v[42:43] op_sel:[1,1] op_sel_hi:[1,0]
	s_delay_alu instid0(VALU_DEP_1) | instskip(SKIP_1) | instid1(VALU_DEP_2)
	v_pk_fma_f32 v[46:47], v[40:41], v[42:43], v[44:45] op_sel_hi:[0,1,1]
	v_pk_fma_f32 v[40:41], v[40:41], v[42:43], v[44:45] neg_lo:[0,0,1] neg_hi:[0,0,1]
	v_mov_b32_e32 v41, v47
	s_delay_alu instid0(VALU_DEP_1)
	v_pk_add_f32 v[42:43], v[40:41], 0 neg_lo:[1,1] neg_hi:[1,1]
	ds_store_b64 v62, v[42:43]
.LBB149_283:                            ;   in Loop: Header=BB149_3 Depth=1
	s_or_b32 exec_lo, exec_lo, s10
	v_readlane_b32 s11, v108, 4
	s_wait_dscnt 0x0
	s_barrier_signal -1
	s_barrier_wait -1
	s_and_saveexec_b32 s10, s11
	s_cbranch_execz .LBB149_285
; %bb.284:                              ;   in Loop: Header=BB149_3 Depth=1
	ds_load_b64 v[42:43], v63 offset:23808
	ds_load_b64 v[44:45], v62
	s_wait_dscnt 0x0
	v_pk_mul_f32 v[46:47], v[44:45], v[42:43] op_sel:[1,1] op_sel_hi:[0,1]
	s_delay_alu instid0(VALU_DEP_1) | instskip(SKIP_1) | instid1(VALU_DEP_2)
	v_pk_fma_f32 v[100:101], v[44:45], v[42:43], v[46:47] op_sel_hi:[1,0,1]
	v_pk_fma_f32 v[42:43], v[44:45], v[42:43], v[46:47] neg_lo:[0,0,1] neg_hi:[0,0,1]
	v_mov_b32_e32 v43, v101
	s_delay_alu instid0(VALU_DEP_1)
	v_pk_add_f32 v[40:41], v[40:41], v[42:43] neg_lo:[0,1] neg_hi:[0,1]
.LBB149_285:                            ;   in Loop: Header=BB149_3 Depth=1
	s_or_b32 exec_lo, exec_lo, s10
	v_readlane_b32 s11, v108, 5
	s_barrier_signal -1
	s_barrier_wait -1
	s_and_saveexec_b32 s10, s11
	s_cbranch_execz .LBB149_287
; %bb.286:                              ;   in Loop: Header=BB149_3 Depth=1
	ds_load_b64 v[42:43], v1 offset:23400
	s_wait_dscnt 0x0
	v_pk_mul_f32 v[44:45], v[40:41], v[42:43] op_sel:[1,1] op_sel_hi:[1,0]
	s_delay_alu instid0(VALU_DEP_1) | instskip(SKIP_1) | instid1(VALU_DEP_2)
	v_pk_fma_f32 v[46:47], v[40:41], v[42:43], v[44:45] op_sel_hi:[0,1,1]
	v_pk_fma_f32 v[40:41], v[40:41], v[42:43], v[44:45] neg_lo:[0,0,1] neg_hi:[0,0,1]
	v_mov_b32_e32 v41, v47
	s_delay_alu instid0(VALU_DEP_1)
	v_pk_add_f32 v[42:43], v[40:41], 0 neg_lo:[1,1] neg_hi:[1,1]
	ds_store_b64 v62, v[42:43]
.LBB149_287:                            ;   in Loop: Header=BB149_3 Depth=1
	s_or_b32 exec_lo, exec_lo, s10
	v_readlane_b32 s11, v108, 6
	s_wait_dscnt 0x0
	s_barrier_signal -1
	s_barrier_wait -1
	s_and_saveexec_b32 s10, s11
	s_cbranch_execz .LBB149_289
; %bb.288:                              ;   in Loop: Header=BB149_3 Depth=1
	ds_load_b64 v[42:43], v63 offset:23296
	ds_load_b64 v[44:45], v62
	s_wait_dscnt 0x0
	v_pk_mul_f32 v[46:47], v[44:45], v[42:43] op_sel:[1,1] op_sel_hi:[0,1]
	s_delay_alu instid0(VALU_DEP_1) | instskip(SKIP_1) | instid1(VALU_DEP_2)
	v_pk_fma_f32 v[100:101], v[44:45], v[42:43], v[46:47] op_sel_hi:[1,0,1]
	v_pk_fma_f32 v[42:43], v[44:45], v[42:43], v[46:47] neg_lo:[0,0,1] neg_hi:[0,0,1]
	v_mov_b32_e32 v43, v101
	s_delay_alu instid0(VALU_DEP_1)
	v_pk_add_f32 v[40:41], v[40:41], v[42:43] neg_lo:[0,1] neg_hi:[0,1]
.LBB149_289:                            ;   in Loop: Header=BB149_3 Depth=1
	s_or_b32 exec_lo, exec_lo, s10
	s_delay_alu instid0(VALU_DEP_1)
	v_dual_mov_b32 v42, v41 :: v_dual_mov_b32 v43, v40
	s_barrier_signal -1
	s_barrier_wait -1
	s_and_saveexec_b32 s10, s56
	s_cbranch_execz .LBB149_291
; %bb.290:                              ;   in Loop: Header=BB149_3 Depth=1
	ds_load_b64 v[44:45], v1 offset:22880
	s_wait_dscnt 0x0
	v_dual_mul_f32 v0, v43, v45 :: v_dual_mul_f32 v46, v41, v45
	s_delay_alu instid0(VALU_DEP_1) | instskip(NEXT) | instid1(VALU_DEP_2)
	v_pk_fma_f32 v[42:43], v[42:43], v[44:45], v[0:1] op_sel_hi:[1,1,0]
	v_pk_fma_f32 v[40:41], v[40:41], v[44:45], v[46:47] op_sel_hi:[1,1,0] neg_lo:[0,0,1] neg_hi:[0,0,1]
	s_delay_alu instid0(VALU_DEP_1) | instskip(NEXT) | instid1(VALU_DEP_1)
	v_dual_mov_b32 v41, v42 :: v_dual_mov_b32 v43, v40
	v_pk_add_f32 v[44:45], v[40:41], 0 neg_lo:[1,1] neg_hi:[1,1]
	ds_store_b64 v62, v[44:45]
.LBB149_291:                            ;   in Loop: Header=BB149_3 Depth=1
	s_or_b32 exec_lo, exec_lo, s10
	s_wait_dscnt 0x0
	s_barrier_signal -1
	s_barrier_wait -1
	s_and_saveexec_b32 s10, s57
	s_cbranch_execz .LBB149_293
; %bb.292:                              ;   in Loop: Header=BB149_3 Depth=1
	ds_load_b64 v[40:41], v63 offset:22784
	ds_load_b64 v[44:45], v62
	s_wait_dscnt 0x0
	v_dual_mul_f32 v0, v45, v41 :: v_dual_mul_f32 v46, v44, v41
	s_delay_alu instid0(VALU_DEP_1) | instskip(NEXT) | instid1(VALU_DEP_1)
	v_dual_fma_f32 v47, v44, v40, -v0 :: v_dual_fmac_f32 v46, v45, v40
	v_pk_add_f32 v[42:43], v[42:43], v[46:47] neg_lo:[0,1] neg_hi:[0,1]
.LBB149_293:                            ;   in Loop: Header=BB149_3 Depth=1
	s_or_b32 exec_lo, exec_lo, s10
	s_barrier_signal -1
	s_barrier_wait -1
	s_and_saveexec_b32 s10, s58
	s_cbranch_execz .LBB149_295
; %bb.294:                              ;   in Loop: Header=BB149_3 Depth=1
	ds_load_b64 v[40:41], v1 offset:22360
	s_wait_dscnt 0x0
	v_pk_mul_f32 v[44:45], v[42:43], v[40:41] op_sel_hi:[0,1]
	s_delay_alu instid0(VALU_DEP_1) | instskip(SKIP_1) | instid1(VALU_DEP_2)
	v_pk_fma_f32 v[46:47], v[42:43], v[40:41], v[44:45] op_sel:[1,1,0] op_sel_hi:[1,0,1] neg_lo:[0,0,1] neg_hi:[0,0,1]
	v_pk_fma_f32 v[42:43], v[42:43], v[40:41], v[44:45] op_sel:[1,1,0] op_sel_hi:[1,0,1]
	v_mov_b32_e32 v43, v47
	s_delay_alu instid0(VALU_DEP_2)
	v_xor_b32_e32 v41, 0x80000000, v42
	v_xor_b32_e32 v40, 0x80000000, v47
	ds_store_b64 v62, v[40:41]
.LBB149_295:                            ;   in Loop: Header=BB149_3 Depth=1
	s_or_b32 exec_lo, exec_lo, s10
	s_wait_dscnt 0x0
	s_barrier_signal -1
	s_barrier_wait -1
	s_and_saveexec_b32 s10, s59
	s_cbranch_execz .LBB149_297
; %bb.296:                              ;   in Loop: Header=BB149_3 Depth=1
	ds_load_b64 v[40:41], v63 offset:22272
	ds_load_b64 v[44:45], v62
	s_wait_dscnt 0x0
	v_pk_mul_f32 v[46:47], v[44:45], v[40:41] op_sel:[0,1]
	s_delay_alu instid0(VALU_DEP_1) | instskip(SKIP_1) | instid1(VALU_DEP_2)
	v_pk_fma_f32 v[100:101], v[44:45], v[40:41], v[46:47] op_sel:[1,0,0] op_sel_hi:[0,0,1] neg_lo:[0,0,1] neg_hi:[0,0,1]
	v_pk_fma_f32 v[40:41], v[44:45], v[40:41], v[46:47] op_sel:[1,0,0] op_sel_hi:[0,1,1]
	v_mov_b32_e32 v41, v101
	s_delay_alu instid0(VALU_DEP_1)
	v_pk_add_f32 v[42:43], v[42:43], v[40:41] neg_lo:[0,1] neg_hi:[0,1]
.LBB149_297:                            ;   in Loop: Header=BB149_3 Depth=1
	s_or_b32 exec_lo, exec_lo, s10
	s_barrier_signal -1
	s_barrier_wait -1
	s_and_saveexec_b32 s10, s60
	s_cbranch_execz .LBB149_299
; %bb.298:                              ;   in Loop: Header=BB149_3 Depth=1
	ds_load_b64 v[40:41], v1 offset:21840
	s_wait_dscnt 0x0
	v_pk_mul_f32 v[44:45], v[42:43], v[40:41] op_sel_hi:[0,1]
	s_delay_alu instid0(VALU_DEP_1) | instskip(SKIP_1) | instid1(VALU_DEP_2)
	v_pk_fma_f32 v[46:47], v[42:43], v[40:41], v[44:45] op_sel:[1,1,0] op_sel_hi:[1,0,1] neg_lo:[0,0,1] neg_hi:[0,0,1]
	v_pk_fma_f32 v[42:43], v[42:43], v[40:41], v[44:45] op_sel:[1,1,0] op_sel_hi:[1,0,1]
	v_mov_b32_e32 v43, v47
	s_delay_alu instid0(VALU_DEP_2)
	v_xor_b32_e32 v41, 0x80000000, v42
	v_xor_b32_e32 v40, 0x80000000, v47
	ds_store_b64 v62, v[40:41]
.LBB149_299:                            ;   in Loop: Header=BB149_3 Depth=1
	s_or_b32 exec_lo, exec_lo, s10
	s_wait_dscnt 0x0
	s_barrier_signal -1
	s_barrier_wait -1
	s_and_saveexec_b32 s10, s61
	s_cbranch_execz .LBB149_301
; %bb.300:                              ;   in Loop: Header=BB149_3 Depth=1
	ds_load_b64 v[40:41], v63 offset:21760
	ds_load_b64 v[44:45], v62
	s_wait_dscnt 0x0
	v_pk_mul_f32 v[46:47], v[44:45], v[40:41] op_sel:[0,1]
	s_delay_alu instid0(VALU_DEP_1) | instskip(SKIP_1) | instid1(VALU_DEP_2)
	v_pk_fma_f32 v[100:101], v[44:45], v[40:41], v[46:47] op_sel:[1,0,0] op_sel_hi:[0,0,1] neg_lo:[0,0,1] neg_hi:[0,0,1]
	v_pk_fma_f32 v[40:41], v[44:45], v[40:41], v[46:47] op_sel:[1,0,0] op_sel_hi:[0,1,1]
	v_mov_b32_e32 v41, v101
	s_delay_alu instid0(VALU_DEP_1)
	v_pk_add_f32 v[42:43], v[42:43], v[40:41] neg_lo:[0,1] neg_hi:[0,1]
.LBB149_301:                            ;   in Loop: Header=BB149_3 Depth=1
	;; [unrolled: 36-line block ×3, first 2 shown]
	s_or_b32 exec_lo, exec_lo, s10
	s_delay_alu instid0(VALU_DEP_1)
	v_dual_mov_b32 v40, v43 :: v_dual_mov_b32 v41, v42
	s_barrier_signal -1
	s_barrier_wait -1
	s_and_saveexec_b32 s10, s64
	s_cbranch_execz .LBB149_307
; %bb.306:                              ;   in Loop: Header=BB149_3 Depth=1
	ds_load_b64 v[44:45], v1 offset:20800
	s_wait_dscnt 0x0
	v_dual_mul_f32 v0, v42, v44 :: v_dual_mul_f32 v46, v41, v45
	s_delay_alu instid0(VALU_DEP_1) | instskip(NEXT) | instid1(VALU_DEP_2)
	v_pk_fma_f32 v[42:43], v[42:43], v[44:45], v[0:1] op_sel_hi:[1,1,0]
	v_pk_fma_f32 v[40:41], v[40:41], v[44:45], v[46:47] op_sel_hi:[1,1,0] neg_lo:[0,0,1] neg_hi:[0,0,1]
	s_delay_alu instid0(VALU_DEP_2) | instskip(NEXT) | instid1(VALU_DEP_1)
	v_mov_b32_e32 v41, v43
	v_pk_add_f32 v[42:43], v[40:41], 0 neg_lo:[1,1] neg_hi:[1,1]
	ds_store_b64 v62, v[42:43]
.LBB149_307:                            ;   in Loop: Header=BB149_3 Depth=1
	s_or_b32 exec_lo, exec_lo, s10
	s_wait_dscnt 0x0
	s_barrier_signal -1
	s_barrier_wait -1
	s_and_saveexec_b32 s10, s65
	s_cbranch_execz .LBB149_309
; %bb.308:                              ;   in Loop: Header=BB149_3 Depth=1
	ds_load_b64 v[42:43], v63 offset:20736
	ds_load_b64 v[44:45], v62
	s_wait_dscnt 0x0
	v_dual_mul_f32 v0, v45, v43 :: v_dual_mul_f32 v47, v44, v43
	s_delay_alu instid0(VALU_DEP_1) | instskip(NEXT) | instid1(VALU_DEP_1)
	v_dual_fma_f32 v46, v44, v42, -v0 :: v_dual_fmac_f32 v47, v45, v42
	v_pk_add_f32 v[40:41], v[40:41], v[46:47] neg_lo:[0,1] neg_hi:[0,1]
.LBB149_309:                            ;   in Loop: Header=BB149_3 Depth=1
	s_or_b32 exec_lo, exec_lo, s10
	s_barrier_signal -1
	s_barrier_wait -1
	s_and_saveexec_b32 s10, s25
	s_cbranch_execz .LBB149_311
; %bb.310:                              ;   in Loop: Header=BB149_3 Depth=1
	ds_load_b64 v[42:43], v1 offset:20280
	s_wait_dscnt 0x0
	v_pk_mul_f32 v[44:45], v[40:41], v[42:43] op_sel:[1,1] op_sel_hi:[1,0]
	s_delay_alu instid0(VALU_DEP_1) | instskip(SKIP_1) | instid1(VALU_DEP_2)
	v_pk_fma_f32 v[46:47], v[40:41], v[42:43], v[44:45] op_sel_hi:[0,1,1]
	v_pk_fma_f32 v[40:41], v[40:41], v[42:43], v[44:45] neg_lo:[0,0,1] neg_hi:[0,0,1]
	v_mov_b32_e32 v41, v47
	s_delay_alu instid0(VALU_DEP_1)
	v_pk_add_f32 v[42:43], v[40:41], 0 neg_lo:[1,1] neg_hi:[1,1]
	ds_store_b64 v62, v[42:43]
.LBB149_311:                            ;   in Loop: Header=BB149_3 Depth=1
	s_or_b32 exec_lo, exec_lo, s10
	s_wait_dscnt 0x0
	s_barrier_signal -1
	s_barrier_wait -1
	s_and_saveexec_b32 s10, s27
	s_cbranch_execz .LBB149_313
; %bb.312:                              ;   in Loop: Header=BB149_3 Depth=1
	ds_load_b64 v[42:43], v63 offset:20224
	ds_load_b64 v[44:45], v62
	s_wait_dscnt 0x0
	v_pk_mul_f32 v[46:47], v[44:45], v[42:43] op_sel:[1,1] op_sel_hi:[0,1]
	s_delay_alu instid0(VALU_DEP_1) | instskip(SKIP_1) | instid1(VALU_DEP_2)
	v_pk_fma_f32 v[100:101], v[44:45], v[42:43], v[46:47] op_sel_hi:[1,0,1]
	v_pk_fma_f32 v[42:43], v[44:45], v[42:43], v[46:47] neg_lo:[0,0,1] neg_hi:[0,0,1]
	v_mov_b32_e32 v43, v101
	s_delay_alu instid0(VALU_DEP_1)
	v_pk_add_f32 v[40:41], v[40:41], v[42:43] neg_lo:[0,1] neg_hi:[0,1]
.LBB149_313:                            ;   in Loop: Header=BB149_3 Depth=1
	s_or_b32 exec_lo, exec_lo, s10
	s_barrier_signal -1
	s_barrier_wait -1
	s_and_saveexec_b32 s10, s29
	s_cbranch_execz .LBB149_315
; %bb.314:                              ;   in Loop: Header=BB149_3 Depth=1
	ds_load_b64 v[42:43], v1 offset:19760
	s_wait_dscnt 0x0
	v_pk_mul_f32 v[44:45], v[40:41], v[42:43] op_sel:[1,1] op_sel_hi:[1,0]
	s_delay_alu instid0(VALU_DEP_1) | instskip(SKIP_1) | instid1(VALU_DEP_2)
	v_pk_fma_f32 v[46:47], v[40:41], v[42:43], v[44:45] op_sel_hi:[0,1,1]
	v_pk_fma_f32 v[40:41], v[40:41], v[42:43], v[44:45] neg_lo:[0,0,1] neg_hi:[0,0,1]
	v_mov_b32_e32 v41, v47
	s_delay_alu instid0(VALU_DEP_1)
	v_pk_add_f32 v[42:43], v[40:41], 0 neg_lo:[1,1] neg_hi:[1,1]
	ds_store_b64 v62, v[42:43]
.LBB149_315:                            ;   in Loop: Header=BB149_3 Depth=1
	s_or_b32 exec_lo, exec_lo, s10
	s_wait_dscnt 0x0
	s_barrier_signal -1
	s_barrier_wait -1
	s_and_saveexec_b32 s10, s31
	s_cbranch_execz .LBB149_317
; %bb.316:                              ;   in Loop: Header=BB149_3 Depth=1
	ds_load_b64 v[42:43], v63 offset:19712
	ds_load_b64 v[44:45], v62
	s_wait_dscnt 0x0
	v_pk_mul_f32 v[46:47], v[44:45], v[42:43] op_sel:[1,1] op_sel_hi:[0,1]
	s_delay_alu instid0(VALU_DEP_1) | instskip(SKIP_1) | instid1(VALU_DEP_2)
	v_pk_fma_f32 v[100:101], v[44:45], v[42:43], v[46:47] op_sel_hi:[1,0,1]
	v_pk_fma_f32 v[42:43], v[44:45], v[42:43], v[46:47] neg_lo:[0,0,1] neg_hi:[0,0,1]
	v_mov_b32_e32 v43, v101
	s_delay_alu instid0(VALU_DEP_1)
	v_pk_add_f32 v[40:41], v[40:41], v[42:43] neg_lo:[0,1] neg_hi:[0,1]
.LBB149_317:                            ;   in Loop: Header=BB149_3 Depth=1
	;; [unrolled: 35-line block ×3, first 2 shown]
	s_or_b32 exec_lo, exec_lo, s10
	s_barrier_signal -1
	s_barrier_wait -1
	s_and_saveexec_b32 s10, s26
	s_cbranch_execz .LBB149_323
; %bb.322:                              ;   in Loop: Header=BB149_3 Depth=1
	ds_load_b64 v[42:43], v1 offset:18720
	s_wait_dscnt 0x0
	v_pk_mul_f32 v[44:45], v[40:41], v[42:43]
	v_pk_mul_f32 v[40:41], v[40:41], v[42:43] op_sel:[1,0] op_sel_hi:[0,1]
	s_delay_alu instid0(VALU_DEP_1) | instskip(NEXT) | instid1(VALU_DEP_3)
	v_dual_mov_b32 v42, v44 :: v_dual_mov_b32 v43, v40
	v_mov_b32_e32 v40, v45
	s_delay_alu instid0(VALU_DEP_1) | instskip(SKIP_1) | instid1(VALU_DEP_2)
	v_pk_add_f32 v[44:45], v[42:43], v[40:41]
	v_pk_add_f32 v[40:41], v[42:43], v[40:41] neg_lo:[0,1] neg_hi:[0,1]
	v_mov_b32_e32 v41, v45
	s_delay_alu instid0(VALU_DEP_1)
	v_pk_add_f32 v[42:43], v[40:41], 0 neg_lo:[1,1] neg_hi:[1,1]
	ds_store_b64 v62, v[42:43]
.LBB149_323:                            ;   in Loop: Header=BB149_3 Depth=1
	s_or_b32 exec_lo, exec_lo, s10
	s_wait_dscnt 0x0
	s_barrier_signal -1
	s_barrier_wait -1
	s_and_saveexec_b32 s10, s28
	s_cbranch_execz .LBB149_325
; %bb.324:                              ;   in Loop: Header=BB149_3 Depth=1
	ds_load_b64 v[42:43], v63 offset:18688
	ds_load_b64 v[44:45], v62
	s_wait_dscnt 0x0
	v_dual_mul_f32 v0, v45, v43 :: v_dual_mul_f32 v43, v44, v43
	s_delay_alu instid0(VALU_DEP_1) | instskip(NEXT) | instid1(VALU_DEP_1)
	v_dual_fma_f32 v0, v44, v42, -v0 :: v_dual_fmac_f32 v43, v45, v42
	v_dual_sub_f32 v40, v40, v0 :: v_dual_sub_f32 v41, v41, v43
.LBB149_325:                            ;   in Loop: Header=BB149_3 Depth=1
	s_or_b32 exec_lo, exec_lo, s10
	s_barrier_signal -1
	s_barrier_wait -1
	s_and_saveexec_b32 s10, s30
	s_cbranch_execz .LBB149_327
; %bb.326:                              ;   in Loop: Header=BB149_3 Depth=1
	ds_load_b64 v[42:43], v1 offset:18200
	s_wait_dscnt 0x0
	v_dual_mul_f32 v0, v41, v42 :: v_dual_mul_f32 v44, v41, v43
	s_delay_alu instid0(VALU_DEP_1) | instskip(NEXT) | instid1(VALU_DEP_2)
	v_pk_fma_f32 v[46:47], v[40:41], v[42:43], v[0:1] op_sel:[1,0,0] op_sel_hi:[0,1,0]
	v_pk_fma_f32 v[40:41], v[40:41], v[42:43], v[44:45] op_sel_hi:[1,1,0] neg_lo:[0,0,1] neg_hi:[0,0,1]
	s_delay_alu instid0(VALU_DEP_2) | instskip(NEXT) | instid1(VALU_DEP_1)
	v_mov_b32_e32 v41, v47
	v_pk_add_f32 v[42:43], v[40:41], 0 neg_lo:[1,1] neg_hi:[1,1]
	ds_store_b64 v62, v[42:43]
.LBB149_327:                            ;   in Loop: Header=BB149_3 Depth=1
	s_or_b32 exec_lo, exec_lo, s10
	s_wait_dscnt 0x0
	s_barrier_signal -1
	s_barrier_wait -1
	s_and_saveexec_b32 s10, s33
	s_cbranch_execz .LBB149_329
; %bb.328:                              ;   in Loop: Header=BB149_3 Depth=1
	ds_load_b64 v[42:43], v63 offset:18176
	ds_load_b64 v[44:45], v62
	s_wait_dscnt 0x0
	v_pk_mul_f32 v[46:47], v[44:45], v[42:43] op_sel:[1,1] op_sel_hi:[0,1]
	s_delay_alu instid0(VALU_DEP_1) | instskip(SKIP_1) | instid1(VALU_DEP_2)
	v_pk_fma_f32 v[100:101], v[44:45], v[42:43], v[46:47] op_sel_hi:[1,0,1]
	v_pk_fma_f32 v[42:43], v[44:45], v[42:43], v[46:47] neg_lo:[0,0,1] neg_hi:[0,0,1]
	v_mov_b32_e32 v43, v101
	s_delay_alu instid0(VALU_DEP_1)
	v_pk_add_f32 v[40:41], v[40:41], v[42:43] neg_lo:[0,1] neg_hi:[0,1]
.LBB149_329:                            ;   in Loop: Header=BB149_3 Depth=1
	s_or_b32 exec_lo, exec_lo, s10
	s_barrier_signal -1
	s_barrier_wait -1
	s_and_saveexec_b32 s10, s35
	s_cbranch_execz .LBB149_331
; %bb.330:                              ;   in Loop: Header=BB149_3 Depth=1
	ds_load_b64 v[42:43], v1 offset:17680
	s_wait_dscnt 0x0
	v_pk_mul_f32 v[44:45], v[40:41], v[42:43] op_sel:[1,1] op_sel_hi:[1,0]
	s_delay_alu instid0(VALU_DEP_1) | instskip(SKIP_1) | instid1(VALU_DEP_2)
	v_pk_fma_f32 v[46:47], v[40:41], v[42:43], v[44:45] op_sel_hi:[0,1,1]
	v_pk_fma_f32 v[40:41], v[40:41], v[42:43], v[44:45] neg_lo:[0,0,1] neg_hi:[0,0,1]
	v_mov_b32_e32 v41, v47
	s_delay_alu instid0(VALU_DEP_1)
	v_pk_add_f32 v[42:43], v[40:41], 0 neg_lo:[1,1] neg_hi:[1,1]
	ds_store_b64 v62, v[42:43]
.LBB149_331:                            ;   in Loop: Header=BB149_3 Depth=1
	s_or_b32 exec_lo, exec_lo, s10
	s_wait_dscnt 0x0
	s_barrier_signal -1
	s_barrier_wait -1
	s_and_saveexec_b32 s10, s88
	s_cbranch_execz .LBB149_333
; %bb.332:                              ;   in Loop: Header=BB149_3 Depth=1
	ds_load_b64 v[42:43], v63 offset:17664
	ds_load_b64 v[44:45], v62
	s_wait_dscnt 0x0
	v_pk_mul_f32 v[46:47], v[44:45], v[42:43] op_sel:[1,1] op_sel_hi:[0,1]
	s_delay_alu instid0(VALU_DEP_1) | instskip(SKIP_1) | instid1(VALU_DEP_2)
	v_pk_fma_f32 v[100:101], v[44:45], v[42:43], v[46:47] op_sel_hi:[1,0,1]
	v_pk_fma_f32 v[42:43], v[44:45], v[42:43], v[46:47] neg_lo:[0,0,1] neg_hi:[0,0,1]
	v_mov_b32_e32 v43, v101
	s_delay_alu instid0(VALU_DEP_1)
	v_pk_add_f32 v[40:41], v[40:41], v[42:43] neg_lo:[0,1] neg_hi:[0,1]
.LBB149_333:                            ;   in Loop: Header=BB149_3 Depth=1
	s_or_b32 exec_lo, exec_lo, s10
	s_barrier_signal -1
	s_barrier_wait -1
	s_and_saveexec_b32 s10, s50
	s_cbranch_execz .LBB149_335
; %bb.334:                              ;   in Loop: Header=BB149_3 Depth=1
	ds_load_b64 v[42:43], v1 offset:17160
	s_wait_dscnt 0x0
	v_pk_mul_f32 v[44:45], v[40:41], v[42:43] op_sel:[1,1] op_sel_hi:[1,0]
	s_delay_alu instid0(VALU_DEP_1) | instskip(SKIP_1) | instid1(VALU_DEP_2)
	v_pk_fma_f32 v[46:47], v[40:41], v[42:43], v[44:45] op_sel_hi:[0,1,1]
	v_pk_fma_f32 v[40:41], v[40:41], v[42:43], v[44:45] neg_lo:[0,0,1] neg_hi:[0,0,1]
	v_mov_b32_e32 v41, v47
	s_delay_alu instid0(VALU_DEP_1)
	v_pk_add_f32 v[42:43], v[40:41], 0 neg_lo:[1,1] neg_hi:[1,1]
	ds_store_b64 v62, v[42:43]
.LBB149_335:                            ;   in Loop: Header=BB149_3 Depth=1
	s_or_b32 exec_lo, exec_lo, s10
	s_wait_dscnt 0x0
	s_barrier_signal -1
	s_barrier_wait -1
	s_and_saveexec_b32 s10, s51
	s_cbranch_execz .LBB149_337
; %bb.336:                              ;   in Loop: Header=BB149_3 Depth=1
	ds_load_b64 v[42:43], v1 offset:17152
	ds_load_b64 v[44:45], v62
	s_wait_dscnt 0x0
	v_pk_mul_f32 v[46:47], v[44:45], v[42:43] op_sel:[1,1] op_sel_hi:[0,1]
	s_delay_alu instid0(VALU_DEP_1) | instskip(SKIP_1) | instid1(VALU_DEP_2)
	v_pk_fma_f32 v[100:101], v[44:45], v[42:43], v[46:47] op_sel_hi:[1,0,1]
	v_pk_fma_f32 v[42:43], v[44:45], v[42:43], v[46:47] neg_lo:[0,0,1] neg_hi:[0,0,1]
	v_mov_b32_e32 v43, v101
	s_delay_alu instid0(VALU_DEP_1)
	v_pk_add_f32 v[40:41], v[40:41], v[42:43] neg_lo:[0,1] neg_hi:[0,1]
.LBB149_337:                            ;   in Loop: Header=BB149_3 Depth=1
	s_or_b32 exec_lo, exec_lo, s10
	s_barrier_signal -1
	s_barrier_wait -1
	s_and_saveexec_b32 s10, s51
	s_cbranch_execz .LBB149_339
; %bb.338:                              ;   in Loop: Header=BB149_3 Depth=1
	ds_load_b64 v[42:43], v1 offset:16640
	s_wait_dscnt 0x0
	v_pk_mul_f32 v[44:45], v[40:41], v[42:43] op_sel:[1,1] op_sel_hi:[1,0]
	s_delay_alu instid0(VALU_DEP_1) | instskip(SKIP_1) | instid1(VALU_DEP_2)
	v_pk_fma_f32 v[46:47], v[40:41], v[42:43], v[44:45] op_sel_hi:[0,1,1]
	v_pk_fma_f32 v[40:41], v[40:41], v[42:43], v[44:45] neg_lo:[0,0,1] neg_hi:[0,0,1]
	v_mov_b32_e32 v41, v47
	s_delay_alu instid0(VALU_DEP_1)
	v_pk_add_f32 v[42:43], v[40:41], 0 neg_lo:[1,1] neg_hi:[1,1]
	ds_store_b64 v62, v[42:43]
.LBB149_339:                            ;   in Loop: Header=BB149_3 Depth=1
	s_or_b32 exec_lo, exec_lo, s10
	s_wait_dscnt 0x0
	s_barrier_signal -1
	s_barrier_wait -1
	s_barrier_signal -1
	s_barrier_wait -1
	s_and_saveexec_b32 s10, s5
; %bb.340:                              ;   in Loop: Header=BB149_3 Depth=1
	ds_store_b64 v66, v[40:41] offset:32512
; %bb.341:                              ;   in Loop: Header=BB149_3 Depth=1
	s_or_b32 exec_lo, exec_lo, s10
	s_wait_dscnt 0x0
	s_barrier_signal -1
	s_barrier_wait -1
	s_barrier_signal -1
	s_barrier_wait -1
	s_and_saveexec_b32 s16, s52
	s_cbranch_execz .LBB149_343
; %bb.342:                              ;   in Loop: Header=BB149_3 Depth=1
	ds_load_b64 v[40:41], v72 offset:24832
	s_wait_dscnt 0x0
	ds_store_b64 v73, v[40:41] offset:16768
	ds_load_b64 v[40:41], v72 offset:24840
	s_wait_dscnt 0x0
	ds_store_b64 v73, v[40:41] offset:17280
	;; [unrolled: 3-line block ×16, first 2 shown]
.LBB149_343:                            ;   in Loop: Header=BB149_3 Depth=1
	s_or_b32 exec_lo, exec_lo, s16
	s_wait_dscnt 0x0
	s_barrier_signal -1
	s_barrier_wait -1
	s_and_saveexec_b32 s10, s15
	s_cbranch_execz .LBB149_345
; %bb.344:                              ;   in Loop: Header=BB149_3 Depth=1
	v_add_nc_u32_e64 v0, 0x170, 0
	ds_load_b64 v[44:45], v1 offset:24440
	ds_load_2addr_stride64_b64 v[40:43], v0 offset0:46 offset1:47
	s_wait_dscnt 0x0
	v_dual_mul_f32 v46, v45, v41 :: v_dual_mul_f32 v0, v44, v41
	s_delay_alu instid0(VALU_DEP_1) | instskip(NEXT) | instid1(VALU_DEP_1)
	v_xor_b32_e32 v46, 0x80000000, v46
	v_dual_fmac_f32 v0, v45, v40 :: v_dual_fmac_f32 v46, v44, v40
	s_delay_alu instid0(VALU_DEP_1) | instskip(SKIP_1) | instid1(VALU_DEP_2)
	v_pk_mul_f32 v[40:41], v[0:1], v[42:43] op_sel:[0,1] op_sel_hi:[0,0]
	v_add_nc_u32_e64 v0, 0x5800, 0
	v_pk_fma_f32 v[44:45], v[46:47], v[42:43], v[40:41] op_sel_hi:[0,1,1]
	v_pk_fma_f32 v[40:41], v[46:47], v[42:43], v[40:41] neg_lo:[0,0,1] neg_hi:[0,0,1]
	s_delay_alu instid0(VALU_DEP_2)
	v_mov_b32_e32 v41, v45
	ds_store_2addr_b64 v0, v[40:41], v[40:41] offset0:175 offset1:238
.LBB149_345:                            ;   in Loop: Header=BB149_3 Depth=1
	s_or_b32 exec_lo, exec_lo, s10
	v_dual_mov_b32 v40, 0 :: v_dual_mov_b32 v41, 0
	s_wait_dscnt 0x0
	s_barrier_signal -1
	s_barrier_wait -1
	global_wb scope:SCOPE_DEV
	s_wait_storecnt 0x0
	global_inv scope:SCOPE_DEV
	s_and_saveexec_b32 s16, s1
	s_cbranch_execz .LBB149_349
; %bb.346:                              ;   in Loop: Header=BB149_3 Depth=1
	ds_load_b64 v[40:41], v50 offset:23904
	ds_load_b64 v[42:43], v51 offset:24432
	s_wait_dscnt 0x0
	v_pk_mul_f32 v[44:45], v[42:43], v[40:41] op_sel:[1,1] op_sel_hi:[0,1]
	s_delay_alu instid0(VALU_DEP_1) | instskip(SKIP_1) | instid1(VALU_DEP_2)
	v_pk_fma_f32 v[46:47], v[42:43], v[40:41], v[44:45] op_sel_hi:[1,0,1]
	v_pk_fma_f32 v[40:41], v[42:43], v[40:41], v[44:45] neg_lo:[0,0,1] neg_hi:[0,0,1]
	v_mov_b32_e32 v41, v47
	s_delay_alu instid0(VALU_DEP_1)
	v_pk_add_f32 v[40:41], v[40:41], 0 op_sel_hi:[1,0]
	s_and_saveexec_b32 s10, s17
	s_cbranch_execz .LBB149_348
; %bb.347:                              ;   in Loop: Header=BB149_3 Depth=1
	ds_load_b64 v[42:43], v71 offset:24416
	ds_load_b64 v[44:45], v1 offset:24440
	s_wait_dscnt 0x0
	v_pk_mul_f32 v[46:47], v[44:45], v[42:43] op_sel:[1,1] op_sel_hi:[0,1]
	s_delay_alu instid0(VALU_DEP_1) | instskip(SKIP_1) | instid1(VALU_DEP_2)
	v_pk_fma_f32 v[100:101], v[44:45], v[42:43], v[46:47] op_sel_hi:[1,0,1]
	v_pk_fma_f32 v[42:43], v[44:45], v[42:43], v[46:47] neg_lo:[0,0,1] neg_hi:[0,0,1]
	v_mov_b32_e32 v43, v101
	s_delay_alu instid0(VALU_DEP_1)
	v_pk_add_f32 v[40:41], v[40:41], v[42:43]
.LBB149_348:                            ;   in Loop: Header=BB149_3 Depth=1
	s_or_b32 exec_lo, exec_lo, s10
.LBB149_349:                            ;   in Loop: Header=BB149_3 Depth=1
	s_delay_alu instid0(SALU_CYCLE_1)
	s_or_b32 exec_lo, exec_lo, s16
	s_and_saveexec_b32 s10, s91
	s_cbranch_execz .LBB149_351
; %bb.350:                              ;   in Loop: Header=BB149_3 Depth=1
	ds_load_b64 v[42:43], v1 offset:23400
	s_wait_dscnt 0x0
	v_pk_mul_f32 v[44:45], v[40:41], v[42:43] op_sel:[1,1] op_sel_hi:[1,0]
	s_delay_alu instid0(VALU_DEP_1) | instskip(SKIP_1) | instid1(VALU_DEP_2)
	v_pk_fma_f32 v[46:47], v[40:41], v[42:43], v[44:45] op_sel_hi:[0,1,1]
	v_pk_fma_f32 v[40:41], v[40:41], v[42:43], v[44:45] neg_lo:[0,0,1] neg_hi:[0,0,1]
	v_mov_b32_e32 v41, v47
	s_delay_alu instid0(VALU_DEP_1)
	v_pk_add_f32 v[42:43], v[40:41], 0 neg_lo:[1,1] neg_hi:[1,1]
	ds_store_b64 v3, v[42:43]
.LBB149_351:                            ;   in Loop: Header=BB149_3 Depth=1
	s_or_b32 exec_lo, exec_lo, s10
	s_wait_loadcnt_dscnt 0x0
	s_barrier_signal -1
	s_barrier_wait -1
	s_and_saveexec_b32 s10, s92
	s_cbranch_execz .LBB149_353
; %bb.352:                              ;   in Loop: Header=BB149_3 Depth=1
	ds_load_b64 v[42:43], v1 offset:23392
	ds_load_b64 v[44:45], v3
	s_wait_dscnt 0x0
	v_pk_mul_f32 v[46:47], v[44:45], v[42:43] op_sel:[1,1] op_sel_hi:[0,1]
	s_delay_alu instid0(VALU_DEP_1) | instskip(SKIP_1) | instid1(VALU_DEP_2)
	v_pk_fma_f32 v[100:101], v[44:45], v[42:43], v[46:47] op_sel_hi:[1,0,1]
	v_pk_fma_f32 v[42:43], v[44:45], v[42:43], v[46:47] neg_lo:[0,0,1] neg_hi:[0,0,1]
	v_mov_b32_e32 v43, v101
	s_delay_alu instid0(VALU_DEP_1)
	v_pk_add_f32 v[40:41], v[40:41], v[42:43] neg_lo:[0,1] neg_hi:[0,1]
.LBB149_353:                            ;   in Loop: Header=BB149_3 Depth=1
	s_or_b32 exec_lo, exec_lo, s10
	s_barrier_signal -1
	s_barrier_wait -1
	s_and_saveexec_b32 s10, s92
	s_cbranch_execz .LBB149_355
; %bb.354:                              ;   in Loop: Header=BB149_3 Depth=1
	ds_load_b64 v[42:43], v1 offset:22880
	s_wait_dscnt 0x0
	v_pk_mul_f32 v[44:45], v[40:41], v[42:43] op_sel:[1,1] op_sel_hi:[1,0]
	s_delay_alu instid0(VALU_DEP_1) | instskip(SKIP_1) | instid1(VALU_DEP_2)
	v_pk_fma_f32 v[46:47], v[40:41], v[42:43], v[44:45] op_sel_hi:[0,1,1]
	v_pk_fma_f32 v[40:41], v[40:41], v[42:43], v[44:45] neg_lo:[0,0,1] neg_hi:[0,0,1]
	v_mov_b32_e32 v41, v47
	s_delay_alu instid0(VALU_DEP_1)
	v_pk_add_f32 v[42:43], v[40:41], 0 neg_lo:[1,1] neg_hi:[1,1]
	ds_store_b64 v3, v[42:43]
.LBB149_355:                            ;   in Loop: Header=BB149_3 Depth=1
	s_or_b32 exec_lo, exec_lo, s10
	s_wait_dscnt 0x0
	s_barrier_signal -1
	s_barrier_wait -1
	s_barrier_signal -1
	s_barrier_wait -1
	s_and_saveexec_b32 s10, s1
; %bb.356:                              ;   in Loop: Header=BB149_3 Depth=1
	ds_store_b64 v52, v[40:41] offset:24416
; %bb.357:                              ;   in Loop: Header=BB149_3 Depth=1
	s_or_b32 exec_lo, exec_lo, s10
	s_wait_dscnt 0x0
	s_barrier_signal -1
	s_barrier_wait -1
	s_barrier_signal -1
	s_barrier_wait -1
	s_and_saveexec_b32 s10, s93
	s_cbranch_execz .LBB149_359
; %bb.358:                              ;   in Loop: Header=BB149_3 Depth=1
	ds_load_b64 v[40:41], v72 offset:23904
	s_wait_dscnt 0x0
	ds_store_b64 v71, v[40:41] offset:22896
	ds_load_b64 v[40:41], v72 offset:23912
	s_wait_dscnt 0x0
	ds_store_b64 v71, v[40:41] offset:23408
.LBB149_359:                            ;   in Loop: Header=BB149_3 Depth=1
	s_or_b32 exec_lo, exec_lo, s10
	s_wait_dscnt 0x0
	s_barrier_signal -1
	s_barrier_wait -1
	s_and_saveexec_b32 s10, s15
	s_cbranch_execz .LBB149_361
; %bb.360:                              ;   in Loop: Header=BB149_3 Depth=1
	v_add_nc_u32_e64 v0, 0x160, 0
	ds_load_b64 v[44:45], v1 offset:23400
	ds_load_2addr_stride64_b64 v[40:43], v0 offset0:44 offset1:45
	s_wait_dscnt 0x0
	v_dual_mul_f32 v46, v45, v41 :: v_dual_mul_f32 v0, v44, v41
	s_delay_alu instid0(VALU_DEP_1) | instskip(NEXT) | instid1(VALU_DEP_1)
	v_xor_b32_e32 v46, 0x80000000, v46
	v_dual_fmac_f32 v0, v45, v40 :: v_dual_fmac_f32 v46, v44, v40
	s_delay_alu instid0(VALU_DEP_1) | instskip(SKIP_1) | instid1(VALU_DEP_2)
	v_pk_mul_f32 v[40:41], v[0:1], v[42:43] op_sel:[0,1] op_sel_hi:[0,0]
	v_add_nc_u32_e64 v0, 0x5800, 0
	v_pk_fma_f32 v[44:45], v[46:47], v[42:43], v[40:41] op_sel_hi:[0,1,1]
	v_pk_fma_f32 v[40:41], v[46:47], v[42:43], v[40:41] neg_lo:[0,0,1] neg_hi:[0,0,1]
	s_delay_alu instid0(VALU_DEP_2)
	v_mov_b32_e32 v41, v45
	ds_store_2addr_b64 v0, v[40:41], v[40:41] offset0:45 offset1:108
.LBB149_361:                            ;   in Loop: Header=BB149_3 Depth=1
	s_or_b32 exec_lo, exec_lo, s10
	v_mov_b64_e32 v[40:41], 0
	s_wait_dscnt 0x0
	s_barrier_signal -1
	s_barrier_wait -1
	global_wb scope:SCOPE_DEV
	s_wait_storecnt 0x0
	global_inv scope:SCOPE_DEV
	s_and_saveexec_b32 s16, s3
	s_cbranch_execz .LBB149_367
; %bb.362:                              ;   in Loop: Header=BB149_3 Depth=1
	ds_load_b64 v[40:41], v54 offset:22848
	ds_load_b64 v[42:43], v55 offset:24416
	s_wait_dscnt 0x0
	v_dual_mul_f32 v0, v43, v41 :: v_dual_mul_f32 v41, v42, v41
	s_delay_alu instid0(VALU_DEP_1) | instskip(NEXT) | instid1(VALU_DEP_1)
	v_dual_fma_f32 v0, v42, v40, -v0 :: v_dual_fmac_f32 v41, v43, v40
	v_dual_add_f32 v40, 0, v0 :: v_dual_add_f32 v41, 0, v41
	s_and_saveexec_b32 s10, s18
	s_cbranch_execnz .LBB149_1123
; %bb.363:                              ;   in Loop: Header=BB149_3 Depth=1
	s_or_b32 exec_lo, exec_lo, s10
	s_and_saveexec_b32 s10, s19
	s_cbranch_execnz .LBB149_1124
.LBB149_364:                            ;   in Loop: Header=BB149_3 Depth=1
	s_or_b32 exec_lo, exec_lo, s10
	s_and_saveexec_b32 s10, s1
	s_cbranch_execz .LBB149_366
.LBB149_365:                            ;   in Loop: Header=BB149_3 Depth=1
	ds_load_b64 v[42:43], v73 offset:24384
	ds_load_b64 v[44:45], v1 offset:24440
	s_wait_dscnt 0x0
	v_dual_mul_f32 v0, v45, v43 :: v_dual_mul_f32 v43, v44, v43
	s_delay_alu instid0(VALU_DEP_1) | instskip(NEXT) | instid1(VALU_DEP_1)
	v_dual_fma_f32 v0, v44, v42, -v0 :: v_dual_fmac_f32 v43, v45, v42
	v_dual_add_f32 v40, v40, v0 :: v_dual_add_f32 v41, v41, v43
.LBB149_366:                            ;   in Loop: Header=BB149_3 Depth=1
	s_or_b32 exec_lo, exec_lo, s10
.LBB149_367:                            ;   in Loop: Header=BB149_3 Depth=1
	s_delay_alu instid0(SALU_CYCLE_1)
	s_or_b32 exec_lo, exec_lo, s16
	s_and_saveexec_b32 s10, s94
	s_cbranch_execz .LBB149_369
; %bb.368:                              ;   in Loop: Header=BB149_3 Depth=1
	ds_load_b64 v[42:43], v1 offset:22360
	s_wait_dscnt 0x0
	v_dual_mul_f32 v0, v41, v42 :: v_dual_mul_f32 v44, v41, v43
	s_delay_alu instid0(VALU_DEP_1) | instskip(NEXT) | instid1(VALU_DEP_2)
	v_pk_fma_f32 v[46:47], v[40:41], v[42:43], v[0:1] op_sel:[1,0,0] op_sel_hi:[0,1,0]
	v_pk_fma_f32 v[40:41], v[40:41], v[42:43], v[44:45] op_sel_hi:[1,1,0] neg_lo:[0,0,1] neg_hi:[0,0,1]
	s_delay_alu instid0(VALU_DEP_2) | instskip(NEXT) | instid1(VALU_DEP_1)
	v_mov_b32_e32 v41, v47
	v_pk_add_f32 v[42:43], v[40:41], 0 neg_lo:[1,1] neg_hi:[1,1]
	ds_store_b64 v53, v[42:43]
.LBB149_369:                            ;   in Loop: Header=BB149_3 Depth=1
	s_or_b32 exec_lo, exec_lo, s10
	s_wait_loadcnt_dscnt 0x0
	s_barrier_signal -1
	s_barrier_wait -1
	s_and_saveexec_b32 s10, s95
	s_cbranch_execz .LBB149_371
; %bb.370:                              ;   in Loop: Header=BB149_3 Depth=1
	ds_load_b64 v[42:43], v54 offset:22336
	ds_load_b64 v[44:45], v53
	s_wait_dscnt 0x0
	v_pk_mul_f32 v[46:47], v[44:45], v[42:43] op_sel:[1,1] op_sel_hi:[0,1]
	s_delay_alu instid0(VALU_DEP_1) | instskip(SKIP_1) | instid1(VALU_DEP_2)
	v_pk_fma_f32 v[100:101], v[44:45], v[42:43], v[46:47] op_sel_hi:[1,0,1]
	v_pk_fma_f32 v[42:43], v[44:45], v[42:43], v[46:47] neg_lo:[0,0,1] neg_hi:[0,0,1]
	v_mov_b32_e32 v43, v101
	s_delay_alu instid0(VALU_DEP_1)
	v_pk_add_f32 v[40:41], v[40:41], v[42:43] neg_lo:[0,1] neg_hi:[0,1]
.LBB149_371:                            ;   in Loop: Header=BB149_3 Depth=1
	s_or_b32 exec_lo, exec_lo, s10
	s_barrier_signal -1
	s_barrier_wait -1
	s_and_saveexec_b32 s10, s96
	s_cbranch_execz .LBB149_373
; %bb.372:                              ;   in Loop: Header=BB149_3 Depth=1
	ds_load_b64 v[42:43], v1 offset:21840
	s_wait_dscnt 0x0
	v_pk_mul_f32 v[44:45], v[40:41], v[42:43] op_sel:[1,1] op_sel_hi:[1,0]
	s_delay_alu instid0(VALU_DEP_1) | instskip(SKIP_1) | instid1(VALU_DEP_2)
	v_pk_fma_f32 v[46:47], v[40:41], v[42:43], v[44:45] op_sel_hi:[0,1,1]
	v_pk_fma_f32 v[40:41], v[40:41], v[42:43], v[44:45] neg_lo:[0,0,1] neg_hi:[0,0,1]
	v_mov_b32_e32 v41, v47
	s_delay_alu instid0(VALU_DEP_1)
	v_pk_add_f32 v[42:43], v[40:41], 0 neg_lo:[1,1] neg_hi:[1,1]
	ds_store_b64 v53, v[42:43]
.LBB149_373:                            ;   in Loop: Header=BB149_3 Depth=1
	s_or_b32 exec_lo, exec_lo, s10
	s_wait_dscnt 0x0
	s_barrier_signal -1
	s_barrier_wait -1
	s_and_saveexec_b32 s10, s97
	s_cbranch_execz .LBB149_375
; %bb.374:                              ;   in Loop: Header=BB149_3 Depth=1
	ds_load_b64 v[42:43], v54 offset:21824
	ds_load_b64 v[44:45], v53
	s_wait_dscnt 0x0
	v_pk_mul_f32 v[46:47], v[44:45], v[42:43] op_sel:[1,1] op_sel_hi:[0,1]
	s_delay_alu instid0(VALU_DEP_1) | instskip(SKIP_1) | instid1(VALU_DEP_2)
	v_pk_fma_f32 v[100:101], v[44:45], v[42:43], v[46:47] op_sel_hi:[1,0,1]
	v_pk_fma_f32 v[42:43], v[44:45], v[42:43], v[46:47] neg_lo:[0,0,1] neg_hi:[0,0,1]
	v_mov_b32_e32 v43, v101
	s_delay_alu instid0(VALU_DEP_1)
	v_pk_add_f32 v[40:41], v[40:41], v[42:43] neg_lo:[0,1] neg_hi:[0,1]
.LBB149_375:                            ;   in Loop: Header=BB149_3 Depth=1
	s_or_b32 exec_lo, exec_lo, s10
	s_barrier_signal -1
	s_barrier_wait -1
	s_and_saveexec_b32 s10, s98
	s_cbranch_execz .LBB149_377
; %bb.376:                              ;   in Loop: Header=BB149_3 Depth=1
	ds_load_b64 v[42:43], v1 offset:21320
	s_wait_dscnt 0x0
	v_pk_mul_f32 v[44:45], v[40:41], v[42:43] op_sel:[1,1] op_sel_hi:[1,0]
	s_delay_alu instid0(VALU_DEP_1) | instskip(SKIP_1) | instid1(VALU_DEP_2)
	v_pk_fma_f32 v[46:47], v[40:41], v[42:43], v[44:45] op_sel_hi:[0,1,1]
	v_pk_fma_f32 v[40:41], v[40:41], v[42:43], v[44:45] neg_lo:[0,0,1] neg_hi:[0,0,1]
	v_mov_b32_e32 v41, v47
	s_delay_alu instid0(VALU_DEP_1)
	v_pk_add_f32 v[42:43], v[40:41], 0 neg_lo:[1,1] neg_hi:[1,1]
	ds_store_b64 v53, v[42:43]
.LBB149_377:                            ;   in Loop: Header=BB149_3 Depth=1
	s_or_b32 exec_lo, exec_lo, s10
	s_wait_dscnt 0x0
	;; [unrolled: 35-line block ×3, first 2 shown]
	s_barrier_signal -1
	s_barrier_wait -1
	s_barrier_signal -1
	s_barrier_wait -1
	s_and_saveexec_b32 s10, s3
; %bb.382:                              ;   in Loop: Header=BB149_3 Depth=1
	ds_store_b64 v57, v[40:41] offset:24384
; %bb.383:                              ;   in Loop: Header=BB149_3 Depth=1
	s_or_b32 exec_lo, exec_lo, s10
	s_wait_dscnt 0x0
	s_barrier_signal -1
	s_barrier_wait -1
	s_barrier_signal -1
	s_barrier_wait -1
	s_and_saveexec_b32 s10, s100
	s_cbranch_execz .LBB149_385
; %bb.384:                              ;   in Loop: Header=BB149_3 Depth=1
	ds_load_b64 v[40:41], v5 offset:22848
	s_wait_dscnt 0x0
	ds_store_b64 v74, v[40:41] offset:20832
	ds_load_b64 v[40:41], v5 offset:22856
	s_wait_dscnt 0x0
	ds_store_b64 v74, v[40:41] offset:21344
	;; [unrolled: 3-line block ×4, first 2 shown]
.LBB149_385:                            ;   in Loop: Header=BB149_3 Depth=1
	s_or_b32 exec_lo, exec_lo, s10
	s_wait_dscnt 0x0
	s_barrier_signal -1
	s_barrier_wait -1
	s_and_saveexec_b32 s10, s15
	s_cbranch_execz .LBB149_387
; %bb.386:                              ;   in Loop: Header=BB149_3 Depth=1
	v_add_nc_u32_e64 v0, 0x150, 0
	ds_load_b64 v[44:45], v1 offset:22360
	ds_load_2addr_stride64_b64 v[40:43], v0 offset0:42 offset1:43
	s_wait_dscnt 0x0
	v_dual_mul_f32 v46, v45, v41 :: v_dual_mul_f32 v0, v44, v41
	s_delay_alu instid0(VALU_DEP_1) | instskip(NEXT) | instid1(VALU_DEP_1)
	v_xor_b32_e32 v46, 0x80000000, v46
	v_dual_fmac_f32 v0, v45, v40 :: v_dual_fmac_f32 v46, v44, v40
	s_delay_alu instid0(VALU_DEP_1) | instskip(SKIP_1) | instid1(VALU_DEP_2)
	v_pk_mul_f32 v[40:41], v[0:1], v[42:43] op_sel:[0,1] op_sel_hi:[0,0]
	v_add_nc_u32_e64 v0, 0x5000, 0
	v_pk_fma_f32 v[44:45], v[46:47], v[42:43], v[40:41] op_sel_hi:[0,1,1]
	v_pk_fma_f32 v[40:41], v[46:47], v[42:43], v[40:41] neg_lo:[0,0,1] neg_hi:[0,0,1]
	s_delay_alu instid0(VALU_DEP_2)
	v_mov_b32_e32 v41, v45
	ds_store_2addr_b64 v0, v[40:41], v[40:41] offset0:171 offset1:234
.LBB149_387:                            ;   in Loop: Header=BB149_3 Depth=1
	s_or_b32 exec_lo, exec_lo, s10
	v_dual_mov_b32 v40, 0 :: v_dual_mov_b32 v41, 0
	s_wait_dscnt 0x0
	s_barrier_signal -1
	s_barrier_wait -1
	global_wb scope:SCOPE_DEV
	s_wait_storecnt 0x0
	global_inv scope:SCOPE_DEV
	s_and_saveexec_b32 s16, s1
	s_cbranch_execz .LBB149_391
; %bb.388:                              ;   in Loop: Header=BB149_3 Depth=1
	ds_load_b64 v[40:41], v50 offset:21824
	ds_load_b64 v[42:43], v51 offset:22352
	s_wait_dscnt 0x0
	v_pk_mul_f32 v[44:45], v[42:43], v[40:41] op_sel:[1,1] op_sel_hi:[0,1]
	s_delay_alu instid0(VALU_DEP_1) | instskip(SKIP_1) | instid1(VALU_DEP_2)
	v_pk_fma_f32 v[46:47], v[42:43], v[40:41], v[44:45] op_sel_hi:[1,0,1]
	v_pk_fma_f32 v[40:41], v[42:43], v[40:41], v[44:45] neg_lo:[0,0,1] neg_hi:[0,0,1]
	v_mov_b32_e32 v41, v47
	s_delay_alu instid0(VALU_DEP_1)
	v_pk_add_f32 v[40:41], v[40:41], 0 op_sel_hi:[1,0]
	s_and_saveexec_b32 s10, s17
	s_cbranch_execz .LBB149_390
; %bb.389:                              ;   in Loop: Header=BB149_3 Depth=1
	ds_load_b64 v[42:43], v74 offset:22336
	ds_load_b64 v[44:45], v1 offset:22360
	s_wait_dscnt 0x0
	v_pk_mul_f32 v[46:47], v[44:45], v[42:43] op_sel:[1,1] op_sel_hi:[0,1]
	s_delay_alu instid0(VALU_DEP_1) | instskip(SKIP_1) | instid1(VALU_DEP_2)
	v_pk_fma_f32 v[100:101], v[44:45], v[42:43], v[46:47] op_sel_hi:[1,0,1]
	v_pk_fma_f32 v[42:43], v[44:45], v[42:43], v[46:47] neg_lo:[0,0,1] neg_hi:[0,0,1]
	v_mov_b32_e32 v43, v101
	s_delay_alu instid0(VALU_DEP_1)
	v_pk_add_f32 v[40:41], v[40:41], v[42:43]
.LBB149_390:                            ;   in Loop: Header=BB149_3 Depth=1
	s_or_b32 exec_lo, exec_lo, s10
.LBB149_391:                            ;   in Loop: Header=BB149_3 Depth=1
	s_delay_alu instid0(SALU_CYCLE_1)
	s_or_b32 exec_lo, exec_lo, s16
	s_and_saveexec_b32 s10, s91
	s_cbranch_execz .LBB149_393
; %bb.392:                              ;   in Loop: Header=BB149_3 Depth=1
	ds_load_b64 v[42:43], v1 offset:21320
	s_wait_dscnt 0x0
	v_pk_mul_f32 v[44:45], v[40:41], v[42:43] op_sel:[1,1] op_sel_hi:[1,0]
	s_delay_alu instid0(VALU_DEP_1) | instskip(SKIP_1) | instid1(VALU_DEP_2)
	v_pk_fma_f32 v[46:47], v[40:41], v[42:43], v[44:45] op_sel_hi:[0,1,1]
	v_pk_fma_f32 v[40:41], v[40:41], v[42:43], v[44:45] neg_lo:[0,0,1] neg_hi:[0,0,1]
	v_mov_b32_e32 v41, v47
	s_delay_alu instid0(VALU_DEP_1)
	v_pk_add_f32 v[42:43], v[40:41], 0 neg_lo:[1,1] neg_hi:[1,1]
	ds_store_b64 v3, v[42:43]
.LBB149_393:                            ;   in Loop: Header=BB149_3 Depth=1
	s_or_b32 exec_lo, exec_lo, s10
	s_wait_loadcnt_dscnt 0x0
	s_barrier_signal -1
	s_barrier_wait -1
	s_and_saveexec_b32 s10, s92
	s_cbranch_execz .LBB149_395
; %bb.394:                              ;   in Loop: Header=BB149_3 Depth=1
	ds_load_b64 v[42:43], v1 offset:21312
	ds_load_b64 v[44:45], v3
	s_wait_dscnt 0x0
	v_pk_mul_f32 v[46:47], v[44:45], v[42:43] op_sel:[1,1] op_sel_hi:[0,1]
	s_delay_alu instid0(VALU_DEP_1) | instskip(SKIP_1) | instid1(VALU_DEP_2)
	v_pk_fma_f32 v[100:101], v[44:45], v[42:43], v[46:47] op_sel_hi:[1,0,1]
	v_pk_fma_f32 v[42:43], v[44:45], v[42:43], v[46:47] neg_lo:[0,0,1] neg_hi:[0,0,1]
	v_mov_b32_e32 v43, v101
	s_delay_alu instid0(VALU_DEP_1)
	v_pk_add_f32 v[40:41], v[40:41], v[42:43] neg_lo:[0,1] neg_hi:[0,1]
.LBB149_395:                            ;   in Loop: Header=BB149_3 Depth=1
	s_or_b32 exec_lo, exec_lo, s10
	s_barrier_signal -1
	s_barrier_wait -1
	s_and_saveexec_b32 s10, s92
	s_cbranch_execz .LBB149_397
; %bb.396:                              ;   in Loop: Header=BB149_3 Depth=1
	ds_load_b64 v[42:43], v1 offset:20800
	s_wait_dscnt 0x0
	v_pk_mul_f32 v[44:45], v[40:41], v[42:43] op_sel:[1,1] op_sel_hi:[1,0]
	s_delay_alu instid0(VALU_DEP_1) | instskip(SKIP_1) | instid1(VALU_DEP_2)
	v_pk_fma_f32 v[46:47], v[40:41], v[42:43], v[44:45] op_sel_hi:[0,1,1]
	v_pk_fma_f32 v[40:41], v[40:41], v[42:43], v[44:45] neg_lo:[0,0,1] neg_hi:[0,0,1]
	v_mov_b32_e32 v41, v47
	s_delay_alu instid0(VALU_DEP_1)
	v_pk_add_f32 v[42:43], v[40:41], 0 neg_lo:[1,1] neg_hi:[1,1]
	ds_store_b64 v3, v[42:43]
.LBB149_397:                            ;   in Loop: Header=BB149_3 Depth=1
	s_or_b32 exec_lo, exec_lo, s10
	s_wait_dscnt 0x0
	s_barrier_signal -1
	s_barrier_wait -1
	s_barrier_signal -1
	s_barrier_wait -1
	s_and_saveexec_b32 s10, s1
; %bb.398:                              ;   in Loop: Header=BB149_3 Depth=1
	ds_store_b64 v52, v[40:41] offset:22336
; %bb.399:                              ;   in Loop: Header=BB149_3 Depth=1
	s_or_b32 exec_lo, exec_lo, s10
	s_wait_dscnt 0x0
	s_barrier_signal -1
	s_barrier_wait -1
	s_barrier_signal -1
	s_barrier_wait -1
	s_and_saveexec_b32 s10, s93
	s_cbranch_execz .LBB149_401
; %bb.400:                              ;   in Loop: Header=BB149_3 Depth=1
	ds_load_b64 v[40:41], v75 offset:21824
	s_wait_dscnt 0x0
	ds_store_b64 v74, v[40:41] offset:20816
	ds_load_b64 v[40:41], v75 offset:21832
	s_wait_dscnt 0x0
	ds_store_b64 v74, v[40:41] offset:21328
.LBB149_401:                            ;   in Loop: Header=BB149_3 Depth=1
	s_or_b32 exec_lo, exec_lo, s10
	s_wait_dscnt 0x0
	s_barrier_signal -1
	s_barrier_wait -1
	s_and_saveexec_b32 s10, s15
	s_cbranch_execz .LBB149_403
; %bb.402:                              ;   in Loop: Header=BB149_3 Depth=1
	v_add_nc_u32_e64 v0, 0x140, 0
	ds_load_b64 v[44:45], v1 offset:21320
	ds_load_2addr_stride64_b64 v[40:43], v0 offset0:40 offset1:41
	s_wait_dscnt 0x0
	v_dual_mul_f32 v46, v45, v41 :: v_dual_mul_f32 v0, v44, v41
	s_delay_alu instid0(VALU_DEP_1) | instskip(NEXT) | instid1(VALU_DEP_1)
	v_xor_b32_e32 v46, 0x80000000, v46
	v_dual_fmac_f32 v0, v45, v40 :: v_dual_fmac_f32 v46, v44, v40
	s_delay_alu instid0(VALU_DEP_1) | instskip(SKIP_1) | instid1(VALU_DEP_2)
	v_pk_mul_f32 v[40:41], v[0:1], v[42:43] op_sel:[0,1] op_sel_hi:[0,0]
	v_add_nc_u32_e64 v0, 0x5000, 0
	v_pk_fma_f32 v[44:45], v[46:47], v[42:43], v[40:41] op_sel_hi:[0,1,1]
	v_pk_fma_f32 v[40:41], v[46:47], v[42:43], v[40:41] neg_lo:[0,0,1] neg_hi:[0,0,1]
	s_delay_alu instid0(VALU_DEP_2)
	v_mov_b32_e32 v41, v45
	ds_store_2addr_b64 v0, v[40:41], v[40:41] offset0:41 offset1:104
.LBB149_403:                            ;   in Loop: Header=BB149_3 Depth=1
	s_or_b32 exec_lo, exec_lo, s10
	v_mov_b64_e32 v[40:41], 0
	s_wait_dscnt 0x0
	s_barrier_signal -1
	s_barrier_wait -1
	global_wb scope:SCOPE_DEV
	s_wait_storecnt 0x0
	global_inv scope:SCOPE_DEV
	s_and_saveexec_b32 s16, s4
	s_cbranch_execz .LBB149_413
; %bb.404:                              ;   in Loop: Header=BB149_3 Depth=1
	ds_load_b64 v[40:41], v59 offset:20736
	ds_load_b64 v[42:43], v60 offset:24384
	s_wait_dscnt 0x0
	v_dual_mul_f32 v0, v43, v41 :: v_dual_mul_f32 v41, v42, v41
	s_delay_alu instid0(VALU_DEP_1) | instskip(NEXT) | instid1(VALU_DEP_1)
	v_dual_fma_f32 v0, v42, v40, -v0 :: v_dual_fmac_f32 v41, v43, v40
	v_dual_add_f32 v40, 0, v0 :: v_dual_add_f32 v41, 0, v41
	s_and_saveexec_b32 s10, s20
	s_cbranch_execnz .LBB149_1125
; %bb.405:                              ;   in Loop: Header=BB149_3 Depth=1
	s_or_b32 exec_lo, exec_lo, s10
	s_and_saveexec_b32 s10, s21
	s_cbranch_execnz .LBB149_1126
.LBB149_406:                            ;   in Loop: Header=BB149_3 Depth=1
	s_or_b32 exec_lo, exec_lo, s10
	s_and_saveexec_b32 s10, s22
	s_cbranch_execnz .LBB149_1127
.LBB149_407:                            ;   in Loop: Header=BB149_3 Depth=1
	s_or_b32 exec_lo, exec_lo, s10
	s_and_saveexec_b32 s10, s23
	s_cbranch_execnz .LBB149_1128
.LBB149_408:                            ;   in Loop: Header=BB149_3 Depth=1
	s_or_b32 exec_lo, exec_lo, s10
	s_and_saveexec_b32 s10, s24
	s_cbranch_execnz .LBB149_1129
.LBB149_409:                            ;   in Loop: Header=BB149_3 Depth=1
	s_or_b32 exec_lo, exec_lo, s10
	s_and_saveexec_b32 s10, s3
	s_cbranch_execnz .LBB149_1130
.LBB149_410:                            ;   in Loop: Header=BB149_3 Depth=1
	s_or_b32 exec_lo, exec_lo, s10
	s_and_saveexec_b32 s10, s19
	s_cbranch_execz .LBB149_412
.LBB149_411:                            ;   in Loop: Header=BB149_3 Depth=1
	ds_load_b64 v[42:43], v76 offset:24320
	ds_load_b64 v[44:45], v1 offset:24440
	s_wait_dscnt 0x0
	v_dual_mul_f32 v0, v45, v43 :: v_dual_mul_f32 v47, v44, v43
	s_delay_alu instid0(VALU_DEP_1) | instskip(NEXT) | instid1(VALU_DEP_1)
	v_dual_fma_f32 v46, v44, v42, -v0 :: v_dual_fmac_f32 v47, v45, v42
	v_pk_add_f32 v[40:41], v[40:41], v[46:47]
.LBB149_412:                            ;   in Loop: Header=BB149_3 Depth=1
	s_or_b32 exec_lo, exec_lo, s10
.LBB149_413:                            ;   in Loop: Header=BB149_3 Depth=1
	s_delay_alu instid0(SALU_CYCLE_1)
	s_or_b32 exec_lo, exec_lo, s16
	s_and_saveexec_b32 s10, s101
	s_cbranch_execz .LBB149_415
; %bb.414:                              ;   in Loop: Header=BB149_3 Depth=1
	ds_load_b64 v[42:43], v1 offset:20280
	s_wait_dscnt 0x0
	v_pk_mul_f32 v[44:45], v[40:41], v[42:43] op_sel:[1,1] op_sel_hi:[1,0]
	s_delay_alu instid0(VALU_DEP_1) | instskip(SKIP_1) | instid1(VALU_DEP_2)
	v_pk_fma_f32 v[46:47], v[40:41], v[42:43], v[44:45] op_sel_hi:[0,1,1]
	v_pk_fma_f32 v[40:41], v[40:41], v[42:43], v[44:45] neg_lo:[0,0,1] neg_hi:[0,0,1]
	v_mov_b32_e32 v41, v47
	s_delay_alu instid0(VALU_DEP_1)
	v_pk_add_f32 v[42:43], v[40:41], 0 neg_lo:[1,1] neg_hi:[1,1]
	ds_store_b64 v58, v[42:43]
.LBB149_415:                            ;   in Loop: Header=BB149_3 Depth=1
	s_or_b32 exec_lo, exec_lo, s10
	s_wait_loadcnt_dscnt 0x0
	s_barrier_signal -1
	s_barrier_wait -1
	s_and_saveexec_b32 s10, s102
	s_cbranch_execz .LBB149_417
; %bb.416:                              ;   in Loop: Header=BB149_3 Depth=1
	ds_load_b64 v[42:43], v59 offset:20224
	ds_load_b64 v[44:45], v58
	s_wait_dscnt 0x0
	v_pk_mul_f32 v[46:47], v[44:45], v[42:43] op_sel:[1,1] op_sel_hi:[0,1]
	s_delay_alu instid0(VALU_DEP_1) | instskip(SKIP_1) | instid1(VALU_DEP_2)
	v_pk_fma_f32 v[100:101], v[44:45], v[42:43], v[46:47] op_sel_hi:[1,0,1]
	v_pk_fma_f32 v[42:43], v[44:45], v[42:43], v[46:47] neg_lo:[0,0,1] neg_hi:[0,0,1]
	v_mov_b32_e32 v43, v101
	s_delay_alu instid0(VALU_DEP_1)
	v_pk_add_f32 v[40:41], v[40:41], v[42:43] neg_lo:[0,1] neg_hi:[0,1]
.LBB149_417:                            ;   in Loop: Header=BB149_3 Depth=1
	s_or_b32 exec_lo, exec_lo, s10
	s_barrier_signal -1
	s_barrier_wait -1
	s_and_saveexec_b32 s10, s103
	s_cbranch_execz .LBB149_419
; %bb.418:                              ;   in Loop: Header=BB149_3 Depth=1
	ds_load_b64 v[42:43], v1 offset:19760
	s_wait_dscnt 0x0
	v_pk_mul_f32 v[44:45], v[40:41], v[42:43] op_sel:[1,1] op_sel_hi:[1,0]
	s_delay_alu instid0(VALU_DEP_1) | instskip(SKIP_1) | instid1(VALU_DEP_2)
	v_pk_fma_f32 v[46:47], v[40:41], v[42:43], v[44:45] op_sel_hi:[0,1,1]
	v_pk_fma_f32 v[40:41], v[40:41], v[42:43], v[44:45] neg_lo:[0,0,1] neg_hi:[0,0,1]
	v_mov_b32_e32 v41, v47
	s_delay_alu instid0(VALU_DEP_1)
	v_pk_add_f32 v[42:43], v[40:41], 0 neg_lo:[1,1] neg_hi:[1,1]
	ds_store_b64 v58, v[42:43]
.LBB149_419:                            ;   in Loop: Header=BB149_3 Depth=1
	s_or_b32 exec_lo, exec_lo, s10
	s_wait_dscnt 0x0
	s_barrier_signal -1
	s_barrier_wait -1
	s_and_saveexec_b32 s10, s104
	s_cbranch_execz .LBB149_421
; %bb.420:                              ;   in Loop: Header=BB149_3 Depth=1
	ds_load_b64 v[42:43], v59 offset:19712
	ds_load_b64 v[44:45], v58
	s_wait_dscnt 0x0
	v_pk_mul_f32 v[46:47], v[44:45], v[42:43] op_sel:[1,1] op_sel_hi:[0,1]
	s_delay_alu instid0(VALU_DEP_1) | instskip(SKIP_1) | instid1(VALU_DEP_2)
	v_pk_fma_f32 v[100:101], v[44:45], v[42:43], v[46:47] op_sel_hi:[1,0,1]
	v_pk_fma_f32 v[42:43], v[44:45], v[42:43], v[46:47] neg_lo:[0,0,1] neg_hi:[0,0,1]
	v_mov_b32_e32 v43, v101
	s_delay_alu instid0(VALU_DEP_1)
	v_pk_add_f32 v[40:41], v[40:41], v[42:43] neg_lo:[0,1] neg_hi:[0,1]
.LBB149_421:                            ;   in Loop: Header=BB149_3 Depth=1
	s_or_b32 exec_lo, exec_lo, s10
	s_barrier_signal -1
	s_barrier_wait -1
	s_and_saveexec_b32 s10, vcc_hi
	s_cbranch_execz .LBB149_423
; %bb.422:                              ;   in Loop: Header=BB149_3 Depth=1
	ds_load_b64 v[42:43], v1 offset:19240
	s_wait_dscnt 0x0
	v_pk_mul_f32 v[44:45], v[40:41], v[42:43] op_sel:[1,1] op_sel_hi:[1,0]
	s_delay_alu instid0(VALU_DEP_1) | instskip(SKIP_1) | instid1(VALU_DEP_2)
	v_pk_fma_f32 v[46:47], v[40:41], v[42:43], v[44:45] op_sel_hi:[0,1,1]
	v_pk_fma_f32 v[40:41], v[40:41], v[42:43], v[44:45] neg_lo:[0,0,1] neg_hi:[0,0,1]
	v_mov_b32_e32 v41, v47
	s_delay_alu instid0(VALU_DEP_1)
	v_pk_add_f32 v[42:43], v[40:41], 0 neg_lo:[1,1] neg_hi:[1,1]
	ds_store_b64 v58, v[42:43]
.LBB149_423:                            ;   in Loop: Header=BB149_3 Depth=1
	s_or_b32 exec_lo, exec_lo, s10
	s_wait_dscnt 0x0
	s_barrier_signal -1
	s_barrier_wait -1
	s_and_saveexec_b32 s10, s40
	s_cbranch_execz .LBB149_425
; %bb.424:                              ;   in Loop: Header=BB149_3 Depth=1
	ds_load_b64 v[42:43], v59 offset:19200
	ds_load_b64 v[44:45], v58
	s_wait_dscnt 0x0
	v_pk_mul_f32 v[46:47], v[44:45], v[42:43] op_sel:[1,1] op_sel_hi:[0,1]
	s_delay_alu instid0(VALU_DEP_1) | instskip(SKIP_1) | instid1(VALU_DEP_2)
	v_pk_fma_f32 v[100:101], v[44:45], v[42:43], v[46:47] op_sel_hi:[1,0,1]
	v_pk_fma_f32 v[42:43], v[44:45], v[42:43], v[46:47] neg_lo:[0,0,1] neg_hi:[0,0,1]
	v_mov_b32_e32 v43, v101
	s_delay_alu instid0(VALU_DEP_1)
	v_pk_add_f32 v[40:41], v[40:41], v[42:43] neg_lo:[0,1] neg_hi:[0,1]
.LBB149_425:                            ;   in Loop: Header=BB149_3 Depth=1
	s_or_b32 exec_lo, exec_lo, s10
	s_barrier_signal -1
	s_barrier_wait -1
	s_and_saveexec_b32 s10, s41
	s_cbranch_execz .LBB149_427
; %bb.426:                              ;   in Loop: Header=BB149_3 Depth=1
	ds_load_b64 v[42:43], v1 offset:18720
	s_wait_dscnt 0x0
	v_pk_mul_f32 v[44:45], v[40:41], v[42:43]
	v_pk_mul_f32 v[40:41], v[40:41], v[42:43] op_sel:[1,0] op_sel_hi:[0,1]
	s_delay_alu instid0(VALU_DEP_1) | instskip(NEXT) | instid1(VALU_DEP_3)
	v_dual_mov_b32 v42, v44 :: v_dual_mov_b32 v43, v40
	v_mov_b32_e32 v40, v45
	s_delay_alu instid0(VALU_DEP_1) | instskip(SKIP_1) | instid1(VALU_DEP_2)
	v_pk_add_f32 v[44:45], v[42:43], v[40:41]
	v_pk_add_f32 v[40:41], v[42:43], v[40:41] neg_lo:[0,1] neg_hi:[0,1]
	v_mov_b32_e32 v41, v45
	s_delay_alu instid0(VALU_DEP_1)
	v_pk_add_f32 v[42:43], v[40:41], 0 neg_lo:[1,1] neg_hi:[1,1]
	ds_store_b64 v58, v[42:43]
.LBB149_427:                            ;   in Loop: Header=BB149_3 Depth=1
	s_or_b32 exec_lo, exec_lo, s10
	s_wait_dscnt 0x0
	s_barrier_signal -1
	s_barrier_wait -1
	s_and_saveexec_b32 s10, s42
	s_cbranch_execz .LBB149_429
; %bb.428:                              ;   in Loop: Header=BB149_3 Depth=1
	ds_load_b64 v[42:43], v59 offset:18688
	ds_load_b64 v[44:45], v58
	s_wait_dscnt 0x0
	v_dual_mul_f32 v0, v45, v43 :: v_dual_mul_f32 v43, v44, v43
	s_delay_alu instid0(VALU_DEP_1) | instskip(NEXT) | instid1(VALU_DEP_1)
	v_dual_fma_f32 v0, v44, v42, -v0 :: v_dual_fmac_f32 v43, v45, v42
	v_dual_sub_f32 v40, v40, v0 :: v_dual_sub_f32 v41, v41, v43
.LBB149_429:                            ;   in Loop: Header=BB149_3 Depth=1
	s_or_b32 exec_lo, exec_lo, s10
	s_barrier_signal -1
	s_barrier_wait -1
	s_and_saveexec_b32 s10, s43
	s_cbranch_execz .LBB149_431
; %bb.430:                              ;   in Loop: Header=BB149_3 Depth=1
	ds_load_b64 v[42:43], v1 offset:18200
	s_wait_dscnt 0x0
	v_dual_mul_f32 v0, v41, v42 :: v_dual_mul_f32 v44, v41, v43
	s_delay_alu instid0(VALU_DEP_1) | instskip(NEXT) | instid1(VALU_DEP_2)
	v_pk_fma_f32 v[46:47], v[40:41], v[42:43], v[0:1] op_sel:[1,0,0] op_sel_hi:[0,1,0]
	v_pk_fma_f32 v[40:41], v[40:41], v[42:43], v[44:45] op_sel_hi:[1,1,0] neg_lo:[0,0,1] neg_hi:[0,0,1]
	s_delay_alu instid0(VALU_DEP_2) | instskip(NEXT) | instid1(VALU_DEP_1)
	v_mov_b32_e32 v41, v47
	v_pk_add_f32 v[42:43], v[40:41], 0 neg_lo:[1,1] neg_hi:[1,1]
	ds_store_b64 v58, v[42:43]
.LBB149_431:                            ;   in Loop: Header=BB149_3 Depth=1
	s_or_b32 exec_lo, exec_lo, s10
	s_wait_dscnt 0x0
	s_barrier_signal -1
	s_barrier_wait -1
	s_and_saveexec_b32 s10, s44
	s_cbranch_execz .LBB149_433
; %bb.432:                              ;   in Loop: Header=BB149_3 Depth=1
	ds_load_b64 v[42:43], v59 offset:18176
	ds_load_b64 v[44:45], v58
	s_wait_dscnt 0x0
	v_pk_mul_f32 v[46:47], v[44:45], v[42:43] op_sel:[1,1] op_sel_hi:[0,1]
	s_delay_alu instid0(VALU_DEP_1) | instskip(SKIP_1) | instid1(VALU_DEP_2)
	v_pk_fma_f32 v[100:101], v[44:45], v[42:43], v[46:47] op_sel_hi:[1,0,1]
	v_pk_fma_f32 v[42:43], v[44:45], v[42:43], v[46:47] neg_lo:[0,0,1] neg_hi:[0,0,1]
	v_mov_b32_e32 v43, v101
	s_delay_alu instid0(VALU_DEP_1)
	v_pk_add_f32 v[40:41], v[40:41], v[42:43] neg_lo:[0,1] neg_hi:[0,1]
.LBB149_433:                            ;   in Loop: Header=BB149_3 Depth=1
	s_or_b32 exec_lo, exec_lo, s10
	s_barrier_signal -1
	s_barrier_wait -1
	s_and_saveexec_b32 s10, s45
	s_cbranch_execz .LBB149_435
; %bb.434:                              ;   in Loop: Header=BB149_3 Depth=1
	ds_load_b64 v[42:43], v1 offset:17680
	s_wait_dscnt 0x0
	v_pk_mul_f32 v[44:45], v[40:41], v[42:43] op_sel:[1,1] op_sel_hi:[1,0]
	s_delay_alu instid0(VALU_DEP_1) | instskip(SKIP_1) | instid1(VALU_DEP_2)
	v_pk_fma_f32 v[46:47], v[40:41], v[42:43], v[44:45] op_sel_hi:[0,1,1]
	v_pk_fma_f32 v[40:41], v[40:41], v[42:43], v[44:45] neg_lo:[0,0,1] neg_hi:[0,0,1]
	v_mov_b32_e32 v41, v47
	s_delay_alu instid0(VALU_DEP_1)
	v_pk_add_f32 v[42:43], v[40:41], 0 neg_lo:[1,1] neg_hi:[1,1]
	ds_store_b64 v58, v[42:43]
.LBB149_435:                            ;   in Loop: Header=BB149_3 Depth=1
	s_or_b32 exec_lo, exec_lo, s10
	s_wait_dscnt 0x0
	s_barrier_signal -1
	s_barrier_wait -1
	s_and_saveexec_b32 s10, s46
	s_cbranch_execz .LBB149_437
; %bb.436:                              ;   in Loop: Header=BB149_3 Depth=1
	ds_load_b64 v[42:43], v59 offset:17664
	ds_load_b64 v[44:45], v58
	s_wait_dscnt 0x0
	v_pk_mul_f32 v[46:47], v[44:45], v[42:43] op_sel:[1,1] op_sel_hi:[0,1]
	s_delay_alu instid0(VALU_DEP_1) | instskip(SKIP_1) | instid1(VALU_DEP_2)
	v_pk_fma_f32 v[100:101], v[44:45], v[42:43], v[46:47] op_sel_hi:[1,0,1]
	v_pk_fma_f32 v[42:43], v[44:45], v[42:43], v[46:47] neg_lo:[0,0,1] neg_hi:[0,0,1]
	v_mov_b32_e32 v43, v101
	s_delay_alu instid0(VALU_DEP_1)
	v_pk_add_f32 v[40:41], v[40:41], v[42:43] neg_lo:[0,1] neg_hi:[0,1]
.LBB149_437:                            ;   in Loop: Header=BB149_3 Depth=1
	s_or_b32 exec_lo, exec_lo, s10
	s_barrier_signal -1
	s_barrier_wait -1
	s_and_saveexec_b32 s10, s47
	s_cbranch_execz .LBB149_439
; %bb.438:                              ;   in Loop: Header=BB149_3 Depth=1
	ds_load_b64 v[42:43], v1 offset:17160
	s_wait_dscnt 0x0
	v_pk_mul_f32 v[44:45], v[40:41], v[42:43] op_sel:[1,1] op_sel_hi:[1,0]
	s_delay_alu instid0(VALU_DEP_1) | instskip(SKIP_1) | instid1(VALU_DEP_2)
	v_pk_fma_f32 v[46:47], v[40:41], v[42:43], v[44:45] op_sel_hi:[0,1,1]
	v_pk_fma_f32 v[40:41], v[40:41], v[42:43], v[44:45] neg_lo:[0,0,1] neg_hi:[0,0,1]
	v_mov_b32_e32 v41, v47
	s_delay_alu instid0(VALU_DEP_1)
	v_pk_add_f32 v[42:43], v[40:41], 0 neg_lo:[1,1] neg_hi:[1,1]
	ds_store_b64 v58, v[42:43]
.LBB149_439:                            ;   in Loop: Header=BB149_3 Depth=1
	;; [unrolled: 35-line block ×3, first 2 shown]
	s_or_b32 exec_lo, exec_lo, s10
	s_wait_dscnt 0x0
	s_barrier_signal -1
	s_barrier_wait -1
	s_barrier_signal -1
	s_barrier_wait -1
	s_and_saveexec_b32 s10, s4
; %bb.444:                              ;   in Loop: Header=BB149_3 Depth=1
	ds_store_b64 v61, v[40:41] offset:24320
; %bb.445:                              ;   in Loop: Header=BB149_3 Depth=1
	s_or_b32 exec_lo, exec_lo, s10
	s_wait_dscnt 0x0
	s_barrier_signal -1
	s_barrier_wait -1
	s_barrier_signal -1
	s_barrier_wait -1
	s_and_saveexec_b32 s10, s49
	s_cbranch_execz .LBB149_447
; %bb.446:                              ;   in Loop: Header=BB149_3 Depth=1
	ds_load_b64 v[40:41], v78 offset:20736
	s_wait_dscnt 0x0
	ds_store_b64 v79, v[40:41] offset:16704
	ds_load_b64 v[40:41], v78 offset:20744
	s_wait_dscnt 0x0
	ds_store_b64 v79, v[40:41] offset:17216
	;; [unrolled: 3-line block ×8, first 2 shown]
.LBB149_447:                            ;   in Loop: Header=BB149_3 Depth=1
	s_or_b32 exec_lo, exec_lo, s10
	s_wait_dscnt 0x0
	s_barrier_signal -1
	s_barrier_wait -1
	s_and_saveexec_b32 s10, s15
	s_cbranch_execz .LBB149_449
; %bb.448:                              ;   in Loop: Header=BB149_3 Depth=1
	v_add_nc_u32_e64 v0, 0x130, 0
	ds_load_b64 v[44:45], v1 offset:20280
	ds_load_2addr_stride64_b64 v[40:43], v0 offset0:38 offset1:39
	s_wait_dscnt 0x0
	v_dual_mul_f32 v46, v45, v41 :: v_dual_mul_f32 v0, v44, v41
	s_delay_alu instid0(VALU_DEP_1) | instskip(NEXT) | instid1(VALU_DEP_1)
	v_xor_b32_e32 v46, 0x80000000, v46
	v_dual_fmac_f32 v0, v45, v40 :: v_dual_fmac_f32 v46, v44, v40
	s_delay_alu instid0(VALU_DEP_1) | instskip(SKIP_1) | instid1(VALU_DEP_2)
	v_pk_mul_f32 v[40:41], v[0:1], v[42:43] op_sel:[0,1] op_sel_hi:[0,0]
	v_add_nc_u32_e64 v0, 0x4800, 0
	v_pk_fma_f32 v[44:45], v[46:47], v[42:43], v[40:41] op_sel_hi:[0,1,1]
	v_pk_fma_f32 v[40:41], v[46:47], v[42:43], v[40:41] neg_lo:[0,0,1] neg_hi:[0,0,1]
	s_delay_alu instid0(VALU_DEP_2)
	v_mov_b32_e32 v41, v45
	ds_store_2addr_b64 v0, v[40:41], v[40:41] offset0:167 offset1:230
.LBB149_449:                            ;   in Loop: Header=BB149_3 Depth=1
	s_or_b32 exec_lo, exec_lo, s10
	v_dual_mov_b32 v40, 0 :: v_dual_mov_b32 v41, 0
	s_wait_dscnt 0x0
	s_barrier_signal -1
	s_barrier_wait -1
	global_wb scope:SCOPE_DEV
	s_wait_storecnt 0x0
	global_inv scope:SCOPE_DEV
	s_and_saveexec_b32 s16, s1
	s_cbranch_execz .LBB149_453
; %bb.450:                              ;   in Loop: Header=BB149_3 Depth=1
	ds_load_b64 v[40:41], v50 offset:19744
	ds_load_b64 v[42:43], v51 offset:20272
	s_wait_dscnt 0x0
	v_pk_mul_f32 v[44:45], v[42:43], v[40:41] op_sel:[1,1] op_sel_hi:[0,1]
	s_delay_alu instid0(VALU_DEP_1) | instskip(SKIP_1) | instid1(VALU_DEP_2)
	v_pk_fma_f32 v[46:47], v[42:43], v[40:41], v[44:45] op_sel_hi:[1,0,1]
	v_pk_fma_f32 v[40:41], v[42:43], v[40:41], v[44:45] neg_lo:[0,0,1] neg_hi:[0,0,1]
	v_mov_b32_e32 v41, v47
	s_delay_alu instid0(VALU_DEP_1)
	v_pk_add_f32 v[40:41], v[40:41], 0 op_sel_hi:[1,0]
	s_and_saveexec_b32 s10, s17
	s_cbranch_execz .LBB149_452
; %bb.451:                              ;   in Loop: Header=BB149_3 Depth=1
	ds_load_b64 v[42:43], v79 offset:20256
	ds_load_b64 v[44:45], v1 offset:20280
	s_wait_dscnt 0x0
	v_pk_mul_f32 v[46:47], v[44:45], v[42:43] op_sel:[1,1] op_sel_hi:[0,1]
	s_delay_alu instid0(VALU_DEP_1) | instskip(SKIP_1) | instid1(VALU_DEP_2)
	v_pk_fma_f32 v[100:101], v[44:45], v[42:43], v[46:47] op_sel_hi:[1,0,1]
	v_pk_fma_f32 v[42:43], v[44:45], v[42:43], v[46:47] neg_lo:[0,0,1] neg_hi:[0,0,1]
	v_mov_b32_e32 v43, v101
	s_delay_alu instid0(VALU_DEP_1)
	v_pk_add_f32 v[40:41], v[40:41], v[42:43]
.LBB149_452:                            ;   in Loop: Header=BB149_3 Depth=1
	s_or_b32 exec_lo, exec_lo, s10
.LBB149_453:                            ;   in Loop: Header=BB149_3 Depth=1
	s_delay_alu instid0(SALU_CYCLE_1)
	s_or_b32 exec_lo, exec_lo, s16
	s_and_saveexec_b32 s10, s91
	s_cbranch_execz .LBB149_455
; %bb.454:                              ;   in Loop: Header=BB149_3 Depth=1
	ds_load_b64 v[42:43], v1 offset:19240
	s_wait_dscnt 0x0
	v_pk_mul_f32 v[44:45], v[40:41], v[42:43] op_sel:[1,1] op_sel_hi:[1,0]
	s_delay_alu instid0(VALU_DEP_1) | instskip(SKIP_1) | instid1(VALU_DEP_2)
	v_pk_fma_f32 v[46:47], v[40:41], v[42:43], v[44:45] op_sel_hi:[0,1,1]
	v_pk_fma_f32 v[40:41], v[40:41], v[42:43], v[44:45] neg_lo:[0,0,1] neg_hi:[0,0,1]
	v_mov_b32_e32 v41, v47
	s_delay_alu instid0(VALU_DEP_1)
	v_pk_add_f32 v[42:43], v[40:41], 0 neg_lo:[1,1] neg_hi:[1,1]
	ds_store_b64 v3, v[42:43]
.LBB149_455:                            ;   in Loop: Header=BB149_3 Depth=1
	s_or_b32 exec_lo, exec_lo, s10
	s_wait_loadcnt_dscnt 0x0
	s_barrier_signal -1
	s_barrier_wait -1
	s_and_saveexec_b32 s10, s92
	s_cbranch_execz .LBB149_457
; %bb.456:                              ;   in Loop: Header=BB149_3 Depth=1
	ds_load_b64 v[42:43], v1 offset:19232
	ds_load_b64 v[44:45], v3
	s_wait_dscnt 0x0
	v_pk_mul_f32 v[46:47], v[44:45], v[42:43] op_sel:[1,1] op_sel_hi:[0,1]
	s_delay_alu instid0(VALU_DEP_1) | instskip(SKIP_1) | instid1(VALU_DEP_2)
	v_pk_fma_f32 v[100:101], v[44:45], v[42:43], v[46:47] op_sel_hi:[1,0,1]
	v_pk_fma_f32 v[42:43], v[44:45], v[42:43], v[46:47] neg_lo:[0,0,1] neg_hi:[0,0,1]
	v_mov_b32_e32 v43, v101
	s_delay_alu instid0(VALU_DEP_1)
	v_pk_add_f32 v[40:41], v[40:41], v[42:43] neg_lo:[0,1] neg_hi:[0,1]
.LBB149_457:                            ;   in Loop: Header=BB149_3 Depth=1
	s_or_b32 exec_lo, exec_lo, s10
	s_barrier_signal -1
	s_barrier_wait -1
	s_and_saveexec_b32 s10, s92
	s_cbranch_execz .LBB149_459
; %bb.458:                              ;   in Loop: Header=BB149_3 Depth=1
	ds_load_b64 v[42:43], v1 offset:18720
	s_wait_dscnt 0x0
	v_pk_mul_f32 v[44:45], v[40:41], v[42:43] op_sel:[1,1] op_sel_hi:[1,0]
	s_delay_alu instid0(VALU_DEP_1) | instskip(SKIP_1) | instid1(VALU_DEP_2)
	v_pk_fma_f32 v[46:47], v[40:41], v[42:43], v[44:45] op_sel_hi:[0,1,1]
	v_pk_fma_f32 v[40:41], v[40:41], v[42:43], v[44:45] neg_lo:[0,0,1] neg_hi:[0,0,1]
	v_mov_b32_e32 v41, v47
	s_delay_alu instid0(VALU_DEP_1)
	v_pk_add_f32 v[42:43], v[40:41], 0 neg_lo:[1,1] neg_hi:[1,1]
	ds_store_b64 v3, v[42:43]
.LBB149_459:                            ;   in Loop: Header=BB149_3 Depth=1
	s_or_b32 exec_lo, exec_lo, s10
	s_wait_dscnt 0x0
	s_barrier_signal -1
	s_barrier_wait -1
	s_barrier_signal -1
	s_barrier_wait -1
	s_and_saveexec_b32 s10, s1
; %bb.460:                              ;   in Loop: Header=BB149_3 Depth=1
	ds_store_b64 v52, v[40:41] offset:20256
; %bb.461:                              ;   in Loop: Header=BB149_3 Depth=1
	s_or_b32 exec_lo, exec_lo, s10
	s_wait_dscnt 0x0
	s_barrier_signal -1
	s_barrier_wait -1
	s_barrier_signal -1
	s_barrier_wait -1
	s_and_saveexec_b32 s10, s93
	s_cbranch_execz .LBB149_463
; %bb.462:                              ;   in Loop: Header=BB149_3 Depth=1
	ds_load_b64 v[40:41], v81 offset:19744
	s_wait_dscnt 0x0
	ds_store_b64 v79, v[40:41] offset:18736
	ds_load_b64 v[40:41], v81 offset:19752
	s_wait_dscnt 0x0
	ds_store_b64 v79, v[40:41] offset:19248
.LBB149_463:                            ;   in Loop: Header=BB149_3 Depth=1
	s_or_b32 exec_lo, exec_lo, s10
	s_wait_dscnt 0x0
	s_barrier_signal -1
	s_barrier_wait -1
	s_and_saveexec_b32 s10, s15
	s_cbranch_execz .LBB149_465
; %bb.464:                              ;   in Loop: Header=BB149_3 Depth=1
	v_add_nc_u32_e64 v0, 0x120, 0
	ds_load_b64 v[44:45], v1 offset:19240
	ds_load_2addr_stride64_b64 v[40:43], v0 offset0:36 offset1:37
	s_wait_dscnt 0x0
	v_dual_mul_f32 v46, v45, v41 :: v_dual_mul_f32 v0, v44, v41
	s_delay_alu instid0(VALU_DEP_1) | instskip(NEXT) | instid1(VALU_DEP_1)
	v_xor_b32_e32 v46, 0x80000000, v46
	v_dual_fmac_f32 v0, v45, v40 :: v_dual_fmac_f32 v46, v44, v40
	s_delay_alu instid0(VALU_DEP_1) | instskip(SKIP_1) | instid1(VALU_DEP_2)
	v_pk_mul_f32 v[40:41], v[0:1], v[42:43] op_sel:[0,1] op_sel_hi:[0,0]
	v_add_nc_u32_e64 v0, 0x4800, 0
	v_pk_fma_f32 v[44:45], v[46:47], v[42:43], v[40:41] op_sel_hi:[0,1,1]
	v_pk_fma_f32 v[40:41], v[46:47], v[42:43], v[40:41] neg_lo:[0,0,1] neg_hi:[0,0,1]
	s_delay_alu instid0(VALU_DEP_2)
	v_mov_b32_e32 v41, v45
	ds_store_2addr_b64 v0, v[40:41], v[40:41] offset0:37 offset1:100
.LBB149_465:                            ;   in Loop: Header=BB149_3 Depth=1
	s_or_b32 exec_lo, exec_lo, s10
	v_mov_b64_e32 v[40:41], 0
	s_wait_dscnt 0x0
	s_barrier_signal -1
	s_barrier_wait -1
	global_wb scope:SCOPE_DEV
	s_wait_storecnt 0x0
	global_inv scope:SCOPE_DEV
	s_and_saveexec_b32 s16, s3
	s_cbranch_execz .LBB149_471
; %bb.466:                              ;   in Loop: Header=BB149_3 Depth=1
	ds_load_b64 v[40:41], v54 offset:18688
	ds_load_b64 v[42:43], v55 offset:20256
	s_wait_dscnt 0x0
	v_dual_mul_f32 v0, v43, v41 :: v_dual_mul_f32 v41, v42, v41
	s_delay_alu instid0(VALU_DEP_1) | instskip(NEXT) | instid1(VALU_DEP_1)
	v_dual_fma_f32 v0, v42, v40, -v0 :: v_dual_fmac_f32 v41, v43, v40
	v_dual_add_f32 v40, 0, v0 :: v_dual_add_f32 v41, 0, v41
	s_and_saveexec_b32 s10, s18
	s_cbranch_execnz .LBB149_1131
; %bb.467:                              ;   in Loop: Header=BB149_3 Depth=1
	s_or_b32 exec_lo, exec_lo, s10
	s_and_saveexec_b32 s10, s19
	s_cbranch_execnz .LBB149_1132
.LBB149_468:                            ;   in Loop: Header=BB149_3 Depth=1
	s_or_b32 exec_lo, exec_lo, s10
	s_and_saveexec_b32 s10, s1
	s_cbranch_execz .LBB149_470
.LBB149_469:                            ;   in Loop: Header=BB149_3 Depth=1
	ds_load_b64 v[42:43], v83 offset:20224
	ds_load_b64 v[44:45], v1 offset:20280
	s_wait_dscnt 0x0
	v_dual_mul_f32 v0, v45, v43 :: v_dual_mul_f32 v43, v44, v43
	s_delay_alu instid0(VALU_DEP_1) | instskip(NEXT) | instid1(VALU_DEP_1)
	v_dual_fma_f32 v0, v44, v42, -v0 :: v_dual_fmac_f32 v43, v45, v42
	v_dual_add_f32 v40, v40, v0 :: v_dual_add_f32 v41, v41, v43
.LBB149_470:                            ;   in Loop: Header=BB149_3 Depth=1
	s_or_b32 exec_lo, exec_lo, s10
.LBB149_471:                            ;   in Loop: Header=BB149_3 Depth=1
	s_delay_alu instid0(SALU_CYCLE_1)
	s_or_b32 exec_lo, exec_lo, s16
	s_and_saveexec_b32 s10, s94
	s_cbranch_execz .LBB149_473
; %bb.472:                              ;   in Loop: Header=BB149_3 Depth=1
	ds_load_b64 v[42:43], v1 offset:18200
	s_wait_dscnt 0x0
	v_dual_mul_f32 v0, v41, v42 :: v_dual_mul_f32 v44, v41, v43
	s_delay_alu instid0(VALU_DEP_1) | instskip(NEXT) | instid1(VALU_DEP_2)
	v_pk_fma_f32 v[46:47], v[40:41], v[42:43], v[0:1] op_sel:[1,0,0] op_sel_hi:[0,1,0]
	v_pk_fma_f32 v[40:41], v[40:41], v[42:43], v[44:45] op_sel_hi:[1,1,0] neg_lo:[0,0,1] neg_hi:[0,0,1]
	s_delay_alu instid0(VALU_DEP_2) | instskip(NEXT) | instid1(VALU_DEP_1)
	v_mov_b32_e32 v41, v47
	v_pk_add_f32 v[42:43], v[40:41], 0 neg_lo:[1,1] neg_hi:[1,1]
	ds_store_b64 v53, v[42:43]
.LBB149_473:                            ;   in Loop: Header=BB149_3 Depth=1
	s_or_b32 exec_lo, exec_lo, s10
	s_wait_loadcnt_dscnt 0x0
	s_barrier_signal -1
	s_barrier_wait -1
	s_and_saveexec_b32 s10, s95
	s_cbranch_execz .LBB149_475
; %bb.474:                              ;   in Loop: Header=BB149_3 Depth=1
	ds_load_b64 v[42:43], v54 offset:18176
	ds_load_b64 v[44:45], v53
	s_wait_dscnt 0x0
	v_pk_mul_f32 v[46:47], v[44:45], v[42:43] op_sel:[1,1] op_sel_hi:[0,1]
	s_delay_alu instid0(VALU_DEP_1) | instskip(SKIP_1) | instid1(VALU_DEP_2)
	v_pk_fma_f32 v[100:101], v[44:45], v[42:43], v[46:47] op_sel_hi:[1,0,1]
	v_pk_fma_f32 v[42:43], v[44:45], v[42:43], v[46:47] neg_lo:[0,0,1] neg_hi:[0,0,1]
	v_mov_b32_e32 v43, v101
	s_delay_alu instid0(VALU_DEP_1)
	v_pk_add_f32 v[40:41], v[40:41], v[42:43] neg_lo:[0,1] neg_hi:[0,1]
.LBB149_475:                            ;   in Loop: Header=BB149_3 Depth=1
	s_or_b32 exec_lo, exec_lo, s10
	s_barrier_signal -1
	s_barrier_wait -1
	s_and_saveexec_b32 s10, s96
	s_cbranch_execz .LBB149_477
; %bb.476:                              ;   in Loop: Header=BB149_3 Depth=1
	ds_load_b64 v[42:43], v1 offset:17680
	s_wait_dscnt 0x0
	v_pk_mul_f32 v[44:45], v[40:41], v[42:43] op_sel:[1,1] op_sel_hi:[1,0]
	s_delay_alu instid0(VALU_DEP_1) | instskip(SKIP_1) | instid1(VALU_DEP_2)
	v_pk_fma_f32 v[46:47], v[40:41], v[42:43], v[44:45] op_sel_hi:[0,1,1]
	v_pk_fma_f32 v[40:41], v[40:41], v[42:43], v[44:45] neg_lo:[0,0,1] neg_hi:[0,0,1]
	v_mov_b32_e32 v41, v47
	s_delay_alu instid0(VALU_DEP_1)
	v_pk_add_f32 v[42:43], v[40:41], 0 neg_lo:[1,1] neg_hi:[1,1]
	ds_store_b64 v53, v[42:43]
.LBB149_477:                            ;   in Loop: Header=BB149_3 Depth=1
	s_or_b32 exec_lo, exec_lo, s10
	s_wait_dscnt 0x0
	s_barrier_signal -1
	s_barrier_wait -1
	s_and_saveexec_b32 s10, s97
	s_cbranch_execz .LBB149_479
; %bb.478:                              ;   in Loop: Header=BB149_3 Depth=1
	ds_load_b64 v[42:43], v54 offset:17664
	ds_load_b64 v[44:45], v53
	s_wait_dscnt 0x0
	v_pk_mul_f32 v[46:47], v[44:45], v[42:43] op_sel:[1,1] op_sel_hi:[0,1]
	s_delay_alu instid0(VALU_DEP_1) | instskip(SKIP_1) | instid1(VALU_DEP_2)
	v_pk_fma_f32 v[100:101], v[44:45], v[42:43], v[46:47] op_sel_hi:[1,0,1]
	v_pk_fma_f32 v[42:43], v[44:45], v[42:43], v[46:47] neg_lo:[0,0,1] neg_hi:[0,0,1]
	v_mov_b32_e32 v43, v101
	s_delay_alu instid0(VALU_DEP_1)
	v_pk_add_f32 v[40:41], v[40:41], v[42:43] neg_lo:[0,1] neg_hi:[0,1]
.LBB149_479:                            ;   in Loop: Header=BB149_3 Depth=1
	s_or_b32 exec_lo, exec_lo, s10
	s_barrier_signal -1
	s_barrier_wait -1
	s_and_saveexec_b32 s10, s98
	s_cbranch_execz .LBB149_481
; %bb.480:                              ;   in Loop: Header=BB149_3 Depth=1
	ds_load_b64 v[42:43], v1 offset:17160
	s_wait_dscnt 0x0
	v_pk_mul_f32 v[44:45], v[40:41], v[42:43] op_sel:[1,1] op_sel_hi:[1,0]
	s_delay_alu instid0(VALU_DEP_1) | instskip(SKIP_1) | instid1(VALU_DEP_2)
	v_pk_fma_f32 v[46:47], v[40:41], v[42:43], v[44:45] op_sel_hi:[0,1,1]
	v_pk_fma_f32 v[40:41], v[40:41], v[42:43], v[44:45] neg_lo:[0,0,1] neg_hi:[0,0,1]
	v_mov_b32_e32 v41, v47
	s_delay_alu instid0(VALU_DEP_1)
	v_pk_add_f32 v[42:43], v[40:41], 0 neg_lo:[1,1] neg_hi:[1,1]
	ds_store_b64 v53, v[42:43]
.LBB149_481:                            ;   in Loop: Header=BB149_3 Depth=1
	s_or_b32 exec_lo, exec_lo, s10
	s_wait_dscnt 0x0
	;; [unrolled: 35-line block ×3, first 2 shown]
	s_barrier_signal -1
	s_barrier_wait -1
	s_barrier_signal -1
	s_barrier_wait -1
	s_and_saveexec_b32 s10, s3
; %bb.486:                              ;   in Loop: Header=BB149_3 Depth=1
	ds_store_b64 v57, v[40:41] offset:20224
; %bb.487:                              ;   in Loop: Header=BB149_3 Depth=1
	s_or_b32 exec_lo, exec_lo, s10
	s_wait_dscnt 0x0
	s_barrier_signal -1
	s_barrier_wait -1
	s_barrier_signal -1
	s_barrier_wait -1
	s_and_saveexec_b32 s10, s100
	s_cbranch_execz .LBB149_489
; %bb.488:                              ;   in Loop: Header=BB149_3 Depth=1
	ds_load_b64 v[40:41], v84 offset:18688
	s_wait_dscnt 0x0
	ds_store_b64 v85, v[40:41] offset:16672
	ds_load_b64 v[40:41], v84 offset:18696
	s_wait_dscnt 0x0
	ds_store_b64 v85, v[40:41] offset:17184
	;; [unrolled: 3-line block ×4, first 2 shown]
.LBB149_489:                            ;   in Loop: Header=BB149_3 Depth=1
	s_or_b32 exec_lo, exec_lo, s10
	s_wait_dscnt 0x0
	s_barrier_signal -1
	s_barrier_wait -1
	s_and_saveexec_b32 s10, s15
	s_cbranch_execz .LBB149_491
; %bb.490:                              ;   in Loop: Header=BB149_3 Depth=1
	v_add_nc_u32_e64 v0, 0x110, 0
	ds_load_b64 v[44:45], v1 offset:18200
	ds_load_2addr_stride64_b64 v[40:43], v0 offset0:34 offset1:35
	s_wait_dscnt 0x0
	v_dual_mul_f32 v46, v45, v41 :: v_dual_mul_f32 v0, v44, v41
	s_delay_alu instid0(VALU_DEP_1) | instskip(NEXT) | instid1(VALU_DEP_1)
	v_xor_b32_e32 v46, 0x80000000, v46
	v_dual_fmac_f32 v0, v45, v40 :: v_dual_fmac_f32 v46, v44, v40
	s_delay_alu instid0(VALU_DEP_1) | instskip(SKIP_1) | instid1(VALU_DEP_2)
	v_pk_mul_f32 v[40:41], v[0:1], v[42:43] op_sel:[0,1] op_sel_hi:[0,0]
	v_add_nc_u32_e64 v0, 0x4000, 0
	v_pk_fma_f32 v[44:45], v[46:47], v[42:43], v[40:41] op_sel_hi:[0,1,1]
	v_pk_fma_f32 v[40:41], v[46:47], v[42:43], v[40:41] neg_lo:[0,0,1] neg_hi:[0,0,1]
	s_delay_alu instid0(VALU_DEP_2)
	v_mov_b32_e32 v41, v45
	ds_store_2addr_b64 v0, v[40:41], v[40:41] offset0:163 offset1:226
.LBB149_491:                            ;   in Loop: Header=BB149_3 Depth=1
	s_or_b32 exec_lo, exec_lo, s10
	v_dual_mov_b32 v40, 0 :: v_dual_mov_b32 v41, 0
	s_wait_dscnt 0x0
	s_barrier_signal -1
	s_barrier_wait -1
	global_wb scope:SCOPE_DEV
	s_wait_storecnt 0x0
	global_inv scope:SCOPE_DEV
	s_and_saveexec_b32 s16, s1
	s_cbranch_execz .LBB149_495
; %bb.492:                              ;   in Loop: Header=BB149_3 Depth=1
	ds_load_b64 v[40:41], v50 offset:17664
	ds_load_b64 v[42:43], v51 offset:18192
	s_wait_dscnt 0x0
	v_pk_mul_f32 v[44:45], v[42:43], v[40:41] op_sel:[1,1] op_sel_hi:[0,1]
	s_delay_alu instid0(VALU_DEP_1) | instskip(SKIP_1) | instid1(VALU_DEP_2)
	v_pk_fma_f32 v[46:47], v[42:43], v[40:41], v[44:45] op_sel_hi:[1,0,1]
	v_pk_fma_f32 v[40:41], v[42:43], v[40:41], v[44:45] neg_lo:[0,0,1] neg_hi:[0,0,1]
	v_mov_b32_e32 v41, v47
	s_delay_alu instid0(VALU_DEP_1)
	v_pk_add_f32 v[40:41], v[40:41], 0 op_sel_hi:[1,0]
	s_and_saveexec_b32 s10, s17
	s_cbranch_execz .LBB149_494
; %bb.493:                              ;   in Loop: Header=BB149_3 Depth=1
	ds_load_b64 v[42:43], v85 offset:18176
	ds_load_b64 v[44:45], v1 offset:18200
	s_wait_dscnt 0x0
	v_pk_mul_f32 v[46:47], v[44:45], v[42:43] op_sel:[1,1] op_sel_hi:[0,1]
	s_delay_alu instid0(VALU_DEP_1) | instskip(SKIP_1) | instid1(VALU_DEP_2)
	v_pk_fma_f32 v[100:101], v[44:45], v[42:43], v[46:47] op_sel_hi:[1,0,1]
	v_pk_fma_f32 v[42:43], v[44:45], v[42:43], v[46:47] neg_lo:[0,0,1] neg_hi:[0,0,1]
	v_mov_b32_e32 v43, v101
	s_delay_alu instid0(VALU_DEP_1)
	v_pk_add_f32 v[40:41], v[40:41], v[42:43]
.LBB149_494:                            ;   in Loop: Header=BB149_3 Depth=1
	s_or_b32 exec_lo, exec_lo, s10
.LBB149_495:                            ;   in Loop: Header=BB149_3 Depth=1
	s_delay_alu instid0(SALU_CYCLE_1)
	s_or_b32 exec_lo, exec_lo, s16
	s_and_saveexec_b32 s10, s91
	s_cbranch_execz .LBB149_497
; %bb.496:                              ;   in Loop: Header=BB149_3 Depth=1
	ds_load_b64 v[42:43], v1 offset:17160
	s_wait_dscnt 0x0
	v_pk_mul_f32 v[44:45], v[40:41], v[42:43] op_sel:[1,1] op_sel_hi:[1,0]
	s_delay_alu instid0(VALU_DEP_1) | instskip(SKIP_1) | instid1(VALU_DEP_2)
	v_pk_fma_f32 v[46:47], v[40:41], v[42:43], v[44:45] op_sel_hi:[0,1,1]
	v_pk_fma_f32 v[40:41], v[40:41], v[42:43], v[44:45] neg_lo:[0,0,1] neg_hi:[0,0,1]
	v_mov_b32_e32 v41, v47
	s_delay_alu instid0(VALU_DEP_1)
	v_pk_add_f32 v[42:43], v[40:41], 0 neg_lo:[1,1] neg_hi:[1,1]
	ds_store_b64 v3, v[42:43]
.LBB149_497:                            ;   in Loop: Header=BB149_3 Depth=1
	s_or_b32 exec_lo, exec_lo, s10
	s_wait_loadcnt_dscnt 0x0
	s_barrier_signal -1
	s_barrier_wait -1
	s_and_saveexec_b32 s10, s92
	s_cbranch_execz .LBB149_499
; %bb.498:                              ;   in Loop: Header=BB149_3 Depth=1
	ds_load_b64 v[42:43], v1 offset:17152
	ds_load_b64 v[44:45], v3
	s_wait_dscnt 0x0
	v_pk_mul_f32 v[46:47], v[44:45], v[42:43] op_sel:[1,1] op_sel_hi:[0,1]
	s_delay_alu instid0(VALU_DEP_1) | instskip(SKIP_1) | instid1(VALU_DEP_2)
	v_pk_fma_f32 v[100:101], v[44:45], v[42:43], v[46:47] op_sel_hi:[1,0,1]
	v_pk_fma_f32 v[42:43], v[44:45], v[42:43], v[46:47] neg_lo:[0,0,1] neg_hi:[0,0,1]
	v_mov_b32_e32 v43, v101
	s_delay_alu instid0(VALU_DEP_1)
	v_pk_add_f32 v[40:41], v[40:41], v[42:43] neg_lo:[0,1] neg_hi:[0,1]
.LBB149_499:                            ;   in Loop: Header=BB149_3 Depth=1
	s_or_b32 exec_lo, exec_lo, s10
	s_barrier_signal -1
	s_barrier_wait -1
	s_and_saveexec_b32 s10, s92
	s_cbranch_execz .LBB149_501
; %bb.500:                              ;   in Loop: Header=BB149_3 Depth=1
	ds_load_b64 v[42:43], v1 offset:16640
	s_wait_dscnt 0x0
	v_pk_mul_f32 v[44:45], v[40:41], v[42:43] op_sel:[1,1] op_sel_hi:[1,0]
	s_delay_alu instid0(VALU_DEP_1) | instskip(SKIP_1) | instid1(VALU_DEP_2)
	v_pk_fma_f32 v[46:47], v[40:41], v[42:43], v[44:45] op_sel_hi:[0,1,1]
	v_pk_fma_f32 v[40:41], v[40:41], v[42:43], v[44:45] neg_lo:[0,0,1] neg_hi:[0,0,1]
	v_mov_b32_e32 v41, v47
	s_delay_alu instid0(VALU_DEP_1)
	v_pk_add_f32 v[42:43], v[40:41], 0 neg_lo:[1,1] neg_hi:[1,1]
	ds_store_b64 v3, v[42:43]
.LBB149_501:                            ;   in Loop: Header=BB149_3 Depth=1
	s_or_b32 exec_lo, exec_lo, s10
	s_wait_dscnt 0x0
	s_barrier_signal -1
	s_barrier_wait -1
	s_barrier_signal -1
	s_barrier_wait -1
	s_and_saveexec_b32 s10, s1
; %bb.502:                              ;   in Loop: Header=BB149_3 Depth=1
	ds_store_b64 v52, v[40:41] offset:18176
; %bb.503:                              ;   in Loop: Header=BB149_3 Depth=1
	s_or_b32 exec_lo, exec_lo, s10
	s_wait_dscnt 0x0
	s_barrier_signal -1
	s_barrier_wait -1
	s_barrier_signal -1
	s_barrier_wait -1
	s_and_saveexec_b32 s10, s93
	s_cbranch_execz .LBB149_505
; %bb.504:                              ;   in Loop: Header=BB149_3 Depth=1
	ds_load_b64 v[40:41], v87 offset:17664
	s_wait_dscnt 0x0
	ds_store_b64 v85, v[40:41] offset:16656
	ds_load_b64 v[40:41], v87 offset:17672
	s_wait_dscnt 0x0
	ds_store_b64 v85, v[40:41] offset:17168
.LBB149_505:                            ;   in Loop: Header=BB149_3 Depth=1
	s_or_b32 exec_lo, exec_lo, s10
	s_wait_dscnt 0x0
	s_barrier_signal -1
	s_barrier_wait -1
	s_and_saveexec_b32 s10, s15
	s_cbranch_execz .LBB149_507
; %bb.506:                              ;   in Loop: Header=BB149_3 Depth=1
	v_add_nc_u32_e64 v0, 0x100, 0
	ds_load_b64 v[44:45], v1 offset:17160
	ds_load_2addr_stride64_b64 v[40:43], v0 offset0:32 offset1:33
	s_wait_dscnt 0x0
	v_dual_mul_f32 v46, v45, v41 :: v_dual_mul_f32 v0, v44, v41
	s_delay_alu instid0(VALU_DEP_1) | instskip(NEXT) | instid1(VALU_DEP_1)
	v_xor_b32_e32 v46, 0x80000000, v46
	v_dual_fmac_f32 v0, v45, v40 :: v_dual_fmac_f32 v46, v44, v40
	s_delay_alu instid0(VALU_DEP_1) | instskip(SKIP_1) | instid1(VALU_DEP_2)
	v_pk_mul_f32 v[40:41], v[0:1], v[42:43] op_sel:[0,1] op_sel_hi:[0,0]
	v_add_nc_u32_e64 v0, 0x4000, 0
	v_pk_fma_f32 v[44:45], v[46:47], v[42:43], v[40:41] op_sel_hi:[0,1,1]
	v_pk_fma_f32 v[40:41], v[46:47], v[42:43], v[40:41] neg_lo:[0,0,1] neg_hi:[0,0,1]
	s_delay_alu instid0(VALU_DEP_2)
	v_mov_b32_e32 v41, v45
	ds_store_2addr_b64 v0, v[40:41], v[40:41] offset0:33 offset1:96
.LBB149_507:                            ;   in Loop: Header=BB149_3 Depth=1
	s_or_b32 exec_lo, exec_lo, s10
	v_mov_b64_e32 v[40:41], 0
	s_wait_dscnt 0x0
	s_barrier_signal -1
	s_barrier_wait -1
	global_wb scope:SCOPE_DEV
	s_wait_storecnt 0x0
	global_inv scope:SCOPE_DEV
	s_and_saveexec_b32 s66, s37
	s_cbranch_execz .LBB149_568
; %bb.508:                              ;   in Loop: Header=BB149_3 Depth=1
	ds_load_b64 v[40:41], v67 offset:16384
	ds_load_b64 v[42:43], v69 offset:32512
	v_readlane_b32 s11, v99, 7
	s_wait_dscnt 0x0
	v_dual_mul_f32 v0, v43, v41 :: v_dual_mul_f32 v41, v42, v41
	s_delay_alu instid0(VALU_DEP_1) | instskip(NEXT) | instid1(VALU_DEP_1)
	v_dual_fma_f32 v0, v42, v40, -v0 :: v_dual_fmac_f32 v41, v43, v40
	v_dual_add_f32 v40, 0, v0 :: v_dual_add_f32 v41, 0, v41
	s_and_saveexec_b32 s10, s11
	s_cbranch_execz .LBB149_510
; %bb.509:                              ;   in Loop: Header=BB149_3 Depth=1
	ds_load_b64 v[42:43], v67 offset:16896
	ds_load_b64 v[44:45], v69 offset:32520
	s_wait_dscnt 0x0
	v_dual_mul_f32 v0, v45, v43 :: v_dual_mul_f32 v43, v44, v43
	s_delay_alu instid0(VALU_DEP_1) | instskip(NEXT) | instid1(VALU_DEP_1)
	v_dual_fma_f32 v0, v44, v42, -v0 :: v_dual_fmac_f32 v43, v45, v42
	v_dual_add_f32 v40, v40, v0 :: v_dual_add_f32 v41, v41, v43
.LBB149_510:                            ;   in Loop: Header=BB149_3 Depth=1
	s_or_b32 exec_lo, exec_lo, s10
	v_readlane_b32 s11, v99, 8
	s_and_saveexec_b32 s10, s11
	s_cbranch_execz .LBB149_512
; %bb.511:                              ;   in Loop: Header=BB149_3 Depth=1
	ds_load_b64 v[42:43], v67 offset:17408
	ds_load_b64 v[44:45], v69 offset:32528
	s_wait_dscnt 0x0
	v_dual_mul_f32 v0, v45, v43 :: v_dual_mul_f32 v43, v44, v43
	s_delay_alu instid0(VALU_DEP_1) | instskip(NEXT) | instid1(VALU_DEP_1)
	v_dual_fma_f32 v0, v44, v42, -v0 :: v_dual_fmac_f32 v43, v45, v42
	v_dual_add_f32 v40, v40, v0 :: v_dual_add_f32 v41, v41, v43
.LBB149_512:                            ;   in Loop: Header=BB149_3 Depth=1
	s_or_b32 exec_lo, exec_lo, s10
	v_readlane_b32 s11, v99, 9
	;; [unrolled: 13-line block ×22, first 2 shown]
	s_and_saveexec_b32 s10, s11
	s_cbranch_execz .LBB149_554
; %bb.553:                              ;   in Loop: Header=BB149_3 Depth=1
	ds_load_b64 v[42:43], v67 offset:28160
	ds_load_b64 v[44:45], v69 offset:32696
	s_wait_dscnt 0x0
	v_dual_mul_f32 v0, v45, v43 :: v_dual_mul_f32 v43, v44, v43
	s_delay_alu instid0(VALU_DEP_1) | instskip(NEXT) | instid1(VALU_DEP_1)
	v_dual_fma_f32 v0, v44, v42, -v0 :: v_dual_fmac_f32 v43, v45, v42
	v_dual_add_f32 v40, v40, v0 :: v_dual_add_f32 v41, v41, v43
.LBB149_554:                            ;   in Loop: Header=BB149_3 Depth=1
	s_or_b32 exec_lo, exec_lo, s10
	s_and_saveexec_b32 s10, s5
	s_cbranch_execz .LBB149_556
; %bb.555:                              ;   in Loop: Header=BB149_3 Depth=1
	ds_load_b64 v[42:43], v67 offset:28672
	ds_load_b64 v[44:45], v69 offset:32704
	s_wait_dscnt 0x0
	v_dual_mul_f32 v0, v45, v43 :: v_dual_mul_f32 v43, v44, v43
	s_delay_alu instid0(VALU_DEP_1) | instskip(NEXT) | instid1(VALU_DEP_1)
	v_dual_fma_f32 v0, v44, v42, -v0 :: v_dual_fmac_f32 v43, v45, v42
	v_dual_add_f32 v40, v40, v0 :: v_dual_add_f32 v41, v41, v43
.LBB149_556:                            ;   in Loop: Header=BB149_3 Depth=1
	s_or_b32 exec_lo, exec_lo, s10
	v_readlane_b32 s11, v108, 27
	s_and_saveexec_b32 s10, s11
	s_cbranch_execz .LBB149_558
; %bb.557:                              ;   in Loop: Header=BB149_3 Depth=1
	ds_load_b64 v[42:43], v67 offset:29184
	ds_load_b64 v[44:45], v69 offset:32712
	s_wait_dscnt 0x0
	v_dual_mul_f32 v0, v45, v43 :: v_dual_mul_f32 v43, v44, v43
	s_delay_alu instid0(VALU_DEP_1) | instskip(NEXT) | instid1(VALU_DEP_1)
	v_dual_fma_f32 v0, v44, v42, -v0 :: v_dual_fmac_f32 v43, v45, v42
	v_dual_add_f32 v40, v40, v0 :: v_dual_add_f32 v41, v41, v43
.LBB149_558:                            ;   in Loop: Header=BB149_3 Depth=1
	s_or_b32 exec_lo, exec_lo, s10
	v_readlane_b32 s11, v108, 29
	;; [unrolled: 13-line block ×4, first 2 shown]
	s_and_saveexec_b32 s10, s11
	s_cbranch_execnz .LBB149_1133
; %bb.563:                              ;   in Loop: Header=BB149_3 Depth=1
	s_or_b32 exec_lo, exec_lo, s10
	s_and_saveexec_b32 s10, s13
	s_cbranch_execnz .LBB149_1134
.LBB149_564:                            ;   in Loop: Header=BB149_3 Depth=1
	s_or_b32 exec_lo, exec_lo, s10
	s_and_saveexec_b32 s10, s4
	s_cbranch_execnz .LBB149_1135
.LBB149_565:                            ;   in Loop: Header=BB149_3 Depth=1
	s_or_b32 exec_lo, exec_lo, s10
	s_and_saveexec_b32 s10, s23
	s_delay_alu instid0(SALU_CYCLE_1)
	s_xor_b32 s10, exec_lo, s10
	s_cbranch_execz .LBB149_567
.LBB149_566:                            ;   in Loop: Header=BB149_3 Depth=1
	ds_load_b64 v[42:43], v67 offset:32256
	ds_load_b64 v[44:45], v69 offset:32760
	s_wait_dscnt 0x0
	v_pk_mul_f32 v[46:47], v[44:45], v[42:43] op_sel:[1,1] op_sel_hi:[0,1]
	s_delay_alu instid0(VALU_DEP_1) | instskip(SKIP_1) | instid1(VALU_DEP_2)
	v_pk_fma_f32 v[100:101], v[44:45], v[42:43], v[46:47] op_sel_hi:[1,0,1]
	v_pk_fma_f32 v[42:43], v[44:45], v[42:43], v[46:47] neg_lo:[0,0,1] neg_hi:[0,0,1]
	v_mov_b32_e32 v43, v101
	s_delay_alu instid0(VALU_DEP_1)
	v_pk_add_f32 v[40:41], v[40:41], v[42:43]
.LBB149_567:                            ;   in Loop: Header=BB149_3 Depth=1
	s_or_b32 exec_lo, exec_lo, s10
.LBB149_568:                            ;   in Loop: Header=BB149_3 Depth=1
	s_delay_alu instid0(SALU_CYCLE_1)
	s_or_b32 exec_lo, exec_lo, s66
	v_dual_mov_b32 v0, v96 :: v_dual_mov_b32 v42, v95
	s_mov_b32 s16, 31
	s_branch .LBB149_570
.LBB149_569:                            ;   in Loop: Header=BB149_570 Depth=2
	s_or_b32 exec_lo, exec_lo, s10
	v_add_nc_u32_e32 v42, 0xfffffc00, v42
	v_add_nc_u32_e32 v0, 2, v0
	s_add_co_i32 s16, s16, -2
	s_cmp_eq_u32 s66, 0
	s_barrier_signal -1
	s_barrier_wait -1
	s_cbranch_scc1 .LBB149_578
.LBB149_570:                            ;   Parent Loop BB149_3 Depth=1
                                        ; =>  This Inner Loop Header: Depth=2
	s_delay_alu instid0(VALU_DEP_1) | instskip(SKIP_1) | instid1(SALU_CYCLE_1)
	v_cmp_eq_u32_e32 vcc_lo, 0, v0
	s_and_b32 s66, s14, vcc_lo
	s_and_saveexec_b32 s10, s66
	s_cbranch_execz .LBB149_572
; %bb.571:                              ;   in Loop: Header=BB149_570 Depth=2
	ds_load_b64 v[44:45], v97
	s_wait_dscnt 0x0
	v_pk_mul_f32 v[46:47], v[40:41], v[44:45] op_sel:[1,1] op_sel_hi:[1,0]
	s_delay_alu instid0(VALU_DEP_1) | instskip(SKIP_1) | instid1(VALU_DEP_2)
	v_pk_fma_f32 v[100:101], v[40:41], v[44:45], v[46:47] op_sel_hi:[0,1,1]
	v_pk_fma_f32 v[40:41], v[40:41], v[44:45], v[46:47] neg_lo:[0,0,1] neg_hi:[0,0,1]
	v_mov_b32_e32 v41, v101
	s_delay_alu instid0(VALU_DEP_1)
	v_pk_add_f32 v[44:45], v[40:41], 0 neg_lo:[1,1] neg_hi:[1,1]
	ds_store_b64 v68, v[44:45]
.LBB149_572:                            ;   in Loop: Header=BB149_570 Depth=2
	s_or_b32 exec_lo, exec_lo, s10
	v_cmp_gt_u32_e32 vcc_lo, s16, v65
	s_wait_loadcnt_dscnt 0x0
	s_barrier_signal -1
	s_barrier_wait -1
	s_and_b32 s66, s14, vcc_lo
	s_delay_alu instid0(SALU_CYCLE_1)
	s_and_saveexec_b32 s10, s66
	s_cbranch_execz .LBB149_574
; %bb.573:                              ;   in Loop: Header=BB149_570 Depth=2
	ds_load_b64 v[44:45], v42 offset:512
	ds_load_b64 v[46:47], v68
	s_wait_dscnt 0x0
	v_pk_mul_f32 v[100:101], v[46:47], v[44:45] op_sel:[1,1] op_sel_hi:[0,1]
	s_delay_alu instid0(VALU_DEP_1) | instskip(SKIP_1) | instid1(VALU_DEP_2)
	v_pk_fma_f32 v[102:103], v[46:47], v[44:45], v[100:101] op_sel_hi:[1,0,1]
	v_pk_fma_f32 v[44:45], v[46:47], v[44:45], v[100:101] neg_lo:[0,0,1] neg_hi:[0,0,1]
	v_mov_b32_e32 v45, v103
	s_delay_alu instid0(VALU_DEP_1)
	v_pk_add_f32 v[40:41], v[40:41], v[44:45] neg_lo:[0,1] neg_hi:[0,1]
.LBB149_574:                            ;   in Loop: Header=BB149_570 Depth=2
	s_or_b32 exec_lo, exec_lo, s10
	s_add_co_i32 s66, s16, -1
	s_delay_alu instid0(SALU_CYCLE_1) | instskip(SKIP_3) | instid1(SALU_CYCLE_1)
	v_cmp_eq_u32_e32 vcc_lo, s66, v65
	s_barrier_signal -1
	s_barrier_wait -1
	s_and_b32 s84, s14, vcc_lo
	s_and_saveexec_b32 s10, s84
	s_cbranch_execz .LBB149_576
; %bb.575:                              ;   in Loop: Header=BB149_570 Depth=2
	ds_load_b64 v[44:45], v97
	s_wait_dscnt 0x0
	v_pk_mul_f32 v[46:47], v[40:41], v[44:45] op_sel:[1,1] op_sel_hi:[1,0]
	s_delay_alu instid0(VALU_DEP_1) | instskip(SKIP_1) | instid1(VALU_DEP_2)
	v_pk_fma_f32 v[100:101], v[40:41], v[44:45], v[46:47] op_sel_hi:[0,1,1]
	v_pk_fma_f32 v[40:41], v[40:41], v[44:45], v[46:47] neg_lo:[0,0,1] neg_hi:[0,0,1]
	v_mov_b32_e32 v41, v101
	s_delay_alu instid0(VALU_DEP_1)
	v_pk_add_f32 v[44:45], v[40:41], 0 neg_lo:[1,1] neg_hi:[1,1]
	ds_store_b64 v68, v[44:45]
.LBB149_576:                            ;   in Loop: Header=BB149_570 Depth=2
	s_or_b32 exec_lo, exec_lo, s10
	v_cmp_gt_u32_e32 vcc_lo, s66, v65
	s_wait_dscnt 0x0
	s_barrier_signal -1
	s_barrier_wait -1
	s_and_b32 s84, s14, vcc_lo
	s_delay_alu instid0(SALU_CYCLE_1)
	s_and_saveexec_b32 s10, s84
	s_cbranch_execz .LBB149_569
; %bb.577:                              ;   in Loop: Header=BB149_570 Depth=2
	ds_load_b64 v[44:45], v42
	ds_load_b64 v[46:47], v68
	s_wait_dscnt 0x0
	v_pk_mul_f32 v[100:101], v[46:47], v[44:45] op_sel:[1,1] op_sel_hi:[0,1]
	s_delay_alu instid0(VALU_DEP_1) | instskip(SKIP_1) | instid1(VALU_DEP_2)
	v_pk_fma_f32 v[102:103], v[46:47], v[44:45], v[100:101] op_sel_hi:[1,0,1]
	v_pk_fma_f32 v[44:45], v[46:47], v[44:45], v[100:101] neg_lo:[0,0,1] neg_hi:[0,0,1]
	v_mov_b32_e32 v45, v103
	s_delay_alu instid0(VALU_DEP_1)
	v_pk_add_f32 v[40:41], v[40:41], v[44:45] neg_lo:[0,1] neg_hi:[0,1]
	s_branch .LBB149_569
.LBB149_578:                            ;   in Loop: Header=BB149_3 Depth=1
	s_and_saveexec_b32 s10, s37
; %bb.579:                              ;   in Loop: Header=BB149_3 Depth=1
	ds_store_b64 v70, v[40:41] offset:32256
; %bb.580:                              ;   in Loop: Header=BB149_3 Depth=1
	s_or_b32 exec_lo, exec_lo, s10
	s_wait_dscnt 0x0
	s_barrier_signal -1
	s_barrier_wait -1
	s_barrier_signal -1
	s_barrier_wait -1
	s_mov_b32 s16, exec_lo
	v_readlane_b32 s10, v108, 7
	s_and_b32 s10, s16, s10
	s_delay_alu instid0(SALU_CYCLE_1)
	s_mov_b32 exec_lo, s10
	s_cbranch_execz .LBB149_582
; %bb.581:                              ;   in Loop: Header=BB149_3 Depth=1
	ds_load_b64 v[40:41], v87 offset:16384
	v_add_nc_u32_e32 v0, v87, v56
	s_wait_dscnt 0x0
	ds_store_b64 v0, v[40:41] offset:256
	ds_load_b64 v[40:41], v87 offset:16392
	s_wait_dscnt 0x0
	ds_store_b64 v0, v[40:41] offset:768
	ds_load_b64 v[40:41], v87 offset:16400
	;; [unrolled: 3-line block ×31, first 2 shown]
	s_wait_dscnt 0x0
	ds_store_b64 v0, v[40:41] offset:16128
.LBB149_582:                            ;   in Loop: Header=BB149_3 Depth=1
	s_or_b32 exec_lo, exec_lo, s16
	s_wait_dscnt 0x0
	s_barrier_signal -1
	s_barrier_wait -1
	s_and_saveexec_b32 s10, s15
	s_cbranch_execz .LBB149_584
; %bb.583:                              ;   in Loop: Header=BB149_3 Depth=1
	v_add_nc_u32_e64 v0, 0xf0, 0
	ds_load_b64 v[44:45], v1 offset:16120
	ds_load_2addr_stride64_b64 v[40:43], v0 offset0:30 offset1:31
	s_wait_dscnt 0x0
	v_dual_mul_f32 v46, v45, v41 :: v_dual_mul_f32 v0, v44, v41
	s_delay_alu instid0(VALU_DEP_1) | instskip(NEXT) | instid1(VALU_DEP_1)
	v_xor_b32_e32 v46, 0x80000000, v46
	v_dual_fmac_f32 v0, v45, v40 :: v_dual_fmac_f32 v46, v44, v40
	s_delay_alu instid0(VALU_DEP_1) | instskip(SKIP_1) | instid1(VALU_DEP_2)
	v_pk_mul_f32 v[40:41], v[0:1], v[42:43] op_sel:[0,1] op_sel_hi:[0,0]
	v_add_nc_u32_e64 v0, 0x3800, 0
	v_pk_fma_f32 v[44:45], v[46:47], v[42:43], v[40:41] op_sel_hi:[0,1,1]
	v_pk_fma_f32 v[40:41], v[46:47], v[42:43], v[40:41] neg_lo:[0,0,1] neg_hi:[0,0,1]
	s_delay_alu instid0(VALU_DEP_2)
	v_mov_b32_e32 v41, v45
	ds_store_2addr_b64 v0, v[40:41], v[40:41] offset0:159 offset1:222
.LBB149_584:                            ;   in Loop: Header=BB149_3 Depth=1
	s_or_b32 exec_lo, exec_lo, s10
	v_dual_mov_b32 v40, 0 :: v_dual_mov_b32 v41, 0
	s_wait_dscnt 0x0
	s_barrier_signal -1
	s_barrier_wait -1
	global_wb scope:SCOPE_DEV
	s_wait_storecnt 0x0
	global_inv scope:SCOPE_DEV
	s_and_saveexec_b32 s16, s1
	s_cbranch_execz .LBB149_588
; %bb.585:                              ;   in Loop: Header=BB149_3 Depth=1
	ds_load_b64 v[40:41], v50 offset:15584
	ds_load_b64 v[42:43], v51 offset:16112
	s_wait_dscnt 0x0
	v_pk_mul_f32 v[44:45], v[42:43], v[40:41] op_sel:[1,1] op_sel_hi:[0,1]
	s_delay_alu instid0(VALU_DEP_1) | instskip(SKIP_1) | instid1(VALU_DEP_2)
	v_pk_fma_f32 v[46:47], v[42:43], v[40:41], v[44:45] op_sel_hi:[1,0,1]
	v_pk_fma_f32 v[40:41], v[42:43], v[40:41], v[44:45] neg_lo:[0,0,1] neg_hi:[0,0,1]
	v_mov_b32_e32 v41, v47
	s_delay_alu instid0(VALU_DEP_1)
	v_pk_add_f32 v[40:41], v[40:41], 0 op_sel_hi:[1,0]
	s_and_saveexec_b32 s10, s17
	s_cbranch_execz .LBB149_587
; %bb.586:                              ;   in Loop: Header=BB149_3 Depth=1
	ds_load_b64 v[42:43], v71 offset:16096
	ds_load_b64 v[44:45], v1 offset:16120
	s_wait_dscnt 0x0
	v_pk_mul_f32 v[46:47], v[44:45], v[42:43] op_sel:[1,1] op_sel_hi:[0,1]
	s_delay_alu instid0(VALU_DEP_1) | instskip(SKIP_1) | instid1(VALU_DEP_2)
	v_pk_fma_f32 v[100:101], v[44:45], v[42:43], v[46:47] op_sel_hi:[1,0,1]
	v_pk_fma_f32 v[42:43], v[44:45], v[42:43], v[46:47] neg_lo:[0,0,1] neg_hi:[0,0,1]
	v_mov_b32_e32 v43, v101
	s_delay_alu instid0(VALU_DEP_1)
	v_pk_add_f32 v[40:41], v[40:41], v[42:43]
.LBB149_587:                            ;   in Loop: Header=BB149_3 Depth=1
	s_or_b32 exec_lo, exec_lo, s10
.LBB149_588:                            ;   in Loop: Header=BB149_3 Depth=1
	s_delay_alu instid0(SALU_CYCLE_1)
	s_or_b32 exec_lo, exec_lo, s16
	s_and_saveexec_b32 s10, s91
	s_cbranch_execz .LBB149_590
; %bb.589:                              ;   in Loop: Header=BB149_3 Depth=1
	ds_load_b64 v[42:43], v1 offset:15080
	s_wait_dscnt 0x0
	v_pk_mul_f32 v[44:45], v[40:41], v[42:43] op_sel:[1,1] op_sel_hi:[1,0]
	s_delay_alu instid0(VALU_DEP_1) | instskip(SKIP_1) | instid1(VALU_DEP_2)
	v_pk_fma_f32 v[46:47], v[40:41], v[42:43], v[44:45] op_sel_hi:[0,1,1]
	v_pk_fma_f32 v[40:41], v[40:41], v[42:43], v[44:45] neg_lo:[0,0,1] neg_hi:[0,0,1]
	v_mov_b32_e32 v41, v47
	s_delay_alu instid0(VALU_DEP_1)
	v_pk_add_f32 v[42:43], v[40:41], 0 neg_lo:[1,1] neg_hi:[1,1]
	ds_store_b64 v3, v[42:43]
.LBB149_590:                            ;   in Loop: Header=BB149_3 Depth=1
	s_or_b32 exec_lo, exec_lo, s10
	s_wait_loadcnt_dscnt 0x0
	s_barrier_signal -1
	s_barrier_wait -1
	s_and_saveexec_b32 s10, s92
	s_cbranch_execz .LBB149_592
; %bb.591:                              ;   in Loop: Header=BB149_3 Depth=1
	ds_load_b64 v[42:43], v1 offset:15072
	ds_load_b64 v[44:45], v3
	s_wait_dscnt 0x0
	v_pk_mul_f32 v[46:47], v[44:45], v[42:43] op_sel:[1,1] op_sel_hi:[0,1]
	s_delay_alu instid0(VALU_DEP_1) | instskip(SKIP_1) | instid1(VALU_DEP_2)
	v_pk_fma_f32 v[100:101], v[44:45], v[42:43], v[46:47] op_sel_hi:[1,0,1]
	v_pk_fma_f32 v[42:43], v[44:45], v[42:43], v[46:47] neg_lo:[0,0,1] neg_hi:[0,0,1]
	v_mov_b32_e32 v43, v101
	s_delay_alu instid0(VALU_DEP_1)
	v_pk_add_f32 v[40:41], v[40:41], v[42:43] neg_lo:[0,1] neg_hi:[0,1]
.LBB149_592:                            ;   in Loop: Header=BB149_3 Depth=1
	s_or_b32 exec_lo, exec_lo, s10
	s_barrier_signal -1
	s_barrier_wait -1
	s_and_saveexec_b32 s10, s92
	s_cbranch_execz .LBB149_594
; %bb.593:                              ;   in Loop: Header=BB149_3 Depth=1
	ds_load_b64 v[42:43], v1 offset:14560
	s_wait_dscnt 0x0
	v_pk_mul_f32 v[44:45], v[40:41], v[42:43] op_sel:[1,1] op_sel_hi:[1,0]
	s_delay_alu instid0(VALU_DEP_1) | instskip(SKIP_1) | instid1(VALU_DEP_2)
	v_pk_fma_f32 v[46:47], v[40:41], v[42:43], v[44:45] op_sel_hi:[0,1,1]
	v_pk_fma_f32 v[40:41], v[40:41], v[42:43], v[44:45] neg_lo:[0,0,1] neg_hi:[0,0,1]
	v_mov_b32_e32 v41, v47
	s_delay_alu instid0(VALU_DEP_1)
	v_pk_add_f32 v[42:43], v[40:41], 0 neg_lo:[1,1] neg_hi:[1,1]
	ds_store_b64 v3, v[42:43]
.LBB149_594:                            ;   in Loop: Header=BB149_3 Depth=1
	s_or_b32 exec_lo, exec_lo, s10
	s_wait_dscnt 0x0
	s_barrier_signal -1
	s_barrier_wait -1
	s_barrier_signal -1
	s_barrier_wait -1
	s_and_saveexec_b32 s10, s1
; %bb.595:                              ;   in Loop: Header=BB149_3 Depth=1
	ds_store_b64 v52, v[40:41] offset:16096
; %bb.596:                              ;   in Loop: Header=BB149_3 Depth=1
	s_or_b32 exec_lo, exec_lo, s10
	s_wait_dscnt 0x0
	s_barrier_signal -1
	s_barrier_wait -1
	s_barrier_signal -1
	s_barrier_wait -1
	s_and_saveexec_b32 s10, s93
	s_cbranch_execz .LBB149_598
; %bb.597:                              ;   in Loop: Header=BB149_3 Depth=1
	ds_load_b64 v[40:41], v72 offset:15584
	s_wait_dscnt 0x0
	ds_store_b64 v71, v[40:41] offset:14576
	ds_load_b64 v[40:41], v72 offset:15592
	s_wait_dscnt 0x0
	ds_store_b64 v71, v[40:41] offset:15088
.LBB149_598:                            ;   in Loop: Header=BB149_3 Depth=1
	s_or_b32 exec_lo, exec_lo, s10
	s_wait_dscnt 0x0
	s_barrier_signal -1
	s_barrier_wait -1
	s_and_saveexec_b32 s10, s15
	s_cbranch_execz .LBB149_600
; %bb.599:                              ;   in Loop: Header=BB149_3 Depth=1
	v_add_nc_u32_e64 v0, 0xe0, 0
	ds_load_b64 v[44:45], v1 offset:15080
	ds_load_2addr_stride64_b64 v[40:43], v0 offset0:28 offset1:29
	s_wait_dscnt 0x0
	v_dual_mul_f32 v46, v45, v41 :: v_dual_mul_f32 v0, v44, v41
	s_delay_alu instid0(VALU_DEP_1) | instskip(NEXT) | instid1(VALU_DEP_1)
	v_xor_b32_e32 v46, 0x80000000, v46
	v_dual_fmac_f32 v0, v45, v40 :: v_dual_fmac_f32 v46, v44, v40
	s_delay_alu instid0(VALU_DEP_1) | instskip(SKIP_1) | instid1(VALU_DEP_2)
	v_pk_mul_f32 v[40:41], v[0:1], v[42:43] op_sel:[0,1] op_sel_hi:[0,0]
	v_add_nc_u32_e64 v0, 0x3800, 0
	v_pk_fma_f32 v[44:45], v[46:47], v[42:43], v[40:41] op_sel_hi:[0,1,1]
	v_pk_fma_f32 v[40:41], v[46:47], v[42:43], v[40:41] neg_lo:[0,0,1] neg_hi:[0,0,1]
	s_delay_alu instid0(VALU_DEP_2)
	v_mov_b32_e32 v41, v45
	ds_store_2addr_b64 v0, v[40:41], v[40:41] offset0:29 offset1:92
.LBB149_600:                            ;   in Loop: Header=BB149_3 Depth=1
	s_or_b32 exec_lo, exec_lo, s10
	v_mov_b64_e32 v[40:41], 0
	s_wait_dscnt 0x0
	s_barrier_signal -1
	s_barrier_wait -1
	global_wb scope:SCOPE_DEV
	s_wait_storecnt 0x0
	global_inv scope:SCOPE_DEV
	s_and_saveexec_b32 s16, s3
	s_cbranch_execz .LBB149_606
; %bb.601:                              ;   in Loop: Header=BB149_3 Depth=1
	ds_load_b64 v[40:41], v54 offset:14528
	ds_load_b64 v[42:43], v55 offset:16096
	s_wait_dscnt 0x0
	v_dual_mul_f32 v0, v43, v41 :: v_dual_mul_f32 v41, v42, v41
	s_delay_alu instid0(VALU_DEP_1) | instskip(NEXT) | instid1(VALU_DEP_1)
	v_dual_fma_f32 v0, v42, v40, -v0 :: v_dual_fmac_f32 v41, v43, v40
	v_dual_add_f32 v40, 0, v0 :: v_dual_add_f32 v41, 0, v41
	s_and_saveexec_b32 s10, s18
	s_cbranch_execnz .LBB149_1136
; %bb.602:                              ;   in Loop: Header=BB149_3 Depth=1
	s_or_b32 exec_lo, exec_lo, s10
	s_and_saveexec_b32 s10, s19
	s_cbranch_execnz .LBB149_1137
.LBB149_603:                            ;   in Loop: Header=BB149_3 Depth=1
	s_or_b32 exec_lo, exec_lo, s10
	s_and_saveexec_b32 s10, s1
	s_cbranch_execz .LBB149_605
.LBB149_604:                            ;   in Loop: Header=BB149_3 Depth=1
	ds_load_b64 v[42:43], v73 offset:16064
	ds_load_b64 v[44:45], v1 offset:16120
	s_wait_dscnt 0x0
	v_dual_mul_f32 v0, v45, v43 :: v_dual_mul_f32 v43, v44, v43
	s_delay_alu instid0(VALU_DEP_1) | instskip(NEXT) | instid1(VALU_DEP_1)
	v_dual_fma_f32 v0, v44, v42, -v0 :: v_dual_fmac_f32 v43, v45, v42
	v_dual_add_f32 v40, v40, v0 :: v_dual_add_f32 v41, v41, v43
.LBB149_605:                            ;   in Loop: Header=BB149_3 Depth=1
	s_or_b32 exec_lo, exec_lo, s10
.LBB149_606:                            ;   in Loop: Header=BB149_3 Depth=1
	s_delay_alu instid0(SALU_CYCLE_1)
	s_or_b32 exec_lo, exec_lo, s16
	s_and_saveexec_b32 s10, s94
	s_cbranch_execz .LBB149_608
; %bb.607:                              ;   in Loop: Header=BB149_3 Depth=1
	ds_load_b64 v[42:43], v1 offset:14040
	s_wait_dscnt 0x0
	v_dual_mul_f32 v0, v41, v42 :: v_dual_mul_f32 v44, v41, v43
	s_delay_alu instid0(VALU_DEP_1) | instskip(NEXT) | instid1(VALU_DEP_2)
	v_pk_fma_f32 v[46:47], v[40:41], v[42:43], v[0:1] op_sel:[1,0,0] op_sel_hi:[0,1,0]
	v_pk_fma_f32 v[40:41], v[40:41], v[42:43], v[44:45] op_sel_hi:[1,1,0] neg_lo:[0,0,1] neg_hi:[0,0,1]
	s_delay_alu instid0(VALU_DEP_2) | instskip(NEXT) | instid1(VALU_DEP_1)
	v_mov_b32_e32 v41, v47
	v_pk_add_f32 v[42:43], v[40:41], 0 neg_lo:[1,1] neg_hi:[1,1]
	ds_store_b64 v53, v[42:43]
.LBB149_608:                            ;   in Loop: Header=BB149_3 Depth=1
	s_or_b32 exec_lo, exec_lo, s10
	s_wait_loadcnt_dscnt 0x0
	s_barrier_signal -1
	s_barrier_wait -1
	s_and_saveexec_b32 s10, s95
	s_cbranch_execz .LBB149_610
; %bb.609:                              ;   in Loop: Header=BB149_3 Depth=1
	ds_load_b64 v[42:43], v54 offset:14016
	ds_load_b64 v[44:45], v53
	s_wait_dscnt 0x0
	v_pk_mul_f32 v[46:47], v[44:45], v[42:43] op_sel:[1,1] op_sel_hi:[0,1]
	s_delay_alu instid0(VALU_DEP_1) | instskip(SKIP_1) | instid1(VALU_DEP_2)
	v_pk_fma_f32 v[100:101], v[44:45], v[42:43], v[46:47] op_sel_hi:[1,0,1]
	v_pk_fma_f32 v[42:43], v[44:45], v[42:43], v[46:47] neg_lo:[0,0,1] neg_hi:[0,0,1]
	v_mov_b32_e32 v43, v101
	s_delay_alu instid0(VALU_DEP_1)
	v_pk_add_f32 v[40:41], v[40:41], v[42:43] neg_lo:[0,1] neg_hi:[0,1]
.LBB149_610:                            ;   in Loop: Header=BB149_3 Depth=1
	s_or_b32 exec_lo, exec_lo, s10
	s_barrier_signal -1
	s_barrier_wait -1
	s_and_saveexec_b32 s10, s96
	s_cbranch_execz .LBB149_612
; %bb.611:                              ;   in Loop: Header=BB149_3 Depth=1
	ds_load_b64 v[42:43], v1 offset:13520
	s_wait_dscnt 0x0
	v_pk_mul_f32 v[44:45], v[40:41], v[42:43] op_sel:[1,1] op_sel_hi:[1,0]
	s_delay_alu instid0(VALU_DEP_1) | instskip(SKIP_1) | instid1(VALU_DEP_2)
	v_pk_fma_f32 v[46:47], v[40:41], v[42:43], v[44:45] op_sel_hi:[0,1,1]
	v_pk_fma_f32 v[40:41], v[40:41], v[42:43], v[44:45] neg_lo:[0,0,1] neg_hi:[0,0,1]
	v_mov_b32_e32 v41, v47
	s_delay_alu instid0(VALU_DEP_1)
	v_pk_add_f32 v[42:43], v[40:41], 0 neg_lo:[1,1] neg_hi:[1,1]
	ds_store_b64 v53, v[42:43]
.LBB149_612:                            ;   in Loop: Header=BB149_3 Depth=1
	s_or_b32 exec_lo, exec_lo, s10
	s_wait_dscnt 0x0
	s_barrier_signal -1
	s_barrier_wait -1
	s_and_saveexec_b32 s10, s97
	s_cbranch_execz .LBB149_614
; %bb.613:                              ;   in Loop: Header=BB149_3 Depth=1
	ds_load_b64 v[42:43], v54 offset:13504
	ds_load_b64 v[44:45], v53
	s_wait_dscnt 0x0
	v_pk_mul_f32 v[46:47], v[44:45], v[42:43] op_sel:[1,1] op_sel_hi:[0,1]
	s_delay_alu instid0(VALU_DEP_1) | instskip(SKIP_1) | instid1(VALU_DEP_2)
	v_pk_fma_f32 v[100:101], v[44:45], v[42:43], v[46:47] op_sel_hi:[1,0,1]
	v_pk_fma_f32 v[42:43], v[44:45], v[42:43], v[46:47] neg_lo:[0,0,1] neg_hi:[0,0,1]
	v_mov_b32_e32 v43, v101
	s_delay_alu instid0(VALU_DEP_1)
	v_pk_add_f32 v[40:41], v[40:41], v[42:43] neg_lo:[0,1] neg_hi:[0,1]
.LBB149_614:                            ;   in Loop: Header=BB149_3 Depth=1
	s_or_b32 exec_lo, exec_lo, s10
	s_barrier_signal -1
	s_barrier_wait -1
	s_and_saveexec_b32 s10, s98
	s_cbranch_execz .LBB149_616
; %bb.615:                              ;   in Loop: Header=BB149_3 Depth=1
	ds_load_b64 v[42:43], v1 offset:13000
	s_wait_dscnt 0x0
	v_pk_mul_f32 v[44:45], v[40:41], v[42:43] op_sel:[1,1] op_sel_hi:[1,0]
	s_delay_alu instid0(VALU_DEP_1) | instskip(SKIP_1) | instid1(VALU_DEP_2)
	v_pk_fma_f32 v[46:47], v[40:41], v[42:43], v[44:45] op_sel_hi:[0,1,1]
	v_pk_fma_f32 v[40:41], v[40:41], v[42:43], v[44:45] neg_lo:[0,0,1] neg_hi:[0,0,1]
	v_mov_b32_e32 v41, v47
	s_delay_alu instid0(VALU_DEP_1)
	v_pk_add_f32 v[42:43], v[40:41], 0 neg_lo:[1,1] neg_hi:[1,1]
	ds_store_b64 v53, v[42:43]
.LBB149_616:                            ;   in Loop: Header=BB149_3 Depth=1
	s_or_b32 exec_lo, exec_lo, s10
	s_wait_dscnt 0x0
	;; [unrolled: 35-line block ×3, first 2 shown]
	s_barrier_signal -1
	s_barrier_wait -1
	s_barrier_signal -1
	s_barrier_wait -1
	s_and_saveexec_b32 s10, s3
; %bb.621:                              ;   in Loop: Header=BB149_3 Depth=1
	ds_store_b64 v57, v[40:41] offset:16064
; %bb.622:                              ;   in Loop: Header=BB149_3 Depth=1
	s_or_b32 exec_lo, exec_lo, s10
	s_wait_dscnt 0x0
	s_barrier_signal -1
	s_barrier_wait -1
	s_barrier_signal -1
	s_barrier_wait -1
	s_and_saveexec_b32 s10, s100
	s_cbranch_execz .LBB149_624
; %bb.623:                              ;   in Loop: Header=BB149_3 Depth=1
	ds_load_b64 v[40:41], v5 offset:14528
	s_wait_dscnt 0x0
	ds_store_b64 v74, v[40:41] offset:12512
	ds_load_b64 v[40:41], v5 offset:14536
	s_wait_dscnt 0x0
	ds_store_b64 v74, v[40:41] offset:13024
	;; [unrolled: 3-line block ×4, first 2 shown]
.LBB149_624:                            ;   in Loop: Header=BB149_3 Depth=1
	s_or_b32 exec_lo, exec_lo, s10
	s_wait_dscnt 0x0
	s_barrier_signal -1
	s_barrier_wait -1
	s_and_saveexec_b32 s10, s15
	s_cbranch_execz .LBB149_626
; %bb.625:                              ;   in Loop: Header=BB149_3 Depth=1
	v_add_nc_u32_e64 v0, 0xd0, 0
	ds_load_b64 v[44:45], v1 offset:14040
	ds_load_2addr_stride64_b64 v[40:43], v0 offset0:26 offset1:27
	s_wait_dscnt 0x0
	v_dual_mul_f32 v46, v45, v41 :: v_dual_mul_f32 v0, v44, v41
	s_delay_alu instid0(VALU_DEP_1) | instskip(NEXT) | instid1(VALU_DEP_1)
	v_xor_b32_e32 v46, 0x80000000, v46
	v_dual_fmac_f32 v0, v45, v40 :: v_dual_fmac_f32 v46, v44, v40
	s_delay_alu instid0(VALU_DEP_1) | instskip(SKIP_1) | instid1(VALU_DEP_2)
	v_pk_mul_f32 v[40:41], v[0:1], v[42:43] op_sel:[0,1] op_sel_hi:[0,0]
	v_add_nc_u32_e64 v0, 0x3000, 0
	v_pk_fma_f32 v[44:45], v[46:47], v[42:43], v[40:41] op_sel_hi:[0,1,1]
	v_pk_fma_f32 v[40:41], v[46:47], v[42:43], v[40:41] neg_lo:[0,0,1] neg_hi:[0,0,1]
	s_delay_alu instid0(VALU_DEP_2)
	v_mov_b32_e32 v41, v45
	ds_store_2addr_b64 v0, v[40:41], v[40:41] offset0:155 offset1:218
.LBB149_626:                            ;   in Loop: Header=BB149_3 Depth=1
	s_or_b32 exec_lo, exec_lo, s10
	v_dual_mov_b32 v40, 0 :: v_dual_mov_b32 v41, 0
	s_wait_dscnt 0x0
	s_barrier_signal -1
	s_barrier_wait -1
	global_wb scope:SCOPE_DEV
	s_wait_storecnt 0x0
	global_inv scope:SCOPE_DEV
	s_and_saveexec_b32 s16, s1
	s_cbranch_execz .LBB149_630
; %bb.627:                              ;   in Loop: Header=BB149_3 Depth=1
	ds_load_b64 v[40:41], v50 offset:13504
	ds_load_b64 v[42:43], v51 offset:14032
	s_wait_dscnt 0x0
	v_pk_mul_f32 v[44:45], v[42:43], v[40:41] op_sel:[1,1] op_sel_hi:[0,1]
	s_delay_alu instid0(VALU_DEP_1) | instskip(SKIP_1) | instid1(VALU_DEP_2)
	v_pk_fma_f32 v[46:47], v[42:43], v[40:41], v[44:45] op_sel_hi:[1,0,1]
	v_pk_fma_f32 v[40:41], v[42:43], v[40:41], v[44:45] neg_lo:[0,0,1] neg_hi:[0,0,1]
	v_mov_b32_e32 v41, v47
	s_delay_alu instid0(VALU_DEP_1)
	v_pk_add_f32 v[40:41], v[40:41], 0 op_sel_hi:[1,0]
	s_and_saveexec_b32 s10, s17
	s_cbranch_execz .LBB149_629
; %bb.628:                              ;   in Loop: Header=BB149_3 Depth=1
	ds_load_b64 v[42:43], v74 offset:14016
	ds_load_b64 v[44:45], v1 offset:14040
	s_wait_dscnt 0x0
	v_pk_mul_f32 v[46:47], v[44:45], v[42:43] op_sel:[1,1] op_sel_hi:[0,1]
	s_delay_alu instid0(VALU_DEP_1) | instskip(SKIP_1) | instid1(VALU_DEP_2)
	v_pk_fma_f32 v[100:101], v[44:45], v[42:43], v[46:47] op_sel_hi:[1,0,1]
	v_pk_fma_f32 v[42:43], v[44:45], v[42:43], v[46:47] neg_lo:[0,0,1] neg_hi:[0,0,1]
	v_mov_b32_e32 v43, v101
	s_delay_alu instid0(VALU_DEP_1)
	v_pk_add_f32 v[40:41], v[40:41], v[42:43]
.LBB149_629:                            ;   in Loop: Header=BB149_3 Depth=1
	s_or_b32 exec_lo, exec_lo, s10
.LBB149_630:                            ;   in Loop: Header=BB149_3 Depth=1
	s_delay_alu instid0(SALU_CYCLE_1)
	s_or_b32 exec_lo, exec_lo, s16
	s_and_saveexec_b32 s10, s91
	s_cbranch_execz .LBB149_632
; %bb.631:                              ;   in Loop: Header=BB149_3 Depth=1
	ds_load_b64 v[42:43], v1 offset:13000
	s_wait_dscnt 0x0
	v_pk_mul_f32 v[44:45], v[40:41], v[42:43] op_sel:[1,1] op_sel_hi:[1,0]
	s_delay_alu instid0(VALU_DEP_1) | instskip(SKIP_1) | instid1(VALU_DEP_2)
	v_pk_fma_f32 v[46:47], v[40:41], v[42:43], v[44:45] op_sel_hi:[0,1,1]
	v_pk_fma_f32 v[40:41], v[40:41], v[42:43], v[44:45] neg_lo:[0,0,1] neg_hi:[0,0,1]
	v_mov_b32_e32 v41, v47
	s_delay_alu instid0(VALU_DEP_1)
	v_pk_add_f32 v[42:43], v[40:41], 0 neg_lo:[1,1] neg_hi:[1,1]
	ds_store_b64 v3, v[42:43]
.LBB149_632:                            ;   in Loop: Header=BB149_3 Depth=1
	s_or_b32 exec_lo, exec_lo, s10
	s_wait_loadcnt_dscnt 0x0
	s_barrier_signal -1
	s_barrier_wait -1
	s_and_saveexec_b32 s10, s92
	s_cbranch_execz .LBB149_634
; %bb.633:                              ;   in Loop: Header=BB149_3 Depth=1
	ds_load_b64 v[42:43], v1 offset:12992
	ds_load_b64 v[44:45], v3
	s_wait_dscnt 0x0
	v_pk_mul_f32 v[46:47], v[44:45], v[42:43] op_sel:[1,1] op_sel_hi:[0,1]
	s_delay_alu instid0(VALU_DEP_1) | instskip(SKIP_1) | instid1(VALU_DEP_2)
	v_pk_fma_f32 v[100:101], v[44:45], v[42:43], v[46:47] op_sel_hi:[1,0,1]
	v_pk_fma_f32 v[42:43], v[44:45], v[42:43], v[46:47] neg_lo:[0,0,1] neg_hi:[0,0,1]
	v_mov_b32_e32 v43, v101
	s_delay_alu instid0(VALU_DEP_1)
	v_pk_add_f32 v[40:41], v[40:41], v[42:43] neg_lo:[0,1] neg_hi:[0,1]
.LBB149_634:                            ;   in Loop: Header=BB149_3 Depth=1
	s_or_b32 exec_lo, exec_lo, s10
	s_barrier_signal -1
	s_barrier_wait -1
	s_and_saveexec_b32 s10, s92
	s_cbranch_execz .LBB149_636
; %bb.635:                              ;   in Loop: Header=BB149_3 Depth=1
	ds_load_b64 v[42:43], v1 offset:12480
	s_wait_dscnt 0x0
	v_pk_mul_f32 v[44:45], v[40:41], v[42:43] op_sel:[1,1] op_sel_hi:[1,0]
	s_delay_alu instid0(VALU_DEP_1) | instskip(SKIP_1) | instid1(VALU_DEP_2)
	v_pk_fma_f32 v[46:47], v[40:41], v[42:43], v[44:45] op_sel_hi:[0,1,1]
	v_pk_fma_f32 v[40:41], v[40:41], v[42:43], v[44:45] neg_lo:[0,0,1] neg_hi:[0,0,1]
	v_mov_b32_e32 v41, v47
	s_delay_alu instid0(VALU_DEP_1)
	v_pk_add_f32 v[42:43], v[40:41], 0 neg_lo:[1,1] neg_hi:[1,1]
	ds_store_b64 v3, v[42:43]
.LBB149_636:                            ;   in Loop: Header=BB149_3 Depth=1
	s_or_b32 exec_lo, exec_lo, s10
	s_wait_dscnt 0x0
	s_barrier_signal -1
	s_barrier_wait -1
	s_barrier_signal -1
	s_barrier_wait -1
	s_and_saveexec_b32 s10, s1
; %bb.637:                              ;   in Loop: Header=BB149_3 Depth=1
	ds_store_b64 v52, v[40:41] offset:14016
; %bb.638:                              ;   in Loop: Header=BB149_3 Depth=1
	s_or_b32 exec_lo, exec_lo, s10
	s_wait_dscnt 0x0
	s_barrier_signal -1
	s_barrier_wait -1
	s_barrier_signal -1
	s_barrier_wait -1
	s_and_saveexec_b32 s10, s93
	s_cbranch_execz .LBB149_640
; %bb.639:                              ;   in Loop: Header=BB149_3 Depth=1
	ds_load_b64 v[40:41], v75 offset:13504
	s_wait_dscnt 0x0
	ds_store_b64 v74, v[40:41] offset:12496
	ds_load_b64 v[40:41], v75 offset:13512
	s_wait_dscnt 0x0
	ds_store_b64 v74, v[40:41] offset:13008
.LBB149_640:                            ;   in Loop: Header=BB149_3 Depth=1
	s_or_b32 exec_lo, exec_lo, s10
	s_wait_dscnt 0x0
	s_barrier_signal -1
	s_barrier_wait -1
	s_and_saveexec_b32 s10, s15
	s_cbranch_execz .LBB149_642
; %bb.641:                              ;   in Loop: Header=BB149_3 Depth=1
	v_add_nc_u32_e64 v0, 0xc0, 0
	ds_load_b64 v[44:45], v1 offset:13000
	ds_load_2addr_stride64_b64 v[40:43], v0 offset0:24 offset1:25
	s_wait_dscnt 0x0
	v_dual_mul_f32 v46, v45, v41 :: v_dual_mul_f32 v0, v44, v41
	s_delay_alu instid0(VALU_DEP_1) | instskip(NEXT) | instid1(VALU_DEP_1)
	v_xor_b32_e32 v46, 0x80000000, v46
	v_dual_fmac_f32 v0, v45, v40 :: v_dual_fmac_f32 v46, v44, v40
	s_delay_alu instid0(VALU_DEP_1) | instskip(SKIP_1) | instid1(VALU_DEP_2)
	v_pk_mul_f32 v[40:41], v[0:1], v[42:43] op_sel:[0,1] op_sel_hi:[0,0]
	v_add_nc_u32_e64 v0, 0x3000, 0
	v_pk_fma_f32 v[44:45], v[46:47], v[42:43], v[40:41] op_sel_hi:[0,1,1]
	v_pk_fma_f32 v[40:41], v[46:47], v[42:43], v[40:41] neg_lo:[0,0,1] neg_hi:[0,0,1]
	s_delay_alu instid0(VALU_DEP_2)
	v_mov_b32_e32 v41, v45
	ds_store_2addr_b64 v0, v[40:41], v[40:41] offset0:25 offset1:88
.LBB149_642:                            ;   in Loop: Header=BB149_3 Depth=1
	s_or_b32 exec_lo, exec_lo, s10
	v_mov_b64_e32 v[40:41], 0
	s_wait_dscnt 0x0
	s_barrier_signal -1
	s_barrier_wait -1
	global_wb scope:SCOPE_DEV
	s_wait_storecnt 0x0
	global_inv scope:SCOPE_DEV
	s_and_saveexec_b32 s16, s4
	s_cbranch_execz .LBB149_652
; %bb.643:                              ;   in Loop: Header=BB149_3 Depth=1
	ds_load_b64 v[40:41], v59 offset:12416
	ds_load_b64 v[42:43], v60 offset:16064
	s_wait_dscnt 0x0
	v_dual_mul_f32 v0, v43, v41 :: v_dual_mul_f32 v41, v42, v41
	s_delay_alu instid0(VALU_DEP_1) | instskip(NEXT) | instid1(VALU_DEP_1)
	v_dual_fma_f32 v0, v42, v40, -v0 :: v_dual_fmac_f32 v41, v43, v40
	v_dual_add_f32 v40, 0, v0 :: v_dual_add_f32 v41, 0, v41
	s_and_saveexec_b32 s10, s20
	s_cbranch_execnz .LBB149_1138
; %bb.644:                              ;   in Loop: Header=BB149_3 Depth=1
	s_or_b32 exec_lo, exec_lo, s10
	s_and_saveexec_b32 s10, s21
	s_cbranch_execnz .LBB149_1139
.LBB149_645:                            ;   in Loop: Header=BB149_3 Depth=1
	s_or_b32 exec_lo, exec_lo, s10
	s_and_saveexec_b32 s10, s22
	s_cbranch_execnz .LBB149_1140
.LBB149_646:                            ;   in Loop: Header=BB149_3 Depth=1
	s_or_b32 exec_lo, exec_lo, s10
	s_and_saveexec_b32 s10, s23
	s_cbranch_execnz .LBB149_1141
.LBB149_647:                            ;   in Loop: Header=BB149_3 Depth=1
	s_or_b32 exec_lo, exec_lo, s10
	s_and_saveexec_b32 s10, s24
	s_cbranch_execnz .LBB149_1142
.LBB149_648:                            ;   in Loop: Header=BB149_3 Depth=1
	s_or_b32 exec_lo, exec_lo, s10
	s_and_saveexec_b32 s10, s3
	s_cbranch_execnz .LBB149_1143
.LBB149_649:                            ;   in Loop: Header=BB149_3 Depth=1
	s_or_b32 exec_lo, exec_lo, s10
	s_and_saveexec_b32 s10, s19
	s_cbranch_execz .LBB149_651
.LBB149_650:                            ;   in Loop: Header=BB149_3 Depth=1
	ds_load_b64 v[42:43], v76 offset:16000
	ds_load_b64 v[44:45], v1 offset:16120
	s_wait_dscnt 0x0
	v_dual_mul_f32 v0, v45, v43 :: v_dual_mul_f32 v47, v44, v43
	s_delay_alu instid0(VALU_DEP_1) | instskip(NEXT) | instid1(VALU_DEP_1)
	v_dual_fma_f32 v46, v44, v42, -v0 :: v_dual_fmac_f32 v47, v45, v42
	v_pk_add_f32 v[40:41], v[40:41], v[46:47]
.LBB149_651:                            ;   in Loop: Header=BB149_3 Depth=1
	s_or_b32 exec_lo, exec_lo, s10
.LBB149_652:                            ;   in Loop: Header=BB149_3 Depth=1
	s_delay_alu instid0(SALU_CYCLE_1)
	s_or_b32 exec_lo, exec_lo, s16
	s_and_saveexec_b32 s10, s101
	s_cbranch_execz .LBB149_654
; %bb.653:                              ;   in Loop: Header=BB149_3 Depth=1
	ds_load_b64 v[42:43], v1 offset:11960
	s_wait_dscnt 0x0
	v_pk_mul_f32 v[44:45], v[40:41], v[42:43] op_sel:[1,1] op_sel_hi:[1,0]
	s_delay_alu instid0(VALU_DEP_1) | instskip(SKIP_1) | instid1(VALU_DEP_2)
	v_pk_fma_f32 v[46:47], v[40:41], v[42:43], v[44:45] op_sel_hi:[0,1,1]
	v_pk_fma_f32 v[40:41], v[40:41], v[42:43], v[44:45] neg_lo:[0,0,1] neg_hi:[0,0,1]
	v_mov_b32_e32 v41, v47
	s_delay_alu instid0(VALU_DEP_1)
	v_pk_add_f32 v[42:43], v[40:41], 0 neg_lo:[1,1] neg_hi:[1,1]
	ds_store_b64 v58, v[42:43]
.LBB149_654:                            ;   in Loop: Header=BB149_3 Depth=1
	s_or_b32 exec_lo, exec_lo, s10
	s_wait_loadcnt_dscnt 0x0
	s_barrier_signal -1
	s_barrier_wait -1
	s_and_saveexec_b32 s10, s102
	s_cbranch_execz .LBB149_656
; %bb.655:                              ;   in Loop: Header=BB149_3 Depth=1
	ds_load_b64 v[42:43], v59 offset:11904
	ds_load_b64 v[44:45], v58
	s_wait_dscnt 0x0
	v_pk_mul_f32 v[46:47], v[44:45], v[42:43] op_sel:[1,1] op_sel_hi:[0,1]
	s_delay_alu instid0(VALU_DEP_1) | instskip(SKIP_1) | instid1(VALU_DEP_2)
	v_pk_fma_f32 v[100:101], v[44:45], v[42:43], v[46:47] op_sel_hi:[1,0,1]
	v_pk_fma_f32 v[42:43], v[44:45], v[42:43], v[46:47] neg_lo:[0,0,1] neg_hi:[0,0,1]
	v_mov_b32_e32 v43, v101
	s_delay_alu instid0(VALU_DEP_1)
	v_pk_add_f32 v[40:41], v[40:41], v[42:43] neg_lo:[0,1] neg_hi:[0,1]
.LBB149_656:                            ;   in Loop: Header=BB149_3 Depth=1
	s_or_b32 exec_lo, exec_lo, s10
	s_barrier_signal -1
	s_barrier_wait -1
	s_and_saveexec_b32 s10, s103
	s_cbranch_execz .LBB149_658
; %bb.657:                              ;   in Loop: Header=BB149_3 Depth=1
	ds_load_b64 v[42:43], v1 offset:11440
	s_wait_dscnt 0x0
	v_pk_mul_f32 v[44:45], v[40:41], v[42:43] op_sel:[1,1] op_sel_hi:[1,0]
	s_delay_alu instid0(VALU_DEP_1) | instskip(SKIP_1) | instid1(VALU_DEP_2)
	v_pk_fma_f32 v[46:47], v[40:41], v[42:43], v[44:45] op_sel_hi:[0,1,1]
	v_pk_fma_f32 v[40:41], v[40:41], v[42:43], v[44:45] neg_lo:[0,0,1] neg_hi:[0,0,1]
	v_mov_b32_e32 v41, v47
	s_delay_alu instid0(VALU_DEP_1)
	v_pk_add_f32 v[42:43], v[40:41], 0 neg_lo:[1,1] neg_hi:[1,1]
	ds_store_b64 v58, v[42:43]
.LBB149_658:                            ;   in Loop: Header=BB149_3 Depth=1
	s_or_b32 exec_lo, exec_lo, s10
	s_wait_dscnt 0x0
	s_barrier_signal -1
	s_barrier_wait -1
	s_and_saveexec_b32 s10, s104
	s_cbranch_execz .LBB149_660
; %bb.659:                              ;   in Loop: Header=BB149_3 Depth=1
	ds_load_b64 v[42:43], v59 offset:11392
	ds_load_b64 v[44:45], v58
	s_wait_dscnt 0x0
	v_pk_mul_f32 v[46:47], v[44:45], v[42:43] op_sel:[1,1] op_sel_hi:[0,1]
	s_delay_alu instid0(VALU_DEP_1) | instskip(SKIP_1) | instid1(VALU_DEP_2)
	v_pk_fma_f32 v[100:101], v[44:45], v[42:43], v[46:47] op_sel_hi:[1,0,1]
	v_pk_fma_f32 v[42:43], v[44:45], v[42:43], v[46:47] neg_lo:[0,0,1] neg_hi:[0,0,1]
	v_mov_b32_e32 v43, v101
	s_delay_alu instid0(VALU_DEP_1)
	v_pk_add_f32 v[40:41], v[40:41], v[42:43] neg_lo:[0,1] neg_hi:[0,1]
.LBB149_660:                            ;   in Loop: Header=BB149_3 Depth=1
	s_or_b32 exec_lo, exec_lo, s10
	s_barrier_signal -1
	s_barrier_wait -1
	s_and_saveexec_b32 s10, vcc_hi
	s_cbranch_execz .LBB149_662
; %bb.661:                              ;   in Loop: Header=BB149_3 Depth=1
	ds_load_b64 v[42:43], v1 offset:10920
	s_wait_dscnt 0x0
	v_pk_mul_f32 v[44:45], v[40:41], v[42:43] op_sel:[1,1] op_sel_hi:[1,0]
	s_delay_alu instid0(VALU_DEP_1) | instskip(SKIP_1) | instid1(VALU_DEP_2)
	v_pk_fma_f32 v[46:47], v[40:41], v[42:43], v[44:45] op_sel_hi:[0,1,1]
	v_pk_fma_f32 v[40:41], v[40:41], v[42:43], v[44:45] neg_lo:[0,0,1] neg_hi:[0,0,1]
	v_mov_b32_e32 v41, v47
	s_delay_alu instid0(VALU_DEP_1)
	v_pk_add_f32 v[42:43], v[40:41], 0 neg_lo:[1,1] neg_hi:[1,1]
	ds_store_b64 v58, v[42:43]
.LBB149_662:                            ;   in Loop: Header=BB149_3 Depth=1
	s_or_b32 exec_lo, exec_lo, s10
	s_wait_dscnt 0x0
	s_barrier_signal -1
	s_barrier_wait -1
	s_and_saveexec_b32 s10, s40
	s_cbranch_execz .LBB149_664
; %bb.663:                              ;   in Loop: Header=BB149_3 Depth=1
	ds_load_b64 v[42:43], v59 offset:10880
	ds_load_b64 v[44:45], v58
	s_wait_dscnt 0x0
	v_pk_mul_f32 v[46:47], v[44:45], v[42:43] op_sel:[1,1] op_sel_hi:[0,1]
	s_delay_alu instid0(VALU_DEP_1) | instskip(SKIP_1) | instid1(VALU_DEP_2)
	v_pk_fma_f32 v[100:101], v[44:45], v[42:43], v[46:47] op_sel_hi:[1,0,1]
	v_pk_fma_f32 v[42:43], v[44:45], v[42:43], v[46:47] neg_lo:[0,0,1] neg_hi:[0,0,1]
	v_mov_b32_e32 v43, v101
	s_delay_alu instid0(VALU_DEP_1)
	v_pk_add_f32 v[40:41], v[40:41], v[42:43] neg_lo:[0,1] neg_hi:[0,1]
.LBB149_664:                            ;   in Loop: Header=BB149_3 Depth=1
	s_or_b32 exec_lo, exec_lo, s10
	s_barrier_signal -1
	s_barrier_wait -1
	s_and_saveexec_b32 s10, s41
	s_cbranch_execz .LBB149_666
; %bb.665:                              ;   in Loop: Header=BB149_3 Depth=1
	ds_load_b64 v[42:43], v1 offset:10400
	s_wait_dscnt 0x0
	v_pk_mul_f32 v[44:45], v[40:41], v[42:43]
	v_pk_mul_f32 v[40:41], v[40:41], v[42:43] op_sel:[1,0] op_sel_hi:[0,1]
	s_delay_alu instid0(VALU_DEP_1) | instskip(NEXT) | instid1(VALU_DEP_3)
	v_dual_mov_b32 v42, v44 :: v_dual_mov_b32 v43, v40
	v_mov_b32_e32 v40, v45
	s_delay_alu instid0(VALU_DEP_1) | instskip(SKIP_1) | instid1(VALU_DEP_2)
	v_pk_add_f32 v[44:45], v[42:43], v[40:41]
	v_pk_add_f32 v[40:41], v[42:43], v[40:41] neg_lo:[0,1] neg_hi:[0,1]
	v_mov_b32_e32 v41, v45
	s_delay_alu instid0(VALU_DEP_1)
	v_pk_add_f32 v[42:43], v[40:41], 0 neg_lo:[1,1] neg_hi:[1,1]
	ds_store_b64 v58, v[42:43]
.LBB149_666:                            ;   in Loop: Header=BB149_3 Depth=1
	s_or_b32 exec_lo, exec_lo, s10
	s_wait_dscnt 0x0
	s_barrier_signal -1
	s_barrier_wait -1
	s_and_saveexec_b32 s10, s42
	s_cbranch_execz .LBB149_668
; %bb.667:                              ;   in Loop: Header=BB149_3 Depth=1
	ds_load_b64 v[42:43], v59 offset:10368
	ds_load_b64 v[44:45], v58
	s_wait_dscnt 0x0
	v_dual_mul_f32 v0, v45, v43 :: v_dual_mul_f32 v43, v44, v43
	s_delay_alu instid0(VALU_DEP_1) | instskip(NEXT) | instid1(VALU_DEP_1)
	v_dual_fma_f32 v0, v44, v42, -v0 :: v_dual_fmac_f32 v43, v45, v42
	v_dual_sub_f32 v40, v40, v0 :: v_dual_sub_f32 v41, v41, v43
.LBB149_668:                            ;   in Loop: Header=BB149_3 Depth=1
	s_or_b32 exec_lo, exec_lo, s10
	s_barrier_signal -1
	s_barrier_wait -1
	s_and_saveexec_b32 s10, s43
	s_cbranch_execz .LBB149_670
; %bb.669:                              ;   in Loop: Header=BB149_3 Depth=1
	ds_load_b64 v[42:43], v1 offset:9880
	s_wait_dscnt 0x0
	v_dual_mul_f32 v0, v41, v42 :: v_dual_mul_f32 v44, v41, v43
	s_delay_alu instid0(VALU_DEP_1) | instskip(NEXT) | instid1(VALU_DEP_2)
	v_pk_fma_f32 v[46:47], v[40:41], v[42:43], v[0:1] op_sel:[1,0,0] op_sel_hi:[0,1,0]
	v_pk_fma_f32 v[40:41], v[40:41], v[42:43], v[44:45] op_sel_hi:[1,1,0] neg_lo:[0,0,1] neg_hi:[0,0,1]
	s_delay_alu instid0(VALU_DEP_2) | instskip(NEXT) | instid1(VALU_DEP_1)
	v_mov_b32_e32 v41, v47
	v_pk_add_f32 v[42:43], v[40:41], 0 neg_lo:[1,1] neg_hi:[1,1]
	ds_store_b64 v58, v[42:43]
.LBB149_670:                            ;   in Loop: Header=BB149_3 Depth=1
	s_or_b32 exec_lo, exec_lo, s10
	s_wait_dscnt 0x0
	s_barrier_signal -1
	s_barrier_wait -1
	s_and_saveexec_b32 s10, s44
	s_cbranch_execz .LBB149_672
; %bb.671:                              ;   in Loop: Header=BB149_3 Depth=1
	ds_load_b64 v[42:43], v59 offset:9856
	ds_load_b64 v[44:45], v58
	s_wait_dscnt 0x0
	v_pk_mul_f32 v[46:47], v[44:45], v[42:43] op_sel:[1,1] op_sel_hi:[0,1]
	s_delay_alu instid0(VALU_DEP_1) | instskip(SKIP_1) | instid1(VALU_DEP_2)
	v_pk_fma_f32 v[100:101], v[44:45], v[42:43], v[46:47] op_sel_hi:[1,0,1]
	v_pk_fma_f32 v[42:43], v[44:45], v[42:43], v[46:47] neg_lo:[0,0,1] neg_hi:[0,0,1]
	v_mov_b32_e32 v43, v101
	s_delay_alu instid0(VALU_DEP_1)
	v_pk_add_f32 v[40:41], v[40:41], v[42:43] neg_lo:[0,1] neg_hi:[0,1]
.LBB149_672:                            ;   in Loop: Header=BB149_3 Depth=1
	s_or_b32 exec_lo, exec_lo, s10
	s_barrier_signal -1
	s_barrier_wait -1
	s_and_saveexec_b32 s10, s45
	s_cbranch_execz .LBB149_674
; %bb.673:                              ;   in Loop: Header=BB149_3 Depth=1
	ds_load_b64 v[42:43], v1 offset:9360
	s_wait_dscnt 0x0
	v_pk_mul_f32 v[44:45], v[40:41], v[42:43] op_sel:[1,1] op_sel_hi:[1,0]
	s_delay_alu instid0(VALU_DEP_1) | instskip(SKIP_1) | instid1(VALU_DEP_2)
	v_pk_fma_f32 v[46:47], v[40:41], v[42:43], v[44:45] op_sel_hi:[0,1,1]
	v_pk_fma_f32 v[40:41], v[40:41], v[42:43], v[44:45] neg_lo:[0,0,1] neg_hi:[0,0,1]
	v_mov_b32_e32 v41, v47
	s_delay_alu instid0(VALU_DEP_1)
	v_pk_add_f32 v[42:43], v[40:41], 0 neg_lo:[1,1] neg_hi:[1,1]
	ds_store_b64 v58, v[42:43]
.LBB149_674:                            ;   in Loop: Header=BB149_3 Depth=1
	s_or_b32 exec_lo, exec_lo, s10
	s_wait_dscnt 0x0
	s_barrier_signal -1
	s_barrier_wait -1
	s_and_saveexec_b32 s10, s46
	s_cbranch_execz .LBB149_676
; %bb.675:                              ;   in Loop: Header=BB149_3 Depth=1
	ds_load_b64 v[42:43], v59 offset:9344
	ds_load_b64 v[44:45], v58
	s_wait_dscnt 0x0
	v_pk_mul_f32 v[46:47], v[44:45], v[42:43] op_sel:[1,1] op_sel_hi:[0,1]
	s_delay_alu instid0(VALU_DEP_1) | instskip(SKIP_1) | instid1(VALU_DEP_2)
	v_pk_fma_f32 v[100:101], v[44:45], v[42:43], v[46:47] op_sel_hi:[1,0,1]
	v_pk_fma_f32 v[42:43], v[44:45], v[42:43], v[46:47] neg_lo:[0,0,1] neg_hi:[0,0,1]
	v_mov_b32_e32 v43, v101
	s_delay_alu instid0(VALU_DEP_1)
	v_pk_add_f32 v[40:41], v[40:41], v[42:43] neg_lo:[0,1] neg_hi:[0,1]
.LBB149_676:                            ;   in Loop: Header=BB149_3 Depth=1
	s_or_b32 exec_lo, exec_lo, s10
	s_barrier_signal -1
	s_barrier_wait -1
	s_and_saveexec_b32 s10, s47
	s_cbranch_execz .LBB149_678
; %bb.677:                              ;   in Loop: Header=BB149_3 Depth=1
	ds_load_b64 v[42:43], v1 offset:8840
	s_wait_dscnt 0x0
	v_pk_mul_f32 v[44:45], v[40:41], v[42:43] op_sel:[1,1] op_sel_hi:[1,0]
	s_delay_alu instid0(VALU_DEP_1) | instskip(SKIP_1) | instid1(VALU_DEP_2)
	v_pk_fma_f32 v[46:47], v[40:41], v[42:43], v[44:45] op_sel_hi:[0,1,1]
	v_pk_fma_f32 v[40:41], v[40:41], v[42:43], v[44:45] neg_lo:[0,0,1] neg_hi:[0,0,1]
	v_mov_b32_e32 v41, v47
	s_delay_alu instid0(VALU_DEP_1)
	v_pk_add_f32 v[42:43], v[40:41], 0 neg_lo:[1,1] neg_hi:[1,1]
	ds_store_b64 v58, v[42:43]
.LBB149_678:                            ;   in Loop: Header=BB149_3 Depth=1
	;; [unrolled: 35-line block ×3, first 2 shown]
	s_or_b32 exec_lo, exec_lo, s10
	s_wait_dscnt 0x0
	s_barrier_signal -1
	s_barrier_wait -1
	s_barrier_signal -1
	s_barrier_wait -1
	s_and_saveexec_b32 s10, s4
; %bb.683:                              ;   in Loop: Header=BB149_3 Depth=1
	ds_store_b64 v61, v[40:41] offset:16000
; %bb.684:                              ;   in Loop: Header=BB149_3 Depth=1
	s_or_b32 exec_lo, exec_lo, s10
	s_wait_dscnt 0x0
	s_barrier_signal -1
	s_barrier_wait -1
	s_barrier_signal -1
	s_barrier_wait -1
	s_and_saveexec_b32 s10, s49
	s_cbranch_execz .LBB149_686
; %bb.685:                              ;   in Loop: Header=BB149_3 Depth=1
	ds_load_b64 v[40:41], v78 offset:12416
	s_wait_dscnt 0x0
	ds_store_b64 v79, v[40:41] offset:8384
	ds_load_b64 v[40:41], v78 offset:12424
	s_wait_dscnt 0x0
	ds_store_b64 v79, v[40:41] offset:8896
	;; [unrolled: 3-line block ×8, first 2 shown]
.LBB149_686:                            ;   in Loop: Header=BB149_3 Depth=1
	s_or_b32 exec_lo, exec_lo, s10
	s_wait_dscnt 0x0
	s_barrier_signal -1
	s_barrier_wait -1
	s_and_saveexec_b32 s10, s15
	s_cbranch_execz .LBB149_688
; %bb.687:                              ;   in Loop: Header=BB149_3 Depth=1
	v_add_nc_u32_e64 v0, 0xb0, 0
	ds_load_b64 v[44:45], v1 offset:11960
	ds_load_2addr_stride64_b64 v[40:43], v0 offset0:22 offset1:23
	s_wait_dscnt 0x0
	v_dual_mul_f32 v46, v45, v41 :: v_dual_mul_f32 v0, v44, v41
	s_delay_alu instid0(VALU_DEP_1) | instskip(NEXT) | instid1(VALU_DEP_1)
	v_xor_b32_e32 v46, 0x80000000, v46
	v_dual_fmac_f32 v0, v45, v40 :: v_dual_fmac_f32 v46, v44, v40
	s_delay_alu instid0(VALU_DEP_1) | instskip(SKIP_1) | instid1(VALU_DEP_2)
	v_pk_mul_f32 v[40:41], v[0:1], v[42:43] op_sel:[0,1] op_sel_hi:[0,0]
	v_add_nc_u32_e64 v0, 0x2800, 0
	v_pk_fma_f32 v[44:45], v[46:47], v[42:43], v[40:41] op_sel_hi:[0,1,1]
	v_pk_fma_f32 v[40:41], v[46:47], v[42:43], v[40:41] neg_lo:[0,0,1] neg_hi:[0,0,1]
	s_delay_alu instid0(VALU_DEP_2)
	v_mov_b32_e32 v41, v45
	ds_store_2addr_b64 v0, v[40:41], v[40:41] offset0:151 offset1:214
.LBB149_688:                            ;   in Loop: Header=BB149_3 Depth=1
	s_or_b32 exec_lo, exec_lo, s10
	v_dual_mov_b32 v40, 0 :: v_dual_mov_b32 v41, 0
	s_wait_dscnt 0x0
	s_barrier_signal -1
	s_barrier_wait -1
	global_wb scope:SCOPE_DEV
	s_wait_storecnt 0x0
	global_inv scope:SCOPE_DEV
	s_and_saveexec_b32 s16, s1
	s_cbranch_execz .LBB149_692
; %bb.689:                              ;   in Loop: Header=BB149_3 Depth=1
	ds_load_b64 v[40:41], v50 offset:11424
	ds_load_b64 v[42:43], v51 offset:11952
	s_wait_dscnt 0x0
	v_pk_mul_f32 v[44:45], v[42:43], v[40:41] op_sel:[1,1] op_sel_hi:[0,1]
	s_delay_alu instid0(VALU_DEP_1) | instskip(SKIP_1) | instid1(VALU_DEP_2)
	v_pk_fma_f32 v[46:47], v[42:43], v[40:41], v[44:45] op_sel_hi:[1,0,1]
	v_pk_fma_f32 v[40:41], v[42:43], v[40:41], v[44:45] neg_lo:[0,0,1] neg_hi:[0,0,1]
	v_mov_b32_e32 v41, v47
	s_delay_alu instid0(VALU_DEP_1)
	v_pk_add_f32 v[40:41], v[40:41], 0 op_sel_hi:[1,0]
	s_and_saveexec_b32 s10, s17
	s_cbranch_execz .LBB149_691
; %bb.690:                              ;   in Loop: Header=BB149_3 Depth=1
	ds_load_b64 v[42:43], v79 offset:11936
	ds_load_b64 v[44:45], v1 offset:11960
	s_wait_dscnt 0x0
	v_pk_mul_f32 v[46:47], v[44:45], v[42:43] op_sel:[1,1] op_sel_hi:[0,1]
	s_delay_alu instid0(VALU_DEP_1) | instskip(SKIP_1) | instid1(VALU_DEP_2)
	v_pk_fma_f32 v[100:101], v[44:45], v[42:43], v[46:47] op_sel_hi:[1,0,1]
	v_pk_fma_f32 v[42:43], v[44:45], v[42:43], v[46:47] neg_lo:[0,0,1] neg_hi:[0,0,1]
	v_mov_b32_e32 v43, v101
	s_delay_alu instid0(VALU_DEP_1)
	v_pk_add_f32 v[40:41], v[40:41], v[42:43]
.LBB149_691:                            ;   in Loop: Header=BB149_3 Depth=1
	s_or_b32 exec_lo, exec_lo, s10
.LBB149_692:                            ;   in Loop: Header=BB149_3 Depth=1
	s_delay_alu instid0(SALU_CYCLE_1)
	s_or_b32 exec_lo, exec_lo, s16
	s_and_saveexec_b32 s10, s91
	s_cbranch_execz .LBB149_694
; %bb.693:                              ;   in Loop: Header=BB149_3 Depth=1
	ds_load_b64 v[42:43], v1 offset:10920
	s_wait_dscnt 0x0
	v_pk_mul_f32 v[44:45], v[40:41], v[42:43] op_sel:[1,1] op_sel_hi:[1,0]
	s_delay_alu instid0(VALU_DEP_1) | instskip(SKIP_1) | instid1(VALU_DEP_2)
	v_pk_fma_f32 v[46:47], v[40:41], v[42:43], v[44:45] op_sel_hi:[0,1,1]
	v_pk_fma_f32 v[40:41], v[40:41], v[42:43], v[44:45] neg_lo:[0,0,1] neg_hi:[0,0,1]
	v_mov_b32_e32 v41, v47
	s_delay_alu instid0(VALU_DEP_1)
	v_pk_add_f32 v[42:43], v[40:41], 0 neg_lo:[1,1] neg_hi:[1,1]
	ds_store_b64 v3, v[42:43]
.LBB149_694:                            ;   in Loop: Header=BB149_3 Depth=1
	s_or_b32 exec_lo, exec_lo, s10
	s_wait_loadcnt_dscnt 0x0
	s_barrier_signal -1
	s_barrier_wait -1
	s_and_saveexec_b32 s10, s92
	s_cbranch_execz .LBB149_696
; %bb.695:                              ;   in Loop: Header=BB149_3 Depth=1
	ds_load_b64 v[42:43], v1 offset:10912
	ds_load_b64 v[44:45], v3
	s_wait_dscnt 0x0
	v_pk_mul_f32 v[46:47], v[44:45], v[42:43] op_sel:[1,1] op_sel_hi:[0,1]
	s_delay_alu instid0(VALU_DEP_1) | instskip(SKIP_1) | instid1(VALU_DEP_2)
	v_pk_fma_f32 v[100:101], v[44:45], v[42:43], v[46:47] op_sel_hi:[1,0,1]
	v_pk_fma_f32 v[42:43], v[44:45], v[42:43], v[46:47] neg_lo:[0,0,1] neg_hi:[0,0,1]
	v_mov_b32_e32 v43, v101
	s_delay_alu instid0(VALU_DEP_1)
	v_pk_add_f32 v[40:41], v[40:41], v[42:43] neg_lo:[0,1] neg_hi:[0,1]
.LBB149_696:                            ;   in Loop: Header=BB149_3 Depth=1
	s_or_b32 exec_lo, exec_lo, s10
	s_barrier_signal -1
	s_barrier_wait -1
	s_and_saveexec_b32 s10, s92
	s_cbranch_execz .LBB149_698
; %bb.697:                              ;   in Loop: Header=BB149_3 Depth=1
	ds_load_b64 v[42:43], v1 offset:10400
	s_wait_dscnt 0x0
	v_pk_mul_f32 v[44:45], v[40:41], v[42:43] op_sel:[1,1] op_sel_hi:[1,0]
	s_delay_alu instid0(VALU_DEP_1) | instskip(SKIP_1) | instid1(VALU_DEP_2)
	v_pk_fma_f32 v[46:47], v[40:41], v[42:43], v[44:45] op_sel_hi:[0,1,1]
	v_pk_fma_f32 v[40:41], v[40:41], v[42:43], v[44:45] neg_lo:[0,0,1] neg_hi:[0,0,1]
	v_mov_b32_e32 v41, v47
	s_delay_alu instid0(VALU_DEP_1)
	v_pk_add_f32 v[42:43], v[40:41], 0 neg_lo:[1,1] neg_hi:[1,1]
	ds_store_b64 v3, v[42:43]
.LBB149_698:                            ;   in Loop: Header=BB149_3 Depth=1
	s_or_b32 exec_lo, exec_lo, s10
	s_wait_dscnt 0x0
	s_barrier_signal -1
	s_barrier_wait -1
	s_barrier_signal -1
	s_barrier_wait -1
	s_and_saveexec_b32 s10, s1
; %bb.699:                              ;   in Loop: Header=BB149_3 Depth=1
	ds_store_b64 v52, v[40:41] offset:11936
; %bb.700:                              ;   in Loop: Header=BB149_3 Depth=1
	s_or_b32 exec_lo, exec_lo, s10
	s_wait_dscnt 0x0
	s_barrier_signal -1
	s_barrier_wait -1
	s_barrier_signal -1
	s_barrier_wait -1
	s_and_saveexec_b32 s10, s93
	s_cbranch_execz .LBB149_702
; %bb.701:                              ;   in Loop: Header=BB149_3 Depth=1
	ds_load_b64 v[40:41], v81 offset:11424
	s_wait_dscnt 0x0
	ds_store_b64 v79, v[40:41] offset:10416
	ds_load_b64 v[40:41], v81 offset:11432
	s_wait_dscnt 0x0
	ds_store_b64 v79, v[40:41] offset:10928
.LBB149_702:                            ;   in Loop: Header=BB149_3 Depth=1
	s_or_b32 exec_lo, exec_lo, s10
	s_wait_dscnt 0x0
	s_barrier_signal -1
	s_barrier_wait -1
	s_and_saveexec_b32 s10, s15
	s_cbranch_execz .LBB149_704
; %bb.703:                              ;   in Loop: Header=BB149_3 Depth=1
	v_add_nc_u32_e64 v0, 0xa0, 0
	ds_load_b64 v[44:45], v1 offset:10920
	ds_load_2addr_stride64_b64 v[40:43], v0 offset0:20 offset1:21
	s_wait_dscnt 0x0
	v_dual_mul_f32 v46, v45, v41 :: v_dual_mul_f32 v0, v44, v41
	s_delay_alu instid0(VALU_DEP_1) | instskip(NEXT) | instid1(VALU_DEP_1)
	v_xor_b32_e32 v46, 0x80000000, v46
	v_dual_fmac_f32 v0, v45, v40 :: v_dual_fmac_f32 v46, v44, v40
	s_delay_alu instid0(VALU_DEP_1) | instskip(SKIP_1) | instid1(VALU_DEP_2)
	v_pk_mul_f32 v[40:41], v[0:1], v[42:43] op_sel:[0,1] op_sel_hi:[0,0]
	v_add_nc_u32_e64 v0, 0x2800, 0
	v_pk_fma_f32 v[44:45], v[46:47], v[42:43], v[40:41] op_sel_hi:[0,1,1]
	v_pk_fma_f32 v[40:41], v[46:47], v[42:43], v[40:41] neg_lo:[0,0,1] neg_hi:[0,0,1]
	s_delay_alu instid0(VALU_DEP_2)
	v_mov_b32_e32 v41, v45
	ds_store_2addr_b64 v0, v[40:41], v[40:41] offset0:21 offset1:84
.LBB149_704:                            ;   in Loop: Header=BB149_3 Depth=1
	s_or_b32 exec_lo, exec_lo, s10
	v_mov_b64_e32 v[40:41], 0
	s_wait_dscnt 0x0
	s_barrier_signal -1
	s_barrier_wait -1
	global_wb scope:SCOPE_DEV
	s_wait_storecnt 0x0
	global_inv scope:SCOPE_DEV
	s_and_saveexec_b32 s16, s3
	s_cbranch_execz .LBB149_710
; %bb.705:                              ;   in Loop: Header=BB149_3 Depth=1
	ds_load_b64 v[40:41], v54 offset:10368
	ds_load_b64 v[42:43], v55 offset:11936
	s_wait_dscnt 0x0
	v_dual_mul_f32 v0, v43, v41 :: v_dual_mul_f32 v41, v42, v41
	s_delay_alu instid0(VALU_DEP_1) | instskip(NEXT) | instid1(VALU_DEP_1)
	v_dual_fma_f32 v0, v42, v40, -v0 :: v_dual_fmac_f32 v41, v43, v40
	v_dual_add_f32 v40, 0, v0 :: v_dual_add_f32 v41, 0, v41
	s_and_saveexec_b32 s10, s18
	s_cbranch_execnz .LBB149_1144
; %bb.706:                              ;   in Loop: Header=BB149_3 Depth=1
	s_or_b32 exec_lo, exec_lo, s10
	s_and_saveexec_b32 s10, s19
	s_cbranch_execnz .LBB149_1145
.LBB149_707:                            ;   in Loop: Header=BB149_3 Depth=1
	s_or_b32 exec_lo, exec_lo, s10
	s_and_saveexec_b32 s10, s1
	s_cbranch_execz .LBB149_709
.LBB149_708:                            ;   in Loop: Header=BB149_3 Depth=1
	ds_load_b64 v[42:43], v83 offset:11904
	ds_load_b64 v[44:45], v1 offset:11960
	s_wait_dscnt 0x0
	v_dual_mul_f32 v0, v45, v43 :: v_dual_mul_f32 v43, v44, v43
	s_delay_alu instid0(VALU_DEP_1) | instskip(NEXT) | instid1(VALU_DEP_1)
	v_dual_fma_f32 v0, v44, v42, -v0 :: v_dual_fmac_f32 v43, v45, v42
	v_dual_add_f32 v40, v40, v0 :: v_dual_add_f32 v41, v41, v43
.LBB149_709:                            ;   in Loop: Header=BB149_3 Depth=1
	s_or_b32 exec_lo, exec_lo, s10
.LBB149_710:                            ;   in Loop: Header=BB149_3 Depth=1
	s_delay_alu instid0(SALU_CYCLE_1)
	s_or_b32 exec_lo, exec_lo, s16
	s_and_saveexec_b32 s10, s94
	s_cbranch_execz .LBB149_712
; %bb.711:                              ;   in Loop: Header=BB149_3 Depth=1
	ds_load_b64 v[42:43], v1 offset:9880
	s_wait_dscnt 0x0
	v_dual_mul_f32 v0, v41, v42 :: v_dual_mul_f32 v44, v41, v43
	s_delay_alu instid0(VALU_DEP_1) | instskip(NEXT) | instid1(VALU_DEP_2)
	v_pk_fma_f32 v[46:47], v[40:41], v[42:43], v[0:1] op_sel:[1,0,0] op_sel_hi:[0,1,0]
	v_pk_fma_f32 v[40:41], v[40:41], v[42:43], v[44:45] op_sel_hi:[1,1,0] neg_lo:[0,0,1] neg_hi:[0,0,1]
	s_delay_alu instid0(VALU_DEP_2) | instskip(NEXT) | instid1(VALU_DEP_1)
	v_mov_b32_e32 v41, v47
	v_pk_add_f32 v[42:43], v[40:41], 0 neg_lo:[1,1] neg_hi:[1,1]
	ds_store_b64 v53, v[42:43]
.LBB149_712:                            ;   in Loop: Header=BB149_3 Depth=1
	s_or_b32 exec_lo, exec_lo, s10
	s_wait_loadcnt_dscnt 0x0
	s_barrier_signal -1
	s_barrier_wait -1
	s_and_saveexec_b32 s10, s95
	s_cbranch_execz .LBB149_714
; %bb.713:                              ;   in Loop: Header=BB149_3 Depth=1
	ds_load_b64 v[42:43], v54 offset:9856
	ds_load_b64 v[44:45], v53
	s_wait_dscnt 0x0
	v_pk_mul_f32 v[46:47], v[44:45], v[42:43] op_sel:[1,1] op_sel_hi:[0,1]
	s_delay_alu instid0(VALU_DEP_1) | instskip(SKIP_1) | instid1(VALU_DEP_2)
	v_pk_fma_f32 v[100:101], v[44:45], v[42:43], v[46:47] op_sel_hi:[1,0,1]
	v_pk_fma_f32 v[42:43], v[44:45], v[42:43], v[46:47] neg_lo:[0,0,1] neg_hi:[0,0,1]
	v_mov_b32_e32 v43, v101
	s_delay_alu instid0(VALU_DEP_1)
	v_pk_add_f32 v[40:41], v[40:41], v[42:43] neg_lo:[0,1] neg_hi:[0,1]
.LBB149_714:                            ;   in Loop: Header=BB149_3 Depth=1
	s_or_b32 exec_lo, exec_lo, s10
	s_barrier_signal -1
	s_barrier_wait -1
	s_and_saveexec_b32 s10, s96
	s_cbranch_execz .LBB149_716
; %bb.715:                              ;   in Loop: Header=BB149_3 Depth=1
	ds_load_b64 v[42:43], v1 offset:9360
	s_wait_dscnt 0x0
	v_pk_mul_f32 v[44:45], v[40:41], v[42:43] op_sel:[1,1] op_sel_hi:[1,0]
	s_delay_alu instid0(VALU_DEP_1) | instskip(SKIP_1) | instid1(VALU_DEP_2)
	v_pk_fma_f32 v[46:47], v[40:41], v[42:43], v[44:45] op_sel_hi:[0,1,1]
	v_pk_fma_f32 v[40:41], v[40:41], v[42:43], v[44:45] neg_lo:[0,0,1] neg_hi:[0,0,1]
	v_mov_b32_e32 v41, v47
	s_delay_alu instid0(VALU_DEP_1)
	v_pk_add_f32 v[42:43], v[40:41], 0 neg_lo:[1,1] neg_hi:[1,1]
	ds_store_b64 v53, v[42:43]
.LBB149_716:                            ;   in Loop: Header=BB149_3 Depth=1
	s_or_b32 exec_lo, exec_lo, s10
	s_wait_dscnt 0x0
	s_barrier_signal -1
	s_barrier_wait -1
	s_and_saveexec_b32 s10, s97
	s_cbranch_execz .LBB149_718
; %bb.717:                              ;   in Loop: Header=BB149_3 Depth=1
	ds_load_b64 v[42:43], v54 offset:9344
	ds_load_b64 v[44:45], v53
	s_wait_dscnt 0x0
	v_pk_mul_f32 v[46:47], v[44:45], v[42:43] op_sel:[1,1] op_sel_hi:[0,1]
	s_delay_alu instid0(VALU_DEP_1) | instskip(SKIP_1) | instid1(VALU_DEP_2)
	v_pk_fma_f32 v[100:101], v[44:45], v[42:43], v[46:47] op_sel_hi:[1,0,1]
	v_pk_fma_f32 v[42:43], v[44:45], v[42:43], v[46:47] neg_lo:[0,0,1] neg_hi:[0,0,1]
	v_mov_b32_e32 v43, v101
	s_delay_alu instid0(VALU_DEP_1)
	v_pk_add_f32 v[40:41], v[40:41], v[42:43] neg_lo:[0,1] neg_hi:[0,1]
.LBB149_718:                            ;   in Loop: Header=BB149_3 Depth=1
	s_or_b32 exec_lo, exec_lo, s10
	s_barrier_signal -1
	s_barrier_wait -1
	s_and_saveexec_b32 s10, s98
	s_cbranch_execz .LBB149_720
; %bb.719:                              ;   in Loop: Header=BB149_3 Depth=1
	ds_load_b64 v[42:43], v1 offset:8840
	s_wait_dscnt 0x0
	v_pk_mul_f32 v[44:45], v[40:41], v[42:43] op_sel:[1,1] op_sel_hi:[1,0]
	s_delay_alu instid0(VALU_DEP_1) | instskip(SKIP_1) | instid1(VALU_DEP_2)
	v_pk_fma_f32 v[46:47], v[40:41], v[42:43], v[44:45] op_sel_hi:[0,1,1]
	v_pk_fma_f32 v[40:41], v[40:41], v[42:43], v[44:45] neg_lo:[0,0,1] neg_hi:[0,0,1]
	v_mov_b32_e32 v41, v47
	s_delay_alu instid0(VALU_DEP_1)
	v_pk_add_f32 v[42:43], v[40:41], 0 neg_lo:[1,1] neg_hi:[1,1]
	ds_store_b64 v53, v[42:43]
.LBB149_720:                            ;   in Loop: Header=BB149_3 Depth=1
	s_or_b32 exec_lo, exec_lo, s10
	s_wait_dscnt 0x0
	;; [unrolled: 35-line block ×3, first 2 shown]
	s_barrier_signal -1
	s_barrier_wait -1
	s_barrier_signal -1
	s_barrier_wait -1
	s_and_saveexec_b32 s10, s3
; %bb.725:                              ;   in Loop: Header=BB149_3 Depth=1
	ds_store_b64 v57, v[40:41] offset:11904
; %bb.726:                              ;   in Loop: Header=BB149_3 Depth=1
	s_or_b32 exec_lo, exec_lo, s10
	s_wait_dscnt 0x0
	s_barrier_signal -1
	s_barrier_wait -1
	s_barrier_signal -1
	s_barrier_wait -1
	s_and_saveexec_b32 s10, s100
	s_cbranch_execz .LBB149_728
; %bb.727:                              ;   in Loop: Header=BB149_3 Depth=1
	ds_load_b64 v[40:41], v84 offset:10368
	s_wait_dscnt 0x0
	ds_store_b64 v85, v[40:41] offset:8352
	ds_load_b64 v[40:41], v84 offset:10376
	s_wait_dscnt 0x0
	ds_store_b64 v85, v[40:41] offset:8864
	;; [unrolled: 3-line block ×4, first 2 shown]
.LBB149_728:                            ;   in Loop: Header=BB149_3 Depth=1
	s_or_b32 exec_lo, exec_lo, s10
	s_wait_dscnt 0x0
	s_barrier_signal -1
	s_barrier_wait -1
	s_and_saveexec_b32 s10, s15
	s_cbranch_execz .LBB149_730
; %bb.729:                              ;   in Loop: Header=BB149_3 Depth=1
	v_add_nc_u32_e64 v0, 0x90, 0
	ds_load_b64 v[44:45], v1 offset:9880
	ds_load_2addr_stride64_b64 v[40:43], v0 offset0:18 offset1:19
	s_wait_dscnt 0x0
	v_dual_mul_f32 v46, v45, v41 :: v_dual_mul_f32 v0, v44, v41
	s_delay_alu instid0(VALU_DEP_1) | instskip(NEXT) | instid1(VALU_DEP_1)
	v_xor_b32_e32 v46, 0x80000000, v46
	v_dual_fmac_f32 v0, v45, v40 :: v_dual_fmac_f32 v46, v44, v40
	s_delay_alu instid0(VALU_DEP_1) | instskip(SKIP_1) | instid1(VALU_DEP_2)
	v_pk_mul_f32 v[40:41], v[0:1], v[42:43] op_sel:[0,1] op_sel_hi:[0,0]
	v_add_nc_u32_e64 v0, 0x2000, 0
	v_pk_fma_f32 v[44:45], v[46:47], v[42:43], v[40:41] op_sel_hi:[0,1,1]
	v_pk_fma_f32 v[40:41], v[46:47], v[42:43], v[40:41] neg_lo:[0,0,1] neg_hi:[0,0,1]
	s_delay_alu instid0(VALU_DEP_2)
	v_mov_b32_e32 v41, v45
	ds_store_2addr_b64 v0, v[40:41], v[40:41] offset0:147 offset1:210
.LBB149_730:                            ;   in Loop: Header=BB149_3 Depth=1
	s_or_b32 exec_lo, exec_lo, s10
	v_dual_mov_b32 v40, 0 :: v_dual_mov_b32 v41, 0
	s_wait_dscnt 0x0
	s_barrier_signal -1
	s_barrier_wait -1
	global_wb scope:SCOPE_DEV
	s_wait_storecnt 0x0
	global_inv scope:SCOPE_DEV
	s_and_saveexec_b32 s16, s1
	s_cbranch_execz .LBB149_734
; %bb.731:                              ;   in Loop: Header=BB149_3 Depth=1
	ds_load_b64 v[40:41], v50 offset:9344
	ds_load_b64 v[42:43], v51 offset:9872
	s_wait_dscnt 0x0
	v_pk_mul_f32 v[44:45], v[42:43], v[40:41] op_sel:[1,1] op_sel_hi:[0,1]
	s_delay_alu instid0(VALU_DEP_1) | instskip(SKIP_1) | instid1(VALU_DEP_2)
	v_pk_fma_f32 v[46:47], v[42:43], v[40:41], v[44:45] op_sel_hi:[1,0,1]
	v_pk_fma_f32 v[40:41], v[42:43], v[40:41], v[44:45] neg_lo:[0,0,1] neg_hi:[0,0,1]
	v_mov_b32_e32 v41, v47
	s_delay_alu instid0(VALU_DEP_1)
	v_pk_add_f32 v[40:41], v[40:41], 0 op_sel_hi:[1,0]
	s_and_saveexec_b32 s10, s17
	s_cbranch_execz .LBB149_733
; %bb.732:                              ;   in Loop: Header=BB149_3 Depth=1
	ds_load_b64 v[42:43], v85 offset:9856
	ds_load_b64 v[44:45], v1 offset:9880
	s_wait_dscnt 0x0
	v_pk_mul_f32 v[46:47], v[44:45], v[42:43] op_sel:[1,1] op_sel_hi:[0,1]
	s_delay_alu instid0(VALU_DEP_1) | instskip(SKIP_1) | instid1(VALU_DEP_2)
	v_pk_fma_f32 v[100:101], v[44:45], v[42:43], v[46:47] op_sel_hi:[1,0,1]
	v_pk_fma_f32 v[42:43], v[44:45], v[42:43], v[46:47] neg_lo:[0,0,1] neg_hi:[0,0,1]
	v_mov_b32_e32 v43, v101
	s_delay_alu instid0(VALU_DEP_1)
	v_pk_add_f32 v[40:41], v[40:41], v[42:43]
.LBB149_733:                            ;   in Loop: Header=BB149_3 Depth=1
	s_or_b32 exec_lo, exec_lo, s10
.LBB149_734:                            ;   in Loop: Header=BB149_3 Depth=1
	s_delay_alu instid0(SALU_CYCLE_1)
	s_or_b32 exec_lo, exec_lo, s16
	s_and_saveexec_b32 s10, s91
	s_cbranch_execz .LBB149_736
; %bb.735:                              ;   in Loop: Header=BB149_3 Depth=1
	ds_load_b64 v[42:43], v1 offset:8840
	s_wait_dscnt 0x0
	v_pk_mul_f32 v[44:45], v[40:41], v[42:43] op_sel:[1,1] op_sel_hi:[1,0]
	s_delay_alu instid0(VALU_DEP_1) | instskip(SKIP_1) | instid1(VALU_DEP_2)
	v_pk_fma_f32 v[46:47], v[40:41], v[42:43], v[44:45] op_sel_hi:[0,1,1]
	v_pk_fma_f32 v[40:41], v[40:41], v[42:43], v[44:45] neg_lo:[0,0,1] neg_hi:[0,0,1]
	v_mov_b32_e32 v41, v47
	s_delay_alu instid0(VALU_DEP_1)
	v_pk_add_f32 v[42:43], v[40:41], 0 neg_lo:[1,1] neg_hi:[1,1]
	ds_store_b64 v3, v[42:43]
.LBB149_736:                            ;   in Loop: Header=BB149_3 Depth=1
	s_or_b32 exec_lo, exec_lo, s10
	s_wait_loadcnt_dscnt 0x0
	s_barrier_signal -1
	s_barrier_wait -1
	s_and_saveexec_b32 s10, s92
	s_cbranch_execz .LBB149_738
; %bb.737:                              ;   in Loop: Header=BB149_3 Depth=1
	ds_load_b64 v[42:43], v1 offset:8832
	ds_load_b64 v[44:45], v3
	s_wait_dscnt 0x0
	v_pk_mul_f32 v[46:47], v[44:45], v[42:43] op_sel:[1,1] op_sel_hi:[0,1]
	s_delay_alu instid0(VALU_DEP_1) | instskip(SKIP_1) | instid1(VALU_DEP_2)
	v_pk_fma_f32 v[100:101], v[44:45], v[42:43], v[46:47] op_sel_hi:[1,0,1]
	v_pk_fma_f32 v[42:43], v[44:45], v[42:43], v[46:47] neg_lo:[0,0,1] neg_hi:[0,0,1]
	v_mov_b32_e32 v43, v101
	s_delay_alu instid0(VALU_DEP_1)
	v_pk_add_f32 v[40:41], v[40:41], v[42:43] neg_lo:[0,1] neg_hi:[0,1]
.LBB149_738:                            ;   in Loop: Header=BB149_3 Depth=1
	s_or_b32 exec_lo, exec_lo, s10
	s_barrier_signal -1
	s_barrier_wait -1
	s_and_saveexec_b32 s10, s92
	s_cbranch_execz .LBB149_740
; %bb.739:                              ;   in Loop: Header=BB149_3 Depth=1
	ds_load_b64 v[42:43], v1 offset:8320
	s_wait_dscnt 0x0
	v_pk_mul_f32 v[44:45], v[40:41], v[42:43] op_sel:[1,1] op_sel_hi:[1,0]
	s_delay_alu instid0(VALU_DEP_1) | instskip(SKIP_1) | instid1(VALU_DEP_2)
	v_pk_fma_f32 v[46:47], v[40:41], v[42:43], v[44:45] op_sel_hi:[0,1,1]
	v_pk_fma_f32 v[40:41], v[40:41], v[42:43], v[44:45] neg_lo:[0,0,1] neg_hi:[0,0,1]
	v_mov_b32_e32 v41, v47
	s_delay_alu instid0(VALU_DEP_1)
	v_pk_add_f32 v[42:43], v[40:41], 0 neg_lo:[1,1] neg_hi:[1,1]
	ds_store_b64 v3, v[42:43]
.LBB149_740:                            ;   in Loop: Header=BB149_3 Depth=1
	s_or_b32 exec_lo, exec_lo, s10
	s_wait_dscnt 0x0
	s_barrier_signal -1
	s_barrier_wait -1
	s_barrier_signal -1
	s_barrier_wait -1
	s_and_saveexec_b32 s10, s1
; %bb.741:                              ;   in Loop: Header=BB149_3 Depth=1
	ds_store_b64 v52, v[40:41] offset:9856
; %bb.742:                              ;   in Loop: Header=BB149_3 Depth=1
	s_or_b32 exec_lo, exec_lo, s10
	s_wait_dscnt 0x0
	s_barrier_signal -1
	s_barrier_wait -1
	s_barrier_signal -1
	s_barrier_wait -1
	s_and_saveexec_b32 s10, s93
	s_cbranch_execz .LBB149_744
; %bb.743:                              ;   in Loop: Header=BB149_3 Depth=1
	ds_load_b64 v[40:41], v87 offset:9344
	s_wait_dscnt 0x0
	ds_store_b64 v85, v[40:41] offset:8336
	ds_load_b64 v[40:41], v87 offset:9352
	s_wait_dscnt 0x0
	ds_store_b64 v85, v[40:41] offset:8848
.LBB149_744:                            ;   in Loop: Header=BB149_3 Depth=1
	s_or_b32 exec_lo, exec_lo, s10
	s_wait_dscnt 0x0
	s_barrier_signal -1
	s_barrier_wait -1
	s_and_saveexec_b32 s10, s15
	s_cbranch_execz .LBB149_746
; %bb.745:                              ;   in Loop: Header=BB149_3 Depth=1
	v_add_nc_u32_e64 v0, 0x80, 0
	ds_load_b64 v[44:45], v1 offset:8840
	ds_load_2addr_stride64_b64 v[40:43], v0 offset0:16 offset1:17
	s_wait_dscnt 0x0
	v_dual_mul_f32 v46, v45, v41 :: v_dual_mul_f32 v0, v44, v41
	s_delay_alu instid0(VALU_DEP_1) | instskip(NEXT) | instid1(VALU_DEP_1)
	v_xor_b32_e32 v46, 0x80000000, v46
	v_dual_fmac_f32 v0, v45, v40 :: v_dual_fmac_f32 v46, v44, v40
	s_delay_alu instid0(VALU_DEP_1) | instskip(SKIP_1) | instid1(VALU_DEP_2)
	v_pk_mul_f32 v[40:41], v[0:1], v[42:43] op_sel:[0,1] op_sel_hi:[0,0]
	v_add_nc_u32_e64 v0, 0x2000, 0
	v_pk_fma_f32 v[44:45], v[46:47], v[42:43], v[40:41] op_sel_hi:[0,1,1]
	v_pk_fma_f32 v[40:41], v[46:47], v[42:43], v[40:41] neg_lo:[0,0,1] neg_hi:[0,0,1]
	s_delay_alu instid0(VALU_DEP_2)
	v_mov_b32_e32 v41, v45
	ds_store_2addr_b64 v0, v[40:41], v[40:41] offset0:17 offset1:80
.LBB149_746:                            ;   in Loop: Header=BB149_3 Depth=1
	s_or_b32 exec_lo, exec_lo, s10
	v_mov_b64_e32 v[40:41], 0
	s_wait_dscnt 0x0
	s_barrier_signal -1
	s_barrier_wait -1
	global_wb scope:SCOPE_DEV
	s_wait_storecnt 0x0
	global_inv scope:SCOPE_DEV
	s_and_saveexec_b32 s66, s5
	s_cbranch_execz .LBB149_774
; %bb.747:                              ;   in Loop: Header=BB149_3 Depth=1
	ds_load_b64 v[40:41], v63 offset:8192
	ds_load_b64 v[42:43], v64 offset:16000
	v_readlane_b32 s11, v108, 26
	s_wait_dscnt 0x0
	v_dual_mul_f32 v0, v43, v41 :: v_dual_mul_f32 v41, v42, v41
	s_delay_alu instid0(VALU_DEP_1) | instskip(NEXT) | instid1(VALU_DEP_1)
	v_dual_fma_f32 v0, v42, v40, -v0 :: v_dual_fmac_f32 v41, v43, v40
	v_dual_add_f32 v40, 0, v0 :: v_dual_add_f32 v41, 0, v41
	s_and_saveexec_b32 s10, s11
	s_cbranch_execz .LBB149_749
; %bb.748:                              ;   in Loop: Header=BB149_3 Depth=1
	ds_load_b64 v[42:43], v63 offset:8704
	ds_load_b64 v[44:45], v64 offset:16008
	s_wait_dscnt 0x0
	v_dual_mul_f32 v0, v45, v43 :: v_dual_mul_f32 v43, v44, v43
	s_delay_alu instid0(VALU_DEP_1) | instskip(NEXT) | instid1(VALU_DEP_1)
	v_dual_fma_f32 v0, v44, v42, -v0 :: v_dual_fmac_f32 v43, v45, v42
	v_dual_add_f32 v40, v40, v0 :: v_dual_add_f32 v41, v41, v43
.LBB149_749:                            ;   in Loop: Header=BB149_3 Depth=1
	s_or_b32 exec_lo, exec_lo, s10
	v_readlane_b32 s11, v108, 27
	s_and_saveexec_b32 s10, s11
	s_cbranch_execz .LBB149_751
; %bb.750:                              ;   in Loop: Header=BB149_3 Depth=1
	ds_load_b64 v[42:43], v63 offset:9216
	ds_load_b64 v[44:45], v64 offset:16016
	s_wait_dscnt 0x0
	v_dual_mul_f32 v0, v45, v43 :: v_dual_mul_f32 v43, v44, v43
	s_delay_alu instid0(VALU_DEP_1) | instskip(NEXT) | instid1(VALU_DEP_1)
	v_dual_fma_f32 v0, v44, v42, -v0 :: v_dual_fmac_f32 v43, v45, v42
	v_dual_add_f32 v40, v40, v0 :: v_dual_add_f32 v41, v41, v43
.LBB149_751:                            ;   in Loop: Header=BB149_3 Depth=1
	s_or_b32 exec_lo, exec_lo, s10
	v_readlane_b32 s11, v108, 28
	;; [unrolled: 13-line block ×8, first 2 shown]
	s_and_saveexec_b32 s10, s11
	s_cbranch_execz .LBB149_765
; %bb.764:                              ;   in Loop: Header=BB149_3 Depth=1
	ds_load_b64 v[42:43], v63 offset:12800
	ds_load_b64 v[44:45], v64 offset:16072
	s_wait_dscnt 0x0
	v_dual_mul_f32 v0, v45, v43 :: v_dual_mul_f32 v43, v44, v43
	s_delay_alu instid0(VALU_DEP_1) | instskip(NEXT) | instid1(VALU_DEP_1)
	v_dual_fma_f32 v0, v44, v42, -v0 :: v_dual_fmac_f32 v43, v45, v42
	v_dual_add_f32 v40, v40, v0 :: v_dual_add_f32 v41, v41, v43
.LBB149_765:                            ;   in Loop: Header=BB149_3 Depth=1
	s_or_b32 exec_lo, exec_lo, s10
	s_and_saveexec_b32 s10, s13
	s_cbranch_execz .LBB149_767
; %bb.766:                              ;   in Loop: Header=BB149_3 Depth=1
	ds_load_b64 v[42:43], v63 offset:13312
	ds_load_b64 v[44:45], v64 offset:16080
	s_wait_dscnt 0x0
	v_dual_mul_f32 v0, v45, v43 :: v_dual_mul_f32 v43, v44, v43
	s_delay_alu instid0(VALU_DEP_1) | instskip(NEXT) | instid1(VALU_DEP_1)
	v_dual_fma_f32 v0, v44, v42, -v0 :: v_dual_fmac_f32 v43, v45, v42
	v_dual_add_f32 v40, v40, v0 :: v_dual_add_f32 v41, v41, v43
.LBB149_767:                            ;   in Loop: Header=BB149_3 Depth=1
	s_or_b32 exec_lo, exec_lo, s10
	v_readlane_b32 s11, v99, 3
	s_and_saveexec_b32 s10, s11
	s_cbranch_execnz .LBB149_1146
; %bb.768:                              ;   in Loop: Header=BB149_3 Depth=1
	s_or_b32 exec_lo, exec_lo, s10
	s_and_saveexec_b32 s10, s4
	s_cbranch_execnz .LBB149_1147
.LBB149_769:                            ;   in Loop: Header=BB149_3 Depth=1
	s_or_b32 exec_lo, exec_lo, s10
	s_and_saveexec_b32 s10, s21
	s_cbranch_execnz .LBB149_1148
.LBB149_770:                            ;   in Loop: Header=BB149_3 Depth=1
	s_or_b32 exec_lo, exec_lo, s10
	s_and_saveexec_b32 s10, s23
	s_cbranch_execnz .LBB149_1149
.LBB149_771:                            ;   in Loop: Header=BB149_3 Depth=1
	s_or_b32 exec_lo, exec_lo, s10
	s_and_saveexec_b32 s10, s3
	s_cbranch_execz .LBB149_773
.LBB149_772:                            ;   in Loop: Header=BB149_3 Depth=1
	ds_load_b64 v[42:43], v71 offset:15872
	ds_load_b64 v[44:45], v1 offset:16120
	s_wait_dscnt 0x0
	v_dual_mul_f32 v0, v45, v43 :: v_dual_mul_f32 v47, v44, v43
	s_delay_alu instid0(VALU_DEP_1) | instskip(NEXT) | instid1(VALU_DEP_1)
	v_dual_fma_f32 v46, v44, v42, -v0 :: v_dual_fmac_f32 v47, v45, v42
	v_pk_add_f32 v[40:41], v[40:41], v[46:47]
.LBB149_773:                            ;   in Loop: Header=BB149_3 Depth=1
	s_or_b32 exec_lo, exec_lo, s10
.LBB149_774:                            ;   in Loop: Header=BB149_3 Depth=1
	s_delay_alu instid0(SALU_CYCLE_1)
	s_or_b32 exec_lo, exec_lo, s66
	v_readlane_b32 s11, v108, 1
	s_and_saveexec_b32 s10, s11
	s_cbranch_execz .LBB149_776
; %bb.775:                              ;   in Loop: Header=BB149_3 Depth=1
	ds_load_b64 v[42:43], v1 offset:7800
	s_wait_dscnt 0x0
	v_pk_mul_f32 v[44:45], v[40:41], v[42:43] op_sel:[1,1] op_sel_hi:[1,0]
	s_delay_alu instid0(VALU_DEP_1) | instskip(SKIP_1) | instid1(VALU_DEP_2)
	v_pk_fma_f32 v[46:47], v[40:41], v[42:43], v[44:45] op_sel_hi:[0,1,1]
	v_pk_fma_f32 v[40:41], v[40:41], v[42:43], v[44:45] neg_lo:[0,0,1] neg_hi:[0,0,1]
	v_mov_b32_e32 v41, v47
	s_delay_alu instid0(VALU_DEP_1)
	v_pk_add_f32 v[42:43], v[40:41], 0 neg_lo:[1,1] neg_hi:[1,1]
	ds_store_b64 v62, v[42:43]
.LBB149_776:                            ;   in Loop: Header=BB149_3 Depth=1
	s_or_b32 exec_lo, exec_lo, s10
	v_readlane_b32 s11, v108, 2
	s_wait_loadcnt_dscnt 0x0
	s_barrier_signal -1
	s_barrier_wait -1
	s_and_saveexec_b32 s10, s11
	s_cbranch_execz .LBB149_778
; %bb.777:                              ;   in Loop: Header=BB149_3 Depth=1
	ds_load_b64 v[42:43], v63 offset:7680
	ds_load_b64 v[44:45], v62
	s_wait_dscnt 0x0
	v_pk_mul_f32 v[46:47], v[44:45], v[42:43] op_sel:[1,1] op_sel_hi:[0,1]
	s_delay_alu instid0(VALU_DEP_1) | instskip(SKIP_1) | instid1(VALU_DEP_2)
	v_pk_fma_f32 v[100:101], v[44:45], v[42:43], v[46:47] op_sel_hi:[1,0,1]
	v_pk_fma_f32 v[42:43], v[44:45], v[42:43], v[46:47] neg_lo:[0,0,1] neg_hi:[0,0,1]
	v_mov_b32_e32 v43, v101
	s_delay_alu instid0(VALU_DEP_1)
	v_pk_add_f32 v[40:41], v[40:41], v[42:43] neg_lo:[0,1] neg_hi:[0,1]
.LBB149_778:                            ;   in Loop: Header=BB149_3 Depth=1
	s_or_b32 exec_lo, exec_lo, s10
	v_readlane_b32 s11, v108, 3
	s_barrier_signal -1
	s_barrier_wait -1
	s_and_saveexec_b32 s10, s11
	s_cbranch_execz .LBB149_780
; %bb.779:                              ;   in Loop: Header=BB149_3 Depth=1
	ds_load_b64 v[42:43], v1 offset:7280
	s_wait_dscnt 0x0
	v_pk_mul_f32 v[44:45], v[40:41], v[42:43] op_sel:[1,1] op_sel_hi:[1,0]
	s_delay_alu instid0(VALU_DEP_1) | instskip(SKIP_1) | instid1(VALU_DEP_2)
	v_pk_fma_f32 v[46:47], v[40:41], v[42:43], v[44:45] op_sel_hi:[0,1,1]
	v_pk_fma_f32 v[40:41], v[40:41], v[42:43], v[44:45] neg_lo:[0,0,1] neg_hi:[0,0,1]
	v_mov_b32_e32 v41, v47
	s_delay_alu instid0(VALU_DEP_1)
	v_pk_add_f32 v[42:43], v[40:41], 0 neg_lo:[1,1] neg_hi:[1,1]
	ds_store_b64 v62, v[42:43]
.LBB149_780:                            ;   in Loop: Header=BB149_3 Depth=1
	s_or_b32 exec_lo, exec_lo, s10
	v_readlane_b32 s11, v108, 4
	s_wait_dscnt 0x0
	s_barrier_signal -1
	s_barrier_wait -1
	s_and_saveexec_b32 s10, s11
	s_cbranch_execz .LBB149_782
; %bb.781:                              ;   in Loop: Header=BB149_3 Depth=1
	ds_load_b64 v[42:43], v63 offset:7168
	ds_load_b64 v[44:45], v62
	s_wait_dscnt 0x0
	v_pk_mul_f32 v[46:47], v[44:45], v[42:43] op_sel:[1,1] op_sel_hi:[0,1]
	s_delay_alu instid0(VALU_DEP_1) | instskip(SKIP_1) | instid1(VALU_DEP_2)
	v_pk_fma_f32 v[100:101], v[44:45], v[42:43], v[46:47] op_sel_hi:[1,0,1]
	v_pk_fma_f32 v[42:43], v[44:45], v[42:43], v[46:47] neg_lo:[0,0,1] neg_hi:[0,0,1]
	v_mov_b32_e32 v43, v101
	s_delay_alu instid0(VALU_DEP_1)
	v_pk_add_f32 v[40:41], v[40:41], v[42:43] neg_lo:[0,1] neg_hi:[0,1]
.LBB149_782:                            ;   in Loop: Header=BB149_3 Depth=1
	s_or_b32 exec_lo, exec_lo, s10
	v_readlane_b32 s11, v108, 5
	s_barrier_signal -1
	s_barrier_wait -1
	s_and_saveexec_b32 s10, s11
	s_cbranch_execz .LBB149_784
; %bb.783:                              ;   in Loop: Header=BB149_3 Depth=1
	ds_load_b64 v[42:43], v1 offset:6760
	s_wait_dscnt 0x0
	v_pk_mul_f32 v[44:45], v[40:41], v[42:43] op_sel:[1,1] op_sel_hi:[1,0]
	s_delay_alu instid0(VALU_DEP_1) | instskip(SKIP_1) | instid1(VALU_DEP_2)
	v_pk_fma_f32 v[46:47], v[40:41], v[42:43], v[44:45] op_sel_hi:[0,1,1]
	v_pk_fma_f32 v[40:41], v[40:41], v[42:43], v[44:45] neg_lo:[0,0,1] neg_hi:[0,0,1]
	v_mov_b32_e32 v41, v47
	s_delay_alu instid0(VALU_DEP_1)
	v_pk_add_f32 v[42:43], v[40:41], 0 neg_lo:[1,1] neg_hi:[1,1]
	ds_store_b64 v62, v[42:43]
.LBB149_784:                            ;   in Loop: Header=BB149_3 Depth=1
	s_or_b32 exec_lo, exec_lo, s10
	v_readlane_b32 s11, v108, 6
	s_wait_dscnt 0x0
	s_barrier_signal -1
	s_barrier_wait -1
	s_and_saveexec_b32 s10, s11
	s_cbranch_execz .LBB149_786
; %bb.785:                              ;   in Loop: Header=BB149_3 Depth=1
	ds_load_b64 v[42:43], v63 offset:6656
	ds_load_b64 v[44:45], v62
	s_wait_dscnt 0x0
	v_pk_mul_f32 v[46:47], v[44:45], v[42:43] op_sel:[1,1] op_sel_hi:[0,1]
	s_delay_alu instid0(VALU_DEP_1) | instskip(SKIP_1) | instid1(VALU_DEP_2)
	v_pk_fma_f32 v[100:101], v[44:45], v[42:43], v[46:47] op_sel_hi:[1,0,1]
	v_pk_fma_f32 v[42:43], v[44:45], v[42:43], v[46:47] neg_lo:[0,0,1] neg_hi:[0,0,1]
	v_mov_b32_e32 v43, v101
	s_delay_alu instid0(VALU_DEP_1)
	v_pk_add_f32 v[40:41], v[40:41], v[42:43] neg_lo:[0,1] neg_hi:[0,1]
.LBB149_786:                            ;   in Loop: Header=BB149_3 Depth=1
	s_or_b32 exec_lo, exec_lo, s10
	s_delay_alu instid0(VALU_DEP_1)
	v_dual_mov_b32 v42, v41 :: v_dual_mov_b32 v43, v40
	s_barrier_signal -1
	s_barrier_wait -1
	s_and_saveexec_b32 s10, s56
	s_cbranch_execz .LBB149_788
; %bb.787:                              ;   in Loop: Header=BB149_3 Depth=1
	ds_load_b64 v[44:45], v1 offset:6240
	s_wait_dscnt 0x0
	v_dual_mul_f32 v0, v43, v45 :: v_dual_mul_f32 v46, v41, v45
	s_delay_alu instid0(VALU_DEP_1) | instskip(NEXT) | instid1(VALU_DEP_2)
	v_pk_fma_f32 v[42:43], v[42:43], v[44:45], v[0:1] op_sel_hi:[1,1,0]
	v_pk_fma_f32 v[40:41], v[40:41], v[44:45], v[46:47] op_sel_hi:[1,1,0] neg_lo:[0,0,1] neg_hi:[0,0,1]
	s_delay_alu instid0(VALU_DEP_1) | instskip(NEXT) | instid1(VALU_DEP_1)
	v_dual_mov_b32 v41, v42 :: v_dual_mov_b32 v43, v40
	v_pk_add_f32 v[44:45], v[40:41], 0 neg_lo:[1,1] neg_hi:[1,1]
	ds_store_b64 v62, v[44:45]
.LBB149_788:                            ;   in Loop: Header=BB149_3 Depth=1
	s_or_b32 exec_lo, exec_lo, s10
	s_wait_dscnt 0x0
	s_barrier_signal -1
	s_barrier_wait -1
	s_and_saveexec_b32 s10, s57
	s_cbranch_execz .LBB149_790
; %bb.789:                              ;   in Loop: Header=BB149_3 Depth=1
	ds_load_b64 v[40:41], v63 offset:6144
	ds_load_b64 v[44:45], v62
	s_wait_dscnt 0x0
	v_dual_mul_f32 v0, v45, v41 :: v_dual_mul_f32 v46, v44, v41
	s_delay_alu instid0(VALU_DEP_1) | instskip(NEXT) | instid1(VALU_DEP_1)
	v_dual_fma_f32 v47, v44, v40, -v0 :: v_dual_fmac_f32 v46, v45, v40
	v_pk_add_f32 v[42:43], v[42:43], v[46:47] neg_lo:[0,1] neg_hi:[0,1]
.LBB149_790:                            ;   in Loop: Header=BB149_3 Depth=1
	s_or_b32 exec_lo, exec_lo, s10
	s_barrier_signal -1
	s_barrier_wait -1
	s_and_saveexec_b32 s10, s58
	s_cbranch_execz .LBB149_792
; %bb.791:                              ;   in Loop: Header=BB149_3 Depth=1
	ds_load_b64 v[40:41], v1 offset:5720
	s_wait_dscnt 0x0
	v_pk_mul_f32 v[44:45], v[42:43], v[40:41] op_sel_hi:[0,1]
	s_delay_alu instid0(VALU_DEP_1) | instskip(SKIP_1) | instid1(VALU_DEP_2)
	v_pk_fma_f32 v[46:47], v[42:43], v[40:41], v[44:45] op_sel:[1,1,0] op_sel_hi:[1,0,1] neg_lo:[0,0,1] neg_hi:[0,0,1]
	v_pk_fma_f32 v[42:43], v[42:43], v[40:41], v[44:45] op_sel:[1,1,0] op_sel_hi:[1,0,1]
	v_mov_b32_e32 v43, v47
	s_delay_alu instid0(VALU_DEP_2)
	v_xor_b32_e32 v41, 0x80000000, v42
	v_xor_b32_e32 v40, 0x80000000, v47
	ds_store_b64 v62, v[40:41]
.LBB149_792:                            ;   in Loop: Header=BB149_3 Depth=1
	s_or_b32 exec_lo, exec_lo, s10
	s_wait_dscnt 0x0
	s_barrier_signal -1
	s_barrier_wait -1
	s_and_saveexec_b32 s10, s59
	s_cbranch_execz .LBB149_794
; %bb.793:                              ;   in Loop: Header=BB149_3 Depth=1
	ds_load_b64 v[40:41], v63 offset:5632
	ds_load_b64 v[44:45], v62
	s_wait_dscnt 0x0
	v_pk_mul_f32 v[46:47], v[44:45], v[40:41] op_sel:[0,1]
	s_delay_alu instid0(VALU_DEP_1) | instskip(SKIP_1) | instid1(VALU_DEP_2)
	v_pk_fma_f32 v[100:101], v[44:45], v[40:41], v[46:47] op_sel:[1,0,0] op_sel_hi:[0,0,1] neg_lo:[0,0,1] neg_hi:[0,0,1]
	v_pk_fma_f32 v[40:41], v[44:45], v[40:41], v[46:47] op_sel:[1,0,0] op_sel_hi:[0,1,1]
	v_mov_b32_e32 v41, v101
	s_delay_alu instid0(VALU_DEP_1)
	v_pk_add_f32 v[42:43], v[42:43], v[40:41] neg_lo:[0,1] neg_hi:[0,1]
.LBB149_794:                            ;   in Loop: Header=BB149_3 Depth=1
	s_or_b32 exec_lo, exec_lo, s10
	s_barrier_signal -1
	s_barrier_wait -1
	s_and_saveexec_b32 s10, s60
	s_cbranch_execz .LBB149_796
; %bb.795:                              ;   in Loop: Header=BB149_3 Depth=1
	ds_load_b64 v[40:41], v1 offset:5200
	s_wait_dscnt 0x0
	v_pk_mul_f32 v[44:45], v[42:43], v[40:41] op_sel_hi:[0,1]
	s_delay_alu instid0(VALU_DEP_1) | instskip(SKIP_1) | instid1(VALU_DEP_2)
	v_pk_fma_f32 v[46:47], v[42:43], v[40:41], v[44:45] op_sel:[1,1,0] op_sel_hi:[1,0,1] neg_lo:[0,0,1] neg_hi:[0,0,1]
	v_pk_fma_f32 v[42:43], v[42:43], v[40:41], v[44:45] op_sel:[1,1,0] op_sel_hi:[1,0,1]
	v_mov_b32_e32 v43, v47
	s_delay_alu instid0(VALU_DEP_2)
	v_xor_b32_e32 v41, 0x80000000, v42
	v_xor_b32_e32 v40, 0x80000000, v47
	ds_store_b64 v62, v[40:41]
.LBB149_796:                            ;   in Loop: Header=BB149_3 Depth=1
	s_or_b32 exec_lo, exec_lo, s10
	s_wait_dscnt 0x0
	s_barrier_signal -1
	s_barrier_wait -1
	s_and_saveexec_b32 s10, s61
	s_cbranch_execz .LBB149_798
; %bb.797:                              ;   in Loop: Header=BB149_3 Depth=1
	ds_load_b64 v[40:41], v63 offset:5120
	ds_load_b64 v[44:45], v62
	s_wait_dscnt 0x0
	v_pk_mul_f32 v[46:47], v[44:45], v[40:41] op_sel:[0,1]
	s_delay_alu instid0(VALU_DEP_1) | instskip(SKIP_1) | instid1(VALU_DEP_2)
	v_pk_fma_f32 v[100:101], v[44:45], v[40:41], v[46:47] op_sel:[1,0,0] op_sel_hi:[0,0,1] neg_lo:[0,0,1] neg_hi:[0,0,1]
	v_pk_fma_f32 v[40:41], v[44:45], v[40:41], v[46:47] op_sel:[1,0,0] op_sel_hi:[0,1,1]
	v_mov_b32_e32 v41, v101
	s_delay_alu instid0(VALU_DEP_1)
	v_pk_add_f32 v[42:43], v[42:43], v[40:41] neg_lo:[0,1] neg_hi:[0,1]
.LBB149_798:                            ;   in Loop: Header=BB149_3 Depth=1
	;; [unrolled: 36-line block ×3, first 2 shown]
	s_or_b32 exec_lo, exec_lo, s10
	s_delay_alu instid0(VALU_DEP_1)
	v_dual_mov_b32 v40, v43 :: v_dual_mov_b32 v41, v42
	s_barrier_signal -1
	s_barrier_wait -1
	s_and_saveexec_b32 s10, s64
	s_cbranch_execz .LBB149_804
; %bb.803:                              ;   in Loop: Header=BB149_3 Depth=1
	ds_load_b64 v[44:45], v1 offset:4160
	s_wait_dscnt 0x0
	v_dual_mul_f32 v0, v42, v44 :: v_dual_mul_f32 v46, v41, v45
	s_delay_alu instid0(VALU_DEP_1) | instskip(NEXT) | instid1(VALU_DEP_2)
	v_pk_fma_f32 v[42:43], v[42:43], v[44:45], v[0:1] op_sel_hi:[1,1,0]
	v_pk_fma_f32 v[40:41], v[40:41], v[44:45], v[46:47] op_sel_hi:[1,1,0] neg_lo:[0,0,1] neg_hi:[0,0,1]
	s_delay_alu instid0(VALU_DEP_2) | instskip(NEXT) | instid1(VALU_DEP_1)
	v_mov_b32_e32 v41, v43
	v_pk_add_f32 v[42:43], v[40:41], 0 neg_lo:[1,1] neg_hi:[1,1]
	ds_store_b64 v62, v[42:43]
.LBB149_804:                            ;   in Loop: Header=BB149_3 Depth=1
	s_or_b32 exec_lo, exec_lo, s10
	s_wait_dscnt 0x0
	s_barrier_signal -1
	s_barrier_wait -1
	s_and_saveexec_b32 s10, s65
	s_cbranch_execz .LBB149_806
; %bb.805:                              ;   in Loop: Header=BB149_3 Depth=1
	ds_load_b64 v[42:43], v63 offset:4096
	ds_load_b64 v[44:45], v62
	s_wait_dscnt 0x0
	v_dual_mul_f32 v0, v45, v43 :: v_dual_mul_f32 v47, v44, v43
	s_delay_alu instid0(VALU_DEP_1) | instskip(NEXT) | instid1(VALU_DEP_1)
	v_dual_fma_f32 v46, v44, v42, -v0 :: v_dual_fmac_f32 v47, v45, v42
	v_pk_add_f32 v[40:41], v[40:41], v[46:47] neg_lo:[0,1] neg_hi:[0,1]
.LBB149_806:                            ;   in Loop: Header=BB149_3 Depth=1
	s_or_b32 exec_lo, exec_lo, s10
	s_barrier_signal -1
	s_barrier_wait -1
	s_and_saveexec_b32 s10, s25
	s_cbranch_execz .LBB149_808
; %bb.807:                              ;   in Loop: Header=BB149_3 Depth=1
	ds_load_b64 v[42:43], v1 offset:3640
	s_wait_dscnt 0x0
	v_pk_mul_f32 v[44:45], v[40:41], v[42:43] op_sel:[1,1] op_sel_hi:[1,0]
	s_delay_alu instid0(VALU_DEP_1) | instskip(SKIP_1) | instid1(VALU_DEP_2)
	v_pk_fma_f32 v[46:47], v[40:41], v[42:43], v[44:45] op_sel_hi:[0,1,1]
	v_pk_fma_f32 v[40:41], v[40:41], v[42:43], v[44:45] neg_lo:[0,0,1] neg_hi:[0,0,1]
	v_mov_b32_e32 v41, v47
	s_delay_alu instid0(VALU_DEP_1)
	v_pk_add_f32 v[42:43], v[40:41], 0 neg_lo:[1,1] neg_hi:[1,1]
	ds_store_b64 v62, v[42:43]
.LBB149_808:                            ;   in Loop: Header=BB149_3 Depth=1
	s_or_b32 exec_lo, exec_lo, s10
	s_wait_dscnt 0x0
	s_barrier_signal -1
	s_barrier_wait -1
	s_and_saveexec_b32 s10, s27
	s_cbranch_execz .LBB149_810
; %bb.809:                              ;   in Loop: Header=BB149_3 Depth=1
	ds_load_b64 v[42:43], v63 offset:3584
	ds_load_b64 v[44:45], v62
	s_wait_dscnt 0x0
	v_pk_mul_f32 v[46:47], v[44:45], v[42:43] op_sel:[1,1] op_sel_hi:[0,1]
	s_delay_alu instid0(VALU_DEP_1) | instskip(SKIP_1) | instid1(VALU_DEP_2)
	v_pk_fma_f32 v[100:101], v[44:45], v[42:43], v[46:47] op_sel_hi:[1,0,1]
	v_pk_fma_f32 v[42:43], v[44:45], v[42:43], v[46:47] neg_lo:[0,0,1] neg_hi:[0,0,1]
	v_mov_b32_e32 v43, v101
	s_delay_alu instid0(VALU_DEP_1)
	v_pk_add_f32 v[40:41], v[40:41], v[42:43] neg_lo:[0,1] neg_hi:[0,1]
.LBB149_810:                            ;   in Loop: Header=BB149_3 Depth=1
	s_or_b32 exec_lo, exec_lo, s10
	s_barrier_signal -1
	s_barrier_wait -1
	s_and_saveexec_b32 s10, s29
	s_cbranch_execz .LBB149_812
; %bb.811:                              ;   in Loop: Header=BB149_3 Depth=1
	ds_load_b64 v[42:43], v1 offset:3120
	s_wait_dscnt 0x0
	v_pk_mul_f32 v[44:45], v[40:41], v[42:43] op_sel:[1,1] op_sel_hi:[1,0]
	s_delay_alu instid0(VALU_DEP_1) | instskip(SKIP_1) | instid1(VALU_DEP_2)
	v_pk_fma_f32 v[46:47], v[40:41], v[42:43], v[44:45] op_sel_hi:[0,1,1]
	v_pk_fma_f32 v[40:41], v[40:41], v[42:43], v[44:45] neg_lo:[0,0,1] neg_hi:[0,0,1]
	v_mov_b32_e32 v41, v47
	s_delay_alu instid0(VALU_DEP_1)
	v_pk_add_f32 v[42:43], v[40:41], 0 neg_lo:[1,1] neg_hi:[1,1]
	ds_store_b64 v62, v[42:43]
.LBB149_812:                            ;   in Loop: Header=BB149_3 Depth=1
	s_or_b32 exec_lo, exec_lo, s10
	s_wait_dscnt 0x0
	s_barrier_signal -1
	s_barrier_wait -1
	s_and_saveexec_b32 s10, s31
	s_cbranch_execz .LBB149_814
; %bb.813:                              ;   in Loop: Header=BB149_3 Depth=1
	ds_load_b64 v[42:43], v63 offset:3072
	ds_load_b64 v[44:45], v62
	s_wait_dscnt 0x0
	v_pk_mul_f32 v[46:47], v[44:45], v[42:43] op_sel:[1,1] op_sel_hi:[0,1]
	s_delay_alu instid0(VALU_DEP_1) | instskip(SKIP_1) | instid1(VALU_DEP_2)
	v_pk_fma_f32 v[100:101], v[44:45], v[42:43], v[46:47] op_sel_hi:[1,0,1]
	v_pk_fma_f32 v[42:43], v[44:45], v[42:43], v[46:47] neg_lo:[0,0,1] neg_hi:[0,0,1]
	v_mov_b32_e32 v43, v101
	s_delay_alu instid0(VALU_DEP_1)
	v_pk_add_f32 v[40:41], v[40:41], v[42:43] neg_lo:[0,1] neg_hi:[0,1]
.LBB149_814:                            ;   in Loop: Header=BB149_3 Depth=1
	;; [unrolled: 35-line block ×3, first 2 shown]
	s_or_b32 exec_lo, exec_lo, s10
	s_barrier_signal -1
	s_barrier_wait -1
	s_and_saveexec_b32 s10, s26
	s_cbranch_execz .LBB149_820
; %bb.819:                              ;   in Loop: Header=BB149_3 Depth=1
	ds_load_b64 v[42:43], v1 offset:2080
	s_wait_dscnt 0x0
	v_pk_mul_f32 v[44:45], v[40:41], v[42:43]
	v_pk_mul_f32 v[40:41], v[40:41], v[42:43] op_sel:[1,0] op_sel_hi:[0,1]
	s_delay_alu instid0(VALU_DEP_1) | instskip(NEXT) | instid1(VALU_DEP_3)
	v_dual_mov_b32 v42, v44 :: v_dual_mov_b32 v43, v40
	v_mov_b32_e32 v40, v45
	s_delay_alu instid0(VALU_DEP_1) | instskip(SKIP_1) | instid1(VALU_DEP_2)
	v_pk_add_f32 v[44:45], v[42:43], v[40:41]
	v_pk_add_f32 v[40:41], v[42:43], v[40:41] neg_lo:[0,1] neg_hi:[0,1]
	v_mov_b32_e32 v41, v45
	s_delay_alu instid0(VALU_DEP_1)
	v_pk_add_f32 v[42:43], v[40:41], 0 neg_lo:[1,1] neg_hi:[1,1]
	ds_store_b64 v62, v[42:43]
.LBB149_820:                            ;   in Loop: Header=BB149_3 Depth=1
	s_or_b32 exec_lo, exec_lo, s10
	s_wait_dscnt 0x0
	s_barrier_signal -1
	s_barrier_wait -1
	s_and_saveexec_b32 s10, s28
	s_cbranch_execz .LBB149_822
; %bb.821:                              ;   in Loop: Header=BB149_3 Depth=1
	ds_load_b64 v[42:43], v63 offset:2048
	ds_load_b64 v[44:45], v62
	s_wait_dscnt 0x0
	v_dual_mul_f32 v0, v45, v43 :: v_dual_mul_f32 v43, v44, v43
	s_delay_alu instid0(VALU_DEP_1) | instskip(NEXT) | instid1(VALU_DEP_1)
	v_dual_fma_f32 v0, v44, v42, -v0 :: v_dual_fmac_f32 v43, v45, v42
	v_dual_sub_f32 v40, v40, v0 :: v_dual_sub_f32 v41, v41, v43
.LBB149_822:                            ;   in Loop: Header=BB149_3 Depth=1
	s_or_b32 exec_lo, exec_lo, s10
	s_barrier_signal -1
	s_barrier_wait -1
	s_and_saveexec_b32 s10, s30
	s_cbranch_execz .LBB149_824
; %bb.823:                              ;   in Loop: Header=BB149_3 Depth=1
	ds_load_b64 v[42:43], v1 offset:1560
	s_wait_dscnt 0x0
	v_dual_mul_f32 v0, v41, v42 :: v_dual_mul_f32 v44, v41, v43
	s_delay_alu instid0(VALU_DEP_1) | instskip(NEXT) | instid1(VALU_DEP_2)
	v_pk_fma_f32 v[46:47], v[40:41], v[42:43], v[0:1] op_sel:[1,0,0] op_sel_hi:[0,1,0]
	v_pk_fma_f32 v[40:41], v[40:41], v[42:43], v[44:45] op_sel_hi:[1,1,0] neg_lo:[0,0,1] neg_hi:[0,0,1]
	s_delay_alu instid0(VALU_DEP_2) | instskip(NEXT) | instid1(VALU_DEP_1)
	v_mov_b32_e32 v41, v47
	v_pk_add_f32 v[42:43], v[40:41], 0 neg_lo:[1,1] neg_hi:[1,1]
	ds_store_b64 v62, v[42:43]
.LBB149_824:                            ;   in Loop: Header=BB149_3 Depth=1
	s_or_b32 exec_lo, exec_lo, s10
	s_wait_dscnt 0x0
	s_barrier_signal -1
	s_barrier_wait -1
	s_and_saveexec_b32 s10, s33
	s_cbranch_execz .LBB149_826
; %bb.825:                              ;   in Loop: Header=BB149_3 Depth=1
	ds_load_b64 v[42:43], v63 offset:1536
	ds_load_b64 v[44:45], v62
	s_wait_dscnt 0x0
	v_pk_mul_f32 v[46:47], v[44:45], v[42:43] op_sel:[1,1] op_sel_hi:[0,1]
	s_delay_alu instid0(VALU_DEP_1) | instskip(SKIP_1) | instid1(VALU_DEP_2)
	v_pk_fma_f32 v[100:101], v[44:45], v[42:43], v[46:47] op_sel_hi:[1,0,1]
	v_pk_fma_f32 v[42:43], v[44:45], v[42:43], v[46:47] neg_lo:[0,0,1] neg_hi:[0,0,1]
	v_mov_b32_e32 v43, v101
	s_delay_alu instid0(VALU_DEP_1)
	v_pk_add_f32 v[40:41], v[40:41], v[42:43] neg_lo:[0,1] neg_hi:[0,1]
.LBB149_826:                            ;   in Loop: Header=BB149_3 Depth=1
	s_or_b32 exec_lo, exec_lo, s10
	s_barrier_signal -1
	s_barrier_wait -1
	s_and_saveexec_b32 s10, s35
	s_cbranch_execz .LBB149_828
; %bb.827:                              ;   in Loop: Header=BB149_3 Depth=1
	ds_load_b64 v[42:43], v1 offset:1040
	s_wait_dscnt 0x0
	v_pk_mul_f32 v[44:45], v[40:41], v[42:43] op_sel:[1,1] op_sel_hi:[1,0]
	s_delay_alu instid0(VALU_DEP_1) | instskip(SKIP_1) | instid1(VALU_DEP_2)
	v_pk_fma_f32 v[46:47], v[40:41], v[42:43], v[44:45] op_sel_hi:[0,1,1]
	v_pk_fma_f32 v[40:41], v[40:41], v[42:43], v[44:45] neg_lo:[0,0,1] neg_hi:[0,0,1]
	v_mov_b32_e32 v41, v47
	s_delay_alu instid0(VALU_DEP_1)
	v_pk_add_f32 v[42:43], v[40:41], 0 neg_lo:[1,1] neg_hi:[1,1]
	ds_store_b64 v62, v[42:43]
.LBB149_828:                            ;   in Loop: Header=BB149_3 Depth=1
	s_or_b32 exec_lo, exec_lo, s10
	s_wait_dscnt 0x0
	s_barrier_signal -1
	s_barrier_wait -1
	s_and_saveexec_b32 s10, s88
	s_cbranch_execz .LBB149_830
; %bb.829:                              ;   in Loop: Header=BB149_3 Depth=1
	ds_load_b64 v[42:43], v63 offset:1024
	ds_load_b64 v[44:45], v62
	s_wait_dscnt 0x0
	v_pk_mul_f32 v[46:47], v[44:45], v[42:43] op_sel:[1,1] op_sel_hi:[0,1]
	s_delay_alu instid0(VALU_DEP_1) | instskip(SKIP_1) | instid1(VALU_DEP_2)
	v_pk_fma_f32 v[100:101], v[44:45], v[42:43], v[46:47] op_sel_hi:[1,0,1]
	v_pk_fma_f32 v[42:43], v[44:45], v[42:43], v[46:47] neg_lo:[0,0,1] neg_hi:[0,0,1]
	v_mov_b32_e32 v43, v101
	s_delay_alu instid0(VALU_DEP_1)
	v_pk_add_f32 v[40:41], v[40:41], v[42:43] neg_lo:[0,1] neg_hi:[0,1]
.LBB149_830:                            ;   in Loop: Header=BB149_3 Depth=1
	s_or_b32 exec_lo, exec_lo, s10
	s_barrier_signal -1
	s_barrier_wait -1
	s_and_saveexec_b32 s10, s50
	s_cbranch_execz .LBB149_832
; %bb.831:                              ;   in Loop: Header=BB149_3 Depth=1
	ds_load_b64 v[42:43], v1 offset:520
	s_wait_dscnt 0x0
	v_pk_mul_f32 v[44:45], v[40:41], v[42:43] op_sel:[1,1] op_sel_hi:[1,0]
	s_delay_alu instid0(VALU_DEP_1) | instskip(SKIP_1) | instid1(VALU_DEP_2)
	v_pk_fma_f32 v[46:47], v[40:41], v[42:43], v[44:45] op_sel_hi:[0,1,1]
	v_pk_fma_f32 v[40:41], v[40:41], v[42:43], v[44:45] neg_lo:[0,0,1] neg_hi:[0,0,1]
	v_mov_b32_e32 v41, v47
	s_delay_alu instid0(VALU_DEP_1)
	v_pk_add_f32 v[42:43], v[40:41], 0 neg_lo:[1,1] neg_hi:[1,1]
	ds_store_b64 v62, v[42:43]
.LBB149_832:                            ;   in Loop: Header=BB149_3 Depth=1
	s_or_b32 exec_lo, exec_lo, s10
	s_wait_dscnt 0x0
	s_barrier_signal -1
	s_barrier_wait -1
	s_and_saveexec_b32 s10, s51
	s_cbranch_execz .LBB149_834
; %bb.833:                              ;   in Loop: Header=BB149_3 Depth=1
	ds_load_b64 v[42:43], v1 offset:512
	ds_load_b64 v[44:45], v62
	s_wait_dscnt 0x0
	v_pk_mul_f32 v[46:47], v[44:45], v[42:43] op_sel:[1,1] op_sel_hi:[0,1]
	s_delay_alu instid0(VALU_DEP_1) | instskip(SKIP_1) | instid1(VALU_DEP_2)
	v_pk_fma_f32 v[100:101], v[44:45], v[42:43], v[46:47] op_sel_hi:[1,0,1]
	v_pk_fma_f32 v[42:43], v[44:45], v[42:43], v[46:47] neg_lo:[0,0,1] neg_hi:[0,0,1]
	v_mov_b32_e32 v43, v101
	s_delay_alu instid0(VALU_DEP_1)
	v_pk_add_f32 v[40:41], v[40:41], v[42:43] neg_lo:[0,1] neg_hi:[0,1]
.LBB149_834:                            ;   in Loop: Header=BB149_3 Depth=1
	s_or_b32 exec_lo, exec_lo, s10
	s_barrier_signal -1
	s_barrier_wait -1
	s_and_saveexec_b32 s10, s51
	s_cbranch_execz .LBB149_836
; %bb.835:                              ;   in Loop: Header=BB149_3 Depth=1
	ds_load_b64 v[42:43], v1
	s_wait_dscnt 0x0
	v_pk_mul_f32 v[44:45], v[40:41], v[42:43] op_sel:[1,1] op_sel_hi:[1,0]
	s_delay_alu instid0(VALU_DEP_1) | instskip(SKIP_1) | instid1(VALU_DEP_2)
	v_pk_fma_f32 v[46:47], v[40:41], v[42:43], v[44:45] op_sel_hi:[0,1,1]
	v_pk_fma_f32 v[40:41], v[40:41], v[42:43], v[44:45] neg_lo:[0,0,1] neg_hi:[0,0,1]
	v_mov_b32_e32 v41, v47
	s_delay_alu instid0(VALU_DEP_1)
	v_pk_add_f32 v[42:43], v[40:41], 0 neg_lo:[1,1] neg_hi:[1,1]
	ds_store_b64 v62, v[42:43]
.LBB149_836:                            ;   in Loop: Header=BB149_3 Depth=1
	s_or_b32 exec_lo, exec_lo, s10
	s_wait_dscnt 0x0
	s_barrier_signal -1
	s_barrier_wait -1
	s_barrier_signal -1
	s_barrier_wait -1
	s_and_saveexec_b32 s10, s5
; %bb.837:                              ;   in Loop: Header=BB149_3 Depth=1
	ds_store_b64 v66, v[40:41] offset:15872
; %bb.838:                              ;   in Loop: Header=BB149_3 Depth=1
	s_or_b32 exec_lo, exec_lo, s10
	s_wait_dscnt 0x0
	s_barrier_signal -1
	s_barrier_wait -1
	s_barrier_signal -1
	s_barrier_wait -1
	s_and_saveexec_b32 s16, s52
	s_cbranch_execz .LBB149_840
; %bb.839:                              ;   in Loop: Header=BB149_3 Depth=1
	ds_load_b64 v[40:41], v72 offset:8192
	s_wait_dscnt 0x0
	ds_store_b64 v73, v[40:41] offset:128
	ds_load_b64 v[40:41], v72 offset:8200
	s_wait_dscnt 0x0
	ds_store_b64 v73, v[40:41] offset:640
	;; [unrolled: 3-line block ×16, first 2 shown]
.LBB149_840:                            ;   in Loop: Header=BB149_3 Depth=1
	s_or_b32 exec_lo, exec_lo, s16
	s_wait_dscnt 0x0
	s_barrier_signal -1
	s_barrier_wait -1
	s_and_saveexec_b32 s10, s15
	s_cbranch_execz .LBB149_842
; %bb.841:                              ;   in Loop: Header=BB149_3 Depth=1
	v_add_nc_u32_e64 v0, 0x70, 0
	ds_load_b64 v[44:45], v1 offset:7800
	ds_load_2addr_stride64_b64 v[40:43], v0 offset0:14 offset1:15
	s_wait_dscnt 0x0
	v_dual_mul_f32 v46, v45, v41 :: v_dual_mul_f32 v0, v44, v41
	s_delay_alu instid0(VALU_DEP_1) | instskip(NEXT) | instid1(VALU_DEP_1)
	v_xor_b32_e32 v46, 0x80000000, v46
	v_dual_fmac_f32 v0, v45, v40 :: v_dual_fmac_f32 v46, v44, v40
	s_delay_alu instid0(VALU_DEP_1) | instskip(SKIP_1) | instid1(VALU_DEP_2)
	v_pk_mul_f32 v[40:41], v[0:1], v[42:43] op_sel:[0,1] op_sel_hi:[0,0]
	v_add_nc_u32_e64 v0, 0x1800, 0
	v_pk_fma_f32 v[44:45], v[46:47], v[42:43], v[40:41] op_sel_hi:[0,1,1]
	v_pk_fma_f32 v[40:41], v[46:47], v[42:43], v[40:41] neg_lo:[0,0,1] neg_hi:[0,0,1]
	s_delay_alu instid0(VALU_DEP_2)
	v_mov_b32_e32 v41, v45
	ds_store_2addr_b64 v0, v[40:41], v[40:41] offset0:143 offset1:206
.LBB149_842:                            ;   in Loop: Header=BB149_3 Depth=1
	s_or_b32 exec_lo, exec_lo, s10
	v_dual_mov_b32 v40, 0 :: v_dual_mov_b32 v41, 0
	s_wait_dscnt 0x0
	s_barrier_signal -1
	s_barrier_wait -1
	global_wb scope:SCOPE_DEV
	s_wait_storecnt 0x0
	global_inv scope:SCOPE_DEV
	s_and_saveexec_b32 s16, s1
	s_cbranch_execz .LBB149_846
; %bb.843:                              ;   in Loop: Header=BB149_3 Depth=1
	ds_load_b64 v[40:41], v50 offset:7264
	ds_load_b64 v[42:43], v51 offset:7792
	s_wait_dscnt 0x0
	v_pk_mul_f32 v[44:45], v[42:43], v[40:41] op_sel:[1,1] op_sel_hi:[0,1]
	s_delay_alu instid0(VALU_DEP_1) | instskip(SKIP_1) | instid1(VALU_DEP_2)
	v_pk_fma_f32 v[46:47], v[42:43], v[40:41], v[44:45] op_sel_hi:[1,0,1]
	v_pk_fma_f32 v[40:41], v[42:43], v[40:41], v[44:45] neg_lo:[0,0,1] neg_hi:[0,0,1]
	v_mov_b32_e32 v41, v47
	s_delay_alu instid0(VALU_DEP_1)
	v_pk_add_f32 v[40:41], v[40:41], 0 op_sel_hi:[1,0]
	s_and_saveexec_b32 s10, s17
	s_cbranch_execz .LBB149_845
; %bb.844:                              ;   in Loop: Header=BB149_3 Depth=1
	ds_load_b64 v[42:43], v71 offset:7776
	ds_load_b64 v[44:45], v1 offset:7800
	s_wait_dscnt 0x0
	v_pk_mul_f32 v[46:47], v[44:45], v[42:43] op_sel:[1,1] op_sel_hi:[0,1]
	s_delay_alu instid0(VALU_DEP_1) | instskip(SKIP_1) | instid1(VALU_DEP_2)
	v_pk_fma_f32 v[100:101], v[44:45], v[42:43], v[46:47] op_sel_hi:[1,0,1]
	v_pk_fma_f32 v[42:43], v[44:45], v[42:43], v[46:47] neg_lo:[0,0,1] neg_hi:[0,0,1]
	v_mov_b32_e32 v43, v101
	s_delay_alu instid0(VALU_DEP_1)
	v_pk_add_f32 v[40:41], v[40:41], v[42:43]
.LBB149_845:                            ;   in Loop: Header=BB149_3 Depth=1
	s_or_b32 exec_lo, exec_lo, s10
.LBB149_846:                            ;   in Loop: Header=BB149_3 Depth=1
	s_delay_alu instid0(SALU_CYCLE_1)
	s_or_b32 exec_lo, exec_lo, s16
	s_and_saveexec_b32 s10, s91
	s_cbranch_execz .LBB149_848
; %bb.847:                              ;   in Loop: Header=BB149_3 Depth=1
	ds_load_b64 v[42:43], v1 offset:6760
	s_wait_dscnt 0x0
	v_pk_mul_f32 v[44:45], v[40:41], v[42:43] op_sel:[1,1] op_sel_hi:[1,0]
	s_delay_alu instid0(VALU_DEP_1) | instskip(SKIP_1) | instid1(VALU_DEP_2)
	v_pk_fma_f32 v[46:47], v[40:41], v[42:43], v[44:45] op_sel_hi:[0,1,1]
	v_pk_fma_f32 v[40:41], v[40:41], v[42:43], v[44:45] neg_lo:[0,0,1] neg_hi:[0,0,1]
	v_mov_b32_e32 v41, v47
	s_delay_alu instid0(VALU_DEP_1)
	v_pk_add_f32 v[42:43], v[40:41], 0 neg_lo:[1,1] neg_hi:[1,1]
	ds_store_b64 v3, v[42:43]
.LBB149_848:                            ;   in Loop: Header=BB149_3 Depth=1
	s_or_b32 exec_lo, exec_lo, s10
	s_wait_loadcnt_dscnt 0x0
	s_barrier_signal -1
	s_barrier_wait -1
	s_and_saveexec_b32 s10, s92
	s_cbranch_execz .LBB149_850
; %bb.849:                              ;   in Loop: Header=BB149_3 Depth=1
	ds_load_b64 v[42:43], v1 offset:6752
	ds_load_b64 v[44:45], v3
	s_wait_dscnt 0x0
	v_pk_mul_f32 v[46:47], v[44:45], v[42:43] op_sel:[1,1] op_sel_hi:[0,1]
	s_delay_alu instid0(VALU_DEP_1) | instskip(SKIP_1) | instid1(VALU_DEP_2)
	v_pk_fma_f32 v[100:101], v[44:45], v[42:43], v[46:47] op_sel_hi:[1,0,1]
	v_pk_fma_f32 v[42:43], v[44:45], v[42:43], v[46:47] neg_lo:[0,0,1] neg_hi:[0,0,1]
	v_mov_b32_e32 v43, v101
	s_delay_alu instid0(VALU_DEP_1)
	v_pk_add_f32 v[40:41], v[40:41], v[42:43] neg_lo:[0,1] neg_hi:[0,1]
.LBB149_850:                            ;   in Loop: Header=BB149_3 Depth=1
	s_or_b32 exec_lo, exec_lo, s10
	s_barrier_signal -1
	s_barrier_wait -1
	s_and_saveexec_b32 s10, s92
	s_cbranch_execz .LBB149_852
; %bb.851:                              ;   in Loop: Header=BB149_3 Depth=1
	ds_load_b64 v[42:43], v1 offset:6240
	s_wait_dscnt 0x0
	v_pk_mul_f32 v[44:45], v[40:41], v[42:43] op_sel:[1,1] op_sel_hi:[1,0]
	s_delay_alu instid0(VALU_DEP_1) | instskip(SKIP_1) | instid1(VALU_DEP_2)
	v_pk_fma_f32 v[46:47], v[40:41], v[42:43], v[44:45] op_sel_hi:[0,1,1]
	v_pk_fma_f32 v[40:41], v[40:41], v[42:43], v[44:45] neg_lo:[0,0,1] neg_hi:[0,0,1]
	v_mov_b32_e32 v41, v47
	s_delay_alu instid0(VALU_DEP_1)
	v_pk_add_f32 v[42:43], v[40:41], 0 neg_lo:[1,1] neg_hi:[1,1]
	ds_store_b64 v3, v[42:43]
.LBB149_852:                            ;   in Loop: Header=BB149_3 Depth=1
	s_or_b32 exec_lo, exec_lo, s10
	s_wait_dscnt 0x0
	s_barrier_signal -1
	s_barrier_wait -1
	s_barrier_signal -1
	s_barrier_wait -1
	s_and_saveexec_b32 s10, s1
; %bb.853:                              ;   in Loop: Header=BB149_3 Depth=1
	ds_store_b64 v52, v[40:41] offset:7776
; %bb.854:                              ;   in Loop: Header=BB149_3 Depth=1
	s_or_b32 exec_lo, exec_lo, s10
	s_wait_dscnt 0x0
	s_barrier_signal -1
	s_barrier_wait -1
	s_barrier_signal -1
	s_barrier_wait -1
	s_and_saveexec_b32 s10, s93
	s_cbranch_execz .LBB149_856
; %bb.855:                              ;   in Loop: Header=BB149_3 Depth=1
	ds_load_b64 v[40:41], v72 offset:7264
	s_wait_dscnt 0x0
	ds_store_b64 v71, v[40:41] offset:6256
	ds_load_b64 v[40:41], v72 offset:7272
	s_wait_dscnt 0x0
	ds_store_b64 v71, v[40:41] offset:6768
.LBB149_856:                            ;   in Loop: Header=BB149_3 Depth=1
	s_or_b32 exec_lo, exec_lo, s10
	s_wait_dscnt 0x0
	s_barrier_signal -1
	s_barrier_wait -1
	s_and_saveexec_b32 s10, s15
	s_cbranch_execz .LBB149_858
; %bb.857:                              ;   in Loop: Header=BB149_3 Depth=1
	v_add_nc_u32_e64 v0, 0x60, 0
	ds_load_b64 v[44:45], v1 offset:6760
	ds_load_2addr_stride64_b64 v[40:43], v0 offset0:12 offset1:13
	s_wait_dscnt 0x0
	v_dual_mul_f32 v46, v45, v41 :: v_dual_mul_f32 v0, v44, v41
	s_delay_alu instid0(VALU_DEP_1) | instskip(NEXT) | instid1(VALU_DEP_1)
	v_xor_b32_e32 v46, 0x80000000, v46
	v_dual_fmac_f32 v0, v45, v40 :: v_dual_fmac_f32 v46, v44, v40
	s_delay_alu instid0(VALU_DEP_1) | instskip(SKIP_1) | instid1(VALU_DEP_2)
	v_pk_mul_f32 v[40:41], v[0:1], v[42:43] op_sel:[0,1] op_sel_hi:[0,0]
	v_add_nc_u32_e64 v0, 0x1800, 0
	v_pk_fma_f32 v[44:45], v[46:47], v[42:43], v[40:41] op_sel_hi:[0,1,1]
	v_pk_fma_f32 v[40:41], v[46:47], v[42:43], v[40:41] neg_lo:[0,0,1] neg_hi:[0,0,1]
	s_delay_alu instid0(VALU_DEP_2)
	v_mov_b32_e32 v41, v45
	ds_store_2addr_b64 v0, v[40:41], v[40:41] offset0:13 offset1:76
.LBB149_858:                            ;   in Loop: Header=BB149_3 Depth=1
	s_or_b32 exec_lo, exec_lo, s10
	v_mov_b64_e32 v[40:41], 0
	s_wait_dscnt 0x0
	s_barrier_signal -1
	s_barrier_wait -1
	global_wb scope:SCOPE_DEV
	s_wait_storecnt 0x0
	global_inv scope:SCOPE_DEV
	s_and_saveexec_b32 s16, s3
	s_cbranch_execz .LBB149_864
; %bb.859:                              ;   in Loop: Header=BB149_3 Depth=1
	ds_load_b64 v[40:41], v54 offset:6208
	ds_load_b64 v[42:43], v55 offset:7776
	s_wait_dscnt 0x0
	v_dual_mul_f32 v0, v43, v41 :: v_dual_mul_f32 v41, v42, v41
	s_delay_alu instid0(VALU_DEP_1) | instskip(NEXT) | instid1(VALU_DEP_1)
	v_dual_fma_f32 v0, v42, v40, -v0 :: v_dual_fmac_f32 v41, v43, v40
	v_dual_add_f32 v40, 0, v0 :: v_dual_add_f32 v41, 0, v41
	s_and_saveexec_b32 s10, s18
	s_cbranch_execnz .LBB149_1150
; %bb.860:                              ;   in Loop: Header=BB149_3 Depth=1
	s_or_b32 exec_lo, exec_lo, s10
	s_and_saveexec_b32 s10, s19
	s_cbranch_execnz .LBB149_1151
.LBB149_861:                            ;   in Loop: Header=BB149_3 Depth=1
	s_or_b32 exec_lo, exec_lo, s10
	s_and_saveexec_b32 s10, s1
	s_cbranch_execz .LBB149_863
.LBB149_862:                            ;   in Loop: Header=BB149_3 Depth=1
	ds_load_b64 v[42:43], v73 offset:7744
	ds_load_b64 v[44:45], v1 offset:7800
	s_wait_dscnt 0x0
	v_dual_mul_f32 v0, v45, v43 :: v_dual_mul_f32 v43, v44, v43
	s_delay_alu instid0(VALU_DEP_1) | instskip(NEXT) | instid1(VALU_DEP_1)
	v_dual_fma_f32 v0, v44, v42, -v0 :: v_dual_fmac_f32 v43, v45, v42
	v_dual_add_f32 v40, v40, v0 :: v_dual_add_f32 v41, v41, v43
.LBB149_863:                            ;   in Loop: Header=BB149_3 Depth=1
	s_or_b32 exec_lo, exec_lo, s10
.LBB149_864:                            ;   in Loop: Header=BB149_3 Depth=1
	s_delay_alu instid0(SALU_CYCLE_1)
	s_or_b32 exec_lo, exec_lo, s16
	s_and_saveexec_b32 s10, s94
	s_cbranch_execz .LBB149_866
; %bb.865:                              ;   in Loop: Header=BB149_3 Depth=1
	ds_load_b64 v[42:43], v1 offset:5720
	s_wait_dscnt 0x0
	v_dual_mul_f32 v0, v41, v42 :: v_dual_mul_f32 v44, v41, v43
	s_delay_alu instid0(VALU_DEP_1) | instskip(NEXT) | instid1(VALU_DEP_2)
	v_pk_fma_f32 v[46:47], v[40:41], v[42:43], v[0:1] op_sel:[1,0,0] op_sel_hi:[0,1,0]
	v_pk_fma_f32 v[40:41], v[40:41], v[42:43], v[44:45] op_sel_hi:[1,1,0] neg_lo:[0,0,1] neg_hi:[0,0,1]
	s_delay_alu instid0(VALU_DEP_2) | instskip(NEXT) | instid1(VALU_DEP_1)
	v_mov_b32_e32 v41, v47
	v_pk_add_f32 v[42:43], v[40:41], 0 neg_lo:[1,1] neg_hi:[1,1]
	ds_store_b64 v53, v[42:43]
.LBB149_866:                            ;   in Loop: Header=BB149_3 Depth=1
	s_or_b32 exec_lo, exec_lo, s10
	s_wait_loadcnt_dscnt 0x0
	s_barrier_signal -1
	s_barrier_wait -1
	s_and_saveexec_b32 s10, s95
	s_cbranch_execz .LBB149_868
; %bb.867:                              ;   in Loop: Header=BB149_3 Depth=1
	ds_load_b64 v[42:43], v54 offset:5696
	ds_load_b64 v[44:45], v53
	s_wait_dscnt 0x0
	v_pk_mul_f32 v[46:47], v[44:45], v[42:43] op_sel:[1,1] op_sel_hi:[0,1]
	s_delay_alu instid0(VALU_DEP_1) | instskip(SKIP_1) | instid1(VALU_DEP_2)
	v_pk_fma_f32 v[100:101], v[44:45], v[42:43], v[46:47] op_sel_hi:[1,0,1]
	v_pk_fma_f32 v[42:43], v[44:45], v[42:43], v[46:47] neg_lo:[0,0,1] neg_hi:[0,0,1]
	v_mov_b32_e32 v43, v101
	s_delay_alu instid0(VALU_DEP_1)
	v_pk_add_f32 v[40:41], v[40:41], v[42:43] neg_lo:[0,1] neg_hi:[0,1]
.LBB149_868:                            ;   in Loop: Header=BB149_3 Depth=1
	s_or_b32 exec_lo, exec_lo, s10
	s_barrier_signal -1
	s_barrier_wait -1
	s_and_saveexec_b32 s10, s96
	s_cbranch_execz .LBB149_870
; %bb.869:                              ;   in Loop: Header=BB149_3 Depth=1
	ds_load_b64 v[42:43], v1 offset:5200
	s_wait_dscnt 0x0
	v_pk_mul_f32 v[44:45], v[40:41], v[42:43] op_sel:[1,1] op_sel_hi:[1,0]
	s_delay_alu instid0(VALU_DEP_1) | instskip(SKIP_1) | instid1(VALU_DEP_2)
	v_pk_fma_f32 v[46:47], v[40:41], v[42:43], v[44:45] op_sel_hi:[0,1,1]
	v_pk_fma_f32 v[40:41], v[40:41], v[42:43], v[44:45] neg_lo:[0,0,1] neg_hi:[0,0,1]
	v_mov_b32_e32 v41, v47
	s_delay_alu instid0(VALU_DEP_1)
	v_pk_add_f32 v[42:43], v[40:41], 0 neg_lo:[1,1] neg_hi:[1,1]
	ds_store_b64 v53, v[42:43]
.LBB149_870:                            ;   in Loop: Header=BB149_3 Depth=1
	s_or_b32 exec_lo, exec_lo, s10
	s_wait_dscnt 0x0
	s_barrier_signal -1
	s_barrier_wait -1
	s_and_saveexec_b32 s10, s97
	s_cbranch_execz .LBB149_872
; %bb.871:                              ;   in Loop: Header=BB149_3 Depth=1
	ds_load_b64 v[42:43], v54 offset:5184
	ds_load_b64 v[44:45], v53
	s_wait_dscnt 0x0
	v_pk_mul_f32 v[46:47], v[44:45], v[42:43] op_sel:[1,1] op_sel_hi:[0,1]
	s_delay_alu instid0(VALU_DEP_1) | instskip(SKIP_1) | instid1(VALU_DEP_2)
	v_pk_fma_f32 v[100:101], v[44:45], v[42:43], v[46:47] op_sel_hi:[1,0,1]
	v_pk_fma_f32 v[42:43], v[44:45], v[42:43], v[46:47] neg_lo:[0,0,1] neg_hi:[0,0,1]
	v_mov_b32_e32 v43, v101
	s_delay_alu instid0(VALU_DEP_1)
	v_pk_add_f32 v[40:41], v[40:41], v[42:43] neg_lo:[0,1] neg_hi:[0,1]
.LBB149_872:                            ;   in Loop: Header=BB149_3 Depth=1
	s_or_b32 exec_lo, exec_lo, s10
	s_barrier_signal -1
	s_barrier_wait -1
	s_and_saveexec_b32 s10, s98
	s_cbranch_execz .LBB149_874
; %bb.873:                              ;   in Loop: Header=BB149_3 Depth=1
	ds_load_b64 v[42:43], v1 offset:4680
	s_wait_dscnt 0x0
	v_pk_mul_f32 v[44:45], v[40:41], v[42:43] op_sel:[1,1] op_sel_hi:[1,0]
	s_delay_alu instid0(VALU_DEP_1) | instskip(SKIP_1) | instid1(VALU_DEP_2)
	v_pk_fma_f32 v[46:47], v[40:41], v[42:43], v[44:45] op_sel_hi:[0,1,1]
	v_pk_fma_f32 v[40:41], v[40:41], v[42:43], v[44:45] neg_lo:[0,0,1] neg_hi:[0,0,1]
	v_mov_b32_e32 v41, v47
	s_delay_alu instid0(VALU_DEP_1)
	v_pk_add_f32 v[42:43], v[40:41], 0 neg_lo:[1,1] neg_hi:[1,1]
	ds_store_b64 v53, v[42:43]
.LBB149_874:                            ;   in Loop: Header=BB149_3 Depth=1
	s_or_b32 exec_lo, exec_lo, s10
	s_wait_dscnt 0x0
	;; [unrolled: 35-line block ×3, first 2 shown]
	s_barrier_signal -1
	s_barrier_wait -1
	s_barrier_signal -1
	s_barrier_wait -1
	s_and_saveexec_b32 s10, s3
; %bb.879:                              ;   in Loop: Header=BB149_3 Depth=1
	ds_store_b64 v57, v[40:41] offset:7744
; %bb.880:                              ;   in Loop: Header=BB149_3 Depth=1
	s_or_b32 exec_lo, exec_lo, s10
	s_wait_dscnt 0x0
	s_barrier_signal -1
	s_barrier_wait -1
	s_barrier_signal -1
	s_barrier_wait -1
	s_and_saveexec_b32 s10, s100
	s_cbranch_execz .LBB149_882
; %bb.881:                              ;   in Loop: Header=BB149_3 Depth=1
	ds_load_b64 v[40:41], v5 offset:6208
	s_wait_dscnt 0x0
	ds_store_b64 v74, v[40:41] offset:4192
	ds_load_b64 v[40:41], v5 offset:6216
	s_wait_dscnt 0x0
	ds_store_b64 v74, v[40:41] offset:4704
	;; [unrolled: 3-line block ×4, first 2 shown]
.LBB149_882:                            ;   in Loop: Header=BB149_3 Depth=1
	s_or_b32 exec_lo, exec_lo, s10
	s_wait_dscnt 0x0
	s_barrier_signal -1
	s_barrier_wait -1
	s_and_saveexec_b32 s10, s15
	s_cbranch_execz .LBB149_884
; %bb.883:                              ;   in Loop: Header=BB149_3 Depth=1
	v_add_nc_u32_e64 v0, 0x50, 0
	ds_load_b64 v[44:45], v1 offset:5720
	ds_load_2addr_stride64_b64 v[40:43], v0 offset0:10 offset1:11
	s_wait_dscnt 0x0
	v_dual_mul_f32 v46, v45, v41 :: v_dual_mul_f32 v0, v44, v41
	s_delay_alu instid0(VALU_DEP_1) | instskip(NEXT) | instid1(VALU_DEP_1)
	v_xor_b32_e32 v46, 0x80000000, v46
	v_dual_fmac_f32 v0, v45, v40 :: v_dual_fmac_f32 v46, v44, v40
	s_delay_alu instid0(VALU_DEP_1) | instskip(SKIP_1) | instid1(VALU_DEP_2)
	v_pk_mul_f32 v[40:41], v[0:1], v[42:43] op_sel:[0,1] op_sel_hi:[0,0]
	v_add_nc_u32_e64 v0, 0x1000, 0
	v_pk_fma_f32 v[44:45], v[46:47], v[42:43], v[40:41] op_sel_hi:[0,1,1]
	v_pk_fma_f32 v[40:41], v[46:47], v[42:43], v[40:41] neg_lo:[0,0,1] neg_hi:[0,0,1]
	s_delay_alu instid0(VALU_DEP_2)
	v_mov_b32_e32 v41, v45
	ds_store_2addr_b64 v0, v[40:41], v[40:41] offset0:139 offset1:202
.LBB149_884:                            ;   in Loop: Header=BB149_3 Depth=1
	s_or_b32 exec_lo, exec_lo, s10
	v_dual_mov_b32 v40, 0 :: v_dual_mov_b32 v41, 0
	s_wait_dscnt 0x0
	s_barrier_signal -1
	s_barrier_wait -1
	global_wb scope:SCOPE_DEV
	s_wait_storecnt 0x0
	global_inv scope:SCOPE_DEV
	s_and_saveexec_b32 s16, s1
	s_cbranch_execz .LBB149_888
; %bb.885:                              ;   in Loop: Header=BB149_3 Depth=1
	ds_load_b64 v[40:41], v50 offset:5184
	ds_load_b64 v[42:43], v51 offset:5712
	s_wait_dscnt 0x0
	v_pk_mul_f32 v[44:45], v[42:43], v[40:41] op_sel:[1,1] op_sel_hi:[0,1]
	s_delay_alu instid0(VALU_DEP_1) | instskip(SKIP_1) | instid1(VALU_DEP_2)
	v_pk_fma_f32 v[46:47], v[42:43], v[40:41], v[44:45] op_sel_hi:[1,0,1]
	v_pk_fma_f32 v[40:41], v[42:43], v[40:41], v[44:45] neg_lo:[0,0,1] neg_hi:[0,0,1]
	v_mov_b32_e32 v41, v47
	s_delay_alu instid0(VALU_DEP_1)
	v_pk_add_f32 v[40:41], v[40:41], 0 op_sel_hi:[1,0]
	s_and_saveexec_b32 s10, s17
	s_cbranch_execz .LBB149_887
; %bb.886:                              ;   in Loop: Header=BB149_3 Depth=1
	ds_load_b64 v[42:43], v74 offset:5696
	ds_load_b64 v[44:45], v1 offset:5720
	s_wait_dscnt 0x0
	v_pk_mul_f32 v[46:47], v[44:45], v[42:43] op_sel:[1,1] op_sel_hi:[0,1]
	s_delay_alu instid0(VALU_DEP_1) | instskip(SKIP_1) | instid1(VALU_DEP_2)
	v_pk_fma_f32 v[100:101], v[44:45], v[42:43], v[46:47] op_sel_hi:[1,0,1]
	v_pk_fma_f32 v[42:43], v[44:45], v[42:43], v[46:47] neg_lo:[0,0,1] neg_hi:[0,0,1]
	v_mov_b32_e32 v43, v101
	s_delay_alu instid0(VALU_DEP_1)
	v_pk_add_f32 v[40:41], v[40:41], v[42:43]
.LBB149_887:                            ;   in Loop: Header=BB149_3 Depth=1
	s_or_b32 exec_lo, exec_lo, s10
.LBB149_888:                            ;   in Loop: Header=BB149_3 Depth=1
	s_delay_alu instid0(SALU_CYCLE_1)
	s_or_b32 exec_lo, exec_lo, s16
	s_and_saveexec_b32 s10, s91
	s_cbranch_execz .LBB149_890
; %bb.889:                              ;   in Loop: Header=BB149_3 Depth=1
	ds_load_b64 v[42:43], v1 offset:4680
	s_wait_dscnt 0x0
	v_pk_mul_f32 v[44:45], v[40:41], v[42:43] op_sel:[1,1] op_sel_hi:[1,0]
	s_delay_alu instid0(VALU_DEP_1) | instskip(SKIP_1) | instid1(VALU_DEP_2)
	v_pk_fma_f32 v[46:47], v[40:41], v[42:43], v[44:45] op_sel_hi:[0,1,1]
	v_pk_fma_f32 v[40:41], v[40:41], v[42:43], v[44:45] neg_lo:[0,0,1] neg_hi:[0,0,1]
	v_mov_b32_e32 v41, v47
	s_delay_alu instid0(VALU_DEP_1)
	v_pk_add_f32 v[42:43], v[40:41], 0 neg_lo:[1,1] neg_hi:[1,1]
	ds_store_b64 v3, v[42:43]
.LBB149_890:                            ;   in Loop: Header=BB149_3 Depth=1
	s_or_b32 exec_lo, exec_lo, s10
	s_wait_loadcnt_dscnt 0x0
	s_barrier_signal -1
	s_barrier_wait -1
	s_and_saveexec_b32 s10, s92
	s_cbranch_execz .LBB149_892
; %bb.891:                              ;   in Loop: Header=BB149_3 Depth=1
	ds_load_b64 v[42:43], v1 offset:4672
	ds_load_b64 v[44:45], v3
	s_wait_dscnt 0x0
	v_pk_mul_f32 v[46:47], v[44:45], v[42:43] op_sel:[1,1] op_sel_hi:[0,1]
	s_delay_alu instid0(VALU_DEP_1) | instskip(SKIP_1) | instid1(VALU_DEP_2)
	v_pk_fma_f32 v[100:101], v[44:45], v[42:43], v[46:47] op_sel_hi:[1,0,1]
	v_pk_fma_f32 v[42:43], v[44:45], v[42:43], v[46:47] neg_lo:[0,0,1] neg_hi:[0,0,1]
	v_mov_b32_e32 v43, v101
	s_delay_alu instid0(VALU_DEP_1)
	v_pk_add_f32 v[40:41], v[40:41], v[42:43] neg_lo:[0,1] neg_hi:[0,1]
.LBB149_892:                            ;   in Loop: Header=BB149_3 Depth=1
	s_or_b32 exec_lo, exec_lo, s10
	s_barrier_signal -1
	s_barrier_wait -1
	s_and_saveexec_b32 s10, s92
	s_cbranch_execz .LBB149_894
; %bb.893:                              ;   in Loop: Header=BB149_3 Depth=1
	ds_load_b64 v[42:43], v1 offset:4160
	s_wait_dscnt 0x0
	v_pk_mul_f32 v[44:45], v[40:41], v[42:43] op_sel:[1,1] op_sel_hi:[1,0]
	s_delay_alu instid0(VALU_DEP_1) | instskip(SKIP_1) | instid1(VALU_DEP_2)
	v_pk_fma_f32 v[46:47], v[40:41], v[42:43], v[44:45] op_sel_hi:[0,1,1]
	v_pk_fma_f32 v[40:41], v[40:41], v[42:43], v[44:45] neg_lo:[0,0,1] neg_hi:[0,0,1]
	v_mov_b32_e32 v41, v47
	s_delay_alu instid0(VALU_DEP_1)
	v_pk_add_f32 v[42:43], v[40:41], 0 neg_lo:[1,1] neg_hi:[1,1]
	ds_store_b64 v3, v[42:43]
.LBB149_894:                            ;   in Loop: Header=BB149_3 Depth=1
	s_or_b32 exec_lo, exec_lo, s10
	s_wait_dscnt 0x0
	s_barrier_signal -1
	s_barrier_wait -1
	s_barrier_signal -1
	s_barrier_wait -1
	s_and_saveexec_b32 s10, s1
; %bb.895:                              ;   in Loop: Header=BB149_3 Depth=1
	ds_store_b64 v52, v[40:41] offset:5696
; %bb.896:                              ;   in Loop: Header=BB149_3 Depth=1
	s_or_b32 exec_lo, exec_lo, s10
	s_wait_dscnt 0x0
	s_barrier_signal -1
	s_barrier_wait -1
	s_barrier_signal -1
	s_barrier_wait -1
	s_and_saveexec_b32 s10, s93
	s_cbranch_execz .LBB149_898
; %bb.897:                              ;   in Loop: Header=BB149_3 Depth=1
	ds_load_b64 v[40:41], v75 offset:5184
	s_wait_dscnt 0x0
	ds_store_b64 v74, v[40:41] offset:4176
	ds_load_b64 v[40:41], v75 offset:5192
	s_wait_dscnt 0x0
	ds_store_b64 v74, v[40:41] offset:4688
.LBB149_898:                            ;   in Loop: Header=BB149_3 Depth=1
	s_or_b32 exec_lo, exec_lo, s10
	s_wait_dscnt 0x0
	s_barrier_signal -1
	s_barrier_wait -1
	s_and_saveexec_b32 s10, s15
	s_cbranch_execz .LBB149_900
; %bb.899:                              ;   in Loop: Header=BB149_3 Depth=1
	v_add_nc_u32_e64 v0, 64, 0
	ds_load_b64 v[44:45], v1 offset:4680
	ds_load_2addr_stride64_b64 v[40:43], v0 offset0:8 offset1:9
	s_wait_dscnt 0x0
	v_dual_mul_f32 v46, v45, v41 :: v_dual_mul_f32 v0, v44, v41
	s_delay_alu instid0(VALU_DEP_1) | instskip(NEXT) | instid1(VALU_DEP_1)
	v_xor_b32_e32 v46, 0x80000000, v46
	v_dual_fmac_f32 v0, v45, v40 :: v_dual_fmac_f32 v46, v44, v40
	s_delay_alu instid0(VALU_DEP_1) | instskip(SKIP_1) | instid1(VALU_DEP_2)
	v_pk_mul_f32 v[40:41], v[0:1], v[42:43] op_sel:[0,1] op_sel_hi:[0,0]
	v_add_nc_u32_e64 v0, 0x1000, 0
	v_pk_fma_f32 v[44:45], v[46:47], v[42:43], v[40:41] op_sel_hi:[0,1,1]
	v_pk_fma_f32 v[40:41], v[46:47], v[42:43], v[40:41] neg_lo:[0,0,1] neg_hi:[0,0,1]
	s_delay_alu instid0(VALU_DEP_2)
	v_mov_b32_e32 v41, v45
	ds_store_2addr_b64 v0, v[40:41], v[40:41] offset0:9 offset1:72
.LBB149_900:                            ;   in Loop: Header=BB149_3 Depth=1
	s_or_b32 exec_lo, exec_lo, s10
	v_mov_b64_e32 v[40:41], 0
	s_wait_dscnt 0x0
	s_barrier_signal -1
	s_barrier_wait -1
	global_wb scope:SCOPE_DEV
	s_wait_storecnt 0x0
	global_inv scope:SCOPE_DEV
	s_and_saveexec_b32 s16, s4
	s_cbranch_execz .LBB149_910
; %bb.901:                              ;   in Loop: Header=BB149_3 Depth=1
	ds_load_b64 v[40:41], v59 offset:4096
	ds_load_b64 v[42:43], v60 offset:7744
	s_wait_dscnt 0x0
	v_dual_mul_f32 v0, v43, v41 :: v_dual_mul_f32 v41, v42, v41
	s_delay_alu instid0(VALU_DEP_1) | instskip(NEXT) | instid1(VALU_DEP_1)
	v_dual_fma_f32 v0, v42, v40, -v0 :: v_dual_fmac_f32 v41, v43, v40
	v_dual_add_f32 v40, 0, v0 :: v_dual_add_f32 v41, 0, v41
	s_and_saveexec_b32 s10, s20
	s_cbranch_execnz .LBB149_1152
; %bb.902:                              ;   in Loop: Header=BB149_3 Depth=1
	s_or_b32 exec_lo, exec_lo, s10
	s_and_saveexec_b32 s10, s21
	s_cbranch_execnz .LBB149_1153
.LBB149_903:                            ;   in Loop: Header=BB149_3 Depth=1
	s_or_b32 exec_lo, exec_lo, s10
	s_and_saveexec_b32 s10, s22
	s_cbranch_execnz .LBB149_1154
.LBB149_904:                            ;   in Loop: Header=BB149_3 Depth=1
	s_or_b32 exec_lo, exec_lo, s10
	s_and_saveexec_b32 s10, s23
	s_cbranch_execnz .LBB149_1155
.LBB149_905:                            ;   in Loop: Header=BB149_3 Depth=1
	s_or_b32 exec_lo, exec_lo, s10
	s_and_saveexec_b32 s10, s24
	s_cbranch_execnz .LBB149_1156
.LBB149_906:                            ;   in Loop: Header=BB149_3 Depth=1
	s_or_b32 exec_lo, exec_lo, s10
	s_and_saveexec_b32 s10, s3
	s_cbranch_execnz .LBB149_1157
.LBB149_907:                            ;   in Loop: Header=BB149_3 Depth=1
	s_or_b32 exec_lo, exec_lo, s10
	s_and_saveexec_b32 s10, s19
	s_cbranch_execz .LBB149_909
.LBB149_908:                            ;   in Loop: Header=BB149_3 Depth=1
	ds_load_b64 v[42:43], v76 offset:7680
	ds_load_b64 v[44:45], v1 offset:7800
	s_wait_dscnt 0x0
	v_dual_mul_f32 v0, v45, v43 :: v_dual_mul_f32 v47, v44, v43
	s_delay_alu instid0(VALU_DEP_1) | instskip(NEXT) | instid1(VALU_DEP_1)
	v_dual_fma_f32 v46, v44, v42, -v0 :: v_dual_fmac_f32 v47, v45, v42
	v_pk_add_f32 v[40:41], v[40:41], v[46:47]
.LBB149_909:                            ;   in Loop: Header=BB149_3 Depth=1
	s_or_b32 exec_lo, exec_lo, s10
.LBB149_910:                            ;   in Loop: Header=BB149_3 Depth=1
	s_delay_alu instid0(SALU_CYCLE_1)
	s_or_b32 exec_lo, exec_lo, s16
	s_and_saveexec_b32 s10, s101
	s_cbranch_execz .LBB149_912
; %bb.911:                              ;   in Loop: Header=BB149_3 Depth=1
	ds_load_b64 v[42:43], v1 offset:3640
	s_wait_dscnt 0x0
	v_pk_mul_f32 v[44:45], v[40:41], v[42:43] op_sel:[1,1] op_sel_hi:[1,0]
	s_delay_alu instid0(VALU_DEP_1) | instskip(SKIP_1) | instid1(VALU_DEP_2)
	v_pk_fma_f32 v[46:47], v[40:41], v[42:43], v[44:45] op_sel_hi:[0,1,1]
	v_pk_fma_f32 v[40:41], v[40:41], v[42:43], v[44:45] neg_lo:[0,0,1] neg_hi:[0,0,1]
	v_mov_b32_e32 v41, v47
	s_delay_alu instid0(VALU_DEP_1)
	v_pk_add_f32 v[42:43], v[40:41], 0 neg_lo:[1,1] neg_hi:[1,1]
	ds_store_b64 v58, v[42:43]
.LBB149_912:                            ;   in Loop: Header=BB149_3 Depth=1
	s_or_b32 exec_lo, exec_lo, s10
	s_wait_loadcnt_dscnt 0x0
	s_barrier_signal -1
	s_barrier_wait -1
	s_and_saveexec_b32 s10, s102
	s_cbranch_execz .LBB149_914
; %bb.913:                              ;   in Loop: Header=BB149_3 Depth=1
	ds_load_b64 v[42:43], v59 offset:3584
	ds_load_b64 v[44:45], v58
	s_wait_dscnt 0x0
	v_pk_mul_f32 v[46:47], v[44:45], v[42:43] op_sel:[1,1] op_sel_hi:[0,1]
	s_delay_alu instid0(VALU_DEP_1) | instskip(SKIP_1) | instid1(VALU_DEP_2)
	v_pk_fma_f32 v[100:101], v[44:45], v[42:43], v[46:47] op_sel_hi:[1,0,1]
	v_pk_fma_f32 v[42:43], v[44:45], v[42:43], v[46:47] neg_lo:[0,0,1] neg_hi:[0,0,1]
	v_mov_b32_e32 v43, v101
	s_delay_alu instid0(VALU_DEP_1)
	v_pk_add_f32 v[40:41], v[40:41], v[42:43] neg_lo:[0,1] neg_hi:[0,1]
.LBB149_914:                            ;   in Loop: Header=BB149_3 Depth=1
	s_or_b32 exec_lo, exec_lo, s10
	s_barrier_signal -1
	s_barrier_wait -1
	s_and_saveexec_b32 s10, s103
	s_cbranch_execz .LBB149_916
; %bb.915:                              ;   in Loop: Header=BB149_3 Depth=1
	ds_load_b64 v[42:43], v1 offset:3120
	s_wait_dscnt 0x0
	v_pk_mul_f32 v[44:45], v[40:41], v[42:43] op_sel:[1,1] op_sel_hi:[1,0]
	s_delay_alu instid0(VALU_DEP_1) | instskip(SKIP_1) | instid1(VALU_DEP_2)
	v_pk_fma_f32 v[46:47], v[40:41], v[42:43], v[44:45] op_sel_hi:[0,1,1]
	v_pk_fma_f32 v[40:41], v[40:41], v[42:43], v[44:45] neg_lo:[0,0,1] neg_hi:[0,0,1]
	v_mov_b32_e32 v41, v47
	s_delay_alu instid0(VALU_DEP_1)
	v_pk_add_f32 v[42:43], v[40:41], 0 neg_lo:[1,1] neg_hi:[1,1]
	ds_store_b64 v58, v[42:43]
.LBB149_916:                            ;   in Loop: Header=BB149_3 Depth=1
	s_or_b32 exec_lo, exec_lo, s10
	s_wait_dscnt 0x0
	s_barrier_signal -1
	s_barrier_wait -1
	s_and_saveexec_b32 s10, s104
	s_cbranch_execz .LBB149_918
; %bb.917:                              ;   in Loop: Header=BB149_3 Depth=1
	ds_load_b64 v[42:43], v59 offset:3072
	ds_load_b64 v[44:45], v58
	s_wait_dscnt 0x0
	v_pk_mul_f32 v[46:47], v[44:45], v[42:43] op_sel:[1,1] op_sel_hi:[0,1]
	s_delay_alu instid0(VALU_DEP_1) | instskip(SKIP_1) | instid1(VALU_DEP_2)
	v_pk_fma_f32 v[100:101], v[44:45], v[42:43], v[46:47] op_sel_hi:[1,0,1]
	v_pk_fma_f32 v[42:43], v[44:45], v[42:43], v[46:47] neg_lo:[0,0,1] neg_hi:[0,0,1]
	v_mov_b32_e32 v43, v101
	s_delay_alu instid0(VALU_DEP_1)
	v_pk_add_f32 v[40:41], v[40:41], v[42:43] neg_lo:[0,1] neg_hi:[0,1]
.LBB149_918:                            ;   in Loop: Header=BB149_3 Depth=1
	s_or_b32 exec_lo, exec_lo, s10
	s_barrier_signal -1
	s_barrier_wait -1
	s_and_saveexec_b32 s10, vcc_hi
	s_cbranch_execz .LBB149_920
; %bb.919:                              ;   in Loop: Header=BB149_3 Depth=1
	ds_load_b64 v[42:43], v1 offset:2600
	s_wait_dscnt 0x0
	v_pk_mul_f32 v[44:45], v[40:41], v[42:43] op_sel:[1,1] op_sel_hi:[1,0]
	s_delay_alu instid0(VALU_DEP_1) | instskip(SKIP_1) | instid1(VALU_DEP_2)
	v_pk_fma_f32 v[46:47], v[40:41], v[42:43], v[44:45] op_sel_hi:[0,1,1]
	v_pk_fma_f32 v[40:41], v[40:41], v[42:43], v[44:45] neg_lo:[0,0,1] neg_hi:[0,0,1]
	v_mov_b32_e32 v41, v47
	s_delay_alu instid0(VALU_DEP_1)
	v_pk_add_f32 v[42:43], v[40:41], 0 neg_lo:[1,1] neg_hi:[1,1]
	ds_store_b64 v58, v[42:43]
.LBB149_920:                            ;   in Loop: Header=BB149_3 Depth=1
	s_or_b32 exec_lo, exec_lo, s10
	s_wait_dscnt 0x0
	s_barrier_signal -1
	s_barrier_wait -1
	s_and_saveexec_b32 s10, s40
	s_cbranch_execz .LBB149_922
; %bb.921:                              ;   in Loop: Header=BB149_3 Depth=1
	ds_load_b64 v[42:43], v59 offset:2560
	ds_load_b64 v[44:45], v58
	s_wait_dscnt 0x0
	v_pk_mul_f32 v[46:47], v[44:45], v[42:43] op_sel:[1,1] op_sel_hi:[0,1]
	s_delay_alu instid0(VALU_DEP_1) | instskip(SKIP_1) | instid1(VALU_DEP_2)
	v_pk_fma_f32 v[100:101], v[44:45], v[42:43], v[46:47] op_sel_hi:[1,0,1]
	v_pk_fma_f32 v[42:43], v[44:45], v[42:43], v[46:47] neg_lo:[0,0,1] neg_hi:[0,0,1]
	v_mov_b32_e32 v43, v101
	s_delay_alu instid0(VALU_DEP_1)
	v_pk_add_f32 v[40:41], v[40:41], v[42:43] neg_lo:[0,1] neg_hi:[0,1]
.LBB149_922:                            ;   in Loop: Header=BB149_3 Depth=1
	s_or_b32 exec_lo, exec_lo, s10
	s_barrier_signal -1
	s_barrier_wait -1
	s_and_saveexec_b32 s10, s41
	s_cbranch_execz .LBB149_924
; %bb.923:                              ;   in Loop: Header=BB149_3 Depth=1
	ds_load_b64 v[42:43], v1 offset:2080
	s_wait_dscnt 0x0
	v_pk_mul_f32 v[44:45], v[40:41], v[42:43]
	v_pk_mul_f32 v[40:41], v[40:41], v[42:43] op_sel:[1,0] op_sel_hi:[0,1]
	s_delay_alu instid0(VALU_DEP_1) | instskip(NEXT) | instid1(VALU_DEP_3)
	v_dual_mov_b32 v42, v44 :: v_dual_mov_b32 v43, v40
	v_mov_b32_e32 v40, v45
	s_delay_alu instid0(VALU_DEP_1) | instskip(SKIP_1) | instid1(VALU_DEP_2)
	v_pk_add_f32 v[44:45], v[42:43], v[40:41]
	v_pk_add_f32 v[40:41], v[42:43], v[40:41] neg_lo:[0,1] neg_hi:[0,1]
	v_mov_b32_e32 v41, v45
	s_delay_alu instid0(VALU_DEP_1)
	v_pk_add_f32 v[42:43], v[40:41], 0 neg_lo:[1,1] neg_hi:[1,1]
	ds_store_b64 v58, v[42:43]
.LBB149_924:                            ;   in Loop: Header=BB149_3 Depth=1
	s_or_b32 exec_lo, exec_lo, s10
	s_wait_dscnt 0x0
	s_barrier_signal -1
	s_barrier_wait -1
	s_and_saveexec_b32 s10, s42
	s_cbranch_execz .LBB149_926
; %bb.925:                              ;   in Loop: Header=BB149_3 Depth=1
	ds_load_b64 v[42:43], v59 offset:2048
	ds_load_b64 v[44:45], v58
	s_wait_dscnt 0x0
	v_dual_mul_f32 v0, v45, v43 :: v_dual_mul_f32 v43, v44, v43
	s_delay_alu instid0(VALU_DEP_1) | instskip(NEXT) | instid1(VALU_DEP_1)
	v_dual_fma_f32 v0, v44, v42, -v0 :: v_dual_fmac_f32 v43, v45, v42
	v_dual_sub_f32 v40, v40, v0 :: v_dual_sub_f32 v41, v41, v43
.LBB149_926:                            ;   in Loop: Header=BB149_3 Depth=1
	s_or_b32 exec_lo, exec_lo, s10
	s_barrier_signal -1
	s_barrier_wait -1
	s_and_saveexec_b32 s10, s43
	s_cbranch_execz .LBB149_928
; %bb.927:                              ;   in Loop: Header=BB149_3 Depth=1
	ds_load_b64 v[42:43], v1 offset:1560
	s_wait_dscnt 0x0
	v_dual_mul_f32 v0, v41, v42 :: v_dual_mul_f32 v44, v41, v43
	s_delay_alu instid0(VALU_DEP_1) | instskip(NEXT) | instid1(VALU_DEP_2)
	v_pk_fma_f32 v[46:47], v[40:41], v[42:43], v[0:1] op_sel:[1,0,0] op_sel_hi:[0,1,0]
	v_pk_fma_f32 v[40:41], v[40:41], v[42:43], v[44:45] op_sel_hi:[1,1,0] neg_lo:[0,0,1] neg_hi:[0,0,1]
	s_delay_alu instid0(VALU_DEP_2) | instskip(NEXT) | instid1(VALU_DEP_1)
	v_mov_b32_e32 v41, v47
	v_pk_add_f32 v[42:43], v[40:41], 0 neg_lo:[1,1] neg_hi:[1,1]
	ds_store_b64 v58, v[42:43]
.LBB149_928:                            ;   in Loop: Header=BB149_3 Depth=1
	s_or_b32 exec_lo, exec_lo, s10
	s_wait_dscnt 0x0
	s_barrier_signal -1
	s_barrier_wait -1
	s_and_saveexec_b32 s10, s44
	s_cbranch_execz .LBB149_930
; %bb.929:                              ;   in Loop: Header=BB149_3 Depth=1
	ds_load_b64 v[42:43], v59 offset:1536
	ds_load_b64 v[44:45], v58
	s_wait_dscnt 0x0
	v_pk_mul_f32 v[46:47], v[44:45], v[42:43] op_sel:[1,1] op_sel_hi:[0,1]
	s_delay_alu instid0(VALU_DEP_1) | instskip(SKIP_1) | instid1(VALU_DEP_2)
	v_pk_fma_f32 v[100:101], v[44:45], v[42:43], v[46:47] op_sel_hi:[1,0,1]
	v_pk_fma_f32 v[42:43], v[44:45], v[42:43], v[46:47] neg_lo:[0,0,1] neg_hi:[0,0,1]
	v_mov_b32_e32 v43, v101
	s_delay_alu instid0(VALU_DEP_1)
	v_pk_add_f32 v[40:41], v[40:41], v[42:43] neg_lo:[0,1] neg_hi:[0,1]
.LBB149_930:                            ;   in Loop: Header=BB149_3 Depth=1
	s_or_b32 exec_lo, exec_lo, s10
	s_barrier_signal -1
	s_barrier_wait -1
	s_and_saveexec_b32 s10, s45
	s_cbranch_execz .LBB149_932
; %bb.931:                              ;   in Loop: Header=BB149_3 Depth=1
	ds_load_b64 v[42:43], v1 offset:1040
	s_wait_dscnt 0x0
	v_pk_mul_f32 v[44:45], v[40:41], v[42:43] op_sel:[1,1] op_sel_hi:[1,0]
	s_delay_alu instid0(VALU_DEP_1) | instskip(SKIP_1) | instid1(VALU_DEP_2)
	v_pk_fma_f32 v[46:47], v[40:41], v[42:43], v[44:45] op_sel_hi:[0,1,1]
	v_pk_fma_f32 v[40:41], v[40:41], v[42:43], v[44:45] neg_lo:[0,0,1] neg_hi:[0,0,1]
	v_mov_b32_e32 v41, v47
	s_delay_alu instid0(VALU_DEP_1)
	v_pk_add_f32 v[42:43], v[40:41], 0 neg_lo:[1,1] neg_hi:[1,1]
	ds_store_b64 v58, v[42:43]
.LBB149_932:                            ;   in Loop: Header=BB149_3 Depth=1
	s_or_b32 exec_lo, exec_lo, s10
	s_wait_dscnt 0x0
	s_barrier_signal -1
	s_barrier_wait -1
	s_and_saveexec_b32 s10, s46
	s_cbranch_execz .LBB149_934
; %bb.933:                              ;   in Loop: Header=BB149_3 Depth=1
	ds_load_b64 v[42:43], v59 offset:1024
	ds_load_b64 v[44:45], v58
	s_wait_dscnt 0x0
	v_pk_mul_f32 v[46:47], v[44:45], v[42:43] op_sel:[1,1] op_sel_hi:[0,1]
	s_delay_alu instid0(VALU_DEP_1) | instskip(SKIP_1) | instid1(VALU_DEP_2)
	v_pk_fma_f32 v[100:101], v[44:45], v[42:43], v[46:47] op_sel_hi:[1,0,1]
	v_pk_fma_f32 v[42:43], v[44:45], v[42:43], v[46:47] neg_lo:[0,0,1] neg_hi:[0,0,1]
	v_mov_b32_e32 v43, v101
	s_delay_alu instid0(VALU_DEP_1)
	v_pk_add_f32 v[40:41], v[40:41], v[42:43] neg_lo:[0,1] neg_hi:[0,1]
.LBB149_934:                            ;   in Loop: Header=BB149_3 Depth=1
	s_or_b32 exec_lo, exec_lo, s10
	s_barrier_signal -1
	s_barrier_wait -1
	s_and_saveexec_b32 s10, s47
	s_cbranch_execz .LBB149_936
; %bb.935:                              ;   in Loop: Header=BB149_3 Depth=1
	ds_load_b64 v[42:43], v1 offset:520
	s_wait_dscnt 0x0
	v_pk_mul_f32 v[44:45], v[40:41], v[42:43] op_sel:[1,1] op_sel_hi:[1,0]
	s_delay_alu instid0(VALU_DEP_1) | instskip(SKIP_1) | instid1(VALU_DEP_2)
	v_pk_fma_f32 v[46:47], v[40:41], v[42:43], v[44:45] op_sel_hi:[0,1,1]
	v_pk_fma_f32 v[40:41], v[40:41], v[42:43], v[44:45] neg_lo:[0,0,1] neg_hi:[0,0,1]
	v_mov_b32_e32 v41, v47
	s_delay_alu instid0(VALU_DEP_1)
	v_pk_add_f32 v[42:43], v[40:41], 0 neg_lo:[1,1] neg_hi:[1,1]
	ds_store_b64 v58, v[42:43]
.LBB149_936:                            ;   in Loop: Header=BB149_3 Depth=1
	s_or_b32 exec_lo, exec_lo, s10
	s_wait_dscnt 0x0
	s_barrier_signal -1
	s_barrier_wait -1
	s_and_saveexec_b32 s10, s48
	s_cbranch_execz .LBB149_938
; %bb.937:                              ;   in Loop: Header=BB149_3 Depth=1
	ds_load_b64 v[42:43], v1 offset:512
	ds_load_b64 v[44:45], v58
	s_wait_dscnt 0x0
	v_pk_mul_f32 v[46:47], v[44:45], v[42:43] op_sel:[1,1] op_sel_hi:[0,1]
	s_delay_alu instid0(VALU_DEP_1) | instskip(SKIP_1) | instid1(VALU_DEP_2)
	v_pk_fma_f32 v[100:101], v[44:45], v[42:43], v[46:47] op_sel_hi:[1,0,1]
	v_pk_fma_f32 v[42:43], v[44:45], v[42:43], v[46:47] neg_lo:[0,0,1] neg_hi:[0,0,1]
	v_mov_b32_e32 v43, v101
	s_delay_alu instid0(VALU_DEP_1)
	v_pk_add_f32 v[40:41], v[40:41], v[42:43] neg_lo:[0,1] neg_hi:[0,1]
.LBB149_938:                            ;   in Loop: Header=BB149_3 Depth=1
	s_or_b32 exec_lo, exec_lo, s10
	s_barrier_signal -1
	s_barrier_wait -1
	s_and_saveexec_b32 s10, s48
	s_cbranch_execz .LBB149_940
; %bb.939:                              ;   in Loop: Header=BB149_3 Depth=1
	ds_load_b64 v[42:43], v1
	s_wait_dscnt 0x0
	v_pk_mul_f32 v[44:45], v[40:41], v[42:43] op_sel:[1,1] op_sel_hi:[1,0]
	s_delay_alu instid0(VALU_DEP_1) | instskip(SKIP_1) | instid1(VALU_DEP_2)
	v_pk_fma_f32 v[46:47], v[40:41], v[42:43], v[44:45] op_sel_hi:[0,1,1]
	v_pk_fma_f32 v[40:41], v[40:41], v[42:43], v[44:45] neg_lo:[0,0,1] neg_hi:[0,0,1]
	v_mov_b32_e32 v41, v47
	s_delay_alu instid0(VALU_DEP_1)
	v_pk_add_f32 v[42:43], v[40:41], 0 neg_lo:[1,1] neg_hi:[1,1]
	ds_store_b64 v58, v[42:43]
.LBB149_940:                            ;   in Loop: Header=BB149_3 Depth=1
	s_or_b32 exec_lo, exec_lo, s10
	s_wait_dscnt 0x0
	s_barrier_signal -1
	s_barrier_wait -1
	s_barrier_signal -1
	s_barrier_wait -1
	s_and_saveexec_b32 s10, s4
; %bb.941:                              ;   in Loop: Header=BB149_3 Depth=1
	ds_store_b64 v61, v[40:41] offset:7680
; %bb.942:                              ;   in Loop: Header=BB149_3 Depth=1
	s_or_b32 exec_lo, exec_lo, s10
	s_wait_dscnt 0x0
	s_barrier_signal -1
	s_barrier_wait -1
	s_barrier_signal -1
	s_barrier_wait -1
	s_and_saveexec_b32 s10, s49
	s_cbranch_execz .LBB149_944
; %bb.943:                              ;   in Loop: Header=BB149_3 Depth=1
	ds_load_b64 v[40:41], v78 offset:4096
	s_wait_dscnt 0x0
	ds_store_b64 v79, v[40:41] offset:64
	ds_load_b64 v[40:41], v78 offset:4104
	s_wait_dscnt 0x0
	ds_store_b64 v79, v[40:41] offset:576
	;; [unrolled: 3-line block ×8, first 2 shown]
.LBB149_944:                            ;   in Loop: Header=BB149_3 Depth=1
	s_or_b32 exec_lo, exec_lo, s10
	s_wait_dscnt 0x0
	s_barrier_signal -1
	s_barrier_wait -1
	s_and_saveexec_b32 s10, s15
	s_cbranch_execz .LBB149_946
; %bb.945:                              ;   in Loop: Header=BB149_3 Depth=1
	v_add_nc_u32_e64 v0, 48, 0
	ds_load_b64 v[44:45], v1 offset:3640
	ds_load_2addr_stride64_b64 v[40:43], v0 offset0:6 offset1:7
	s_wait_dscnt 0x0
	v_dual_mul_f32 v46, v45, v41 :: v_dual_mul_f32 v0, v44, v41
	s_delay_alu instid0(VALU_DEP_1) | instskip(NEXT) | instid1(VALU_DEP_1)
	v_xor_b32_e32 v46, 0x80000000, v46
	v_dual_fmac_f32 v0, v45, v40 :: v_dual_fmac_f32 v46, v44, v40
	s_delay_alu instid0(VALU_DEP_1) | instskip(SKIP_1) | instid1(VALU_DEP_2)
	v_pk_mul_f32 v[40:41], v[0:1], v[42:43] op_sel:[0,1] op_sel_hi:[0,0]
	v_add_nc_u32_e64 v0, 0x800, 0
	v_pk_fma_f32 v[44:45], v[46:47], v[42:43], v[40:41] op_sel_hi:[0,1,1]
	v_pk_fma_f32 v[40:41], v[46:47], v[42:43], v[40:41] neg_lo:[0,0,1] neg_hi:[0,0,1]
	s_delay_alu instid0(VALU_DEP_2)
	v_mov_b32_e32 v41, v45
	ds_store_2addr_b64 v0, v[40:41], v[40:41] offset0:135 offset1:198
.LBB149_946:                            ;   in Loop: Header=BB149_3 Depth=1
	s_or_b32 exec_lo, exec_lo, s10
	v_dual_mov_b32 v40, 0 :: v_dual_mov_b32 v41, 0
	s_wait_dscnt 0x0
	s_barrier_signal -1
	s_barrier_wait -1
	global_wb scope:SCOPE_DEV
	s_wait_storecnt 0x0
	global_inv scope:SCOPE_DEV
	s_and_saveexec_b32 s16, s1
	s_cbranch_execz .LBB149_950
; %bb.947:                              ;   in Loop: Header=BB149_3 Depth=1
	ds_load_b64 v[40:41], v50 offset:3104
	ds_load_b64 v[42:43], v51 offset:3632
	s_wait_dscnt 0x0
	v_pk_mul_f32 v[44:45], v[42:43], v[40:41] op_sel:[1,1] op_sel_hi:[0,1]
	s_delay_alu instid0(VALU_DEP_1) | instskip(SKIP_1) | instid1(VALU_DEP_2)
	v_pk_fma_f32 v[46:47], v[42:43], v[40:41], v[44:45] op_sel_hi:[1,0,1]
	v_pk_fma_f32 v[40:41], v[42:43], v[40:41], v[44:45] neg_lo:[0,0,1] neg_hi:[0,0,1]
	v_mov_b32_e32 v41, v47
	s_delay_alu instid0(VALU_DEP_1)
	v_pk_add_f32 v[40:41], v[40:41], 0 op_sel_hi:[1,0]
	s_and_saveexec_b32 s10, s17
	s_cbranch_execz .LBB149_949
; %bb.948:                              ;   in Loop: Header=BB149_3 Depth=1
	ds_load_b64 v[42:43], v79 offset:3616
	ds_load_b64 v[44:45], v1 offset:3640
	s_wait_dscnt 0x0
	v_pk_mul_f32 v[46:47], v[44:45], v[42:43] op_sel:[1,1] op_sel_hi:[0,1]
	s_delay_alu instid0(VALU_DEP_1) | instskip(SKIP_1) | instid1(VALU_DEP_2)
	v_pk_fma_f32 v[100:101], v[44:45], v[42:43], v[46:47] op_sel_hi:[1,0,1]
	v_pk_fma_f32 v[42:43], v[44:45], v[42:43], v[46:47] neg_lo:[0,0,1] neg_hi:[0,0,1]
	v_mov_b32_e32 v43, v101
	s_delay_alu instid0(VALU_DEP_1)
	v_pk_add_f32 v[40:41], v[40:41], v[42:43]
.LBB149_949:                            ;   in Loop: Header=BB149_3 Depth=1
	s_or_b32 exec_lo, exec_lo, s10
.LBB149_950:                            ;   in Loop: Header=BB149_3 Depth=1
	s_delay_alu instid0(SALU_CYCLE_1)
	s_or_b32 exec_lo, exec_lo, s16
	s_and_saveexec_b32 s10, s91
	s_cbranch_execz .LBB149_952
; %bb.951:                              ;   in Loop: Header=BB149_3 Depth=1
	ds_load_b64 v[42:43], v1 offset:2600
	s_wait_dscnt 0x0
	v_pk_mul_f32 v[44:45], v[40:41], v[42:43] op_sel:[1,1] op_sel_hi:[1,0]
	s_delay_alu instid0(VALU_DEP_1) | instskip(SKIP_1) | instid1(VALU_DEP_2)
	v_pk_fma_f32 v[46:47], v[40:41], v[42:43], v[44:45] op_sel_hi:[0,1,1]
	v_pk_fma_f32 v[40:41], v[40:41], v[42:43], v[44:45] neg_lo:[0,0,1] neg_hi:[0,0,1]
	v_mov_b32_e32 v41, v47
	s_delay_alu instid0(VALU_DEP_1)
	v_pk_add_f32 v[42:43], v[40:41], 0 neg_lo:[1,1] neg_hi:[1,1]
	ds_store_b64 v3, v[42:43]
.LBB149_952:                            ;   in Loop: Header=BB149_3 Depth=1
	s_or_b32 exec_lo, exec_lo, s10
	s_wait_loadcnt_dscnt 0x0
	s_barrier_signal -1
	s_barrier_wait -1
	s_and_saveexec_b32 s10, s92
	s_cbranch_execz .LBB149_954
; %bb.953:                              ;   in Loop: Header=BB149_3 Depth=1
	ds_load_b64 v[42:43], v1 offset:2592
	ds_load_b64 v[44:45], v3
	s_wait_dscnt 0x0
	v_pk_mul_f32 v[46:47], v[44:45], v[42:43] op_sel:[1,1] op_sel_hi:[0,1]
	s_delay_alu instid0(VALU_DEP_1) | instskip(SKIP_1) | instid1(VALU_DEP_2)
	v_pk_fma_f32 v[100:101], v[44:45], v[42:43], v[46:47] op_sel_hi:[1,0,1]
	v_pk_fma_f32 v[42:43], v[44:45], v[42:43], v[46:47] neg_lo:[0,0,1] neg_hi:[0,0,1]
	v_mov_b32_e32 v43, v101
	s_delay_alu instid0(VALU_DEP_1)
	v_pk_add_f32 v[40:41], v[40:41], v[42:43] neg_lo:[0,1] neg_hi:[0,1]
.LBB149_954:                            ;   in Loop: Header=BB149_3 Depth=1
	s_or_b32 exec_lo, exec_lo, s10
	s_barrier_signal -1
	s_barrier_wait -1
	s_and_saveexec_b32 s10, s92
	s_cbranch_execz .LBB149_956
; %bb.955:                              ;   in Loop: Header=BB149_3 Depth=1
	ds_load_b64 v[42:43], v1 offset:2080
	s_wait_dscnt 0x0
	v_pk_mul_f32 v[44:45], v[40:41], v[42:43] op_sel:[1,1] op_sel_hi:[1,0]
	s_delay_alu instid0(VALU_DEP_1) | instskip(SKIP_1) | instid1(VALU_DEP_2)
	v_pk_fma_f32 v[46:47], v[40:41], v[42:43], v[44:45] op_sel_hi:[0,1,1]
	v_pk_fma_f32 v[40:41], v[40:41], v[42:43], v[44:45] neg_lo:[0,0,1] neg_hi:[0,0,1]
	v_mov_b32_e32 v41, v47
	s_delay_alu instid0(VALU_DEP_1)
	v_pk_add_f32 v[42:43], v[40:41], 0 neg_lo:[1,1] neg_hi:[1,1]
	ds_store_b64 v3, v[42:43]
.LBB149_956:                            ;   in Loop: Header=BB149_3 Depth=1
	s_or_b32 exec_lo, exec_lo, s10
	s_wait_dscnt 0x0
	s_barrier_signal -1
	s_barrier_wait -1
	s_barrier_signal -1
	s_barrier_wait -1
	s_and_saveexec_b32 s10, s1
; %bb.957:                              ;   in Loop: Header=BB149_3 Depth=1
	ds_store_b64 v52, v[40:41] offset:3616
; %bb.958:                              ;   in Loop: Header=BB149_3 Depth=1
	s_or_b32 exec_lo, exec_lo, s10
	s_wait_dscnt 0x0
	s_barrier_signal -1
	s_barrier_wait -1
	s_barrier_signal -1
	s_barrier_wait -1
	s_and_saveexec_b32 s10, s93
	s_cbranch_execz .LBB149_960
; %bb.959:                              ;   in Loop: Header=BB149_3 Depth=1
	ds_load_b64 v[40:41], v81 offset:3104
	s_wait_dscnt 0x0
	ds_store_b64 v79, v[40:41] offset:2096
	ds_load_b64 v[40:41], v81 offset:3112
	s_wait_dscnt 0x0
	ds_store_b64 v79, v[40:41] offset:2608
.LBB149_960:                            ;   in Loop: Header=BB149_3 Depth=1
	s_or_b32 exec_lo, exec_lo, s10
	s_wait_dscnt 0x0
	s_barrier_signal -1
	s_barrier_wait -1
	s_and_saveexec_b32 s10, s15
	s_cbranch_execz .LBB149_962
; %bb.961:                              ;   in Loop: Header=BB149_3 Depth=1
	v_add_nc_u32_e64 v0, 32, 0
	ds_load_b64 v[44:45], v1 offset:2600
	ds_load_2addr_stride64_b64 v[40:43], v0 offset0:4 offset1:5
	s_wait_dscnt 0x0
	v_dual_mul_f32 v46, v45, v41 :: v_dual_mul_f32 v0, v44, v41
	s_delay_alu instid0(VALU_DEP_1) | instskip(NEXT) | instid1(VALU_DEP_1)
	v_xor_b32_e32 v46, 0x80000000, v46
	v_dual_fmac_f32 v0, v45, v40 :: v_dual_fmac_f32 v46, v44, v40
	s_delay_alu instid0(VALU_DEP_1) | instskip(SKIP_1) | instid1(VALU_DEP_2)
	v_pk_mul_f32 v[40:41], v[0:1], v[42:43] op_sel:[0,1] op_sel_hi:[0,0]
	v_add_nc_u32_e64 v0, 0x800, 0
	v_pk_fma_f32 v[44:45], v[46:47], v[42:43], v[40:41] op_sel_hi:[0,1,1]
	v_pk_fma_f32 v[40:41], v[46:47], v[42:43], v[40:41] neg_lo:[0,0,1] neg_hi:[0,0,1]
	s_delay_alu instid0(VALU_DEP_2)
	v_mov_b32_e32 v41, v45
	ds_store_2addr_b64 v0, v[40:41], v[40:41] offset0:5 offset1:68
.LBB149_962:                            ;   in Loop: Header=BB149_3 Depth=1
	s_or_b32 exec_lo, exec_lo, s10
	v_mov_b64_e32 v[40:41], 0
	s_wait_dscnt 0x0
	s_barrier_signal -1
	s_barrier_wait -1
	global_wb scope:SCOPE_DEV
	s_wait_storecnt 0x0
	global_inv scope:SCOPE_DEV
	s_and_saveexec_b32 s16, s3
	s_cbranch_execz .LBB149_968
; %bb.963:                              ;   in Loop: Header=BB149_3 Depth=1
	ds_load_b64 v[40:41], v54 offset:2048
	ds_load_b64 v[42:43], v55 offset:3616
	s_wait_dscnt 0x0
	v_dual_mul_f32 v0, v43, v41 :: v_dual_mul_f32 v41, v42, v41
	s_delay_alu instid0(VALU_DEP_1) | instskip(NEXT) | instid1(VALU_DEP_1)
	v_dual_fma_f32 v0, v42, v40, -v0 :: v_dual_fmac_f32 v41, v43, v40
	v_dual_add_f32 v40, 0, v0 :: v_dual_add_f32 v41, 0, v41
	s_and_saveexec_b32 s10, s18
	s_cbranch_execnz .LBB149_1158
; %bb.964:                              ;   in Loop: Header=BB149_3 Depth=1
	s_or_b32 exec_lo, exec_lo, s10
	s_and_saveexec_b32 s10, s19
	s_cbranch_execnz .LBB149_1159
.LBB149_965:                            ;   in Loop: Header=BB149_3 Depth=1
	s_or_b32 exec_lo, exec_lo, s10
	s_and_saveexec_b32 s10, s1
	s_cbranch_execz .LBB149_967
.LBB149_966:                            ;   in Loop: Header=BB149_3 Depth=1
	ds_load_b64 v[42:43], v83 offset:3584
	ds_load_b64 v[44:45], v1 offset:3640
	s_wait_dscnt 0x0
	v_dual_mul_f32 v0, v45, v43 :: v_dual_mul_f32 v43, v44, v43
	s_delay_alu instid0(VALU_DEP_1) | instskip(NEXT) | instid1(VALU_DEP_1)
	v_dual_fma_f32 v0, v44, v42, -v0 :: v_dual_fmac_f32 v43, v45, v42
	v_dual_add_f32 v40, v40, v0 :: v_dual_add_f32 v41, v41, v43
.LBB149_967:                            ;   in Loop: Header=BB149_3 Depth=1
	s_or_b32 exec_lo, exec_lo, s10
.LBB149_968:                            ;   in Loop: Header=BB149_3 Depth=1
	s_delay_alu instid0(SALU_CYCLE_1)
	s_or_b32 exec_lo, exec_lo, s16
	s_and_saveexec_b32 s10, s94
	s_cbranch_execz .LBB149_970
; %bb.969:                              ;   in Loop: Header=BB149_3 Depth=1
	ds_load_b64 v[42:43], v1 offset:1560
	s_wait_dscnt 0x0
	v_dual_mul_f32 v0, v41, v42 :: v_dual_mul_f32 v44, v41, v43
	s_delay_alu instid0(VALU_DEP_1) | instskip(NEXT) | instid1(VALU_DEP_2)
	v_pk_fma_f32 v[46:47], v[40:41], v[42:43], v[0:1] op_sel:[1,0,0] op_sel_hi:[0,1,0]
	v_pk_fma_f32 v[40:41], v[40:41], v[42:43], v[44:45] op_sel_hi:[1,1,0] neg_lo:[0,0,1] neg_hi:[0,0,1]
	s_delay_alu instid0(VALU_DEP_2) | instskip(NEXT) | instid1(VALU_DEP_1)
	v_mov_b32_e32 v41, v47
	v_pk_add_f32 v[42:43], v[40:41], 0 neg_lo:[1,1] neg_hi:[1,1]
	ds_store_b64 v53, v[42:43]
.LBB149_970:                            ;   in Loop: Header=BB149_3 Depth=1
	s_or_b32 exec_lo, exec_lo, s10
	s_wait_loadcnt_dscnt 0x0
	s_barrier_signal -1
	s_barrier_wait -1
	s_and_saveexec_b32 s10, s95
	s_cbranch_execz .LBB149_972
; %bb.971:                              ;   in Loop: Header=BB149_3 Depth=1
	ds_load_b64 v[42:43], v54 offset:1536
	ds_load_b64 v[44:45], v53
	s_wait_dscnt 0x0
	v_pk_mul_f32 v[46:47], v[44:45], v[42:43] op_sel:[1,1] op_sel_hi:[0,1]
	s_delay_alu instid0(VALU_DEP_1) | instskip(SKIP_1) | instid1(VALU_DEP_2)
	v_pk_fma_f32 v[100:101], v[44:45], v[42:43], v[46:47] op_sel_hi:[1,0,1]
	v_pk_fma_f32 v[42:43], v[44:45], v[42:43], v[46:47] neg_lo:[0,0,1] neg_hi:[0,0,1]
	v_mov_b32_e32 v43, v101
	s_delay_alu instid0(VALU_DEP_1)
	v_pk_add_f32 v[40:41], v[40:41], v[42:43] neg_lo:[0,1] neg_hi:[0,1]
.LBB149_972:                            ;   in Loop: Header=BB149_3 Depth=1
	s_or_b32 exec_lo, exec_lo, s10
	s_barrier_signal -1
	s_barrier_wait -1
	s_and_saveexec_b32 s10, s96
	s_cbranch_execz .LBB149_974
; %bb.973:                              ;   in Loop: Header=BB149_3 Depth=1
	ds_load_b64 v[42:43], v1 offset:1040
	s_wait_dscnt 0x0
	v_pk_mul_f32 v[44:45], v[40:41], v[42:43] op_sel:[1,1] op_sel_hi:[1,0]
	s_delay_alu instid0(VALU_DEP_1) | instskip(SKIP_1) | instid1(VALU_DEP_2)
	v_pk_fma_f32 v[46:47], v[40:41], v[42:43], v[44:45] op_sel_hi:[0,1,1]
	v_pk_fma_f32 v[40:41], v[40:41], v[42:43], v[44:45] neg_lo:[0,0,1] neg_hi:[0,0,1]
	v_mov_b32_e32 v41, v47
	s_delay_alu instid0(VALU_DEP_1)
	v_pk_add_f32 v[42:43], v[40:41], 0 neg_lo:[1,1] neg_hi:[1,1]
	ds_store_b64 v53, v[42:43]
.LBB149_974:                            ;   in Loop: Header=BB149_3 Depth=1
	s_or_b32 exec_lo, exec_lo, s10
	s_wait_dscnt 0x0
	s_barrier_signal -1
	s_barrier_wait -1
	s_and_saveexec_b32 s10, s97
	s_cbranch_execz .LBB149_976
; %bb.975:                              ;   in Loop: Header=BB149_3 Depth=1
	ds_load_b64 v[42:43], v54 offset:1024
	ds_load_b64 v[44:45], v53
	s_wait_dscnt 0x0
	v_pk_mul_f32 v[46:47], v[44:45], v[42:43] op_sel:[1,1] op_sel_hi:[0,1]
	s_delay_alu instid0(VALU_DEP_1) | instskip(SKIP_1) | instid1(VALU_DEP_2)
	v_pk_fma_f32 v[100:101], v[44:45], v[42:43], v[46:47] op_sel_hi:[1,0,1]
	v_pk_fma_f32 v[42:43], v[44:45], v[42:43], v[46:47] neg_lo:[0,0,1] neg_hi:[0,0,1]
	v_mov_b32_e32 v43, v101
	s_delay_alu instid0(VALU_DEP_1)
	v_pk_add_f32 v[40:41], v[40:41], v[42:43] neg_lo:[0,1] neg_hi:[0,1]
.LBB149_976:                            ;   in Loop: Header=BB149_3 Depth=1
	s_or_b32 exec_lo, exec_lo, s10
	s_barrier_signal -1
	s_barrier_wait -1
	s_and_saveexec_b32 s10, s98
	s_cbranch_execz .LBB149_978
; %bb.977:                              ;   in Loop: Header=BB149_3 Depth=1
	ds_load_b64 v[42:43], v1 offset:520
	s_wait_dscnt 0x0
	v_pk_mul_f32 v[44:45], v[40:41], v[42:43] op_sel:[1,1] op_sel_hi:[1,0]
	s_delay_alu instid0(VALU_DEP_1) | instskip(SKIP_1) | instid1(VALU_DEP_2)
	v_pk_fma_f32 v[46:47], v[40:41], v[42:43], v[44:45] op_sel_hi:[0,1,1]
	v_pk_fma_f32 v[40:41], v[40:41], v[42:43], v[44:45] neg_lo:[0,0,1] neg_hi:[0,0,1]
	v_mov_b32_e32 v41, v47
	s_delay_alu instid0(VALU_DEP_1)
	v_pk_add_f32 v[42:43], v[40:41], 0 neg_lo:[1,1] neg_hi:[1,1]
	ds_store_b64 v53, v[42:43]
.LBB149_978:                            ;   in Loop: Header=BB149_3 Depth=1
	s_or_b32 exec_lo, exec_lo, s10
	s_wait_dscnt 0x0
	s_barrier_signal -1
	s_barrier_wait -1
	s_and_saveexec_b32 s10, s99
	s_cbranch_execz .LBB149_980
; %bb.979:                              ;   in Loop: Header=BB149_3 Depth=1
	ds_load_b64 v[42:43], v1 offset:512
	ds_load_b64 v[44:45], v53
	s_wait_dscnt 0x0
	v_pk_mul_f32 v[46:47], v[44:45], v[42:43] op_sel:[1,1] op_sel_hi:[0,1]
	s_delay_alu instid0(VALU_DEP_1) | instskip(SKIP_1) | instid1(VALU_DEP_2)
	v_pk_fma_f32 v[100:101], v[44:45], v[42:43], v[46:47] op_sel_hi:[1,0,1]
	v_pk_fma_f32 v[42:43], v[44:45], v[42:43], v[46:47] neg_lo:[0,0,1] neg_hi:[0,0,1]
	v_mov_b32_e32 v43, v101
	s_delay_alu instid0(VALU_DEP_1)
	v_pk_add_f32 v[40:41], v[40:41], v[42:43] neg_lo:[0,1] neg_hi:[0,1]
.LBB149_980:                            ;   in Loop: Header=BB149_3 Depth=1
	s_or_b32 exec_lo, exec_lo, s10
	s_barrier_signal -1
	s_barrier_wait -1
	s_and_saveexec_b32 s10, s99
	s_cbranch_execz .LBB149_982
; %bb.981:                              ;   in Loop: Header=BB149_3 Depth=1
	ds_load_b64 v[42:43], v1
	s_wait_dscnt 0x0
	v_pk_mul_f32 v[44:45], v[40:41], v[42:43] op_sel:[1,1] op_sel_hi:[1,0]
	s_delay_alu instid0(VALU_DEP_1) | instskip(SKIP_1) | instid1(VALU_DEP_2)
	v_pk_fma_f32 v[46:47], v[40:41], v[42:43], v[44:45] op_sel_hi:[0,1,1]
	v_pk_fma_f32 v[40:41], v[40:41], v[42:43], v[44:45] neg_lo:[0,0,1] neg_hi:[0,0,1]
	v_mov_b32_e32 v41, v47
	s_delay_alu instid0(VALU_DEP_1)
	v_pk_add_f32 v[42:43], v[40:41], 0 neg_lo:[1,1] neg_hi:[1,1]
	ds_store_b64 v53, v[42:43]
.LBB149_982:                            ;   in Loop: Header=BB149_3 Depth=1
	s_or_b32 exec_lo, exec_lo, s10
	s_wait_dscnt 0x0
	s_barrier_signal -1
	s_barrier_wait -1
	s_barrier_signal -1
	s_barrier_wait -1
	s_and_saveexec_b32 s10, s3
; %bb.983:                              ;   in Loop: Header=BB149_3 Depth=1
	ds_store_b64 v57, v[40:41] offset:3584
; %bb.984:                              ;   in Loop: Header=BB149_3 Depth=1
	s_or_b32 exec_lo, exec_lo, s10
	s_wait_dscnt 0x0
	s_barrier_signal -1
	s_barrier_wait -1
	s_barrier_signal -1
	s_barrier_wait -1
	s_and_saveexec_b32 s10, s100
	s_cbranch_execz .LBB149_986
; %bb.985:                              ;   in Loop: Header=BB149_3 Depth=1
	ds_load_b64 v[40:41], v84 offset:2048
	s_wait_dscnt 0x0
	ds_store_b64 v85, v[40:41] offset:32
	ds_load_b64 v[40:41], v84 offset:2056
	s_wait_dscnt 0x0
	ds_store_b64 v85, v[40:41] offset:544
	;; [unrolled: 3-line block ×4, first 2 shown]
.LBB149_986:                            ;   in Loop: Header=BB149_3 Depth=1
	s_or_b32 exec_lo, exec_lo, s10
	s_wait_dscnt 0x0
	s_barrier_signal -1
	s_barrier_wait -1
	s_and_saveexec_b32 s10, s15
	s_cbranch_execz .LBB149_988
; %bb.987:                              ;   in Loop: Header=BB149_3 Depth=1
	ds_load_2addr_b64 v[40:43], v1 offset0:130 offset1:194
	ds_load_b64 v[44:45], v1 offset:1560
	s_wait_dscnt 0x0
	v_dual_mul_f32 v46, v45, v41 :: v_dual_mul_f32 v0, v44, v41
	s_delay_alu instid0(VALU_DEP_1) | instskip(NEXT) | instid1(VALU_DEP_1)
	v_xor_b32_e32 v46, 0x80000000, v46
	v_dual_fmac_f32 v0, v45, v40 :: v_dual_fmac_f32 v46, v44, v40
	s_delay_alu instid0(VALU_DEP_1) | instskip(NEXT) | instid1(VALU_DEP_1)
	v_pk_mul_f32 v[40:41], v[0:1], v[42:43] op_sel:[0,1] op_sel_hi:[0,0]
	v_pk_fma_f32 v[44:45], v[46:47], v[42:43], v[40:41] op_sel_hi:[0,1,1]
	v_pk_fma_f32 v[40:41], v[46:47], v[42:43], v[40:41] neg_lo:[0,0,1] neg_hi:[0,0,1]
	s_delay_alu instid0(VALU_DEP_2)
	v_mov_b32_e32 v41, v45
	ds_store_2addr_b64 v1, v[40:41], v[40:41] offset0:131 offset1:194
.LBB149_988:                            ;   in Loop: Header=BB149_3 Depth=1
	s_or_b32 exec_lo, exec_lo, s10
	v_dual_mov_b32 v40, 0 :: v_dual_mov_b32 v41, 0
	s_wait_dscnt 0x0
	s_barrier_signal -1
	s_barrier_wait -1
	global_wb scope:SCOPE_DEV
	s_wait_storecnt 0x0
	global_inv scope:SCOPE_DEV
	s_and_saveexec_b32 s16, s1
	s_cbranch_execz .LBB149_992
; %bb.989:                              ;   in Loop: Header=BB149_3 Depth=1
	ds_load_b64 v[40:41], v50 offset:1024
	ds_load_b64 v[42:43], v51 offset:1552
	s_wait_dscnt 0x0
	v_pk_mul_f32 v[44:45], v[42:43], v[40:41] op_sel:[1,1] op_sel_hi:[0,1]
	s_delay_alu instid0(VALU_DEP_1) | instskip(SKIP_1) | instid1(VALU_DEP_2)
	v_pk_fma_f32 v[46:47], v[42:43], v[40:41], v[44:45] op_sel_hi:[1,0,1]
	v_pk_fma_f32 v[40:41], v[42:43], v[40:41], v[44:45] neg_lo:[0,0,1] neg_hi:[0,0,1]
	v_mov_b32_e32 v41, v47
	s_delay_alu instid0(VALU_DEP_1)
	v_pk_add_f32 v[40:41], v[40:41], 0 op_sel_hi:[1,0]
	s_and_saveexec_b32 s10, s17
	s_cbranch_execz .LBB149_991
; %bb.990:                              ;   in Loop: Header=BB149_3 Depth=1
	ds_load_b64 v[42:43], v85 offset:1536
	ds_load_b64 v[44:45], v1 offset:1560
	s_wait_dscnt 0x0
	v_pk_mul_f32 v[46:47], v[44:45], v[42:43] op_sel:[1,1] op_sel_hi:[0,1]
	s_delay_alu instid0(VALU_DEP_1) | instskip(SKIP_1) | instid1(VALU_DEP_2)
	v_pk_fma_f32 v[100:101], v[44:45], v[42:43], v[46:47] op_sel_hi:[1,0,1]
	v_pk_fma_f32 v[42:43], v[44:45], v[42:43], v[46:47] neg_lo:[0,0,1] neg_hi:[0,0,1]
	v_mov_b32_e32 v43, v101
	s_delay_alu instid0(VALU_DEP_1)
	v_pk_add_f32 v[40:41], v[40:41], v[42:43]
.LBB149_991:                            ;   in Loop: Header=BB149_3 Depth=1
	s_or_b32 exec_lo, exec_lo, s10
.LBB149_992:                            ;   in Loop: Header=BB149_3 Depth=1
	s_delay_alu instid0(SALU_CYCLE_1)
	s_or_b32 exec_lo, exec_lo, s16
	s_and_saveexec_b32 s10, s91
	s_cbranch_execz .LBB149_994
; %bb.993:                              ;   in Loop: Header=BB149_3 Depth=1
	ds_load_b64 v[42:43], v1 offset:520
	s_wait_dscnt 0x0
	v_pk_mul_f32 v[44:45], v[40:41], v[42:43] op_sel:[1,1] op_sel_hi:[1,0]
	s_delay_alu instid0(VALU_DEP_1) | instskip(SKIP_1) | instid1(VALU_DEP_2)
	v_pk_fma_f32 v[46:47], v[40:41], v[42:43], v[44:45] op_sel_hi:[0,1,1]
	v_pk_fma_f32 v[40:41], v[40:41], v[42:43], v[44:45] neg_lo:[0,0,1] neg_hi:[0,0,1]
	v_mov_b32_e32 v41, v47
	s_delay_alu instid0(VALU_DEP_1)
	v_pk_add_f32 v[42:43], v[40:41], 0 neg_lo:[1,1] neg_hi:[1,1]
	ds_store_b64 v3, v[42:43]
.LBB149_994:                            ;   in Loop: Header=BB149_3 Depth=1
	s_or_b32 exec_lo, exec_lo, s10
	s_wait_loadcnt_dscnt 0x0
	s_barrier_signal -1
	s_barrier_wait -1
	s_and_saveexec_b32 s10, s92
	s_cbranch_execz .LBB149_996
; %bb.995:                              ;   in Loop: Header=BB149_3 Depth=1
	ds_load_b64 v[42:43], v1 offset:512
	ds_load_b64 v[44:45], v3
	s_wait_dscnt 0x0
	v_pk_mul_f32 v[46:47], v[44:45], v[42:43] op_sel:[1,1] op_sel_hi:[0,1]
	s_delay_alu instid0(VALU_DEP_1) | instskip(SKIP_1) | instid1(VALU_DEP_2)
	v_pk_fma_f32 v[100:101], v[44:45], v[42:43], v[46:47] op_sel_hi:[1,0,1]
	v_pk_fma_f32 v[42:43], v[44:45], v[42:43], v[46:47] neg_lo:[0,0,1] neg_hi:[0,0,1]
	v_mov_b32_e32 v43, v101
	s_delay_alu instid0(VALU_DEP_1)
	v_pk_add_f32 v[40:41], v[40:41], v[42:43] neg_lo:[0,1] neg_hi:[0,1]
.LBB149_996:                            ;   in Loop: Header=BB149_3 Depth=1
	s_or_b32 exec_lo, exec_lo, s10
	s_barrier_signal -1
	s_barrier_wait -1
	s_and_saveexec_b32 s10, s92
	s_cbranch_execz .LBB149_998
; %bb.997:                              ;   in Loop: Header=BB149_3 Depth=1
	ds_load_b64 v[42:43], v1
	s_wait_dscnt 0x0
	v_pk_mul_f32 v[44:45], v[40:41], v[42:43] op_sel:[1,1] op_sel_hi:[1,0]
	s_delay_alu instid0(VALU_DEP_1) | instskip(SKIP_1) | instid1(VALU_DEP_2)
	v_pk_fma_f32 v[46:47], v[40:41], v[42:43], v[44:45] op_sel_hi:[0,1,1]
	v_pk_fma_f32 v[40:41], v[40:41], v[42:43], v[44:45] neg_lo:[0,0,1] neg_hi:[0,0,1]
	v_mov_b32_e32 v41, v47
	s_delay_alu instid0(VALU_DEP_1)
	v_pk_add_f32 v[42:43], v[40:41], 0 neg_lo:[1,1] neg_hi:[1,1]
	ds_store_b64 v3, v[42:43]
.LBB149_998:                            ;   in Loop: Header=BB149_3 Depth=1
	s_or_b32 exec_lo, exec_lo, s10
	s_wait_dscnt 0x0
	s_barrier_signal -1
	s_barrier_wait -1
	s_barrier_signal -1
	s_barrier_wait -1
	s_and_saveexec_b32 s10, s1
; %bb.999:                              ;   in Loop: Header=BB149_3 Depth=1
	ds_store_b64 v52, v[40:41] offset:1536
; %bb.1000:                             ;   in Loop: Header=BB149_3 Depth=1
	s_or_b32 exec_lo, exec_lo, s10
	s_wait_dscnt 0x0
	s_barrier_signal -1
	s_barrier_wait -1
	s_barrier_signal -1
	s_barrier_wait -1
	s_and_saveexec_b32 s10, s93
	s_cbranch_execz .LBB149_1002
; %bb.1001:                             ;   in Loop: Header=BB149_3 Depth=1
	ds_load_b64 v[40:41], v87 offset:1024
	s_wait_dscnt 0x0
	ds_store_b64 v85, v[40:41] offset:16
	ds_load_b64 v[40:41], v87 offset:1032
	s_wait_dscnt 0x0
	ds_store_b64 v85, v[40:41] offset:528
.LBB149_1002:                           ;   in Loop: Header=BB149_3 Depth=1
	s_or_b32 exec_lo, exec_lo, s10
	s_wait_dscnt 0x0
	s_barrier_signal -1
	s_barrier_wait -1
	s_and_saveexec_b32 s10, s15
	s_cbranch_execz .LBB149_1004
; %bb.1003:                             ;   in Loop: Header=BB149_3 Depth=1
	ds_load_2addr_stride64_b64 v[40:43], v1 offset1:1
	ds_load_b64 v[44:45], v1 offset:520
	s_wait_dscnt 0x0
	v_dual_mul_f32 v46, v45, v41 :: v_dual_mul_f32 v0, v44, v41
	s_delay_alu instid0(VALU_DEP_1) | instskip(NEXT) | instid1(VALU_DEP_1)
	v_xor_b32_e32 v46, 0x80000000, v46
	v_dual_fmac_f32 v0, v45, v40 :: v_dual_fmac_f32 v46, v44, v40
	s_delay_alu instid0(VALU_DEP_1) | instskip(NEXT) | instid1(VALU_DEP_1)
	v_pk_mul_f32 v[40:41], v[0:1], v[42:43] op_sel:[0,1] op_sel_hi:[0,0]
	v_pk_fma_f32 v[44:45], v[46:47], v[42:43], v[40:41] op_sel_hi:[0,1,1]
	v_pk_fma_f32 v[40:41], v[46:47], v[42:43], v[40:41] neg_lo:[0,0,1] neg_hi:[0,0,1]
	s_delay_alu instid0(VALU_DEP_2)
	v_mov_b32_e32 v41, v45
	ds_store_2addr_b64 v1, v[40:41], v[40:41] offset0:1 offset1:64
.LBB149_1004:                           ;   in Loop: Header=BB149_3 Depth=1
	s_or_b32 exec_lo, exec_lo, s10
.LBB149_1005:                           ;   in Loop: Header=BB149_3 Depth=1
	v_add_nc_u64_e32 v[38:39], s[72:73], v[38:39]
	v_mov_b64_e32 v[40:41], 0
	s_wait_dscnt 0x0
	s_barrier_signal -1
	s_barrier_wait -1
	s_wait_xcnt 0x0
	s_and_saveexec_b32 s10, s54
	s_cbranch_execz .LBB149_1007
; %bb.1006:                             ;   in Loop: Header=BB149_3 Depth=1
	v_lshl_add_u64 v[40:41], v[10:11], 3, v[38:39]
	flat_load_b64 v[40:41], v[40:41]
	s_wait_loadcnt_dscnt 0x0
	v_pk_mul_f32 v[42:43], v[36:37], v[40:41] op_sel:[1,0] neg_lo:[1,0]
	s_delay_alu instid0(VALU_DEP_1)
	v_pk_fma_f32 v[40:41], v[36:37], v[40:41], v[42:43] op_sel:[0,0,1] op_sel_hi:[0,1,0] neg_lo:[1,0,0] neg_hi:[1,0,0]
.LBB149_1007:                           ;   in Loop: Header=BB149_3 Depth=1
	s_or_b32 exec_lo, exec_lo, s10
	s_delay_alu instid0(SALU_CYCLE_1)
	s_and_not1_b32 vcc_lo, exec_lo, s55
	s_cbranch_vccnz .LBB149_1026
; %bb.1008:                             ;   in Loop: Header=BB149_3 Depth=1
	v_mov_b32_e32 v42, -1
	s_lshl_b64 s[84:85], s[80:81], 2
	s_mov_b32 s16, 0
	s_add_nc_u64 s[84:85], s[82:83], s[84:85]
	s_branch .LBB149_1010
.LBB149_1009:                           ;   in Loop: Header=BB149_1010 Depth=2
	s_or_b32 exec_lo, exec_lo, s10
	s_add_co_i32 s16, s16, 1
	s_delay_alu instid0(SALU_CYCLE_1)
	s_cmp_eq_u32 s16, s87
	s_cbranch_scc1 .LBB149_1026
.LBB149_1010:                           ;   Parent Loop BB149_3 Depth=1
                                        ; =>  This Loop Header: Depth=2
                                        ;       Child Loop BB149_1012 Depth 3
	v_cmp_gt_i32_e32 vcc_lo, s16, v42
	s_and_b32 s66, s38, vcc_lo
	s_delay_alu instid0(SALU_CYCLE_1)
	s_and_saveexec_b32 s10, s66
	s_cbranch_execz .LBB149_1013
; %bb.1011:                             ;   in Loop: Header=BB149_1010 Depth=2
	global_load_b32 v42, v1, s[84:85]
	s_wait_loadcnt 0x0
	v_cmp_le_i32_e32 vcc_lo, s16, v42
	s_cbranch_vccnz .LBB149_1013
.LBB149_1012:                           ;   Parent Loop BB149_3 Depth=1
                                        ;     Parent Loop BB149_1010 Depth=2
                                        ; =>    This Inner Loop Header: Depth=3
	global_wb scope:SCOPE_DEV
	s_wait_storecnt 0x0
	global_inv scope:SCOPE_DEV
	global_load_b32 v42, v1, s[84:85]
	s_wait_loadcnt 0x0
	v_cmp_gt_i32_e32 vcc_lo, s16, v42
	s_cbranch_vccnz .LBB149_1012
.LBB149_1013:                           ;   in Loop: Header=BB149_1010 Depth=2
	s_or_b32 exec_lo, exec_lo, s10
	s_lshl_b32 s66, s16, 6
	global_wb scope:SCOPE_DEV
	s_wait_storecnt 0x0
	global_inv scope:SCOPE_DEV
	s_wait_loadcnt 0x0
	s_barrier_signal -1
	s_barrier_wait -1
	s_and_saveexec_b32 s10, s39
	s_cbranch_execz .LBB149_1018
; %bb.1014:                             ;   in Loop: Header=BB149_1010 Depth=2
	v_or_b32_e32 v0, s66, v4
	s_delay_alu instid0(VALU_DEP_1) | instskip(SKIP_1) | instid1(SALU_CYCLE_1)
	v_cmp_le_i32_e32 vcc_lo, s86, v0
	s_and_saveexec_b32 s11, vcc_lo
	s_xor_b32 vcc_lo, exec_lo, s11
; %bb.1015:                             ;   in Loop: Header=BB149_1010 Depth=2
	ds_store_b64 v90, v[30:31]
; %bb.1016:                             ;   in Loop: Header=BB149_1010 Depth=2
	s_and_not1_saveexec_b32 s11, vcc_lo
	s_cbranch_execz .LBB149_1018
; %bb.1017:                             ;   in Loop: Header=BB149_1010 Depth=2
	v_mul_u64_e32 v[36:37], s[74:75], v[0:1]
	s_delay_alu instid0(VALU_DEP_1)
	v_lshl_add_u64 v[36:37], v[36:37], 3, v[38:39]
	flat_load_b64 v[36:37], v[36:37]
	s_wait_loadcnt_dscnt 0x0
	ds_store_b64 v90, v[36:37]
.LBB149_1018:                           ;   in Loop: Header=BB149_1010 Depth=2
	s_or_b32 exec_lo, exec_lo, s10
	v_add_nc_u32_e32 v0, s66, v48
	s_wait_dscnt 0x0
	v_cmp_eq_u32_e32 vcc_lo, s16, v49
	s_barrier_signal -1
	s_barrier_wait -1
	v_cmp_gt_i32_e64 s66, s86, v0
	v_lshl_add_u64 v[36:37], v[0:1], 3, v[34:35]
	s_and_b32 s11, s66, s0
	s_delay_alu instid0(SALU_CYCLE_1)
	s_and_saveexec_b32 s10, s11
	s_cbranch_execz .LBB149_1020
; %bb.1019:                             ;   in Loop: Header=BB149_1010 Depth=2
	s_delay_alu instid0(VALU_DEP_1) | instskip(SKIP_4) | instid1(VALU_DEP_1)
	v_dual_cndmask_b32 v45, v37, v23 :: v_dual_cndmask_b32 v44, v36, v22
	ds_load_b64 v[46:47], v88
	flat_load_b64 v[44:45], v[44:45]
	s_wait_loadcnt_dscnt 0x0
	v_dual_mul_f32 v43, v47, v45 :: v_dual_mul_f32 v45, v46, v45
	v_dual_fma_f32 v43, v46, v44, -v43 :: v_dual_fmac_f32 v45, v47, v44
	s_delay_alu instid0(VALU_DEP_1)
	v_dual_add_f32 v40, v40, v43 :: v_dual_add_f32 v41, v41, v45
.LBB149_1020:                           ;   in Loop: Header=BB149_1010 Depth=2
	s_or_b32 exec_lo, exec_lo, s10
	v_add_nc_u32_e32 v43, 16, v0
	s_delay_alu instid0(VALU_DEP_1) | instskip(SKIP_1) | instid1(SALU_CYCLE_1)
	v_cmp_gt_i32_e64 s66, s86, v43
	s_and_b32 s11, s66, s0
	s_and_saveexec_b32 s10, s11
	s_cbranch_execz .LBB149_1022
; %bb.1021:                             ;   in Loop: Header=BB149_1010 Depth=2
	v_add_nc_u64_e32 v[44:45], 0x80, v[36:37]
	ds_load_b64 v[46:47], v88 offset:128
	v_dual_cndmask_b32 v45, v45, v25 :: v_dual_cndmask_b32 v44, v44, v24
	flat_load_b64 v[44:45], v[44:45]
	s_wait_loadcnt_dscnt 0x0
	v_dual_mul_f32 v43, v47, v45 :: v_dual_mul_f32 v45, v46, v45
	s_delay_alu instid0(VALU_DEP_1) | instskip(NEXT) | instid1(VALU_DEP_1)
	v_dual_fma_f32 v43, v46, v44, -v43 :: v_dual_fmac_f32 v45, v47, v44
	v_dual_add_f32 v40, v40, v43 :: v_dual_add_f32 v41, v41, v45
.LBB149_1022:                           ;   in Loop: Header=BB149_1010 Depth=2
	s_or_b32 exec_lo, exec_lo, s10
	v_add_nc_u32_e32 v43, 32, v0
	s_delay_alu instid0(VALU_DEP_1) | instskip(SKIP_1) | instid1(SALU_CYCLE_1)
	v_cmp_gt_i32_e64 s66, s86, v43
	s_and_b32 s11, s66, s0
	s_and_saveexec_b32 s10, s11
	s_cbranch_execz .LBB149_1024
; %bb.1023:                             ;   in Loop: Header=BB149_1010 Depth=2
	v_add_nc_u64_e32 v[44:45], 0x100, v[36:37]
	ds_load_b64 v[46:47], v88 offset:256
	v_dual_cndmask_b32 v45, v45, v27 :: v_dual_cndmask_b32 v44, v44, v26
	flat_load_b64 v[44:45], v[44:45]
	s_wait_loadcnt_dscnt 0x0
	v_dual_mul_f32 v43, v47, v45 :: v_dual_mul_f32 v101, v46, v45
	s_delay_alu instid0(VALU_DEP_1) | instskip(NEXT) | instid1(VALU_DEP_1)
	v_dual_fma_f32 v100, v46, v44, -v43 :: v_dual_fmac_f32 v101, v47, v44
	v_pk_add_f32 v[40:41], v[40:41], v[100:101]
.LBB149_1024:                           ;   in Loop: Header=BB149_1010 Depth=2
	s_or_b32 exec_lo, exec_lo, s10
	v_add_nc_u32_e32 v0, 48, v0
	s_delay_alu instid0(VALU_DEP_1) | instskip(SKIP_1) | instid1(SALU_CYCLE_1)
	v_cmp_gt_i32_e64 s66, s86, v0
	s_and_b32 s11, s66, s0
	s_and_saveexec_b32 s10, s11
	s_cbranch_execz .LBB149_1009
; %bb.1025:                             ;   in Loop: Header=BB149_1010 Depth=2
	v_add_nc_u64_e32 v[36:37], 0x180, v[36:37]
	ds_load_b64 v[44:45], v88 offset:384
	v_dual_cndmask_b32 v37, v37, v33 :: v_dual_cndmask_b32 v36, v36, v32
	flat_load_b64 v[36:37], v[36:37]
	s_wait_loadcnt_dscnt 0x0
	v_pk_mul_f32 v[46:47], v[44:45], v[36:37] op_sel:[1,1] op_sel_hi:[0,1]
	s_delay_alu instid0(VALU_DEP_1) | instskip(SKIP_1) | instid1(VALU_DEP_2)
	v_pk_fma_f32 v[100:101], v[44:45], v[36:37], v[46:47] op_sel_hi:[1,0,1]
	v_pk_fma_f32 v[36:37], v[44:45], v[36:37], v[46:47] neg_lo:[0,0,1] neg_hi:[0,0,1]
	v_mov_b32_e32 v37, v101
	s_delay_alu instid0(VALU_DEP_1)
	v_pk_add_f32 v[40:41], v[40:41], v[36:37]
	s_branch .LBB149_1009
.LBB149_1026:                           ;   in Loop: Header=BB149_3 Depth=1
	ds_store_b64 v91, v[40:41]
	s_wait_dscnt 0x0
	s_barrier_signal -1
	s_barrier_wait -1
	s_and_saveexec_b32 s16, s2
	s_cbranch_execz .LBB149_1028
; %bb.1027:                             ;   in Loop: Header=BB149_3 Depth=1
	ds_load_2addr_stride64_b64 v[34:37], v92 offset0:1 offset1:2
	ds_load_2addr_stride64_b64 v[42:45], v92 offset0:3 offset1:4
	;; [unrolled: 1-line block ×3, first 2 shown]
	s_wait_dscnt 0x2
	v_pk_add_f32 v[34:35], v[40:41], v[34:35]
	s_delay_alu instid0(VALU_DEP_1) | instskip(SKIP_3) | instid1(VALU_DEP_1)
	v_pk_add_f32 v[40:41], v[34:35], v[36:37]
	ds_load_2addr_stride64_b64 v[34:37], v92 offset0:7 offset1:8
	s_wait_dscnt 0x2
	v_pk_add_f32 v[40:41], v[40:41], v[42:43]
	v_pk_add_f32 v[44:45], v[40:41], v[44:45]
	ds_load_2addr_stride64_b64 v[40:43], v92 offset0:9 offset1:10
	s_wait_dscnt 0x2
	v_pk_add_f32 v[44:45], v[44:45], v[100:101]
	s_delay_alu instid0(VALU_DEP_1) | instskip(SKIP_3) | instid1(VALU_DEP_1)
	v_pk_add_f32 v[100:101], v[44:45], v[102:103]
	ds_load_2addr_stride64_b64 v[44:47], v92 offset0:11 offset1:12
	s_wait_dscnt 0x2
	v_pk_add_f32 v[34:35], v[100:101], v[34:35]
	v_pk_add_f32 v[100:101], v[34:35], v[36:37]
	ds_load_2addr_stride64_b64 v[34:37], v92 offset0:13 offset1:14
	s_wait_dscnt 0x2
	v_pk_add_f32 v[40:41], v[100:101], v[40:41]
	s_delay_alu instid0(VALU_DEP_1) | instskip(SKIP_3) | instid1(VALU_DEP_1)
	v_pk_add_f32 v[40:41], v[40:41], v[42:43]
	ds_load_b64 v[42:43], v92 offset:7680
	s_wait_dscnt 0x2
	v_pk_add_f32 v[40:41], v[40:41], v[44:45]
	v_pk_add_f32 v[40:41], v[40:41], v[46:47]
	s_wait_dscnt 0x1
	s_delay_alu instid0(VALU_DEP_1) | instskip(NEXT) | instid1(VALU_DEP_1)
	v_pk_add_f32 v[34:35], v[40:41], v[34:35]
	v_pk_add_f32 v[34:35], v[34:35], v[36:37]
	s_wait_dscnt 0x0
	s_delay_alu instid0(VALU_DEP_1) | instskip(NEXT) | instid1(VALU_DEP_1)
	v_pk_add_f32 v[34:35], v[34:35], v[42:43]
	v_cndmask_b32_e64 v41, -v35, 0, s53
	s_delay_alu instid0(VALU_DEP_2)
	v_cndmask_b32_e64 v40, -v34, 0, s53
.LBB149_1028:                           ;   in Loop: Header=BB149_3 Depth=1
	s_or_b32 exec_lo, exec_lo, s16
	s_delay_alu instid0(SALU_CYCLE_1)
	s_and_not1_b32 vcc_lo, exec_lo, s90
	s_cbranch_vccnz .LBB149_1038
; %bb.1029:                             ;   in Loop: Header=BB149_3 Depth=1
	s_and_saveexec_b32 s10, s2
; %bb.1030:                             ;   in Loop: Header=BB149_3 Depth=1
	ds_store_b64 v94, v[40:41]
; %bb.1031:                             ;   in Loop: Header=BB149_3 Depth=1
	s_or_b32 exec_lo, exec_lo, s10
	v_mov_b64_e32 v[34:35], 0
	s_wait_dscnt 0x0
	s_barrier_signal -1
	s_barrier_wait -1
	s_and_saveexec_b32 s10, s6
	s_cbranch_execnz .LBB149_1101
; %bb.1032:                             ;   in Loop: Header=BB149_3 Depth=1
	s_or_b32 exec_lo, exec_lo, s10
	s_and_saveexec_b32 s10, s7
	s_cbranch_execnz .LBB149_1102
.LBB149_1033:                           ;   in Loop: Header=BB149_3 Depth=1
	s_or_b32 exec_lo, exec_lo, s10
	s_and_saveexec_b32 s10, s8
	s_cbranch_execnz .LBB149_1103
.LBB149_1034:                           ;   in Loop: Header=BB149_3 Depth=1
	s_or_b32 exec_lo, exec_lo, s10
	s_and_saveexec_b32 s10, s9
	s_cbranch_execz .LBB149_1036
.LBB149_1035:                           ;   in Loop: Header=BB149_3 Depth=1
	ds_load_b64 v[36:37], v93 offset:24576
	ds_load_b64 v[42:43], v88 offset:384
	s_wait_dscnt 0x0
	v_pk_mul_f32 v[44:45], v[42:43], v[36:37] op_sel:[1,1] op_sel_hi:[0,1]
	s_delay_alu instid0(VALU_DEP_1) | instskip(SKIP_1) | instid1(VALU_DEP_2)
	v_pk_fma_f32 v[46:47], v[42:43], v[36:37], v[44:45] op_sel_hi:[1,0,1]
	v_pk_fma_f32 v[36:37], v[42:43], v[36:37], v[44:45] neg_lo:[0,0,1] neg_hi:[0,0,1]
	v_mov_b32_e32 v37, v47
	s_delay_alu instid0(VALU_DEP_1)
	v_pk_add_f32 v[34:35], v[34:35], v[36:37]
.LBB149_1036:                           ;   in Loop: Header=BB149_3 Depth=1
	s_or_b32 exec_lo, exec_lo, s10
	s_mov_b32 s16, 0
	s_mov_b32 s66, 0
	ds_store_b64 v91, v[34:35]
	s_wait_dscnt 0x0
	s_barrier_signal -1
	s_barrier_wait -1
                                        ; implicit-def: $vgpr36_vgpr37
	s_and_saveexec_b32 s84, s2
	s_cbranch_execz .LBB149_1104
; %bb.1037:                             ;   in Loop: Header=BB149_3 Depth=1
	ds_load_2addr_stride64_b64 v[42:45], v92 offset0:1 offset1:2
	ds_load_2addr_stride64_b64 v[100:103], v92 offset0:3 offset1:4
	;; [unrolled: 1-line block ×3, first 2 shown]
	s_mov_b32 s66, exec_lo
	s_wait_dscnt 0x2
	v_pk_add_f32 v[34:35], v[34:35], v[42:43]
	s_delay_alu instid0(VALU_DEP_1) | instskip(SKIP_3) | instid1(VALU_DEP_1)
	v_pk_add_f32 v[42:43], v[34:35], v[44:45]
	ds_load_2addr_stride64_b64 v[34:37], v92 offset0:7 offset1:8
	s_wait_dscnt 0x2
	v_pk_add_f32 v[42:43], v[42:43], v[100:101]
	v_pk_add_f32 v[46:47], v[42:43], v[102:103]
	ds_load_2addr_stride64_b64 v[42:45], v92 offset0:9 offset1:10
	ds_load_2addr_stride64_b64 v[100:103], v92 offset0:11 offset1:12
	s_wait_dscnt 0x3
	v_pk_add_f32 v[46:47], v[46:47], v[104:105]
	s_delay_alu instid0(VALU_DEP_1) | instskip(SKIP_1) | instid1(VALU_DEP_1)
	v_pk_add_f32 v[46:47], v[46:47], v[106:107]
	s_wait_dscnt 0x2
	v_pk_add_f32 v[34:35], v[46:47], v[34:35]
	s_delay_alu instid0(VALU_DEP_1) | instskip(SKIP_1) | instid1(VALU_DEP_1)
	v_pk_add_f32 v[34:35], v[34:35], v[36:37]
	s_wait_dscnt 0x1
	v_pk_add_f32 v[42:43], v[34:35], v[42:43]
	ds_load_2addr_stride64_b64 v[34:37], v92 offset0:13 offset1:14
	v_pk_add_f32 v[42:43], v[42:43], v[44:45]
	ds_load_b64 v[44:45], v92 offset:7680
	s_wait_dscnt 0x2
	v_pk_add_f32 v[42:43], v[42:43], v[100:101]
	s_delay_alu instid0(VALU_DEP_1) | instskip(SKIP_1) | instid1(VALU_DEP_1)
	v_pk_add_f32 v[42:43], v[42:43], v[102:103]
	s_wait_dscnt 0x1
	v_pk_add_f32 v[34:35], v[42:43], v[34:35]
	s_delay_alu instid0(VALU_DEP_1) | instskip(SKIP_1) | instid1(VALU_DEP_1)
	v_pk_add_f32 v[34:35], v[34:35], v[36:37]
	s_wait_dscnt 0x0
	v_pk_add_f32 v[36:37], v[34:35], v[44:45]
	s_or_b32 exec_lo, exec_lo, s84
	s_delay_alu instid0(SALU_CYCLE_1)
	s_and_b32 vcc_lo, exec_lo, s16
	s_cbranch_vccnz .LBB149_1039
	s_branch .LBB149_1105
.LBB149_1038:                           ;   in Loop: Header=BB149_3 Depth=1
	s_mov_b32 s66, 0
                                        ; implicit-def: $vgpr36_vgpr37
	s_cbranch_execz .LBB149_1105
.LBB149_1039:                           ;   in Loop: Header=BB149_3 Depth=1
	v_dual_mov_b32 v0, v2 :: v_dual_mov_b32 v34, v98
	s_mov_b32 s16, 0
	s_branch .LBB149_1041
.LBB149_1040:                           ;   in Loop: Header=BB149_1041 Depth=2
	s_or_b32 exec_lo, exec_lo, s10
	v_add_nc_u32_e32 v34, 0x400, v34
	v_add_nc_u32_e32 v0, -2, v0
	s_add_co_i32 s16, s16, 2
	s_delay_alu instid0(SALU_CYCLE_1)
	s_cmp_lg_u32 s16, 64
	s_barrier_signal -1
	s_barrier_wait -1
	s_cbranch_scc0 .LBB149_1049
.LBB149_1041:                           ;   Parent Loop BB149_3 Depth=1
                                        ; =>  This Inner Loop Header: Depth=2
	s_delay_alu instid0(VALU_DEP_1) | instskip(SKIP_2) | instid1(SALU_CYCLE_1)
	v_cmp_eq_u32_e32 vcc_lo, 0, v0
	v_add_nc_u32_e32 v35, v87, v71
	s_and_b32 s11, s2, vcc_lo
	s_and_saveexec_b32 s10, s11
	s_cbranch_execz .LBB149_1043
; %bb.1042:                             ;   in Loop: Header=BB149_1041 Depth=2
	ds_load_b64 v[36:37], v35
	s_wait_dscnt 0x0
	v_pk_mul_f32 v[42:43], v[40:41], v[36:37] op_sel:[1,1] op_sel_hi:[1,0]
	s_delay_alu instid0(VALU_DEP_1) | instskip(SKIP_1) | instid1(VALU_DEP_2)
	v_pk_fma_f32 v[44:45], v[40:41], v[36:37], v[42:43] op_sel_hi:[0,1,1]
	v_pk_fma_f32 v[36:37], v[40:41], v[36:37], v[42:43] neg_lo:[0,0,1] neg_hi:[0,0,1]
	v_mov_b32_e32 v37, v45
	s_delay_alu instid0(VALU_DEP_1)
	v_mov_b64_e32 v[40:41], v[36:37]
	ds_store_b64 v1, v[36:37] offset:41472
.LBB149_1043:                           ;   in Loop: Header=BB149_1041 Depth=2
	s_or_b32 exec_lo, exec_lo, s10
	v_cmp_lt_u32_e32 vcc_lo, s16, v2
	s_wait_dscnt 0x0
	s_barrier_signal -1
	s_barrier_wait -1
	s_and_b32 s11, s2, vcc_lo
	s_delay_alu instid0(SALU_CYCLE_1)
	s_and_saveexec_b32 s10, s11
	s_cbranch_execz .LBB149_1045
; %bb.1044:                             ;   in Loop: Header=BB149_1041 Depth=2
	ds_load_b64 v[36:37], v34
	ds_load_b64 v[42:43], v1 offset:41472
	s_wait_dscnt 0x0
	v_pk_mul_f32 v[44:45], v[42:43], v[36:37] op_sel:[1,1] op_sel_hi:[0,1]
	s_delay_alu instid0(VALU_DEP_1) | instskip(SKIP_1) | instid1(VALU_DEP_2)
	v_pk_fma_f32 v[46:47], v[42:43], v[36:37], v[44:45] op_sel_hi:[1,0,1]
	v_pk_fma_f32 v[36:37], v[42:43], v[36:37], v[44:45] neg_lo:[0,0,1] neg_hi:[0,0,1]
	v_mov_b32_e32 v37, v47
	s_delay_alu instid0(VALU_DEP_1)
	v_pk_add_f32 v[40:41], v[40:41], v[36:37]
.LBB149_1045:                           ;   in Loop: Header=BB149_1041 Depth=2
	s_or_b32 exec_lo, exec_lo, s10
	s_or_b32 s10, s16, 1
	s_delay_alu instid0(SALU_CYCLE_1) | instskip(SKIP_3) | instid1(SALU_CYCLE_1)
	v_cmp_eq_u32_e32 vcc_lo, s10, v2
	s_barrier_signal -1
	s_barrier_wait -1
	s_and_b32 s11, s2, vcc_lo
	s_and_saveexec_b32 s84, s11
	s_cbranch_execz .LBB149_1047
; %bb.1046:                             ;   in Loop: Header=BB149_1041 Depth=2
	ds_load_b64 v[36:37], v35
	s_wait_dscnt 0x0
	v_pk_mul_f32 v[42:43], v[40:41], v[36:37] op_sel:[1,1] op_sel_hi:[1,0]
	s_delay_alu instid0(VALU_DEP_1) | instskip(SKIP_1) | instid1(VALU_DEP_2)
	v_pk_fma_f32 v[44:45], v[40:41], v[36:37], v[42:43] op_sel_hi:[0,1,1]
	v_pk_fma_f32 v[36:37], v[40:41], v[36:37], v[42:43] neg_lo:[0,0,1] neg_hi:[0,0,1]
	v_mov_b32_e32 v37, v45
	s_delay_alu instid0(VALU_DEP_1)
	v_mov_b64_e32 v[40:41], v[36:37]
	ds_store_b64 v1, v[36:37] offset:41472
.LBB149_1047:                           ;   in Loop: Header=BB149_1041 Depth=2
	s_or_b32 exec_lo, exec_lo, s84
	v_cmp_lt_u32_e32 vcc_lo, s10, v2
	s_wait_dscnt 0x0
	s_barrier_signal -1
	s_barrier_wait -1
	s_and_b32 s11, s2, vcc_lo
	s_delay_alu instid0(SALU_CYCLE_1)
	s_and_saveexec_b32 s10, s11
	s_cbranch_execz .LBB149_1040
; %bb.1048:                             ;   in Loop: Header=BB149_1041 Depth=2
	ds_load_b64 v[36:37], v34 offset:512
	ds_load_b64 v[42:43], v1 offset:41472
	s_wait_dscnt 0x0
	v_pk_mul_f32 v[44:45], v[42:43], v[36:37] op_sel:[1,1] op_sel_hi:[0,1]
	s_delay_alu instid0(VALU_DEP_1) | instskip(SKIP_1) | instid1(VALU_DEP_2)
	v_pk_fma_f32 v[46:47], v[42:43], v[36:37], v[44:45] op_sel_hi:[1,0,1]
	v_pk_fma_f32 v[36:37], v[42:43], v[36:37], v[44:45] neg_lo:[0,0,1] neg_hi:[0,0,1]
	v_mov_b32_e32 v37, v47
	s_delay_alu instid0(VALU_DEP_1)
	v_pk_add_f32 v[40:41], v[40:41], v[36:37]
	s_branch .LBB149_1040
.LBB149_1049:                           ;   in Loop: Header=BB149_3 Depth=1
	s_and_b32 vcc_lo, exec_lo, s89
	s_mov_b32 s10, -1
	s_cbranch_vccz .LBB149_1051
; %bb.1050:                             ;   in Loop: Header=BB149_3 Depth=1
	s_and_not1_b32 s11, s66, exec_lo
	s_and_b32 s12, s2, exec_lo
	s_mov_b32 s10, 0
	s_or_b32 s66, s11, s12
.LBB149_1051:                           ;   in Loop: Header=BB149_3 Depth=1
	s_and_not1_b32 vcc_lo, exec_lo, s10
	s_cbranch_vccnz .LBB149_1053
; %bb.1052:                             ;   in Loop: Header=BB149_3 Depth=1
	v_readlane_b32 s11, v108, 8
	s_and_not1_b32 s10, s66, exec_lo
	s_and_b32 s11, s11, exec_lo
	s_delay_alu instid0(SALU_CYCLE_1)
	s_or_b32 s66, s10, s11
.LBB149_1053:                           ;   in Loop: Header=BB149_3 Depth=1
	v_mov_b64_e32 v[34:35], v[16:17]
	s_and_saveexec_b32 s10, s66
	s_cbranch_execnz .LBB149_1106
	s_branch .LBB149_1107
.LBB149_1054:                           ;   in Loop: Header=BB149_3 Depth=1
	v_readlane_b32 s11, v108, 16
	s_and_saveexec_b32 s10, s11
	s_delay_alu instid0(SALU_CYCLE_1)
	s_xor_b32 s10, exec_lo, s10
	s_cbranch_execz .LBB149_1058
; %bb.1055:                             ;   in Loop: Header=BB149_3 Depth=1
	v_readlane_b32 s11, v108, 25
	s_and_saveexec_b32 s66, s11
; %bb.1056:                             ;   in Loop: Header=BB149_3 Depth=1
	ds_store_b64 v77, v[30:31]
; %bb.1057:                             ;   in Loop: Header=BB149_3 Depth=1
	s_or_b32 exec_lo, exec_lo, s66
.LBB149_1058:                           ;   in Loop: Header=BB149_3 Depth=1
	s_and_not1_saveexec_b32 s66, s10
	s_cbranch_execz .LBB149_1064
; %bb.1059:                             ;   in Loop: Header=BB149_3 Depth=1
	v_lshl_add_u64 v[42:43], v[12:13], 3, v[40:41]
	s_mov_b32 s84, exec_lo
                                        ; implicit-def: $vgpr44_vgpr45
	flat_load_b64 v[42:43], v[42:43]
	s_wait_loadcnt_dscnt 0x0
	v_cmpx_ngt_f32_e64 |v42|, |v43|
	s_xor_b32 s84, exec_lo, s84
	s_cbranch_execz .LBB149_1061
; %bb.1060:                             ;   in Loop: Header=BB149_3 Depth=1
	v_div_scale_f32 v0, null, v43, v43, v42
	v_div_scale_f32 v46, vcc_lo, v42, v43, v42
	s_delay_alu instid0(VALU_DEP_2) | instskip(SKIP_1) | instid1(TRANS32_DEP_1)
	v_rcp_f32_e32 v44, v0
	v_nop
	v_fma_f32 v45, -v0, v44, 1.0
	s_delay_alu instid0(VALU_DEP_1) | instskip(NEXT) | instid1(VALU_DEP_1)
	v_fmac_f32_e32 v44, v45, v44
	v_mul_f32_e32 v45, v46, v44
	s_delay_alu instid0(VALU_DEP_1) | instskip(NEXT) | instid1(VALU_DEP_1)
	v_fma_f32 v47, -v0, v45, v46
	v_fmac_f32_e32 v45, v47, v44
	s_delay_alu instid0(VALU_DEP_1) | instskip(NEXT) | instid1(VALU_DEP_1)
	v_fma_f32 v0, -v0, v45, v46
	v_div_fmas_f32 v0, v0, v44, v45
	s_delay_alu instid0(VALU_DEP_1) | instskip(NEXT) | instid1(VALU_DEP_1)
	v_div_fixup_f32 v0, v0, v43, v42
	v_fmac_f32_e32 v43, v42, v0
	s_delay_alu instid0(VALU_DEP_1) | instskip(SKIP_1) | instid1(VALU_DEP_2)
	v_div_scale_f32 v42, null, v43, v43, 1.0
	v_div_scale_f32 v46, vcc_lo, 1.0, v43, 1.0
	v_rcp_f32_e32 v44, v42
	v_nop
	s_delay_alu instid0(TRANS32_DEP_1) | instskip(NEXT) | instid1(VALU_DEP_1)
	v_fma_f32 v45, -v42, v44, 1.0
	v_fmac_f32_e32 v44, v45, v44
	s_delay_alu instid0(VALU_DEP_1) | instskip(NEXT) | instid1(VALU_DEP_1)
	v_mul_f32_e32 v45, v46, v44
	v_fma_f32 v47, -v42, v45, v46
	s_delay_alu instid0(VALU_DEP_1) | instskip(NEXT) | instid1(VALU_DEP_1)
	v_fmac_f32_e32 v45, v47, v44
	v_fma_f32 v42, -v42, v45, v46
	s_delay_alu instid0(VALU_DEP_1) | instskip(NEXT) | instid1(VALU_DEP_1)
	v_div_fmas_f32 v42, v42, v44, v45
	v_div_fixup_f32 v42, v42, v43, 1.0
	s_delay_alu instid0(VALU_DEP_1)
	v_mul_f32_e32 v44, v0, v42
	v_xor_b32_e32 v45, 0x80000000, v42
                                        ; implicit-def: $vgpr42_vgpr43
.LBB149_1061:                           ;   in Loop: Header=BB149_3 Depth=1
	s_and_not1_saveexec_b32 s84, s84
	s_cbranch_execz .LBB149_1063
; %bb.1062:                             ;   in Loop: Header=BB149_3 Depth=1
	v_div_scale_f32 v0, null, v42, v42, v43
	v_div_scale_f32 v46, vcc_lo, v43, v42, v43
	s_delay_alu instid0(VALU_DEP_2) | instskip(SKIP_1) | instid1(TRANS32_DEP_1)
	v_rcp_f32_e32 v44, v0
	v_nop
	v_fma_f32 v45, -v0, v44, 1.0
	s_delay_alu instid0(VALU_DEP_1) | instskip(NEXT) | instid1(VALU_DEP_1)
	v_fmac_f32_e32 v44, v45, v44
	v_mul_f32_e32 v45, v46, v44
	s_delay_alu instid0(VALU_DEP_1) | instskip(NEXT) | instid1(VALU_DEP_1)
	v_fma_f32 v47, -v0, v45, v46
	v_fmac_f32_e32 v45, v47, v44
	s_delay_alu instid0(VALU_DEP_1) | instskip(NEXT) | instid1(VALU_DEP_1)
	v_fma_f32 v0, -v0, v45, v46
	v_div_fmas_f32 v0, v0, v44, v45
	s_delay_alu instid0(VALU_DEP_1) | instskip(NEXT) | instid1(VALU_DEP_1)
	v_div_fixup_f32 v0, v0, v42, v43
	v_fmac_f32_e32 v42, v43, v0
	s_delay_alu instid0(VALU_DEP_1) | instskip(NEXT) | instid1(VALU_DEP_1)
	v_div_scale_f32 v43, null, v42, v42, 1.0
	v_rcp_f32_e32 v44, v43
	v_nop
	s_delay_alu instid0(TRANS32_DEP_1) | instskip(NEXT) | instid1(VALU_DEP_1)
	v_fma_f32 v45, -v43, v44, 1.0
	v_fmac_f32_e32 v44, v45, v44
	v_div_scale_f32 v45, vcc_lo, 1.0, v42, 1.0
	s_delay_alu instid0(VALU_DEP_1) | instskip(NEXT) | instid1(VALU_DEP_1)
	v_mul_f32_e32 v46, v45, v44
	v_fma_f32 v47, -v43, v46, v45
	s_delay_alu instid0(VALU_DEP_1) | instskip(NEXT) | instid1(VALU_DEP_1)
	v_fmac_f32_e32 v46, v47, v44
	v_fma_f32 v43, -v43, v46, v45
	s_delay_alu instid0(VALU_DEP_1) | instskip(NEXT) | instid1(VALU_DEP_1)
	v_div_fmas_f32 v43, v43, v44, v46
	v_div_fixup_f32 v44, v43, v42, 1.0
	s_delay_alu instid0(VALU_DEP_1)
	v_mul_f32_e64 v45, v0, -v44
.LBB149_1063:                           ;   in Loop: Header=BB149_3 Depth=1
	s_or_b32 exec_lo, exec_lo, s84
	ds_store_b64 v77, v[44:45]
.LBB149_1064:                           ;   in Loop: Header=BB149_3 Depth=1
	s_or_b32 exec_lo, exec_lo, s66
	s_and_not1_saveexec_b32 s10, s16
	s_cbranch_execz .LBB149_19
.LBB149_1065:                           ;   in Loop: Header=BB149_3 Depth=1
	v_lshl_add_u64 v[42:43], v[12:13], 3, v[40:41]
	flat_load_b64 v[42:43], v[42:43]
	s_wait_loadcnt_dscnt 0x0
	v_pk_add_f32 v[42:43], v[42:43], 0 neg_lo:[1,1] neg_hi:[1,1]
	ds_store_b64 v77, v[42:43]
	s_or_b32 exec_lo, exec_lo, s10
	s_and_saveexec_b32 s10, s7
	s_delay_alu instid0(SALU_CYCLE_1)
	s_xor_b32 s16, exec_lo, s10
	s_cbranch_execz .LBB149_20
.LBB149_1066:                           ;   in Loop: Header=BB149_3 Depth=1
	v_readlane_b32 s11, v108, 18
	s_and_saveexec_b32 s10, s11
	s_delay_alu instid0(SALU_CYCLE_1)
	s_xor_b32 s10, exec_lo, s10
	s_cbranch_execz .LBB149_1070
; %bb.1067:                             ;   in Loop: Header=BB149_3 Depth=1
	v_readlane_b32 s11, v99, 4
	s_and_saveexec_b32 s66, s11
; %bb.1068:                             ;   in Loop: Header=BB149_3 Depth=1
	ds_store_b64 v80, v[30:31]
; %bb.1069:                             ;   in Loop: Header=BB149_3 Depth=1
	s_or_b32 exec_lo, exec_lo, s66
.LBB149_1070:                           ;   in Loop: Header=BB149_3 Depth=1
	s_and_not1_saveexec_b32 s66, s10
	s_cbranch_execz .LBB149_1076
; %bb.1071:                             ;   in Loop: Header=BB149_3 Depth=1
	v_lshl_add_u64 v[42:43], v[14:15], 3, v[40:41]
	s_mov_b32 s84, exec_lo
                                        ; implicit-def: $vgpr44_vgpr45
	flat_load_b64 v[42:43], v[42:43]
	s_wait_loadcnt_dscnt 0x0
	v_cmpx_ngt_f32_e64 |v42|, |v43|
	s_xor_b32 s84, exec_lo, s84
	s_cbranch_execz .LBB149_1073
; %bb.1072:                             ;   in Loop: Header=BB149_3 Depth=1
	v_div_scale_f32 v0, null, v43, v43, v42
	v_div_scale_f32 v46, vcc_lo, v42, v43, v42
	s_delay_alu instid0(VALU_DEP_2) | instskip(SKIP_1) | instid1(TRANS32_DEP_1)
	v_rcp_f32_e32 v44, v0
	v_nop
	v_fma_f32 v45, -v0, v44, 1.0
	s_delay_alu instid0(VALU_DEP_1) | instskip(NEXT) | instid1(VALU_DEP_1)
	v_fmac_f32_e32 v44, v45, v44
	v_mul_f32_e32 v45, v46, v44
	s_delay_alu instid0(VALU_DEP_1) | instskip(NEXT) | instid1(VALU_DEP_1)
	v_fma_f32 v47, -v0, v45, v46
	v_fmac_f32_e32 v45, v47, v44
	s_delay_alu instid0(VALU_DEP_1) | instskip(NEXT) | instid1(VALU_DEP_1)
	v_fma_f32 v0, -v0, v45, v46
	v_div_fmas_f32 v0, v0, v44, v45
	s_delay_alu instid0(VALU_DEP_1) | instskip(NEXT) | instid1(VALU_DEP_1)
	v_div_fixup_f32 v0, v0, v43, v42
	v_fmac_f32_e32 v43, v42, v0
	s_delay_alu instid0(VALU_DEP_1) | instskip(SKIP_1) | instid1(VALU_DEP_2)
	v_div_scale_f32 v42, null, v43, v43, 1.0
	v_div_scale_f32 v46, vcc_lo, 1.0, v43, 1.0
	v_rcp_f32_e32 v44, v42
	v_nop
	s_delay_alu instid0(TRANS32_DEP_1) | instskip(NEXT) | instid1(VALU_DEP_1)
	v_fma_f32 v45, -v42, v44, 1.0
	v_fmac_f32_e32 v44, v45, v44
	s_delay_alu instid0(VALU_DEP_1) | instskip(NEXT) | instid1(VALU_DEP_1)
	v_mul_f32_e32 v45, v46, v44
	v_fma_f32 v47, -v42, v45, v46
	s_delay_alu instid0(VALU_DEP_1) | instskip(NEXT) | instid1(VALU_DEP_1)
	v_fmac_f32_e32 v45, v47, v44
	v_fma_f32 v42, -v42, v45, v46
	s_delay_alu instid0(VALU_DEP_1) | instskip(NEXT) | instid1(VALU_DEP_1)
	v_div_fmas_f32 v42, v42, v44, v45
	v_div_fixup_f32 v42, v42, v43, 1.0
	s_delay_alu instid0(VALU_DEP_1)
	v_mul_f32_e32 v44, v0, v42
	v_xor_b32_e32 v45, 0x80000000, v42
                                        ; implicit-def: $vgpr42_vgpr43
.LBB149_1073:                           ;   in Loop: Header=BB149_3 Depth=1
	s_and_not1_saveexec_b32 s84, s84
	s_cbranch_execz .LBB149_1075
; %bb.1074:                             ;   in Loop: Header=BB149_3 Depth=1
	v_div_scale_f32 v0, null, v42, v42, v43
	v_div_scale_f32 v46, vcc_lo, v43, v42, v43
	s_delay_alu instid0(VALU_DEP_2) | instskip(SKIP_1) | instid1(TRANS32_DEP_1)
	v_rcp_f32_e32 v44, v0
	v_nop
	v_fma_f32 v45, -v0, v44, 1.0
	s_delay_alu instid0(VALU_DEP_1) | instskip(NEXT) | instid1(VALU_DEP_1)
	v_fmac_f32_e32 v44, v45, v44
	v_mul_f32_e32 v45, v46, v44
	s_delay_alu instid0(VALU_DEP_1) | instskip(NEXT) | instid1(VALU_DEP_1)
	v_fma_f32 v47, -v0, v45, v46
	v_fmac_f32_e32 v45, v47, v44
	s_delay_alu instid0(VALU_DEP_1) | instskip(NEXT) | instid1(VALU_DEP_1)
	v_fma_f32 v0, -v0, v45, v46
	v_div_fmas_f32 v0, v0, v44, v45
	s_delay_alu instid0(VALU_DEP_1) | instskip(NEXT) | instid1(VALU_DEP_1)
	v_div_fixup_f32 v0, v0, v42, v43
	v_fmac_f32_e32 v42, v43, v0
	s_delay_alu instid0(VALU_DEP_1) | instskip(NEXT) | instid1(VALU_DEP_1)
	v_div_scale_f32 v43, null, v42, v42, 1.0
	v_rcp_f32_e32 v44, v43
	v_nop
	s_delay_alu instid0(TRANS32_DEP_1) | instskip(NEXT) | instid1(VALU_DEP_1)
	v_fma_f32 v45, -v43, v44, 1.0
	v_fmac_f32_e32 v44, v45, v44
	v_div_scale_f32 v45, vcc_lo, 1.0, v42, 1.0
	s_delay_alu instid0(VALU_DEP_1) | instskip(NEXT) | instid1(VALU_DEP_1)
	v_mul_f32_e32 v46, v45, v44
	v_fma_f32 v47, -v43, v46, v45
	s_delay_alu instid0(VALU_DEP_1) | instskip(NEXT) | instid1(VALU_DEP_1)
	v_fmac_f32_e32 v46, v47, v44
	v_fma_f32 v43, -v43, v46, v45
	s_delay_alu instid0(VALU_DEP_1) | instskip(NEXT) | instid1(VALU_DEP_1)
	v_div_fmas_f32 v43, v43, v44, v46
	v_div_fixup_f32 v44, v43, v42, 1.0
	s_delay_alu instid0(VALU_DEP_1)
	v_mul_f32_e64 v45, v0, -v44
.LBB149_1075:                           ;   in Loop: Header=BB149_3 Depth=1
	s_or_b32 exec_lo, exec_lo, s84
	ds_store_b64 v80, v[44:45]
.LBB149_1076:                           ;   in Loop: Header=BB149_3 Depth=1
	s_or_b32 exec_lo, exec_lo, s66
	s_and_not1_saveexec_b32 s10, s16
	s_cbranch_execz .LBB149_21
.LBB149_1077:                           ;   in Loop: Header=BB149_3 Depth=1
	v_lshl_add_u64 v[42:43], v[14:15], 3, v[40:41]
	flat_load_b64 v[42:43], v[42:43]
	s_wait_loadcnt_dscnt 0x0
	v_pk_add_f32 v[42:43], v[42:43], 0 neg_lo:[1,1] neg_hi:[1,1]
	ds_store_b64 v80, v[42:43]
	s_or_b32 exec_lo, exec_lo, s10
	s_and_saveexec_b32 s10, s8
	s_delay_alu instid0(SALU_CYCLE_1)
	s_xor_b32 s16, exec_lo, s10
	s_cbranch_execz .LBB149_22
.LBB149_1078:                           ;   in Loop: Header=BB149_3 Depth=1
	v_readlane_b32 s11, v108, 20
	s_and_saveexec_b32 s10, s11
	s_delay_alu instid0(SALU_CYCLE_1)
	s_xor_b32 s10, exec_lo, s10
	s_cbranch_execz .LBB149_1082
; %bb.1079:                             ;   in Loop: Header=BB149_3 Depth=1
	v_readlane_b32 s11, v99, 5
	s_and_saveexec_b32 s66, s11
; %bb.1080:                             ;   in Loop: Header=BB149_3 Depth=1
	ds_store_b64 v82, v[30:31]
; %bb.1081:                             ;   in Loop: Header=BB149_3 Depth=1
	s_or_b32 exec_lo, exec_lo, s66
.LBB149_1082:                           ;   in Loop: Header=BB149_3 Depth=1
	s_and_not1_saveexec_b32 s66, s10
	s_cbranch_execz .LBB149_1088
; %bb.1083:                             ;   in Loop: Header=BB149_3 Depth=1
	v_lshl_add_u64 v[42:43], v[18:19], 3, v[40:41]
	s_mov_b32 s84, exec_lo
                                        ; implicit-def: $vgpr44_vgpr45
	flat_load_b64 v[42:43], v[42:43]
	s_wait_loadcnt_dscnt 0x0
	v_cmpx_ngt_f32_e64 |v42|, |v43|
	s_xor_b32 s84, exec_lo, s84
	s_cbranch_execz .LBB149_1085
; %bb.1084:                             ;   in Loop: Header=BB149_3 Depth=1
	v_div_scale_f32 v0, null, v43, v43, v42
	v_div_scale_f32 v46, vcc_lo, v42, v43, v42
	s_delay_alu instid0(VALU_DEP_2) | instskip(SKIP_1) | instid1(TRANS32_DEP_1)
	v_rcp_f32_e32 v44, v0
	v_nop
	v_fma_f32 v45, -v0, v44, 1.0
	s_delay_alu instid0(VALU_DEP_1) | instskip(NEXT) | instid1(VALU_DEP_1)
	v_fmac_f32_e32 v44, v45, v44
	v_mul_f32_e32 v45, v46, v44
	s_delay_alu instid0(VALU_DEP_1) | instskip(NEXT) | instid1(VALU_DEP_1)
	v_fma_f32 v47, -v0, v45, v46
	v_fmac_f32_e32 v45, v47, v44
	s_delay_alu instid0(VALU_DEP_1) | instskip(NEXT) | instid1(VALU_DEP_1)
	v_fma_f32 v0, -v0, v45, v46
	v_div_fmas_f32 v0, v0, v44, v45
	s_delay_alu instid0(VALU_DEP_1) | instskip(NEXT) | instid1(VALU_DEP_1)
	v_div_fixup_f32 v0, v0, v43, v42
	v_fmac_f32_e32 v43, v42, v0
	s_delay_alu instid0(VALU_DEP_1) | instskip(SKIP_1) | instid1(VALU_DEP_2)
	v_div_scale_f32 v42, null, v43, v43, 1.0
	v_div_scale_f32 v46, vcc_lo, 1.0, v43, 1.0
	v_rcp_f32_e32 v44, v42
	v_nop
	s_delay_alu instid0(TRANS32_DEP_1) | instskip(NEXT) | instid1(VALU_DEP_1)
	v_fma_f32 v45, -v42, v44, 1.0
	v_fmac_f32_e32 v44, v45, v44
	s_delay_alu instid0(VALU_DEP_1) | instskip(NEXT) | instid1(VALU_DEP_1)
	v_mul_f32_e32 v45, v46, v44
	v_fma_f32 v47, -v42, v45, v46
	s_delay_alu instid0(VALU_DEP_1) | instskip(NEXT) | instid1(VALU_DEP_1)
	v_fmac_f32_e32 v45, v47, v44
	v_fma_f32 v42, -v42, v45, v46
	s_delay_alu instid0(VALU_DEP_1) | instskip(NEXT) | instid1(VALU_DEP_1)
	v_div_fmas_f32 v42, v42, v44, v45
	v_div_fixup_f32 v42, v42, v43, 1.0
	s_delay_alu instid0(VALU_DEP_1)
	v_mul_f32_e32 v44, v0, v42
	v_xor_b32_e32 v45, 0x80000000, v42
                                        ; implicit-def: $vgpr42_vgpr43
.LBB149_1085:                           ;   in Loop: Header=BB149_3 Depth=1
	s_and_not1_saveexec_b32 s84, s84
	s_cbranch_execz .LBB149_1087
; %bb.1086:                             ;   in Loop: Header=BB149_3 Depth=1
	v_div_scale_f32 v0, null, v42, v42, v43
	v_div_scale_f32 v46, vcc_lo, v43, v42, v43
	s_delay_alu instid0(VALU_DEP_2) | instskip(SKIP_1) | instid1(TRANS32_DEP_1)
	v_rcp_f32_e32 v44, v0
	v_nop
	v_fma_f32 v45, -v0, v44, 1.0
	s_delay_alu instid0(VALU_DEP_1) | instskip(NEXT) | instid1(VALU_DEP_1)
	v_fmac_f32_e32 v44, v45, v44
	v_mul_f32_e32 v45, v46, v44
	s_delay_alu instid0(VALU_DEP_1) | instskip(NEXT) | instid1(VALU_DEP_1)
	v_fma_f32 v47, -v0, v45, v46
	v_fmac_f32_e32 v45, v47, v44
	s_delay_alu instid0(VALU_DEP_1) | instskip(NEXT) | instid1(VALU_DEP_1)
	v_fma_f32 v0, -v0, v45, v46
	v_div_fmas_f32 v0, v0, v44, v45
	s_delay_alu instid0(VALU_DEP_1) | instskip(NEXT) | instid1(VALU_DEP_1)
	v_div_fixup_f32 v0, v0, v42, v43
	v_fmac_f32_e32 v42, v43, v0
	s_delay_alu instid0(VALU_DEP_1) | instskip(NEXT) | instid1(VALU_DEP_1)
	v_div_scale_f32 v43, null, v42, v42, 1.0
	v_rcp_f32_e32 v44, v43
	v_nop
	s_delay_alu instid0(TRANS32_DEP_1) | instskip(NEXT) | instid1(VALU_DEP_1)
	v_fma_f32 v45, -v43, v44, 1.0
	v_fmac_f32_e32 v44, v45, v44
	v_div_scale_f32 v45, vcc_lo, 1.0, v42, 1.0
	s_delay_alu instid0(VALU_DEP_1) | instskip(NEXT) | instid1(VALU_DEP_1)
	v_mul_f32_e32 v46, v45, v44
	v_fma_f32 v47, -v43, v46, v45
	s_delay_alu instid0(VALU_DEP_1) | instskip(NEXT) | instid1(VALU_DEP_1)
	v_fmac_f32_e32 v46, v47, v44
	v_fma_f32 v43, -v43, v46, v45
	s_delay_alu instid0(VALU_DEP_1) | instskip(NEXT) | instid1(VALU_DEP_1)
	v_div_fmas_f32 v43, v43, v44, v46
	v_div_fixup_f32 v44, v43, v42, 1.0
	s_delay_alu instid0(VALU_DEP_1)
	v_mul_f32_e64 v45, v0, -v44
.LBB149_1087:                           ;   in Loop: Header=BB149_3 Depth=1
	s_or_b32 exec_lo, exec_lo, s84
	ds_store_b64 v82, v[44:45]
.LBB149_1088:                           ;   in Loop: Header=BB149_3 Depth=1
	s_or_b32 exec_lo, exec_lo, s66
	s_and_not1_saveexec_b32 s10, s16
	s_cbranch_execz .LBB149_23
.LBB149_1089:                           ;   in Loop: Header=BB149_3 Depth=1
	v_lshl_add_u64 v[42:43], v[18:19], 3, v[40:41]
	flat_load_b64 v[42:43], v[42:43]
	s_wait_loadcnt_dscnt 0x0
	v_pk_add_f32 v[42:43], v[42:43], 0 neg_lo:[1,1] neg_hi:[1,1]
	ds_store_b64 v82, v[42:43]
	s_or_b32 exec_lo, exec_lo, s10
	s_and_saveexec_b32 s10, s9
	s_delay_alu instid0(SALU_CYCLE_1)
	s_xor_b32 s16, exec_lo, s10
	s_cbranch_execz .LBB149_24
.LBB149_1090:                           ;   in Loop: Header=BB149_3 Depth=1
	v_readlane_b32 s11, v108, 22
	s_and_saveexec_b32 s10, s11
	s_delay_alu instid0(SALU_CYCLE_1)
	s_xor_b32 s10, exec_lo, s10
	s_cbranch_execz .LBB149_1094
; %bb.1091:                             ;   in Loop: Header=BB149_3 Depth=1
	v_readlane_b32 s11, v99, 6
	s_and_saveexec_b32 s66, s11
; %bb.1092:                             ;   in Loop: Header=BB149_3 Depth=1
	ds_store_b64 v86, v[30:31]
; %bb.1093:                             ;   in Loop: Header=BB149_3 Depth=1
	s_or_b32 exec_lo, exec_lo, s66
.LBB149_1094:                           ;   in Loop: Header=BB149_3 Depth=1
	s_and_not1_saveexec_b32 s66, s10
	s_cbranch_execz .LBB149_1100
; %bb.1095:                             ;   in Loop: Header=BB149_3 Depth=1
	v_lshl_add_u64 v[42:43], v[20:21], 3, v[40:41]
	s_mov_b32 s84, exec_lo
                                        ; implicit-def: $vgpr44_vgpr45
	flat_load_b64 v[42:43], v[42:43]
	s_wait_loadcnt_dscnt 0x0
	v_cmpx_ngt_f32_e64 |v42|, |v43|
	s_xor_b32 s84, exec_lo, s84
	s_cbranch_execz .LBB149_1097
; %bb.1096:                             ;   in Loop: Header=BB149_3 Depth=1
	v_div_scale_f32 v0, null, v43, v43, v42
	v_div_scale_f32 v46, vcc_lo, v42, v43, v42
	s_delay_alu instid0(VALU_DEP_2) | instskip(SKIP_1) | instid1(TRANS32_DEP_1)
	v_rcp_f32_e32 v44, v0
	v_nop
	v_fma_f32 v45, -v0, v44, 1.0
	s_delay_alu instid0(VALU_DEP_1) | instskip(NEXT) | instid1(VALU_DEP_1)
	v_fmac_f32_e32 v44, v45, v44
	v_mul_f32_e32 v45, v46, v44
	s_delay_alu instid0(VALU_DEP_1) | instskip(NEXT) | instid1(VALU_DEP_1)
	v_fma_f32 v47, -v0, v45, v46
	v_fmac_f32_e32 v45, v47, v44
	s_delay_alu instid0(VALU_DEP_1) | instskip(NEXT) | instid1(VALU_DEP_1)
	v_fma_f32 v0, -v0, v45, v46
	v_div_fmas_f32 v0, v0, v44, v45
	s_delay_alu instid0(VALU_DEP_1) | instskip(NEXT) | instid1(VALU_DEP_1)
	v_div_fixup_f32 v0, v0, v43, v42
	v_fmac_f32_e32 v43, v42, v0
	s_delay_alu instid0(VALU_DEP_1) | instskip(SKIP_1) | instid1(VALU_DEP_2)
	v_div_scale_f32 v42, null, v43, v43, 1.0
	v_div_scale_f32 v46, vcc_lo, 1.0, v43, 1.0
	v_rcp_f32_e32 v44, v42
	v_nop
	s_delay_alu instid0(TRANS32_DEP_1) | instskip(NEXT) | instid1(VALU_DEP_1)
	v_fma_f32 v45, -v42, v44, 1.0
	v_fmac_f32_e32 v44, v45, v44
	s_delay_alu instid0(VALU_DEP_1) | instskip(NEXT) | instid1(VALU_DEP_1)
	v_mul_f32_e32 v45, v46, v44
	v_fma_f32 v47, -v42, v45, v46
	s_delay_alu instid0(VALU_DEP_1) | instskip(NEXT) | instid1(VALU_DEP_1)
	v_fmac_f32_e32 v45, v47, v44
	v_fma_f32 v42, -v42, v45, v46
	s_delay_alu instid0(VALU_DEP_1) | instskip(NEXT) | instid1(VALU_DEP_1)
	v_div_fmas_f32 v42, v42, v44, v45
	v_div_fixup_f32 v42, v42, v43, 1.0
	s_delay_alu instid0(VALU_DEP_1)
	v_mul_f32_e32 v44, v0, v42
	v_xor_b32_e32 v45, 0x80000000, v42
                                        ; implicit-def: $vgpr42_vgpr43
.LBB149_1097:                           ;   in Loop: Header=BB149_3 Depth=1
	s_and_not1_saveexec_b32 s84, s84
	s_cbranch_execz .LBB149_1099
; %bb.1098:                             ;   in Loop: Header=BB149_3 Depth=1
	v_div_scale_f32 v0, null, v42, v42, v43
	v_div_scale_f32 v46, vcc_lo, v43, v42, v43
	s_delay_alu instid0(VALU_DEP_2) | instskip(SKIP_1) | instid1(TRANS32_DEP_1)
	v_rcp_f32_e32 v44, v0
	v_nop
	v_fma_f32 v45, -v0, v44, 1.0
	s_delay_alu instid0(VALU_DEP_1) | instskip(NEXT) | instid1(VALU_DEP_1)
	v_fmac_f32_e32 v44, v45, v44
	v_mul_f32_e32 v45, v46, v44
	s_delay_alu instid0(VALU_DEP_1) | instskip(NEXT) | instid1(VALU_DEP_1)
	v_fma_f32 v47, -v0, v45, v46
	v_fmac_f32_e32 v45, v47, v44
	s_delay_alu instid0(VALU_DEP_1) | instskip(NEXT) | instid1(VALU_DEP_1)
	v_fma_f32 v0, -v0, v45, v46
	v_div_fmas_f32 v0, v0, v44, v45
	s_delay_alu instid0(VALU_DEP_1) | instskip(NEXT) | instid1(VALU_DEP_1)
	v_div_fixup_f32 v0, v0, v42, v43
	v_fmac_f32_e32 v42, v43, v0
	s_delay_alu instid0(VALU_DEP_1) | instskip(NEXT) | instid1(VALU_DEP_1)
	v_div_scale_f32 v43, null, v42, v42, 1.0
	v_rcp_f32_e32 v44, v43
	v_nop
	s_delay_alu instid0(TRANS32_DEP_1) | instskip(NEXT) | instid1(VALU_DEP_1)
	v_fma_f32 v45, -v43, v44, 1.0
	v_fmac_f32_e32 v44, v45, v44
	v_div_scale_f32 v45, vcc_lo, 1.0, v42, 1.0
	s_delay_alu instid0(VALU_DEP_1) | instskip(NEXT) | instid1(VALU_DEP_1)
	v_mul_f32_e32 v46, v45, v44
	v_fma_f32 v47, -v43, v46, v45
	s_delay_alu instid0(VALU_DEP_1) | instskip(NEXT) | instid1(VALU_DEP_1)
	v_fmac_f32_e32 v46, v47, v44
	v_fma_f32 v43, -v43, v46, v45
	s_delay_alu instid0(VALU_DEP_1) | instskip(NEXT) | instid1(VALU_DEP_1)
	v_div_fmas_f32 v43, v43, v44, v46
	v_div_fixup_f32 v44, v43, v42, 1.0
	s_delay_alu instid0(VALU_DEP_1)
	v_mul_f32_e64 v45, v0, -v44
.LBB149_1099:                           ;   in Loop: Header=BB149_3 Depth=1
	s_or_b32 exec_lo, exec_lo, s84
	ds_store_b64 v86, v[44:45]
.LBB149_1100:                           ;   in Loop: Header=BB149_3 Depth=1
	s_or_b32 exec_lo, exec_lo, s66
	s_and_not1_saveexec_b32 s10, s16
	s_cbranch_execnz .LBB149_25
	s_branch .LBB149_26
.LBB149_1101:                           ;   in Loop: Header=BB149_3 Depth=1
	ds_load_b64 v[34:35], v93
	ds_load_b64 v[36:37], v88
	s_wait_dscnt 0x0
	v_dual_mul_f32 v0, v37, v35 :: v_dual_mul_f32 v35, v36, v35
	s_delay_alu instid0(VALU_DEP_1) | instskip(NEXT) | instid1(VALU_DEP_1)
	v_dual_fma_f32 v0, v36, v34, -v0 :: v_dual_fmac_f32 v35, v37, v34
	v_dual_add_f32 v34, 0, v0 :: v_dual_add_f32 v35, 0, v35
	s_or_b32 exec_lo, exec_lo, s10
	s_and_saveexec_b32 s10, s7
	s_cbranch_execz .LBB149_1033
.LBB149_1102:                           ;   in Loop: Header=BB149_3 Depth=1
	ds_load_b64 v[36:37], v93 offset:8192
	ds_load_b64 v[42:43], v88 offset:128
	s_wait_dscnt 0x0
	v_dual_mul_f32 v0, v43, v37 :: v_dual_mul_f32 v45, v42, v37
	s_delay_alu instid0(VALU_DEP_1) | instskip(NEXT) | instid1(VALU_DEP_1)
	v_dual_fma_f32 v44, v42, v36, -v0 :: v_dual_fmac_f32 v45, v43, v36
	v_pk_add_f32 v[34:35], v[34:35], v[44:45]
	s_or_b32 exec_lo, exec_lo, s10
	s_and_saveexec_b32 s10, s8
	s_cbranch_execz .LBB149_1034
.LBB149_1103:                           ;   in Loop: Header=BB149_3 Depth=1
	ds_load_b64 v[36:37], v93 offset:16384
	ds_load_b64 v[42:43], v88 offset:256
	s_wait_dscnt 0x0
	v_pk_mul_f32 v[44:45], v[42:43], v[36:37] op_sel:[1,1] op_sel_hi:[0,1]
	s_delay_alu instid0(VALU_DEP_1) | instskip(SKIP_1) | instid1(VALU_DEP_2)
	v_pk_fma_f32 v[46:47], v[42:43], v[36:37], v[44:45] op_sel_hi:[1,0,1]
	v_pk_fma_f32 v[36:37], v[42:43], v[36:37], v[44:45] neg_lo:[0,0,1] neg_hi:[0,0,1]
	v_mov_b32_e32 v37, v47
	s_delay_alu instid0(VALU_DEP_1)
	v_pk_add_f32 v[34:35], v[34:35], v[36:37]
	s_or_b32 exec_lo, exec_lo, s10
	s_and_saveexec_b32 s10, s9
	s_cbranch_execnz .LBB149_1035
	s_branch .LBB149_1036
.LBB149_1104:                           ;   in Loop: Header=BB149_3 Depth=1
	s_or_b32 exec_lo, exec_lo, s84
	s_delay_alu instid0(SALU_CYCLE_1)
	s_and_b32 vcc_lo, exec_lo, s16
	s_cbranch_vccnz .LBB149_1039
.LBB149_1105:                           ;   in Loop: Header=BB149_3 Depth=1
	v_mov_b64_e32 v[40:41], v[36:37]
	v_mov_b64_e32 v[34:35], v[28:29]
	s_and_saveexec_b32 s10, s66
	s_cbranch_execz .LBB149_1107
.LBB149_1106:                           ;   in Loop: Header=BB149_3 Depth=1
	s_delay_alu instid0(VALU_DEP_1)
	v_lshl_add_u64 v[34:35], v[34:35], 3, v[38:39]
	flat_store_b64 v[34:35], v[40:41]
.LBB149_1107:                           ;   in Loop: Header=BB149_3 Depth=1
	s_wait_xcnt 0x0
	s_or_b32 exec_lo, exec_lo, s10
	global_wb scope:SCOPE_DEV
	s_wait_storecnt_dscnt 0x0
	global_inv scope:SCOPE_DEV
	s_wait_loadcnt 0x0
	s_barrier_signal -1
	s_barrier_wait -1
	s_and_saveexec_b32 s10, s38
	s_cbranch_execz .LBB149_2
; %bb.1108:                             ;   in Loop: Header=BB149_3 Depth=1
	s_lshl_b64 s[84:85], s[80:81], 2
	s_delay_alu instid0(SALU_CYCLE_1)
	s_add_nc_u64 s[84:85], s[82:83], s[84:85]
	global_load_b32 v0, v1, s[84:85]
	s_wait_loadcnt 0x0
	v_add_nc_u32_e32 v0, 1, v0
	global_store_b32 v1, v0, s[84:85]
	s_branch .LBB149_2
.LBB149_1109:                           ;   in Loop: Header=BB149_3 Depth=1
	ds_load_b64 v[42:43], v54 offset:31680
	ds_load_b64 v[44:45], v55 offset:32744
	s_wait_dscnt 0x0
	v_dual_mul_f32 v0, v45, v43 :: v_dual_mul_f32 v43, v44, v43
	s_delay_alu instid0(VALU_DEP_1) | instskip(NEXT) | instid1(VALU_DEP_1)
	v_dual_fma_f32 v0, v44, v42, -v0 :: v_dual_fmac_f32 v43, v45, v42
	v_dual_add_f32 v40, v40, v0 :: v_dual_add_f32 v41, v41, v43
	s_or_b32 exec_lo, exec_lo, s10
	s_and_saveexec_b32 s10, s19
	s_cbranch_execz .LBB149_106
.LBB149_1110:                           ;   in Loop: Header=BB149_3 Depth=1
	ds_load_b64 v[42:43], v54 offset:32192
	ds_load_b64 v[44:45], v55 offset:32752
	s_wait_dscnt 0x0
	v_dual_mul_f32 v0, v45, v43 :: v_dual_mul_f32 v43, v44, v43
	s_delay_alu instid0(VALU_DEP_1) | instskip(NEXT) | instid1(VALU_DEP_1)
	v_dual_fma_f32 v0, v44, v42, -v0 :: v_dual_fmac_f32 v43, v45, v42
	v_dual_add_f32 v40, v40, v0 :: v_dual_add_f32 v41, v41, v43
	s_or_b32 exec_lo, exec_lo, s10
	s_and_saveexec_b32 s10, s1
	s_cbranch_execnz .LBB149_107
	s_branch .LBB149_108
.LBB149_1111:                           ;   in Loop: Header=BB149_3 Depth=1
	ds_load_b64 v[42:43], v59 offset:29568
	ds_load_b64 v[44:45], v60 offset:32712
	s_wait_dscnt 0x0
	v_dual_mul_f32 v0, v45, v43 :: v_dual_mul_f32 v43, v44, v43
	s_delay_alu instid0(VALU_DEP_1) | instskip(NEXT) | instid1(VALU_DEP_1)
	v_dual_fma_f32 v0, v44, v42, -v0 :: v_dual_fmac_f32 v43, v45, v42
	v_dual_add_f32 v40, v40, v0 :: v_dual_add_f32 v41, v41, v43
	s_or_b32 exec_lo, exec_lo, s10
	s_and_saveexec_b32 s10, s21
	s_cbranch_execz .LBB149_148
.LBB149_1112:                           ;   in Loop: Header=BB149_3 Depth=1
	ds_load_b64 v[42:43], v59 offset:30080
	ds_load_b64 v[44:45], v60 offset:32720
	s_wait_dscnt 0x0
	v_dual_mul_f32 v0, v45, v43 :: v_dual_mul_f32 v43, v44, v43
	s_delay_alu instid0(VALU_DEP_1) | instskip(NEXT) | instid1(VALU_DEP_1)
	v_dual_fma_f32 v0, v44, v42, -v0 :: v_dual_fmac_f32 v43, v45, v42
	v_dual_add_f32 v40, v40, v0 :: v_dual_add_f32 v41, v41, v43
	s_or_b32 exec_lo, exec_lo, s10
	s_and_saveexec_b32 s10, s22
	s_cbranch_execz .LBB149_149
.LBB149_1113:                           ;   in Loop: Header=BB149_3 Depth=1
	ds_load_b64 v[42:43], v59 offset:30592
	ds_load_b64 v[44:45], v60 offset:32728
	s_wait_dscnt 0x0
	v_dual_mul_f32 v0, v45, v43 :: v_dual_mul_f32 v43, v44, v43
	s_delay_alu instid0(VALU_DEP_1) | instskip(NEXT) | instid1(VALU_DEP_1)
	v_dual_fma_f32 v0, v44, v42, -v0 :: v_dual_fmac_f32 v43, v45, v42
	v_dual_add_f32 v40, v40, v0 :: v_dual_add_f32 v41, v41, v43
	s_or_b32 exec_lo, exec_lo, s10
	s_and_saveexec_b32 s10, s23
	s_cbranch_execz .LBB149_150
.LBB149_1114:                           ;   in Loop: Header=BB149_3 Depth=1
	ds_load_b64 v[42:43], v59 offset:31104
	ds_load_b64 v[44:45], v60 offset:32736
	s_wait_dscnt 0x0
	v_dual_mul_f32 v0, v45, v43 :: v_dual_mul_f32 v43, v44, v43
	s_delay_alu instid0(VALU_DEP_1) | instskip(NEXT) | instid1(VALU_DEP_1)
	v_dual_fma_f32 v0, v44, v42, -v0 :: v_dual_fmac_f32 v43, v45, v42
	v_dual_add_f32 v40, v40, v0 :: v_dual_add_f32 v41, v41, v43
	s_or_b32 exec_lo, exec_lo, s10
	s_and_saveexec_b32 s10, s24
	s_cbranch_execz .LBB149_151
.LBB149_1115:                           ;   in Loop: Header=BB149_3 Depth=1
	ds_load_b64 v[42:43], v59 offset:31616
	ds_load_b64 v[44:45], v60 offset:32744
	s_wait_dscnt 0x0
	v_dual_mul_f32 v0, v45, v43 :: v_dual_mul_f32 v43, v44, v43
	s_delay_alu instid0(VALU_DEP_1) | instskip(NEXT) | instid1(VALU_DEP_1)
	v_dual_fma_f32 v0, v44, v42, -v0 :: v_dual_fmac_f32 v43, v45, v42
	v_dual_add_f32 v40, v40, v0 :: v_dual_add_f32 v41, v41, v43
	s_or_b32 exec_lo, exec_lo, s10
	s_and_saveexec_b32 s10, s3
	s_cbranch_execz .LBB149_152
.LBB149_1116:                           ;   in Loop: Header=BB149_3 Depth=1
	ds_load_b64 v[42:43], v59 offset:32128
	ds_load_b64 v[44:45], v60 offset:32752
	s_wait_dscnt 0x0
	v_dual_mul_f32 v0, v45, v43 :: v_dual_mul_f32 v43, v44, v43
	s_delay_alu instid0(VALU_DEP_1) | instskip(NEXT) | instid1(VALU_DEP_1)
	v_dual_fma_f32 v0, v44, v42, -v0 :: v_dual_fmac_f32 v43, v45, v42
	v_dual_add_f32 v40, v40, v0 :: v_dual_add_f32 v41, v41, v43
	s_or_b32 exec_lo, exec_lo, s10
	s_and_saveexec_b32 s10, s19
	s_cbranch_execnz .LBB149_153
	s_branch .LBB149_154
.LBB149_1117:                           ;   in Loop: Header=BB149_3 Depth=1
	ds_load_b64 v[42:43], v54 offset:27520
	ds_load_b64 v[44:45], v55 offset:28584
	s_wait_dscnt 0x0
	v_dual_mul_f32 v0, v45, v43 :: v_dual_mul_f32 v43, v44, v43
	s_delay_alu instid0(VALU_DEP_1) | instskip(NEXT) | instid1(VALU_DEP_1)
	v_dual_fma_f32 v0, v44, v42, -v0 :: v_dual_fmac_f32 v43, v45, v42
	v_dual_add_f32 v40, v40, v0 :: v_dual_add_f32 v41, v41, v43
	s_or_b32 exec_lo, exec_lo, s10
	s_and_saveexec_b32 s10, s19
	s_cbranch_execz .LBB149_210
.LBB149_1118:                           ;   in Loop: Header=BB149_3 Depth=1
	ds_load_b64 v[42:43], v54 offset:28032
	ds_load_b64 v[44:45], v55 offset:28592
	s_wait_dscnt 0x0
	v_dual_mul_f32 v0, v45, v43 :: v_dual_mul_f32 v43, v44, v43
	s_delay_alu instid0(VALU_DEP_1) | instskip(NEXT) | instid1(VALU_DEP_1)
	v_dual_fma_f32 v0, v44, v42, -v0 :: v_dual_fmac_f32 v43, v45, v42
	v_dual_add_f32 v40, v40, v0 :: v_dual_add_f32 v41, v41, v43
	s_or_b32 exec_lo, exec_lo, s10
	s_and_saveexec_b32 s10, s1
	s_cbranch_execnz .LBB149_211
	s_branch .LBB149_212
.LBB149_1119:                           ;   in Loop: Header=BB149_3 Depth=1
	ds_load_b64 v[42:43], v63 offset:30464
	ds_load_b64 v[44:45], v64 offset:32728
	s_wait_dscnt 0x0
	v_dual_mul_f32 v0, v45, v43 :: v_dual_mul_f32 v43, v44, v43
	s_delay_alu instid0(VALU_DEP_1) | instskip(NEXT) | instid1(VALU_DEP_1)
	v_dual_fma_f32 v0, v44, v42, -v0 :: v_dual_fmac_f32 v43, v45, v42
	v_dual_add_f32 v40, v40, v0 :: v_dual_add_f32 v41, v41, v43
	s_or_b32 exec_lo, exec_lo, s10
	s_and_saveexec_b32 s10, s4
	s_cbranch_execz .LBB149_272
.LBB149_1120:                           ;   in Loop: Header=BB149_3 Depth=1
	ds_load_b64 v[42:43], v63 offset:30976
	ds_load_b64 v[44:45], v64 offset:32736
	s_wait_dscnt 0x0
	v_dual_mul_f32 v0, v45, v43 :: v_dual_mul_f32 v43, v44, v43
	s_delay_alu instid0(VALU_DEP_1) | instskip(NEXT) | instid1(VALU_DEP_1)
	v_dual_fma_f32 v0, v44, v42, -v0 :: v_dual_fmac_f32 v43, v45, v42
	v_dual_add_f32 v40, v40, v0 :: v_dual_add_f32 v41, v41, v43
	s_or_b32 exec_lo, exec_lo, s10
	s_and_saveexec_b32 s10, s21
	s_cbranch_execz .LBB149_273
.LBB149_1121:                           ;   in Loop: Header=BB149_3 Depth=1
	ds_load_b64 v[42:43], v63 offset:31488
	ds_load_b64 v[44:45], v64 offset:32744
	s_wait_dscnt 0x0
	v_dual_mul_f32 v0, v45, v43 :: v_dual_mul_f32 v43, v44, v43
	s_delay_alu instid0(VALU_DEP_1) | instskip(NEXT) | instid1(VALU_DEP_1)
	v_dual_fma_f32 v0, v44, v42, -v0 :: v_dual_fmac_f32 v43, v45, v42
	v_dual_add_f32 v40, v40, v0 :: v_dual_add_f32 v41, v41, v43
	s_or_b32 exec_lo, exec_lo, s10
	s_and_saveexec_b32 s10, s23
	s_cbranch_execz .LBB149_274
.LBB149_1122:                           ;   in Loop: Header=BB149_3 Depth=1
	ds_load_b64 v[42:43], v63 offset:32000
	ds_load_b64 v[44:45], v64 offset:32752
	s_wait_dscnt 0x0
	v_dual_mul_f32 v0, v45, v43 :: v_dual_mul_f32 v43, v44, v43
	s_delay_alu instid0(VALU_DEP_1) | instskip(NEXT) | instid1(VALU_DEP_1)
	v_dual_fma_f32 v0, v44, v42, -v0 :: v_dual_fmac_f32 v43, v45, v42
	v_dual_add_f32 v40, v40, v0 :: v_dual_add_f32 v41, v41, v43
	s_or_b32 exec_lo, exec_lo, s10
	s_and_saveexec_b32 s10, s3
	s_cbranch_execnz .LBB149_275
	s_branch .LBB149_276
.LBB149_1123:                           ;   in Loop: Header=BB149_3 Depth=1
	ds_load_b64 v[42:43], v54 offset:23360
	ds_load_b64 v[44:45], v55 offset:24424
	s_wait_dscnt 0x0
	v_dual_mul_f32 v0, v45, v43 :: v_dual_mul_f32 v43, v44, v43
	s_delay_alu instid0(VALU_DEP_1) | instskip(NEXT) | instid1(VALU_DEP_1)
	v_dual_fma_f32 v0, v44, v42, -v0 :: v_dual_fmac_f32 v43, v45, v42
	v_dual_add_f32 v40, v40, v0 :: v_dual_add_f32 v41, v41, v43
	s_or_b32 exec_lo, exec_lo, s10
	s_and_saveexec_b32 s10, s19
	s_cbranch_execz .LBB149_364
.LBB149_1124:                           ;   in Loop: Header=BB149_3 Depth=1
	ds_load_b64 v[42:43], v54 offset:23872
	ds_load_b64 v[44:45], v55 offset:24432
	s_wait_dscnt 0x0
	v_dual_mul_f32 v0, v45, v43 :: v_dual_mul_f32 v43, v44, v43
	s_delay_alu instid0(VALU_DEP_1) | instskip(NEXT) | instid1(VALU_DEP_1)
	v_dual_fma_f32 v0, v44, v42, -v0 :: v_dual_fmac_f32 v43, v45, v42
	v_dual_add_f32 v40, v40, v0 :: v_dual_add_f32 v41, v41, v43
	s_or_b32 exec_lo, exec_lo, s10
	s_and_saveexec_b32 s10, s1
	s_cbranch_execnz .LBB149_365
	s_branch .LBB149_366
.LBB149_1125:                           ;   in Loop: Header=BB149_3 Depth=1
	ds_load_b64 v[42:43], v59 offset:21248
	ds_load_b64 v[44:45], v60 offset:24392
	s_wait_dscnt 0x0
	v_dual_mul_f32 v0, v45, v43 :: v_dual_mul_f32 v43, v44, v43
	s_delay_alu instid0(VALU_DEP_1) | instskip(NEXT) | instid1(VALU_DEP_1)
	v_dual_fma_f32 v0, v44, v42, -v0 :: v_dual_fmac_f32 v43, v45, v42
	v_dual_add_f32 v40, v40, v0 :: v_dual_add_f32 v41, v41, v43
	s_or_b32 exec_lo, exec_lo, s10
	s_and_saveexec_b32 s10, s21
	s_cbranch_execz .LBB149_406
.LBB149_1126:                           ;   in Loop: Header=BB149_3 Depth=1
	ds_load_b64 v[42:43], v59 offset:21760
	ds_load_b64 v[44:45], v60 offset:24400
	s_wait_dscnt 0x0
	v_dual_mul_f32 v0, v45, v43 :: v_dual_mul_f32 v43, v44, v43
	s_delay_alu instid0(VALU_DEP_1) | instskip(NEXT) | instid1(VALU_DEP_1)
	v_dual_fma_f32 v0, v44, v42, -v0 :: v_dual_fmac_f32 v43, v45, v42
	v_dual_add_f32 v40, v40, v0 :: v_dual_add_f32 v41, v41, v43
	s_or_b32 exec_lo, exec_lo, s10
	s_and_saveexec_b32 s10, s22
	s_cbranch_execz .LBB149_407
.LBB149_1127:                           ;   in Loop: Header=BB149_3 Depth=1
	ds_load_b64 v[42:43], v59 offset:22272
	ds_load_b64 v[44:45], v60 offset:24408
	s_wait_dscnt 0x0
	v_dual_mul_f32 v0, v45, v43 :: v_dual_mul_f32 v43, v44, v43
	s_delay_alu instid0(VALU_DEP_1) | instskip(NEXT) | instid1(VALU_DEP_1)
	v_dual_fma_f32 v0, v44, v42, -v0 :: v_dual_fmac_f32 v43, v45, v42
	v_dual_add_f32 v40, v40, v0 :: v_dual_add_f32 v41, v41, v43
	s_or_b32 exec_lo, exec_lo, s10
	s_and_saveexec_b32 s10, s23
	s_cbranch_execz .LBB149_408
.LBB149_1128:                           ;   in Loop: Header=BB149_3 Depth=1
	ds_load_b64 v[42:43], v59 offset:22784
	ds_load_b64 v[44:45], v60 offset:24416
	s_wait_dscnt 0x0
	v_dual_mul_f32 v0, v45, v43 :: v_dual_mul_f32 v43, v44, v43
	s_delay_alu instid0(VALU_DEP_1) | instskip(NEXT) | instid1(VALU_DEP_1)
	v_dual_fma_f32 v0, v44, v42, -v0 :: v_dual_fmac_f32 v43, v45, v42
	v_dual_add_f32 v40, v40, v0 :: v_dual_add_f32 v41, v41, v43
	s_or_b32 exec_lo, exec_lo, s10
	s_and_saveexec_b32 s10, s24
	s_cbranch_execz .LBB149_409
.LBB149_1129:                           ;   in Loop: Header=BB149_3 Depth=1
	ds_load_b64 v[42:43], v59 offset:23296
	ds_load_b64 v[44:45], v60 offset:24424
	s_wait_dscnt 0x0
	v_dual_mul_f32 v0, v45, v43 :: v_dual_mul_f32 v43, v44, v43
	s_delay_alu instid0(VALU_DEP_1) | instskip(NEXT) | instid1(VALU_DEP_1)
	v_dual_fma_f32 v0, v44, v42, -v0 :: v_dual_fmac_f32 v43, v45, v42
	v_dual_add_f32 v40, v40, v0 :: v_dual_add_f32 v41, v41, v43
	s_or_b32 exec_lo, exec_lo, s10
	s_and_saveexec_b32 s10, s3
	s_cbranch_execz .LBB149_410
.LBB149_1130:                           ;   in Loop: Header=BB149_3 Depth=1
	ds_load_b64 v[42:43], v59 offset:23808
	ds_load_b64 v[44:45], v60 offset:24432
	s_wait_dscnt 0x0
	v_dual_mul_f32 v0, v45, v43 :: v_dual_mul_f32 v43, v44, v43
	s_delay_alu instid0(VALU_DEP_1) | instskip(NEXT) | instid1(VALU_DEP_1)
	v_dual_fma_f32 v0, v44, v42, -v0 :: v_dual_fmac_f32 v43, v45, v42
	v_dual_add_f32 v40, v40, v0 :: v_dual_add_f32 v41, v41, v43
	s_or_b32 exec_lo, exec_lo, s10
	s_and_saveexec_b32 s10, s19
	s_cbranch_execnz .LBB149_411
	s_branch .LBB149_412
.LBB149_1131:                           ;   in Loop: Header=BB149_3 Depth=1
	ds_load_b64 v[42:43], v54 offset:19200
	ds_load_b64 v[44:45], v55 offset:20264
	s_wait_dscnt 0x0
	v_dual_mul_f32 v0, v45, v43 :: v_dual_mul_f32 v43, v44, v43
	s_delay_alu instid0(VALU_DEP_1) | instskip(NEXT) | instid1(VALU_DEP_1)
	v_dual_fma_f32 v0, v44, v42, -v0 :: v_dual_fmac_f32 v43, v45, v42
	v_dual_add_f32 v40, v40, v0 :: v_dual_add_f32 v41, v41, v43
	s_or_b32 exec_lo, exec_lo, s10
	s_and_saveexec_b32 s10, s19
	s_cbranch_execz .LBB149_468
.LBB149_1132:                           ;   in Loop: Header=BB149_3 Depth=1
	ds_load_b64 v[42:43], v54 offset:19712
	ds_load_b64 v[44:45], v55 offset:20272
	s_wait_dscnt 0x0
	v_dual_mul_f32 v0, v45, v43 :: v_dual_mul_f32 v43, v44, v43
	s_delay_alu instid0(VALU_DEP_1) | instskip(NEXT) | instid1(VALU_DEP_1)
	v_dual_fma_f32 v0, v44, v42, -v0 :: v_dual_fmac_f32 v43, v45, v42
	v_dual_add_f32 v40, v40, v0 :: v_dual_add_f32 v41, v41, v43
	s_or_b32 exec_lo, exec_lo, s10
	s_and_saveexec_b32 s10, s1
	s_cbranch_execnz .LBB149_469
	s_branch .LBB149_470
.LBB149_1133:                           ;   in Loop: Header=BB149_3 Depth=1
	ds_load_b64 v[42:43], v67 offset:30720
	ds_load_b64 v[44:45], v69 offset:32736
	s_wait_dscnt 0x0
	v_dual_mul_f32 v0, v45, v43 :: v_dual_mul_f32 v47, v44, v43
	s_delay_alu instid0(VALU_DEP_1) | instskip(NEXT) | instid1(VALU_DEP_1)
	v_dual_fma_f32 v46, v44, v42, -v0 :: v_dual_fmac_f32 v47, v45, v42
	v_pk_add_f32 v[40:41], v[40:41], v[46:47]
	s_or_b32 exec_lo, exec_lo, s10
	s_and_saveexec_b32 s10, s13
	s_cbranch_execz .LBB149_564
.LBB149_1134:                           ;   in Loop: Header=BB149_3 Depth=1
	ds_load_b64 v[42:43], v67 offset:31232
	ds_load_b64 v[44:45], v69 offset:32744
	s_wait_dscnt 0x0
	v_pk_mul_f32 v[46:47], v[44:45], v[42:43] op_sel:[1,1] op_sel_hi:[0,1]
	s_delay_alu instid0(VALU_DEP_1) | instskip(SKIP_1) | instid1(VALU_DEP_2)
	v_pk_fma_f32 v[100:101], v[44:45], v[42:43], v[46:47] op_sel_hi:[1,0,1]
	v_pk_fma_f32 v[42:43], v[44:45], v[42:43], v[46:47] neg_lo:[0,0,1] neg_hi:[0,0,1]
	v_mov_b32_e32 v43, v101
	s_delay_alu instid0(VALU_DEP_1)
	v_pk_add_f32 v[40:41], v[40:41], v[42:43]
	s_or_b32 exec_lo, exec_lo, s10
	s_and_saveexec_b32 s10, s4
	s_cbranch_execz .LBB149_565
.LBB149_1135:                           ;   in Loop: Header=BB149_3 Depth=1
	ds_load_b64 v[42:43], v67 offset:31744
	ds_load_b64 v[44:45], v69 offset:32752
	s_wait_dscnt 0x0
	v_pk_mul_f32 v[46:47], v[44:45], v[42:43] op_sel:[1,1] op_sel_hi:[0,1]
	s_delay_alu instid0(VALU_DEP_1) | instskip(SKIP_1) | instid1(VALU_DEP_2)
	v_pk_fma_f32 v[100:101], v[44:45], v[42:43], v[46:47] op_sel_hi:[1,0,1]
	v_pk_fma_f32 v[42:43], v[44:45], v[42:43], v[46:47] neg_lo:[0,0,1] neg_hi:[0,0,1]
	v_mov_b32_e32 v43, v101
	s_delay_alu instid0(VALU_DEP_1) | instskip(SKIP_2) | instid1(SALU_CYCLE_1)
	v_pk_add_f32 v[40:41], v[40:41], v[42:43]
	s_or_b32 exec_lo, exec_lo, s10
	s_and_saveexec_b32 s10, s23
	s_xor_b32 s10, exec_lo, s10
	s_cbranch_execnz .LBB149_566
	s_branch .LBB149_567
.LBB149_1136:                           ;   in Loop: Header=BB149_3 Depth=1
	ds_load_b64 v[42:43], v54 offset:15040
	ds_load_b64 v[44:45], v55 offset:16104
	s_wait_dscnt 0x0
	v_dual_mul_f32 v0, v45, v43 :: v_dual_mul_f32 v43, v44, v43
	s_delay_alu instid0(VALU_DEP_1) | instskip(NEXT) | instid1(VALU_DEP_1)
	v_dual_fma_f32 v0, v44, v42, -v0 :: v_dual_fmac_f32 v43, v45, v42
	v_dual_add_f32 v40, v40, v0 :: v_dual_add_f32 v41, v41, v43
	s_or_b32 exec_lo, exec_lo, s10
	s_and_saveexec_b32 s10, s19
	s_cbranch_execz .LBB149_603
.LBB149_1137:                           ;   in Loop: Header=BB149_3 Depth=1
	ds_load_b64 v[42:43], v54 offset:15552
	ds_load_b64 v[44:45], v55 offset:16112
	s_wait_dscnt 0x0
	v_dual_mul_f32 v0, v45, v43 :: v_dual_mul_f32 v43, v44, v43
	s_delay_alu instid0(VALU_DEP_1) | instskip(NEXT) | instid1(VALU_DEP_1)
	v_dual_fma_f32 v0, v44, v42, -v0 :: v_dual_fmac_f32 v43, v45, v42
	v_dual_add_f32 v40, v40, v0 :: v_dual_add_f32 v41, v41, v43
	s_or_b32 exec_lo, exec_lo, s10
	s_and_saveexec_b32 s10, s1
	s_cbranch_execnz .LBB149_604
	s_branch .LBB149_605
.LBB149_1138:                           ;   in Loop: Header=BB149_3 Depth=1
	ds_load_b64 v[42:43], v59 offset:12928
	ds_load_b64 v[44:45], v60 offset:16072
	s_wait_dscnt 0x0
	v_dual_mul_f32 v0, v45, v43 :: v_dual_mul_f32 v43, v44, v43
	s_delay_alu instid0(VALU_DEP_1) | instskip(NEXT) | instid1(VALU_DEP_1)
	v_dual_fma_f32 v0, v44, v42, -v0 :: v_dual_fmac_f32 v43, v45, v42
	v_dual_add_f32 v40, v40, v0 :: v_dual_add_f32 v41, v41, v43
	s_or_b32 exec_lo, exec_lo, s10
	s_and_saveexec_b32 s10, s21
	s_cbranch_execz .LBB149_645
.LBB149_1139:                           ;   in Loop: Header=BB149_3 Depth=1
	ds_load_b64 v[42:43], v59 offset:13440
	ds_load_b64 v[44:45], v60 offset:16080
	s_wait_dscnt 0x0
	v_dual_mul_f32 v0, v45, v43 :: v_dual_mul_f32 v43, v44, v43
	s_delay_alu instid0(VALU_DEP_1) | instskip(NEXT) | instid1(VALU_DEP_1)
	v_dual_fma_f32 v0, v44, v42, -v0 :: v_dual_fmac_f32 v43, v45, v42
	v_dual_add_f32 v40, v40, v0 :: v_dual_add_f32 v41, v41, v43
	s_or_b32 exec_lo, exec_lo, s10
	s_and_saveexec_b32 s10, s22
	s_cbranch_execz .LBB149_646
.LBB149_1140:                           ;   in Loop: Header=BB149_3 Depth=1
	ds_load_b64 v[42:43], v59 offset:13952
	ds_load_b64 v[44:45], v60 offset:16088
	s_wait_dscnt 0x0
	v_dual_mul_f32 v0, v45, v43 :: v_dual_mul_f32 v43, v44, v43
	s_delay_alu instid0(VALU_DEP_1) | instskip(NEXT) | instid1(VALU_DEP_1)
	v_dual_fma_f32 v0, v44, v42, -v0 :: v_dual_fmac_f32 v43, v45, v42
	v_dual_add_f32 v40, v40, v0 :: v_dual_add_f32 v41, v41, v43
	s_or_b32 exec_lo, exec_lo, s10
	s_and_saveexec_b32 s10, s23
	s_cbranch_execz .LBB149_647
.LBB149_1141:                           ;   in Loop: Header=BB149_3 Depth=1
	ds_load_b64 v[42:43], v59 offset:14464
	ds_load_b64 v[44:45], v60 offset:16096
	s_wait_dscnt 0x0
	v_dual_mul_f32 v0, v45, v43 :: v_dual_mul_f32 v43, v44, v43
	s_delay_alu instid0(VALU_DEP_1) | instskip(NEXT) | instid1(VALU_DEP_1)
	v_dual_fma_f32 v0, v44, v42, -v0 :: v_dual_fmac_f32 v43, v45, v42
	v_dual_add_f32 v40, v40, v0 :: v_dual_add_f32 v41, v41, v43
	s_or_b32 exec_lo, exec_lo, s10
	s_and_saveexec_b32 s10, s24
	s_cbranch_execz .LBB149_648
.LBB149_1142:                           ;   in Loop: Header=BB149_3 Depth=1
	ds_load_b64 v[42:43], v59 offset:14976
	ds_load_b64 v[44:45], v60 offset:16104
	s_wait_dscnt 0x0
	v_dual_mul_f32 v0, v45, v43 :: v_dual_mul_f32 v43, v44, v43
	s_delay_alu instid0(VALU_DEP_1) | instskip(NEXT) | instid1(VALU_DEP_1)
	v_dual_fma_f32 v0, v44, v42, -v0 :: v_dual_fmac_f32 v43, v45, v42
	v_dual_add_f32 v40, v40, v0 :: v_dual_add_f32 v41, v41, v43
	s_or_b32 exec_lo, exec_lo, s10
	s_and_saveexec_b32 s10, s3
	s_cbranch_execz .LBB149_649
.LBB149_1143:                           ;   in Loop: Header=BB149_3 Depth=1
	ds_load_b64 v[42:43], v59 offset:15488
	ds_load_b64 v[44:45], v60 offset:16112
	s_wait_dscnt 0x0
	v_dual_mul_f32 v0, v45, v43 :: v_dual_mul_f32 v43, v44, v43
	s_delay_alu instid0(VALU_DEP_1) | instskip(NEXT) | instid1(VALU_DEP_1)
	v_dual_fma_f32 v0, v44, v42, -v0 :: v_dual_fmac_f32 v43, v45, v42
	v_dual_add_f32 v40, v40, v0 :: v_dual_add_f32 v41, v41, v43
	s_or_b32 exec_lo, exec_lo, s10
	s_and_saveexec_b32 s10, s19
	s_cbranch_execnz .LBB149_650
	s_branch .LBB149_651
.LBB149_1144:                           ;   in Loop: Header=BB149_3 Depth=1
	ds_load_b64 v[42:43], v54 offset:10880
	ds_load_b64 v[44:45], v55 offset:11944
	s_wait_dscnt 0x0
	v_dual_mul_f32 v0, v45, v43 :: v_dual_mul_f32 v43, v44, v43
	s_delay_alu instid0(VALU_DEP_1) | instskip(NEXT) | instid1(VALU_DEP_1)
	v_dual_fma_f32 v0, v44, v42, -v0 :: v_dual_fmac_f32 v43, v45, v42
	v_dual_add_f32 v40, v40, v0 :: v_dual_add_f32 v41, v41, v43
	s_or_b32 exec_lo, exec_lo, s10
	s_and_saveexec_b32 s10, s19
	s_cbranch_execz .LBB149_707
.LBB149_1145:                           ;   in Loop: Header=BB149_3 Depth=1
	ds_load_b64 v[42:43], v54 offset:11392
	ds_load_b64 v[44:45], v55 offset:11952
	s_wait_dscnt 0x0
	v_dual_mul_f32 v0, v45, v43 :: v_dual_mul_f32 v43, v44, v43
	s_delay_alu instid0(VALU_DEP_1) | instskip(NEXT) | instid1(VALU_DEP_1)
	v_dual_fma_f32 v0, v44, v42, -v0 :: v_dual_fmac_f32 v43, v45, v42
	v_dual_add_f32 v40, v40, v0 :: v_dual_add_f32 v41, v41, v43
	s_or_b32 exec_lo, exec_lo, s10
	s_and_saveexec_b32 s10, s1
	s_cbranch_execnz .LBB149_708
	s_branch .LBB149_709
.LBB149_1146:                           ;   in Loop: Header=BB149_3 Depth=1
	ds_load_b64 v[42:43], v63 offset:13824
	ds_load_b64 v[44:45], v64 offset:16088
	s_wait_dscnt 0x0
	v_dual_mul_f32 v0, v45, v43 :: v_dual_mul_f32 v43, v44, v43
	s_delay_alu instid0(VALU_DEP_1) | instskip(NEXT) | instid1(VALU_DEP_1)
	v_dual_fma_f32 v0, v44, v42, -v0 :: v_dual_fmac_f32 v43, v45, v42
	v_dual_add_f32 v40, v40, v0 :: v_dual_add_f32 v41, v41, v43
	s_or_b32 exec_lo, exec_lo, s10
	s_and_saveexec_b32 s10, s4
	s_cbranch_execz .LBB149_769
.LBB149_1147:                           ;   in Loop: Header=BB149_3 Depth=1
	ds_load_b64 v[42:43], v63 offset:14336
	ds_load_b64 v[44:45], v64 offset:16096
	s_wait_dscnt 0x0
	v_dual_mul_f32 v0, v45, v43 :: v_dual_mul_f32 v43, v44, v43
	s_delay_alu instid0(VALU_DEP_1) | instskip(NEXT) | instid1(VALU_DEP_1)
	v_dual_fma_f32 v0, v44, v42, -v0 :: v_dual_fmac_f32 v43, v45, v42
	v_dual_add_f32 v40, v40, v0 :: v_dual_add_f32 v41, v41, v43
	s_or_b32 exec_lo, exec_lo, s10
	s_and_saveexec_b32 s10, s21
	s_cbranch_execz .LBB149_770
.LBB149_1148:                           ;   in Loop: Header=BB149_3 Depth=1
	ds_load_b64 v[42:43], v63 offset:14848
	ds_load_b64 v[44:45], v64 offset:16104
	s_wait_dscnt 0x0
	v_dual_mul_f32 v0, v45, v43 :: v_dual_mul_f32 v43, v44, v43
	s_delay_alu instid0(VALU_DEP_1) | instskip(NEXT) | instid1(VALU_DEP_1)
	v_dual_fma_f32 v0, v44, v42, -v0 :: v_dual_fmac_f32 v43, v45, v42
	v_dual_add_f32 v40, v40, v0 :: v_dual_add_f32 v41, v41, v43
	s_or_b32 exec_lo, exec_lo, s10
	s_and_saveexec_b32 s10, s23
	s_cbranch_execz .LBB149_771
.LBB149_1149:                           ;   in Loop: Header=BB149_3 Depth=1
	ds_load_b64 v[42:43], v63 offset:15360
	ds_load_b64 v[44:45], v64 offset:16112
	s_wait_dscnt 0x0
	v_dual_mul_f32 v0, v45, v43 :: v_dual_mul_f32 v43, v44, v43
	s_delay_alu instid0(VALU_DEP_1) | instskip(NEXT) | instid1(VALU_DEP_1)
	v_dual_fma_f32 v0, v44, v42, -v0 :: v_dual_fmac_f32 v43, v45, v42
	v_dual_add_f32 v40, v40, v0 :: v_dual_add_f32 v41, v41, v43
	s_or_b32 exec_lo, exec_lo, s10
	s_and_saveexec_b32 s10, s3
	s_cbranch_execnz .LBB149_772
	s_branch .LBB149_773
.LBB149_1150:                           ;   in Loop: Header=BB149_3 Depth=1
	ds_load_b64 v[42:43], v54 offset:6720
	ds_load_b64 v[44:45], v55 offset:7784
	s_wait_dscnt 0x0
	v_dual_mul_f32 v0, v45, v43 :: v_dual_mul_f32 v43, v44, v43
	s_delay_alu instid0(VALU_DEP_1) | instskip(NEXT) | instid1(VALU_DEP_1)
	v_dual_fma_f32 v0, v44, v42, -v0 :: v_dual_fmac_f32 v43, v45, v42
	v_dual_add_f32 v40, v40, v0 :: v_dual_add_f32 v41, v41, v43
	s_or_b32 exec_lo, exec_lo, s10
	s_and_saveexec_b32 s10, s19
	s_cbranch_execz .LBB149_861
.LBB149_1151:                           ;   in Loop: Header=BB149_3 Depth=1
	ds_load_b64 v[42:43], v54 offset:7232
	ds_load_b64 v[44:45], v55 offset:7792
	s_wait_dscnt 0x0
	v_dual_mul_f32 v0, v45, v43 :: v_dual_mul_f32 v43, v44, v43
	s_delay_alu instid0(VALU_DEP_1) | instskip(NEXT) | instid1(VALU_DEP_1)
	v_dual_fma_f32 v0, v44, v42, -v0 :: v_dual_fmac_f32 v43, v45, v42
	v_dual_add_f32 v40, v40, v0 :: v_dual_add_f32 v41, v41, v43
	s_or_b32 exec_lo, exec_lo, s10
	s_and_saveexec_b32 s10, s1
	s_cbranch_execnz .LBB149_862
	s_branch .LBB149_863
.LBB149_1152:                           ;   in Loop: Header=BB149_3 Depth=1
	ds_load_b64 v[42:43], v59 offset:4608
	ds_load_b64 v[44:45], v60 offset:7752
	s_wait_dscnt 0x0
	v_dual_mul_f32 v0, v45, v43 :: v_dual_mul_f32 v43, v44, v43
	s_delay_alu instid0(VALU_DEP_1) | instskip(NEXT) | instid1(VALU_DEP_1)
	v_dual_fma_f32 v0, v44, v42, -v0 :: v_dual_fmac_f32 v43, v45, v42
	v_dual_add_f32 v40, v40, v0 :: v_dual_add_f32 v41, v41, v43
	s_or_b32 exec_lo, exec_lo, s10
	s_and_saveexec_b32 s10, s21
	s_cbranch_execz .LBB149_903
.LBB149_1153:                           ;   in Loop: Header=BB149_3 Depth=1
	ds_load_b64 v[42:43], v59 offset:5120
	ds_load_b64 v[44:45], v60 offset:7760
	s_wait_dscnt 0x0
	v_dual_mul_f32 v0, v45, v43 :: v_dual_mul_f32 v43, v44, v43
	s_delay_alu instid0(VALU_DEP_1) | instskip(NEXT) | instid1(VALU_DEP_1)
	v_dual_fma_f32 v0, v44, v42, -v0 :: v_dual_fmac_f32 v43, v45, v42
	v_dual_add_f32 v40, v40, v0 :: v_dual_add_f32 v41, v41, v43
	s_or_b32 exec_lo, exec_lo, s10
	s_and_saveexec_b32 s10, s22
	s_cbranch_execz .LBB149_904
.LBB149_1154:                           ;   in Loop: Header=BB149_3 Depth=1
	ds_load_b64 v[42:43], v59 offset:5632
	ds_load_b64 v[44:45], v60 offset:7768
	s_wait_dscnt 0x0
	v_dual_mul_f32 v0, v45, v43 :: v_dual_mul_f32 v43, v44, v43
	s_delay_alu instid0(VALU_DEP_1) | instskip(NEXT) | instid1(VALU_DEP_1)
	v_dual_fma_f32 v0, v44, v42, -v0 :: v_dual_fmac_f32 v43, v45, v42
	v_dual_add_f32 v40, v40, v0 :: v_dual_add_f32 v41, v41, v43
	s_or_b32 exec_lo, exec_lo, s10
	s_and_saveexec_b32 s10, s23
	s_cbranch_execz .LBB149_905
.LBB149_1155:                           ;   in Loop: Header=BB149_3 Depth=1
	ds_load_b64 v[42:43], v59 offset:6144
	ds_load_b64 v[44:45], v60 offset:7776
	s_wait_dscnt 0x0
	v_dual_mul_f32 v0, v45, v43 :: v_dual_mul_f32 v43, v44, v43
	s_delay_alu instid0(VALU_DEP_1) | instskip(NEXT) | instid1(VALU_DEP_1)
	v_dual_fma_f32 v0, v44, v42, -v0 :: v_dual_fmac_f32 v43, v45, v42
	v_dual_add_f32 v40, v40, v0 :: v_dual_add_f32 v41, v41, v43
	s_or_b32 exec_lo, exec_lo, s10
	s_and_saveexec_b32 s10, s24
	s_cbranch_execz .LBB149_906
.LBB149_1156:                           ;   in Loop: Header=BB149_3 Depth=1
	ds_load_b64 v[42:43], v59 offset:6656
	ds_load_b64 v[44:45], v60 offset:7784
	s_wait_dscnt 0x0
	v_dual_mul_f32 v0, v45, v43 :: v_dual_mul_f32 v43, v44, v43
	s_delay_alu instid0(VALU_DEP_1) | instskip(NEXT) | instid1(VALU_DEP_1)
	v_dual_fma_f32 v0, v44, v42, -v0 :: v_dual_fmac_f32 v43, v45, v42
	v_dual_add_f32 v40, v40, v0 :: v_dual_add_f32 v41, v41, v43
	s_or_b32 exec_lo, exec_lo, s10
	s_and_saveexec_b32 s10, s3
	s_cbranch_execz .LBB149_907
.LBB149_1157:                           ;   in Loop: Header=BB149_3 Depth=1
	ds_load_b64 v[42:43], v59 offset:7168
	ds_load_b64 v[44:45], v60 offset:7792
	s_wait_dscnt 0x0
	v_dual_mul_f32 v0, v45, v43 :: v_dual_mul_f32 v43, v44, v43
	s_delay_alu instid0(VALU_DEP_1) | instskip(NEXT) | instid1(VALU_DEP_1)
	v_dual_fma_f32 v0, v44, v42, -v0 :: v_dual_fmac_f32 v43, v45, v42
	v_dual_add_f32 v40, v40, v0 :: v_dual_add_f32 v41, v41, v43
	s_or_b32 exec_lo, exec_lo, s10
	s_and_saveexec_b32 s10, s19
	s_cbranch_execnz .LBB149_908
	s_branch .LBB149_909
.LBB149_1158:                           ;   in Loop: Header=BB149_3 Depth=1
	ds_load_b64 v[42:43], v54 offset:2560
	ds_load_b64 v[44:45], v55 offset:3624
	s_wait_dscnt 0x0
	v_dual_mul_f32 v0, v45, v43 :: v_dual_mul_f32 v43, v44, v43
	s_delay_alu instid0(VALU_DEP_1) | instskip(NEXT) | instid1(VALU_DEP_1)
	v_dual_fma_f32 v0, v44, v42, -v0 :: v_dual_fmac_f32 v43, v45, v42
	v_dual_add_f32 v40, v40, v0 :: v_dual_add_f32 v41, v41, v43
	s_or_b32 exec_lo, exec_lo, s10
	s_and_saveexec_b32 s10, s19
	s_cbranch_execz .LBB149_965
.LBB149_1159:                           ;   in Loop: Header=BB149_3 Depth=1
	ds_load_b64 v[42:43], v54 offset:3072
	ds_load_b64 v[44:45], v55 offset:3632
	s_wait_dscnt 0x0
	v_dual_mul_f32 v0, v45, v43 :: v_dual_mul_f32 v43, v44, v43
	s_delay_alu instid0(VALU_DEP_1) | instskip(NEXT) | instid1(VALU_DEP_1)
	v_dual_fma_f32 v0, v44, v42, -v0 :: v_dual_fmac_f32 v43, v45, v42
	v_dual_add_f32 v40, v40, v0 :: v_dual_add_f32 v41, v41, v43
	s_or_b32 exec_lo, exec_lo, s10
	s_and_saveexec_b32 s10, s1
	s_cbranch_execnz .LBB149_966
	s_branch .LBB149_967
.LBB149_1160:
	s_endpgm
	.section	.rodata,"a",@progbits
	.p2align	6, 0x0
	.amdhsa_kernel _ZL19rocblas_trsv_deviceILi64ELi16ELb0ELb1ELb0ELb0E19rocblas_complex_numIfEPKS1_PKS3_PKPS1_EviT7_lllT6_T8_lllPii
		.amdhsa_group_segment_fixed_size 41480
		.amdhsa_private_segment_fixed_size 48
		.amdhsa_kernarg_size 352
		.amdhsa_user_sgpr_count 2
		.amdhsa_user_sgpr_dispatch_ptr 0
		.amdhsa_user_sgpr_queue_ptr 0
		.amdhsa_user_sgpr_kernarg_segment_ptr 1
		.amdhsa_user_sgpr_dispatch_id 0
		.amdhsa_user_sgpr_kernarg_preload_length 0
		.amdhsa_user_sgpr_kernarg_preload_offset 0
		.amdhsa_user_sgpr_private_segment_size 0
		.amdhsa_wavefront_size32 1
		.amdhsa_uses_dynamic_stack 0
		.amdhsa_enable_private_segment 1
		.amdhsa_system_sgpr_workgroup_id_x 1
		.amdhsa_system_sgpr_workgroup_id_y 0
		.amdhsa_system_sgpr_workgroup_id_z 1
		.amdhsa_system_sgpr_workgroup_info 0
		.amdhsa_system_vgpr_workitem_id 1
		.amdhsa_next_free_vgpr 109
		.amdhsa_next_free_sgpr 105
		.amdhsa_named_barrier_count 0
		.amdhsa_reserve_vcc 1
		.amdhsa_float_round_mode_32 0
		.amdhsa_float_round_mode_16_64 0
		.amdhsa_float_denorm_mode_32 3
		.amdhsa_float_denorm_mode_16_64 3
		.amdhsa_fp16_overflow 0
		.amdhsa_memory_ordered 1
		.amdhsa_forward_progress 1
		.amdhsa_inst_pref_size 255
		.amdhsa_round_robin_scheduling 0
		.amdhsa_exception_fp_ieee_invalid_op 0
		.amdhsa_exception_fp_denorm_src 0
		.amdhsa_exception_fp_ieee_div_zero 0
		.amdhsa_exception_fp_ieee_overflow 0
		.amdhsa_exception_fp_ieee_underflow 0
		.amdhsa_exception_fp_ieee_inexact 0
		.amdhsa_exception_int_div_zero 0
	.end_amdhsa_kernel
	.section	.text._ZL19rocblas_trsv_deviceILi64ELi16ELb0ELb1ELb0ELb0E19rocblas_complex_numIfEPKS1_PKS3_PKPS1_EviT7_lllT6_T8_lllPii,"axG",@progbits,_ZL19rocblas_trsv_deviceILi64ELi16ELb0ELb1ELb0ELb0E19rocblas_complex_numIfEPKS1_PKS3_PKPS1_EviT7_lllT6_T8_lllPii,comdat
.Lfunc_end149:
	.size	_ZL19rocblas_trsv_deviceILi64ELi16ELb0ELb1ELb0ELb0E19rocblas_complex_numIfEPKS1_PKS3_PKPS1_EviT7_lllT6_T8_lllPii, .Lfunc_end149-_ZL19rocblas_trsv_deviceILi64ELi16ELb0ELb1ELb0ELb0E19rocblas_complex_numIfEPKS1_PKS3_PKPS1_EviT7_lllT6_T8_lllPii
                                        ; -- End function
	.set _ZL19rocblas_trsv_deviceILi64ELi16ELb0ELb1ELb0ELb0E19rocblas_complex_numIfEPKS1_PKS3_PKPS1_EviT7_lllT6_T8_lllPii.num_vgpr, 109
	.set _ZL19rocblas_trsv_deviceILi64ELi16ELb0ELb1ELb0ELb0E19rocblas_complex_numIfEPKS1_PKS3_PKPS1_EviT7_lllT6_T8_lllPii.num_agpr, 0
	.set _ZL19rocblas_trsv_deviceILi64ELi16ELb0ELb1ELb0ELb0E19rocblas_complex_numIfEPKS1_PKS3_PKPS1_EviT7_lllT6_T8_lllPii.numbered_sgpr, 105
	.set _ZL19rocblas_trsv_deviceILi64ELi16ELb0ELb1ELb0ELb0E19rocblas_complex_numIfEPKS1_PKS3_PKPS1_EviT7_lllT6_T8_lllPii.num_named_barrier, 0
	.set _ZL19rocblas_trsv_deviceILi64ELi16ELb0ELb1ELb0ELb0E19rocblas_complex_numIfEPKS1_PKS3_PKPS1_EviT7_lllT6_T8_lllPii.private_seg_size, 48
	.set _ZL19rocblas_trsv_deviceILi64ELi16ELb0ELb1ELb0ELb0E19rocblas_complex_numIfEPKS1_PKS3_PKPS1_EviT7_lllT6_T8_lllPii.uses_vcc, 1
	.set _ZL19rocblas_trsv_deviceILi64ELi16ELb0ELb1ELb0ELb0E19rocblas_complex_numIfEPKS1_PKS3_PKPS1_EviT7_lllT6_T8_lllPii.uses_flat_scratch, 0
	.set _ZL19rocblas_trsv_deviceILi64ELi16ELb0ELb1ELb0ELb0E19rocblas_complex_numIfEPKS1_PKS3_PKPS1_EviT7_lllT6_T8_lllPii.has_dyn_sized_stack, 0
	.set _ZL19rocblas_trsv_deviceILi64ELi16ELb0ELb1ELb0ELb0E19rocblas_complex_numIfEPKS1_PKS3_PKPS1_EviT7_lllT6_T8_lllPii.has_recursion, 0
	.set _ZL19rocblas_trsv_deviceILi64ELi16ELb0ELb1ELb0ELb0E19rocblas_complex_numIfEPKS1_PKS3_PKPS1_EviT7_lllT6_T8_lllPii.has_indirect_call, 0
	.section	.AMDGPU.csdata,"",@progbits
; Kernel info:
; codeLenInByte = 54468
; TotalNumSgprs: 107
; NumVgprs: 109
; ScratchSize: 48
; MemoryBound: 0
; FloatMode: 240
; IeeeMode: 1
; LDSByteSize: 41480 bytes/workgroup (compile time only)
; SGPRBlocks: 0
; VGPRBlocks: 6
; NumSGPRsForWavesPerEU: 107
; NumVGPRsForWavesPerEU: 109
; NamedBarCnt: 0
; Occupancy: 9
; WaveLimiterHint : 1
; COMPUTE_PGM_RSRC2:SCRATCH_EN: 1
; COMPUTE_PGM_RSRC2:USER_SGPR: 2
; COMPUTE_PGM_RSRC2:TRAP_HANDLER: 0
; COMPUTE_PGM_RSRC2:TGID_X_EN: 1
; COMPUTE_PGM_RSRC2:TGID_Y_EN: 0
; COMPUTE_PGM_RSRC2:TGID_Z_EN: 1
; COMPUTE_PGM_RSRC2:TIDIG_COMP_CNT: 1
	.section	.text._ZL19rocblas_trsv_deviceILi64ELi16ELb0ELb1ELb1ELb0E19rocblas_complex_numIfEPKS1_PKS3_PKPS1_EviT7_lllT6_T8_lllPii,"axG",@progbits,_ZL19rocblas_trsv_deviceILi64ELi16ELb0ELb1ELb1ELb0E19rocblas_complex_numIfEPKS1_PKS3_PKPS1_EviT7_lllT6_T8_lllPii,comdat
	.globl	_ZL19rocblas_trsv_deviceILi64ELi16ELb0ELb1ELb1ELb0E19rocblas_complex_numIfEPKS1_PKS3_PKPS1_EviT7_lllT6_T8_lllPii ; -- Begin function _ZL19rocblas_trsv_deviceILi64ELi16ELb0ELb1ELb1ELb0E19rocblas_complex_numIfEPKS1_PKS3_PKPS1_EviT7_lllT6_T8_lllPii
	.p2align	8
	.type	_ZL19rocblas_trsv_deviceILi64ELi16ELb0ELb1ELb1ELb0E19rocblas_complex_numIfEPKS1_PKS3_PKPS1_EviT7_lllT6_T8_lllPii,@function
_ZL19rocblas_trsv_deviceILi64ELi16ELb0ELb1ELb1ELb0E19rocblas_complex_numIfEPKS1_PKS3_PKPS1_EviT7_lllT6_T8_lllPii: ; @_ZL19rocblas_trsv_deviceILi64ELi16ELb0ELb1ELb1ELb0E19rocblas_complex_numIfEPKS1_PKS3_PKPS1_EviT7_lllT6_T8_lllPii
; %bb.0:
	s_load_b32 s84, s[0:1], 0x58
	s_bfe_u32 s2, ttmp6, 0x40014
	s_lshr_b32 s3, ttmp7, 16
	s_add_co_i32 s2, s2, 1
	s_bfe_u32 s5, ttmp6, 0x40008
	s_mul_i32 s4, s3, s2
	s_getreg_b32 s2, hwreg(HW_REG_IB_STS2, 6, 4)
	s_add_co_i32 s5, s5, s4
	s_cmp_eq_u32 s2, 0
	s_mov_b32 s67, 0
	s_cselect_b32 s66, s3, s5
	s_wait_kmcnt 0x0
	s_cmp_ge_u32 s66, s84
	s_cbranch_scc1 .LBB150_1174
; %bb.1:
	s_clause 0x2
	s_load_b32 s3, s[0:1], 0x6c
	s_load_b32 s85, s[0:1], 0x0
	s_load_b64 s[12:13], s[0:1], 0x18
	s_bfe_u32 s5, ttmp6, 0x4000c
	s_and_b32 s4, ttmp6, 15
	s_add_co_i32 s5, s5, 1
	s_load_b256 s[68:75], s[0:1], 0x28
	s_mul_i32 s5, ttmp9, s5
	s_load_b64 s[80:81], s[0:1], 0x50
	s_add_co_i32 s4, s4, s5
	s_cmp_eq_u32 s2, 0
	s_load_b128 s[76:79], s[0:1], 0x8
	s_cselect_b32 s86, ttmp9, s4
	v_bfe_u32 v46, v0, 10, 10
	v_and_b32_e32 v2, 0x3ff, v0
	v_mov_b32_e32 v1, 0
	v_sub_co_u32 v47, s5, s86, 1
	s_delay_alu instid0(VALU_DEP_3)
	v_dual_lshlrev_b32 v12, 6, v2 :: v_dual_bitop2_b32 v67, 31, v0 bitop3:0x40
	s_wait_kmcnt 0x0
	s_and_b32 s0, s3, 0xffff
	s_add_co_i32 s1, s85, -1
	s_ashr_i32 s2, s85, 31
	s_ashr_i32 s3, s1, 31
	s_lshr_b32 s2, s2, 26
	s_lshr_b32 s3, s3, 26
	s_add_co_i32 s2, s85, s2
	s_add_co_i32 s1, s1, s3
	s_and_not1_b32 s2, s2, 63
	s_ashr_i32 s1, s1, 6
	s_sub_co_i32 s18, s85, s2
	s_cmp_eq_u32 s1, s86
	v_dual_mov_b32 v5, v1 :: v_dual_mov_b32 v3, v1
	s_cselect_b32 s1, -1, 0
	s_cmp_lg_u32 s18, 0
	s_add_nc_u64 s[2:3], s[12:13], 1
	s_cselect_b32 s4, -1, 0
	s_lshl_b32 s16, s86, 6
	s_delay_alu instid0(SALU_CYCLE_1)
	v_dual_add_nc_u32 v31, 16, v46 :: v_dual_add_nc_u32 v13, s16, v46
	v_add_nc_u32_e32 v10, s16, v2
	s_and_b32 s11, s4, s1
	v_mad_u32_u24 v4, v46, s0, v2
	s_xor_b32 s0, s5, -1
	v_subrev_nc_u32_e32 v6, 64, v13
	s_xor_b32 s88, s11, -1
	v_mad_nc_u64_u32 v[18:19], s2, s16, v[2:3]
	v_lshl_add_u32 v27, v46, 6, v2
	v_add_nc_u32_e32 v3, v46, v12
	s_cmp_lt_i32 s86, 5
	v_dual_ashrrev_i32 v11, 31, v10 :: v_dual_add_nc_u32 v14, v31, v12
	v_lshl_add_u32 v15, v31, 6, v2
	s_cselect_b32 vcc_lo, -1, 0
	v_dual_cndmask_b32 v22, v27, v3 :: v_dual_ashrrev_i32 v7, 31, v6
	s_or_b32 vcc_lo, vcc_lo, s11
	s_delay_alu instid0(VALU_DEP_2) | instid1(SALU_CYCLE_1)
	v_dual_lshrrev_b32 v3, 1, v27 :: v_dual_cndmask_b32 v23, v15, v14, vcc_lo
	v_dual_lshrrev_b32 v14, 10, v0 :: v_dual_bitop2_b32 v15, 1, v0 bitop3:0x40
	s_delay_alu instid0(VALU_DEP_2) | instskip(SKIP_1) | instid1(VALU_DEP_2)
	v_dual_lshlrev_b32 v50, 3, v2 :: v_dual_lshlrev_b32 v16, 9, v3
	s_ashr_i32 s17, s16, 31
	v_bitop3_b32 v29, v0, v14, 0x3ff bitop3:0xa8
	s_delay_alu instid0(VALU_DEP_3)
	v_lshlrev_b32_e32 v48, 3, v15
	s_mul_i32 s1, s2, s17
	s_mul_i32 s2, s3, s16
	v_sub_nc_u32_e32 v49, 0, v16
	v_add3_u32 v19, s1, s2, v19
	v_cmp_gt_u32_e64 s1, 4, v27
	v_cmp_eq_u32_e64 s3, 1, v15
	v_cmp_eq_u32_e64 s4, 0, v15
	v_dual_sub_nc_u32 v51, v48, v16 :: v_dual_lshrrev_b32 v14, 2, v27
	v_and_b32_e32 v16, 3, v0
	v_cmp_eq_u32_e64 s2, 0, v46
	v_cmp_gt_u32_e64 s5, 2, v2
	s_and_b32 s90, s3, s1
	s_and_b32 s91, s4, s1
	v_lshlrev_b32_e32 v17, 9, v14
	v_cmp_gt_u32_e64 s3, 16, v27
	v_cmp_eq_u32_e64 s4, 3, v16
	s_and_b32 s92, s2, s5
	v_dual_lshlrev_b32 v54, 3, v16 :: v_dual_sub_nc_u32 v55, 0, v17
	v_cmp_ne_u32_e64 s5, 3, v16
	s_and_b32 s93, s4, s3
	v_cmp_eq_u32_e64 s4, 2, v16
	v_cmp_gt_u32_e64 s6, 2, v16
	v_cmp_eq_u32_e64 s7, 0, v16
	s_and_b32 s94, s5, s3
	v_cmp_eq_u32_e64 s5, 1, v16
	s_and_b32 s95, s4, s3
	v_cmp_gt_u32_e64 s4, 4, v2
	v_dual_sub_nc_u32 v58, v54, v17 :: v_dual_lshlrev_b32 v16, 6, v27
	v_and_b32_e32 v17, 7, v0
	s_and_b32 s96, s6, s3
	s_and_b32 s97, s5, s3
	;; [unrolled: 1-line block ×3, first 2 shown]
	v_cmp_gt_u32_e64 s4, 64, v27
	v_cmp_eq_u32_e64 s5, 7, v17
	v_cmp_ne_u32_e64 s6, 7, v17
	v_lshl_add_u32 v53, v14, 3, 0x8000
	v_dual_add_nc_u32 v34, 48, v46 :: v_dual_bitop2_b32 v14, -8, v27 bitop3:0x40
	s_and_b32 s100, s5, s4
	v_cmp_gt_u32_e64 s5, 6, v17
	s_and_b32 s101, s6, s4
	v_cmp_eq_u32_e64 s6, 5, v17
	s_and_b32 s98, s7, s3
	v_cmp_eq_u32_e64 s7, 6, v17
	;; [unrolled: 2-line block ×4, first 2 shown]
	v_lshl_add_u32 v25, v34, 6, v2
	v_add_nc_u32_e32 v60, 0x8000, v14
	v_and_b32_e32 v14, 0xfffffe00, v16
	v_lshlrev_b32_e32 v61, 3, v17
	s_and_b32 s15, s5, s4
	v_cmp_gt_u32_e64 s5, 3, v17
	s_and_b32 s41, s6, s4
	v_cmp_gt_u32_e64 s6, 2, v17
	v_sub_nc_u32_e32 v62, 0, v14
	s_and_b32 s102, s7, s4
	v_cmp_gt_u32_e64 s7, 5, v17
	s_and_b32 s42, s5, s4
	v_cmp_eq_u32_e64 s5, 0, v17
	s_and_b32 s44, s6, s4
	v_cmp_gt_u32_e64 s6, 8, v2
	v_dual_lshrrev_b32 v16, 4, v27 :: v_dual_sub_nc_u32 v63, v61, v14
	v_dual_lshlrev_b32 v69, 3, v67 :: v_dual_bitop2_b32 v14, 15, v0 bitop3:0x40
	v_cmp_gt_u32_e64 s8, 4, v17
	s_and_b32 vcc_hi, s7, s4
	v_cmp_eq_u32_e64 s7, 2, v17
	s_and_b32 s46, s5, s4
	s_and_b32 s47, s2, s6
	v_cmp_gt_u32_e64 s5, 0x100, v27
	v_cmp_eq_u32_e64 s6, 15, v14
                                        ; implicit-def: $vgpr107 : SGPR spill to VGPR lane
	s_and_b32 s40, s8, s4
	v_writelane_b32 v107, s0, 0
	v_cmp_eq_u32_e64 s8, 1, v17
	s_and_b32 s43, s7, s4
	v_cmp_ne_u32_e64 s7, 15, v14
	s_and_b32 s6, s6, s5
	v_cmp_gt_u32_e64 s10, 14, v14
	v_writelane_b32 v107, s6, 1
	s_and_b32 s45, s8, s4
	v_cmp_eq_u32_e64 s8, 14, v14
	s_and_b32 s6, s7, s5
	v_cmp_le_i32_e64 s14, s18, v2
	v_writelane_b32 v107, s6, 2
	v_cmp_eq_u32_e64 s6, 13, v14
	s_and_b32 s7, s8, s5
	v_cmp_eq_u32_e64 s8, 12, v14
	s_and_b32 s50, s14, s11
	v_writelane_b32 v107, s7, 3
	s_and_b32 s7, s10, s5
	s_and_b32 s6, s6, s5
	v_cmp_eq_u32_e64 s10, 11, v14
	s_and_b32 s54, s8, s5
	v_writelane_b32 v107, s7, 4
	v_cmp_gt_u32_e64 s7, 13, v14
	v_cmp_gt_u32_e64 s8, 10, v14
	s_and_b32 s56, s10, s5
	v_cmp_gt_u32_e64 s10, 9, v14
	v_writelane_b32 v107, s6, 5
	v_cmp_gt_u32_e64 s6, 12, v14
	s_and_b32 s53, s7, s5
	v_cmp_gt_u32_e64 s7, 11, v14
	s_and_b32 s59, s8, s5
	s_and_b32 s61, s10, s5
	;; [unrolled: 1-line block ×3, first 2 shown]
	v_cmp_eq_u32_e64 s6, 10, v14
	s_and_b32 s57, s7, s5
	v_cmp_eq_u32_e64 s7, 9, v14
	v_cmp_eq_u32_e64 s8, 7, v14
	;; [unrolled: 1-line block ×3, first 2 shown]
	s_and_b32 s58, s6, s5
	v_cmp_eq_u32_e64 s6, 8, v14
	s_and_b32 s60, s7, s5
	v_cmp_gt_u32_e64 s7, 8, v14
	s_and_b32 s64, s8, s5
	s_and_b32 s27, s10, s5
	;; [unrolled: 1-line block ×3, first 2 shown]
	v_cmp_gt_u32_e64 s6, 7, v14
	s_and_b32 s63, s7, s5
	v_cmp_gt_u32_e64 s7, 6, v14
	v_cmp_gt_u32_e64 s8, 5, v14
	;; [unrolled: 1-line block ×3, first 2 shown]
	s_and_b32 s25, s6, s5
	v_cmp_eq_u32_e64 s6, 5, v14
	s_and_b32 s29, s7, s5
	v_cmp_eq_u32_e64 s7, 4, v14
	s_and_b32 s34, s8, s5
	s_and_b32 s26, s10, s5
	;; [unrolled: 1-line block ×3, first 2 shown]
	v_cmp_eq_u32_e64 s6, 3, v14
	s_and_b32 s36, s7, s5
	v_cmp_gt_u32_e64 s7, 3, v14
	v_cmp_eq_u32_e64 s8, 2, v14
	v_cmp_eq_u32_e64 s10, 1, v14
	s_and_b32 s28, s6, s5
	v_cmp_gt_u32_e64 s6, 2, v14
	s_and_b32 s30, s7, s5
	v_cmp_eq_u32_e64 s7, 0, v14
	v_cmp_gt_i32_e64 s9, s18, v2
	v_lshl_add_u32 v64, v16, 3, 0x8000
	s_and_b32 s35, s6, s5
	v_cmp_gt_u32_e64 s6, 16, v2
	v_dual_lshlrev_b32 v16, 9, v16 :: v_dual_lshlrev_b32 v65, 3, v14
	s_and_b32 s48, s7, s5
	s_xor_b32 s7, s50, -1
	s_and_b32 s49, s2, s6
	v_cmp_gt_u32_e64 s6, 32, v2
	s_xor_b32 s89, vcc_lo, -1
	s_and_b32 s33, s8, s5
	s_and_b32 s87, s10, s5
	;; [unrolled: 1-line block ×4, first 2 shown]
	s_cmp_gt_i32 s86, 0
	v_writelane_b32 v107, s6, 6
	v_dual_sub_nc_u32 v66, 0, v16 :: v_dual_lshrrev_b32 v14, 5, v27
	s_cselect_b32 s52, -1, 0
	s_and_b32 s9, s2, s9
	v_cmp_gt_i32_e64 s0, s85, v10
	v_dual_sub_nc_u32 v68, v65, v16 :: v_dual_add_nc_u32 v33, 32, v46
	v_writelane_b32 v107, s9, 7
	v_subrev_nc_u32_e32 v16, 48, v13
	v_cmp_gt_i32_e64 s9, s85, v6
	v_lshlrev_b32_e32 v0, 9, v14
	v_subrev_nc_u32_e32 v17, 32, v13
	v_add_nc_u32_e32 v13, -16, v13
	v_cmp_gt_i32_e64 s10, s85, v16
	s_and_b32 s9, s9, s0
	v_dual_sub_nc_u32 v71, 0, v0 :: v_dual_sub_nc_u32 v72, v69, v0
	v_writelane_b32 v107, s9, 8
	v_add_nc_u32_e32 v0, s16, v4
	v_add_nc_u32_e32 v16, v33, v12
	v_lshl_add_u32 v24, v33, 6, v2
	v_dual_add_nc_u32 v12, v34, v12 :: v_dual_lshlrev_b32 v78, 3, v22
	v_cmp_gt_i32_e64 s11, s85, v17
	s_and_b32 s9, s10, s0
	v_dual_cndmask_b32 v24, v24, v16, vcc_lo :: v_dual_bitop2_b32 v37, v31, v2 bitop3:0x54
	v_writelane_b32 v107, s9, 9
	v_cndmask_b32_e32 v25, v25, v12, vcc_lo
	v_cmp_gt_i32_e32 vcc_lo, s85, v13
	s_and_b32 s9, s11, s0
	v_cmp_ge_u32_e64 s6, v2, v46
	v_writelane_b32 v107, s9, 10
	v_cmp_ge_u32_e64 s7, v2, v31
	s_and_b32 s9, vcc_lo, s0
	v_cmp_le_i32_e32 vcc_lo, s18, v46
	v_cmp_ge_u32_e64 s8, v2, v33
	v_writelane_b32 v107, s9, 11
	v_cmp_le_i32_e64 s9, s18, v31
	v_mul_i32_i24_e32 v56, 0xfffffe08, v2
	s_or_b32 s10, vcc_lo, s14
	v_cmp_le_i32_e32 vcc_lo, s18, v33
	s_or_b32 s10, s10, s6
	v_lshl_add_u32 v70, v14, 3, 0x8000
	v_writelane_b32 v107, s10, 12
	s_or_b32 s10, s9, s14
	v_cmp_le_i32_e64 s9, s18, v34
	s_or_b32 s10, s10, s7
	v_mul_lo_u32 v14, v56, 6
	v_writelane_b32 v107, s10, 13
	s_or_b32 s10, vcc_lo, s14
	s_or_b32 s11, s9, s14
	s_or_b32 s9, s10, s8
	v_mul_u32_u24_e32 v15, 0x1f8, v2
	v_writelane_b32 v107, s9, 14
	v_cmp_ge_u32_e64 s9, v2, v34
	v_mad_nc_u64_u32 v[12:13], s12, v46, v[18:19]
	v_mad_nc_u64_u32 v[16:17], s12, v33, v[18:19]
	v_mul_u64_e32 v[8:9], s[12:13], v[10:11]
	v_mad_u32 v35, v15, 7, v14
	s_or_b32 s10, s11, s9
	v_cmp_ne_u32_e64 s11, v2, v31
	v_writelane_b32 v107, s10, 15
	v_cmp_ne_u32_e64 s10, v2, v46
	v_mad_nc_u64_u32 v[14:15], s12, v31, v[18:19]
	v_mad_nc_u64_u32 v[18:19], s12, v34, v[18:19]
	v_cmp_ne_u32_e64 s12, v2, v33
	v_mad_u32 v13, s13, v46, v13
	v_writelane_b32 v107, s10, 16
	s_or_b32 s10, s14, s10
	v_mad_u32 v17, s13, v33, v17
	v_mad_u32_u24 v52, 0x1f8, v2, v50
	v_add_nc_u64_e32 v[20:21], s[16:17], v[4:5]
	v_writelane_b32 v107, s10, 17
	s_or_b32 s10, s14, s11
	v_mad_u32 v15, s13, v31, v15
	v_mad_u32 v19, s13, v34, v19
	v_cmp_ne_u32_e64 s13, v2, v34
	v_writelane_b32 v107, s11, 18
	v_cmp_gt_u32_e64 s11, 64, v29
	v_mad_i32_i24 v57, 0xfffffe08, v2, v52
                                        ; implicit-def: $vgpr106 : SGPR spill to VGPR lane
	v_mul_u32_u24_e32 v36, 0x1f0, v2
	v_dual_lshlrev_b32 v84, 3, v25 :: v_dual_lshlrev_b32 v22, 3, v46
	v_writelane_b32 v107, s10, 19
	s_or_b32 s10, s14, s12
	v_mad_u32_u24 v59, 0x1f8, v2, v57
	v_dual_sub_nc_u32 v96, v35, v36 :: v_dual_bitop2_b32 v38, v33, v2 bitop3:0x54
	v_writelane_b32 v107, s12, 20
	v_lshlrev_b32_e32 v40, 9, v67
	s_delay_alu instid0(VALU_DEP_4)
	v_mad_i32_i24 v5, 0xfffffe08, v2, v59
	v_or_b32_e32 v39, v34, v2
	v_mul_u64_e32 v[10:11], s[74:75], v[10:11]
	v_writelane_b32 v107, s10, 21
	s_or_b32 s10, s14, s13
	v_mad_u32_u24 v73, 0x1f8, v2, v5
	v_add_nc_u32_e32 v95, v69, v40
	v_mul_u64_e32 v[20:21], s[74:75], v[20:21]
	v_writelane_b32 v107, s13, 22
	v_dual_lshlrev_b32 v81, 3, v23 :: v_dual_lshlrev_b32 v82, 3, v24
	v_mad_i32_i24 v74, 0xfffffe08, v2, v73
	v_or_b32_e32 v86, 0xa000, v22
	v_writelane_b32 v107, s10, 23
	v_mov_b64_e32 v[24:25], 0
	v_cmp_lt_u32_e32 vcc_lo, 0x3ff, v27
	v_mad_u32_u24 v75, 0x1f8, v2, v74
	v_lshl_add_u32 v3, v3, 3, 0x8000
	v_writelane_b32 v107, s11, 24
	v_cmp_gt_u32_e64 s11, 64, v37
	v_lshl_add_u32 v88, v4, 3, 0xa000
	v_mad_i32_i24 v76, 0xfffffe08, v2, v75
	v_lshl_add_u32 v89, v27, 3, 0x8000
	v_add_nc_u32_e32 v90, 0x8000, v50
	v_writelane_b32 v107, s11, 25
	v_cmp_gt_u32_e64 s11, 0xf0, v27
	v_mad_u32_u24 v77, 0x1f8, v2, v76
	v_add_nc_u32_e32 v92, v86, v50
	v_or_b32_e32 v93, 0x3c00, v69
	v_subrev_nc_u32_e32 v94, 31, v67
	v_writelane_b32 v107, s11, 26
	v_cmp_gt_u32_e64 s11, 0xe0, v27
	v_mad_i32_i24 v79, 0xfffffe08, v2, v77
	v_cmp_eq_u32_e64 s14, 0, v29
	v_cmp_gt_u32_e64 s17, 2, v27
	v_cmp_gt_u32_e64 s18, 12, v27
	v_writelane_b32 v107, s11, 27
	v_cmp_gt_u32_e64 s11, 0xd0, v27
	v_mad_u32_u24 v80, 0x1f8, v2, v79
	v_lshl_add_u32 v91, v46, 9, v79
	v_cmp_gt_u32_e64 s19, 8, v27
	v_cmp_gt_u32_e64 s20, 56, v27
	v_writelane_b32 v107, s11, 28
	v_cmp_gt_u32_e64 s11, 0xc0, v27
	v_mad_i32_i24 v83, 0xfffffe08, v2, v80
	v_cmp_gt_u32_e64 s21, 48, v27
	v_cmp_gt_u32_e64 s22, 40, v27
	;; [unrolled: 1-line block ×3, first 2 shown]
	v_writelane_b32 v107, s11, 29
	v_cmp_gt_u32_e64 s11, 0xb0, v27
	v_mad_u32_u24 v85, 0x1f8, v2, v83
	v_cmp_gt_u32_e64 s24, 24, v27
	v_cmp_gt_u32_e64 s37, 0x400, v27
	v_cmp_eq_u32_e64 s38, 0, v4
	v_writelane_b32 v107, s11, 30
	v_cmp_gt_u32_e64 s11, 0xa0, v27
	v_add_nc_u32_e32 v87, v85, v22
	v_mul_u64_e32 v[22:23], s[74:75], v[0:1]
	v_cmp_gt_u32_e64 s39, 64, v4
	s_xor_b32 s10, vcc_lo, -1
	v_writelane_b32 v107, s11, 31
	v_cmp_gt_u32_e64 s11, 0x90, v27
	s_lshl_b64 s[78:79], s[78:79], 3
	s_lshl_b64 s[72:73], s[72:73], 3
                                        ; implicit-def: $vgpr26
                                        ; implicit-def: $vgpr28
                                        ; implicit-def: $vgpr30
                                        ; implicit-def: $vgpr32
	v_writelane_b32 v106, s11, 0
	v_cmp_gt_u32_e64 s11, 0x80, v27
	s_delay_alu instid0(VALU_DEP_1) | instskip(SKIP_1) | instid1(VALU_DEP_1)
	v_writelane_b32 v106, s11, 1
	v_cmp_gt_u32_e64 s11, 0x70, v27
	v_writelane_b32 v106, s11, 2
	v_cmp_gt_u32_e64 s11, 0x60, v27
	s_delay_alu instid0(VALU_DEP_1) | instskip(SKIP_1) | instid1(VALU_DEP_1)
	v_writelane_b32 v106, s11, 3
	v_cmp_gt_u32_e64 s11, 0x50, v27
	v_writelane_b32 v106, s11, 4
	v_cmp_gt_u32_e64 s11, 64, v38
	s_delay_alu instid0(VALU_DEP_1) | instskip(SKIP_1) | instid1(VALU_DEP_1)
	v_writelane_b32 v106, s11, 5
	v_cmp_gt_u32_e64 s11, 64, v39
	v_writelane_b32 v106, s11, 6
	v_cmp_gt_u32_e64 s11, 0x3e0, v27
	s_delay_alu instid0(VALU_DEP_1) | instskip(SKIP_1) | instid1(VALU_DEP_1)
	v_writelane_b32 v106, s11, 7
	v_cmp_gt_u32_e64 s11, 0x3c0, v27
	v_writelane_b32 v106, s11, 8
	v_cmp_gt_u32_e64 s11, 0x3a0, v27
	s_delay_alu instid0(VALU_DEP_1) | instskip(SKIP_1) | instid1(VALU_DEP_1)
	v_writelane_b32 v106, s11, 9
	v_cmp_gt_u32_e64 s11, 0x380, v27
	v_writelane_b32 v106, s11, 10
	v_cmp_gt_u32_e64 s11, 0x360, v27
	s_delay_alu instid0(VALU_DEP_1) | instskip(SKIP_1) | instid1(VALU_DEP_1)
	v_writelane_b32 v106, s11, 11
	v_cmp_gt_u32_e64 s11, 0x340, v27
	v_writelane_b32 v106, s11, 12
	v_cmp_gt_u32_e64 s11, 0x320, v27
	s_delay_alu instid0(VALU_DEP_1) | instskip(SKIP_1) | instid1(VALU_DEP_1)
	v_writelane_b32 v106, s11, 13
	v_cmp_gt_u32_e64 s11, 0x300, v27
	v_writelane_b32 v106, s11, 14
	v_cmp_gt_u32_e64 s11, 0x2e0, v27
	s_delay_alu instid0(VALU_DEP_1) | instskip(SKIP_1) | instid1(VALU_DEP_1)
	v_writelane_b32 v106, s11, 15
	v_cmp_gt_u32_e64 s11, 0x2c0, v27
	v_writelane_b32 v106, s11, 16
	v_cmp_gt_u32_e64 s11, 0x2a0, v27
	s_delay_alu instid0(VALU_DEP_1) | instskip(SKIP_1) | instid1(VALU_DEP_1)
	v_writelane_b32 v106, s11, 17
	v_cmp_gt_u32_e64 s11, 0x280, v27
	v_writelane_b32 v106, s11, 18
	v_cmp_gt_u32_e64 s11, 0x260, v27
	s_delay_alu instid0(VALU_DEP_1) | instskip(SKIP_1) | instid1(VALU_DEP_1)
	v_writelane_b32 v106, s11, 19
	v_cmp_gt_u32_e64 s11, 0x240, v27
	v_writelane_b32 v106, s11, 20
	v_cmp_gt_u32_e64 s11, 0x220, v27
	s_delay_alu instid0(VALU_DEP_1) | instskip(SKIP_1) | instid1(VALU_DEP_1)
	v_writelane_b32 v106, s11, 21
	v_cmp_gt_u32_e64 s11, 0x200, v27
	v_writelane_b32 v106, s11, 22
	v_cmp_gt_u32_e64 s11, 0x1e0, v27
	s_delay_alu instid0(VALU_DEP_1) | instskip(SKIP_1) | instid1(VALU_DEP_1)
	v_writelane_b32 v106, s11, 23
	v_cmp_gt_u32_e64 s11, 0x1c0, v27
	v_writelane_b32 v106, s11, 24
	v_cmp_gt_u32_e64 s11, 0x1a0, v27
	s_delay_alu instid0(VALU_DEP_1) | instskip(SKIP_1) | instid1(VALU_DEP_1)
	v_writelane_b32 v106, s11, 25
	v_cmp_gt_u32_e64 s11, 0x180, v27
	v_writelane_b32 v106, s11, 26
	v_cmp_gt_u32_e64 s11, 0x160, v27
	s_delay_alu instid0(VALU_DEP_1) | instskip(SKIP_1) | instid1(VALU_DEP_1)
	v_writelane_b32 v106, s11, 27
	v_cmp_gt_u32_e64 s11, 0x140, v27
	v_writelane_b32 v106, s11, 28
	v_cmp_gt_u32_e64 s11, 0x120, v27
	s_delay_alu instid0(VALU_DEP_1)
	v_writelane_b32 v106, s11, 29
	s_branch .LBB150_3
.LBB150_2:                              ;   in Loop: Header=BB150_3 Depth=1
	s_wait_xcnt 0x0
	s_or_b32 exec_lo, exec_lo, s11
	s_add_co_i32 s66, s66, 0x10000
	global_wb scope:SCOPE_DEV
	s_wait_storecnt 0x0
	global_inv scope:SCOPE_DEV
	s_cmp_lt_u32 s66, s84
	s_cbranch_scc0 .LBB150_1174
.LBB150_3:                              ; =>This Loop Header: Depth=1
                                        ;     Child Loop BB150_569 Depth 2
                                        ;     Child Loop BB150_1010 Depth 2
                                        ;       Child Loop BB150_1012 Depth 3
                                        ;     Child Loop BB150_1056 Depth 2
	v_mov_b32_e32 v0, s66
	v_readlane_b32 s11, v107, 0
	s_clause 0x1
	global_load_b64 v[34:35], v0, s[76:77] scale_offset
	global_load_b64 v[38:39], v0, s[70:71] scale_offset
	global_load_b64 v[36:37], v1, s[68:69]
	s_and_not1_b32 vcc_lo, exec_lo, s11
	s_wait_loadcnt 0x2
	v_add_nc_u64_e32 v[40:41], s[78:79], v[34:35]
	s_delay_alu instid0(VALU_DEP_1)
	v_lshl_add_u64 v[34:35], v[8:9], 3, v[40:41]
	s_cbranch_vccz .LBB150_6
; %bb.4:                                ;   in Loop: Header=BB150_3 Depth=1
	s_and_not1_b32 vcc_lo, exec_lo, s88
	s_mov_b32 s11, -1
	s_cbranch_vccz .LBB150_15
.LBB150_5:                              ;   in Loop: Header=BB150_3 Depth=1
	s_and_b32 vcc_lo, exec_lo, s11
	s_cbranch_vccnz .LBB150_25
	s_branch .LBB150_82
.LBB150_6:                              ;   in Loop: Header=BB150_3 Depth=1
	s_delay_alu instid0(VALU_DEP_1)
	v_lshl_add_u64 v[42:43], v[6:7], 3, v[34:35]
	v_dual_mov_b32 v28, 0 :: v_dual_mov_b32 v26, 0
	v_mov_b32_e32 v27, 0
	s_wait_loadcnt 0x0
	s_barrier_signal -1
	s_barrier_wait -1
	s_wait_xcnt 0x0
	s_mov_b32 s11, exec_lo
	v_readlane_b32 s12, v107, 8
	s_and_b32 s12, s11, s12
	s_delay_alu instid0(SALU_CYCLE_1)
	s_mov_b32 exec_lo, s12
	s_cbranch_execz .LBB150_8
; %bb.7:                                ;   in Loop: Header=BB150_3 Depth=1
	flat_load_b64 v[26:27], v[42:43]
.LBB150_8:                              ;   in Loop: Header=BB150_3 Depth=1
	s_wait_xcnt 0x0
	s_or_b32 exec_lo, exec_lo, s11
	v_mov_b32_e32 v29, 0
	s_wait_loadcnt_dscnt 0x0
	s_barrier_signal -1
	s_barrier_wait -1
	s_mov_b32 s11, exec_lo
	v_readlane_b32 s12, v107, 9
	s_and_b32 s12, s11, s12
	s_delay_alu instid0(SALU_CYCLE_1)
	s_mov_b32 exec_lo, s12
	s_cbranch_execz .LBB150_10
; %bb.9:                                ;   in Loop: Header=BB150_3 Depth=1
	flat_load_b64 v[28:29], v[42:43] offset:128
.LBB150_10:                             ;   in Loop: Header=BB150_3 Depth=1
	s_wait_xcnt 0x0
	s_or_b32 exec_lo, exec_lo, s11
	v_dual_mov_b32 v33, 0 :: v_dual_mov_b32 v30, 0
	v_mov_b32_e32 v31, 0
	s_wait_loadcnt_dscnt 0x0
	s_barrier_signal -1
	s_barrier_wait -1
	s_mov_b32 s11, exec_lo
	v_readlane_b32 s12, v107, 10
	s_and_b32 s12, s11, s12
	s_delay_alu instid0(SALU_CYCLE_1)
	s_mov_b32 exec_lo, s12
	s_cbranch_execz .LBB150_12
; %bb.11:                               ;   in Loop: Header=BB150_3 Depth=1
	flat_load_b64 v[30:31], v[42:43] offset:256
.LBB150_12:                             ;   in Loop: Header=BB150_3 Depth=1
	s_wait_xcnt 0x0
	s_or_b32 exec_lo, exec_lo, s11
	v_mov_b32_e32 v32, 0
	s_wait_loadcnt_dscnt 0x0
	s_barrier_signal -1
	s_barrier_wait -1
	s_mov_b32 s11, exec_lo
	v_readlane_b32 s12, v107, 11
	s_and_b32 s12, s11, s12
	s_delay_alu instid0(SALU_CYCLE_1)
	s_mov_b32 exec_lo, s12
	s_cbranch_execz .LBB150_14
; %bb.13:                               ;   in Loop: Header=BB150_3 Depth=1
	flat_load_b64 v[32:33], v[42:43] offset:384
.LBB150_14:                             ;   in Loop: Header=BB150_3 Depth=1
	s_wait_xcnt 0x0
	s_or_b32 exec_lo, exec_lo, s11
	s_delay_alu instid0(SALU_CYCLE_1)
	s_and_not1_b32 vcc_lo, exec_lo, s88
	s_mov_b32 s11, -1
	s_cbranch_vccnz .LBB150_5
.LBB150_15:                             ;   in Loop: Header=BB150_3 Depth=1
	s_wait_xcnt 0x0
	s_and_saveexec_b32 s11, s6
	s_delay_alu instid0(SALU_CYCLE_1)
	s_xor_b32 s11, exec_lo, s11
	s_cbranch_execnz .LBB150_1069
; %bb.16:                               ;   in Loop: Header=BB150_3 Depth=1
	s_and_not1_saveexec_b32 s11, s11
	s_cbranch_execnz .LBB150_1080
.LBB150_17:                             ;   in Loop: Header=BB150_3 Depth=1
	s_or_b32 exec_lo, exec_lo, s11
	s_and_saveexec_b32 s11, s7
	s_delay_alu instid0(SALU_CYCLE_1)
	s_xor_b32 s11, exec_lo, s11
	s_cbranch_execnz .LBB150_1081
.LBB150_18:                             ;   in Loop: Header=BB150_3 Depth=1
	s_and_not1_saveexec_b32 s11, s11
	s_cbranch_execnz .LBB150_1092
.LBB150_19:                             ;   in Loop: Header=BB150_3 Depth=1
	s_or_b32 exec_lo, exec_lo, s11
	s_and_saveexec_b32 s11, s8
	s_delay_alu instid0(SALU_CYCLE_1)
	s_xor_b32 s11, exec_lo, s11
	s_cbranch_execnz .LBB150_1093
.LBB150_20:                             ;   in Loop: Header=BB150_3 Depth=1
	s_and_not1_saveexec_b32 s11, s11
	s_cbranch_execnz .LBB150_1104
.LBB150_21:                             ;   in Loop: Header=BB150_3 Depth=1
	s_or_b32 exec_lo, exec_lo, s11
	s_and_saveexec_b32 s11, s9
	s_delay_alu instid0(SALU_CYCLE_1)
	s_xor_b32 s11, exec_lo, s11
	s_cbranch_execnz .LBB150_1105
.LBB150_22:                             ;   in Loop: Header=BB150_3 Depth=1
	s_and_not1_saveexec_b32 s11, s11
	s_cbranch_execz .LBB150_24
.LBB150_23:                             ;   in Loop: Header=BB150_3 Depth=1
	v_lshl_add_u64 v[42:43], v[18:19], 3, v[40:41]
	flat_load_b64 v[42:43], v[42:43]
	s_wait_loadcnt_dscnt 0x0
	v_xor_b32_e32 v42, 0x80000000, v42
	ds_store_b64 v84, v[42:43]
.LBB150_24:                             ;   in Loop: Header=BB150_3 Depth=1
	s_or_b32 exec_lo, exec_lo, s11
	s_branch .LBB150_82
.LBB150_25:                             ;   in Loop: Header=BB150_3 Depth=1
	s_wait_xcnt 0x0
	s_mov_b32 s11, exec_lo
	v_readlane_b32 s12, v107, 12
	s_and_b32 s12, s11, s12
	s_delay_alu instid0(SALU_CYCLE_1)
	s_xor_b32 s11, s12, s11
	s_mov_b32 exec_lo, s12
	s_cbranch_execz .LBB150_37
; %bb.26:                               ;   in Loop: Header=BB150_3 Depth=1
	v_readlane_b32 s13, v107, 17
	s_and_saveexec_b32 s12, s13
	s_delay_alu instid0(SALU_CYCLE_1)
	s_xor_b32 s12, exec_lo, s12
	s_cbranch_execz .LBB150_30
; %bb.27:                               ;   in Loop: Header=BB150_3 Depth=1
	v_readlane_b32 s13, v107, 24
	s_and_saveexec_b32 s65, s13
; %bb.28:                               ;   in Loop: Header=BB150_3 Depth=1
	ds_store_b64 v87, v[24:25]
; %bb.29:                               ;   in Loop: Header=BB150_3 Depth=1
	s_or_b32 exec_lo, exec_lo, s65
.LBB150_30:                             ;   in Loop: Header=BB150_3 Depth=1
	s_and_not1_saveexec_b32 s65, s12
	s_cbranch_execz .LBB150_36
; %bb.31:                               ;   in Loop: Header=BB150_3 Depth=1
	v_lshl_add_u64 v[42:43], v[12:13], 3, v[40:41]
	s_mov_b32 s82, exec_lo
                                        ; implicit-def: $vgpr44_vgpr45
	flat_load_b64 v[42:43], v[42:43]
	s_wait_loadcnt_dscnt 0x0
	v_cmpx_ngt_f32_e64 |v42|, |v43|
	s_xor_b32 s82, exec_lo, s82
	s_cbranch_execz .LBB150_33
; %bb.32:                               ;   in Loop: Header=BB150_3 Depth=1
	v_div_scale_f32 v0, null, -v43, -v43, v42
	v_div_scale_f32 v97, vcc_lo, v42, -v43, v42
	s_delay_alu instid0(VALU_DEP_2) | instskip(SKIP_1) | instid1(TRANS32_DEP_1)
	v_rcp_f32_e32 v44, v0
	v_nop
	v_fma_f32 v45, -v0, v44, 1.0
	s_delay_alu instid0(VALU_DEP_1) | instskip(NEXT) | instid1(VALU_DEP_1)
	v_fmac_f32_e32 v44, v45, v44
	v_mul_f32_e32 v45, v97, v44
	s_delay_alu instid0(VALU_DEP_1) | instskip(NEXT) | instid1(VALU_DEP_1)
	v_fma_f32 v98, -v0, v45, v97
	v_fmac_f32_e32 v45, v98, v44
	s_delay_alu instid0(VALU_DEP_1) | instskip(NEXT) | instid1(VALU_DEP_1)
	v_fma_f32 v0, -v0, v45, v97
	v_div_fmas_f32 v0, v0, v44, v45
	s_delay_alu instid0(VALU_DEP_1) | instskip(NEXT) | instid1(VALU_DEP_1)
	v_div_fixup_f32 v0, v0, -v43, v42
	v_fma_f32 v42, v42, v0, -v43
	s_delay_alu instid0(VALU_DEP_1) | instskip(SKIP_1) | instid1(VALU_DEP_2)
	v_div_scale_f32 v43, null, v42, v42, 1.0
	v_div_scale_f32 v97, vcc_lo, 1.0, v42, 1.0
	v_rcp_f32_e32 v44, v43
	v_nop
	s_delay_alu instid0(TRANS32_DEP_1) | instskip(NEXT) | instid1(VALU_DEP_1)
	v_fma_f32 v45, -v43, v44, 1.0
	v_fmac_f32_e32 v44, v45, v44
	s_delay_alu instid0(VALU_DEP_1) | instskip(NEXT) | instid1(VALU_DEP_1)
	v_mul_f32_e32 v45, v97, v44
	v_fma_f32 v98, -v43, v45, v97
	s_delay_alu instid0(VALU_DEP_1) | instskip(NEXT) | instid1(VALU_DEP_1)
	v_fmac_f32_e32 v45, v98, v44
	v_fma_f32 v43, -v43, v45, v97
	s_delay_alu instid0(VALU_DEP_1) | instskip(NEXT) | instid1(VALU_DEP_1)
	v_div_fmas_f32 v43, v43, v44, v45
	v_div_fixup_f32 v42, v43, v42, 1.0
	s_delay_alu instid0(VALU_DEP_1)
	v_mul_f32_e32 v44, v0, v42
	v_xor_b32_e32 v45, 0x80000000, v42
                                        ; implicit-def: $vgpr42_vgpr43
.LBB150_33:                             ;   in Loop: Header=BB150_3 Depth=1
	s_and_not1_saveexec_b32 s82, s82
	s_cbranch_execz .LBB150_35
; %bb.34:                               ;   in Loop: Header=BB150_3 Depth=1
	v_div_scale_f32 v0, null, v42, v42, -v43
	v_div_scale_f32 v97, vcc_lo, -v43, v42, -v43
	s_delay_alu instid0(VALU_DEP_2) | instskip(SKIP_1) | instid1(TRANS32_DEP_1)
	v_rcp_f32_e32 v44, v0
	v_nop
	v_fma_f32 v45, -v0, v44, 1.0
	s_delay_alu instid0(VALU_DEP_1) | instskip(NEXT) | instid1(VALU_DEP_1)
	v_fmac_f32_e32 v44, v45, v44
	v_mul_f32_e32 v45, v97, v44
	s_delay_alu instid0(VALU_DEP_1) | instskip(NEXT) | instid1(VALU_DEP_1)
	v_fma_f32 v98, -v0, v45, v97
	v_fmac_f32_e32 v45, v98, v44
	s_delay_alu instid0(VALU_DEP_1) | instskip(NEXT) | instid1(VALU_DEP_1)
	v_fma_f32 v0, -v0, v45, v97
	v_div_fmas_f32 v0, v0, v44, v45
	s_delay_alu instid0(VALU_DEP_1) | instskip(NEXT) | instid1(VALU_DEP_1)
	v_div_fixup_f32 v0, v0, v42, -v43
	v_fma_f32 v42, -v43, v0, v42
	s_delay_alu instid0(VALU_DEP_1) | instskip(NEXT) | instid1(VALU_DEP_1)
	v_div_scale_f32 v43, null, v42, v42, 1.0
	v_rcp_f32_e32 v44, v43
	v_nop
	s_delay_alu instid0(TRANS32_DEP_1) | instskip(NEXT) | instid1(VALU_DEP_1)
	v_fma_f32 v45, -v43, v44, 1.0
	v_fmac_f32_e32 v44, v45, v44
	v_div_scale_f32 v45, vcc_lo, 1.0, v42, 1.0
	s_delay_alu instid0(VALU_DEP_1) | instskip(NEXT) | instid1(VALU_DEP_1)
	v_mul_f32_e32 v97, v45, v44
	v_fma_f32 v98, -v43, v97, v45
	s_delay_alu instid0(VALU_DEP_1) | instskip(NEXT) | instid1(VALU_DEP_1)
	v_fmac_f32_e32 v97, v98, v44
	v_fma_f32 v43, -v43, v97, v45
	s_delay_alu instid0(VALU_DEP_1) | instskip(NEXT) | instid1(VALU_DEP_1)
	v_div_fmas_f32 v43, v43, v44, v97
	v_div_fixup_f32 v44, v43, v42, 1.0
	s_delay_alu instid0(VALU_DEP_1)
	v_mul_f32_e64 v45, v0, -v44
.LBB150_35:                             ;   in Loop: Header=BB150_3 Depth=1
	s_or_b32 exec_lo, exec_lo, s82
	ds_store_b64 v87, v[44:45]
.LBB150_36:                             ;   in Loop: Header=BB150_3 Depth=1
	s_or_b32 exec_lo, exec_lo, s65
.LBB150_37:                             ;   in Loop: Header=BB150_3 Depth=1
	s_and_not1_saveexec_b32 s11, s11
	s_cbranch_execz .LBB150_39
; %bb.38:                               ;   in Loop: Header=BB150_3 Depth=1
	v_lshl_add_u64 v[42:43], v[12:13], 3, v[40:41]
	flat_load_b64 v[42:43], v[42:43]
	s_wait_loadcnt_dscnt 0x0
	v_xor_b32_e32 v42, 0x80000000, v42
	ds_store_b64 v87, v[42:43]
.LBB150_39:                             ;   in Loop: Header=BB150_3 Depth=1
	s_or_b32 exec_lo, exec_lo, s11
	s_delay_alu instid0(SALU_CYCLE_1) | instskip(SKIP_2) | instid1(SALU_CYCLE_1)
	s_mov_b32 s11, exec_lo
	v_readlane_b32 s12, v107, 13
	s_and_b32 s12, s11, s12
	s_xor_b32 s11, s12, s11
	s_mov_b32 exec_lo, s12
	s_cbranch_execz .LBB150_51
; %bb.40:                               ;   in Loop: Header=BB150_3 Depth=1
	v_readlane_b32 s13, v107, 19
	s_and_saveexec_b32 s12, s13
	s_delay_alu instid0(SALU_CYCLE_1)
	s_xor_b32 s12, exec_lo, s12
	s_cbranch_execz .LBB150_44
; %bb.41:                               ;   in Loop: Header=BB150_3 Depth=1
	v_readlane_b32 s13, v107, 25
	s_and_saveexec_b32 s65, s13
; %bb.42:                               ;   in Loop: Header=BB150_3 Depth=1
	ds_store_b64 v81, v[24:25]
; %bb.43:                               ;   in Loop: Header=BB150_3 Depth=1
	s_or_b32 exec_lo, exec_lo, s65
.LBB150_44:                             ;   in Loop: Header=BB150_3 Depth=1
	s_and_not1_saveexec_b32 s65, s12
	s_cbranch_execz .LBB150_50
; %bb.45:                               ;   in Loop: Header=BB150_3 Depth=1
	v_lshl_add_u64 v[42:43], v[14:15], 3, v[40:41]
	s_mov_b32 s82, exec_lo
                                        ; implicit-def: $vgpr44_vgpr45
	flat_load_b64 v[42:43], v[42:43]
	s_wait_loadcnt_dscnt 0x0
	v_cmpx_ngt_f32_e64 |v42|, |v43|
	s_xor_b32 s82, exec_lo, s82
	s_cbranch_execz .LBB150_47
; %bb.46:                               ;   in Loop: Header=BB150_3 Depth=1
	v_div_scale_f32 v0, null, -v43, -v43, v42
	v_div_scale_f32 v97, vcc_lo, v42, -v43, v42
	s_delay_alu instid0(VALU_DEP_2) | instskip(SKIP_1) | instid1(TRANS32_DEP_1)
	v_rcp_f32_e32 v44, v0
	v_nop
	v_fma_f32 v45, -v0, v44, 1.0
	s_delay_alu instid0(VALU_DEP_1) | instskip(NEXT) | instid1(VALU_DEP_1)
	v_fmac_f32_e32 v44, v45, v44
	v_mul_f32_e32 v45, v97, v44
	s_delay_alu instid0(VALU_DEP_1) | instskip(NEXT) | instid1(VALU_DEP_1)
	v_fma_f32 v98, -v0, v45, v97
	v_fmac_f32_e32 v45, v98, v44
	s_delay_alu instid0(VALU_DEP_1) | instskip(NEXT) | instid1(VALU_DEP_1)
	v_fma_f32 v0, -v0, v45, v97
	v_div_fmas_f32 v0, v0, v44, v45
	s_delay_alu instid0(VALU_DEP_1) | instskip(NEXT) | instid1(VALU_DEP_1)
	v_div_fixup_f32 v0, v0, -v43, v42
	v_fma_f32 v42, v42, v0, -v43
	s_delay_alu instid0(VALU_DEP_1) | instskip(SKIP_1) | instid1(VALU_DEP_2)
	v_div_scale_f32 v43, null, v42, v42, 1.0
	v_div_scale_f32 v97, vcc_lo, 1.0, v42, 1.0
	v_rcp_f32_e32 v44, v43
	v_nop
	s_delay_alu instid0(TRANS32_DEP_1) | instskip(NEXT) | instid1(VALU_DEP_1)
	v_fma_f32 v45, -v43, v44, 1.0
	v_fmac_f32_e32 v44, v45, v44
	s_delay_alu instid0(VALU_DEP_1) | instskip(NEXT) | instid1(VALU_DEP_1)
	v_mul_f32_e32 v45, v97, v44
	v_fma_f32 v98, -v43, v45, v97
	s_delay_alu instid0(VALU_DEP_1) | instskip(NEXT) | instid1(VALU_DEP_1)
	v_fmac_f32_e32 v45, v98, v44
	v_fma_f32 v43, -v43, v45, v97
	s_delay_alu instid0(VALU_DEP_1) | instskip(NEXT) | instid1(VALU_DEP_1)
	v_div_fmas_f32 v43, v43, v44, v45
	v_div_fixup_f32 v42, v43, v42, 1.0
	s_delay_alu instid0(VALU_DEP_1)
	v_mul_f32_e32 v44, v0, v42
	v_xor_b32_e32 v45, 0x80000000, v42
                                        ; implicit-def: $vgpr42_vgpr43
.LBB150_47:                             ;   in Loop: Header=BB150_3 Depth=1
	s_and_not1_saveexec_b32 s82, s82
	s_cbranch_execz .LBB150_49
; %bb.48:                               ;   in Loop: Header=BB150_3 Depth=1
	v_div_scale_f32 v0, null, v42, v42, -v43
	v_div_scale_f32 v97, vcc_lo, -v43, v42, -v43
	s_delay_alu instid0(VALU_DEP_2) | instskip(SKIP_1) | instid1(TRANS32_DEP_1)
	v_rcp_f32_e32 v44, v0
	v_nop
	v_fma_f32 v45, -v0, v44, 1.0
	s_delay_alu instid0(VALU_DEP_1) | instskip(NEXT) | instid1(VALU_DEP_1)
	v_fmac_f32_e32 v44, v45, v44
	v_mul_f32_e32 v45, v97, v44
	s_delay_alu instid0(VALU_DEP_1) | instskip(NEXT) | instid1(VALU_DEP_1)
	v_fma_f32 v98, -v0, v45, v97
	v_fmac_f32_e32 v45, v98, v44
	s_delay_alu instid0(VALU_DEP_1) | instskip(NEXT) | instid1(VALU_DEP_1)
	v_fma_f32 v0, -v0, v45, v97
	v_div_fmas_f32 v0, v0, v44, v45
	s_delay_alu instid0(VALU_DEP_1) | instskip(NEXT) | instid1(VALU_DEP_1)
	v_div_fixup_f32 v0, v0, v42, -v43
	v_fma_f32 v42, -v43, v0, v42
	s_delay_alu instid0(VALU_DEP_1) | instskip(NEXT) | instid1(VALU_DEP_1)
	v_div_scale_f32 v43, null, v42, v42, 1.0
	v_rcp_f32_e32 v44, v43
	v_nop
	s_delay_alu instid0(TRANS32_DEP_1) | instskip(NEXT) | instid1(VALU_DEP_1)
	v_fma_f32 v45, -v43, v44, 1.0
	v_fmac_f32_e32 v44, v45, v44
	v_div_scale_f32 v45, vcc_lo, 1.0, v42, 1.0
	s_delay_alu instid0(VALU_DEP_1) | instskip(NEXT) | instid1(VALU_DEP_1)
	v_mul_f32_e32 v97, v45, v44
	v_fma_f32 v98, -v43, v97, v45
	s_delay_alu instid0(VALU_DEP_1) | instskip(NEXT) | instid1(VALU_DEP_1)
	v_fmac_f32_e32 v97, v98, v44
	v_fma_f32 v43, -v43, v97, v45
	s_delay_alu instid0(VALU_DEP_1) | instskip(NEXT) | instid1(VALU_DEP_1)
	v_div_fmas_f32 v43, v43, v44, v97
	v_div_fixup_f32 v44, v43, v42, 1.0
	s_delay_alu instid0(VALU_DEP_1)
	v_mul_f32_e64 v45, v0, -v44
.LBB150_49:                             ;   in Loop: Header=BB150_3 Depth=1
	s_or_b32 exec_lo, exec_lo, s82
	ds_store_b64 v81, v[44:45]
.LBB150_50:                             ;   in Loop: Header=BB150_3 Depth=1
	s_or_b32 exec_lo, exec_lo, s65
.LBB150_51:                             ;   in Loop: Header=BB150_3 Depth=1
	s_and_not1_saveexec_b32 s11, s11
	s_cbranch_execz .LBB150_53
; %bb.52:                               ;   in Loop: Header=BB150_3 Depth=1
	v_lshl_add_u64 v[42:43], v[14:15], 3, v[40:41]
	flat_load_b64 v[42:43], v[42:43]
	s_wait_loadcnt_dscnt 0x0
	v_xor_b32_e32 v42, 0x80000000, v42
	ds_store_b64 v81, v[42:43]
.LBB150_53:                             ;   in Loop: Header=BB150_3 Depth=1
	s_or_b32 exec_lo, exec_lo, s11
	s_delay_alu instid0(SALU_CYCLE_1) | instskip(SKIP_2) | instid1(SALU_CYCLE_1)
	s_mov_b32 s11, exec_lo
	v_readlane_b32 s12, v107, 14
	s_and_b32 s12, s11, s12
	s_xor_b32 s11, s12, s11
	s_mov_b32 exec_lo, s12
	s_cbranch_execz .LBB150_65
; %bb.54:                               ;   in Loop: Header=BB150_3 Depth=1
	v_readlane_b32 s13, v107, 21
	s_and_saveexec_b32 s12, s13
	s_delay_alu instid0(SALU_CYCLE_1)
	s_xor_b32 s12, exec_lo, s12
	s_cbranch_execz .LBB150_58
; %bb.55:                               ;   in Loop: Header=BB150_3 Depth=1
	v_readlane_b32 s13, v106, 5
	s_and_saveexec_b32 s65, s13
; %bb.56:                               ;   in Loop: Header=BB150_3 Depth=1
	ds_store_b64 v82, v[24:25]
; %bb.57:                               ;   in Loop: Header=BB150_3 Depth=1
	s_or_b32 exec_lo, exec_lo, s65
.LBB150_58:                             ;   in Loop: Header=BB150_3 Depth=1
	s_and_not1_saveexec_b32 s65, s12
	s_cbranch_execz .LBB150_64
; %bb.59:                               ;   in Loop: Header=BB150_3 Depth=1
	v_lshl_add_u64 v[42:43], v[16:17], 3, v[40:41]
	s_mov_b32 s82, exec_lo
                                        ; implicit-def: $vgpr44_vgpr45
	flat_load_b64 v[42:43], v[42:43]
	s_wait_loadcnt_dscnt 0x0
	v_cmpx_ngt_f32_e64 |v42|, |v43|
	s_xor_b32 s82, exec_lo, s82
	s_cbranch_execz .LBB150_61
; %bb.60:                               ;   in Loop: Header=BB150_3 Depth=1
	v_div_scale_f32 v0, null, -v43, -v43, v42
	v_div_scale_f32 v97, vcc_lo, v42, -v43, v42
	s_delay_alu instid0(VALU_DEP_2) | instskip(SKIP_1) | instid1(TRANS32_DEP_1)
	v_rcp_f32_e32 v44, v0
	v_nop
	v_fma_f32 v45, -v0, v44, 1.0
	s_delay_alu instid0(VALU_DEP_1) | instskip(NEXT) | instid1(VALU_DEP_1)
	v_fmac_f32_e32 v44, v45, v44
	v_mul_f32_e32 v45, v97, v44
	s_delay_alu instid0(VALU_DEP_1) | instskip(NEXT) | instid1(VALU_DEP_1)
	v_fma_f32 v98, -v0, v45, v97
	v_fmac_f32_e32 v45, v98, v44
	s_delay_alu instid0(VALU_DEP_1) | instskip(NEXT) | instid1(VALU_DEP_1)
	v_fma_f32 v0, -v0, v45, v97
	v_div_fmas_f32 v0, v0, v44, v45
	s_delay_alu instid0(VALU_DEP_1) | instskip(NEXT) | instid1(VALU_DEP_1)
	v_div_fixup_f32 v0, v0, -v43, v42
	v_fma_f32 v42, v42, v0, -v43
	s_delay_alu instid0(VALU_DEP_1) | instskip(SKIP_1) | instid1(VALU_DEP_2)
	v_div_scale_f32 v43, null, v42, v42, 1.0
	v_div_scale_f32 v97, vcc_lo, 1.0, v42, 1.0
	v_rcp_f32_e32 v44, v43
	v_nop
	s_delay_alu instid0(TRANS32_DEP_1) | instskip(NEXT) | instid1(VALU_DEP_1)
	v_fma_f32 v45, -v43, v44, 1.0
	v_fmac_f32_e32 v44, v45, v44
	s_delay_alu instid0(VALU_DEP_1) | instskip(NEXT) | instid1(VALU_DEP_1)
	v_mul_f32_e32 v45, v97, v44
	v_fma_f32 v98, -v43, v45, v97
	s_delay_alu instid0(VALU_DEP_1) | instskip(NEXT) | instid1(VALU_DEP_1)
	v_fmac_f32_e32 v45, v98, v44
	v_fma_f32 v43, -v43, v45, v97
	s_delay_alu instid0(VALU_DEP_1) | instskip(NEXT) | instid1(VALU_DEP_1)
	v_div_fmas_f32 v43, v43, v44, v45
	v_div_fixup_f32 v42, v43, v42, 1.0
	s_delay_alu instid0(VALU_DEP_1)
	v_mul_f32_e32 v44, v0, v42
	v_xor_b32_e32 v45, 0x80000000, v42
                                        ; implicit-def: $vgpr42_vgpr43
.LBB150_61:                             ;   in Loop: Header=BB150_3 Depth=1
	s_and_not1_saveexec_b32 s82, s82
	s_cbranch_execz .LBB150_63
; %bb.62:                               ;   in Loop: Header=BB150_3 Depth=1
	v_div_scale_f32 v0, null, v42, v42, -v43
	v_div_scale_f32 v97, vcc_lo, -v43, v42, -v43
	s_delay_alu instid0(VALU_DEP_2) | instskip(SKIP_1) | instid1(TRANS32_DEP_1)
	v_rcp_f32_e32 v44, v0
	v_nop
	v_fma_f32 v45, -v0, v44, 1.0
	s_delay_alu instid0(VALU_DEP_1) | instskip(NEXT) | instid1(VALU_DEP_1)
	v_fmac_f32_e32 v44, v45, v44
	v_mul_f32_e32 v45, v97, v44
	s_delay_alu instid0(VALU_DEP_1) | instskip(NEXT) | instid1(VALU_DEP_1)
	v_fma_f32 v98, -v0, v45, v97
	v_fmac_f32_e32 v45, v98, v44
	s_delay_alu instid0(VALU_DEP_1) | instskip(NEXT) | instid1(VALU_DEP_1)
	v_fma_f32 v0, -v0, v45, v97
	v_div_fmas_f32 v0, v0, v44, v45
	s_delay_alu instid0(VALU_DEP_1) | instskip(NEXT) | instid1(VALU_DEP_1)
	v_div_fixup_f32 v0, v0, v42, -v43
	v_fma_f32 v42, -v43, v0, v42
	s_delay_alu instid0(VALU_DEP_1) | instskip(NEXT) | instid1(VALU_DEP_1)
	v_div_scale_f32 v43, null, v42, v42, 1.0
	v_rcp_f32_e32 v44, v43
	v_nop
	s_delay_alu instid0(TRANS32_DEP_1) | instskip(NEXT) | instid1(VALU_DEP_1)
	v_fma_f32 v45, -v43, v44, 1.0
	v_fmac_f32_e32 v44, v45, v44
	v_div_scale_f32 v45, vcc_lo, 1.0, v42, 1.0
	s_delay_alu instid0(VALU_DEP_1) | instskip(NEXT) | instid1(VALU_DEP_1)
	v_mul_f32_e32 v97, v45, v44
	v_fma_f32 v98, -v43, v97, v45
	s_delay_alu instid0(VALU_DEP_1) | instskip(NEXT) | instid1(VALU_DEP_1)
	v_fmac_f32_e32 v97, v98, v44
	v_fma_f32 v43, -v43, v97, v45
	s_delay_alu instid0(VALU_DEP_1) | instskip(NEXT) | instid1(VALU_DEP_1)
	v_div_fmas_f32 v43, v43, v44, v97
	v_div_fixup_f32 v44, v43, v42, 1.0
	s_delay_alu instid0(VALU_DEP_1)
	v_mul_f32_e64 v45, v0, -v44
.LBB150_63:                             ;   in Loop: Header=BB150_3 Depth=1
	s_or_b32 exec_lo, exec_lo, s82
	ds_store_b64 v82, v[44:45]
.LBB150_64:                             ;   in Loop: Header=BB150_3 Depth=1
	s_or_b32 exec_lo, exec_lo, s65
.LBB150_65:                             ;   in Loop: Header=BB150_3 Depth=1
	s_and_not1_saveexec_b32 s11, s11
	s_cbranch_execz .LBB150_67
; %bb.66:                               ;   in Loop: Header=BB150_3 Depth=1
	v_lshl_add_u64 v[42:43], v[16:17], 3, v[40:41]
	flat_load_b64 v[42:43], v[42:43]
	s_wait_loadcnt_dscnt 0x0
	v_xor_b32_e32 v42, 0x80000000, v42
	ds_store_b64 v82, v[42:43]
.LBB150_67:                             ;   in Loop: Header=BB150_3 Depth=1
	s_or_b32 exec_lo, exec_lo, s11
	s_delay_alu instid0(SALU_CYCLE_1) | instskip(SKIP_2) | instid1(SALU_CYCLE_1)
	s_mov_b32 s11, exec_lo
	v_readlane_b32 s12, v107, 15
	s_and_b32 s12, s11, s12
	s_xor_b32 s11, s12, s11
	s_mov_b32 exec_lo, s12
	s_cbranch_execz .LBB150_79
; %bb.68:                               ;   in Loop: Header=BB150_3 Depth=1
	v_readlane_b32 s13, v107, 23
	s_and_saveexec_b32 s12, s13
	s_delay_alu instid0(SALU_CYCLE_1)
	s_xor_b32 s12, exec_lo, s12
	s_cbranch_execz .LBB150_72
; %bb.69:                               ;   in Loop: Header=BB150_3 Depth=1
	v_readlane_b32 s13, v106, 6
	s_and_saveexec_b32 s65, s13
; %bb.70:                               ;   in Loop: Header=BB150_3 Depth=1
	ds_store_b64 v84, v[24:25]
; %bb.71:                               ;   in Loop: Header=BB150_3 Depth=1
	s_or_b32 exec_lo, exec_lo, s65
                                        ; implicit-def: $vgpr40_vgpr41
.LBB150_72:                             ;   in Loop: Header=BB150_3 Depth=1
	s_and_not1_saveexec_b32 s65, s12
	s_cbranch_execz .LBB150_78
; %bb.73:                               ;   in Loop: Header=BB150_3 Depth=1
	v_lshl_add_u64 v[40:41], v[18:19], 3, v[40:41]
	s_mov_b32 s82, exec_lo
                                        ; implicit-def: $vgpr42_vgpr43
	flat_load_b64 v[40:41], v[40:41]
	s_wait_loadcnt_dscnt 0x0
	v_cmpx_ngt_f32_e64 |v40|, |v41|
	s_xor_b32 s82, exec_lo, s82
	s_cbranch_execz .LBB150_75
; %bb.74:                               ;   in Loop: Header=BB150_3 Depth=1
	v_div_scale_f32 v0, null, -v41, -v41, v40
	v_div_scale_f32 v44, vcc_lo, v40, -v41, v40
	s_delay_alu instid0(VALU_DEP_2) | instskip(SKIP_1) | instid1(TRANS32_DEP_1)
	v_rcp_f32_e32 v42, v0
	v_nop
	v_fma_f32 v43, -v0, v42, 1.0
	s_delay_alu instid0(VALU_DEP_1) | instskip(NEXT) | instid1(VALU_DEP_1)
	v_fmac_f32_e32 v42, v43, v42
	v_mul_f32_e32 v43, v44, v42
	s_delay_alu instid0(VALU_DEP_1) | instskip(NEXT) | instid1(VALU_DEP_1)
	v_fma_f32 v45, -v0, v43, v44
	v_fmac_f32_e32 v43, v45, v42
	s_delay_alu instid0(VALU_DEP_1) | instskip(NEXT) | instid1(VALU_DEP_1)
	v_fma_f32 v0, -v0, v43, v44
	v_div_fmas_f32 v0, v0, v42, v43
	s_delay_alu instid0(VALU_DEP_1) | instskip(NEXT) | instid1(VALU_DEP_1)
	v_div_fixup_f32 v0, v0, -v41, v40
	v_fma_f32 v40, v40, v0, -v41
	s_delay_alu instid0(VALU_DEP_1) | instskip(SKIP_1) | instid1(VALU_DEP_2)
	v_div_scale_f32 v41, null, v40, v40, 1.0
	v_div_scale_f32 v44, vcc_lo, 1.0, v40, 1.0
	v_rcp_f32_e32 v42, v41
	v_nop
	s_delay_alu instid0(TRANS32_DEP_1) | instskip(NEXT) | instid1(VALU_DEP_1)
	v_fma_f32 v43, -v41, v42, 1.0
	v_fmac_f32_e32 v42, v43, v42
	s_delay_alu instid0(VALU_DEP_1) | instskip(NEXT) | instid1(VALU_DEP_1)
	v_mul_f32_e32 v43, v44, v42
	v_fma_f32 v45, -v41, v43, v44
	s_delay_alu instid0(VALU_DEP_1) | instskip(NEXT) | instid1(VALU_DEP_1)
	v_fmac_f32_e32 v43, v45, v42
	v_fma_f32 v41, -v41, v43, v44
	s_delay_alu instid0(VALU_DEP_1) | instskip(NEXT) | instid1(VALU_DEP_1)
	v_div_fmas_f32 v41, v41, v42, v43
	v_div_fixup_f32 v40, v41, v40, 1.0
	s_delay_alu instid0(VALU_DEP_1)
	v_mul_f32_e32 v42, v0, v40
	v_xor_b32_e32 v43, 0x80000000, v40
                                        ; implicit-def: $vgpr40_vgpr41
.LBB150_75:                             ;   in Loop: Header=BB150_3 Depth=1
	s_and_not1_saveexec_b32 s82, s82
	s_cbranch_execz .LBB150_77
; %bb.76:                               ;   in Loop: Header=BB150_3 Depth=1
	v_div_scale_f32 v0, null, v40, v40, -v41
	v_div_scale_f32 v44, vcc_lo, -v41, v40, -v41
	s_delay_alu instid0(VALU_DEP_2) | instskip(SKIP_1) | instid1(TRANS32_DEP_1)
	v_rcp_f32_e32 v42, v0
	v_nop
	v_fma_f32 v43, -v0, v42, 1.0
	s_delay_alu instid0(VALU_DEP_1) | instskip(NEXT) | instid1(VALU_DEP_1)
	v_fmac_f32_e32 v42, v43, v42
	v_mul_f32_e32 v43, v44, v42
	s_delay_alu instid0(VALU_DEP_1) | instskip(NEXT) | instid1(VALU_DEP_1)
	v_fma_f32 v45, -v0, v43, v44
	v_fmac_f32_e32 v43, v45, v42
	s_delay_alu instid0(VALU_DEP_1) | instskip(NEXT) | instid1(VALU_DEP_1)
	v_fma_f32 v0, -v0, v43, v44
	v_div_fmas_f32 v0, v0, v42, v43
	s_delay_alu instid0(VALU_DEP_1) | instskip(NEXT) | instid1(VALU_DEP_1)
	v_div_fixup_f32 v0, v0, v40, -v41
	v_fma_f32 v40, -v41, v0, v40
	s_delay_alu instid0(VALU_DEP_1) | instskip(NEXT) | instid1(VALU_DEP_1)
	v_div_scale_f32 v41, null, v40, v40, 1.0
	v_rcp_f32_e32 v42, v41
	v_nop
	s_delay_alu instid0(TRANS32_DEP_1) | instskip(NEXT) | instid1(VALU_DEP_1)
	v_fma_f32 v43, -v41, v42, 1.0
	v_fmac_f32_e32 v42, v43, v42
	v_div_scale_f32 v43, vcc_lo, 1.0, v40, 1.0
	s_delay_alu instid0(VALU_DEP_1) | instskip(NEXT) | instid1(VALU_DEP_1)
	v_mul_f32_e32 v44, v43, v42
	v_fma_f32 v45, -v41, v44, v43
	s_delay_alu instid0(VALU_DEP_1) | instskip(NEXT) | instid1(VALU_DEP_1)
	v_fmac_f32_e32 v44, v45, v42
	v_fma_f32 v41, -v41, v44, v43
	s_delay_alu instid0(VALU_DEP_1) | instskip(NEXT) | instid1(VALU_DEP_1)
	v_div_fmas_f32 v41, v41, v42, v44
	v_div_fixup_f32 v42, v41, v40, 1.0
	s_delay_alu instid0(VALU_DEP_1)
	v_mul_f32_e64 v43, v0, -v42
.LBB150_77:                             ;   in Loop: Header=BB150_3 Depth=1
	s_or_b32 exec_lo, exec_lo, s82
	ds_store_b64 v84, v[42:43]
.LBB150_78:                             ;   in Loop: Header=BB150_3 Depth=1
	s_or_b32 exec_lo, exec_lo, s65
                                        ; implicit-def: $vgpr40_vgpr41
.LBB150_79:                             ;   in Loop: Header=BB150_3 Depth=1
	s_and_not1_saveexec_b32 s11, s11
	s_cbranch_execz .LBB150_81
; %bb.80:                               ;   in Loop: Header=BB150_3 Depth=1
	v_lshl_add_u64 v[40:41], v[18:19], 3, v[40:41]
	flat_load_b64 v[40:41], v[40:41]
	s_wait_loadcnt_dscnt 0x0
	v_xor_b32_e32 v40, 0x80000000, v40
	ds_store_b64 v84, v[40:41]
.LBB150_81:                             ;   in Loop: Header=BB150_3 Depth=1
	s_or_b32 exec_lo, exec_lo, s11
.LBB150_82:                             ;   in Loop: Header=BB150_3 Depth=1
	s_delay_alu instid0(SALU_CYCLE_1)
	s_and_not1_b32 vcc_lo, exec_lo, s89
	s_wait_loadcnt_dscnt 0x0
	s_barrier_signal -1
	s_barrier_wait -1
	s_cbranch_vccnz .LBB150_1004
; %bb.83:                               ;   in Loop: Header=BB150_3 Depth=1
	s_wait_xcnt 0x0
	s_and_saveexec_b32 s11, s14
	s_cbranch_execz .LBB150_85
; %bb.84:                               ;   in Loop: Header=BB150_3 Depth=1
	v_add_nc_u32_e64 v0, 0x1f0, 0
	ds_load_b64 v[44:45], v1 offset:32760
	ds_load_2addr_stride64_b64 v[40:43], v0 offset0:62 offset1:63
	s_wait_dscnt 0x0
	v_dual_mul_f32 v97, v45, v41 :: v_dual_mul_f32 v0, v44, v41
	s_delay_alu instid0(VALU_DEP_1) | instskip(NEXT) | instid1(VALU_DEP_1)
	v_xor_b32_e32 v98, 0x80000000, v97
	v_dual_fmac_f32 v0, v45, v40 :: v_dual_fmac_f32 v98, v44, v40
	s_delay_alu instid0(VALU_DEP_1) | instskip(SKIP_1) | instid1(VALU_DEP_2)
	v_pk_mul_f32 v[40:41], v[0:1], v[42:43] op_sel:[0,1] op_sel_hi:[0,0]
	v_add_nc_u32_e64 v0, 0x7800, 0
	v_pk_fma_f32 v[44:45], v[98:99], v[42:43], v[40:41] op_sel_hi:[0,1,1]
	v_pk_fma_f32 v[40:41], v[98:99], v[42:43], v[40:41] neg_lo:[0,0,1] neg_hi:[0,0,1]
	s_delay_alu instid0(VALU_DEP_2)
	v_mov_b32_e32 v41, v45
	ds_store_2addr_b64 v0, v[40:41], v[40:41] offset0:191 offset1:254
.LBB150_85:                             ;   in Loop: Header=BB150_3 Depth=1
	s_or_b32 exec_lo, exec_lo, s11
	v_dual_mov_b32 v40, 0 :: v_dual_mov_b32 v41, 0
	s_wait_dscnt 0x0
	s_barrier_signal -1
	s_barrier_wait -1
	global_wb scope:SCOPE_DEV
	s_wait_storecnt 0x0
	global_inv scope:SCOPE_DEV
	s_and_saveexec_b32 s11, s1
	s_cbranch_execz .LBB150_89
; %bb.86:                               ;   in Loop: Header=BB150_3 Depth=1
	ds_load_b64 v[40:41], v48 offset:32224
	ds_load_b64 v[42:43], v49 offset:32752
	s_wait_dscnt 0x0
	v_pk_mul_f32 v[44:45], v[42:43], v[40:41] op_sel:[1,1] op_sel_hi:[0,1]
	s_delay_alu instid0(VALU_DEP_1) | instskip(SKIP_1) | instid1(VALU_DEP_2)
	v_pk_fma_f32 v[98:99], v[42:43], v[40:41], v[44:45] op_sel_hi:[1,0,1]
	v_pk_fma_f32 v[40:41], v[42:43], v[40:41], v[44:45] neg_lo:[0,0,1] neg_hi:[0,0,1]
	v_mov_b32_e32 v41, v99
	s_delay_alu instid0(VALU_DEP_1)
	v_pk_add_f32 v[40:41], v[40:41], 0 op_sel_hi:[1,0]
	s_and_saveexec_b32 s12, s17
	s_cbranch_execz .LBB150_88
; %bb.87:                               ;   in Loop: Header=BB150_3 Depth=1
	ds_load_b64 v[42:43], v50 offset:32736
	ds_load_b64 v[44:45], v1 offset:32760
	s_wait_dscnt 0x0
	v_pk_mul_f32 v[98:99], v[44:45], v[42:43] op_sel:[1,1] op_sel_hi:[0,1]
	s_delay_alu instid0(VALU_DEP_1) | instskip(SKIP_1) | instid1(VALU_DEP_2)
	v_pk_fma_f32 v[100:101], v[44:45], v[42:43], v[98:99] op_sel_hi:[1,0,1]
	v_pk_fma_f32 v[42:43], v[44:45], v[42:43], v[98:99] neg_lo:[0,0,1] neg_hi:[0,0,1]
	v_mov_b32_e32 v43, v101
	s_delay_alu instid0(VALU_DEP_1)
	v_pk_add_f32 v[40:41], v[40:41], v[42:43]
.LBB150_88:                             ;   in Loop: Header=BB150_3 Depth=1
	s_or_b32 exec_lo, exec_lo, s12
.LBB150_89:                             ;   in Loop: Header=BB150_3 Depth=1
	s_delay_alu instid0(SALU_CYCLE_1)
	s_or_b32 exec_lo, exec_lo, s11
	s_and_saveexec_b32 s11, s90
	s_cbranch_execz .LBB150_91
; %bb.90:                               ;   in Loop: Header=BB150_3 Depth=1
	ds_load_b64 v[42:43], v1 offset:31720
	s_wait_dscnt 0x0
	v_pk_mul_f32 v[44:45], v[40:41], v[42:43] op_sel:[1,1] op_sel_hi:[1,0]
	s_delay_alu instid0(VALU_DEP_1) | instskip(SKIP_1) | instid1(VALU_DEP_2)
	v_pk_fma_f32 v[98:99], v[40:41], v[42:43], v[44:45] op_sel_hi:[0,1,1]
	v_pk_fma_f32 v[40:41], v[40:41], v[42:43], v[44:45] neg_lo:[0,0,1] neg_hi:[0,0,1]
	v_mov_b32_e32 v41, v99
	s_delay_alu instid0(VALU_DEP_1)
	v_pk_add_f32 v[42:43], v[40:41], 0 neg_lo:[1,1] neg_hi:[1,1]
	ds_store_b64 v3, v[42:43]
.LBB150_91:                             ;   in Loop: Header=BB150_3 Depth=1
	s_or_b32 exec_lo, exec_lo, s11
	s_wait_loadcnt_dscnt 0x0
	s_barrier_signal -1
	s_barrier_wait -1
	s_and_saveexec_b32 s11, s91
	s_cbranch_execz .LBB150_93
; %bb.92:                               ;   in Loop: Header=BB150_3 Depth=1
	ds_load_b64 v[42:43], v1 offset:31712
	ds_load_b64 v[44:45], v3
	s_wait_dscnt 0x0
	v_pk_mul_f32 v[98:99], v[44:45], v[42:43] op_sel:[1,1] op_sel_hi:[0,1]
	s_delay_alu instid0(VALU_DEP_1) | instskip(SKIP_1) | instid1(VALU_DEP_2)
	v_pk_fma_f32 v[100:101], v[44:45], v[42:43], v[98:99] op_sel_hi:[1,0,1]
	v_pk_fma_f32 v[42:43], v[44:45], v[42:43], v[98:99] neg_lo:[0,0,1] neg_hi:[0,0,1]
	v_mov_b32_e32 v43, v101
	s_delay_alu instid0(VALU_DEP_1)
	v_pk_add_f32 v[40:41], v[40:41], v[42:43] neg_lo:[0,1] neg_hi:[0,1]
.LBB150_93:                             ;   in Loop: Header=BB150_3 Depth=1
	s_or_b32 exec_lo, exec_lo, s11
	s_barrier_signal -1
	s_barrier_wait -1
	s_and_saveexec_b32 s11, s91
	s_cbranch_execz .LBB150_95
; %bb.94:                               ;   in Loop: Header=BB150_3 Depth=1
	ds_load_b64 v[42:43], v1 offset:31200
	s_wait_dscnt 0x0
	v_pk_mul_f32 v[44:45], v[40:41], v[42:43] op_sel:[1,1] op_sel_hi:[1,0]
	s_delay_alu instid0(VALU_DEP_1) | instskip(SKIP_1) | instid1(VALU_DEP_2)
	v_pk_fma_f32 v[98:99], v[40:41], v[42:43], v[44:45] op_sel_hi:[0,1,1]
	v_pk_fma_f32 v[40:41], v[40:41], v[42:43], v[44:45] neg_lo:[0,0,1] neg_hi:[0,0,1]
	v_mov_b32_e32 v41, v99
	s_delay_alu instid0(VALU_DEP_1)
	v_pk_add_f32 v[42:43], v[40:41], 0 neg_lo:[1,1] neg_hi:[1,1]
	ds_store_b64 v3, v[42:43]
.LBB150_95:                             ;   in Loop: Header=BB150_3 Depth=1
	s_or_b32 exec_lo, exec_lo, s11
	s_wait_dscnt 0x0
	s_barrier_signal -1
	s_barrier_wait -1
	s_barrier_signal -1
	s_barrier_wait -1
	s_and_saveexec_b32 s11, s1
; %bb.96:                               ;   in Loop: Header=BB150_3 Depth=1
	ds_store_b64 v51, v[40:41] offset:32736
; %bb.97:                               ;   in Loop: Header=BB150_3 Depth=1
	s_or_b32 exec_lo, exec_lo, s11
	s_wait_dscnt 0x0
	s_barrier_signal -1
	s_barrier_wait -1
	s_barrier_signal -1
	s_barrier_wait -1
	s_and_saveexec_b32 s11, s92
	s_cbranch_execz .LBB150_99
; %bb.98:                               ;   in Loop: Header=BB150_3 Depth=1
	ds_load_b64 v[40:41], v52 offset:32224
	s_wait_dscnt 0x0
	ds_store_b64 v50, v[40:41] offset:31216
	ds_load_b64 v[40:41], v52 offset:32232
	s_wait_dscnt 0x0
	ds_store_b64 v50, v[40:41] offset:31728
.LBB150_99:                             ;   in Loop: Header=BB150_3 Depth=1
	s_or_b32 exec_lo, exec_lo, s11
	s_wait_dscnt 0x0
	s_barrier_signal -1
	s_barrier_wait -1
	s_and_saveexec_b32 s11, s14
	s_cbranch_execz .LBB150_101
; %bb.100:                              ;   in Loop: Header=BB150_3 Depth=1
	v_add_nc_u32_e64 v0, 0x1e0, 0
	ds_load_b64 v[44:45], v1 offset:31720
	ds_load_2addr_stride64_b64 v[40:43], v0 offset0:60 offset1:61
	s_wait_dscnt 0x0
	v_dual_mul_f32 v97, v45, v41 :: v_dual_mul_f32 v0, v44, v41
	s_delay_alu instid0(VALU_DEP_1) | instskip(NEXT) | instid1(VALU_DEP_1)
	v_xor_b32_e32 v98, 0x80000000, v97
	v_dual_fmac_f32 v0, v45, v40 :: v_dual_fmac_f32 v98, v44, v40
	s_delay_alu instid0(VALU_DEP_1) | instskip(SKIP_1) | instid1(VALU_DEP_2)
	v_pk_mul_f32 v[40:41], v[0:1], v[42:43] op_sel:[0,1] op_sel_hi:[0,0]
	v_add_nc_u32_e64 v0, 0x7800, 0
	v_pk_fma_f32 v[44:45], v[98:99], v[42:43], v[40:41] op_sel_hi:[0,1,1]
	v_pk_fma_f32 v[40:41], v[98:99], v[42:43], v[40:41] neg_lo:[0,0,1] neg_hi:[0,0,1]
	s_delay_alu instid0(VALU_DEP_2)
	v_mov_b32_e32 v41, v45
	ds_store_2addr_b64 v0, v[40:41], v[40:41] offset0:61 offset1:124
.LBB150_101:                            ;   in Loop: Header=BB150_3 Depth=1
	s_or_b32 exec_lo, exec_lo, s11
	v_mov_b64_e32 v[40:41], 0
	s_wait_dscnt 0x0
	s_barrier_signal -1
	s_barrier_wait -1
	global_wb scope:SCOPE_DEV
	s_wait_storecnt 0x0
	global_inv scope:SCOPE_DEV
	s_and_saveexec_b32 s11, s3
	s_cbranch_execz .LBB150_107
; %bb.102:                              ;   in Loop: Header=BB150_3 Depth=1
	ds_load_b64 v[40:41], v54 offset:31168
	ds_load_b64 v[42:43], v55 offset:32736
	s_wait_dscnt 0x0
	v_dual_mul_f32 v0, v43, v41 :: v_dual_mul_f32 v41, v42, v41
	s_delay_alu instid0(VALU_DEP_1) | instskip(NEXT) | instid1(VALU_DEP_1)
	v_dual_fma_f32 v0, v42, v40, -v0 :: v_dual_fmac_f32 v41, v43, v40
	v_dual_add_f32 v40, 0, v0 :: v_dual_add_f32 v41, 0, v41
	s_and_saveexec_b32 s12, s18
	s_cbranch_execnz .LBB150_1124
; %bb.103:                              ;   in Loop: Header=BB150_3 Depth=1
	s_or_b32 exec_lo, exec_lo, s12
	s_and_saveexec_b32 s12, s19
	s_cbranch_execnz .LBB150_1125
.LBB150_104:                            ;   in Loop: Header=BB150_3 Depth=1
	s_or_b32 exec_lo, exec_lo, s12
	s_and_saveexec_b32 s12, s1
	s_cbranch_execz .LBB150_106
.LBB150_105:                            ;   in Loop: Header=BB150_3 Depth=1
	ds_load_b64 v[42:43], v57 offset:32704
	ds_load_b64 v[44:45], v1 offset:32760
	s_wait_dscnt 0x0
	v_dual_mul_f32 v0, v45, v43 :: v_dual_mul_f32 v43, v44, v43
	s_delay_alu instid0(VALU_DEP_1) | instskip(NEXT) | instid1(VALU_DEP_1)
	v_dual_fma_f32 v0, v44, v42, -v0 :: v_dual_fmac_f32 v43, v45, v42
	v_dual_add_f32 v40, v40, v0 :: v_dual_add_f32 v41, v41, v43
.LBB150_106:                            ;   in Loop: Header=BB150_3 Depth=1
	s_or_b32 exec_lo, exec_lo, s12
.LBB150_107:                            ;   in Loop: Header=BB150_3 Depth=1
	s_delay_alu instid0(SALU_CYCLE_1)
	s_or_b32 exec_lo, exec_lo, s11
	s_and_saveexec_b32 s11, s93
	s_cbranch_execz .LBB150_109
; %bb.108:                              ;   in Loop: Header=BB150_3 Depth=1
	ds_load_b64 v[42:43], v1 offset:30680
	s_wait_dscnt 0x0
	v_dual_mul_f32 v0, v41, v42 :: v_dual_mul_f32 v44, v41, v43
	s_delay_alu instid0(VALU_DEP_1) | instskip(NEXT) | instid1(VALU_DEP_2)
	v_pk_fma_f32 v[98:99], v[40:41], v[42:43], v[0:1] op_sel:[1,0,0] op_sel_hi:[0,1,0]
	v_pk_fma_f32 v[40:41], v[40:41], v[42:43], v[44:45] op_sel_hi:[1,1,0] neg_lo:[0,0,1] neg_hi:[0,0,1]
	s_delay_alu instid0(VALU_DEP_2) | instskip(NEXT) | instid1(VALU_DEP_1)
	v_mov_b32_e32 v41, v99
	v_pk_add_f32 v[42:43], v[40:41], 0 neg_lo:[1,1] neg_hi:[1,1]
	ds_store_b64 v53, v[42:43]
.LBB150_109:                            ;   in Loop: Header=BB150_3 Depth=1
	s_or_b32 exec_lo, exec_lo, s11
	s_wait_loadcnt_dscnt 0x0
	s_barrier_signal -1
	s_barrier_wait -1
	s_and_saveexec_b32 s11, s94
	s_cbranch_execz .LBB150_111
; %bb.110:                              ;   in Loop: Header=BB150_3 Depth=1
	ds_load_b64 v[42:43], v54 offset:30656
	ds_load_b64 v[44:45], v53
	s_wait_dscnt 0x0
	v_pk_mul_f32 v[98:99], v[44:45], v[42:43] op_sel:[1,1] op_sel_hi:[0,1]
	s_delay_alu instid0(VALU_DEP_1) | instskip(SKIP_1) | instid1(VALU_DEP_2)
	v_pk_fma_f32 v[100:101], v[44:45], v[42:43], v[98:99] op_sel_hi:[1,0,1]
	v_pk_fma_f32 v[42:43], v[44:45], v[42:43], v[98:99] neg_lo:[0,0,1] neg_hi:[0,0,1]
	v_mov_b32_e32 v43, v101
	s_delay_alu instid0(VALU_DEP_1)
	v_pk_add_f32 v[40:41], v[40:41], v[42:43] neg_lo:[0,1] neg_hi:[0,1]
.LBB150_111:                            ;   in Loop: Header=BB150_3 Depth=1
	s_or_b32 exec_lo, exec_lo, s11
	s_barrier_signal -1
	s_barrier_wait -1
	s_and_saveexec_b32 s11, s95
	s_cbranch_execz .LBB150_113
; %bb.112:                              ;   in Loop: Header=BB150_3 Depth=1
	ds_load_b64 v[42:43], v1 offset:30160
	s_wait_dscnt 0x0
	v_pk_mul_f32 v[44:45], v[40:41], v[42:43] op_sel:[1,1] op_sel_hi:[1,0]
	s_delay_alu instid0(VALU_DEP_1) | instskip(SKIP_1) | instid1(VALU_DEP_2)
	v_pk_fma_f32 v[98:99], v[40:41], v[42:43], v[44:45] op_sel_hi:[0,1,1]
	v_pk_fma_f32 v[40:41], v[40:41], v[42:43], v[44:45] neg_lo:[0,0,1] neg_hi:[0,0,1]
	v_mov_b32_e32 v41, v99
	s_delay_alu instid0(VALU_DEP_1)
	v_pk_add_f32 v[42:43], v[40:41], 0 neg_lo:[1,1] neg_hi:[1,1]
	ds_store_b64 v53, v[42:43]
.LBB150_113:                            ;   in Loop: Header=BB150_3 Depth=1
	s_or_b32 exec_lo, exec_lo, s11
	s_wait_dscnt 0x0
	s_barrier_signal -1
	s_barrier_wait -1
	s_and_saveexec_b32 s11, s96
	s_cbranch_execz .LBB150_115
; %bb.114:                              ;   in Loop: Header=BB150_3 Depth=1
	ds_load_b64 v[42:43], v54 offset:30144
	ds_load_b64 v[44:45], v53
	s_wait_dscnt 0x0
	v_pk_mul_f32 v[98:99], v[44:45], v[42:43] op_sel:[1,1] op_sel_hi:[0,1]
	s_delay_alu instid0(VALU_DEP_1) | instskip(SKIP_1) | instid1(VALU_DEP_2)
	v_pk_fma_f32 v[100:101], v[44:45], v[42:43], v[98:99] op_sel_hi:[1,0,1]
	v_pk_fma_f32 v[42:43], v[44:45], v[42:43], v[98:99] neg_lo:[0,0,1] neg_hi:[0,0,1]
	v_mov_b32_e32 v43, v101
	s_delay_alu instid0(VALU_DEP_1)
	v_pk_add_f32 v[40:41], v[40:41], v[42:43] neg_lo:[0,1] neg_hi:[0,1]
.LBB150_115:                            ;   in Loop: Header=BB150_3 Depth=1
	s_or_b32 exec_lo, exec_lo, s11
	s_barrier_signal -1
	s_barrier_wait -1
	s_and_saveexec_b32 s11, s97
	s_cbranch_execz .LBB150_117
; %bb.116:                              ;   in Loop: Header=BB150_3 Depth=1
	ds_load_b64 v[42:43], v1 offset:29640
	s_wait_dscnt 0x0
	v_pk_mul_f32 v[44:45], v[40:41], v[42:43] op_sel:[1,1] op_sel_hi:[1,0]
	s_delay_alu instid0(VALU_DEP_1) | instskip(SKIP_1) | instid1(VALU_DEP_2)
	v_pk_fma_f32 v[98:99], v[40:41], v[42:43], v[44:45] op_sel_hi:[0,1,1]
	v_pk_fma_f32 v[40:41], v[40:41], v[42:43], v[44:45] neg_lo:[0,0,1] neg_hi:[0,0,1]
	v_mov_b32_e32 v41, v99
	s_delay_alu instid0(VALU_DEP_1)
	v_pk_add_f32 v[42:43], v[40:41], 0 neg_lo:[1,1] neg_hi:[1,1]
	ds_store_b64 v53, v[42:43]
.LBB150_117:                            ;   in Loop: Header=BB150_3 Depth=1
	s_or_b32 exec_lo, exec_lo, s11
	s_wait_dscnt 0x0
	;; [unrolled: 35-line block ×3, first 2 shown]
	s_barrier_signal -1
	s_barrier_wait -1
	s_barrier_signal -1
	s_barrier_wait -1
	s_and_saveexec_b32 s11, s3
; %bb.122:                              ;   in Loop: Header=BB150_3 Depth=1
	ds_store_b64 v58, v[40:41] offset:32704
; %bb.123:                              ;   in Loop: Header=BB150_3 Depth=1
	s_or_b32 exec_lo, exec_lo, s11
	s_wait_dscnt 0x0
	s_barrier_signal -1
	s_barrier_wait -1
	s_barrier_signal -1
	s_barrier_wait -1
	s_and_saveexec_b32 s11, s99
	s_cbranch_execz .LBB150_125
; %bb.124:                              ;   in Loop: Header=BB150_3 Depth=1
	ds_load_b64 v[40:41], v59 offset:31168
	s_wait_dscnt 0x0
	ds_store_b64 v5, v[40:41] offset:29152
	ds_load_b64 v[40:41], v59 offset:31176
	s_wait_dscnt 0x0
	ds_store_b64 v5, v[40:41] offset:29664
	ds_load_b64 v[40:41], v59 offset:31184
	s_wait_dscnt 0x0
	ds_store_b64 v5, v[40:41] offset:30176
	ds_load_b64 v[40:41], v59 offset:31192
	s_wait_dscnt 0x0
	ds_store_b64 v5, v[40:41] offset:30688
.LBB150_125:                            ;   in Loop: Header=BB150_3 Depth=1
	s_or_b32 exec_lo, exec_lo, s11
	s_wait_dscnt 0x0
	s_barrier_signal -1
	s_barrier_wait -1
	s_and_saveexec_b32 s11, s14
	s_cbranch_execz .LBB150_127
; %bb.126:                              ;   in Loop: Header=BB150_3 Depth=1
	v_add_nc_u32_e64 v0, 0x1d0, 0
	ds_load_b64 v[44:45], v1 offset:30680
	ds_load_2addr_stride64_b64 v[40:43], v0 offset0:58 offset1:59
	s_wait_dscnt 0x0
	v_dual_mul_f32 v97, v45, v41 :: v_dual_mul_f32 v0, v44, v41
	s_delay_alu instid0(VALU_DEP_1) | instskip(NEXT) | instid1(VALU_DEP_1)
	v_xor_b32_e32 v98, 0x80000000, v97
	v_dual_fmac_f32 v0, v45, v40 :: v_dual_fmac_f32 v98, v44, v40
	s_delay_alu instid0(VALU_DEP_1) | instskip(SKIP_1) | instid1(VALU_DEP_2)
	v_pk_mul_f32 v[40:41], v[0:1], v[42:43] op_sel:[0,1] op_sel_hi:[0,0]
	v_add_nc_u32_e64 v0, 0x7000, 0
	v_pk_fma_f32 v[44:45], v[98:99], v[42:43], v[40:41] op_sel_hi:[0,1,1]
	v_pk_fma_f32 v[40:41], v[98:99], v[42:43], v[40:41] neg_lo:[0,0,1] neg_hi:[0,0,1]
	s_delay_alu instid0(VALU_DEP_2)
	v_mov_b32_e32 v41, v45
	ds_store_2addr_b64 v0, v[40:41], v[40:41] offset0:187 offset1:250
.LBB150_127:                            ;   in Loop: Header=BB150_3 Depth=1
	s_or_b32 exec_lo, exec_lo, s11
	v_dual_mov_b32 v40, 0 :: v_dual_mov_b32 v41, 0
	s_wait_dscnt 0x0
	s_barrier_signal -1
	s_barrier_wait -1
	global_wb scope:SCOPE_DEV
	s_wait_storecnt 0x0
	global_inv scope:SCOPE_DEV
	s_and_saveexec_b32 s11, s1
	s_cbranch_execz .LBB150_131
; %bb.128:                              ;   in Loop: Header=BB150_3 Depth=1
	ds_load_b64 v[40:41], v48 offset:30144
	ds_load_b64 v[42:43], v49 offset:30672
	s_wait_dscnt 0x0
	v_pk_mul_f32 v[44:45], v[42:43], v[40:41] op_sel:[1,1] op_sel_hi:[0,1]
	s_delay_alu instid0(VALU_DEP_1) | instskip(SKIP_1) | instid1(VALU_DEP_2)
	v_pk_fma_f32 v[98:99], v[42:43], v[40:41], v[44:45] op_sel_hi:[1,0,1]
	v_pk_fma_f32 v[40:41], v[42:43], v[40:41], v[44:45] neg_lo:[0,0,1] neg_hi:[0,0,1]
	v_mov_b32_e32 v41, v99
	s_delay_alu instid0(VALU_DEP_1)
	v_pk_add_f32 v[40:41], v[40:41], 0 op_sel_hi:[1,0]
	s_and_saveexec_b32 s12, s17
	s_cbranch_execz .LBB150_130
; %bb.129:                              ;   in Loop: Header=BB150_3 Depth=1
	ds_load_b64 v[42:43], v5 offset:30656
	ds_load_b64 v[44:45], v1 offset:30680
	s_wait_dscnt 0x0
	v_pk_mul_f32 v[98:99], v[44:45], v[42:43] op_sel:[1,1] op_sel_hi:[0,1]
	s_delay_alu instid0(VALU_DEP_1) | instskip(SKIP_1) | instid1(VALU_DEP_2)
	v_pk_fma_f32 v[100:101], v[44:45], v[42:43], v[98:99] op_sel_hi:[1,0,1]
	v_pk_fma_f32 v[42:43], v[44:45], v[42:43], v[98:99] neg_lo:[0,0,1] neg_hi:[0,0,1]
	v_mov_b32_e32 v43, v101
	s_delay_alu instid0(VALU_DEP_1)
	v_pk_add_f32 v[40:41], v[40:41], v[42:43]
.LBB150_130:                            ;   in Loop: Header=BB150_3 Depth=1
	s_or_b32 exec_lo, exec_lo, s12
.LBB150_131:                            ;   in Loop: Header=BB150_3 Depth=1
	s_delay_alu instid0(SALU_CYCLE_1)
	s_or_b32 exec_lo, exec_lo, s11
	s_and_saveexec_b32 s11, s90
	s_cbranch_execz .LBB150_133
; %bb.132:                              ;   in Loop: Header=BB150_3 Depth=1
	ds_load_b64 v[42:43], v1 offset:29640
	s_wait_dscnt 0x0
	v_pk_mul_f32 v[44:45], v[40:41], v[42:43] op_sel:[1,1] op_sel_hi:[1,0]
	s_delay_alu instid0(VALU_DEP_1) | instskip(SKIP_1) | instid1(VALU_DEP_2)
	v_pk_fma_f32 v[98:99], v[40:41], v[42:43], v[44:45] op_sel_hi:[0,1,1]
	v_pk_fma_f32 v[40:41], v[40:41], v[42:43], v[44:45] neg_lo:[0,0,1] neg_hi:[0,0,1]
	v_mov_b32_e32 v41, v99
	s_delay_alu instid0(VALU_DEP_1)
	v_pk_add_f32 v[42:43], v[40:41], 0 neg_lo:[1,1] neg_hi:[1,1]
	ds_store_b64 v3, v[42:43]
.LBB150_133:                            ;   in Loop: Header=BB150_3 Depth=1
	s_or_b32 exec_lo, exec_lo, s11
	s_wait_loadcnt_dscnt 0x0
	s_barrier_signal -1
	s_barrier_wait -1
	s_and_saveexec_b32 s11, s91
	s_cbranch_execz .LBB150_135
; %bb.134:                              ;   in Loop: Header=BB150_3 Depth=1
	ds_load_b64 v[42:43], v1 offset:29632
	ds_load_b64 v[44:45], v3
	s_wait_dscnt 0x0
	v_pk_mul_f32 v[98:99], v[44:45], v[42:43] op_sel:[1,1] op_sel_hi:[0,1]
	s_delay_alu instid0(VALU_DEP_1) | instskip(SKIP_1) | instid1(VALU_DEP_2)
	v_pk_fma_f32 v[100:101], v[44:45], v[42:43], v[98:99] op_sel_hi:[1,0,1]
	v_pk_fma_f32 v[42:43], v[44:45], v[42:43], v[98:99] neg_lo:[0,0,1] neg_hi:[0,0,1]
	v_mov_b32_e32 v43, v101
	s_delay_alu instid0(VALU_DEP_1)
	v_pk_add_f32 v[40:41], v[40:41], v[42:43] neg_lo:[0,1] neg_hi:[0,1]
.LBB150_135:                            ;   in Loop: Header=BB150_3 Depth=1
	s_or_b32 exec_lo, exec_lo, s11
	s_barrier_signal -1
	s_barrier_wait -1
	s_and_saveexec_b32 s11, s91
	s_cbranch_execz .LBB150_137
; %bb.136:                              ;   in Loop: Header=BB150_3 Depth=1
	ds_load_b64 v[42:43], v1 offset:29120
	s_wait_dscnt 0x0
	v_pk_mul_f32 v[44:45], v[40:41], v[42:43] op_sel:[1,1] op_sel_hi:[1,0]
	s_delay_alu instid0(VALU_DEP_1) | instskip(SKIP_1) | instid1(VALU_DEP_2)
	v_pk_fma_f32 v[98:99], v[40:41], v[42:43], v[44:45] op_sel_hi:[0,1,1]
	v_pk_fma_f32 v[40:41], v[40:41], v[42:43], v[44:45] neg_lo:[0,0,1] neg_hi:[0,0,1]
	v_mov_b32_e32 v41, v99
	s_delay_alu instid0(VALU_DEP_1)
	v_pk_add_f32 v[42:43], v[40:41], 0 neg_lo:[1,1] neg_hi:[1,1]
	ds_store_b64 v3, v[42:43]
.LBB150_137:                            ;   in Loop: Header=BB150_3 Depth=1
	s_or_b32 exec_lo, exec_lo, s11
	s_wait_dscnt 0x0
	s_barrier_signal -1
	s_barrier_wait -1
	s_barrier_signal -1
	s_barrier_wait -1
	s_and_saveexec_b32 s11, s1
; %bb.138:                              ;   in Loop: Header=BB150_3 Depth=1
	ds_store_b64 v51, v[40:41] offset:30656
; %bb.139:                              ;   in Loop: Header=BB150_3 Depth=1
	s_or_b32 exec_lo, exec_lo, s11
	s_wait_dscnt 0x0
	s_barrier_signal -1
	s_barrier_wait -1
	s_barrier_signal -1
	s_barrier_wait -1
	s_and_saveexec_b32 s11, s92
	s_cbranch_execz .LBB150_141
; %bb.140:                              ;   in Loop: Header=BB150_3 Depth=1
	ds_load_b64 v[40:41], v73 offset:30144
	s_wait_dscnt 0x0
	ds_store_b64 v5, v[40:41] offset:29136
	ds_load_b64 v[40:41], v73 offset:30152
	s_wait_dscnt 0x0
	ds_store_b64 v5, v[40:41] offset:29648
.LBB150_141:                            ;   in Loop: Header=BB150_3 Depth=1
	s_or_b32 exec_lo, exec_lo, s11
	s_wait_dscnt 0x0
	s_barrier_signal -1
	s_barrier_wait -1
	s_and_saveexec_b32 s11, s14
	s_cbranch_execz .LBB150_143
; %bb.142:                              ;   in Loop: Header=BB150_3 Depth=1
	v_add_nc_u32_e64 v0, 0x1c0, 0
	ds_load_b64 v[44:45], v1 offset:29640
	ds_load_2addr_stride64_b64 v[40:43], v0 offset0:56 offset1:57
	s_wait_dscnt 0x0
	v_dual_mul_f32 v97, v45, v41 :: v_dual_mul_f32 v0, v44, v41
	s_delay_alu instid0(VALU_DEP_1) | instskip(NEXT) | instid1(VALU_DEP_1)
	v_xor_b32_e32 v98, 0x80000000, v97
	v_dual_fmac_f32 v0, v45, v40 :: v_dual_fmac_f32 v98, v44, v40
	s_delay_alu instid0(VALU_DEP_1) | instskip(SKIP_1) | instid1(VALU_DEP_2)
	v_pk_mul_f32 v[40:41], v[0:1], v[42:43] op_sel:[0,1] op_sel_hi:[0,0]
	v_add_nc_u32_e64 v0, 0x7000, 0
	v_pk_fma_f32 v[44:45], v[98:99], v[42:43], v[40:41] op_sel_hi:[0,1,1]
	v_pk_fma_f32 v[40:41], v[98:99], v[42:43], v[40:41] neg_lo:[0,0,1] neg_hi:[0,0,1]
	s_delay_alu instid0(VALU_DEP_2)
	v_mov_b32_e32 v41, v45
	ds_store_2addr_b64 v0, v[40:41], v[40:41] offset0:57 offset1:120
.LBB150_143:                            ;   in Loop: Header=BB150_3 Depth=1
	s_or_b32 exec_lo, exec_lo, s11
	v_mov_b64_e32 v[40:41], 0
	s_wait_dscnt 0x0
	s_barrier_signal -1
	s_barrier_wait -1
	global_wb scope:SCOPE_DEV
	s_wait_storecnt 0x0
	global_inv scope:SCOPE_DEV
	s_and_saveexec_b32 s11, s4
	s_cbranch_execz .LBB150_153
; %bb.144:                              ;   in Loop: Header=BB150_3 Depth=1
	ds_load_b64 v[40:41], v61 offset:29056
	ds_load_b64 v[42:43], v62 offset:32704
	s_wait_dscnt 0x0
	v_dual_mul_f32 v0, v43, v41 :: v_dual_mul_f32 v41, v42, v41
	s_delay_alu instid0(VALU_DEP_1) | instskip(NEXT) | instid1(VALU_DEP_1)
	v_dual_fma_f32 v0, v42, v40, -v0 :: v_dual_fmac_f32 v41, v43, v40
	v_dual_add_f32 v40, 0, v0 :: v_dual_add_f32 v41, 0, v41
	s_and_saveexec_b32 s12, s20
	s_cbranch_execnz .LBB150_1126
; %bb.145:                              ;   in Loop: Header=BB150_3 Depth=1
	s_or_b32 exec_lo, exec_lo, s12
	s_and_saveexec_b32 s12, s21
	s_cbranch_execnz .LBB150_1127
.LBB150_146:                            ;   in Loop: Header=BB150_3 Depth=1
	s_or_b32 exec_lo, exec_lo, s12
	s_and_saveexec_b32 s12, s22
	s_cbranch_execnz .LBB150_1128
.LBB150_147:                            ;   in Loop: Header=BB150_3 Depth=1
	s_or_b32 exec_lo, exec_lo, s12
	s_and_saveexec_b32 s12, s23
	s_cbranch_execnz .LBB150_1129
.LBB150_148:                            ;   in Loop: Header=BB150_3 Depth=1
	s_or_b32 exec_lo, exec_lo, s12
	s_and_saveexec_b32 s12, s24
	s_cbranch_execnz .LBB150_1130
.LBB150_149:                            ;   in Loop: Header=BB150_3 Depth=1
	s_or_b32 exec_lo, exec_lo, s12
	s_and_saveexec_b32 s12, s3
	s_cbranch_execnz .LBB150_1131
.LBB150_150:                            ;   in Loop: Header=BB150_3 Depth=1
	s_or_b32 exec_lo, exec_lo, s12
	s_and_saveexec_b32 s12, s19
	s_cbranch_execz .LBB150_152
.LBB150_151:                            ;   in Loop: Header=BB150_3 Depth=1
	ds_load_b64 v[42:43], v74 offset:32640
	ds_load_b64 v[44:45], v1 offset:32760
	s_wait_dscnt 0x0
	v_dual_mul_f32 v0, v45, v43 :: v_dual_mul_f32 v99, v44, v43
	s_delay_alu instid0(VALU_DEP_1) | instskip(NEXT) | instid1(VALU_DEP_1)
	v_dual_fma_f32 v98, v44, v42, -v0 :: v_dual_fmac_f32 v99, v45, v42
	v_pk_add_f32 v[40:41], v[40:41], v[98:99]
.LBB150_152:                            ;   in Loop: Header=BB150_3 Depth=1
	s_or_b32 exec_lo, exec_lo, s12
.LBB150_153:                            ;   in Loop: Header=BB150_3 Depth=1
	s_delay_alu instid0(SALU_CYCLE_1)
	s_or_b32 exec_lo, exec_lo, s11
	s_and_saveexec_b32 s11, s100
	s_cbranch_execz .LBB150_155
; %bb.154:                              ;   in Loop: Header=BB150_3 Depth=1
	ds_load_b64 v[42:43], v1 offset:28600
	s_wait_dscnt 0x0
	v_pk_mul_f32 v[44:45], v[40:41], v[42:43] op_sel:[1,1] op_sel_hi:[1,0]
	s_delay_alu instid0(VALU_DEP_1) | instskip(SKIP_1) | instid1(VALU_DEP_2)
	v_pk_fma_f32 v[98:99], v[40:41], v[42:43], v[44:45] op_sel_hi:[0,1,1]
	v_pk_fma_f32 v[40:41], v[40:41], v[42:43], v[44:45] neg_lo:[0,0,1] neg_hi:[0,0,1]
	v_mov_b32_e32 v41, v99
	s_delay_alu instid0(VALU_DEP_1)
	v_pk_add_f32 v[42:43], v[40:41], 0 neg_lo:[1,1] neg_hi:[1,1]
	ds_store_b64 v60, v[42:43]
.LBB150_155:                            ;   in Loop: Header=BB150_3 Depth=1
	s_or_b32 exec_lo, exec_lo, s11
	s_wait_loadcnt_dscnt 0x0
	s_barrier_signal -1
	s_barrier_wait -1
	s_and_saveexec_b32 s11, s101
	s_cbranch_execz .LBB150_157
; %bb.156:                              ;   in Loop: Header=BB150_3 Depth=1
	ds_load_b64 v[42:43], v61 offset:28544
	ds_load_b64 v[44:45], v60
	s_wait_dscnt 0x0
	v_pk_mul_f32 v[98:99], v[44:45], v[42:43] op_sel:[1,1] op_sel_hi:[0,1]
	s_delay_alu instid0(VALU_DEP_1) | instskip(SKIP_1) | instid1(VALU_DEP_2)
	v_pk_fma_f32 v[100:101], v[44:45], v[42:43], v[98:99] op_sel_hi:[1,0,1]
	v_pk_fma_f32 v[42:43], v[44:45], v[42:43], v[98:99] neg_lo:[0,0,1] neg_hi:[0,0,1]
	v_mov_b32_e32 v43, v101
	s_delay_alu instid0(VALU_DEP_1)
	v_pk_add_f32 v[40:41], v[40:41], v[42:43] neg_lo:[0,1] neg_hi:[0,1]
.LBB150_157:                            ;   in Loop: Header=BB150_3 Depth=1
	s_or_b32 exec_lo, exec_lo, s11
	s_barrier_signal -1
	s_barrier_wait -1
	s_and_saveexec_b32 s11, s102
	s_cbranch_execz .LBB150_159
; %bb.158:                              ;   in Loop: Header=BB150_3 Depth=1
	ds_load_b64 v[42:43], v1 offset:28080
	s_wait_dscnt 0x0
	v_pk_mul_f32 v[44:45], v[40:41], v[42:43] op_sel:[1,1] op_sel_hi:[1,0]
	s_delay_alu instid0(VALU_DEP_1) | instskip(SKIP_1) | instid1(VALU_DEP_2)
	v_pk_fma_f32 v[98:99], v[40:41], v[42:43], v[44:45] op_sel_hi:[0,1,1]
	v_pk_fma_f32 v[40:41], v[40:41], v[42:43], v[44:45] neg_lo:[0,0,1] neg_hi:[0,0,1]
	v_mov_b32_e32 v41, v99
	s_delay_alu instid0(VALU_DEP_1)
	v_pk_add_f32 v[42:43], v[40:41], 0 neg_lo:[1,1] neg_hi:[1,1]
	ds_store_b64 v60, v[42:43]
.LBB150_159:                            ;   in Loop: Header=BB150_3 Depth=1
	s_or_b32 exec_lo, exec_lo, s11
	s_wait_dscnt 0x0
	s_barrier_signal -1
	s_barrier_wait -1
	s_and_saveexec_b32 s11, s103
	s_cbranch_execz .LBB150_161
; %bb.160:                              ;   in Loop: Header=BB150_3 Depth=1
	ds_load_b64 v[42:43], v61 offset:28032
	ds_load_b64 v[44:45], v60
	s_wait_dscnt 0x0
	v_pk_mul_f32 v[98:99], v[44:45], v[42:43] op_sel:[1,1] op_sel_hi:[0,1]
	s_delay_alu instid0(VALU_DEP_1) | instskip(SKIP_1) | instid1(VALU_DEP_2)
	v_pk_fma_f32 v[100:101], v[44:45], v[42:43], v[98:99] op_sel_hi:[1,0,1]
	v_pk_fma_f32 v[42:43], v[44:45], v[42:43], v[98:99] neg_lo:[0,0,1] neg_hi:[0,0,1]
	v_mov_b32_e32 v43, v101
	s_delay_alu instid0(VALU_DEP_1)
	v_pk_add_f32 v[40:41], v[40:41], v[42:43] neg_lo:[0,1] neg_hi:[0,1]
.LBB150_161:                            ;   in Loop: Header=BB150_3 Depth=1
	s_or_b32 exec_lo, exec_lo, s11
	s_barrier_signal -1
	s_barrier_wait -1
	s_and_saveexec_b32 s11, s104
	s_cbranch_execz .LBB150_163
; %bb.162:                              ;   in Loop: Header=BB150_3 Depth=1
	ds_load_b64 v[42:43], v1 offset:27560
	s_wait_dscnt 0x0
	v_pk_mul_f32 v[44:45], v[40:41], v[42:43] op_sel:[1,1] op_sel_hi:[1,0]
	s_delay_alu instid0(VALU_DEP_1) | instskip(SKIP_1) | instid1(VALU_DEP_2)
	v_pk_fma_f32 v[98:99], v[40:41], v[42:43], v[44:45] op_sel_hi:[0,1,1]
	v_pk_fma_f32 v[40:41], v[40:41], v[42:43], v[44:45] neg_lo:[0,0,1] neg_hi:[0,0,1]
	v_mov_b32_e32 v41, v99
	s_delay_alu instid0(VALU_DEP_1)
	v_pk_add_f32 v[42:43], v[40:41], 0 neg_lo:[1,1] neg_hi:[1,1]
	ds_store_b64 v60, v[42:43]
.LBB150_163:                            ;   in Loop: Header=BB150_3 Depth=1
	s_or_b32 exec_lo, exec_lo, s11
	s_wait_dscnt 0x0
	s_barrier_signal -1
	s_barrier_wait -1
	s_and_saveexec_b32 s11, vcc_hi
	s_cbranch_execz .LBB150_165
; %bb.164:                              ;   in Loop: Header=BB150_3 Depth=1
	ds_load_b64 v[42:43], v61 offset:27520
	ds_load_b64 v[44:45], v60
	s_wait_dscnt 0x0
	v_pk_mul_f32 v[98:99], v[44:45], v[42:43] op_sel:[1,1] op_sel_hi:[0,1]
	s_delay_alu instid0(VALU_DEP_1) | instskip(SKIP_1) | instid1(VALU_DEP_2)
	v_pk_fma_f32 v[100:101], v[44:45], v[42:43], v[98:99] op_sel_hi:[1,0,1]
	v_pk_fma_f32 v[42:43], v[44:45], v[42:43], v[98:99] neg_lo:[0,0,1] neg_hi:[0,0,1]
	v_mov_b32_e32 v43, v101
	s_delay_alu instid0(VALU_DEP_1)
	v_pk_add_f32 v[40:41], v[40:41], v[42:43] neg_lo:[0,1] neg_hi:[0,1]
.LBB150_165:                            ;   in Loop: Header=BB150_3 Depth=1
	s_or_b32 exec_lo, exec_lo, s11
	s_barrier_signal -1
	s_barrier_wait -1
	s_and_saveexec_b32 s11, s15
	s_cbranch_execz .LBB150_167
; %bb.166:                              ;   in Loop: Header=BB150_3 Depth=1
	ds_load_b64 v[42:43], v1 offset:27040
	s_wait_dscnt 0x0
	v_pk_mul_f32 v[44:45], v[40:41], v[42:43]
	v_pk_mul_f32 v[40:41], v[40:41], v[42:43] op_sel:[1,0] op_sel_hi:[0,1]
	s_delay_alu instid0(VALU_DEP_1) | instskip(NEXT) | instid1(VALU_DEP_3)
	v_dual_mov_b32 v42, v44 :: v_dual_mov_b32 v43, v40
	v_mov_b32_e32 v40, v45
	s_delay_alu instid0(VALU_DEP_1) | instskip(SKIP_1) | instid1(VALU_DEP_2)
	v_pk_add_f32 v[44:45], v[42:43], v[40:41]
	v_pk_add_f32 v[40:41], v[42:43], v[40:41] neg_lo:[0,1] neg_hi:[0,1]
	v_mov_b32_e32 v41, v45
	s_delay_alu instid0(VALU_DEP_1)
	v_pk_add_f32 v[42:43], v[40:41], 0 neg_lo:[1,1] neg_hi:[1,1]
	ds_store_b64 v60, v[42:43]
.LBB150_167:                            ;   in Loop: Header=BB150_3 Depth=1
	s_or_b32 exec_lo, exec_lo, s11
	s_wait_dscnt 0x0
	s_barrier_signal -1
	s_barrier_wait -1
	s_and_saveexec_b32 s11, s40
	s_cbranch_execz .LBB150_169
; %bb.168:                              ;   in Loop: Header=BB150_3 Depth=1
	ds_load_b64 v[42:43], v61 offset:27008
	ds_load_b64 v[44:45], v60
	s_wait_dscnt 0x0
	v_dual_mul_f32 v0, v45, v43 :: v_dual_mul_f32 v43, v44, v43
	s_delay_alu instid0(VALU_DEP_1) | instskip(NEXT) | instid1(VALU_DEP_1)
	v_dual_fma_f32 v0, v44, v42, -v0 :: v_dual_fmac_f32 v43, v45, v42
	v_dual_sub_f32 v40, v40, v0 :: v_dual_sub_f32 v41, v41, v43
.LBB150_169:                            ;   in Loop: Header=BB150_3 Depth=1
	s_or_b32 exec_lo, exec_lo, s11
	s_barrier_signal -1
	s_barrier_wait -1
	s_and_saveexec_b32 s11, s41
	s_cbranch_execz .LBB150_171
; %bb.170:                              ;   in Loop: Header=BB150_3 Depth=1
	ds_load_b64 v[42:43], v1 offset:26520
	s_wait_dscnt 0x0
	v_dual_mul_f32 v0, v41, v42 :: v_dual_mul_f32 v44, v41, v43
	s_delay_alu instid0(VALU_DEP_1) | instskip(NEXT) | instid1(VALU_DEP_2)
	v_pk_fma_f32 v[98:99], v[40:41], v[42:43], v[0:1] op_sel:[1,0,0] op_sel_hi:[0,1,0]
	v_pk_fma_f32 v[40:41], v[40:41], v[42:43], v[44:45] op_sel_hi:[1,1,0] neg_lo:[0,0,1] neg_hi:[0,0,1]
	s_delay_alu instid0(VALU_DEP_2) | instskip(NEXT) | instid1(VALU_DEP_1)
	v_mov_b32_e32 v41, v99
	v_pk_add_f32 v[42:43], v[40:41], 0 neg_lo:[1,1] neg_hi:[1,1]
	ds_store_b64 v60, v[42:43]
.LBB150_171:                            ;   in Loop: Header=BB150_3 Depth=1
	s_or_b32 exec_lo, exec_lo, s11
	s_wait_dscnt 0x0
	s_barrier_signal -1
	s_barrier_wait -1
	s_and_saveexec_b32 s11, s42
	s_cbranch_execz .LBB150_173
; %bb.172:                              ;   in Loop: Header=BB150_3 Depth=1
	ds_load_b64 v[42:43], v61 offset:26496
	ds_load_b64 v[44:45], v60
	s_wait_dscnt 0x0
	v_pk_mul_f32 v[98:99], v[44:45], v[42:43] op_sel:[1,1] op_sel_hi:[0,1]
	s_delay_alu instid0(VALU_DEP_1) | instskip(SKIP_1) | instid1(VALU_DEP_2)
	v_pk_fma_f32 v[100:101], v[44:45], v[42:43], v[98:99] op_sel_hi:[1,0,1]
	v_pk_fma_f32 v[42:43], v[44:45], v[42:43], v[98:99] neg_lo:[0,0,1] neg_hi:[0,0,1]
	v_mov_b32_e32 v43, v101
	s_delay_alu instid0(VALU_DEP_1)
	v_pk_add_f32 v[40:41], v[40:41], v[42:43] neg_lo:[0,1] neg_hi:[0,1]
.LBB150_173:                            ;   in Loop: Header=BB150_3 Depth=1
	s_or_b32 exec_lo, exec_lo, s11
	s_barrier_signal -1
	s_barrier_wait -1
	s_and_saveexec_b32 s11, s43
	s_cbranch_execz .LBB150_175
; %bb.174:                              ;   in Loop: Header=BB150_3 Depth=1
	ds_load_b64 v[42:43], v1 offset:26000
	s_wait_dscnt 0x0
	v_pk_mul_f32 v[44:45], v[40:41], v[42:43] op_sel:[1,1] op_sel_hi:[1,0]
	s_delay_alu instid0(VALU_DEP_1) | instskip(SKIP_1) | instid1(VALU_DEP_2)
	v_pk_fma_f32 v[98:99], v[40:41], v[42:43], v[44:45] op_sel_hi:[0,1,1]
	v_pk_fma_f32 v[40:41], v[40:41], v[42:43], v[44:45] neg_lo:[0,0,1] neg_hi:[0,0,1]
	v_mov_b32_e32 v41, v99
	s_delay_alu instid0(VALU_DEP_1)
	v_pk_add_f32 v[42:43], v[40:41], 0 neg_lo:[1,1] neg_hi:[1,1]
	ds_store_b64 v60, v[42:43]
.LBB150_175:                            ;   in Loop: Header=BB150_3 Depth=1
	s_or_b32 exec_lo, exec_lo, s11
	s_wait_dscnt 0x0
	s_barrier_signal -1
	s_barrier_wait -1
	s_and_saveexec_b32 s11, s44
	s_cbranch_execz .LBB150_177
; %bb.176:                              ;   in Loop: Header=BB150_3 Depth=1
	ds_load_b64 v[42:43], v61 offset:25984
	ds_load_b64 v[44:45], v60
	s_wait_dscnt 0x0
	v_pk_mul_f32 v[98:99], v[44:45], v[42:43] op_sel:[1,1] op_sel_hi:[0,1]
	s_delay_alu instid0(VALU_DEP_1) | instskip(SKIP_1) | instid1(VALU_DEP_2)
	v_pk_fma_f32 v[100:101], v[44:45], v[42:43], v[98:99] op_sel_hi:[1,0,1]
	v_pk_fma_f32 v[42:43], v[44:45], v[42:43], v[98:99] neg_lo:[0,0,1] neg_hi:[0,0,1]
	v_mov_b32_e32 v43, v101
	s_delay_alu instid0(VALU_DEP_1)
	v_pk_add_f32 v[40:41], v[40:41], v[42:43] neg_lo:[0,1] neg_hi:[0,1]
.LBB150_177:                            ;   in Loop: Header=BB150_3 Depth=1
	s_or_b32 exec_lo, exec_lo, s11
	s_barrier_signal -1
	s_barrier_wait -1
	s_and_saveexec_b32 s11, s45
	s_cbranch_execz .LBB150_179
; %bb.178:                              ;   in Loop: Header=BB150_3 Depth=1
	ds_load_b64 v[42:43], v1 offset:25480
	s_wait_dscnt 0x0
	v_pk_mul_f32 v[44:45], v[40:41], v[42:43] op_sel:[1,1] op_sel_hi:[1,0]
	s_delay_alu instid0(VALU_DEP_1) | instskip(SKIP_1) | instid1(VALU_DEP_2)
	v_pk_fma_f32 v[98:99], v[40:41], v[42:43], v[44:45] op_sel_hi:[0,1,1]
	v_pk_fma_f32 v[40:41], v[40:41], v[42:43], v[44:45] neg_lo:[0,0,1] neg_hi:[0,0,1]
	v_mov_b32_e32 v41, v99
	s_delay_alu instid0(VALU_DEP_1)
	v_pk_add_f32 v[42:43], v[40:41], 0 neg_lo:[1,1] neg_hi:[1,1]
	ds_store_b64 v60, v[42:43]
.LBB150_179:                            ;   in Loop: Header=BB150_3 Depth=1
	;; [unrolled: 35-line block ×3, first 2 shown]
	s_or_b32 exec_lo, exec_lo, s11
	s_wait_dscnt 0x0
	s_barrier_signal -1
	s_barrier_wait -1
	s_barrier_signal -1
	s_barrier_wait -1
	s_and_saveexec_b32 s11, s4
; %bb.184:                              ;   in Loop: Header=BB150_3 Depth=1
	ds_store_b64 v63, v[40:41] offset:32640
; %bb.185:                              ;   in Loop: Header=BB150_3 Depth=1
	s_or_b32 exec_lo, exec_lo, s11
	s_wait_dscnt 0x0
	s_barrier_signal -1
	s_barrier_wait -1
	s_barrier_signal -1
	s_barrier_wait -1
	s_and_saveexec_b32 s11, s47
	s_cbranch_execz .LBB150_187
; %bb.186:                              ;   in Loop: Header=BB150_3 Depth=1
	ds_load_b64 v[40:41], v75 offset:29056
	s_wait_dscnt 0x0
	ds_store_b64 v76, v[40:41] offset:25024
	ds_load_b64 v[40:41], v75 offset:29064
	s_wait_dscnt 0x0
	ds_store_b64 v76, v[40:41] offset:25536
	ds_load_b64 v[40:41], v75 offset:29072
	s_wait_dscnt 0x0
	ds_store_b64 v76, v[40:41] offset:26048
	ds_load_b64 v[40:41], v75 offset:29080
	s_wait_dscnt 0x0
	ds_store_b64 v76, v[40:41] offset:26560
	ds_load_b64 v[40:41], v75 offset:29088
	s_wait_dscnt 0x0
	ds_store_b64 v76, v[40:41] offset:27072
	ds_load_b64 v[40:41], v75 offset:29096
	s_wait_dscnt 0x0
	ds_store_b64 v76, v[40:41] offset:27584
	ds_load_b64 v[40:41], v75 offset:29104
	s_wait_dscnt 0x0
	ds_store_b64 v76, v[40:41] offset:28096
	ds_load_b64 v[40:41], v75 offset:29112
	s_wait_dscnt 0x0
	ds_store_b64 v76, v[40:41] offset:28608
.LBB150_187:                            ;   in Loop: Header=BB150_3 Depth=1
	s_or_b32 exec_lo, exec_lo, s11
	s_wait_dscnt 0x0
	s_barrier_signal -1
	s_barrier_wait -1
	s_and_saveexec_b32 s11, s14
	s_cbranch_execz .LBB150_189
; %bb.188:                              ;   in Loop: Header=BB150_3 Depth=1
	v_add_nc_u32_e64 v0, 0x1b0, 0
	ds_load_b64 v[44:45], v1 offset:28600
	ds_load_2addr_stride64_b64 v[40:43], v0 offset0:54 offset1:55
	s_wait_dscnt 0x0
	v_dual_mul_f32 v97, v45, v41 :: v_dual_mul_f32 v0, v44, v41
	s_delay_alu instid0(VALU_DEP_1) | instskip(NEXT) | instid1(VALU_DEP_1)
	v_xor_b32_e32 v98, 0x80000000, v97
	v_dual_fmac_f32 v0, v45, v40 :: v_dual_fmac_f32 v98, v44, v40
	s_delay_alu instid0(VALU_DEP_1) | instskip(SKIP_1) | instid1(VALU_DEP_2)
	v_pk_mul_f32 v[40:41], v[0:1], v[42:43] op_sel:[0,1] op_sel_hi:[0,0]
	v_add_nc_u32_e64 v0, 0x6800, 0
	v_pk_fma_f32 v[44:45], v[98:99], v[42:43], v[40:41] op_sel_hi:[0,1,1]
	v_pk_fma_f32 v[40:41], v[98:99], v[42:43], v[40:41] neg_lo:[0,0,1] neg_hi:[0,0,1]
	s_delay_alu instid0(VALU_DEP_2)
	v_mov_b32_e32 v41, v45
	ds_store_2addr_b64 v0, v[40:41], v[40:41] offset0:183 offset1:246
.LBB150_189:                            ;   in Loop: Header=BB150_3 Depth=1
	s_or_b32 exec_lo, exec_lo, s11
	v_dual_mov_b32 v40, 0 :: v_dual_mov_b32 v41, 0
	s_wait_dscnt 0x0
	s_barrier_signal -1
	s_barrier_wait -1
	global_wb scope:SCOPE_DEV
	s_wait_storecnt 0x0
	global_inv scope:SCOPE_DEV
	s_and_saveexec_b32 s11, s1
	s_cbranch_execz .LBB150_193
; %bb.190:                              ;   in Loop: Header=BB150_3 Depth=1
	ds_load_b64 v[40:41], v48 offset:28064
	ds_load_b64 v[42:43], v49 offset:28592
	s_wait_dscnt 0x0
	v_pk_mul_f32 v[44:45], v[42:43], v[40:41] op_sel:[1,1] op_sel_hi:[0,1]
	s_delay_alu instid0(VALU_DEP_1) | instskip(SKIP_1) | instid1(VALU_DEP_2)
	v_pk_fma_f32 v[98:99], v[42:43], v[40:41], v[44:45] op_sel_hi:[1,0,1]
	v_pk_fma_f32 v[40:41], v[42:43], v[40:41], v[44:45] neg_lo:[0,0,1] neg_hi:[0,0,1]
	v_mov_b32_e32 v41, v99
	s_delay_alu instid0(VALU_DEP_1)
	v_pk_add_f32 v[40:41], v[40:41], 0 op_sel_hi:[1,0]
	s_and_saveexec_b32 s12, s17
	s_cbranch_execz .LBB150_192
; %bb.191:                              ;   in Loop: Header=BB150_3 Depth=1
	ds_load_b64 v[42:43], v76 offset:28576
	ds_load_b64 v[44:45], v1 offset:28600
	s_wait_dscnt 0x0
	v_pk_mul_f32 v[98:99], v[44:45], v[42:43] op_sel:[1,1] op_sel_hi:[0,1]
	s_delay_alu instid0(VALU_DEP_1) | instskip(SKIP_1) | instid1(VALU_DEP_2)
	v_pk_fma_f32 v[100:101], v[44:45], v[42:43], v[98:99] op_sel_hi:[1,0,1]
	v_pk_fma_f32 v[42:43], v[44:45], v[42:43], v[98:99] neg_lo:[0,0,1] neg_hi:[0,0,1]
	v_mov_b32_e32 v43, v101
	s_delay_alu instid0(VALU_DEP_1)
	v_pk_add_f32 v[40:41], v[40:41], v[42:43]
.LBB150_192:                            ;   in Loop: Header=BB150_3 Depth=1
	s_or_b32 exec_lo, exec_lo, s12
.LBB150_193:                            ;   in Loop: Header=BB150_3 Depth=1
	s_delay_alu instid0(SALU_CYCLE_1)
	s_or_b32 exec_lo, exec_lo, s11
	s_and_saveexec_b32 s11, s90
	s_cbranch_execz .LBB150_195
; %bb.194:                              ;   in Loop: Header=BB150_3 Depth=1
	ds_load_b64 v[42:43], v1 offset:27560
	s_wait_dscnt 0x0
	v_pk_mul_f32 v[44:45], v[40:41], v[42:43] op_sel:[1,1] op_sel_hi:[1,0]
	s_delay_alu instid0(VALU_DEP_1) | instskip(SKIP_1) | instid1(VALU_DEP_2)
	v_pk_fma_f32 v[98:99], v[40:41], v[42:43], v[44:45] op_sel_hi:[0,1,1]
	v_pk_fma_f32 v[40:41], v[40:41], v[42:43], v[44:45] neg_lo:[0,0,1] neg_hi:[0,0,1]
	v_mov_b32_e32 v41, v99
	s_delay_alu instid0(VALU_DEP_1)
	v_pk_add_f32 v[42:43], v[40:41], 0 neg_lo:[1,1] neg_hi:[1,1]
	ds_store_b64 v3, v[42:43]
.LBB150_195:                            ;   in Loop: Header=BB150_3 Depth=1
	s_or_b32 exec_lo, exec_lo, s11
	s_wait_loadcnt_dscnt 0x0
	s_barrier_signal -1
	s_barrier_wait -1
	s_and_saveexec_b32 s11, s91
	s_cbranch_execz .LBB150_197
; %bb.196:                              ;   in Loop: Header=BB150_3 Depth=1
	ds_load_b64 v[42:43], v1 offset:27552
	ds_load_b64 v[44:45], v3
	s_wait_dscnt 0x0
	v_pk_mul_f32 v[98:99], v[44:45], v[42:43] op_sel:[1,1] op_sel_hi:[0,1]
	s_delay_alu instid0(VALU_DEP_1) | instskip(SKIP_1) | instid1(VALU_DEP_2)
	v_pk_fma_f32 v[100:101], v[44:45], v[42:43], v[98:99] op_sel_hi:[1,0,1]
	v_pk_fma_f32 v[42:43], v[44:45], v[42:43], v[98:99] neg_lo:[0,0,1] neg_hi:[0,0,1]
	v_mov_b32_e32 v43, v101
	s_delay_alu instid0(VALU_DEP_1)
	v_pk_add_f32 v[40:41], v[40:41], v[42:43] neg_lo:[0,1] neg_hi:[0,1]
.LBB150_197:                            ;   in Loop: Header=BB150_3 Depth=1
	s_or_b32 exec_lo, exec_lo, s11
	s_barrier_signal -1
	s_barrier_wait -1
	s_and_saveexec_b32 s11, s91
	s_cbranch_execz .LBB150_199
; %bb.198:                              ;   in Loop: Header=BB150_3 Depth=1
	ds_load_b64 v[42:43], v1 offset:27040
	s_wait_dscnt 0x0
	v_pk_mul_f32 v[44:45], v[40:41], v[42:43] op_sel:[1,1] op_sel_hi:[1,0]
	s_delay_alu instid0(VALU_DEP_1) | instskip(SKIP_1) | instid1(VALU_DEP_2)
	v_pk_fma_f32 v[98:99], v[40:41], v[42:43], v[44:45] op_sel_hi:[0,1,1]
	v_pk_fma_f32 v[40:41], v[40:41], v[42:43], v[44:45] neg_lo:[0,0,1] neg_hi:[0,0,1]
	v_mov_b32_e32 v41, v99
	s_delay_alu instid0(VALU_DEP_1)
	v_pk_add_f32 v[42:43], v[40:41], 0 neg_lo:[1,1] neg_hi:[1,1]
	ds_store_b64 v3, v[42:43]
.LBB150_199:                            ;   in Loop: Header=BB150_3 Depth=1
	s_or_b32 exec_lo, exec_lo, s11
	s_wait_dscnt 0x0
	s_barrier_signal -1
	s_barrier_wait -1
	s_barrier_signal -1
	s_barrier_wait -1
	s_and_saveexec_b32 s11, s1
; %bb.200:                              ;   in Loop: Header=BB150_3 Depth=1
	ds_store_b64 v51, v[40:41] offset:28576
; %bb.201:                              ;   in Loop: Header=BB150_3 Depth=1
	s_or_b32 exec_lo, exec_lo, s11
	s_wait_dscnt 0x0
	s_barrier_signal -1
	s_barrier_wait -1
	s_barrier_signal -1
	s_barrier_wait -1
	s_and_saveexec_b32 s11, s92
	s_cbranch_execz .LBB150_203
; %bb.202:                              ;   in Loop: Header=BB150_3 Depth=1
	ds_load_b64 v[40:41], v77 offset:28064
	s_wait_dscnt 0x0
	ds_store_b64 v76, v[40:41] offset:27056
	ds_load_b64 v[40:41], v77 offset:28072
	s_wait_dscnt 0x0
	ds_store_b64 v76, v[40:41] offset:27568
.LBB150_203:                            ;   in Loop: Header=BB150_3 Depth=1
	s_or_b32 exec_lo, exec_lo, s11
	s_wait_dscnt 0x0
	s_barrier_signal -1
	s_barrier_wait -1
	s_and_saveexec_b32 s11, s14
	s_cbranch_execz .LBB150_205
; %bb.204:                              ;   in Loop: Header=BB150_3 Depth=1
	v_add_nc_u32_e64 v0, 0x1a0, 0
	ds_load_b64 v[44:45], v1 offset:27560
	ds_load_2addr_stride64_b64 v[40:43], v0 offset0:52 offset1:53
	s_wait_dscnt 0x0
	v_dual_mul_f32 v97, v45, v41 :: v_dual_mul_f32 v0, v44, v41
	s_delay_alu instid0(VALU_DEP_1) | instskip(NEXT) | instid1(VALU_DEP_1)
	v_xor_b32_e32 v98, 0x80000000, v97
	v_dual_fmac_f32 v0, v45, v40 :: v_dual_fmac_f32 v98, v44, v40
	s_delay_alu instid0(VALU_DEP_1) | instskip(SKIP_1) | instid1(VALU_DEP_2)
	v_pk_mul_f32 v[40:41], v[0:1], v[42:43] op_sel:[0,1] op_sel_hi:[0,0]
	v_add_nc_u32_e64 v0, 0x6800, 0
	v_pk_fma_f32 v[44:45], v[98:99], v[42:43], v[40:41] op_sel_hi:[0,1,1]
	v_pk_fma_f32 v[40:41], v[98:99], v[42:43], v[40:41] neg_lo:[0,0,1] neg_hi:[0,0,1]
	s_delay_alu instid0(VALU_DEP_2)
	v_mov_b32_e32 v41, v45
	ds_store_2addr_b64 v0, v[40:41], v[40:41] offset0:53 offset1:116
.LBB150_205:                            ;   in Loop: Header=BB150_3 Depth=1
	s_or_b32 exec_lo, exec_lo, s11
	v_mov_b64_e32 v[40:41], 0
	s_wait_dscnt 0x0
	s_barrier_signal -1
	s_barrier_wait -1
	global_wb scope:SCOPE_DEV
	s_wait_storecnt 0x0
	global_inv scope:SCOPE_DEV
	s_and_saveexec_b32 s11, s3
	s_cbranch_execz .LBB150_211
; %bb.206:                              ;   in Loop: Header=BB150_3 Depth=1
	ds_load_b64 v[40:41], v54 offset:27008
	ds_load_b64 v[42:43], v55 offset:28576
	s_wait_dscnt 0x0
	v_dual_mul_f32 v0, v43, v41 :: v_dual_mul_f32 v41, v42, v41
	s_delay_alu instid0(VALU_DEP_1) | instskip(NEXT) | instid1(VALU_DEP_1)
	v_dual_fma_f32 v0, v42, v40, -v0 :: v_dual_fmac_f32 v41, v43, v40
	v_dual_add_f32 v40, 0, v0 :: v_dual_add_f32 v41, 0, v41
	s_and_saveexec_b32 s12, s18
	s_cbranch_execnz .LBB150_1132
; %bb.207:                              ;   in Loop: Header=BB150_3 Depth=1
	s_or_b32 exec_lo, exec_lo, s12
	s_and_saveexec_b32 s12, s19
	s_cbranch_execnz .LBB150_1133
.LBB150_208:                            ;   in Loop: Header=BB150_3 Depth=1
	s_or_b32 exec_lo, exec_lo, s12
	s_and_saveexec_b32 s12, s1
	s_cbranch_execz .LBB150_210
.LBB150_209:                            ;   in Loop: Header=BB150_3 Depth=1
	ds_load_b64 v[42:43], v79 offset:28544
	ds_load_b64 v[44:45], v1 offset:28600
	s_wait_dscnt 0x0
	v_dual_mul_f32 v0, v45, v43 :: v_dual_mul_f32 v43, v44, v43
	s_delay_alu instid0(VALU_DEP_1) | instskip(NEXT) | instid1(VALU_DEP_1)
	v_dual_fma_f32 v0, v44, v42, -v0 :: v_dual_fmac_f32 v43, v45, v42
	v_dual_add_f32 v40, v40, v0 :: v_dual_add_f32 v41, v41, v43
.LBB150_210:                            ;   in Loop: Header=BB150_3 Depth=1
	s_or_b32 exec_lo, exec_lo, s12
.LBB150_211:                            ;   in Loop: Header=BB150_3 Depth=1
	s_delay_alu instid0(SALU_CYCLE_1)
	s_or_b32 exec_lo, exec_lo, s11
	s_and_saveexec_b32 s11, s93
	s_cbranch_execz .LBB150_213
; %bb.212:                              ;   in Loop: Header=BB150_3 Depth=1
	ds_load_b64 v[42:43], v1 offset:26520
	s_wait_dscnt 0x0
	v_dual_mul_f32 v0, v41, v42 :: v_dual_mul_f32 v44, v41, v43
	s_delay_alu instid0(VALU_DEP_1) | instskip(NEXT) | instid1(VALU_DEP_2)
	v_pk_fma_f32 v[98:99], v[40:41], v[42:43], v[0:1] op_sel:[1,0,0] op_sel_hi:[0,1,0]
	v_pk_fma_f32 v[40:41], v[40:41], v[42:43], v[44:45] op_sel_hi:[1,1,0] neg_lo:[0,0,1] neg_hi:[0,0,1]
	s_delay_alu instid0(VALU_DEP_2) | instskip(NEXT) | instid1(VALU_DEP_1)
	v_mov_b32_e32 v41, v99
	v_pk_add_f32 v[42:43], v[40:41], 0 neg_lo:[1,1] neg_hi:[1,1]
	ds_store_b64 v53, v[42:43]
.LBB150_213:                            ;   in Loop: Header=BB150_3 Depth=1
	s_or_b32 exec_lo, exec_lo, s11
	s_wait_loadcnt_dscnt 0x0
	s_barrier_signal -1
	s_barrier_wait -1
	s_and_saveexec_b32 s11, s94
	s_cbranch_execz .LBB150_215
; %bb.214:                              ;   in Loop: Header=BB150_3 Depth=1
	ds_load_b64 v[42:43], v54 offset:26496
	ds_load_b64 v[44:45], v53
	s_wait_dscnt 0x0
	v_pk_mul_f32 v[98:99], v[44:45], v[42:43] op_sel:[1,1] op_sel_hi:[0,1]
	s_delay_alu instid0(VALU_DEP_1) | instskip(SKIP_1) | instid1(VALU_DEP_2)
	v_pk_fma_f32 v[100:101], v[44:45], v[42:43], v[98:99] op_sel_hi:[1,0,1]
	v_pk_fma_f32 v[42:43], v[44:45], v[42:43], v[98:99] neg_lo:[0,0,1] neg_hi:[0,0,1]
	v_mov_b32_e32 v43, v101
	s_delay_alu instid0(VALU_DEP_1)
	v_pk_add_f32 v[40:41], v[40:41], v[42:43] neg_lo:[0,1] neg_hi:[0,1]
.LBB150_215:                            ;   in Loop: Header=BB150_3 Depth=1
	s_or_b32 exec_lo, exec_lo, s11
	s_barrier_signal -1
	s_barrier_wait -1
	s_and_saveexec_b32 s11, s95
	s_cbranch_execz .LBB150_217
; %bb.216:                              ;   in Loop: Header=BB150_3 Depth=1
	ds_load_b64 v[42:43], v1 offset:26000
	s_wait_dscnt 0x0
	v_pk_mul_f32 v[44:45], v[40:41], v[42:43] op_sel:[1,1] op_sel_hi:[1,0]
	s_delay_alu instid0(VALU_DEP_1) | instskip(SKIP_1) | instid1(VALU_DEP_2)
	v_pk_fma_f32 v[98:99], v[40:41], v[42:43], v[44:45] op_sel_hi:[0,1,1]
	v_pk_fma_f32 v[40:41], v[40:41], v[42:43], v[44:45] neg_lo:[0,0,1] neg_hi:[0,0,1]
	v_mov_b32_e32 v41, v99
	s_delay_alu instid0(VALU_DEP_1)
	v_pk_add_f32 v[42:43], v[40:41], 0 neg_lo:[1,1] neg_hi:[1,1]
	ds_store_b64 v53, v[42:43]
.LBB150_217:                            ;   in Loop: Header=BB150_3 Depth=1
	s_or_b32 exec_lo, exec_lo, s11
	s_wait_dscnt 0x0
	s_barrier_signal -1
	s_barrier_wait -1
	s_and_saveexec_b32 s11, s96
	s_cbranch_execz .LBB150_219
; %bb.218:                              ;   in Loop: Header=BB150_3 Depth=1
	ds_load_b64 v[42:43], v54 offset:25984
	ds_load_b64 v[44:45], v53
	s_wait_dscnt 0x0
	v_pk_mul_f32 v[98:99], v[44:45], v[42:43] op_sel:[1,1] op_sel_hi:[0,1]
	s_delay_alu instid0(VALU_DEP_1) | instskip(SKIP_1) | instid1(VALU_DEP_2)
	v_pk_fma_f32 v[100:101], v[44:45], v[42:43], v[98:99] op_sel_hi:[1,0,1]
	v_pk_fma_f32 v[42:43], v[44:45], v[42:43], v[98:99] neg_lo:[0,0,1] neg_hi:[0,0,1]
	v_mov_b32_e32 v43, v101
	s_delay_alu instid0(VALU_DEP_1)
	v_pk_add_f32 v[40:41], v[40:41], v[42:43] neg_lo:[0,1] neg_hi:[0,1]
.LBB150_219:                            ;   in Loop: Header=BB150_3 Depth=1
	s_or_b32 exec_lo, exec_lo, s11
	s_barrier_signal -1
	s_barrier_wait -1
	s_and_saveexec_b32 s11, s97
	s_cbranch_execz .LBB150_221
; %bb.220:                              ;   in Loop: Header=BB150_3 Depth=1
	ds_load_b64 v[42:43], v1 offset:25480
	s_wait_dscnt 0x0
	v_pk_mul_f32 v[44:45], v[40:41], v[42:43] op_sel:[1,1] op_sel_hi:[1,0]
	s_delay_alu instid0(VALU_DEP_1) | instskip(SKIP_1) | instid1(VALU_DEP_2)
	v_pk_fma_f32 v[98:99], v[40:41], v[42:43], v[44:45] op_sel_hi:[0,1,1]
	v_pk_fma_f32 v[40:41], v[40:41], v[42:43], v[44:45] neg_lo:[0,0,1] neg_hi:[0,0,1]
	v_mov_b32_e32 v41, v99
	s_delay_alu instid0(VALU_DEP_1)
	v_pk_add_f32 v[42:43], v[40:41], 0 neg_lo:[1,1] neg_hi:[1,1]
	ds_store_b64 v53, v[42:43]
.LBB150_221:                            ;   in Loop: Header=BB150_3 Depth=1
	s_or_b32 exec_lo, exec_lo, s11
	s_wait_dscnt 0x0
	;; [unrolled: 35-line block ×3, first 2 shown]
	s_barrier_signal -1
	s_barrier_wait -1
	s_barrier_signal -1
	s_barrier_wait -1
	s_and_saveexec_b32 s11, s3
; %bb.226:                              ;   in Loop: Header=BB150_3 Depth=1
	ds_store_b64 v58, v[40:41] offset:28544
; %bb.227:                              ;   in Loop: Header=BB150_3 Depth=1
	s_or_b32 exec_lo, exec_lo, s11
	s_wait_dscnt 0x0
	s_barrier_signal -1
	s_barrier_wait -1
	s_barrier_signal -1
	s_barrier_wait -1
	s_and_saveexec_b32 s11, s99
	s_cbranch_execz .LBB150_229
; %bb.228:                              ;   in Loop: Header=BB150_3 Depth=1
	ds_load_b64 v[40:41], v80 offset:27008
	s_wait_dscnt 0x0
	ds_store_b64 v83, v[40:41] offset:24992
	ds_load_b64 v[40:41], v80 offset:27016
	s_wait_dscnt 0x0
	ds_store_b64 v83, v[40:41] offset:25504
	;; [unrolled: 3-line block ×4, first 2 shown]
.LBB150_229:                            ;   in Loop: Header=BB150_3 Depth=1
	s_or_b32 exec_lo, exec_lo, s11
	s_wait_dscnt 0x0
	s_barrier_signal -1
	s_barrier_wait -1
	s_and_saveexec_b32 s11, s14
	s_cbranch_execz .LBB150_231
; %bb.230:                              ;   in Loop: Header=BB150_3 Depth=1
	v_add_nc_u32_e64 v0, 0x190, 0
	ds_load_b64 v[44:45], v1 offset:26520
	ds_load_2addr_stride64_b64 v[40:43], v0 offset0:50 offset1:51
	s_wait_dscnt 0x0
	v_dual_mul_f32 v97, v45, v41 :: v_dual_mul_f32 v0, v44, v41
	s_delay_alu instid0(VALU_DEP_1) | instskip(NEXT) | instid1(VALU_DEP_1)
	v_xor_b32_e32 v98, 0x80000000, v97
	v_dual_fmac_f32 v0, v45, v40 :: v_dual_fmac_f32 v98, v44, v40
	s_delay_alu instid0(VALU_DEP_1) | instskip(SKIP_1) | instid1(VALU_DEP_2)
	v_pk_mul_f32 v[40:41], v[0:1], v[42:43] op_sel:[0,1] op_sel_hi:[0,0]
	v_add_nc_u32_e64 v0, 0x6000, 0
	v_pk_fma_f32 v[44:45], v[98:99], v[42:43], v[40:41] op_sel_hi:[0,1,1]
	v_pk_fma_f32 v[40:41], v[98:99], v[42:43], v[40:41] neg_lo:[0,0,1] neg_hi:[0,0,1]
	s_delay_alu instid0(VALU_DEP_2)
	v_mov_b32_e32 v41, v45
	ds_store_2addr_b64 v0, v[40:41], v[40:41] offset0:179 offset1:242
.LBB150_231:                            ;   in Loop: Header=BB150_3 Depth=1
	s_or_b32 exec_lo, exec_lo, s11
	v_dual_mov_b32 v40, 0 :: v_dual_mov_b32 v41, 0
	s_wait_dscnt 0x0
	s_barrier_signal -1
	s_barrier_wait -1
	global_wb scope:SCOPE_DEV
	s_wait_storecnt 0x0
	global_inv scope:SCOPE_DEV
	s_and_saveexec_b32 s11, s1
	s_cbranch_execz .LBB150_235
; %bb.232:                              ;   in Loop: Header=BB150_3 Depth=1
	ds_load_b64 v[40:41], v48 offset:25984
	ds_load_b64 v[42:43], v49 offset:26512
	s_wait_dscnt 0x0
	v_pk_mul_f32 v[44:45], v[42:43], v[40:41] op_sel:[1,1] op_sel_hi:[0,1]
	s_delay_alu instid0(VALU_DEP_1) | instskip(SKIP_1) | instid1(VALU_DEP_2)
	v_pk_fma_f32 v[98:99], v[42:43], v[40:41], v[44:45] op_sel_hi:[1,0,1]
	v_pk_fma_f32 v[40:41], v[42:43], v[40:41], v[44:45] neg_lo:[0,0,1] neg_hi:[0,0,1]
	v_mov_b32_e32 v41, v99
	s_delay_alu instid0(VALU_DEP_1)
	v_pk_add_f32 v[40:41], v[40:41], 0 op_sel_hi:[1,0]
	s_and_saveexec_b32 s12, s17
	s_cbranch_execz .LBB150_234
; %bb.233:                              ;   in Loop: Header=BB150_3 Depth=1
	ds_load_b64 v[42:43], v83 offset:26496
	ds_load_b64 v[44:45], v1 offset:26520
	s_wait_dscnt 0x0
	v_pk_mul_f32 v[98:99], v[44:45], v[42:43] op_sel:[1,1] op_sel_hi:[0,1]
	s_delay_alu instid0(VALU_DEP_1) | instskip(SKIP_1) | instid1(VALU_DEP_2)
	v_pk_fma_f32 v[100:101], v[44:45], v[42:43], v[98:99] op_sel_hi:[1,0,1]
	v_pk_fma_f32 v[42:43], v[44:45], v[42:43], v[98:99] neg_lo:[0,0,1] neg_hi:[0,0,1]
	v_mov_b32_e32 v43, v101
	s_delay_alu instid0(VALU_DEP_1)
	v_pk_add_f32 v[40:41], v[40:41], v[42:43]
.LBB150_234:                            ;   in Loop: Header=BB150_3 Depth=1
	s_or_b32 exec_lo, exec_lo, s12
.LBB150_235:                            ;   in Loop: Header=BB150_3 Depth=1
	s_delay_alu instid0(SALU_CYCLE_1)
	s_or_b32 exec_lo, exec_lo, s11
	s_and_saveexec_b32 s11, s90
	s_cbranch_execz .LBB150_237
; %bb.236:                              ;   in Loop: Header=BB150_3 Depth=1
	ds_load_b64 v[42:43], v1 offset:25480
	s_wait_dscnt 0x0
	v_pk_mul_f32 v[44:45], v[40:41], v[42:43] op_sel:[1,1] op_sel_hi:[1,0]
	s_delay_alu instid0(VALU_DEP_1) | instskip(SKIP_1) | instid1(VALU_DEP_2)
	v_pk_fma_f32 v[98:99], v[40:41], v[42:43], v[44:45] op_sel_hi:[0,1,1]
	v_pk_fma_f32 v[40:41], v[40:41], v[42:43], v[44:45] neg_lo:[0,0,1] neg_hi:[0,0,1]
	v_mov_b32_e32 v41, v99
	s_delay_alu instid0(VALU_DEP_1)
	v_pk_add_f32 v[42:43], v[40:41], 0 neg_lo:[1,1] neg_hi:[1,1]
	ds_store_b64 v3, v[42:43]
.LBB150_237:                            ;   in Loop: Header=BB150_3 Depth=1
	s_or_b32 exec_lo, exec_lo, s11
	s_wait_loadcnt_dscnt 0x0
	s_barrier_signal -1
	s_barrier_wait -1
	s_and_saveexec_b32 s11, s91
	s_cbranch_execz .LBB150_239
; %bb.238:                              ;   in Loop: Header=BB150_3 Depth=1
	ds_load_b64 v[42:43], v1 offset:25472
	ds_load_b64 v[44:45], v3
	s_wait_dscnt 0x0
	v_pk_mul_f32 v[98:99], v[44:45], v[42:43] op_sel:[1,1] op_sel_hi:[0,1]
	s_delay_alu instid0(VALU_DEP_1) | instskip(SKIP_1) | instid1(VALU_DEP_2)
	v_pk_fma_f32 v[100:101], v[44:45], v[42:43], v[98:99] op_sel_hi:[1,0,1]
	v_pk_fma_f32 v[42:43], v[44:45], v[42:43], v[98:99] neg_lo:[0,0,1] neg_hi:[0,0,1]
	v_mov_b32_e32 v43, v101
	s_delay_alu instid0(VALU_DEP_1)
	v_pk_add_f32 v[40:41], v[40:41], v[42:43] neg_lo:[0,1] neg_hi:[0,1]
.LBB150_239:                            ;   in Loop: Header=BB150_3 Depth=1
	s_or_b32 exec_lo, exec_lo, s11
	s_barrier_signal -1
	s_barrier_wait -1
	s_and_saveexec_b32 s11, s91
	s_cbranch_execz .LBB150_241
; %bb.240:                              ;   in Loop: Header=BB150_3 Depth=1
	ds_load_b64 v[42:43], v1 offset:24960
	s_wait_dscnt 0x0
	v_pk_mul_f32 v[44:45], v[40:41], v[42:43] op_sel:[1,1] op_sel_hi:[1,0]
	s_delay_alu instid0(VALU_DEP_1) | instskip(SKIP_1) | instid1(VALU_DEP_2)
	v_pk_fma_f32 v[98:99], v[40:41], v[42:43], v[44:45] op_sel_hi:[0,1,1]
	v_pk_fma_f32 v[40:41], v[40:41], v[42:43], v[44:45] neg_lo:[0,0,1] neg_hi:[0,0,1]
	v_mov_b32_e32 v41, v99
	s_delay_alu instid0(VALU_DEP_1)
	v_pk_add_f32 v[42:43], v[40:41], 0 neg_lo:[1,1] neg_hi:[1,1]
	ds_store_b64 v3, v[42:43]
.LBB150_241:                            ;   in Loop: Header=BB150_3 Depth=1
	s_or_b32 exec_lo, exec_lo, s11
	s_wait_dscnt 0x0
	s_barrier_signal -1
	s_barrier_wait -1
	s_barrier_signal -1
	s_barrier_wait -1
	s_and_saveexec_b32 s11, s1
; %bb.242:                              ;   in Loop: Header=BB150_3 Depth=1
	ds_store_b64 v51, v[40:41] offset:26496
; %bb.243:                              ;   in Loop: Header=BB150_3 Depth=1
	s_or_b32 exec_lo, exec_lo, s11
	s_wait_dscnt 0x0
	s_barrier_signal -1
	s_barrier_wait -1
	s_barrier_signal -1
	s_barrier_wait -1
	s_and_saveexec_b32 s11, s92
	s_cbranch_execz .LBB150_245
; %bb.244:                              ;   in Loop: Header=BB150_3 Depth=1
	ds_load_b64 v[40:41], v85 offset:25984
	s_wait_dscnt 0x0
	ds_store_b64 v83, v[40:41] offset:24976
	ds_load_b64 v[40:41], v85 offset:25992
	s_wait_dscnt 0x0
	ds_store_b64 v83, v[40:41] offset:25488
.LBB150_245:                            ;   in Loop: Header=BB150_3 Depth=1
	s_or_b32 exec_lo, exec_lo, s11
	s_wait_dscnt 0x0
	s_barrier_signal -1
	s_barrier_wait -1
	s_and_saveexec_b32 s11, s14
	s_cbranch_execz .LBB150_247
; %bb.246:                              ;   in Loop: Header=BB150_3 Depth=1
	v_add_nc_u32_e64 v0, 0x180, 0
	ds_load_b64 v[44:45], v1 offset:25480
	ds_load_2addr_stride64_b64 v[40:43], v0 offset0:48 offset1:49
	s_wait_dscnt 0x0
	v_dual_mul_f32 v97, v45, v41 :: v_dual_mul_f32 v0, v44, v41
	s_delay_alu instid0(VALU_DEP_1) | instskip(NEXT) | instid1(VALU_DEP_1)
	v_xor_b32_e32 v98, 0x80000000, v97
	v_dual_fmac_f32 v0, v45, v40 :: v_dual_fmac_f32 v98, v44, v40
	s_delay_alu instid0(VALU_DEP_1) | instskip(SKIP_1) | instid1(VALU_DEP_2)
	v_pk_mul_f32 v[40:41], v[0:1], v[42:43] op_sel:[0,1] op_sel_hi:[0,0]
	v_add_nc_u32_e64 v0, 0x6000, 0
	v_pk_fma_f32 v[44:45], v[98:99], v[42:43], v[40:41] op_sel_hi:[0,1,1]
	v_pk_fma_f32 v[40:41], v[98:99], v[42:43], v[40:41] neg_lo:[0,0,1] neg_hi:[0,0,1]
	s_delay_alu instid0(VALU_DEP_2)
	v_mov_b32_e32 v41, v45
	ds_store_2addr_b64 v0, v[40:41], v[40:41] offset0:49 offset1:112
.LBB150_247:                            ;   in Loop: Header=BB150_3 Depth=1
	s_or_b32 exec_lo, exec_lo, s11
	v_mov_b64_e32 v[40:41], 0
	s_wait_dscnt 0x0
	s_barrier_signal -1
	s_barrier_wait -1
	global_wb scope:SCOPE_DEV
	s_wait_storecnt 0x0
	global_inv scope:SCOPE_DEV
	s_and_saveexec_b32 s65, s5
	s_cbranch_execz .LBB150_275
; %bb.248:                              ;   in Loop: Header=BB150_3 Depth=1
	ds_load_b64 v[40:41], v65 offset:24832
	ds_load_b64 v[42:43], v66 offset:32640
	s_wait_dscnt 0x0
	v_dual_mul_f32 v0, v43, v41 :: v_dual_mul_f32 v41, v42, v41
	s_delay_alu instid0(VALU_DEP_1) | instskip(NEXT) | instid1(VALU_DEP_1)
	v_dual_fma_f32 v0, v42, v40, -v0 :: v_dual_fmac_f32 v41, v43, v40
	v_dual_add_f32 v40, 0, v0 :: v_dual_add_f32 v41, 0, v41
	s_mov_b32 s11, exec_lo
	v_readlane_b32 s12, v107, 26
	s_and_b32 s12, s11, s12
	s_delay_alu instid0(SALU_CYCLE_1)
	s_mov_b32 exec_lo, s12
	s_cbranch_execz .LBB150_250
; %bb.249:                              ;   in Loop: Header=BB150_3 Depth=1
	ds_load_b64 v[42:43], v65 offset:25344
	ds_load_b64 v[44:45], v66 offset:32648
	s_wait_dscnt 0x0
	v_dual_mul_f32 v0, v45, v43 :: v_dual_mul_f32 v43, v44, v43
	s_delay_alu instid0(VALU_DEP_1) | instskip(NEXT) | instid1(VALU_DEP_1)
	v_dual_fma_f32 v0, v44, v42, -v0 :: v_dual_fmac_f32 v43, v45, v42
	v_dual_add_f32 v40, v40, v0 :: v_dual_add_f32 v41, v41, v43
.LBB150_250:                            ;   in Loop: Header=BB150_3 Depth=1
	s_or_b32 exec_lo, exec_lo, s11
	s_delay_alu instid0(SALU_CYCLE_1) | instskip(SKIP_2) | instid1(SALU_CYCLE_1)
	s_mov_b32 s11, exec_lo
	v_readlane_b32 s12, v107, 27
	s_and_b32 s12, s11, s12
	s_mov_b32 exec_lo, s12
	s_cbranch_execz .LBB150_252
; %bb.251:                              ;   in Loop: Header=BB150_3 Depth=1
	ds_load_b64 v[42:43], v65 offset:25856
	ds_load_b64 v[44:45], v66 offset:32656
	s_wait_dscnt 0x0
	v_dual_mul_f32 v0, v45, v43 :: v_dual_mul_f32 v43, v44, v43
	s_delay_alu instid0(VALU_DEP_1) | instskip(NEXT) | instid1(VALU_DEP_1)
	v_dual_fma_f32 v0, v44, v42, -v0 :: v_dual_fmac_f32 v43, v45, v42
	v_dual_add_f32 v40, v40, v0 :: v_dual_add_f32 v41, v41, v43
.LBB150_252:                            ;   in Loop: Header=BB150_3 Depth=1
	s_or_b32 exec_lo, exec_lo, s11
	s_delay_alu instid0(SALU_CYCLE_1) | instskip(SKIP_2) | instid1(SALU_CYCLE_1)
	s_mov_b32 s11, exec_lo
	v_readlane_b32 s12, v107, 28
	s_and_b32 s12, s11, s12
	;; [unrolled: 16-line block ×10, first 2 shown]
	s_mov_b32 exec_lo, s12
	s_cbranch_execnz .LBB150_1134
; %bb.269:                              ;   in Loop: Header=BB150_3 Depth=1
	s_or_b32 exec_lo, exec_lo, s11
	s_and_saveexec_b32 s11, s4
	s_cbranch_execnz .LBB150_1135
.LBB150_270:                            ;   in Loop: Header=BB150_3 Depth=1
	s_or_b32 exec_lo, exec_lo, s11
	s_and_saveexec_b32 s11, s21
	s_cbranch_execnz .LBB150_1136
.LBB150_271:                            ;   in Loop: Header=BB150_3 Depth=1
	s_or_b32 exec_lo, exec_lo, s11
	s_and_saveexec_b32 s11, s23
	s_cbranch_execnz .LBB150_1137
.LBB150_272:                            ;   in Loop: Header=BB150_3 Depth=1
	s_or_b32 exec_lo, exec_lo, s11
	s_and_saveexec_b32 s11, s3
	s_cbranch_execz .LBB150_274
.LBB150_273:                            ;   in Loop: Header=BB150_3 Depth=1
	ds_load_b64 v[42:43], v50 offset:32512
	ds_load_b64 v[44:45], v1 offset:32760
	s_wait_dscnt 0x0
	v_dual_mul_f32 v0, v45, v43 :: v_dual_mul_f32 v99, v44, v43
	s_delay_alu instid0(VALU_DEP_1) | instskip(NEXT) | instid1(VALU_DEP_1)
	v_dual_fma_f32 v98, v44, v42, -v0 :: v_dual_fmac_f32 v99, v45, v42
	v_pk_add_f32 v[40:41], v[40:41], v[98:99]
.LBB150_274:                            ;   in Loop: Header=BB150_3 Depth=1
	s_or_b32 exec_lo, exec_lo, s11
.LBB150_275:                            ;   in Loop: Header=BB150_3 Depth=1
	s_delay_alu instid0(SALU_CYCLE_1) | instskip(NEXT) | instid1(SALU_CYCLE_1)
	s_or_b32 exec_lo, exec_lo, s65
	s_mov_b32 s11, exec_lo
	v_readlane_b32 s12, v107, 1
	s_and_b32 s12, s11, s12
	s_delay_alu instid0(SALU_CYCLE_1)
	s_mov_b32 exec_lo, s12
	s_cbranch_execz .LBB150_277
; %bb.276:                              ;   in Loop: Header=BB150_3 Depth=1
	ds_load_b64 v[42:43], v1 offset:24440
	s_wait_dscnt 0x0
	v_pk_mul_f32 v[44:45], v[40:41], v[42:43] op_sel:[1,1] op_sel_hi:[1,0]
	s_delay_alu instid0(VALU_DEP_1) | instskip(SKIP_1) | instid1(VALU_DEP_2)
	v_pk_fma_f32 v[98:99], v[40:41], v[42:43], v[44:45] op_sel_hi:[0,1,1]
	v_pk_fma_f32 v[40:41], v[40:41], v[42:43], v[44:45] neg_lo:[0,0,1] neg_hi:[0,0,1]
	v_mov_b32_e32 v41, v99
	s_delay_alu instid0(VALU_DEP_1)
	v_pk_add_f32 v[42:43], v[40:41], 0 neg_lo:[1,1] neg_hi:[1,1]
	ds_store_b64 v64, v[42:43]
.LBB150_277:                            ;   in Loop: Header=BB150_3 Depth=1
	s_or_b32 exec_lo, exec_lo, s11
	s_wait_loadcnt_dscnt 0x0
	s_barrier_signal -1
	s_barrier_wait -1
	s_mov_b32 s11, exec_lo
	v_readlane_b32 s12, v107, 2
	s_and_b32 s12, s11, s12
	s_delay_alu instid0(SALU_CYCLE_1)
	s_mov_b32 exec_lo, s12
	s_cbranch_execz .LBB150_279
; %bb.278:                              ;   in Loop: Header=BB150_3 Depth=1
	ds_load_b64 v[42:43], v65 offset:24320
	ds_load_b64 v[44:45], v64
	s_wait_dscnt 0x0
	v_pk_mul_f32 v[98:99], v[44:45], v[42:43] op_sel:[1,1] op_sel_hi:[0,1]
	s_delay_alu instid0(VALU_DEP_1) | instskip(SKIP_1) | instid1(VALU_DEP_2)
	v_pk_fma_f32 v[100:101], v[44:45], v[42:43], v[98:99] op_sel_hi:[1,0,1]
	v_pk_fma_f32 v[42:43], v[44:45], v[42:43], v[98:99] neg_lo:[0,0,1] neg_hi:[0,0,1]
	v_mov_b32_e32 v43, v101
	s_delay_alu instid0(VALU_DEP_1)
	v_pk_add_f32 v[40:41], v[40:41], v[42:43] neg_lo:[0,1] neg_hi:[0,1]
.LBB150_279:                            ;   in Loop: Header=BB150_3 Depth=1
	s_or_b32 exec_lo, exec_lo, s11
	s_barrier_signal -1
	s_barrier_wait -1
	s_mov_b32 s11, exec_lo
	v_readlane_b32 s12, v107, 3
	s_and_b32 s12, s11, s12
	s_delay_alu instid0(SALU_CYCLE_1)
	s_mov_b32 exec_lo, s12
	s_cbranch_execz .LBB150_281
; %bb.280:                              ;   in Loop: Header=BB150_3 Depth=1
	ds_load_b64 v[42:43], v1 offset:23920
	s_wait_dscnt 0x0
	v_pk_mul_f32 v[44:45], v[40:41], v[42:43] op_sel:[1,1] op_sel_hi:[1,0]
	s_delay_alu instid0(VALU_DEP_1) | instskip(SKIP_1) | instid1(VALU_DEP_2)
	v_pk_fma_f32 v[98:99], v[40:41], v[42:43], v[44:45] op_sel_hi:[0,1,1]
	v_pk_fma_f32 v[40:41], v[40:41], v[42:43], v[44:45] neg_lo:[0,0,1] neg_hi:[0,0,1]
	v_mov_b32_e32 v41, v99
	s_delay_alu instid0(VALU_DEP_1)
	v_pk_add_f32 v[42:43], v[40:41], 0 neg_lo:[1,1] neg_hi:[1,1]
	ds_store_b64 v64, v[42:43]
.LBB150_281:                            ;   in Loop: Header=BB150_3 Depth=1
	s_or_b32 exec_lo, exec_lo, s11
	s_wait_dscnt 0x0
	s_barrier_signal -1
	s_barrier_wait -1
	s_mov_b32 s11, exec_lo
	v_readlane_b32 s12, v107, 4
	s_and_b32 s12, s11, s12
	s_delay_alu instid0(SALU_CYCLE_1)
	s_mov_b32 exec_lo, s12
	s_cbranch_execz .LBB150_283
; %bb.282:                              ;   in Loop: Header=BB150_3 Depth=1
	ds_load_b64 v[42:43], v65 offset:23808
	ds_load_b64 v[44:45], v64
	s_wait_dscnt 0x0
	v_pk_mul_f32 v[98:99], v[44:45], v[42:43] op_sel:[1,1] op_sel_hi:[0,1]
	s_delay_alu instid0(VALU_DEP_1) | instskip(SKIP_1) | instid1(VALU_DEP_2)
	v_pk_fma_f32 v[100:101], v[44:45], v[42:43], v[98:99] op_sel_hi:[1,0,1]
	v_pk_fma_f32 v[42:43], v[44:45], v[42:43], v[98:99] neg_lo:[0,0,1] neg_hi:[0,0,1]
	v_mov_b32_e32 v43, v101
	s_delay_alu instid0(VALU_DEP_1)
	v_pk_add_f32 v[40:41], v[40:41], v[42:43] neg_lo:[0,1] neg_hi:[0,1]
.LBB150_283:                            ;   in Loop: Header=BB150_3 Depth=1
	s_or_b32 exec_lo, exec_lo, s11
	s_barrier_signal -1
	s_barrier_wait -1
	s_mov_b32 s11, exec_lo
	v_readlane_b32 s12, v107, 5
	s_and_b32 s12, s11, s12
	s_delay_alu instid0(SALU_CYCLE_1)
	s_mov_b32 exec_lo, s12
	s_cbranch_execz .LBB150_285
; %bb.284:                              ;   in Loop: Header=BB150_3 Depth=1
	ds_load_b64 v[42:43], v1 offset:23400
	s_wait_dscnt 0x0
	v_pk_mul_f32 v[44:45], v[40:41], v[42:43] op_sel:[1,1] op_sel_hi:[1,0]
	s_delay_alu instid0(VALU_DEP_1) | instskip(SKIP_1) | instid1(VALU_DEP_2)
	v_pk_fma_f32 v[98:99], v[40:41], v[42:43], v[44:45] op_sel_hi:[0,1,1]
	v_pk_fma_f32 v[40:41], v[40:41], v[42:43], v[44:45] neg_lo:[0,0,1] neg_hi:[0,0,1]
	v_mov_b32_e32 v41, v99
	s_delay_alu instid0(VALU_DEP_1)
	v_pk_add_f32 v[42:43], v[40:41], 0 neg_lo:[1,1] neg_hi:[1,1]
	ds_store_b64 v64, v[42:43]
.LBB150_285:                            ;   in Loop: Header=BB150_3 Depth=1
	s_or_b32 exec_lo, exec_lo, s11
	s_wait_dscnt 0x0
	s_barrier_signal -1
	s_barrier_wait -1
	s_and_saveexec_b32 s11, s53
	s_cbranch_execz .LBB150_287
; %bb.286:                              ;   in Loop: Header=BB150_3 Depth=1
	ds_load_b64 v[42:43], v65 offset:23296
	ds_load_b64 v[44:45], v64
	s_wait_dscnt 0x0
	v_pk_mul_f32 v[98:99], v[44:45], v[42:43] op_sel:[1,1] op_sel_hi:[0,1]
	s_delay_alu instid0(VALU_DEP_1) | instskip(SKIP_1) | instid1(VALU_DEP_2)
	v_pk_fma_f32 v[100:101], v[44:45], v[42:43], v[98:99] op_sel_hi:[1,0,1]
	v_pk_fma_f32 v[42:43], v[44:45], v[42:43], v[98:99] neg_lo:[0,0,1] neg_hi:[0,0,1]
	v_mov_b32_e32 v43, v101
	s_delay_alu instid0(VALU_DEP_1)
	v_pk_add_f32 v[40:41], v[40:41], v[42:43] neg_lo:[0,1] neg_hi:[0,1]
.LBB150_287:                            ;   in Loop: Header=BB150_3 Depth=1
	s_or_b32 exec_lo, exec_lo, s11
	s_delay_alu instid0(VALU_DEP_1)
	v_dual_mov_b32 v42, v41 :: v_dual_mov_b32 v43, v40
	s_barrier_signal -1
	s_barrier_wait -1
	s_and_saveexec_b32 s11, s54
	s_cbranch_execz .LBB150_289
; %bb.288:                              ;   in Loop: Header=BB150_3 Depth=1
	ds_load_b64 v[44:45], v1 offset:22880
	s_wait_dscnt 0x0
	v_dual_mul_f32 v0, v43, v45 :: v_dual_mul_f32 v98, v41, v45
	s_delay_alu instid0(VALU_DEP_1) | instskip(NEXT) | instid1(VALU_DEP_2)
	v_pk_fma_f32 v[42:43], v[42:43], v[44:45], v[0:1] op_sel_hi:[1,1,0]
	v_pk_fma_f32 v[40:41], v[40:41], v[44:45], v[98:99] op_sel_hi:[1,1,0] neg_lo:[0,0,1] neg_hi:[0,0,1]
	s_delay_alu instid0(VALU_DEP_1) | instskip(NEXT) | instid1(VALU_DEP_1)
	v_dual_mov_b32 v41, v42 :: v_dual_mov_b32 v43, v40
	v_pk_add_f32 v[44:45], v[40:41], 0 neg_lo:[1,1] neg_hi:[1,1]
	ds_store_b64 v64, v[44:45]
.LBB150_289:                            ;   in Loop: Header=BB150_3 Depth=1
	s_or_b32 exec_lo, exec_lo, s11
	s_wait_dscnt 0x0
	s_barrier_signal -1
	s_barrier_wait -1
	s_and_saveexec_b32 s11, s55
	s_cbranch_execz .LBB150_291
; %bb.290:                              ;   in Loop: Header=BB150_3 Depth=1
	ds_load_b64 v[40:41], v65 offset:22784
	ds_load_b64 v[44:45], v64
	s_wait_dscnt 0x0
	v_dual_mul_f32 v0, v45, v41 :: v_dual_mul_f32 v98, v44, v41
	s_delay_alu instid0(VALU_DEP_1) | instskip(NEXT) | instid1(VALU_DEP_1)
	v_dual_fma_f32 v99, v44, v40, -v0 :: v_dual_fmac_f32 v98, v45, v40
	v_pk_add_f32 v[42:43], v[42:43], v[98:99] neg_lo:[0,1] neg_hi:[0,1]
.LBB150_291:                            ;   in Loop: Header=BB150_3 Depth=1
	s_or_b32 exec_lo, exec_lo, s11
	s_barrier_signal -1
	s_barrier_wait -1
	s_and_saveexec_b32 s11, s56
	s_cbranch_execz .LBB150_293
; %bb.292:                              ;   in Loop: Header=BB150_3 Depth=1
	ds_load_b64 v[40:41], v1 offset:22360
	s_wait_dscnt 0x0
	v_pk_mul_f32 v[44:45], v[42:43], v[40:41] op_sel_hi:[0,1]
	s_delay_alu instid0(VALU_DEP_1) | instskip(SKIP_1) | instid1(VALU_DEP_2)
	v_pk_fma_f32 v[98:99], v[42:43], v[40:41], v[44:45] op_sel:[1,1,0] op_sel_hi:[1,0,1] neg_lo:[0,0,1] neg_hi:[0,0,1]
	v_pk_fma_f32 v[42:43], v[42:43], v[40:41], v[44:45] op_sel:[1,1,0] op_sel_hi:[1,0,1]
	v_mov_b32_e32 v43, v99
	s_delay_alu instid0(VALU_DEP_2)
	v_xor_b32_e32 v41, 0x80000000, v42
	v_xor_b32_e32 v40, 0x80000000, v99
	ds_store_b64 v64, v[40:41]
.LBB150_293:                            ;   in Loop: Header=BB150_3 Depth=1
	s_or_b32 exec_lo, exec_lo, s11
	s_wait_dscnt 0x0
	s_barrier_signal -1
	s_barrier_wait -1
	s_and_saveexec_b32 s11, s57
	s_cbranch_execz .LBB150_295
; %bb.294:                              ;   in Loop: Header=BB150_3 Depth=1
	ds_load_b64 v[40:41], v65 offset:22272
	ds_load_b64 v[44:45], v64
	s_wait_dscnt 0x0
	v_pk_mul_f32 v[98:99], v[44:45], v[40:41] op_sel:[0,1]
	s_delay_alu instid0(VALU_DEP_1) | instskip(SKIP_1) | instid1(VALU_DEP_2)
	v_pk_fma_f32 v[100:101], v[44:45], v[40:41], v[98:99] op_sel:[1,0,0] op_sel_hi:[0,0,1] neg_lo:[0,0,1] neg_hi:[0,0,1]
	v_pk_fma_f32 v[40:41], v[44:45], v[40:41], v[98:99] op_sel:[1,0,0] op_sel_hi:[0,1,1]
	v_mov_b32_e32 v41, v101
	s_delay_alu instid0(VALU_DEP_1)
	v_pk_add_f32 v[42:43], v[42:43], v[40:41] neg_lo:[0,1] neg_hi:[0,1]
.LBB150_295:                            ;   in Loop: Header=BB150_3 Depth=1
	s_or_b32 exec_lo, exec_lo, s11
	s_barrier_signal -1
	s_barrier_wait -1
	s_and_saveexec_b32 s11, s58
	s_cbranch_execz .LBB150_297
; %bb.296:                              ;   in Loop: Header=BB150_3 Depth=1
	ds_load_b64 v[40:41], v1 offset:21840
	s_wait_dscnt 0x0
	v_pk_mul_f32 v[44:45], v[42:43], v[40:41] op_sel_hi:[0,1]
	s_delay_alu instid0(VALU_DEP_1) | instskip(SKIP_1) | instid1(VALU_DEP_2)
	v_pk_fma_f32 v[98:99], v[42:43], v[40:41], v[44:45] op_sel:[1,1,0] op_sel_hi:[1,0,1] neg_lo:[0,0,1] neg_hi:[0,0,1]
	v_pk_fma_f32 v[42:43], v[42:43], v[40:41], v[44:45] op_sel:[1,1,0] op_sel_hi:[1,0,1]
	v_mov_b32_e32 v43, v99
	s_delay_alu instid0(VALU_DEP_2)
	v_xor_b32_e32 v41, 0x80000000, v42
	v_xor_b32_e32 v40, 0x80000000, v99
	ds_store_b64 v64, v[40:41]
.LBB150_297:                            ;   in Loop: Header=BB150_3 Depth=1
	s_or_b32 exec_lo, exec_lo, s11
	s_wait_dscnt 0x0
	s_barrier_signal -1
	s_barrier_wait -1
	s_and_saveexec_b32 s11, s59
	s_cbranch_execz .LBB150_299
; %bb.298:                              ;   in Loop: Header=BB150_3 Depth=1
	ds_load_b64 v[40:41], v65 offset:21760
	ds_load_b64 v[44:45], v64
	s_wait_dscnt 0x0
	v_pk_mul_f32 v[98:99], v[44:45], v[40:41] op_sel:[0,1]
	s_delay_alu instid0(VALU_DEP_1) | instskip(SKIP_1) | instid1(VALU_DEP_2)
	v_pk_fma_f32 v[100:101], v[44:45], v[40:41], v[98:99] op_sel:[1,0,0] op_sel_hi:[0,0,1] neg_lo:[0,0,1] neg_hi:[0,0,1]
	v_pk_fma_f32 v[40:41], v[44:45], v[40:41], v[98:99] op_sel:[1,0,0] op_sel_hi:[0,1,1]
	v_mov_b32_e32 v41, v101
	s_delay_alu instid0(VALU_DEP_1)
	v_pk_add_f32 v[42:43], v[42:43], v[40:41] neg_lo:[0,1] neg_hi:[0,1]
.LBB150_299:                            ;   in Loop: Header=BB150_3 Depth=1
	;; [unrolled: 36-line block ×3, first 2 shown]
	s_or_b32 exec_lo, exec_lo, s11
	s_delay_alu instid0(VALU_DEP_1)
	v_dual_mov_b32 v40, v43 :: v_dual_mov_b32 v41, v42
	s_barrier_signal -1
	s_barrier_wait -1
	s_and_saveexec_b32 s11, s62
	s_cbranch_execz .LBB150_305
; %bb.304:                              ;   in Loop: Header=BB150_3 Depth=1
	ds_load_b64 v[44:45], v1 offset:20800
	s_wait_dscnt 0x0
	v_dual_mul_f32 v0, v42, v44 :: v_dual_mul_f32 v98, v41, v45
	s_delay_alu instid0(VALU_DEP_1) | instskip(NEXT) | instid1(VALU_DEP_2)
	v_pk_fma_f32 v[42:43], v[42:43], v[44:45], v[0:1] op_sel_hi:[1,1,0]
	v_pk_fma_f32 v[40:41], v[40:41], v[44:45], v[98:99] op_sel_hi:[1,1,0] neg_lo:[0,0,1] neg_hi:[0,0,1]
	s_delay_alu instid0(VALU_DEP_2) | instskip(NEXT) | instid1(VALU_DEP_1)
	v_mov_b32_e32 v41, v43
	v_pk_add_f32 v[42:43], v[40:41], 0 neg_lo:[1,1] neg_hi:[1,1]
	ds_store_b64 v64, v[42:43]
.LBB150_305:                            ;   in Loop: Header=BB150_3 Depth=1
	s_or_b32 exec_lo, exec_lo, s11
	s_wait_dscnt 0x0
	s_barrier_signal -1
	s_barrier_wait -1
	s_and_saveexec_b32 s11, s63
	s_cbranch_execz .LBB150_307
; %bb.306:                              ;   in Loop: Header=BB150_3 Depth=1
	ds_load_b64 v[42:43], v65 offset:20736
	ds_load_b64 v[44:45], v64
	s_wait_dscnt 0x0
	v_dual_mul_f32 v0, v45, v43 :: v_dual_mul_f32 v99, v44, v43
	s_delay_alu instid0(VALU_DEP_1) | instskip(NEXT) | instid1(VALU_DEP_1)
	v_dual_fma_f32 v98, v44, v42, -v0 :: v_dual_fmac_f32 v99, v45, v42
	v_pk_add_f32 v[40:41], v[40:41], v[98:99] neg_lo:[0,1] neg_hi:[0,1]
.LBB150_307:                            ;   in Loop: Header=BB150_3 Depth=1
	s_or_b32 exec_lo, exec_lo, s11
	s_barrier_signal -1
	s_barrier_wait -1
	s_and_saveexec_b32 s11, s64
	s_cbranch_execz .LBB150_309
; %bb.308:                              ;   in Loop: Header=BB150_3 Depth=1
	ds_load_b64 v[42:43], v1 offset:20280
	s_wait_dscnt 0x0
	v_pk_mul_f32 v[44:45], v[40:41], v[42:43] op_sel:[1,1] op_sel_hi:[1,0]
	s_delay_alu instid0(VALU_DEP_1) | instskip(SKIP_1) | instid1(VALU_DEP_2)
	v_pk_fma_f32 v[98:99], v[40:41], v[42:43], v[44:45] op_sel_hi:[0,1,1]
	v_pk_fma_f32 v[40:41], v[40:41], v[42:43], v[44:45] neg_lo:[0,0,1] neg_hi:[0,0,1]
	v_mov_b32_e32 v41, v99
	s_delay_alu instid0(VALU_DEP_1)
	v_pk_add_f32 v[42:43], v[40:41], 0 neg_lo:[1,1] neg_hi:[1,1]
	ds_store_b64 v64, v[42:43]
.LBB150_309:                            ;   in Loop: Header=BB150_3 Depth=1
	s_or_b32 exec_lo, exec_lo, s11
	s_wait_dscnt 0x0
	s_barrier_signal -1
	s_barrier_wait -1
	s_and_saveexec_b32 s11, s25
	s_cbranch_execz .LBB150_311
; %bb.310:                              ;   in Loop: Header=BB150_3 Depth=1
	ds_load_b64 v[42:43], v65 offset:20224
	ds_load_b64 v[44:45], v64
	s_wait_dscnt 0x0
	v_pk_mul_f32 v[98:99], v[44:45], v[42:43] op_sel:[1,1] op_sel_hi:[0,1]
	s_delay_alu instid0(VALU_DEP_1) | instskip(SKIP_1) | instid1(VALU_DEP_2)
	v_pk_fma_f32 v[100:101], v[44:45], v[42:43], v[98:99] op_sel_hi:[1,0,1]
	v_pk_fma_f32 v[42:43], v[44:45], v[42:43], v[98:99] neg_lo:[0,0,1] neg_hi:[0,0,1]
	v_mov_b32_e32 v43, v101
	s_delay_alu instid0(VALU_DEP_1)
	v_pk_add_f32 v[40:41], v[40:41], v[42:43] neg_lo:[0,1] neg_hi:[0,1]
.LBB150_311:                            ;   in Loop: Header=BB150_3 Depth=1
	s_or_b32 exec_lo, exec_lo, s11
	s_barrier_signal -1
	s_barrier_wait -1
	s_and_saveexec_b32 s11, s27
	s_cbranch_execz .LBB150_313
; %bb.312:                              ;   in Loop: Header=BB150_3 Depth=1
	ds_load_b64 v[42:43], v1 offset:19760
	s_wait_dscnt 0x0
	v_pk_mul_f32 v[44:45], v[40:41], v[42:43] op_sel:[1,1] op_sel_hi:[1,0]
	s_delay_alu instid0(VALU_DEP_1) | instskip(SKIP_1) | instid1(VALU_DEP_2)
	v_pk_fma_f32 v[98:99], v[40:41], v[42:43], v[44:45] op_sel_hi:[0,1,1]
	v_pk_fma_f32 v[40:41], v[40:41], v[42:43], v[44:45] neg_lo:[0,0,1] neg_hi:[0,0,1]
	v_mov_b32_e32 v41, v99
	s_delay_alu instid0(VALU_DEP_1)
	v_pk_add_f32 v[42:43], v[40:41], 0 neg_lo:[1,1] neg_hi:[1,1]
	ds_store_b64 v64, v[42:43]
.LBB150_313:                            ;   in Loop: Header=BB150_3 Depth=1
	s_or_b32 exec_lo, exec_lo, s11
	s_wait_dscnt 0x0
	s_barrier_signal -1
	s_barrier_wait -1
	s_and_saveexec_b32 s11, s29
	s_cbranch_execz .LBB150_315
; %bb.314:                              ;   in Loop: Header=BB150_3 Depth=1
	ds_load_b64 v[42:43], v65 offset:19712
	ds_load_b64 v[44:45], v64
	s_wait_dscnt 0x0
	v_pk_mul_f32 v[98:99], v[44:45], v[42:43] op_sel:[1,1] op_sel_hi:[0,1]
	s_delay_alu instid0(VALU_DEP_1) | instskip(SKIP_1) | instid1(VALU_DEP_2)
	v_pk_fma_f32 v[100:101], v[44:45], v[42:43], v[98:99] op_sel_hi:[1,0,1]
	v_pk_fma_f32 v[42:43], v[44:45], v[42:43], v[98:99] neg_lo:[0,0,1] neg_hi:[0,0,1]
	v_mov_b32_e32 v43, v101
	s_delay_alu instid0(VALU_DEP_1)
	v_pk_add_f32 v[40:41], v[40:41], v[42:43] neg_lo:[0,1] neg_hi:[0,1]
.LBB150_315:                            ;   in Loop: Header=BB150_3 Depth=1
	;; [unrolled: 35-line block ×3, first 2 shown]
	s_or_b32 exec_lo, exec_lo, s11
	s_barrier_signal -1
	s_barrier_wait -1
	s_and_saveexec_b32 s11, s36
	s_cbranch_execz .LBB150_321
; %bb.320:                              ;   in Loop: Header=BB150_3 Depth=1
	ds_load_b64 v[42:43], v1 offset:18720
	s_wait_dscnt 0x0
	v_pk_mul_f32 v[44:45], v[40:41], v[42:43]
	v_pk_mul_f32 v[40:41], v[40:41], v[42:43] op_sel:[1,0] op_sel_hi:[0,1]
	s_delay_alu instid0(VALU_DEP_1) | instskip(NEXT) | instid1(VALU_DEP_3)
	v_dual_mov_b32 v42, v44 :: v_dual_mov_b32 v43, v40
	v_mov_b32_e32 v40, v45
	s_delay_alu instid0(VALU_DEP_1) | instskip(SKIP_1) | instid1(VALU_DEP_2)
	v_pk_add_f32 v[44:45], v[42:43], v[40:41]
	v_pk_add_f32 v[40:41], v[42:43], v[40:41] neg_lo:[0,1] neg_hi:[0,1]
	v_mov_b32_e32 v41, v45
	s_delay_alu instid0(VALU_DEP_1)
	v_pk_add_f32 v[42:43], v[40:41], 0 neg_lo:[1,1] neg_hi:[1,1]
	ds_store_b64 v64, v[42:43]
.LBB150_321:                            ;   in Loop: Header=BB150_3 Depth=1
	s_or_b32 exec_lo, exec_lo, s11
	s_wait_dscnt 0x0
	s_barrier_signal -1
	s_barrier_wait -1
	s_and_saveexec_b32 s11, s26
	s_cbranch_execz .LBB150_323
; %bb.322:                              ;   in Loop: Header=BB150_3 Depth=1
	ds_load_b64 v[42:43], v65 offset:18688
	ds_load_b64 v[44:45], v64
	s_wait_dscnt 0x0
	v_dual_mul_f32 v0, v45, v43 :: v_dual_mul_f32 v43, v44, v43
	s_delay_alu instid0(VALU_DEP_1) | instskip(NEXT) | instid1(VALU_DEP_1)
	v_dual_fma_f32 v0, v44, v42, -v0 :: v_dual_fmac_f32 v43, v45, v42
	v_dual_sub_f32 v40, v40, v0 :: v_dual_sub_f32 v41, v41, v43
.LBB150_323:                            ;   in Loop: Header=BB150_3 Depth=1
	s_or_b32 exec_lo, exec_lo, s11
	s_barrier_signal -1
	s_barrier_wait -1
	s_and_saveexec_b32 s11, s28
	s_cbranch_execz .LBB150_325
; %bb.324:                              ;   in Loop: Header=BB150_3 Depth=1
	ds_load_b64 v[42:43], v1 offset:18200
	s_wait_dscnt 0x0
	v_dual_mul_f32 v0, v41, v42 :: v_dual_mul_f32 v44, v41, v43
	s_delay_alu instid0(VALU_DEP_1) | instskip(NEXT) | instid1(VALU_DEP_2)
	v_pk_fma_f32 v[98:99], v[40:41], v[42:43], v[0:1] op_sel:[1,0,0] op_sel_hi:[0,1,0]
	v_pk_fma_f32 v[40:41], v[40:41], v[42:43], v[44:45] op_sel_hi:[1,1,0] neg_lo:[0,0,1] neg_hi:[0,0,1]
	s_delay_alu instid0(VALU_DEP_2) | instskip(NEXT) | instid1(VALU_DEP_1)
	v_mov_b32_e32 v41, v99
	v_pk_add_f32 v[42:43], v[40:41], 0 neg_lo:[1,1] neg_hi:[1,1]
	ds_store_b64 v64, v[42:43]
.LBB150_325:                            ;   in Loop: Header=BB150_3 Depth=1
	s_or_b32 exec_lo, exec_lo, s11
	s_wait_dscnt 0x0
	s_barrier_signal -1
	s_barrier_wait -1
	s_and_saveexec_b32 s11, s30
	s_cbranch_execz .LBB150_327
; %bb.326:                              ;   in Loop: Header=BB150_3 Depth=1
	ds_load_b64 v[42:43], v65 offset:18176
	ds_load_b64 v[44:45], v64
	s_wait_dscnt 0x0
	v_pk_mul_f32 v[98:99], v[44:45], v[42:43] op_sel:[1,1] op_sel_hi:[0,1]
	s_delay_alu instid0(VALU_DEP_1) | instskip(SKIP_1) | instid1(VALU_DEP_2)
	v_pk_fma_f32 v[100:101], v[44:45], v[42:43], v[98:99] op_sel_hi:[1,0,1]
	v_pk_fma_f32 v[42:43], v[44:45], v[42:43], v[98:99] neg_lo:[0,0,1] neg_hi:[0,0,1]
	v_mov_b32_e32 v43, v101
	s_delay_alu instid0(VALU_DEP_1)
	v_pk_add_f32 v[40:41], v[40:41], v[42:43] neg_lo:[0,1] neg_hi:[0,1]
.LBB150_327:                            ;   in Loop: Header=BB150_3 Depth=1
	s_or_b32 exec_lo, exec_lo, s11
	s_barrier_signal -1
	s_barrier_wait -1
	s_and_saveexec_b32 s11, s33
	s_cbranch_execz .LBB150_329
; %bb.328:                              ;   in Loop: Header=BB150_3 Depth=1
	ds_load_b64 v[42:43], v1 offset:17680
	s_wait_dscnt 0x0
	v_pk_mul_f32 v[44:45], v[40:41], v[42:43] op_sel:[1,1] op_sel_hi:[1,0]
	s_delay_alu instid0(VALU_DEP_1) | instskip(SKIP_1) | instid1(VALU_DEP_2)
	v_pk_fma_f32 v[98:99], v[40:41], v[42:43], v[44:45] op_sel_hi:[0,1,1]
	v_pk_fma_f32 v[40:41], v[40:41], v[42:43], v[44:45] neg_lo:[0,0,1] neg_hi:[0,0,1]
	v_mov_b32_e32 v41, v99
	s_delay_alu instid0(VALU_DEP_1)
	v_pk_add_f32 v[42:43], v[40:41], 0 neg_lo:[1,1] neg_hi:[1,1]
	ds_store_b64 v64, v[42:43]
.LBB150_329:                            ;   in Loop: Header=BB150_3 Depth=1
	s_or_b32 exec_lo, exec_lo, s11
	s_wait_dscnt 0x0
	s_barrier_signal -1
	s_barrier_wait -1
	s_and_saveexec_b32 s11, s35
	s_cbranch_execz .LBB150_331
; %bb.330:                              ;   in Loop: Header=BB150_3 Depth=1
	ds_load_b64 v[42:43], v65 offset:17664
	ds_load_b64 v[44:45], v64
	s_wait_dscnt 0x0
	v_pk_mul_f32 v[98:99], v[44:45], v[42:43] op_sel:[1,1] op_sel_hi:[0,1]
	s_delay_alu instid0(VALU_DEP_1) | instskip(SKIP_1) | instid1(VALU_DEP_2)
	v_pk_fma_f32 v[100:101], v[44:45], v[42:43], v[98:99] op_sel_hi:[1,0,1]
	v_pk_fma_f32 v[42:43], v[44:45], v[42:43], v[98:99] neg_lo:[0,0,1] neg_hi:[0,0,1]
	v_mov_b32_e32 v43, v101
	s_delay_alu instid0(VALU_DEP_1)
	v_pk_add_f32 v[40:41], v[40:41], v[42:43] neg_lo:[0,1] neg_hi:[0,1]
.LBB150_331:                            ;   in Loop: Header=BB150_3 Depth=1
	s_or_b32 exec_lo, exec_lo, s11
	s_barrier_signal -1
	s_barrier_wait -1
	s_and_saveexec_b32 s11, s87
	s_cbranch_execz .LBB150_333
; %bb.332:                              ;   in Loop: Header=BB150_3 Depth=1
	ds_load_b64 v[42:43], v1 offset:17160
	s_wait_dscnt 0x0
	v_pk_mul_f32 v[44:45], v[40:41], v[42:43] op_sel:[1,1] op_sel_hi:[1,0]
	s_delay_alu instid0(VALU_DEP_1) | instskip(SKIP_1) | instid1(VALU_DEP_2)
	v_pk_fma_f32 v[98:99], v[40:41], v[42:43], v[44:45] op_sel_hi:[0,1,1]
	v_pk_fma_f32 v[40:41], v[40:41], v[42:43], v[44:45] neg_lo:[0,0,1] neg_hi:[0,0,1]
	v_mov_b32_e32 v41, v99
	s_delay_alu instid0(VALU_DEP_1)
	v_pk_add_f32 v[42:43], v[40:41], 0 neg_lo:[1,1] neg_hi:[1,1]
	ds_store_b64 v64, v[42:43]
.LBB150_333:                            ;   in Loop: Header=BB150_3 Depth=1
	s_or_b32 exec_lo, exec_lo, s11
	s_wait_dscnt 0x0
	s_barrier_signal -1
	s_barrier_wait -1
	s_and_saveexec_b32 s11, s48
	s_cbranch_execz .LBB150_335
; %bb.334:                              ;   in Loop: Header=BB150_3 Depth=1
	ds_load_b64 v[42:43], v1 offset:17152
	ds_load_b64 v[44:45], v64
	s_wait_dscnt 0x0
	v_pk_mul_f32 v[98:99], v[44:45], v[42:43] op_sel:[1,1] op_sel_hi:[0,1]
	s_delay_alu instid0(VALU_DEP_1) | instskip(SKIP_1) | instid1(VALU_DEP_2)
	v_pk_fma_f32 v[100:101], v[44:45], v[42:43], v[98:99] op_sel_hi:[1,0,1]
	v_pk_fma_f32 v[42:43], v[44:45], v[42:43], v[98:99] neg_lo:[0,0,1] neg_hi:[0,0,1]
	v_mov_b32_e32 v43, v101
	s_delay_alu instid0(VALU_DEP_1)
	v_pk_add_f32 v[40:41], v[40:41], v[42:43] neg_lo:[0,1] neg_hi:[0,1]
.LBB150_335:                            ;   in Loop: Header=BB150_3 Depth=1
	s_or_b32 exec_lo, exec_lo, s11
	s_barrier_signal -1
	s_barrier_wait -1
	s_and_saveexec_b32 s11, s48
	s_cbranch_execz .LBB150_337
; %bb.336:                              ;   in Loop: Header=BB150_3 Depth=1
	ds_load_b64 v[42:43], v1 offset:16640
	s_wait_dscnt 0x0
	v_pk_mul_f32 v[44:45], v[40:41], v[42:43] op_sel:[1,1] op_sel_hi:[1,0]
	s_delay_alu instid0(VALU_DEP_1) | instskip(SKIP_1) | instid1(VALU_DEP_2)
	v_pk_fma_f32 v[98:99], v[40:41], v[42:43], v[44:45] op_sel_hi:[0,1,1]
	v_pk_fma_f32 v[40:41], v[40:41], v[42:43], v[44:45] neg_lo:[0,0,1] neg_hi:[0,0,1]
	v_mov_b32_e32 v41, v99
	s_delay_alu instid0(VALU_DEP_1)
	v_pk_add_f32 v[42:43], v[40:41], 0 neg_lo:[1,1] neg_hi:[1,1]
	ds_store_b64 v64, v[42:43]
.LBB150_337:                            ;   in Loop: Header=BB150_3 Depth=1
	s_or_b32 exec_lo, exec_lo, s11
	s_wait_dscnt 0x0
	s_barrier_signal -1
	s_barrier_wait -1
	s_barrier_signal -1
	s_barrier_wait -1
	s_and_saveexec_b32 s11, s5
; %bb.338:                              ;   in Loop: Header=BB150_3 Depth=1
	ds_store_b64 v68, v[40:41] offset:32512
; %bb.339:                              ;   in Loop: Header=BB150_3 Depth=1
	s_or_b32 exec_lo, exec_lo, s11
	s_wait_dscnt 0x0
	s_barrier_signal -1
	s_barrier_wait -1
	s_barrier_signal -1
	s_barrier_wait -1
	s_and_saveexec_b32 s11, s49
	s_cbranch_execz .LBB150_341
; %bb.340:                              ;   in Loop: Header=BB150_3 Depth=1
	ds_load_b64 v[40:41], v52 offset:24832
	s_wait_dscnt 0x0
	ds_store_b64 v57, v[40:41] offset:16768
	ds_load_b64 v[40:41], v52 offset:24840
	s_wait_dscnt 0x0
	ds_store_b64 v57, v[40:41] offset:17280
	;; [unrolled: 3-line block ×16, first 2 shown]
.LBB150_341:                            ;   in Loop: Header=BB150_3 Depth=1
	s_or_b32 exec_lo, exec_lo, s11
	s_wait_dscnt 0x0
	s_barrier_signal -1
	s_barrier_wait -1
	s_and_saveexec_b32 s11, s14
	s_cbranch_execz .LBB150_343
; %bb.342:                              ;   in Loop: Header=BB150_3 Depth=1
	v_add_nc_u32_e64 v0, 0x170, 0
	ds_load_b64 v[44:45], v1 offset:24440
	ds_load_2addr_stride64_b64 v[40:43], v0 offset0:46 offset1:47
	s_wait_dscnt 0x0
	v_dual_mul_f32 v97, v45, v41 :: v_dual_mul_f32 v0, v44, v41
	s_delay_alu instid0(VALU_DEP_1) | instskip(NEXT) | instid1(VALU_DEP_1)
	v_xor_b32_e32 v98, 0x80000000, v97
	v_dual_fmac_f32 v0, v45, v40 :: v_dual_fmac_f32 v98, v44, v40
	s_delay_alu instid0(VALU_DEP_1) | instskip(SKIP_1) | instid1(VALU_DEP_2)
	v_pk_mul_f32 v[40:41], v[0:1], v[42:43] op_sel:[0,1] op_sel_hi:[0,0]
	v_add_nc_u32_e64 v0, 0x5800, 0
	v_pk_fma_f32 v[44:45], v[98:99], v[42:43], v[40:41] op_sel_hi:[0,1,1]
	v_pk_fma_f32 v[40:41], v[98:99], v[42:43], v[40:41] neg_lo:[0,0,1] neg_hi:[0,0,1]
	s_delay_alu instid0(VALU_DEP_2)
	v_mov_b32_e32 v41, v45
	ds_store_2addr_b64 v0, v[40:41], v[40:41] offset0:175 offset1:238
.LBB150_343:                            ;   in Loop: Header=BB150_3 Depth=1
	s_or_b32 exec_lo, exec_lo, s11
	v_dual_mov_b32 v40, 0 :: v_dual_mov_b32 v41, 0
	s_wait_dscnt 0x0
	s_barrier_signal -1
	s_barrier_wait -1
	global_wb scope:SCOPE_DEV
	s_wait_storecnt 0x0
	global_inv scope:SCOPE_DEV
	s_and_saveexec_b32 s11, s1
	s_cbranch_execz .LBB150_347
; %bb.344:                              ;   in Loop: Header=BB150_3 Depth=1
	ds_load_b64 v[40:41], v48 offset:23904
	ds_load_b64 v[42:43], v49 offset:24432
	s_wait_dscnt 0x0
	v_pk_mul_f32 v[44:45], v[42:43], v[40:41] op_sel:[1,1] op_sel_hi:[0,1]
	s_delay_alu instid0(VALU_DEP_1) | instskip(SKIP_1) | instid1(VALU_DEP_2)
	v_pk_fma_f32 v[98:99], v[42:43], v[40:41], v[44:45] op_sel_hi:[1,0,1]
	v_pk_fma_f32 v[40:41], v[42:43], v[40:41], v[44:45] neg_lo:[0,0,1] neg_hi:[0,0,1]
	v_mov_b32_e32 v41, v99
	s_delay_alu instid0(VALU_DEP_1)
	v_pk_add_f32 v[40:41], v[40:41], 0 op_sel_hi:[1,0]
	s_and_saveexec_b32 s12, s17
	s_cbranch_execz .LBB150_346
; %bb.345:                              ;   in Loop: Header=BB150_3 Depth=1
	ds_load_b64 v[42:43], v50 offset:24416
	ds_load_b64 v[44:45], v1 offset:24440
	s_wait_dscnt 0x0
	v_pk_mul_f32 v[98:99], v[44:45], v[42:43] op_sel:[1,1] op_sel_hi:[0,1]
	s_delay_alu instid0(VALU_DEP_1) | instskip(SKIP_1) | instid1(VALU_DEP_2)
	v_pk_fma_f32 v[100:101], v[44:45], v[42:43], v[98:99] op_sel_hi:[1,0,1]
	v_pk_fma_f32 v[42:43], v[44:45], v[42:43], v[98:99] neg_lo:[0,0,1] neg_hi:[0,0,1]
	v_mov_b32_e32 v43, v101
	s_delay_alu instid0(VALU_DEP_1)
	v_pk_add_f32 v[40:41], v[40:41], v[42:43]
.LBB150_346:                            ;   in Loop: Header=BB150_3 Depth=1
	s_or_b32 exec_lo, exec_lo, s12
.LBB150_347:                            ;   in Loop: Header=BB150_3 Depth=1
	s_delay_alu instid0(SALU_CYCLE_1)
	s_or_b32 exec_lo, exec_lo, s11
	s_and_saveexec_b32 s11, s90
	s_cbranch_execz .LBB150_349
; %bb.348:                              ;   in Loop: Header=BB150_3 Depth=1
	ds_load_b64 v[42:43], v1 offset:23400
	s_wait_dscnt 0x0
	v_pk_mul_f32 v[44:45], v[40:41], v[42:43] op_sel:[1,1] op_sel_hi:[1,0]
	s_delay_alu instid0(VALU_DEP_1) | instskip(SKIP_1) | instid1(VALU_DEP_2)
	v_pk_fma_f32 v[98:99], v[40:41], v[42:43], v[44:45] op_sel_hi:[0,1,1]
	v_pk_fma_f32 v[40:41], v[40:41], v[42:43], v[44:45] neg_lo:[0,0,1] neg_hi:[0,0,1]
	v_mov_b32_e32 v41, v99
	s_delay_alu instid0(VALU_DEP_1)
	v_pk_add_f32 v[42:43], v[40:41], 0 neg_lo:[1,1] neg_hi:[1,1]
	ds_store_b64 v3, v[42:43]
.LBB150_349:                            ;   in Loop: Header=BB150_3 Depth=1
	s_or_b32 exec_lo, exec_lo, s11
	s_wait_loadcnt_dscnt 0x0
	s_barrier_signal -1
	s_barrier_wait -1
	s_and_saveexec_b32 s11, s91
	s_cbranch_execz .LBB150_351
; %bb.350:                              ;   in Loop: Header=BB150_3 Depth=1
	ds_load_b64 v[42:43], v1 offset:23392
	ds_load_b64 v[44:45], v3
	s_wait_dscnt 0x0
	v_pk_mul_f32 v[98:99], v[44:45], v[42:43] op_sel:[1,1] op_sel_hi:[0,1]
	s_delay_alu instid0(VALU_DEP_1) | instskip(SKIP_1) | instid1(VALU_DEP_2)
	v_pk_fma_f32 v[100:101], v[44:45], v[42:43], v[98:99] op_sel_hi:[1,0,1]
	v_pk_fma_f32 v[42:43], v[44:45], v[42:43], v[98:99] neg_lo:[0,0,1] neg_hi:[0,0,1]
	v_mov_b32_e32 v43, v101
	s_delay_alu instid0(VALU_DEP_1)
	v_pk_add_f32 v[40:41], v[40:41], v[42:43] neg_lo:[0,1] neg_hi:[0,1]
.LBB150_351:                            ;   in Loop: Header=BB150_3 Depth=1
	s_or_b32 exec_lo, exec_lo, s11
	s_barrier_signal -1
	s_barrier_wait -1
	s_and_saveexec_b32 s11, s91
	s_cbranch_execz .LBB150_353
; %bb.352:                              ;   in Loop: Header=BB150_3 Depth=1
	ds_load_b64 v[42:43], v1 offset:22880
	s_wait_dscnt 0x0
	v_pk_mul_f32 v[44:45], v[40:41], v[42:43] op_sel:[1,1] op_sel_hi:[1,0]
	s_delay_alu instid0(VALU_DEP_1) | instskip(SKIP_1) | instid1(VALU_DEP_2)
	v_pk_fma_f32 v[98:99], v[40:41], v[42:43], v[44:45] op_sel_hi:[0,1,1]
	v_pk_fma_f32 v[40:41], v[40:41], v[42:43], v[44:45] neg_lo:[0,0,1] neg_hi:[0,0,1]
	v_mov_b32_e32 v41, v99
	s_delay_alu instid0(VALU_DEP_1)
	v_pk_add_f32 v[42:43], v[40:41], 0 neg_lo:[1,1] neg_hi:[1,1]
	ds_store_b64 v3, v[42:43]
.LBB150_353:                            ;   in Loop: Header=BB150_3 Depth=1
	s_or_b32 exec_lo, exec_lo, s11
	s_wait_dscnt 0x0
	s_barrier_signal -1
	s_barrier_wait -1
	s_barrier_signal -1
	s_barrier_wait -1
	s_and_saveexec_b32 s11, s1
; %bb.354:                              ;   in Loop: Header=BB150_3 Depth=1
	ds_store_b64 v51, v[40:41] offset:24416
; %bb.355:                              ;   in Loop: Header=BB150_3 Depth=1
	s_or_b32 exec_lo, exec_lo, s11
	s_wait_dscnt 0x0
	s_barrier_signal -1
	s_barrier_wait -1
	s_barrier_signal -1
	s_barrier_wait -1
	s_and_saveexec_b32 s11, s92
	s_cbranch_execz .LBB150_357
; %bb.356:                              ;   in Loop: Header=BB150_3 Depth=1
	ds_load_b64 v[40:41], v52 offset:23904
	s_wait_dscnt 0x0
	ds_store_b64 v50, v[40:41] offset:22896
	ds_load_b64 v[40:41], v52 offset:23912
	s_wait_dscnt 0x0
	ds_store_b64 v50, v[40:41] offset:23408
.LBB150_357:                            ;   in Loop: Header=BB150_3 Depth=1
	s_or_b32 exec_lo, exec_lo, s11
	s_wait_dscnt 0x0
	s_barrier_signal -1
	s_barrier_wait -1
	s_and_saveexec_b32 s11, s14
	s_cbranch_execz .LBB150_359
; %bb.358:                              ;   in Loop: Header=BB150_3 Depth=1
	v_add_nc_u32_e64 v0, 0x160, 0
	ds_load_b64 v[44:45], v1 offset:23400
	ds_load_2addr_stride64_b64 v[40:43], v0 offset0:44 offset1:45
	s_wait_dscnt 0x0
	v_dual_mul_f32 v97, v45, v41 :: v_dual_mul_f32 v0, v44, v41
	s_delay_alu instid0(VALU_DEP_1) | instskip(NEXT) | instid1(VALU_DEP_1)
	v_xor_b32_e32 v98, 0x80000000, v97
	v_dual_fmac_f32 v0, v45, v40 :: v_dual_fmac_f32 v98, v44, v40
	s_delay_alu instid0(VALU_DEP_1) | instskip(SKIP_1) | instid1(VALU_DEP_2)
	v_pk_mul_f32 v[40:41], v[0:1], v[42:43] op_sel:[0,1] op_sel_hi:[0,0]
	v_add_nc_u32_e64 v0, 0x5800, 0
	v_pk_fma_f32 v[44:45], v[98:99], v[42:43], v[40:41] op_sel_hi:[0,1,1]
	v_pk_fma_f32 v[40:41], v[98:99], v[42:43], v[40:41] neg_lo:[0,0,1] neg_hi:[0,0,1]
	s_delay_alu instid0(VALU_DEP_2)
	v_mov_b32_e32 v41, v45
	ds_store_2addr_b64 v0, v[40:41], v[40:41] offset0:45 offset1:108
.LBB150_359:                            ;   in Loop: Header=BB150_3 Depth=1
	s_or_b32 exec_lo, exec_lo, s11
	v_mov_b64_e32 v[40:41], 0
	s_wait_dscnt 0x0
	s_barrier_signal -1
	s_barrier_wait -1
	global_wb scope:SCOPE_DEV
	s_wait_storecnt 0x0
	global_inv scope:SCOPE_DEV
	s_and_saveexec_b32 s11, s3
	s_cbranch_execz .LBB150_365
; %bb.360:                              ;   in Loop: Header=BB150_3 Depth=1
	ds_load_b64 v[40:41], v54 offset:22848
	ds_load_b64 v[42:43], v55 offset:24416
	s_wait_dscnt 0x0
	v_dual_mul_f32 v0, v43, v41 :: v_dual_mul_f32 v41, v42, v41
	s_delay_alu instid0(VALU_DEP_1) | instskip(NEXT) | instid1(VALU_DEP_1)
	v_dual_fma_f32 v0, v42, v40, -v0 :: v_dual_fmac_f32 v41, v43, v40
	v_dual_add_f32 v40, 0, v0 :: v_dual_add_f32 v41, 0, v41
	s_and_saveexec_b32 s12, s18
	s_cbranch_execnz .LBB150_1138
; %bb.361:                              ;   in Loop: Header=BB150_3 Depth=1
	s_or_b32 exec_lo, exec_lo, s12
	s_and_saveexec_b32 s12, s19
	s_cbranch_execnz .LBB150_1139
.LBB150_362:                            ;   in Loop: Header=BB150_3 Depth=1
	s_or_b32 exec_lo, exec_lo, s12
	s_and_saveexec_b32 s12, s1
	s_cbranch_execz .LBB150_364
.LBB150_363:                            ;   in Loop: Header=BB150_3 Depth=1
	ds_load_b64 v[42:43], v57 offset:24384
	ds_load_b64 v[44:45], v1 offset:24440
	s_wait_dscnt 0x0
	v_dual_mul_f32 v0, v45, v43 :: v_dual_mul_f32 v43, v44, v43
	s_delay_alu instid0(VALU_DEP_1) | instskip(NEXT) | instid1(VALU_DEP_1)
	v_dual_fma_f32 v0, v44, v42, -v0 :: v_dual_fmac_f32 v43, v45, v42
	v_dual_add_f32 v40, v40, v0 :: v_dual_add_f32 v41, v41, v43
.LBB150_364:                            ;   in Loop: Header=BB150_3 Depth=1
	s_or_b32 exec_lo, exec_lo, s12
.LBB150_365:                            ;   in Loop: Header=BB150_3 Depth=1
	s_delay_alu instid0(SALU_CYCLE_1)
	s_or_b32 exec_lo, exec_lo, s11
	s_and_saveexec_b32 s11, s93
	s_cbranch_execz .LBB150_367
; %bb.366:                              ;   in Loop: Header=BB150_3 Depth=1
	ds_load_b64 v[42:43], v1 offset:22360
	s_wait_dscnt 0x0
	v_dual_mul_f32 v0, v41, v42 :: v_dual_mul_f32 v44, v41, v43
	s_delay_alu instid0(VALU_DEP_1) | instskip(NEXT) | instid1(VALU_DEP_2)
	v_pk_fma_f32 v[98:99], v[40:41], v[42:43], v[0:1] op_sel:[1,0,0] op_sel_hi:[0,1,0]
	v_pk_fma_f32 v[40:41], v[40:41], v[42:43], v[44:45] op_sel_hi:[1,1,0] neg_lo:[0,0,1] neg_hi:[0,0,1]
	s_delay_alu instid0(VALU_DEP_2) | instskip(NEXT) | instid1(VALU_DEP_1)
	v_mov_b32_e32 v41, v99
	v_pk_add_f32 v[42:43], v[40:41], 0 neg_lo:[1,1] neg_hi:[1,1]
	ds_store_b64 v53, v[42:43]
.LBB150_367:                            ;   in Loop: Header=BB150_3 Depth=1
	s_or_b32 exec_lo, exec_lo, s11
	s_wait_loadcnt_dscnt 0x0
	s_barrier_signal -1
	s_barrier_wait -1
	s_and_saveexec_b32 s11, s94
	s_cbranch_execz .LBB150_369
; %bb.368:                              ;   in Loop: Header=BB150_3 Depth=1
	ds_load_b64 v[42:43], v54 offset:22336
	ds_load_b64 v[44:45], v53
	s_wait_dscnt 0x0
	v_pk_mul_f32 v[98:99], v[44:45], v[42:43] op_sel:[1,1] op_sel_hi:[0,1]
	s_delay_alu instid0(VALU_DEP_1) | instskip(SKIP_1) | instid1(VALU_DEP_2)
	v_pk_fma_f32 v[100:101], v[44:45], v[42:43], v[98:99] op_sel_hi:[1,0,1]
	v_pk_fma_f32 v[42:43], v[44:45], v[42:43], v[98:99] neg_lo:[0,0,1] neg_hi:[0,0,1]
	v_mov_b32_e32 v43, v101
	s_delay_alu instid0(VALU_DEP_1)
	v_pk_add_f32 v[40:41], v[40:41], v[42:43] neg_lo:[0,1] neg_hi:[0,1]
.LBB150_369:                            ;   in Loop: Header=BB150_3 Depth=1
	s_or_b32 exec_lo, exec_lo, s11
	s_barrier_signal -1
	s_barrier_wait -1
	s_and_saveexec_b32 s11, s95
	s_cbranch_execz .LBB150_371
; %bb.370:                              ;   in Loop: Header=BB150_3 Depth=1
	ds_load_b64 v[42:43], v1 offset:21840
	s_wait_dscnt 0x0
	v_pk_mul_f32 v[44:45], v[40:41], v[42:43] op_sel:[1,1] op_sel_hi:[1,0]
	s_delay_alu instid0(VALU_DEP_1) | instskip(SKIP_1) | instid1(VALU_DEP_2)
	v_pk_fma_f32 v[98:99], v[40:41], v[42:43], v[44:45] op_sel_hi:[0,1,1]
	v_pk_fma_f32 v[40:41], v[40:41], v[42:43], v[44:45] neg_lo:[0,0,1] neg_hi:[0,0,1]
	v_mov_b32_e32 v41, v99
	s_delay_alu instid0(VALU_DEP_1)
	v_pk_add_f32 v[42:43], v[40:41], 0 neg_lo:[1,1] neg_hi:[1,1]
	ds_store_b64 v53, v[42:43]
.LBB150_371:                            ;   in Loop: Header=BB150_3 Depth=1
	s_or_b32 exec_lo, exec_lo, s11
	s_wait_dscnt 0x0
	s_barrier_signal -1
	s_barrier_wait -1
	s_and_saveexec_b32 s11, s96
	s_cbranch_execz .LBB150_373
; %bb.372:                              ;   in Loop: Header=BB150_3 Depth=1
	ds_load_b64 v[42:43], v54 offset:21824
	ds_load_b64 v[44:45], v53
	s_wait_dscnt 0x0
	v_pk_mul_f32 v[98:99], v[44:45], v[42:43] op_sel:[1,1] op_sel_hi:[0,1]
	s_delay_alu instid0(VALU_DEP_1) | instskip(SKIP_1) | instid1(VALU_DEP_2)
	v_pk_fma_f32 v[100:101], v[44:45], v[42:43], v[98:99] op_sel_hi:[1,0,1]
	v_pk_fma_f32 v[42:43], v[44:45], v[42:43], v[98:99] neg_lo:[0,0,1] neg_hi:[0,0,1]
	v_mov_b32_e32 v43, v101
	s_delay_alu instid0(VALU_DEP_1)
	v_pk_add_f32 v[40:41], v[40:41], v[42:43] neg_lo:[0,1] neg_hi:[0,1]
.LBB150_373:                            ;   in Loop: Header=BB150_3 Depth=1
	s_or_b32 exec_lo, exec_lo, s11
	s_barrier_signal -1
	s_barrier_wait -1
	s_and_saveexec_b32 s11, s97
	s_cbranch_execz .LBB150_375
; %bb.374:                              ;   in Loop: Header=BB150_3 Depth=1
	ds_load_b64 v[42:43], v1 offset:21320
	s_wait_dscnt 0x0
	v_pk_mul_f32 v[44:45], v[40:41], v[42:43] op_sel:[1,1] op_sel_hi:[1,0]
	s_delay_alu instid0(VALU_DEP_1) | instskip(SKIP_1) | instid1(VALU_DEP_2)
	v_pk_fma_f32 v[98:99], v[40:41], v[42:43], v[44:45] op_sel_hi:[0,1,1]
	v_pk_fma_f32 v[40:41], v[40:41], v[42:43], v[44:45] neg_lo:[0,0,1] neg_hi:[0,0,1]
	v_mov_b32_e32 v41, v99
	s_delay_alu instid0(VALU_DEP_1)
	v_pk_add_f32 v[42:43], v[40:41], 0 neg_lo:[1,1] neg_hi:[1,1]
	ds_store_b64 v53, v[42:43]
.LBB150_375:                            ;   in Loop: Header=BB150_3 Depth=1
	s_or_b32 exec_lo, exec_lo, s11
	s_wait_dscnt 0x0
	;; [unrolled: 35-line block ×3, first 2 shown]
	s_barrier_signal -1
	s_barrier_wait -1
	s_barrier_signal -1
	s_barrier_wait -1
	s_and_saveexec_b32 s11, s3
; %bb.380:                              ;   in Loop: Header=BB150_3 Depth=1
	ds_store_b64 v58, v[40:41] offset:24384
; %bb.381:                              ;   in Loop: Header=BB150_3 Depth=1
	s_or_b32 exec_lo, exec_lo, s11
	s_wait_dscnt 0x0
	s_barrier_signal -1
	s_barrier_wait -1
	s_barrier_signal -1
	s_barrier_wait -1
	s_and_saveexec_b32 s11, s99
	s_cbranch_execz .LBB150_383
; %bb.382:                              ;   in Loop: Header=BB150_3 Depth=1
	ds_load_b64 v[40:41], v59 offset:22848
	s_wait_dscnt 0x0
	ds_store_b64 v5, v[40:41] offset:20832
	ds_load_b64 v[40:41], v59 offset:22856
	s_wait_dscnt 0x0
	ds_store_b64 v5, v[40:41] offset:21344
	;; [unrolled: 3-line block ×4, first 2 shown]
.LBB150_383:                            ;   in Loop: Header=BB150_3 Depth=1
	s_or_b32 exec_lo, exec_lo, s11
	s_wait_dscnt 0x0
	s_barrier_signal -1
	s_barrier_wait -1
	s_and_saveexec_b32 s11, s14
	s_cbranch_execz .LBB150_385
; %bb.384:                              ;   in Loop: Header=BB150_3 Depth=1
	v_add_nc_u32_e64 v0, 0x150, 0
	ds_load_b64 v[44:45], v1 offset:22360
	ds_load_2addr_stride64_b64 v[40:43], v0 offset0:42 offset1:43
	s_wait_dscnt 0x0
	v_dual_mul_f32 v97, v45, v41 :: v_dual_mul_f32 v0, v44, v41
	s_delay_alu instid0(VALU_DEP_1) | instskip(NEXT) | instid1(VALU_DEP_1)
	v_xor_b32_e32 v98, 0x80000000, v97
	v_dual_fmac_f32 v0, v45, v40 :: v_dual_fmac_f32 v98, v44, v40
	s_delay_alu instid0(VALU_DEP_1) | instskip(SKIP_1) | instid1(VALU_DEP_2)
	v_pk_mul_f32 v[40:41], v[0:1], v[42:43] op_sel:[0,1] op_sel_hi:[0,0]
	v_add_nc_u32_e64 v0, 0x5000, 0
	v_pk_fma_f32 v[44:45], v[98:99], v[42:43], v[40:41] op_sel_hi:[0,1,1]
	v_pk_fma_f32 v[40:41], v[98:99], v[42:43], v[40:41] neg_lo:[0,0,1] neg_hi:[0,0,1]
	s_delay_alu instid0(VALU_DEP_2)
	v_mov_b32_e32 v41, v45
	ds_store_2addr_b64 v0, v[40:41], v[40:41] offset0:171 offset1:234
.LBB150_385:                            ;   in Loop: Header=BB150_3 Depth=1
	s_or_b32 exec_lo, exec_lo, s11
	v_dual_mov_b32 v40, 0 :: v_dual_mov_b32 v41, 0
	s_wait_dscnt 0x0
	s_barrier_signal -1
	s_barrier_wait -1
	global_wb scope:SCOPE_DEV
	s_wait_storecnt 0x0
	global_inv scope:SCOPE_DEV
	s_and_saveexec_b32 s11, s1
	s_cbranch_execz .LBB150_389
; %bb.386:                              ;   in Loop: Header=BB150_3 Depth=1
	ds_load_b64 v[40:41], v48 offset:21824
	ds_load_b64 v[42:43], v49 offset:22352
	s_wait_dscnt 0x0
	v_pk_mul_f32 v[44:45], v[42:43], v[40:41] op_sel:[1,1] op_sel_hi:[0,1]
	s_delay_alu instid0(VALU_DEP_1) | instskip(SKIP_1) | instid1(VALU_DEP_2)
	v_pk_fma_f32 v[98:99], v[42:43], v[40:41], v[44:45] op_sel_hi:[1,0,1]
	v_pk_fma_f32 v[40:41], v[42:43], v[40:41], v[44:45] neg_lo:[0,0,1] neg_hi:[0,0,1]
	v_mov_b32_e32 v41, v99
	s_delay_alu instid0(VALU_DEP_1)
	v_pk_add_f32 v[40:41], v[40:41], 0 op_sel_hi:[1,0]
	s_and_saveexec_b32 s12, s17
	s_cbranch_execz .LBB150_388
; %bb.387:                              ;   in Loop: Header=BB150_3 Depth=1
	ds_load_b64 v[42:43], v5 offset:22336
	ds_load_b64 v[44:45], v1 offset:22360
	s_wait_dscnt 0x0
	v_pk_mul_f32 v[98:99], v[44:45], v[42:43] op_sel:[1,1] op_sel_hi:[0,1]
	s_delay_alu instid0(VALU_DEP_1) | instskip(SKIP_1) | instid1(VALU_DEP_2)
	v_pk_fma_f32 v[100:101], v[44:45], v[42:43], v[98:99] op_sel_hi:[1,0,1]
	v_pk_fma_f32 v[42:43], v[44:45], v[42:43], v[98:99] neg_lo:[0,0,1] neg_hi:[0,0,1]
	v_mov_b32_e32 v43, v101
	s_delay_alu instid0(VALU_DEP_1)
	v_pk_add_f32 v[40:41], v[40:41], v[42:43]
.LBB150_388:                            ;   in Loop: Header=BB150_3 Depth=1
	s_or_b32 exec_lo, exec_lo, s12
.LBB150_389:                            ;   in Loop: Header=BB150_3 Depth=1
	s_delay_alu instid0(SALU_CYCLE_1)
	s_or_b32 exec_lo, exec_lo, s11
	s_and_saveexec_b32 s11, s90
	s_cbranch_execz .LBB150_391
; %bb.390:                              ;   in Loop: Header=BB150_3 Depth=1
	ds_load_b64 v[42:43], v1 offset:21320
	s_wait_dscnt 0x0
	v_pk_mul_f32 v[44:45], v[40:41], v[42:43] op_sel:[1,1] op_sel_hi:[1,0]
	s_delay_alu instid0(VALU_DEP_1) | instskip(SKIP_1) | instid1(VALU_DEP_2)
	v_pk_fma_f32 v[98:99], v[40:41], v[42:43], v[44:45] op_sel_hi:[0,1,1]
	v_pk_fma_f32 v[40:41], v[40:41], v[42:43], v[44:45] neg_lo:[0,0,1] neg_hi:[0,0,1]
	v_mov_b32_e32 v41, v99
	s_delay_alu instid0(VALU_DEP_1)
	v_pk_add_f32 v[42:43], v[40:41], 0 neg_lo:[1,1] neg_hi:[1,1]
	ds_store_b64 v3, v[42:43]
.LBB150_391:                            ;   in Loop: Header=BB150_3 Depth=1
	s_or_b32 exec_lo, exec_lo, s11
	s_wait_loadcnt_dscnt 0x0
	s_barrier_signal -1
	s_barrier_wait -1
	s_and_saveexec_b32 s11, s91
	s_cbranch_execz .LBB150_393
; %bb.392:                              ;   in Loop: Header=BB150_3 Depth=1
	ds_load_b64 v[42:43], v1 offset:21312
	ds_load_b64 v[44:45], v3
	s_wait_dscnt 0x0
	v_pk_mul_f32 v[98:99], v[44:45], v[42:43] op_sel:[1,1] op_sel_hi:[0,1]
	s_delay_alu instid0(VALU_DEP_1) | instskip(SKIP_1) | instid1(VALU_DEP_2)
	v_pk_fma_f32 v[100:101], v[44:45], v[42:43], v[98:99] op_sel_hi:[1,0,1]
	v_pk_fma_f32 v[42:43], v[44:45], v[42:43], v[98:99] neg_lo:[0,0,1] neg_hi:[0,0,1]
	v_mov_b32_e32 v43, v101
	s_delay_alu instid0(VALU_DEP_1)
	v_pk_add_f32 v[40:41], v[40:41], v[42:43] neg_lo:[0,1] neg_hi:[0,1]
.LBB150_393:                            ;   in Loop: Header=BB150_3 Depth=1
	s_or_b32 exec_lo, exec_lo, s11
	s_barrier_signal -1
	s_barrier_wait -1
	s_and_saveexec_b32 s11, s91
	s_cbranch_execz .LBB150_395
; %bb.394:                              ;   in Loop: Header=BB150_3 Depth=1
	ds_load_b64 v[42:43], v1 offset:20800
	s_wait_dscnt 0x0
	v_pk_mul_f32 v[44:45], v[40:41], v[42:43] op_sel:[1,1] op_sel_hi:[1,0]
	s_delay_alu instid0(VALU_DEP_1) | instskip(SKIP_1) | instid1(VALU_DEP_2)
	v_pk_fma_f32 v[98:99], v[40:41], v[42:43], v[44:45] op_sel_hi:[0,1,1]
	v_pk_fma_f32 v[40:41], v[40:41], v[42:43], v[44:45] neg_lo:[0,0,1] neg_hi:[0,0,1]
	v_mov_b32_e32 v41, v99
	s_delay_alu instid0(VALU_DEP_1)
	v_pk_add_f32 v[42:43], v[40:41], 0 neg_lo:[1,1] neg_hi:[1,1]
	ds_store_b64 v3, v[42:43]
.LBB150_395:                            ;   in Loop: Header=BB150_3 Depth=1
	s_or_b32 exec_lo, exec_lo, s11
	s_wait_dscnt 0x0
	s_barrier_signal -1
	s_barrier_wait -1
	s_barrier_signal -1
	s_barrier_wait -1
	s_and_saveexec_b32 s11, s1
; %bb.396:                              ;   in Loop: Header=BB150_3 Depth=1
	ds_store_b64 v51, v[40:41] offset:22336
; %bb.397:                              ;   in Loop: Header=BB150_3 Depth=1
	s_or_b32 exec_lo, exec_lo, s11
	s_wait_dscnt 0x0
	s_barrier_signal -1
	s_barrier_wait -1
	s_barrier_signal -1
	s_barrier_wait -1
	s_and_saveexec_b32 s11, s92
	s_cbranch_execz .LBB150_399
; %bb.398:                              ;   in Loop: Header=BB150_3 Depth=1
	ds_load_b64 v[40:41], v73 offset:21824
	s_wait_dscnt 0x0
	ds_store_b64 v5, v[40:41] offset:20816
	ds_load_b64 v[40:41], v73 offset:21832
	s_wait_dscnt 0x0
	ds_store_b64 v5, v[40:41] offset:21328
.LBB150_399:                            ;   in Loop: Header=BB150_3 Depth=1
	s_or_b32 exec_lo, exec_lo, s11
	s_wait_dscnt 0x0
	s_barrier_signal -1
	s_barrier_wait -1
	s_and_saveexec_b32 s11, s14
	s_cbranch_execz .LBB150_401
; %bb.400:                              ;   in Loop: Header=BB150_3 Depth=1
	v_add_nc_u32_e64 v0, 0x140, 0
	ds_load_b64 v[44:45], v1 offset:21320
	ds_load_2addr_stride64_b64 v[40:43], v0 offset0:40 offset1:41
	s_wait_dscnt 0x0
	v_dual_mul_f32 v97, v45, v41 :: v_dual_mul_f32 v0, v44, v41
	s_delay_alu instid0(VALU_DEP_1) | instskip(NEXT) | instid1(VALU_DEP_1)
	v_xor_b32_e32 v98, 0x80000000, v97
	v_dual_fmac_f32 v0, v45, v40 :: v_dual_fmac_f32 v98, v44, v40
	s_delay_alu instid0(VALU_DEP_1) | instskip(SKIP_1) | instid1(VALU_DEP_2)
	v_pk_mul_f32 v[40:41], v[0:1], v[42:43] op_sel:[0,1] op_sel_hi:[0,0]
	v_add_nc_u32_e64 v0, 0x5000, 0
	v_pk_fma_f32 v[44:45], v[98:99], v[42:43], v[40:41] op_sel_hi:[0,1,1]
	v_pk_fma_f32 v[40:41], v[98:99], v[42:43], v[40:41] neg_lo:[0,0,1] neg_hi:[0,0,1]
	s_delay_alu instid0(VALU_DEP_2)
	v_mov_b32_e32 v41, v45
	ds_store_2addr_b64 v0, v[40:41], v[40:41] offset0:41 offset1:104
.LBB150_401:                            ;   in Loop: Header=BB150_3 Depth=1
	s_or_b32 exec_lo, exec_lo, s11
	v_mov_b64_e32 v[40:41], 0
	s_wait_dscnt 0x0
	s_barrier_signal -1
	s_barrier_wait -1
	global_wb scope:SCOPE_DEV
	s_wait_storecnt 0x0
	global_inv scope:SCOPE_DEV
	s_and_saveexec_b32 s11, s4
	s_cbranch_execz .LBB150_411
; %bb.402:                              ;   in Loop: Header=BB150_3 Depth=1
	ds_load_b64 v[40:41], v61 offset:20736
	ds_load_b64 v[42:43], v62 offset:24384
	s_wait_dscnt 0x0
	v_dual_mul_f32 v0, v43, v41 :: v_dual_mul_f32 v41, v42, v41
	s_delay_alu instid0(VALU_DEP_1) | instskip(NEXT) | instid1(VALU_DEP_1)
	v_dual_fma_f32 v0, v42, v40, -v0 :: v_dual_fmac_f32 v41, v43, v40
	v_dual_add_f32 v40, 0, v0 :: v_dual_add_f32 v41, 0, v41
	s_and_saveexec_b32 s12, s20
	s_cbranch_execnz .LBB150_1140
; %bb.403:                              ;   in Loop: Header=BB150_3 Depth=1
	s_or_b32 exec_lo, exec_lo, s12
	s_and_saveexec_b32 s12, s21
	s_cbranch_execnz .LBB150_1141
.LBB150_404:                            ;   in Loop: Header=BB150_3 Depth=1
	s_or_b32 exec_lo, exec_lo, s12
	s_and_saveexec_b32 s12, s22
	s_cbranch_execnz .LBB150_1142
.LBB150_405:                            ;   in Loop: Header=BB150_3 Depth=1
	s_or_b32 exec_lo, exec_lo, s12
	s_and_saveexec_b32 s12, s23
	s_cbranch_execnz .LBB150_1143
.LBB150_406:                            ;   in Loop: Header=BB150_3 Depth=1
	s_or_b32 exec_lo, exec_lo, s12
	s_and_saveexec_b32 s12, s24
	s_cbranch_execnz .LBB150_1144
.LBB150_407:                            ;   in Loop: Header=BB150_3 Depth=1
	s_or_b32 exec_lo, exec_lo, s12
	s_and_saveexec_b32 s12, s3
	s_cbranch_execnz .LBB150_1145
.LBB150_408:                            ;   in Loop: Header=BB150_3 Depth=1
	s_or_b32 exec_lo, exec_lo, s12
	s_and_saveexec_b32 s12, s19
	s_cbranch_execz .LBB150_410
.LBB150_409:                            ;   in Loop: Header=BB150_3 Depth=1
	ds_load_b64 v[42:43], v74 offset:24320
	ds_load_b64 v[44:45], v1 offset:24440
	s_wait_dscnt 0x0
	v_dual_mul_f32 v0, v45, v43 :: v_dual_mul_f32 v99, v44, v43
	s_delay_alu instid0(VALU_DEP_1) | instskip(NEXT) | instid1(VALU_DEP_1)
	v_dual_fma_f32 v98, v44, v42, -v0 :: v_dual_fmac_f32 v99, v45, v42
	v_pk_add_f32 v[40:41], v[40:41], v[98:99]
.LBB150_410:                            ;   in Loop: Header=BB150_3 Depth=1
	s_or_b32 exec_lo, exec_lo, s12
.LBB150_411:                            ;   in Loop: Header=BB150_3 Depth=1
	s_delay_alu instid0(SALU_CYCLE_1)
	s_or_b32 exec_lo, exec_lo, s11
	s_and_saveexec_b32 s11, s100
	s_cbranch_execz .LBB150_413
; %bb.412:                              ;   in Loop: Header=BB150_3 Depth=1
	ds_load_b64 v[42:43], v1 offset:20280
	s_wait_dscnt 0x0
	v_pk_mul_f32 v[44:45], v[40:41], v[42:43] op_sel:[1,1] op_sel_hi:[1,0]
	s_delay_alu instid0(VALU_DEP_1) | instskip(SKIP_1) | instid1(VALU_DEP_2)
	v_pk_fma_f32 v[98:99], v[40:41], v[42:43], v[44:45] op_sel_hi:[0,1,1]
	v_pk_fma_f32 v[40:41], v[40:41], v[42:43], v[44:45] neg_lo:[0,0,1] neg_hi:[0,0,1]
	v_mov_b32_e32 v41, v99
	s_delay_alu instid0(VALU_DEP_1)
	v_pk_add_f32 v[42:43], v[40:41], 0 neg_lo:[1,1] neg_hi:[1,1]
	ds_store_b64 v60, v[42:43]
.LBB150_413:                            ;   in Loop: Header=BB150_3 Depth=1
	s_or_b32 exec_lo, exec_lo, s11
	s_wait_loadcnt_dscnt 0x0
	s_barrier_signal -1
	s_barrier_wait -1
	s_and_saveexec_b32 s11, s101
	s_cbranch_execz .LBB150_415
; %bb.414:                              ;   in Loop: Header=BB150_3 Depth=1
	ds_load_b64 v[42:43], v61 offset:20224
	ds_load_b64 v[44:45], v60
	s_wait_dscnt 0x0
	v_pk_mul_f32 v[98:99], v[44:45], v[42:43] op_sel:[1,1] op_sel_hi:[0,1]
	s_delay_alu instid0(VALU_DEP_1) | instskip(SKIP_1) | instid1(VALU_DEP_2)
	v_pk_fma_f32 v[100:101], v[44:45], v[42:43], v[98:99] op_sel_hi:[1,0,1]
	v_pk_fma_f32 v[42:43], v[44:45], v[42:43], v[98:99] neg_lo:[0,0,1] neg_hi:[0,0,1]
	v_mov_b32_e32 v43, v101
	s_delay_alu instid0(VALU_DEP_1)
	v_pk_add_f32 v[40:41], v[40:41], v[42:43] neg_lo:[0,1] neg_hi:[0,1]
.LBB150_415:                            ;   in Loop: Header=BB150_3 Depth=1
	s_or_b32 exec_lo, exec_lo, s11
	s_barrier_signal -1
	s_barrier_wait -1
	s_and_saveexec_b32 s11, s102
	s_cbranch_execz .LBB150_417
; %bb.416:                              ;   in Loop: Header=BB150_3 Depth=1
	ds_load_b64 v[42:43], v1 offset:19760
	s_wait_dscnt 0x0
	v_pk_mul_f32 v[44:45], v[40:41], v[42:43] op_sel:[1,1] op_sel_hi:[1,0]
	s_delay_alu instid0(VALU_DEP_1) | instskip(SKIP_1) | instid1(VALU_DEP_2)
	v_pk_fma_f32 v[98:99], v[40:41], v[42:43], v[44:45] op_sel_hi:[0,1,1]
	v_pk_fma_f32 v[40:41], v[40:41], v[42:43], v[44:45] neg_lo:[0,0,1] neg_hi:[0,0,1]
	v_mov_b32_e32 v41, v99
	s_delay_alu instid0(VALU_DEP_1)
	v_pk_add_f32 v[42:43], v[40:41], 0 neg_lo:[1,1] neg_hi:[1,1]
	ds_store_b64 v60, v[42:43]
.LBB150_417:                            ;   in Loop: Header=BB150_3 Depth=1
	s_or_b32 exec_lo, exec_lo, s11
	s_wait_dscnt 0x0
	s_barrier_signal -1
	s_barrier_wait -1
	s_and_saveexec_b32 s11, s103
	s_cbranch_execz .LBB150_419
; %bb.418:                              ;   in Loop: Header=BB150_3 Depth=1
	ds_load_b64 v[42:43], v61 offset:19712
	ds_load_b64 v[44:45], v60
	s_wait_dscnt 0x0
	v_pk_mul_f32 v[98:99], v[44:45], v[42:43] op_sel:[1,1] op_sel_hi:[0,1]
	s_delay_alu instid0(VALU_DEP_1) | instskip(SKIP_1) | instid1(VALU_DEP_2)
	v_pk_fma_f32 v[100:101], v[44:45], v[42:43], v[98:99] op_sel_hi:[1,0,1]
	v_pk_fma_f32 v[42:43], v[44:45], v[42:43], v[98:99] neg_lo:[0,0,1] neg_hi:[0,0,1]
	v_mov_b32_e32 v43, v101
	s_delay_alu instid0(VALU_DEP_1)
	v_pk_add_f32 v[40:41], v[40:41], v[42:43] neg_lo:[0,1] neg_hi:[0,1]
.LBB150_419:                            ;   in Loop: Header=BB150_3 Depth=1
	s_or_b32 exec_lo, exec_lo, s11
	s_barrier_signal -1
	s_barrier_wait -1
	s_and_saveexec_b32 s11, s104
	s_cbranch_execz .LBB150_421
; %bb.420:                              ;   in Loop: Header=BB150_3 Depth=1
	ds_load_b64 v[42:43], v1 offset:19240
	s_wait_dscnt 0x0
	v_pk_mul_f32 v[44:45], v[40:41], v[42:43] op_sel:[1,1] op_sel_hi:[1,0]
	s_delay_alu instid0(VALU_DEP_1) | instskip(SKIP_1) | instid1(VALU_DEP_2)
	v_pk_fma_f32 v[98:99], v[40:41], v[42:43], v[44:45] op_sel_hi:[0,1,1]
	v_pk_fma_f32 v[40:41], v[40:41], v[42:43], v[44:45] neg_lo:[0,0,1] neg_hi:[0,0,1]
	v_mov_b32_e32 v41, v99
	s_delay_alu instid0(VALU_DEP_1)
	v_pk_add_f32 v[42:43], v[40:41], 0 neg_lo:[1,1] neg_hi:[1,1]
	ds_store_b64 v60, v[42:43]
.LBB150_421:                            ;   in Loop: Header=BB150_3 Depth=1
	s_or_b32 exec_lo, exec_lo, s11
	s_wait_dscnt 0x0
	s_barrier_signal -1
	s_barrier_wait -1
	s_and_saveexec_b32 s11, vcc_hi
	s_cbranch_execz .LBB150_423
; %bb.422:                              ;   in Loop: Header=BB150_3 Depth=1
	ds_load_b64 v[42:43], v61 offset:19200
	ds_load_b64 v[44:45], v60
	s_wait_dscnt 0x0
	v_pk_mul_f32 v[98:99], v[44:45], v[42:43] op_sel:[1,1] op_sel_hi:[0,1]
	s_delay_alu instid0(VALU_DEP_1) | instskip(SKIP_1) | instid1(VALU_DEP_2)
	v_pk_fma_f32 v[100:101], v[44:45], v[42:43], v[98:99] op_sel_hi:[1,0,1]
	v_pk_fma_f32 v[42:43], v[44:45], v[42:43], v[98:99] neg_lo:[0,0,1] neg_hi:[0,0,1]
	v_mov_b32_e32 v43, v101
	s_delay_alu instid0(VALU_DEP_1)
	v_pk_add_f32 v[40:41], v[40:41], v[42:43] neg_lo:[0,1] neg_hi:[0,1]
.LBB150_423:                            ;   in Loop: Header=BB150_3 Depth=1
	s_or_b32 exec_lo, exec_lo, s11
	s_barrier_signal -1
	s_barrier_wait -1
	s_and_saveexec_b32 s11, s15
	s_cbranch_execz .LBB150_425
; %bb.424:                              ;   in Loop: Header=BB150_3 Depth=1
	ds_load_b64 v[42:43], v1 offset:18720
	s_wait_dscnt 0x0
	v_pk_mul_f32 v[44:45], v[40:41], v[42:43]
	v_pk_mul_f32 v[40:41], v[40:41], v[42:43] op_sel:[1,0] op_sel_hi:[0,1]
	s_delay_alu instid0(VALU_DEP_1) | instskip(NEXT) | instid1(VALU_DEP_3)
	v_dual_mov_b32 v42, v44 :: v_dual_mov_b32 v43, v40
	v_mov_b32_e32 v40, v45
	s_delay_alu instid0(VALU_DEP_1) | instskip(SKIP_1) | instid1(VALU_DEP_2)
	v_pk_add_f32 v[44:45], v[42:43], v[40:41]
	v_pk_add_f32 v[40:41], v[42:43], v[40:41] neg_lo:[0,1] neg_hi:[0,1]
	v_mov_b32_e32 v41, v45
	s_delay_alu instid0(VALU_DEP_1)
	v_pk_add_f32 v[42:43], v[40:41], 0 neg_lo:[1,1] neg_hi:[1,1]
	ds_store_b64 v60, v[42:43]
.LBB150_425:                            ;   in Loop: Header=BB150_3 Depth=1
	s_or_b32 exec_lo, exec_lo, s11
	s_wait_dscnt 0x0
	s_barrier_signal -1
	s_barrier_wait -1
	s_and_saveexec_b32 s11, s40
	s_cbranch_execz .LBB150_427
; %bb.426:                              ;   in Loop: Header=BB150_3 Depth=1
	ds_load_b64 v[42:43], v61 offset:18688
	ds_load_b64 v[44:45], v60
	s_wait_dscnt 0x0
	v_dual_mul_f32 v0, v45, v43 :: v_dual_mul_f32 v43, v44, v43
	s_delay_alu instid0(VALU_DEP_1) | instskip(NEXT) | instid1(VALU_DEP_1)
	v_dual_fma_f32 v0, v44, v42, -v0 :: v_dual_fmac_f32 v43, v45, v42
	v_dual_sub_f32 v40, v40, v0 :: v_dual_sub_f32 v41, v41, v43
.LBB150_427:                            ;   in Loop: Header=BB150_3 Depth=1
	s_or_b32 exec_lo, exec_lo, s11
	s_barrier_signal -1
	s_barrier_wait -1
	s_and_saveexec_b32 s11, s41
	s_cbranch_execz .LBB150_429
; %bb.428:                              ;   in Loop: Header=BB150_3 Depth=1
	ds_load_b64 v[42:43], v1 offset:18200
	s_wait_dscnt 0x0
	v_dual_mul_f32 v0, v41, v42 :: v_dual_mul_f32 v44, v41, v43
	s_delay_alu instid0(VALU_DEP_1) | instskip(NEXT) | instid1(VALU_DEP_2)
	v_pk_fma_f32 v[98:99], v[40:41], v[42:43], v[0:1] op_sel:[1,0,0] op_sel_hi:[0,1,0]
	v_pk_fma_f32 v[40:41], v[40:41], v[42:43], v[44:45] op_sel_hi:[1,1,0] neg_lo:[0,0,1] neg_hi:[0,0,1]
	s_delay_alu instid0(VALU_DEP_2) | instskip(NEXT) | instid1(VALU_DEP_1)
	v_mov_b32_e32 v41, v99
	v_pk_add_f32 v[42:43], v[40:41], 0 neg_lo:[1,1] neg_hi:[1,1]
	ds_store_b64 v60, v[42:43]
.LBB150_429:                            ;   in Loop: Header=BB150_3 Depth=1
	s_or_b32 exec_lo, exec_lo, s11
	s_wait_dscnt 0x0
	s_barrier_signal -1
	s_barrier_wait -1
	s_and_saveexec_b32 s11, s42
	s_cbranch_execz .LBB150_431
; %bb.430:                              ;   in Loop: Header=BB150_3 Depth=1
	ds_load_b64 v[42:43], v61 offset:18176
	ds_load_b64 v[44:45], v60
	s_wait_dscnt 0x0
	v_pk_mul_f32 v[98:99], v[44:45], v[42:43] op_sel:[1,1] op_sel_hi:[0,1]
	s_delay_alu instid0(VALU_DEP_1) | instskip(SKIP_1) | instid1(VALU_DEP_2)
	v_pk_fma_f32 v[100:101], v[44:45], v[42:43], v[98:99] op_sel_hi:[1,0,1]
	v_pk_fma_f32 v[42:43], v[44:45], v[42:43], v[98:99] neg_lo:[0,0,1] neg_hi:[0,0,1]
	v_mov_b32_e32 v43, v101
	s_delay_alu instid0(VALU_DEP_1)
	v_pk_add_f32 v[40:41], v[40:41], v[42:43] neg_lo:[0,1] neg_hi:[0,1]
.LBB150_431:                            ;   in Loop: Header=BB150_3 Depth=1
	s_or_b32 exec_lo, exec_lo, s11
	s_barrier_signal -1
	s_barrier_wait -1
	s_and_saveexec_b32 s11, s43
	s_cbranch_execz .LBB150_433
; %bb.432:                              ;   in Loop: Header=BB150_3 Depth=1
	ds_load_b64 v[42:43], v1 offset:17680
	s_wait_dscnt 0x0
	v_pk_mul_f32 v[44:45], v[40:41], v[42:43] op_sel:[1,1] op_sel_hi:[1,0]
	s_delay_alu instid0(VALU_DEP_1) | instskip(SKIP_1) | instid1(VALU_DEP_2)
	v_pk_fma_f32 v[98:99], v[40:41], v[42:43], v[44:45] op_sel_hi:[0,1,1]
	v_pk_fma_f32 v[40:41], v[40:41], v[42:43], v[44:45] neg_lo:[0,0,1] neg_hi:[0,0,1]
	v_mov_b32_e32 v41, v99
	s_delay_alu instid0(VALU_DEP_1)
	v_pk_add_f32 v[42:43], v[40:41], 0 neg_lo:[1,1] neg_hi:[1,1]
	ds_store_b64 v60, v[42:43]
.LBB150_433:                            ;   in Loop: Header=BB150_3 Depth=1
	s_or_b32 exec_lo, exec_lo, s11
	s_wait_dscnt 0x0
	s_barrier_signal -1
	s_barrier_wait -1
	s_and_saveexec_b32 s11, s44
	s_cbranch_execz .LBB150_435
; %bb.434:                              ;   in Loop: Header=BB150_3 Depth=1
	ds_load_b64 v[42:43], v61 offset:17664
	ds_load_b64 v[44:45], v60
	s_wait_dscnt 0x0
	v_pk_mul_f32 v[98:99], v[44:45], v[42:43] op_sel:[1,1] op_sel_hi:[0,1]
	s_delay_alu instid0(VALU_DEP_1) | instskip(SKIP_1) | instid1(VALU_DEP_2)
	v_pk_fma_f32 v[100:101], v[44:45], v[42:43], v[98:99] op_sel_hi:[1,0,1]
	v_pk_fma_f32 v[42:43], v[44:45], v[42:43], v[98:99] neg_lo:[0,0,1] neg_hi:[0,0,1]
	v_mov_b32_e32 v43, v101
	s_delay_alu instid0(VALU_DEP_1)
	v_pk_add_f32 v[40:41], v[40:41], v[42:43] neg_lo:[0,1] neg_hi:[0,1]
.LBB150_435:                            ;   in Loop: Header=BB150_3 Depth=1
	s_or_b32 exec_lo, exec_lo, s11
	s_barrier_signal -1
	s_barrier_wait -1
	s_and_saveexec_b32 s11, s45
	s_cbranch_execz .LBB150_437
; %bb.436:                              ;   in Loop: Header=BB150_3 Depth=1
	ds_load_b64 v[42:43], v1 offset:17160
	s_wait_dscnt 0x0
	v_pk_mul_f32 v[44:45], v[40:41], v[42:43] op_sel:[1,1] op_sel_hi:[1,0]
	s_delay_alu instid0(VALU_DEP_1) | instskip(SKIP_1) | instid1(VALU_DEP_2)
	v_pk_fma_f32 v[98:99], v[40:41], v[42:43], v[44:45] op_sel_hi:[0,1,1]
	v_pk_fma_f32 v[40:41], v[40:41], v[42:43], v[44:45] neg_lo:[0,0,1] neg_hi:[0,0,1]
	v_mov_b32_e32 v41, v99
	s_delay_alu instid0(VALU_DEP_1)
	v_pk_add_f32 v[42:43], v[40:41], 0 neg_lo:[1,1] neg_hi:[1,1]
	ds_store_b64 v60, v[42:43]
.LBB150_437:                            ;   in Loop: Header=BB150_3 Depth=1
	;; [unrolled: 35-line block ×3, first 2 shown]
	s_or_b32 exec_lo, exec_lo, s11
	s_wait_dscnt 0x0
	s_barrier_signal -1
	s_barrier_wait -1
	s_barrier_signal -1
	s_barrier_wait -1
	s_and_saveexec_b32 s11, s4
; %bb.442:                              ;   in Loop: Header=BB150_3 Depth=1
	ds_store_b64 v63, v[40:41] offset:24320
; %bb.443:                              ;   in Loop: Header=BB150_3 Depth=1
	s_or_b32 exec_lo, exec_lo, s11
	s_wait_dscnt 0x0
	s_barrier_signal -1
	s_barrier_wait -1
	s_barrier_signal -1
	s_barrier_wait -1
	s_and_saveexec_b32 s11, s47
	s_cbranch_execz .LBB150_445
; %bb.444:                              ;   in Loop: Header=BB150_3 Depth=1
	ds_load_b64 v[40:41], v75 offset:20736
	s_wait_dscnt 0x0
	ds_store_b64 v76, v[40:41] offset:16704
	ds_load_b64 v[40:41], v75 offset:20744
	s_wait_dscnt 0x0
	ds_store_b64 v76, v[40:41] offset:17216
	;; [unrolled: 3-line block ×8, first 2 shown]
.LBB150_445:                            ;   in Loop: Header=BB150_3 Depth=1
	s_or_b32 exec_lo, exec_lo, s11
	s_wait_dscnt 0x0
	s_barrier_signal -1
	s_barrier_wait -1
	s_and_saveexec_b32 s11, s14
	s_cbranch_execz .LBB150_447
; %bb.446:                              ;   in Loop: Header=BB150_3 Depth=1
	v_add_nc_u32_e64 v0, 0x130, 0
	ds_load_b64 v[44:45], v1 offset:20280
	ds_load_2addr_stride64_b64 v[40:43], v0 offset0:38 offset1:39
	s_wait_dscnt 0x0
	v_dual_mul_f32 v97, v45, v41 :: v_dual_mul_f32 v0, v44, v41
	s_delay_alu instid0(VALU_DEP_1) | instskip(NEXT) | instid1(VALU_DEP_1)
	v_xor_b32_e32 v98, 0x80000000, v97
	v_dual_fmac_f32 v0, v45, v40 :: v_dual_fmac_f32 v98, v44, v40
	s_delay_alu instid0(VALU_DEP_1) | instskip(SKIP_1) | instid1(VALU_DEP_2)
	v_pk_mul_f32 v[40:41], v[0:1], v[42:43] op_sel:[0,1] op_sel_hi:[0,0]
	v_add_nc_u32_e64 v0, 0x4800, 0
	v_pk_fma_f32 v[44:45], v[98:99], v[42:43], v[40:41] op_sel_hi:[0,1,1]
	v_pk_fma_f32 v[40:41], v[98:99], v[42:43], v[40:41] neg_lo:[0,0,1] neg_hi:[0,0,1]
	s_delay_alu instid0(VALU_DEP_2)
	v_mov_b32_e32 v41, v45
	ds_store_2addr_b64 v0, v[40:41], v[40:41] offset0:167 offset1:230
.LBB150_447:                            ;   in Loop: Header=BB150_3 Depth=1
	s_or_b32 exec_lo, exec_lo, s11
	v_dual_mov_b32 v40, 0 :: v_dual_mov_b32 v41, 0
	s_wait_dscnt 0x0
	s_barrier_signal -1
	s_barrier_wait -1
	global_wb scope:SCOPE_DEV
	s_wait_storecnt 0x0
	global_inv scope:SCOPE_DEV
	s_and_saveexec_b32 s11, s1
	s_cbranch_execz .LBB150_451
; %bb.448:                              ;   in Loop: Header=BB150_3 Depth=1
	ds_load_b64 v[40:41], v48 offset:19744
	ds_load_b64 v[42:43], v49 offset:20272
	s_wait_dscnt 0x0
	v_pk_mul_f32 v[44:45], v[42:43], v[40:41] op_sel:[1,1] op_sel_hi:[0,1]
	s_delay_alu instid0(VALU_DEP_1) | instskip(SKIP_1) | instid1(VALU_DEP_2)
	v_pk_fma_f32 v[98:99], v[42:43], v[40:41], v[44:45] op_sel_hi:[1,0,1]
	v_pk_fma_f32 v[40:41], v[42:43], v[40:41], v[44:45] neg_lo:[0,0,1] neg_hi:[0,0,1]
	v_mov_b32_e32 v41, v99
	s_delay_alu instid0(VALU_DEP_1)
	v_pk_add_f32 v[40:41], v[40:41], 0 op_sel_hi:[1,0]
	s_and_saveexec_b32 s12, s17
	s_cbranch_execz .LBB150_450
; %bb.449:                              ;   in Loop: Header=BB150_3 Depth=1
	ds_load_b64 v[42:43], v76 offset:20256
	ds_load_b64 v[44:45], v1 offset:20280
	s_wait_dscnt 0x0
	v_pk_mul_f32 v[98:99], v[44:45], v[42:43] op_sel:[1,1] op_sel_hi:[0,1]
	s_delay_alu instid0(VALU_DEP_1) | instskip(SKIP_1) | instid1(VALU_DEP_2)
	v_pk_fma_f32 v[100:101], v[44:45], v[42:43], v[98:99] op_sel_hi:[1,0,1]
	v_pk_fma_f32 v[42:43], v[44:45], v[42:43], v[98:99] neg_lo:[0,0,1] neg_hi:[0,0,1]
	v_mov_b32_e32 v43, v101
	s_delay_alu instid0(VALU_DEP_1)
	v_pk_add_f32 v[40:41], v[40:41], v[42:43]
.LBB150_450:                            ;   in Loop: Header=BB150_3 Depth=1
	s_or_b32 exec_lo, exec_lo, s12
.LBB150_451:                            ;   in Loop: Header=BB150_3 Depth=1
	s_delay_alu instid0(SALU_CYCLE_1)
	s_or_b32 exec_lo, exec_lo, s11
	s_and_saveexec_b32 s11, s90
	s_cbranch_execz .LBB150_453
; %bb.452:                              ;   in Loop: Header=BB150_3 Depth=1
	ds_load_b64 v[42:43], v1 offset:19240
	s_wait_dscnt 0x0
	v_pk_mul_f32 v[44:45], v[40:41], v[42:43] op_sel:[1,1] op_sel_hi:[1,0]
	s_delay_alu instid0(VALU_DEP_1) | instskip(SKIP_1) | instid1(VALU_DEP_2)
	v_pk_fma_f32 v[98:99], v[40:41], v[42:43], v[44:45] op_sel_hi:[0,1,1]
	v_pk_fma_f32 v[40:41], v[40:41], v[42:43], v[44:45] neg_lo:[0,0,1] neg_hi:[0,0,1]
	v_mov_b32_e32 v41, v99
	s_delay_alu instid0(VALU_DEP_1)
	v_pk_add_f32 v[42:43], v[40:41], 0 neg_lo:[1,1] neg_hi:[1,1]
	ds_store_b64 v3, v[42:43]
.LBB150_453:                            ;   in Loop: Header=BB150_3 Depth=1
	s_or_b32 exec_lo, exec_lo, s11
	s_wait_loadcnt_dscnt 0x0
	s_barrier_signal -1
	s_barrier_wait -1
	s_and_saveexec_b32 s11, s91
	s_cbranch_execz .LBB150_455
; %bb.454:                              ;   in Loop: Header=BB150_3 Depth=1
	ds_load_b64 v[42:43], v1 offset:19232
	ds_load_b64 v[44:45], v3
	s_wait_dscnt 0x0
	v_pk_mul_f32 v[98:99], v[44:45], v[42:43] op_sel:[1,1] op_sel_hi:[0,1]
	s_delay_alu instid0(VALU_DEP_1) | instskip(SKIP_1) | instid1(VALU_DEP_2)
	v_pk_fma_f32 v[100:101], v[44:45], v[42:43], v[98:99] op_sel_hi:[1,0,1]
	v_pk_fma_f32 v[42:43], v[44:45], v[42:43], v[98:99] neg_lo:[0,0,1] neg_hi:[0,0,1]
	v_mov_b32_e32 v43, v101
	s_delay_alu instid0(VALU_DEP_1)
	v_pk_add_f32 v[40:41], v[40:41], v[42:43] neg_lo:[0,1] neg_hi:[0,1]
.LBB150_455:                            ;   in Loop: Header=BB150_3 Depth=1
	s_or_b32 exec_lo, exec_lo, s11
	s_barrier_signal -1
	s_barrier_wait -1
	s_and_saveexec_b32 s11, s91
	s_cbranch_execz .LBB150_457
; %bb.456:                              ;   in Loop: Header=BB150_3 Depth=1
	ds_load_b64 v[42:43], v1 offset:18720
	s_wait_dscnt 0x0
	v_pk_mul_f32 v[44:45], v[40:41], v[42:43] op_sel:[1,1] op_sel_hi:[1,0]
	s_delay_alu instid0(VALU_DEP_1) | instskip(SKIP_1) | instid1(VALU_DEP_2)
	v_pk_fma_f32 v[98:99], v[40:41], v[42:43], v[44:45] op_sel_hi:[0,1,1]
	v_pk_fma_f32 v[40:41], v[40:41], v[42:43], v[44:45] neg_lo:[0,0,1] neg_hi:[0,0,1]
	v_mov_b32_e32 v41, v99
	s_delay_alu instid0(VALU_DEP_1)
	v_pk_add_f32 v[42:43], v[40:41], 0 neg_lo:[1,1] neg_hi:[1,1]
	ds_store_b64 v3, v[42:43]
.LBB150_457:                            ;   in Loop: Header=BB150_3 Depth=1
	s_or_b32 exec_lo, exec_lo, s11
	s_wait_dscnt 0x0
	s_barrier_signal -1
	s_barrier_wait -1
	s_barrier_signal -1
	s_barrier_wait -1
	s_and_saveexec_b32 s11, s1
; %bb.458:                              ;   in Loop: Header=BB150_3 Depth=1
	ds_store_b64 v51, v[40:41] offset:20256
; %bb.459:                              ;   in Loop: Header=BB150_3 Depth=1
	s_or_b32 exec_lo, exec_lo, s11
	s_wait_dscnt 0x0
	s_barrier_signal -1
	s_barrier_wait -1
	s_barrier_signal -1
	s_barrier_wait -1
	s_and_saveexec_b32 s11, s92
	s_cbranch_execz .LBB150_461
; %bb.460:                              ;   in Loop: Header=BB150_3 Depth=1
	ds_load_b64 v[40:41], v77 offset:19744
	s_wait_dscnt 0x0
	ds_store_b64 v76, v[40:41] offset:18736
	ds_load_b64 v[40:41], v77 offset:19752
	s_wait_dscnt 0x0
	ds_store_b64 v76, v[40:41] offset:19248
.LBB150_461:                            ;   in Loop: Header=BB150_3 Depth=1
	s_or_b32 exec_lo, exec_lo, s11
	s_wait_dscnt 0x0
	s_barrier_signal -1
	s_barrier_wait -1
	s_and_saveexec_b32 s11, s14
	s_cbranch_execz .LBB150_463
; %bb.462:                              ;   in Loop: Header=BB150_3 Depth=1
	v_add_nc_u32_e64 v0, 0x120, 0
	ds_load_b64 v[44:45], v1 offset:19240
	ds_load_2addr_stride64_b64 v[40:43], v0 offset0:36 offset1:37
	s_wait_dscnt 0x0
	v_dual_mul_f32 v97, v45, v41 :: v_dual_mul_f32 v0, v44, v41
	s_delay_alu instid0(VALU_DEP_1) | instskip(NEXT) | instid1(VALU_DEP_1)
	v_xor_b32_e32 v98, 0x80000000, v97
	v_dual_fmac_f32 v0, v45, v40 :: v_dual_fmac_f32 v98, v44, v40
	s_delay_alu instid0(VALU_DEP_1) | instskip(SKIP_1) | instid1(VALU_DEP_2)
	v_pk_mul_f32 v[40:41], v[0:1], v[42:43] op_sel:[0,1] op_sel_hi:[0,0]
	v_add_nc_u32_e64 v0, 0x4800, 0
	v_pk_fma_f32 v[44:45], v[98:99], v[42:43], v[40:41] op_sel_hi:[0,1,1]
	v_pk_fma_f32 v[40:41], v[98:99], v[42:43], v[40:41] neg_lo:[0,0,1] neg_hi:[0,0,1]
	s_delay_alu instid0(VALU_DEP_2)
	v_mov_b32_e32 v41, v45
	ds_store_2addr_b64 v0, v[40:41], v[40:41] offset0:37 offset1:100
.LBB150_463:                            ;   in Loop: Header=BB150_3 Depth=1
	s_or_b32 exec_lo, exec_lo, s11
	v_mov_b64_e32 v[40:41], 0
	s_wait_dscnt 0x0
	s_barrier_signal -1
	s_barrier_wait -1
	global_wb scope:SCOPE_DEV
	s_wait_storecnt 0x0
	global_inv scope:SCOPE_DEV
	s_and_saveexec_b32 s11, s3
	s_cbranch_execz .LBB150_469
; %bb.464:                              ;   in Loop: Header=BB150_3 Depth=1
	ds_load_b64 v[40:41], v54 offset:18688
	ds_load_b64 v[42:43], v55 offset:20256
	s_wait_dscnt 0x0
	v_dual_mul_f32 v0, v43, v41 :: v_dual_mul_f32 v41, v42, v41
	s_delay_alu instid0(VALU_DEP_1) | instskip(NEXT) | instid1(VALU_DEP_1)
	v_dual_fma_f32 v0, v42, v40, -v0 :: v_dual_fmac_f32 v41, v43, v40
	v_dual_add_f32 v40, 0, v0 :: v_dual_add_f32 v41, 0, v41
	s_and_saveexec_b32 s12, s18
	s_cbranch_execnz .LBB150_1146
; %bb.465:                              ;   in Loop: Header=BB150_3 Depth=1
	s_or_b32 exec_lo, exec_lo, s12
	s_and_saveexec_b32 s12, s19
	s_cbranch_execnz .LBB150_1147
.LBB150_466:                            ;   in Loop: Header=BB150_3 Depth=1
	s_or_b32 exec_lo, exec_lo, s12
	s_and_saveexec_b32 s12, s1
	s_cbranch_execz .LBB150_468
.LBB150_467:                            ;   in Loop: Header=BB150_3 Depth=1
	ds_load_b64 v[42:43], v79 offset:20224
	ds_load_b64 v[44:45], v1 offset:20280
	s_wait_dscnt 0x0
	v_dual_mul_f32 v0, v45, v43 :: v_dual_mul_f32 v43, v44, v43
	s_delay_alu instid0(VALU_DEP_1) | instskip(NEXT) | instid1(VALU_DEP_1)
	v_dual_fma_f32 v0, v44, v42, -v0 :: v_dual_fmac_f32 v43, v45, v42
	v_dual_add_f32 v40, v40, v0 :: v_dual_add_f32 v41, v41, v43
.LBB150_468:                            ;   in Loop: Header=BB150_3 Depth=1
	s_or_b32 exec_lo, exec_lo, s12
.LBB150_469:                            ;   in Loop: Header=BB150_3 Depth=1
	s_delay_alu instid0(SALU_CYCLE_1)
	s_or_b32 exec_lo, exec_lo, s11
	s_and_saveexec_b32 s11, s93
	s_cbranch_execz .LBB150_471
; %bb.470:                              ;   in Loop: Header=BB150_3 Depth=1
	ds_load_b64 v[42:43], v1 offset:18200
	s_wait_dscnt 0x0
	v_dual_mul_f32 v0, v41, v42 :: v_dual_mul_f32 v44, v41, v43
	s_delay_alu instid0(VALU_DEP_1) | instskip(NEXT) | instid1(VALU_DEP_2)
	v_pk_fma_f32 v[98:99], v[40:41], v[42:43], v[0:1] op_sel:[1,0,0] op_sel_hi:[0,1,0]
	v_pk_fma_f32 v[40:41], v[40:41], v[42:43], v[44:45] op_sel_hi:[1,1,0] neg_lo:[0,0,1] neg_hi:[0,0,1]
	s_delay_alu instid0(VALU_DEP_2) | instskip(NEXT) | instid1(VALU_DEP_1)
	v_mov_b32_e32 v41, v99
	v_pk_add_f32 v[42:43], v[40:41], 0 neg_lo:[1,1] neg_hi:[1,1]
	ds_store_b64 v53, v[42:43]
.LBB150_471:                            ;   in Loop: Header=BB150_3 Depth=1
	s_or_b32 exec_lo, exec_lo, s11
	s_wait_loadcnt_dscnt 0x0
	s_barrier_signal -1
	s_barrier_wait -1
	s_and_saveexec_b32 s11, s94
	s_cbranch_execz .LBB150_473
; %bb.472:                              ;   in Loop: Header=BB150_3 Depth=1
	ds_load_b64 v[42:43], v54 offset:18176
	ds_load_b64 v[44:45], v53
	s_wait_dscnt 0x0
	v_pk_mul_f32 v[98:99], v[44:45], v[42:43] op_sel:[1,1] op_sel_hi:[0,1]
	s_delay_alu instid0(VALU_DEP_1) | instskip(SKIP_1) | instid1(VALU_DEP_2)
	v_pk_fma_f32 v[100:101], v[44:45], v[42:43], v[98:99] op_sel_hi:[1,0,1]
	v_pk_fma_f32 v[42:43], v[44:45], v[42:43], v[98:99] neg_lo:[0,0,1] neg_hi:[0,0,1]
	v_mov_b32_e32 v43, v101
	s_delay_alu instid0(VALU_DEP_1)
	v_pk_add_f32 v[40:41], v[40:41], v[42:43] neg_lo:[0,1] neg_hi:[0,1]
.LBB150_473:                            ;   in Loop: Header=BB150_3 Depth=1
	s_or_b32 exec_lo, exec_lo, s11
	s_barrier_signal -1
	s_barrier_wait -1
	s_and_saveexec_b32 s11, s95
	s_cbranch_execz .LBB150_475
; %bb.474:                              ;   in Loop: Header=BB150_3 Depth=1
	ds_load_b64 v[42:43], v1 offset:17680
	s_wait_dscnt 0x0
	v_pk_mul_f32 v[44:45], v[40:41], v[42:43] op_sel:[1,1] op_sel_hi:[1,0]
	s_delay_alu instid0(VALU_DEP_1) | instskip(SKIP_1) | instid1(VALU_DEP_2)
	v_pk_fma_f32 v[98:99], v[40:41], v[42:43], v[44:45] op_sel_hi:[0,1,1]
	v_pk_fma_f32 v[40:41], v[40:41], v[42:43], v[44:45] neg_lo:[0,0,1] neg_hi:[0,0,1]
	v_mov_b32_e32 v41, v99
	s_delay_alu instid0(VALU_DEP_1)
	v_pk_add_f32 v[42:43], v[40:41], 0 neg_lo:[1,1] neg_hi:[1,1]
	ds_store_b64 v53, v[42:43]
.LBB150_475:                            ;   in Loop: Header=BB150_3 Depth=1
	s_or_b32 exec_lo, exec_lo, s11
	s_wait_dscnt 0x0
	s_barrier_signal -1
	s_barrier_wait -1
	s_and_saveexec_b32 s11, s96
	s_cbranch_execz .LBB150_477
; %bb.476:                              ;   in Loop: Header=BB150_3 Depth=1
	ds_load_b64 v[42:43], v54 offset:17664
	ds_load_b64 v[44:45], v53
	s_wait_dscnt 0x0
	v_pk_mul_f32 v[98:99], v[44:45], v[42:43] op_sel:[1,1] op_sel_hi:[0,1]
	s_delay_alu instid0(VALU_DEP_1) | instskip(SKIP_1) | instid1(VALU_DEP_2)
	v_pk_fma_f32 v[100:101], v[44:45], v[42:43], v[98:99] op_sel_hi:[1,0,1]
	v_pk_fma_f32 v[42:43], v[44:45], v[42:43], v[98:99] neg_lo:[0,0,1] neg_hi:[0,0,1]
	v_mov_b32_e32 v43, v101
	s_delay_alu instid0(VALU_DEP_1)
	v_pk_add_f32 v[40:41], v[40:41], v[42:43] neg_lo:[0,1] neg_hi:[0,1]
.LBB150_477:                            ;   in Loop: Header=BB150_3 Depth=1
	s_or_b32 exec_lo, exec_lo, s11
	s_barrier_signal -1
	s_barrier_wait -1
	s_and_saveexec_b32 s11, s97
	s_cbranch_execz .LBB150_479
; %bb.478:                              ;   in Loop: Header=BB150_3 Depth=1
	ds_load_b64 v[42:43], v1 offset:17160
	s_wait_dscnt 0x0
	v_pk_mul_f32 v[44:45], v[40:41], v[42:43] op_sel:[1,1] op_sel_hi:[1,0]
	s_delay_alu instid0(VALU_DEP_1) | instskip(SKIP_1) | instid1(VALU_DEP_2)
	v_pk_fma_f32 v[98:99], v[40:41], v[42:43], v[44:45] op_sel_hi:[0,1,1]
	v_pk_fma_f32 v[40:41], v[40:41], v[42:43], v[44:45] neg_lo:[0,0,1] neg_hi:[0,0,1]
	v_mov_b32_e32 v41, v99
	s_delay_alu instid0(VALU_DEP_1)
	v_pk_add_f32 v[42:43], v[40:41], 0 neg_lo:[1,1] neg_hi:[1,1]
	ds_store_b64 v53, v[42:43]
.LBB150_479:                            ;   in Loop: Header=BB150_3 Depth=1
	s_or_b32 exec_lo, exec_lo, s11
	s_wait_dscnt 0x0
	;; [unrolled: 35-line block ×3, first 2 shown]
	s_barrier_signal -1
	s_barrier_wait -1
	s_barrier_signal -1
	s_barrier_wait -1
	s_and_saveexec_b32 s11, s3
; %bb.484:                              ;   in Loop: Header=BB150_3 Depth=1
	ds_store_b64 v58, v[40:41] offset:20224
; %bb.485:                              ;   in Loop: Header=BB150_3 Depth=1
	s_or_b32 exec_lo, exec_lo, s11
	s_wait_dscnt 0x0
	s_barrier_signal -1
	s_barrier_wait -1
	s_barrier_signal -1
	s_barrier_wait -1
	s_and_saveexec_b32 s11, s99
	s_cbranch_execz .LBB150_487
; %bb.486:                              ;   in Loop: Header=BB150_3 Depth=1
	ds_load_b64 v[40:41], v80 offset:18688
	s_wait_dscnt 0x0
	ds_store_b64 v83, v[40:41] offset:16672
	ds_load_b64 v[40:41], v80 offset:18696
	s_wait_dscnt 0x0
	ds_store_b64 v83, v[40:41] offset:17184
	;; [unrolled: 3-line block ×4, first 2 shown]
.LBB150_487:                            ;   in Loop: Header=BB150_3 Depth=1
	s_or_b32 exec_lo, exec_lo, s11
	s_wait_dscnt 0x0
	s_barrier_signal -1
	s_barrier_wait -1
	s_and_saveexec_b32 s11, s14
	s_cbranch_execz .LBB150_489
; %bb.488:                              ;   in Loop: Header=BB150_3 Depth=1
	v_add_nc_u32_e64 v0, 0x110, 0
	ds_load_b64 v[44:45], v1 offset:18200
	ds_load_2addr_stride64_b64 v[40:43], v0 offset0:34 offset1:35
	s_wait_dscnt 0x0
	v_dual_mul_f32 v97, v45, v41 :: v_dual_mul_f32 v0, v44, v41
	s_delay_alu instid0(VALU_DEP_1) | instskip(NEXT) | instid1(VALU_DEP_1)
	v_xor_b32_e32 v98, 0x80000000, v97
	v_dual_fmac_f32 v0, v45, v40 :: v_dual_fmac_f32 v98, v44, v40
	s_delay_alu instid0(VALU_DEP_1) | instskip(SKIP_1) | instid1(VALU_DEP_2)
	v_pk_mul_f32 v[40:41], v[0:1], v[42:43] op_sel:[0,1] op_sel_hi:[0,0]
	v_add_nc_u32_e64 v0, 0x4000, 0
	v_pk_fma_f32 v[44:45], v[98:99], v[42:43], v[40:41] op_sel_hi:[0,1,1]
	v_pk_fma_f32 v[40:41], v[98:99], v[42:43], v[40:41] neg_lo:[0,0,1] neg_hi:[0,0,1]
	s_delay_alu instid0(VALU_DEP_2)
	v_mov_b32_e32 v41, v45
	ds_store_2addr_b64 v0, v[40:41], v[40:41] offset0:163 offset1:226
.LBB150_489:                            ;   in Loop: Header=BB150_3 Depth=1
	s_or_b32 exec_lo, exec_lo, s11
	v_dual_mov_b32 v40, 0 :: v_dual_mov_b32 v41, 0
	s_wait_dscnt 0x0
	s_barrier_signal -1
	s_barrier_wait -1
	global_wb scope:SCOPE_DEV
	s_wait_storecnt 0x0
	global_inv scope:SCOPE_DEV
	s_and_saveexec_b32 s11, s1
	s_cbranch_execz .LBB150_493
; %bb.490:                              ;   in Loop: Header=BB150_3 Depth=1
	ds_load_b64 v[40:41], v48 offset:17664
	ds_load_b64 v[42:43], v49 offset:18192
	s_wait_dscnt 0x0
	v_pk_mul_f32 v[44:45], v[42:43], v[40:41] op_sel:[1,1] op_sel_hi:[0,1]
	s_delay_alu instid0(VALU_DEP_1) | instskip(SKIP_1) | instid1(VALU_DEP_2)
	v_pk_fma_f32 v[98:99], v[42:43], v[40:41], v[44:45] op_sel_hi:[1,0,1]
	v_pk_fma_f32 v[40:41], v[42:43], v[40:41], v[44:45] neg_lo:[0,0,1] neg_hi:[0,0,1]
	v_mov_b32_e32 v41, v99
	s_delay_alu instid0(VALU_DEP_1)
	v_pk_add_f32 v[40:41], v[40:41], 0 op_sel_hi:[1,0]
	s_and_saveexec_b32 s12, s17
	s_cbranch_execz .LBB150_492
; %bb.491:                              ;   in Loop: Header=BB150_3 Depth=1
	ds_load_b64 v[42:43], v83 offset:18176
	ds_load_b64 v[44:45], v1 offset:18200
	s_wait_dscnt 0x0
	v_pk_mul_f32 v[98:99], v[44:45], v[42:43] op_sel:[1,1] op_sel_hi:[0,1]
	s_delay_alu instid0(VALU_DEP_1) | instskip(SKIP_1) | instid1(VALU_DEP_2)
	v_pk_fma_f32 v[100:101], v[44:45], v[42:43], v[98:99] op_sel_hi:[1,0,1]
	v_pk_fma_f32 v[42:43], v[44:45], v[42:43], v[98:99] neg_lo:[0,0,1] neg_hi:[0,0,1]
	v_mov_b32_e32 v43, v101
	s_delay_alu instid0(VALU_DEP_1)
	v_pk_add_f32 v[40:41], v[40:41], v[42:43]
.LBB150_492:                            ;   in Loop: Header=BB150_3 Depth=1
	s_or_b32 exec_lo, exec_lo, s12
.LBB150_493:                            ;   in Loop: Header=BB150_3 Depth=1
	s_delay_alu instid0(SALU_CYCLE_1)
	s_or_b32 exec_lo, exec_lo, s11
	s_and_saveexec_b32 s11, s90
	s_cbranch_execz .LBB150_495
; %bb.494:                              ;   in Loop: Header=BB150_3 Depth=1
	ds_load_b64 v[42:43], v1 offset:17160
	s_wait_dscnt 0x0
	v_pk_mul_f32 v[44:45], v[40:41], v[42:43] op_sel:[1,1] op_sel_hi:[1,0]
	s_delay_alu instid0(VALU_DEP_1) | instskip(SKIP_1) | instid1(VALU_DEP_2)
	v_pk_fma_f32 v[98:99], v[40:41], v[42:43], v[44:45] op_sel_hi:[0,1,1]
	v_pk_fma_f32 v[40:41], v[40:41], v[42:43], v[44:45] neg_lo:[0,0,1] neg_hi:[0,0,1]
	v_mov_b32_e32 v41, v99
	s_delay_alu instid0(VALU_DEP_1)
	v_pk_add_f32 v[42:43], v[40:41], 0 neg_lo:[1,1] neg_hi:[1,1]
	ds_store_b64 v3, v[42:43]
.LBB150_495:                            ;   in Loop: Header=BB150_3 Depth=1
	s_or_b32 exec_lo, exec_lo, s11
	s_wait_loadcnt_dscnt 0x0
	s_barrier_signal -1
	s_barrier_wait -1
	s_and_saveexec_b32 s11, s91
	s_cbranch_execz .LBB150_497
; %bb.496:                              ;   in Loop: Header=BB150_3 Depth=1
	ds_load_b64 v[42:43], v1 offset:17152
	ds_load_b64 v[44:45], v3
	s_wait_dscnt 0x0
	v_pk_mul_f32 v[98:99], v[44:45], v[42:43] op_sel:[1,1] op_sel_hi:[0,1]
	s_delay_alu instid0(VALU_DEP_1) | instskip(SKIP_1) | instid1(VALU_DEP_2)
	v_pk_fma_f32 v[100:101], v[44:45], v[42:43], v[98:99] op_sel_hi:[1,0,1]
	v_pk_fma_f32 v[42:43], v[44:45], v[42:43], v[98:99] neg_lo:[0,0,1] neg_hi:[0,0,1]
	v_mov_b32_e32 v43, v101
	s_delay_alu instid0(VALU_DEP_1)
	v_pk_add_f32 v[40:41], v[40:41], v[42:43] neg_lo:[0,1] neg_hi:[0,1]
.LBB150_497:                            ;   in Loop: Header=BB150_3 Depth=1
	s_or_b32 exec_lo, exec_lo, s11
	s_barrier_signal -1
	s_barrier_wait -1
	s_and_saveexec_b32 s11, s91
	s_cbranch_execz .LBB150_499
; %bb.498:                              ;   in Loop: Header=BB150_3 Depth=1
	ds_load_b64 v[42:43], v1 offset:16640
	s_wait_dscnt 0x0
	v_pk_mul_f32 v[44:45], v[40:41], v[42:43] op_sel:[1,1] op_sel_hi:[1,0]
	s_delay_alu instid0(VALU_DEP_1) | instskip(SKIP_1) | instid1(VALU_DEP_2)
	v_pk_fma_f32 v[98:99], v[40:41], v[42:43], v[44:45] op_sel_hi:[0,1,1]
	v_pk_fma_f32 v[40:41], v[40:41], v[42:43], v[44:45] neg_lo:[0,0,1] neg_hi:[0,0,1]
	v_mov_b32_e32 v41, v99
	s_delay_alu instid0(VALU_DEP_1)
	v_pk_add_f32 v[42:43], v[40:41], 0 neg_lo:[1,1] neg_hi:[1,1]
	ds_store_b64 v3, v[42:43]
.LBB150_499:                            ;   in Loop: Header=BB150_3 Depth=1
	s_or_b32 exec_lo, exec_lo, s11
	s_wait_dscnt 0x0
	s_barrier_signal -1
	s_barrier_wait -1
	s_barrier_signal -1
	s_barrier_wait -1
	s_and_saveexec_b32 s11, s1
; %bb.500:                              ;   in Loop: Header=BB150_3 Depth=1
	ds_store_b64 v51, v[40:41] offset:18176
; %bb.501:                              ;   in Loop: Header=BB150_3 Depth=1
	s_or_b32 exec_lo, exec_lo, s11
	s_wait_dscnt 0x0
	s_barrier_signal -1
	s_barrier_wait -1
	s_barrier_signal -1
	s_barrier_wait -1
	s_and_saveexec_b32 s11, s92
	s_cbranch_execz .LBB150_503
; %bb.502:                              ;   in Loop: Header=BB150_3 Depth=1
	ds_load_b64 v[40:41], v85 offset:17664
	s_wait_dscnt 0x0
	ds_store_b64 v83, v[40:41] offset:16656
	ds_load_b64 v[40:41], v85 offset:17672
	s_wait_dscnt 0x0
	ds_store_b64 v83, v[40:41] offset:17168
.LBB150_503:                            ;   in Loop: Header=BB150_3 Depth=1
	s_or_b32 exec_lo, exec_lo, s11
	s_wait_dscnt 0x0
	s_barrier_signal -1
	s_barrier_wait -1
	s_and_saveexec_b32 s11, s14
	s_cbranch_execz .LBB150_505
; %bb.504:                              ;   in Loop: Header=BB150_3 Depth=1
	v_add_nc_u32_e64 v0, 0x100, 0
	ds_load_b64 v[44:45], v1 offset:17160
	ds_load_2addr_stride64_b64 v[40:43], v0 offset0:32 offset1:33
	s_wait_dscnt 0x0
	v_dual_mul_f32 v97, v45, v41 :: v_dual_mul_f32 v0, v44, v41
	s_delay_alu instid0(VALU_DEP_1) | instskip(NEXT) | instid1(VALU_DEP_1)
	v_xor_b32_e32 v98, 0x80000000, v97
	v_dual_fmac_f32 v0, v45, v40 :: v_dual_fmac_f32 v98, v44, v40
	s_delay_alu instid0(VALU_DEP_1) | instskip(SKIP_1) | instid1(VALU_DEP_2)
	v_pk_mul_f32 v[40:41], v[0:1], v[42:43] op_sel:[0,1] op_sel_hi:[0,0]
	v_add_nc_u32_e64 v0, 0x4000, 0
	v_pk_fma_f32 v[44:45], v[98:99], v[42:43], v[40:41] op_sel_hi:[0,1,1]
	v_pk_fma_f32 v[40:41], v[98:99], v[42:43], v[40:41] neg_lo:[0,0,1] neg_hi:[0,0,1]
	s_delay_alu instid0(VALU_DEP_2)
	v_mov_b32_e32 v41, v45
	ds_store_2addr_b64 v0, v[40:41], v[40:41] offset0:33 offset1:96
.LBB150_505:                            ;   in Loop: Header=BB150_3 Depth=1
	s_or_b32 exec_lo, exec_lo, s11
	v_mov_b64_e32 v[40:41], 0
	s_wait_dscnt 0x0
	s_barrier_signal -1
	s_barrier_wait -1
	global_wb scope:SCOPE_DEV
	s_wait_storecnt 0x0
	global_inv scope:SCOPE_DEV
	s_and_saveexec_b32 s65, s37
	s_cbranch_execz .LBB150_567
; %bb.506:                              ;   in Loop: Header=BB150_3 Depth=1
	ds_load_b64 v[40:41], v69 offset:16384
	ds_load_b64 v[42:43], v71 offset:32512
	s_wait_dscnt 0x0
	v_dual_mul_f32 v0, v43, v41 :: v_dual_mul_f32 v41, v42, v41
	s_delay_alu instid0(VALU_DEP_1) | instskip(NEXT) | instid1(VALU_DEP_1)
	v_dual_fma_f32 v0, v42, v40, -v0 :: v_dual_fmac_f32 v41, v43, v40
	v_dual_add_f32 v40, 0, v0 :: v_dual_add_f32 v41, 0, v41
	s_mov_b32 s11, exec_lo
	v_readlane_b32 s12, v106, 7
	s_and_b32 s12, s11, s12
	s_delay_alu instid0(SALU_CYCLE_1)
	s_mov_b32 exec_lo, s12
	s_cbranch_execz .LBB150_508
; %bb.507:                              ;   in Loop: Header=BB150_3 Depth=1
	ds_load_b64 v[42:43], v69 offset:16896
	ds_load_b64 v[44:45], v71 offset:32520
	s_wait_dscnt 0x0
	v_dual_mul_f32 v0, v45, v43 :: v_dual_mul_f32 v43, v44, v43
	s_delay_alu instid0(VALU_DEP_1) | instskip(NEXT) | instid1(VALU_DEP_1)
	v_dual_fma_f32 v0, v44, v42, -v0 :: v_dual_fmac_f32 v43, v45, v42
	v_dual_add_f32 v40, v40, v0 :: v_dual_add_f32 v41, v41, v43
.LBB150_508:                            ;   in Loop: Header=BB150_3 Depth=1
	s_or_b32 exec_lo, exec_lo, s11
	s_delay_alu instid0(SALU_CYCLE_1) | instskip(SKIP_2) | instid1(SALU_CYCLE_1)
	s_mov_b32 s11, exec_lo
	v_readlane_b32 s12, v106, 8
	s_and_b32 s12, s11, s12
	s_mov_b32 exec_lo, s12
	s_cbranch_execz .LBB150_510
; %bb.509:                              ;   in Loop: Header=BB150_3 Depth=1
	ds_load_b64 v[42:43], v69 offset:17408
	ds_load_b64 v[44:45], v71 offset:32528
	s_wait_dscnt 0x0
	v_dual_mul_f32 v0, v45, v43 :: v_dual_mul_f32 v43, v44, v43
	s_delay_alu instid0(VALU_DEP_1) | instskip(NEXT) | instid1(VALU_DEP_1)
	v_dual_fma_f32 v0, v44, v42, -v0 :: v_dual_fmac_f32 v43, v45, v42
	v_dual_add_f32 v40, v40, v0 :: v_dual_add_f32 v41, v41, v43
.LBB150_510:                            ;   in Loop: Header=BB150_3 Depth=1
	s_or_b32 exec_lo, exec_lo, s11
	s_delay_alu instid0(SALU_CYCLE_1) | instskip(SKIP_2) | instid1(SALU_CYCLE_1)
	s_mov_b32 s11, exec_lo
	v_readlane_b32 s12, v106, 9
	s_and_b32 s12, s11, s12
	;; [unrolled: 16-line block ×22, first 2 shown]
	s_mov_b32 exec_lo, s12
	s_cbranch_execz .LBB150_552
; %bb.551:                              ;   in Loop: Header=BB150_3 Depth=1
	ds_load_b64 v[42:43], v69 offset:28160
	ds_load_b64 v[44:45], v71 offset:32696
	s_wait_dscnt 0x0
	v_dual_mul_f32 v0, v45, v43 :: v_dual_mul_f32 v43, v44, v43
	s_delay_alu instid0(VALU_DEP_1) | instskip(NEXT) | instid1(VALU_DEP_1)
	v_dual_fma_f32 v0, v44, v42, -v0 :: v_dual_fmac_f32 v43, v45, v42
	v_dual_add_f32 v40, v40, v0 :: v_dual_add_f32 v41, v41, v43
.LBB150_552:                            ;   in Loop: Header=BB150_3 Depth=1
	s_or_b32 exec_lo, exec_lo, s11
	s_and_saveexec_b32 s11, s5
	s_cbranch_execz .LBB150_554
; %bb.553:                              ;   in Loop: Header=BB150_3 Depth=1
	ds_load_b64 v[42:43], v69 offset:28672
	ds_load_b64 v[44:45], v71 offset:32704
	s_wait_dscnt 0x0
	v_dual_mul_f32 v0, v45, v43 :: v_dual_mul_f32 v43, v44, v43
	s_delay_alu instid0(VALU_DEP_1) | instskip(NEXT) | instid1(VALU_DEP_1)
	v_dual_fma_f32 v0, v44, v42, -v0 :: v_dual_fmac_f32 v43, v45, v42
	v_dual_add_f32 v40, v40, v0 :: v_dual_add_f32 v41, v41, v43
.LBB150_554:                            ;   in Loop: Header=BB150_3 Depth=1
	s_or_b32 exec_lo, exec_lo, s11
	s_delay_alu instid0(SALU_CYCLE_1) | instskip(SKIP_2) | instid1(SALU_CYCLE_1)
	s_mov_b32 s11, exec_lo
	v_readlane_b32 s12, v107, 27
	s_and_b32 s12, s11, s12
	s_mov_b32 exec_lo, s12
	s_cbranch_execz .LBB150_556
; %bb.555:                              ;   in Loop: Header=BB150_3 Depth=1
	ds_load_b64 v[42:43], v69 offset:29184
	ds_load_b64 v[44:45], v71 offset:32712
	s_wait_dscnt 0x0
	v_dual_mul_f32 v0, v45, v43 :: v_dual_mul_f32 v43, v44, v43
	s_delay_alu instid0(VALU_DEP_1) | instskip(NEXT) | instid1(VALU_DEP_1)
	v_dual_fma_f32 v0, v44, v42, -v0 :: v_dual_fmac_f32 v43, v45, v42
	v_dual_add_f32 v40, v40, v0 :: v_dual_add_f32 v41, v41, v43
.LBB150_556:                            ;   in Loop: Header=BB150_3 Depth=1
	s_or_b32 exec_lo, exec_lo, s11
	s_delay_alu instid0(SALU_CYCLE_1) | instskip(SKIP_2) | instid1(SALU_CYCLE_1)
	s_mov_b32 s11, exec_lo
	v_readlane_b32 s12, v107, 29
	s_and_b32 s12, s11, s12
	s_mov_b32 exec_lo, s12
	;; [unrolled: 16-line block ×4, first 2 shown]
	s_cbranch_execz .LBB150_562
; %bb.561:                              ;   in Loop: Header=BB150_3 Depth=1
	ds_load_b64 v[42:43], v69 offset:30720
	ds_load_b64 v[44:45], v71 offset:32736
	s_wait_dscnt 0x0
	v_dual_mul_f32 v0, v45, v43 :: v_dual_mul_f32 v99, v44, v43
	s_delay_alu instid0(VALU_DEP_1) | instskip(NEXT) | instid1(VALU_DEP_1)
	v_dual_fma_f32 v98, v44, v42, -v0 :: v_dual_fmac_f32 v99, v45, v42
	v_pk_add_f32 v[40:41], v[40:41], v[98:99]
.LBB150_562:                            ;   in Loop: Header=BB150_3 Depth=1
	s_or_b32 exec_lo, exec_lo, s11
	s_delay_alu instid0(SALU_CYCLE_1) | instskip(SKIP_2) | instid1(SALU_CYCLE_1)
	s_mov_b32 s11, exec_lo
	v_readlane_b32 s12, v106, 3
	s_and_b32 s12, s11, s12
	s_mov_b32 exec_lo, s12
	s_cbranch_execnz .LBB150_1148
; %bb.563:                              ;   in Loop: Header=BB150_3 Depth=1
	s_or_b32 exec_lo, exec_lo, s11
	s_and_saveexec_b32 s11, s4
	s_cbranch_execnz .LBB150_1149
.LBB150_564:                            ;   in Loop: Header=BB150_3 Depth=1
	s_or_b32 exec_lo, exec_lo, s11
	s_and_saveexec_b32 s11, s23
	s_delay_alu instid0(SALU_CYCLE_1)
	s_xor_b32 s11, exec_lo, s11
	s_cbranch_execz .LBB150_566
.LBB150_565:                            ;   in Loop: Header=BB150_3 Depth=1
	ds_load_b64 v[42:43], v69 offset:32256
	ds_load_b64 v[44:45], v71 offset:32760
	s_wait_dscnt 0x0
	v_pk_mul_f32 v[98:99], v[44:45], v[42:43] op_sel:[1,1] op_sel_hi:[0,1]
	s_delay_alu instid0(VALU_DEP_1) | instskip(SKIP_1) | instid1(VALU_DEP_2)
	v_pk_fma_f32 v[100:101], v[44:45], v[42:43], v[98:99] op_sel_hi:[1,0,1]
	v_pk_fma_f32 v[42:43], v[44:45], v[42:43], v[98:99] neg_lo:[0,0,1] neg_hi:[0,0,1]
	v_mov_b32_e32 v43, v101
	s_delay_alu instid0(VALU_DEP_1)
	v_pk_add_f32 v[40:41], v[40:41], v[42:43]
.LBB150_566:                            ;   in Loop: Header=BB150_3 Depth=1
	s_or_b32 exec_lo, exec_lo, s11
.LBB150_567:                            ;   in Loop: Header=BB150_3 Depth=1
	s_delay_alu instid0(SALU_CYCLE_1)
	s_or_b32 exec_lo, exec_lo, s65
	v_dual_mov_b32 v0, v94 :: v_dual_mov_b32 v42, v93
	s_mov_b32 s11, 31
	s_branch .LBB150_569
.LBB150_568:                            ;   in Loop: Header=BB150_569 Depth=2
	s_or_b32 exec_lo, exec_lo, s12
	v_add_nc_u32_e32 v42, 0xfffffc00, v42
	v_add_nc_u32_e32 v0, 2, v0
	s_add_co_i32 s11, s11, -2
	s_cmp_eq_u32 s65, 0
	s_barrier_signal -1
	s_barrier_wait -1
	s_cbranch_scc1 .LBB150_577
.LBB150_569:                            ;   Parent Loop BB150_3 Depth=1
                                        ; =>  This Inner Loop Header: Depth=2
	s_delay_alu instid0(VALU_DEP_1) | instskip(SKIP_1) | instid1(SALU_CYCLE_1)
	v_cmp_eq_u32_e32 vcc_lo, 0, v0
	s_and_b32 s65, s10, vcc_lo
	s_and_saveexec_b32 s12, s65
	s_cbranch_execz .LBB150_571
; %bb.570:                              ;   in Loop: Header=BB150_569 Depth=2
	ds_load_b64 v[44:45], v95
	s_wait_dscnt 0x0
	v_pk_mul_f32 v[98:99], v[40:41], v[44:45] op_sel:[1,1] op_sel_hi:[1,0]
	s_delay_alu instid0(VALU_DEP_1) | instskip(SKIP_1) | instid1(VALU_DEP_2)
	v_pk_fma_f32 v[100:101], v[40:41], v[44:45], v[98:99] op_sel_hi:[0,1,1]
	v_pk_fma_f32 v[40:41], v[40:41], v[44:45], v[98:99] neg_lo:[0,0,1] neg_hi:[0,0,1]
	v_mov_b32_e32 v41, v101
	s_delay_alu instid0(VALU_DEP_1)
	v_pk_add_f32 v[44:45], v[40:41], 0 neg_lo:[1,1] neg_hi:[1,1]
	ds_store_b64 v70, v[44:45]
.LBB150_571:                            ;   in Loop: Header=BB150_569 Depth=2
	s_or_b32 exec_lo, exec_lo, s12
	v_cmp_gt_u32_e32 vcc_lo, s11, v67
	s_wait_loadcnt_dscnt 0x0
	s_barrier_signal -1
	s_barrier_wait -1
	s_and_b32 s65, s10, vcc_lo
	s_delay_alu instid0(SALU_CYCLE_1)
	s_and_saveexec_b32 s12, s65
	s_cbranch_execz .LBB150_573
; %bb.572:                              ;   in Loop: Header=BB150_569 Depth=2
	ds_load_b64 v[44:45], v42 offset:512
	ds_load_b64 v[98:99], v70
	s_wait_dscnt 0x0
	v_pk_mul_f32 v[100:101], v[98:99], v[44:45] op_sel:[1,1] op_sel_hi:[0,1]
	s_delay_alu instid0(VALU_DEP_1) | instskip(SKIP_1) | instid1(VALU_DEP_2)
	v_pk_fma_f32 v[102:103], v[98:99], v[44:45], v[100:101] op_sel_hi:[1,0,1]
	v_pk_fma_f32 v[44:45], v[98:99], v[44:45], v[100:101] neg_lo:[0,0,1] neg_hi:[0,0,1]
	v_mov_b32_e32 v45, v103
	s_delay_alu instid0(VALU_DEP_1)
	v_pk_add_f32 v[40:41], v[40:41], v[44:45] neg_lo:[0,1] neg_hi:[0,1]
.LBB150_573:                            ;   in Loop: Header=BB150_569 Depth=2
	s_or_b32 exec_lo, exec_lo, s12
	s_add_co_i32 s65, s11, -1
	s_delay_alu instid0(SALU_CYCLE_1) | instskip(SKIP_3) | instid1(SALU_CYCLE_1)
	v_cmp_eq_u32_e32 vcc_lo, s65, v67
	s_barrier_signal -1
	s_barrier_wait -1
	s_and_b32 s82, s10, vcc_lo
	s_and_saveexec_b32 s12, s82
	s_cbranch_execz .LBB150_575
; %bb.574:                              ;   in Loop: Header=BB150_569 Depth=2
	ds_load_b64 v[44:45], v95
	s_wait_dscnt 0x0
	v_pk_mul_f32 v[98:99], v[40:41], v[44:45] op_sel:[1,1] op_sel_hi:[1,0]
	s_delay_alu instid0(VALU_DEP_1) | instskip(SKIP_1) | instid1(VALU_DEP_2)
	v_pk_fma_f32 v[100:101], v[40:41], v[44:45], v[98:99] op_sel_hi:[0,1,1]
	v_pk_fma_f32 v[40:41], v[40:41], v[44:45], v[98:99] neg_lo:[0,0,1] neg_hi:[0,0,1]
	v_mov_b32_e32 v41, v101
	s_delay_alu instid0(VALU_DEP_1)
	v_pk_add_f32 v[44:45], v[40:41], 0 neg_lo:[1,1] neg_hi:[1,1]
	ds_store_b64 v70, v[44:45]
.LBB150_575:                            ;   in Loop: Header=BB150_569 Depth=2
	s_or_b32 exec_lo, exec_lo, s12
	v_cmp_gt_u32_e32 vcc_lo, s65, v67
	s_wait_dscnt 0x0
	s_barrier_signal -1
	s_barrier_wait -1
	s_and_b32 s82, s10, vcc_lo
	s_delay_alu instid0(SALU_CYCLE_1)
	s_and_saveexec_b32 s12, s82
	s_cbranch_execz .LBB150_568
; %bb.576:                              ;   in Loop: Header=BB150_569 Depth=2
	ds_load_b64 v[44:45], v42
	ds_load_b64 v[98:99], v70
	s_wait_dscnt 0x0
	v_pk_mul_f32 v[100:101], v[98:99], v[44:45] op_sel:[1,1] op_sel_hi:[0,1]
	s_delay_alu instid0(VALU_DEP_1) | instskip(SKIP_1) | instid1(VALU_DEP_2)
	v_pk_fma_f32 v[102:103], v[98:99], v[44:45], v[100:101] op_sel_hi:[1,0,1]
	v_pk_fma_f32 v[44:45], v[98:99], v[44:45], v[100:101] neg_lo:[0,0,1] neg_hi:[0,0,1]
	v_mov_b32_e32 v45, v103
	s_delay_alu instid0(VALU_DEP_1)
	v_pk_add_f32 v[40:41], v[40:41], v[44:45] neg_lo:[0,1] neg_hi:[0,1]
	s_branch .LBB150_568
.LBB150_577:                            ;   in Loop: Header=BB150_3 Depth=1
	s_and_saveexec_b32 s11, s37
; %bb.578:                              ;   in Loop: Header=BB150_3 Depth=1
	ds_store_b64 v72, v[40:41] offset:32256
; %bb.579:                              ;   in Loop: Header=BB150_3 Depth=1
	s_or_b32 exec_lo, exec_lo, s11
	s_wait_dscnt 0x0
	s_barrier_signal -1
	s_barrier_wait -1
	s_barrier_signal -1
	s_barrier_wait -1
	s_mov_b32 s11, exec_lo
	v_readlane_b32 s12, v107, 6
	s_and_b32 s12, s11, s12
	s_delay_alu instid0(SALU_CYCLE_1)
	s_mov_b32 exec_lo, s12
	s_cbranch_execz .LBB150_581
; %bb.580:                              ;   in Loop: Header=BB150_3 Depth=1
	ds_load_b64 v[40:41], v85 offset:16384
	v_add_nc_u32_e32 v0, v85, v56
	s_wait_dscnt 0x0
	ds_store_b64 v0, v[40:41] offset:256
	ds_load_b64 v[40:41], v85 offset:16392
	s_wait_dscnt 0x0
	ds_store_b64 v0, v[40:41] offset:768
	ds_load_b64 v[40:41], v85 offset:16400
	;; [unrolled: 3-line block ×31, first 2 shown]
	s_wait_dscnt 0x0
	ds_store_b64 v0, v[40:41] offset:16128
.LBB150_581:                            ;   in Loop: Header=BB150_3 Depth=1
	s_or_b32 exec_lo, exec_lo, s11
	s_wait_dscnt 0x0
	s_barrier_signal -1
	s_barrier_wait -1
	s_and_saveexec_b32 s11, s14
	s_cbranch_execz .LBB150_583
; %bb.582:                              ;   in Loop: Header=BB150_3 Depth=1
	v_add_nc_u32_e64 v0, 0xf0, 0
	ds_load_b64 v[44:45], v1 offset:16120
	ds_load_2addr_stride64_b64 v[40:43], v0 offset0:30 offset1:31
	s_wait_dscnt 0x0
	v_dual_mul_f32 v97, v45, v41 :: v_dual_mul_f32 v0, v44, v41
	s_delay_alu instid0(VALU_DEP_1) | instskip(NEXT) | instid1(VALU_DEP_1)
	v_xor_b32_e32 v98, 0x80000000, v97
	v_dual_fmac_f32 v0, v45, v40 :: v_dual_fmac_f32 v98, v44, v40
	s_delay_alu instid0(VALU_DEP_1) | instskip(SKIP_1) | instid1(VALU_DEP_2)
	v_pk_mul_f32 v[40:41], v[0:1], v[42:43] op_sel:[0,1] op_sel_hi:[0,0]
	v_add_nc_u32_e64 v0, 0x3800, 0
	v_pk_fma_f32 v[44:45], v[98:99], v[42:43], v[40:41] op_sel_hi:[0,1,1]
	v_pk_fma_f32 v[40:41], v[98:99], v[42:43], v[40:41] neg_lo:[0,0,1] neg_hi:[0,0,1]
	s_delay_alu instid0(VALU_DEP_2)
	v_mov_b32_e32 v41, v45
	ds_store_2addr_b64 v0, v[40:41], v[40:41] offset0:159 offset1:222
.LBB150_583:                            ;   in Loop: Header=BB150_3 Depth=1
	s_or_b32 exec_lo, exec_lo, s11
	v_dual_mov_b32 v40, 0 :: v_dual_mov_b32 v41, 0
	s_wait_dscnt 0x0
	s_barrier_signal -1
	s_barrier_wait -1
	global_wb scope:SCOPE_DEV
	s_wait_storecnt 0x0
	global_inv scope:SCOPE_DEV
	s_and_saveexec_b32 s11, s1
	s_cbranch_execz .LBB150_587
; %bb.584:                              ;   in Loop: Header=BB150_3 Depth=1
	ds_load_b64 v[40:41], v48 offset:15584
	ds_load_b64 v[42:43], v49 offset:16112
	s_wait_dscnt 0x0
	v_pk_mul_f32 v[44:45], v[42:43], v[40:41] op_sel:[1,1] op_sel_hi:[0,1]
	s_delay_alu instid0(VALU_DEP_1) | instskip(SKIP_1) | instid1(VALU_DEP_2)
	v_pk_fma_f32 v[98:99], v[42:43], v[40:41], v[44:45] op_sel_hi:[1,0,1]
	v_pk_fma_f32 v[40:41], v[42:43], v[40:41], v[44:45] neg_lo:[0,0,1] neg_hi:[0,0,1]
	v_mov_b32_e32 v41, v99
	s_delay_alu instid0(VALU_DEP_1)
	v_pk_add_f32 v[40:41], v[40:41], 0 op_sel_hi:[1,0]
	s_and_saveexec_b32 s12, s17
	s_cbranch_execz .LBB150_586
; %bb.585:                              ;   in Loop: Header=BB150_3 Depth=1
	ds_load_b64 v[42:43], v50 offset:16096
	ds_load_b64 v[44:45], v1 offset:16120
	s_wait_dscnt 0x0
	v_pk_mul_f32 v[98:99], v[44:45], v[42:43] op_sel:[1,1] op_sel_hi:[0,1]
	s_delay_alu instid0(VALU_DEP_1) | instskip(SKIP_1) | instid1(VALU_DEP_2)
	v_pk_fma_f32 v[100:101], v[44:45], v[42:43], v[98:99] op_sel_hi:[1,0,1]
	v_pk_fma_f32 v[42:43], v[44:45], v[42:43], v[98:99] neg_lo:[0,0,1] neg_hi:[0,0,1]
	v_mov_b32_e32 v43, v101
	s_delay_alu instid0(VALU_DEP_1)
	v_pk_add_f32 v[40:41], v[40:41], v[42:43]
.LBB150_586:                            ;   in Loop: Header=BB150_3 Depth=1
	s_or_b32 exec_lo, exec_lo, s12
.LBB150_587:                            ;   in Loop: Header=BB150_3 Depth=1
	s_delay_alu instid0(SALU_CYCLE_1)
	s_or_b32 exec_lo, exec_lo, s11
	s_and_saveexec_b32 s11, s90
	s_cbranch_execz .LBB150_589
; %bb.588:                              ;   in Loop: Header=BB150_3 Depth=1
	ds_load_b64 v[42:43], v1 offset:15080
	s_wait_dscnt 0x0
	v_pk_mul_f32 v[44:45], v[40:41], v[42:43] op_sel:[1,1] op_sel_hi:[1,0]
	s_delay_alu instid0(VALU_DEP_1) | instskip(SKIP_1) | instid1(VALU_DEP_2)
	v_pk_fma_f32 v[98:99], v[40:41], v[42:43], v[44:45] op_sel_hi:[0,1,1]
	v_pk_fma_f32 v[40:41], v[40:41], v[42:43], v[44:45] neg_lo:[0,0,1] neg_hi:[0,0,1]
	v_mov_b32_e32 v41, v99
	s_delay_alu instid0(VALU_DEP_1)
	v_pk_add_f32 v[42:43], v[40:41], 0 neg_lo:[1,1] neg_hi:[1,1]
	ds_store_b64 v3, v[42:43]
.LBB150_589:                            ;   in Loop: Header=BB150_3 Depth=1
	s_or_b32 exec_lo, exec_lo, s11
	s_wait_loadcnt_dscnt 0x0
	s_barrier_signal -1
	s_barrier_wait -1
	s_and_saveexec_b32 s11, s91
	s_cbranch_execz .LBB150_591
; %bb.590:                              ;   in Loop: Header=BB150_3 Depth=1
	ds_load_b64 v[42:43], v1 offset:15072
	ds_load_b64 v[44:45], v3
	s_wait_dscnt 0x0
	v_pk_mul_f32 v[98:99], v[44:45], v[42:43] op_sel:[1,1] op_sel_hi:[0,1]
	s_delay_alu instid0(VALU_DEP_1) | instskip(SKIP_1) | instid1(VALU_DEP_2)
	v_pk_fma_f32 v[100:101], v[44:45], v[42:43], v[98:99] op_sel_hi:[1,0,1]
	v_pk_fma_f32 v[42:43], v[44:45], v[42:43], v[98:99] neg_lo:[0,0,1] neg_hi:[0,0,1]
	v_mov_b32_e32 v43, v101
	s_delay_alu instid0(VALU_DEP_1)
	v_pk_add_f32 v[40:41], v[40:41], v[42:43] neg_lo:[0,1] neg_hi:[0,1]
.LBB150_591:                            ;   in Loop: Header=BB150_3 Depth=1
	s_or_b32 exec_lo, exec_lo, s11
	s_barrier_signal -1
	s_barrier_wait -1
	s_and_saveexec_b32 s11, s91
	s_cbranch_execz .LBB150_593
; %bb.592:                              ;   in Loop: Header=BB150_3 Depth=1
	ds_load_b64 v[42:43], v1 offset:14560
	s_wait_dscnt 0x0
	v_pk_mul_f32 v[44:45], v[40:41], v[42:43] op_sel:[1,1] op_sel_hi:[1,0]
	s_delay_alu instid0(VALU_DEP_1) | instskip(SKIP_1) | instid1(VALU_DEP_2)
	v_pk_fma_f32 v[98:99], v[40:41], v[42:43], v[44:45] op_sel_hi:[0,1,1]
	v_pk_fma_f32 v[40:41], v[40:41], v[42:43], v[44:45] neg_lo:[0,0,1] neg_hi:[0,0,1]
	v_mov_b32_e32 v41, v99
	s_delay_alu instid0(VALU_DEP_1)
	v_pk_add_f32 v[42:43], v[40:41], 0 neg_lo:[1,1] neg_hi:[1,1]
	ds_store_b64 v3, v[42:43]
.LBB150_593:                            ;   in Loop: Header=BB150_3 Depth=1
	s_or_b32 exec_lo, exec_lo, s11
	s_wait_dscnt 0x0
	s_barrier_signal -1
	s_barrier_wait -1
	s_barrier_signal -1
	s_barrier_wait -1
	s_and_saveexec_b32 s11, s1
; %bb.594:                              ;   in Loop: Header=BB150_3 Depth=1
	ds_store_b64 v51, v[40:41] offset:16096
; %bb.595:                              ;   in Loop: Header=BB150_3 Depth=1
	s_or_b32 exec_lo, exec_lo, s11
	s_wait_dscnt 0x0
	s_barrier_signal -1
	s_barrier_wait -1
	s_barrier_signal -1
	s_barrier_wait -1
	s_and_saveexec_b32 s11, s92
	s_cbranch_execz .LBB150_597
; %bb.596:                              ;   in Loop: Header=BB150_3 Depth=1
	ds_load_b64 v[40:41], v52 offset:15584
	s_wait_dscnt 0x0
	ds_store_b64 v50, v[40:41] offset:14576
	ds_load_b64 v[40:41], v52 offset:15592
	s_wait_dscnt 0x0
	ds_store_b64 v50, v[40:41] offset:15088
.LBB150_597:                            ;   in Loop: Header=BB150_3 Depth=1
	s_or_b32 exec_lo, exec_lo, s11
	s_wait_dscnt 0x0
	s_barrier_signal -1
	s_barrier_wait -1
	s_and_saveexec_b32 s11, s14
	s_cbranch_execz .LBB150_599
; %bb.598:                              ;   in Loop: Header=BB150_3 Depth=1
	v_add_nc_u32_e64 v0, 0xe0, 0
	ds_load_b64 v[44:45], v1 offset:15080
	ds_load_2addr_stride64_b64 v[40:43], v0 offset0:28 offset1:29
	s_wait_dscnt 0x0
	v_dual_mul_f32 v97, v45, v41 :: v_dual_mul_f32 v0, v44, v41
	s_delay_alu instid0(VALU_DEP_1) | instskip(NEXT) | instid1(VALU_DEP_1)
	v_xor_b32_e32 v98, 0x80000000, v97
	v_dual_fmac_f32 v0, v45, v40 :: v_dual_fmac_f32 v98, v44, v40
	s_delay_alu instid0(VALU_DEP_1) | instskip(SKIP_1) | instid1(VALU_DEP_2)
	v_pk_mul_f32 v[40:41], v[0:1], v[42:43] op_sel:[0,1] op_sel_hi:[0,0]
	v_add_nc_u32_e64 v0, 0x3800, 0
	v_pk_fma_f32 v[44:45], v[98:99], v[42:43], v[40:41] op_sel_hi:[0,1,1]
	v_pk_fma_f32 v[40:41], v[98:99], v[42:43], v[40:41] neg_lo:[0,0,1] neg_hi:[0,0,1]
	s_delay_alu instid0(VALU_DEP_2)
	v_mov_b32_e32 v41, v45
	ds_store_2addr_b64 v0, v[40:41], v[40:41] offset0:29 offset1:92
.LBB150_599:                            ;   in Loop: Header=BB150_3 Depth=1
	s_or_b32 exec_lo, exec_lo, s11
	v_mov_b64_e32 v[40:41], 0
	s_wait_dscnt 0x0
	s_barrier_signal -1
	s_barrier_wait -1
	global_wb scope:SCOPE_DEV
	s_wait_storecnt 0x0
	global_inv scope:SCOPE_DEV
	s_and_saveexec_b32 s11, s3
	s_cbranch_execz .LBB150_605
; %bb.600:                              ;   in Loop: Header=BB150_3 Depth=1
	ds_load_b64 v[40:41], v54 offset:14528
	ds_load_b64 v[42:43], v55 offset:16096
	s_wait_dscnt 0x0
	v_dual_mul_f32 v0, v43, v41 :: v_dual_mul_f32 v41, v42, v41
	s_delay_alu instid0(VALU_DEP_1) | instskip(NEXT) | instid1(VALU_DEP_1)
	v_dual_fma_f32 v0, v42, v40, -v0 :: v_dual_fmac_f32 v41, v43, v40
	v_dual_add_f32 v40, 0, v0 :: v_dual_add_f32 v41, 0, v41
	s_and_saveexec_b32 s12, s18
	s_cbranch_execnz .LBB150_1150
; %bb.601:                              ;   in Loop: Header=BB150_3 Depth=1
	s_or_b32 exec_lo, exec_lo, s12
	s_and_saveexec_b32 s12, s19
	s_cbranch_execnz .LBB150_1151
.LBB150_602:                            ;   in Loop: Header=BB150_3 Depth=1
	s_or_b32 exec_lo, exec_lo, s12
	s_and_saveexec_b32 s12, s1
	s_cbranch_execz .LBB150_604
.LBB150_603:                            ;   in Loop: Header=BB150_3 Depth=1
	ds_load_b64 v[42:43], v57 offset:16064
	ds_load_b64 v[44:45], v1 offset:16120
	s_wait_dscnt 0x0
	v_dual_mul_f32 v0, v45, v43 :: v_dual_mul_f32 v43, v44, v43
	s_delay_alu instid0(VALU_DEP_1) | instskip(NEXT) | instid1(VALU_DEP_1)
	v_dual_fma_f32 v0, v44, v42, -v0 :: v_dual_fmac_f32 v43, v45, v42
	v_dual_add_f32 v40, v40, v0 :: v_dual_add_f32 v41, v41, v43
.LBB150_604:                            ;   in Loop: Header=BB150_3 Depth=1
	s_or_b32 exec_lo, exec_lo, s12
.LBB150_605:                            ;   in Loop: Header=BB150_3 Depth=1
	s_delay_alu instid0(SALU_CYCLE_1)
	s_or_b32 exec_lo, exec_lo, s11
	s_and_saveexec_b32 s11, s93
	s_cbranch_execz .LBB150_607
; %bb.606:                              ;   in Loop: Header=BB150_3 Depth=1
	ds_load_b64 v[42:43], v1 offset:14040
	s_wait_dscnt 0x0
	v_dual_mul_f32 v0, v41, v42 :: v_dual_mul_f32 v44, v41, v43
	s_delay_alu instid0(VALU_DEP_1) | instskip(NEXT) | instid1(VALU_DEP_2)
	v_pk_fma_f32 v[98:99], v[40:41], v[42:43], v[0:1] op_sel:[1,0,0] op_sel_hi:[0,1,0]
	v_pk_fma_f32 v[40:41], v[40:41], v[42:43], v[44:45] op_sel_hi:[1,1,0] neg_lo:[0,0,1] neg_hi:[0,0,1]
	s_delay_alu instid0(VALU_DEP_2) | instskip(NEXT) | instid1(VALU_DEP_1)
	v_mov_b32_e32 v41, v99
	v_pk_add_f32 v[42:43], v[40:41], 0 neg_lo:[1,1] neg_hi:[1,1]
	ds_store_b64 v53, v[42:43]
.LBB150_607:                            ;   in Loop: Header=BB150_3 Depth=1
	s_or_b32 exec_lo, exec_lo, s11
	s_wait_loadcnt_dscnt 0x0
	s_barrier_signal -1
	s_barrier_wait -1
	s_and_saveexec_b32 s11, s94
	s_cbranch_execz .LBB150_609
; %bb.608:                              ;   in Loop: Header=BB150_3 Depth=1
	ds_load_b64 v[42:43], v54 offset:14016
	ds_load_b64 v[44:45], v53
	s_wait_dscnt 0x0
	v_pk_mul_f32 v[98:99], v[44:45], v[42:43] op_sel:[1,1] op_sel_hi:[0,1]
	s_delay_alu instid0(VALU_DEP_1) | instskip(SKIP_1) | instid1(VALU_DEP_2)
	v_pk_fma_f32 v[100:101], v[44:45], v[42:43], v[98:99] op_sel_hi:[1,0,1]
	v_pk_fma_f32 v[42:43], v[44:45], v[42:43], v[98:99] neg_lo:[0,0,1] neg_hi:[0,0,1]
	v_mov_b32_e32 v43, v101
	s_delay_alu instid0(VALU_DEP_1)
	v_pk_add_f32 v[40:41], v[40:41], v[42:43] neg_lo:[0,1] neg_hi:[0,1]
.LBB150_609:                            ;   in Loop: Header=BB150_3 Depth=1
	s_or_b32 exec_lo, exec_lo, s11
	s_barrier_signal -1
	s_barrier_wait -1
	s_and_saveexec_b32 s11, s95
	s_cbranch_execz .LBB150_611
; %bb.610:                              ;   in Loop: Header=BB150_3 Depth=1
	ds_load_b64 v[42:43], v1 offset:13520
	s_wait_dscnt 0x0
	v_pk_mul_f32 v[44:45], v[40:41], v[42:43] op_sel:[1,1] op_sel_hi:[1,0]
	s_delay_alu instid0(VALU_DEP_1) | instskip(SKIP_1) | instid1(VALU_DEP_2)
	v_pk_fma_f32 v[98:99], v[40:41], v[42:43], v[44:45] op_sel_hi:[0,1,1]
	v_pk_fma_f32 v[40:41], v[40:41], v[42:43], v[44:45] neg_lo:[0,0,1] neg_hi:[0,0,1]
	v_mov_b32_e32 v41, v99
	s_delay_alu instid0(VALU_DEP_1)
	v_pk_add_f32 v[42:43], v[40:41], 0 neg_lo:[1,1] neg_hi:[1,1]
	ds_store_b64 v53, v[42:43]
.LBB150_611:                            ;   in Loop: Header=BB150_3 Depth=1
	s_or_b32 exec_lo, exec_lo, s11
	s_wait_dscnt 0x0
	s_barrier_signal -1
	s_barrier_wait -1
	s_and_saveexec_b32 s11, s96
	s_cbranch_execz .LBB150_613
; %bb.612:                              ;   in Loop: Header=BB150_3 Depth=1
	ds_load_b64 v[42:43], v54 offset:13504
	ds_load_b64 v[44:45], v53
	s_wait_dscnt 0x0
	v_pk_mul_f32 v[98:99], v[44:45], v[42:43] op_sel:[1,1] op_sel_hi:[0,1]
	s_delay_alu instid0(VALU_DEP_1) | instskip(SKIP_1) | instid1(VALU_DEP_2)
	v_pk_fma_f32 v[100:101], v[44:45], v[42:43], v[98:99] op_sel_hi:[1,0,1]
	v_pk_fma_f32 v[42:43], v[44:45], v[42:43], v[98:99] neg_lo:[0,0,1] neg_hi:[0,0,1]
	v_mov_b32_e32 v43, v101
	s_delay_alu instid0(VALU_DEP_1)
	v_pk_add_f32 v[40:41], v[40:41], v[42:43] neg_lo:[0,1] neg_hi:[0,1]
.LBB150_613:                            ;   in Loop: Header=BB150_3 Depth=1
	s_or_b32 exec_lo, exec_lo, s11
	s_barrier_signal -1
	s_barrier_wait -1
	s_and_saveexec_b32 s11, s97
	s_cbranch_execz .LBB150_615
; %bb.614:                              ;   in Loop: Header=BB150_3 Depth=1
	ds_load_b64 v[42:43], v1 offset:13000
	s_wait_dscnt 0x0
	v_pk_mul_f32 v[44:45], v[40:41], v[42:43] op_sel:[1,1] op_sel_hi:[1,0]
	s_delay_alu instid0(VALU_DEP_1) | instskip(SKIP_1) | instid1(VALU_DEP_2)
	v_pk_fma_f32 v[98:99], v[40:41], v[42:43], v[44:45] op_sel_hi:[0,1,1]
	v_pk_fma_f32 v[40:41], v[40:41], v[42:43], v[44:45] neg_lo:[0,0,1] neg_hi:[0,0,1]
	v_mov_b32_e32 v41, v99
	s_delay_alu instid0(VALU_DEP_1)
	v_pk_add_f32 v[42:43], v[40:41], 0 neg_lo:[1,1] neg_hi:[1,1]
	ds_store_b64 v53, v[42:43]
.LBB150_615:                            ;   in Loop: Header=BB150_3 Depth=1
	s_or_b32 exec_lo, exec_lo, s11
	s_wait_dscnt 0x0
	;; [unrolled: 35-line block ×3, first 2 shown]
	s_barrier_signal -1
	s_barrier_wait -1
	s_barrier_signal -1
	s_barrier_wait -1
	s_and_saveexec_b32 s11, s3
; %bb.620:                              ;   in Loop: Header=BB150_3 Depth=1
	ds_store_b64 v58, v[40:41] offset:16064
; %bb.621:                              ;   in Loop: Header=BB150_3 Depth=1
	s_or_b32 exec_lo, exec_lo, s11
	s_wait_dscnt 0x0
	s_barrier_signal -1
	s_barrier_wait -1
	s_barrier_signal -1
	s_barrier_wait -1
	s_and_saveexec_b32 s11, s99
	s_cbranch_execz .LBB150_623
; %bb.622:                              ;   in Loop: Header=BB150_3 Depth=1
	ds_load_b64 v[40:41], v59 offset:14528
	s_wait_dscnt 0x0
	ds_store_b64 v5, v[40:41] offset:12512
	ds_load_b64 v[40:41], v59 offset:14536
	s_wait_dscnt 0x0
	ds_store_b64 v5, v[40:41] offset:13024
	;; [unrolled: 3-line block ×4, first 2 shown]
.LBB150_623:                            ;   in Loop: Header=BB150_3 Depth=1
	s_or_b32 exec_lo, exec_lo, s11
	s_wait_dscnt 0x0
	s_barrier_signal -1
	s_barrier_wait -1
	s_and_saveexec_b32 s11, s14
	s_cbranch_execz .LBB150_625
; %bb.624:                              ;   in Loop: Header=BB150_3 Depth=1
	v_add_nc_u32_e64 v0, 0xd0, 0
	ds_load_b64 v[44:45], v1 offset:14040
	ds_load_2addr_stride64_b64 v[40:43], v0 offset0:26 offset1:27
	s_wait_dscnt 0x0
	v_dual_mul_f32 v97, v45, v41 :: v_dual_mul_f32 v0, v44, v41
	s_delay_alu instid0(VALU_DEP_1) | instskip(NEXT) | instid1(VALU_DEP_1)
	v_xor_b32_e32 v98, 0x80000000, v97
	v_dual_fmac_f32 v0, v45, v40 :: v_dual_fmac_f32 v98, v44, v40
	s_delay_alu instid0(VALU_DEP_1) | instskip(SKIP_1) | instid1(VALU_DEP_2)
	v_pk_mul_f32 v[40:41], v[0:1], v[42:43] op_sel:[0,1] op_sel_hi:[0,0]
	v_add_nc_u32_e64 v0, 0x3000, 0
	v_pk_fma_f32 v[44:45], v[98:99], v[42:43], v[40:41] op_sel_hi:[0,1,1]
	v_pk_fma_f32 v[40:41], v[98:99], v[42:43], v[40:41] neg_lo:[0,0,1] neg_hi:[0,0,1]
	s_delay_alu instid0(VALU_DEP_2)
	v_mov_b32_e32 v41, v45
	ds_store_2addr_b64 v0, v[40:41], v[40:41] offset0:155 offset1:218
.LBB150_625:                            ;   in Loop: Header=BB150_3 Depth=1
	s_or_b32 exec_lo, exec_lo, s11
	v_dual_mov_b32 v40, 0 :: v_dual_mov_b32 v41, 0
	s_wait_dscnt 0x0
	s_barrier_signal -1
	s_barrier_wait -1
	global_wb scope:SCOPE_DEV
	s_wait_storecnt 0x0
	global_inv scope:SCOPE_DEV
	s_and_saveexec_b32 s11, s1
	s_cbranch_execz .LBB150_629
; %bb.626:                              ;   in Loop: Header=BB150_3 Depth=1
	ds_load_b64 v[40:41], v48 offset:13504
	ds_load_b64 v[42:43], v49 offset:14032
	s_wait_dscnt 0x0
	v_pk_mul_f32 v[44:45], v[42:43], v[40:41] op_sel:[1,1] op_sel_hi:[0,1]
	s_delay_alu instid0(VALU_DEP_1) | instskip(SKIP_1) | instid1(VALU_DEP_2)
	v_pk_fma_f32 v[98:99], v[42:43], v[40:41], v[44:45] op_sel_hi:[1,0,1]
	v_pk_fma_f32 v[40:41], v[42:43], v[40:41], v[44:45] neg_lo:[0,0,1] neg_hi:[0,0,1]
	v_mov_b32_e32 v41, v99
	s_delay_alu instid0(VALU_DEP_1)
	v_pk_add_f32 v[40:41], v[40:41], 0 op_sel_hi:[1,0]
	s_and_saveexec_b32 s12, s17
	s_cbranch_execz .LBB150_628
; %bb.627:                              ;   in Loop: Header=BB150_3 Depth=1
	ds_load_b64 v[42:43], v5 offset:14016
	ds_load_b64 v[44:45], v1 offset:14040
	s_wait_dscnt 0x0
	v_pk_mul_f32 v[98:99], v[44:45], v[42:43] op_sel:[1,1] op_sel_hi:[0,1]
	s_delay_alu instid0(VALU_DEP_1) | instskip(SKIP_1) | instid1(VALU_DEP_2)
	v_pk_fma_f32 v[100:101], v[44:45], v[42:43], v[98:99] op_sel_hi:[1,0,1]
	v_pk_fma_f32 v[42:43], v[44:45], v[42:43], v[98:99] neg_lo:[0,0,1] neg_hi:[0,0,1]
	v_mov_b32_e32 v43, v101
	s_delay_alu instid0(VALU_DEP_1)
	v_pk_add_f32 v[40:41], v[40:41], v[42:43]
.LBB150_628:                            ;   in Loop: Header=BB150_3 Depth=1
	s_or_b32 exec_lo, exec_lo, s12
.LBB150_629:                            ;   in Loop: Header=BB150_3 Depth=1
	s_delay_alu instid0(SALU_CYCLE_1)
	s_or_b32 exec_lo, exec_lo, s11
	s_and_saveexec_b32 s11, s90
	s_cbranch_execz .LBB150_631
; %bb.630:                              ;   in Loop: Header=BB150_3 Depth=1
	ds_load_b64 v[42:43], v1 offset:13000
	s_wait_dscnt 0x0
	v_pk_mul_f32 v[44:45], v[40:41], v[42:43] op_sel:[1,1] op_sel_hi:[1,0]
	s_delay_alu instid0(VALU_DEP_1) | instskip(SKIP_1) | instid1(VALU_DEP_2)
	v_pk_fma_f32 v[98:99], v[40:41], v[42:43], v[44:45] op_sel_hi:[0,1,1]
	v_pk_fma_f32 v[40:41], v[40:41], v[42:43], v[44:45] neg_lo:[0,0,1] neg_hi:[0,0,1]
	v_mov_b32_e32 v41, v99
	s_delay_alu instid0(VALU_DEP_1)
	v_pk_add_f32 v[42:43], v[40:41], 0 neg_lo:[1,1] neg_hi:[1,1]
	ds_store_b64 v3, v[42:43]
.LBB150_631:                            ;   in Loop: Header=BB150_3 Depth=1
	s_or_b32 exec_lo, exec_lo, s11
	s_wait_loadcnt_dscnt 0x0
	s_barrier_signal -1
	s_barrier_wait -1
	s_and_saveexec_b32 s11, s91
	s_cbranch_execz .LBB150_633
; %bb.632:                              ;   in Loop: Header=BB150_3 Depth=1
	ds_load_b64 v[42:43], v1 offset:12992
	ds_load_b64 v[44:45], v3
	s_wait_dscnt 0x0
	v_pk_mul_f32 v[98:99], v[44:45], v[42:43] op_sel:[1,1] op_sel_hi:[0,1]
	s_delay_alu instid0(VALU_DEP_1) | instskip(SKIP_1) | instid1(VALU_DEP_2)
	v_pk_fma_f32 v[100:101], v[44:45], v[42:43], v[98:99] op_sel_hi:[1,0,1]
	v_pk_fma_f32 v[42:43], v[44:45], v[42:43], v[98:99] neg_lo:[0,0,1] neg_hi:[0,0,1]
	v_mov_b32_e32 v43, v101
	s_delay_alu instid0(VALU_DEP_1)
	v_pk_add_f32 v[40:41], v[40:41], v[42:43] neg_lo:[0,1] neg_hi:[0,1]
.LBB150_633:                            ;   in Loop: Header=BB150_3 Depth=1
	s_or_b32 exec_lo, exec_lo, s11
	s_barrier_signal -1
	s_barrier_wait -1
	s_and_saveexec_b32 s11, s91
	s_cbranch_execz .LBB150_635
; %bb.634:                              ;   in Loop: Header=BB150_3 Depth=1
	ds_load_b64 v[42:43], v1 offset:12480
	s_wait_dscnt 0x0
	v_pk_mul_f32 v[44:45], v[40:41], v[42:43] op_sel:[1,1] op_sel_hi:[1,0]
	s_delay_alu instid0(VALU_DEP_1) | instskip(SKIP_1) | instid1(VALU_DEP_2)
	v_pk_fma_f32 v[98:99], v[40:41], v[42:43], v[44:45] op_sel_hi:[0,1,1]
	v_pk_fma_f32 v[40:41], v[40:41], v[42:43], v[44:45] neg_lo:[0,0,1] neg_hi:[0,0,1]
	v_mov_b32_e32 v41, v99
	s_delay_alu instid0(VALU_DEP_1)
	v_pk_add_f32 v[42:43], v[40:41], 0 neg_lo:[1,1] neg_hi:[1,1]
	ds_store_b64 v3, v[42:43]
.LBB150_635:                            ;   in Loop: Header=BB150_3 Depth=1
	s_or_b32 exec_lo, exec_lo, s11
	s_wait_dscnt 0x0
	s_barrier_signal -1
	s_barrier_wait -1
	s_barrier_signal -1
	s_barrier_wait -1
	s_and_saveexec_b32 s11, s1
; %bb.636:                              ;   in Loop: Header=BB150_3 Depth=1
	ds_store_b64 v51, v[40:41] offset:14016
; %bb.637:                              ;   in Loop: Header=BB150_3 Depth=1
	s_or_b32 exec_lo, exec_lo, s11
	s_wait_dscnt 0x0
	s_barrier_signal -1
	s_barrier_wait -1
	s_barrier_signal -1
	s_barrier_wait -1
	s_and_saveexec_b32 s11, s92
	s_cbranch_execz .LBB150_639
; %bb.638:                              ;   in Loop: Header=BB150_3 Depth=1
	ds_load_b64 v[40:41], v73 offset:13504
	s_wait_dscnt 0x0
	ds_store_b64 v5, v[40:41] offset:12496
	ds_load_b64 v[40:41], v73 offset:13512
	s_wait_dscnt 0x0
	ds_store_b64 v5, v[40:41] offset:13008
.LBB150_639:                            ;   in Loop: Header=BB150_3 Depth=1
	s_or_b32 exec_lo, exec_lo, s11
	s_wait_dscnt 0x0
	s_barrier_signal -1
	s_barrier_wait -1
	s_and_saveexec_b32 s11, s14
	s_cbranch_execz .LBB150_641
; %bb.640:                              ;   in Loop: Header=BB150_3 Depth=1
	v_add_nc_u32_e64 v0, 0xc0, 0
	ds_load_b64 v[44:45], v1 offset:13000
	ds_load_2addr_stride64_b64 v[40:43], v0 offset0:24 offset1:25
	s_wait_dscnt 0x0
	v_dual_mul_f32 v97, v45, v41 :: v_dual_mul_f32 v0, v44, v41
	s_delay_alu instid0(VALU_DEP_1) | instskip(NEXT) | instid1(VALU_DEP_1)
	v_xor_b32_e32 v98, 0x80000000, v97
	v_dual_fmac_f32 v0, v45, v40 :: v_dual_fmac_f32 v98, v44, v40
	s_delay_alu instid0(VALU_DEP_1) | instskip(SKIP_1) | instid1(VALU_DEP_2)
	v_pk_mul_f32 v[40:41], v[0:1], v[42:43] op_sel:[0,1] op_sel_hi:[0,0]
	v_add_nc_u32_e64 v0, 0x3000, 0
	v_pk_fma_f32 v[44:45], v[98:99], v[42:43], v[40:41] op_sel_hi:[0,1,1]
	v_pk_fma_f32 v[40:41], v[98:99], v[42:43], v[40:41] neg_lo:[0,0,1] neg_hi:[0,0,1]
	s_delay_alu instid0(VALU_DEP_2)
	v_mov_b32_e32 v41, v45
	ds_store_2addr_b64 v0, v[40:41], v[40:41] offset0:25 offset1:88
.LBB150_641:                            ;   in Loop: Header=BB150_3 Depth=1
	s_or_b32 exec_lo, exec_lo, s11
	v_mov_b64_e32 v[40:41], 0
	s_wait_dscnt 0x0
	s_barrier_signal -1
	s_barrier_wait -1
	global_wb scope:SCOPE_DEV
	s_wait_storecnt 0x0
	global_inv scope:SCOPE_DEV
	s_and_saveexec_b32 s11, s4
	s_cbranch_execz .LBB150_651
; %bb.642:                              ;   in Loop: Header=BB150_3 Depth=1
	ds_load_b64 v[40:41], v61 offset:12416
	ds_load_b64 v[42:43], v62 offset:16064
	s_wait_dscnt 0x0
	v_dual_mul_f32 v0, v43, v41 :: v_dual_mul_f32 v41, v42, v41
	s_delay_alu instid0(VALU_DEP_1) | instskip(NEXT) | instid1(VALU_DEP_1)
	v_dual_fma_f32 v0, v42, v40, -v0 :: v_dual_fmac_f32 v41, v43, v40
	v_dual_add_f32 v40, 0, v0 :: v_dual_add_f32 v41, 0, v41
	s_and_saveexec_b32 s12, s20
	s_cbranch_execnz .LBB150_1152
; %bb.643:                              ;   in Loop: Header=BB150_3 Depth=1
	s_or_b32 exec_lo, exec_lo, s12
	s_and_saveexec_b32 s12, s21
	s_cbranch_execnz .LBB150_1153
.LBB150_644:                            ;   in Loop: Header=BB150_3 Depth=1
	s_or_b32 exec_lo, exec_lo, s12
	s_and_saveexec_b32 s12, s22
	s_cbranch_execnz .LBB150_1154
.LBB150_645:                            ;   in Loop: Header=BB150_3 Depth=1
	s_or_b32 exec_lo, exec_lo, s12
	s_and_saveexec_b32 s12, s23
	s_cbranch_execnz .LBB150_1155
.LBB150_646:                            ;   in Loop: Header=BB150_3 Depth=1
	s_or_b32 exec_lo, exec_lo, s12
	s_and_saveexec_b32 s12, s24
	s_cbranch_execnz .LBB150_1156
.LBB150_647:                            ;   in Loop: Header=BB150_3 Depth=1
	s_or_b32 exec_lo, exec_lo, s12
	s_and_saveexec_b32 s12, s3
	s_cbranch_execnz .LBB150_1157
.LBB150_648:                            ;   in Loop: Header=BB150_3 Depth=1
	s_or_b32 exec_lo, exec_lo, s12
	s_and_saveexec_b32 s12, s19
	s_cbranch_execz .LBB150_650
.LBB150_649:                            ;   in Loop: Header=BB150_3 Depth=1
	ds_load_b64 v[42:43], v74 offset:16000
	ds_load_b64 v[44:45], v1 offset:16120
	s_wait_dscnt 0x0
	v_dual_mul_f32 v0, v45, v43 :: v_dual_mul_f32 v99, v44, v43
	s_delay_alu instid0(VALU_DEP_1) | instskip(NEXT) | instid1(VALU_DEP_1)
	v_dual_fma_f32 v98, v44, v42, -v0 :: v_dual_fmac_f32 v99, v45, v42
	v_pk_add_f32 v[40:41], v[40:41], v[98:99]
.LBB150_650:                            ;   in Loop: Header=BB150_3 Depth=1
	s_or_b32 exec_lo, exec_lo, s12
.LBB150_651:                            ;   in Loop: Header=BB150_3 Depth=1
	s_delay_alu instid0(SALU_CYCLE_1)
	s_or_b32 exec_lo, exec_lo, s11
	s_and_saveexec_b32 s11, s100
	s_cbranch_execz .LBB150_653
; %bb.652:                              ;   in Loop: Header=BB150_3 Depth=1
	ds_load_b64 v[42:43], v1 offset:11960
	s_wait_dscnt 0x0
	v_pk_mul_f32 v[44:45], v[40:41], v[42:43] op_sel:[1,1] op_sel_hi:[1,0]
	s_delay_alu instid0(VALU_DEP_1) | instskip(SKIP_1) | instid1(VALU_DEP_2)
	v_pk_fma_f32 v[98:99], v[40:41], v[42:43], v[44:45] op_sel_hi:[0,1,1]
	v_pk_fma_f32 v[40:41], v[40:41], v[42:43], v[44:45] neg_lo:[0,0,1] neg_hi:[0,0,1]
	v_mov_b32_e32 v41, v99
	s_delay_alu instid0(VALU_DEP_1)
	v_pk_add_f32 v[42:43], v[40:41], 0 neg_lo:[1,1] neg_hi:[1,1]
	ds_store_b64 v60, v[42:43]
.LBB150_653:                            ;   in Loop: Header=BB150_3 Depth=1
	s_or_b32 exec_lo, exec_lo, s11
	s_wait_loadcnt_dscnt 0x0
	s_barrier_signal -1
	s_barrier_wait -1
	s_and_saveexec_b32 s11, s101
	s_cbranch_execz .LBB150_655
; %bb.654:                              ;   in Loop: Header=BB150_3 Depth=1
	ds_load_b64 v[42:43], v61 offset:11904
	ds_load_b64 v[44:45], v60
	s_wait_dscnt 0x0
	v_pk_mul_f32 v[98:99], v[44:45], v[42:43] op_sel:[1,1] op_sel_hi:[0,1]
	s_delay_alu instid0(VALU_DEP_1) | instskip(SKIP_1) | instid1(VALU_DEP_2)
	v_pk_fma_f32 v[100:101], v[44:45], v[42:43], v[98:99] op_sel_hi:[1,0,1]
	v_pk_fma_f32 v[42:43], v[44:45], v[42:43], v[98:99] neg_lo:[0,0,1] neg_hi:[0,0,1]
	v_mov_b32_e32 v43, v101
	s_delay_alu instid0(VALU_DEP_1)
	v_pk_add_f32 v[40:41], v[40:41], v[42:43] neg_lo:[0,1] neg_hi:[0,1]
.LBB150_655:                            ;   in Loop: Header=BB150_3 Depth=1
	s_or_b32 exec_lo, exec_lo, s11
	s_barrier_signal -1
	s_barrier_wait -1
	s_and_saveexec_b32 s11, s102
	s_cbranch_execz .LBB150_657
; %bb.656:                              ;   in Loop: Header=BB150_3 Depth=1
	ds_load_b64 v[42:43], v1 offset:11440
	s_wait_dscnt 0x0
	v_pk_mul_f32 v[44:45], v[40:41], v[42:43] op_sel:[1,1] op_sel_hi:[1,0]
	s_delay_alu instid0(VALU_DEP_1) | instskip(SKIP_1) | instid1(VALU_DEP_2)
	v_pk_fma_f32 v[98:99], v[40:41], v[42:43], v[44:45] op_sel_hi:[0,1,1]
	v_pk_fma_f32 v[40:41], v[40:41], v[42:43], v[44:45] neg_lo:[0,0,1] neg_hi:[0,0,1]
	v_mov_b32_e32 v41, v99
	s_delay_alu instid0(VALU_DEP_1)
	v_pk_add_f32 v[42:43], v[40:41], 0 neg_lo:[1,1] neg_hi:[1,1]
	ds_store_b64 v60, v[42:43]
.LBB150_657:                            ;   in Loop: Header=BB150_3 Depth=1
	s_or_b32 exec_lo, exec_lo, s11
	s_wait_dscnt 0x0
	s_barrier_signal -1
	s_barrier_wait -1
	s_and_saveexec_b32 s11, s103
	s_cbranch_execz .LBB150_659
; %bb.658:                              ;   in Loop: Header=BB150_3 Depth=1
	ds_load_b64 v[42:43], v61 offset:11392
	ds_load_b64 v[44:45], v60
	s_wait_dscnt 0x0
	v_pk_mul_f32 v[98:99], v[44:45], v[42:43] op_sel:[1,1] op_sel_hi:[0,1]
	s_delay_alu instid0(VALU_DEP_1) | instskip(SKIP_1) | instid1(VALU_DEP_2)
	v_pk_fma_f32 v[100:101], v[44:45], v[42:43], v[98:99] op_sel_hi:[1,0,1]
	v_pk_fma_f32 v[42:43], v[44:45], v[42:43], v[98:99] neg_lo:[0,0,1] neg_hi:[0,0,1]
	v_mov_b32_e32 v43, v101
	s_delay_alu instid0(VALU_DEP_1)
	v_pk_add_f32 v[40:41], v[40:41], v[42:43] neg_lo:[0,1] neg_hi:[0,1]
.LBB150_659:                            ;   in Loop: Header=BB150_3 Depth=1
	s_or_b32 exec_lo, exec_lo, s11
	s_barrier_signal -1
	s_barrier_wait -1
	s_and_saveexec_b32 s11, s104
	s_cbranch_execz .LBB150_661
; %bb.660:                              ;   in Loop: Header=BB150_3 Depth=1
	ds_load_b64 v[42:43], v1 offset:10920
	s_wait_dscnt 0x0
	v_pk_mul_f32 v[44:45], v[40:41], v[42:43] op_sel:[1,1] op_sel_hi:[1,0]
	s_delay_alu instid0(VALU_DEP_1) | instskip(SKIP_1) | instid1(VALU_DEP_2)
	v_pk_fma_f32 v[98:99], v[40:41], v[42:43], v[44:45] op_sel_hi:[0,1,1]
	v_pk_fma_f32 v[40:41], v[40:41], v[42:43], v[44:45] neg_lo:[0,0,1] neg_hi:[0,0,1]
	v_mov_b32_e32 v41, v99
	s_delay_alu instid0(VALU_DEP_1)
	v_pk_add_f32 v[42:43], v[40:41], 0 neg_lo:[1,1] neg_hi:[1,1]
	ds_store_b64 v60, v[42:43]
.LBB150_661:                            ;   in Loop: Header=BB150_3 Depth=1
	s_or_b32 exec_lo, exec_lo, s11
	s_wait_dscnt 0x0
	s_barrier_signal -1
	s_barrier_wait -1
	s_and_saveexec_b32 s11, vcc_hi
	s_cbranch_execz .LBB150_663
; %bb.662:                              ;   in Loop: Header=BB150_3 Depth=1
	ds_load_b64 v[42:43], v61 offset:10880
	ds_load_b64 v[44:45], v60
	s_wait_dscnt 0x0
	v_pk_mul_f32 v[98:99], v[44:45], v[42:43] op_sel:[1,1] op_sel_hi:[0,1]
	s_delay_alu instid0(VALU_DEP_1) | instskip(SKIP_1) | instid1(VALU_DEP_2)
	v_pk_fma_f32 v[100:101], v[44:45], v[42:43], v[98:99] op_sel_hi:[1,0,1]
	v_pk_fma_f32 v[42:43], v[44:45], v[42:43], v[98:99] neg_lo:[0,0,1] neg_hi:[0,0,1]
	v_mov_b32_e32 v43, v101
	s_delay_alu instid0(VALU_DEP_1)
	v_pk_add_f32 v[40:41], v[40:41], v[42:43] neg_lo:[0,1] neg_hi:[0,1]
.LBB150_663:                            ;   in Loop: Header=BB150_3 Depth=1
	s_or_b32 exec_lo, exec_lo, s11
	s_barrier_signal -1
	s_barrier_wait -1
	s_and_saveexec_b32 s11, s15
	s_cbranch_execz .LBB150_665
; %bb.664:                              ;   in Loop: Header=BB150_3 Depth=1
	ds_load_b64 v[42:43], v1 offset:10400
	s_wait_dscnt 0x0
	v_pk_mul_f32 v[44:45], v[40:41], v[42:43]
	v_pk_mul_f32 v[40:41], v[40:41], v[42:43] op_sel:[1,0] op_sel_hi:[0,1]
	s_delay_alu instid0(VALU_DEP_1) | instskip(NEXT) | instid1(VALU_DEP_3)
	v_dual_mov_b32 v42, v44 :: v_dual_mov_b32 v43, v40
	v_mov_b32_e32 v40, v45
	s_delay_alu instid0(VALU_DEP_1) | instskip(SKIP_1) | instid1(VALU_DEP_2)
	v_pk_add_f32 v[44:45], v[42:43], v[40:41]
	v_pk_add_f32 v[40:41], v[42:43], v[40:41] neg_lo:[0,1] neg_hi:[0,1]
	v_mov_b32_e32 v41, v45
	s_delay_alu instid0(VALU_DEP_1)
	v_pk_add_f32 v[42:43], v[40:41], 0 neg_lo:[1,1] neg_hi:[1,1]
	ds_store_b64 v60, v[42:43]
.LBB150_665:                            ;   in Loop: Header=BB150_3 Depth=1
	s_or_b32 exec_lo, exec_lo, s11
	s_wait_dscnt 0x0
	s_barrier_signal -1
	s_barrier_wait -1
	s_and_saveexec_b32 s11, s40
	s_cbranch_execz .LBB150_667
; %bb.666:                              ;   in Loop: Header=BB150_3 Depth=1
	ds_load_b64 v[42:43], v61 offset:10368
	ds_load_b64 v[44:45], v60
	s_wait_dscnt 0x0
	v_dual_mul_f32 v0, v45, v43 :: v_dual_mul_f32 v43, v44, v43
	s_delay_alu instid0(VALU_DEP_1) | instskip(NEXT) | instid1(VALU_DEP_1)
	v_dual_fma_f32 v0, v44, v42, -v0 :: v_dual_fmac_f32 v43, v45, v42
	v_dual_sub_f32 v40, v40, v0 :: v_dual_sub_f32 v41, v41, v43
.LBB150_667:                            ;   in Loop: Header=BB150_3 Depth=1
	s_or_b32 exec_lo, exec_lo, s11
	s_barrier_signal -1
	s_barrier_wait -1
	s_and_saveexec_b32 s11, s41
	s_cbranch_execz .LBB150_669
; %bb.668:                              ;   in Loop: Header=BB150_3 Depth=1
	ds_load_b64 v[42:43], v1 offset:9880
	s_wait_dscnt 0x0
	v_dual_mul_f32 v0, v41, v42 :: v_dual_mul_f32 v44, v41, v43
	s_delay_alu instid0(VALU_DEP_1) | instskip(NEXT) | instid1(VALU_DEP_2)
	v_pk_fma_f32 v[98:99], v[40:41], v[42:43], v[0:1] op_sel:[1,0,0] op_sel_hi:[0,1,0]
	v_pk_fma_f32 v[40:41], v[40:41], v[42:43], v[44:45] op_sel_hi:[1,1,0] neg_lo:[0,0,1] neg_hi:[0,0,1]
	s_delay_alu instid0(VALU_DEP_2) | instskip(NEXT) | instid1(VALU_DEP_1)
	v_mov_b32_e32 v41, v99
	v_pk_add_f32 v[42:43], v[40:41], 0 neg_lo:[1,1] neg_hi:[1,1]
	ds_store_b64 v60, v[42:43]
.LBB150_669:                            ;   in Loop: Header=BB150_3 Depth=1
	s_or_b32 exec_lo, exec_lo, s11
	s_wait_dscnt 0x0
	s_barrier_signal -1
	s_barrier_wait -1
	s_and_saveexec_b32 s11, s42
	s_cbranch_execz .LBB150_671
; %bb.670:                              ;   in Loop: Header=BB150_3 Depth=1
	ds_load_b64 v[42:43], v61 offset:9856
	ds_load_b64 v[44:45], v60
	s_wait_dscnt 0x0
	v_pk_mul_f32 v[98:99], v[44:45], v[42:43] op_sel:[1,1] op_sel_hi:[0,1]
	s_delay_alu instid0(VALU_DEP_1) | instskip(SKIP_1) | instid1(VALU_DEP_2)
	v_pk_fma_f32 v[100:101], v[44:45], v[42:43], v[98:99] op_sel_hi:[1,0,1]
	v_pk_fma_f32 v[42:43], v[44:45], v[42:43], v[98:99] neg_lo:[0,0,1] neg_hi:[0,0,1]
	v_mov_b32_e32 v43, v101
	s_delay_alu instid0(VALU_DEP_1)
	v_pk_add_f32 v[40:41], v[40:41], v[42:43] neg_lo:[0,1] neg_hi:[0,1]
.LBB150_671:                            ;   in Loop: Header=BB150_3 Depth=1
	s_or_b32 exec_lo, exec_lo, s11
	s_barrier_signal -1
	s_barrier_wait -1
	s_and_saveexec_b32 s11, s43
	s_cbranch_execz .LBB150_673
; %bb.672:                              ;   in Loop: Header=BB150_3 Depth=1
	ds_load_b64 v[42:43], v1 offset:9360
	s_wait_dscnt 0x0
	v_pk_mul_f32 v[44:45], v[40:41], v[42:43] op_sel:[1,1] op_sel_hi:[1,0]
	s_delay_alu instid0(VALU_DEP_1) | instskip(SKIP_1) | instid1(VALU_DEP_2)
	v_pk_fma_f32 v[98:99], v[40:41], v[42:43], v[44:45] op_sel_hi:[0,1,1]
	v_pk_fma_f32 v[40:41], v[40:41], v[42:43], v[44:45] neg_lo:[0,0,1] neg_hi:[0,0,1]
	v_mov_b32_e32 v41, v99
	s_delay_alu instid0(VALU_DEP_1)
	v_pk_add_f32 v[42:43], v[40:41], 0 neg_lo:[1,1] neg_hi:[1,1]
	ds_store_b64 v60, v[42:43]
.LBB150_673:                            ;   in Loop: Header=BB150_3 Depth=1
	s_or_b32 exec_lo, exec_lo, s11
	s_wait_dscnt 0x0
	s_barrier_signal -1
	s_barrier_wait -1
	s_and_saveexec_b32 s11, s44
	s_cbranch_execz .LBB150_675
; %bb.674:                              ;   in Loop: Header=BB150_3 Depth=1
	ds_load_b64 v[42:43], v61 offset:9344
	ds_load_b64 v[44:45], v60
	s_wait_dscnt 0x0
	v_pk_mul_f32 v[98:99], v[44:45], v[42:43] op_sel:[1,1] op_sel_hi:[0,1]
	s_delay_alu instid0(VALU_DEP_1) | instskip(SKIP_1) | instid1(VALU_DEP_2)
	v_pk_fma_f32 v[100:101], v[44:45], v[42:43], v[98:99] op_sel_hi:[1,0,1]
	v_pk_fma_f32 v[42:43], v[44:45], v[42:43], v[98:99] neg_lo:[0,0,1] neg_hi:[0,0,1]
	v_mov_b32_e32 v43, v101
	s_delay_alu instid0(VALU_DEP_1)
	v_pk_add_f32 v[40:41], v[40:41], v[42:43] neg_lo:[0,1] neg_hi:[0,1]
.LBB150_675:                            ;   in Loop: Header=BB150_3 Depth=1
	s_or_b32 exec_lo, exec_lo, s11
	s_barrier_signal -1
	s_barrier_wait -1
	s_and_saveexec_b32 s11, s45
	s_cbranch_execz .LBB150_677
; %bb.676:                              ;   in Loop: Header=BB150_3 Depth=1
	ds_load_b64 v[42:43], v1 offset:8840
	s_wait_dscnt 0x0
	v_pk_mul_f32 v[44:45], v[40:41], v[42:43] op_sel:[1,1] op_sel_hi:[1,0]
	s_delay_alu instid0(VALU_DEP_1) | instskip(SKIP_1) | instid1(VALU_DEP_2)
	v_pk_fma_f32 v[98:99], v[40:41], v[42:43], v[44:45] op_sel_hi:[0,1,1]
	v_pk_fma_f32 v[40:41], v[40:41], v[42:43], v[44:45] neg_lo:[0,0,1] neg_hi:[0,0,1]
	v_mov_b32_e32 v41, v99
	s_delay_alu instid0(VALU_DEP_1)
	v_pk_add_f32 v[42:43], v[40:41], 0 neg_lo:[1,1] neg_hi:[1,1]
	ds_store_b64 v60, v[42:43]
.LBB150_677:                            ;   in Loop: Header=BB150_3 Depth=1
	;; [unrolled: 35-line block ×3, first 2 shown]
	s_or_b32 exec_lo, exec_lo, s11
	s_wait_dscnt 0x0
	s_barrier_signal -1
	s_barrier_wait -1
	s_barrier_signal -1
	s_barrier_wait -1
	s_and_saveexec_b32 s11, s4
; %bb.682:                              ;   in Loop: Header=BB150_3 Depth=1
	ds_store_b64 v63, v[40:41] offset:16000
; %bb.683:                              ;   in Loop: Header=BB150_3 Depth=1
	s_or_b32 exec_lo, exec_lo, s11
	s_wait_dscnt 0x0
	s_barrier_signal -1
	s_barrier_wait -1
	s_barrier_signal -1
	s_barrier_wait -1
	s_and_saveexec_b32 s11, s47
	s_cbranch_execz .LBB150_685
; %bb.684:                              ;   in Loop: Header=BB150_3 Depth=1
	ds_load_b64 v[40:41], v75 offset:12416
	s_wait_dscnt 0x0
	ds_store_b64 v76, v[40:41] offset:8384
	ds_load_b64 v[40:41], v75 offset:12424
	s_wait_dscnt 0x0
	ds_store_b64 v76, v[40:41] offset:8896
	;; [unrolled: 3-line block ×8, first 2 shown]
.LBB150_685:                            ;   in Loop: Header=BB150_3 Depth=1
	s_or_b32 exec_lo, exec_lo, s11
	s_wait_dscnt 0x0
	s_barrier_signal -1
	s_barrier_wait -1
	s_and_saveexec_b32 s11, s14
	s_cbranch_execz .LBB150_687
; %bb.686:                              ;   in Loop: Header=BB150_3 Depth=1
	v_add_nc_u32_e64 v0, 0xb0, 0
	ds_load_b64 v[44:45], v1 offset:11960
	ds_load_2addr_stride64_b64 v[40:43], v0 offset0:22 offset1:23
	s_wait_dscnt 0x0
	v_dual_mul_f32 v97, v45, v41 :: v_dual_mul_f32 v0, v44, v41
	s_delay_alu instid0(VALU_DEP_1) | instskip(NEXT) | instid1(VALU_DEP_1)
	v_xor_b32_e32 v98, 0x80000000, v97
	v_dual_fmac_f32 v0, v45, v40 :: v_dual_fmac_f32 v98, v44, v40
	s_delay_alu instid0(VALU_DEP_1) | instskip(SKIP_1) | instid1(VALU_DEP_2)
	v_pk_mul_f32 v[40:41], v[0:1], v[42:43] op_sel:[0,1] op_sel_hi:[0,0]
	v_add_nc_u32_e64 v0, 0x2800, 0
	v_pk_fma_f32 v[44:45], v[98:99], v[42:43], v[40:41] op_sel_hi:[0,1,1]
	v_pk_fma_f32 v[40:41], v[98:99], v[42:43], v[40:41] neg_lo:[0,0,1] neg_hi:[0,0,1]
	s_delay_alu instid0(VALU_DEP_2)
	v_mov_b32_e32 v41, v45
	ds_store_2addr_b64 v0, v[40:41], v[40:41] offset0:151 offset1:214
.LBB150_687:                            ;   in Loop: Header=BB150_3 Depth=1
	s_or_b32 exec_lo, exec_lo, s11
	v_dual_mov_b32 v40, 0 :: v_dual_mov_b32 v41, 0
	s_wait_dscnt 0x0
	s_barrier_signal -1
	s_barrier_wait -1
	global_wb scope:SCOPE_DEV
	s_wait_storecnt 0x0
	global_inv scope:SCOPE_DEV
	s_and_saveexec_b32 s11, s1
	s_cbranch_execz .LBB150_691
; %bb.688:                              ;   in Loop: Header=BB150_3 Depth=1
	ds_load_b64 v[40:41], v48 offset:11424
	ds_load_b64 v[42:43], v49 offset:11952
	s_wait_dscnt 0x0
	v_pk_mul_f32 v[44:45], v[42:43], v[40:41] op_sel:[1,1] op_sel_hi:[0,1]
	s_delay_alu instid0(VALU_DEP_1) | instskip(SKIP_1) | instid1(VALU_DEP_2)
	v_pk_fma_f32 v[98:99], v[42:43], v[40:41], v[44:45] op_sel_hi:[1,0,1]
	v_pk_fma_f32 v[40:41], v[42:43], v[40:41], v[44:45] neg_lo:[0,0,1] neg_hi:[0,0,1]
	v_mov_b32_e32 v41, v99
	s_delay_alu instid0(VALU_DEP_1)
	v_pk_add_f32 v[40:41], v[40:41], 0 op_sel_hi:[1,0]
	s_and_saveexec_b32 s12, s17
	s_cbranch_execz .LBB150_690
; %bb.689:                              ;   in Loop: Header=BB150_3 Depth=1
	ds_load_b64 v[42:43], v76 offset:11936
	ds_load_b64 v[44:45], v1 offset:11960
	s_wait_dscnt 0x0
	v_pk_mul_f32 v[98:99], v[44:45], v[42:43] op_sel:[1,1] op_sel_hi:[0,1]
	s_delay_alu instid0(VALU_DEP_1) | instskip(SKIP_1) | instid1(VALU_DEP_2)
	v_pk_fma_f32 v[100:101], v[44:45], v[42:43], v[98:99] op_sel_hi:[1,0,1]
	v_pk_fma_f32 v[42:43], v[44:45], v[42:43], v[98:99] neg_lo:[0,0,1] neg_hi:[0,0,1]
	v_mov_b32_e32 v43, v101
	s_delay_alu instid0(VALU_DEP_1)
	v_pk_add_f32 v[40:41], v[40:41], v[42:43]
.LBB150_690:                            ;   in Loop: Header=BB150_3 Depth=1
	s_or_b32 exec_lo, exec_lo, s12
.LBB150_691:                            ;   in Loop: Header=BB150_3 Depth=1
	s_delay_alu instid0(SALU_CYCLE_1)
	s_or_b32 exec_lo, exec_lo, s11
	s_and_saveexec_b32 s11, s90
	s_cbranch_execz .LBB150_693
; %bb.692:                              ;   in Loop: Header=BB150_3 Depth=1
	ds_load_b64 v[42:43], v1 offset:10920
	s_wait_dscnt 0x0
	v_pk_mul_f32 v[44:45], v[40:41], v[42:43] op_sel:[1,1] op_sel_hi:[1,0]
	s_delay_alu instid0(VALU_DEP_1) | instskip(SKIP_1) | instid1(VALU_DEP_2)
	v_pk_fma_f32 v[98:99], v[40:41], v[42:43], v[44:45] op_sel_hi:[0,1,1]
	v_pk_fma_f32 v[40:41], v[40:41], v[42:43], v[44:45] neg_lo:[0,0,1] neg_hi:[0,0,1]
	v_mov_b32_e32 v41, v99
	s_delay_alu instid0(VALU_DEP_1)
	v_pk_add_f32 v[42:43], v[40:41], 0 neg_lo:[1,1] neg_hi:[1,1]
	ds_store_b64 v3, v[42:43]
.LBB150_693:                            ;   in Loop: Header=BB150_3 Depth=1
	s_or_b32 exec_lo, exec_lo, s11
	s_wait_loadcnt_dscnt 0x0
	s_barrier_signal -1
	s_barrier_wait -1
	s_and_saveexec_b32 s11, s91
	s_cbranch_execz .LBB150_695
; %bb.694:                              ;   in Loop: Header=BB150_3 Depth=1
	ds_load_b64 v[42:43], v1 offset:10912
	ds_load_b64 v[44:45], v3
	s_wait_dscnt 0x0
	v_pk_mul_f32 v[98:99], v[44:45], v[42:43] op_sel:[1,1] op_sel_hi:[0,1]
	s_delay_alu instid0(VALU_DEP_1) | instskip(SKIP_1) | instid1(VALU_DEP_2)
	v_pk_fma_f32 v[100:101], v[44:45], v[42:43], v[98:99] op_sel_hi:[1,0,1]
	v_pk_fma_f32 v[42:43], v[44:45], v[42:43], v[98:99] neg_lo:[0,0,1] neg_hi:[0,0,1]
	v_mov_b32_e32 v43, v101
	s_delay_alu instid0(VALU_DEP_1)
	v_pk_add_f32 v[40:41], v[40:41], v[42:43] neg_lo:[0,1] neg_hi:[0,1]
.LBB150_695:                            ;   in Loop: Header=BB150_3 Depth=1
	s_or_b32 exec_lo, exec_lo, s11
	s_barrier_signal -1
	s_barrier_wait -1
	s_and_saveexec_b32 s11, s91
	s_cbranch_execz .LBB150_697
; %bb.696:                              ;   in Loop: Header=BB150_3 Depth=1
	ds_load_b64 v[42:43], v1 offset:10400
	s_wait_dscnt 0x0
	v_pk_mul_f32 v[44:45], v[40:41], v[42:43] op_sel:[1,1] op_sel_hi:[1,0]
	s_delay_alu instid0(VALU_DEP_1) | instskip(SKIP_1) | instid1(VALU_DEP_2)
	v_pk_fma_f32 v[98:99], v[40:41], v[42:43], v[44:45] op_sel_hi:[0,1,1]
	v_pk_fma_f32 v[40:41], v[40:41], v[42:43], v[44:45] neg_lo:[0,0,1] neg_hi:[0,0,1]
	v_mov_b32_e32 v41, v99
	s_delay_alu instid0(VALU_DEP_1)
	v_pk_add_f32 v[42:43], v[40:41], 0 neg_lo:[1,1] neg_hi:[1,1]
	ds_store_b64 v3, v[42:43]
.LBB150_697:                            ;   in Loop: Header=BB150_3 Depth=1
	s_or_b32 exec_lo, exec_lo, s11
	s_wait_dscnt 0x0
	s_barrier_signal -1
	s_barrier_wait -1
	s_barrier_signal -1
	s_barrier_wait -1
	s_and_saveexec_b32 s11, s1
; %bb.698:                              ;   in Loop: Header=BB150_3 Depth=1
	ds_store_b64 v51, v[40:41] offset:11936
; %bb.699:                              ;   in Loop: Header=BB150_3 Depth=1
	s_or_b32 exec_lo, exec_lo, s11
	s_wait_dscnt 0x0
	s_barrier_signal -1
	s_barrier_wait -1
	s_barrier_signal -1
	s_barrier_wait -1
	s_and_saveexec_b32 s11, s92
	s_cbranch_execz .LBB150_701
; %bb.700:                              ;   in Loop: Header=BB150_3 Depth=1
	ds_load_b64 v[40:41], v77 offset:11424
	s_wait_dscnt 0x0
	ds_store_b64 v76, v[40:41] offset:10416
	ds_load_b64 v[40:41], v77 offset:11432
	s_wait_dscnt 0x0
	ds_store_b64 v76, v[40:41] offset:10928
.LBB150_701:                            ;   in Loop: Header=BB150_3 Depth=1
	s_or_b32 exec_lo, exec_lo, s11
	s_wait_dscnt 0x0
	s_barrier_signal -1
	s_barrier_wait -1
	s_and_saveexec_b32 s11, s14
	s_cbranch_execz .LBB150_703
; %bb.702:                              ;   in Loop: Header=BB150_3 Depth=1
	v_add_nc_u32_e64 v0, 0xa0, 0
	ds_load_b64 v[44:45], v1 offset:10920
	ds_load_2addr_stride64_b64 v[40:43], v0 offset0:20 offset1:21
	s_wait_dscnt 0x0
	v_dual_mul_f32 v97, v45, v41 :: v_dual_mul_f32 v0, v44, v41
	s_delay_alu instid0(VALU_DEP_1) | instskip(NEXT) | instid1(VALU_DEP_1)
	v_xor_b32_e32 v98, 0x80000000, v97
	v_dual_fmac_f32 v0, v45, v40 :: v_dual_fmac_f32 v98, v44, v40
	s_delay_alu instid0(VALU_DEP_1) | instskip(SKIP_1) | instid1(VALU_DEP_2)
	v_pk_mul_f32 v[40:41], v[0:1], v[42:43] op_sel:[0,1] op_sel_hi:[0,0]
	v_add_nc_u32_e64 v0, 0x2800, 0
	v_pk_fma_f32 v[44:45], v[98:99], v[42:43], v[40:41] op_sel_hi:[0,1,1]
	v_pk_fma_f32 v[40:41], v[98:99], v[42:43], v[40:41] neg_lo:[0,0,1] neg_hi:[0,0,1]
	s_delay_alu instid0(VALU_DEP_2)
	v_mov_b32_e32 v41, v45
	ds_store_2addr_b64 v0, v[40:41], v[40:41] offset0:21 offset1:84
.LBB150_703:                            ;   in Loop: Header=BB150_3 Depth=1
	s_or_b32 exec_lo, exec_lo, s11
	v_mov_b64_e32 v[40:41], 0
	s_wait_dscnt 0x0
	s_barrier_signal -1
	s_barrier_wait -1
	global_wb scope:SCOPE_DEV
	s_wait_storecnt 0x0
	global_inv scope:SCOPE_DEV
	s_and_saveexec_b32 s11, s3
	s_cbranch_execz .LBB150_709
; %bb.704:                              ;   in Loop: Header=BB150_3 Depth=1
	ds_load_b64 v[40:41], v54 offset:10368
	ds_load_b64 v[42:43], v55 offset:11936
	s_wait_dscnt 0x0
	v_dual_mul_f32 v0, v43, v41 :: v_dual_mul_f32 v41, v42, v41
	s_delay_alu instid0(VALU_DEP_1) | instskip(NEXT) | instid1(VALU_DEP_1)
	v_dual_fma_f32 v0, v42, v40, -v0 :: v_dual_fmac_f32 v41, v43, v40
	v_dual_add_f32 v40, 0, v0 :: v_dual_add_f32 v41, 0, v41
	s_and_saveexec_b32 s12, s18
	s_cbranch_execnz .LBB150_1158
; %bb.705:                              ;   in Loop: Header=BB150_3 Depth=1
	s_or_b32 exec_lo, exec_lo, s12
	s_and_saveexec_b32 s12, s19
	s_cbranch_execnz .LBB150_1159
.LBB150_706:                            ;   in Loop: Header=BB150_3 Depth=1
	s_or_b32 exec_lo, exec_lo, s12
	s_and_saveexec_b32 s12, s1
	s_cbranch_execz .LBB150_708
.LBB150_707:                            ;   in Loop: Header=BB150_3 Depth=1
	ds_load_b64 v[42:43], v79 offset:11904
	ds_load_b64 v[44:45], v1 offset:11960
	s_wait_dscnt 0x0
	v_dual_mul_f32 v0, v45, v43 :: v_dual_mul_f32 v43, v44, v43
	s_delay_alu instid0(VALU_DEP_1) | instskip(NEXT) | instid1(VALU_DEP_1)
	v_dual_fma_f32 v0, v44, v42, -v0 :: v_dual_fmac_f32 v43, v45, v42
	v_dual_add_f32 v40, v40, v0 :: v_dual_add_f32 v41, v41, v43
.LBB150_708:                            ;   in Loop: Header=BB150_3 Depth=1
	s_or_b32 exec_lo, exec_lo, s12
.LBB150_709:                            ;   in Loop: Header=BB150_3 Depth=1
	s_delay_alu instid0(SALU_CYCLE_1)
	s_or_b32 exec_lo, exec_lo, s11
	s_and_saveexec_b32 s11, s93
	s_cbranch_execz .LBB150_711
; %bb.710:                              ;   in Loop: Header=BB150_3 Depth=1
	ds_load_b64 v[42:43], v1 offset:9880
	s_wait_dscnt 0x0
	v_dual_mul_f32 v0, v41, v42 :: v_dual_mul_f32 v44, v41, v43
	s_delay_alu instid0(VALU_DEP_1) | instskip(NEXT) | instid1(VALU_DEP_2)
	v_pk_fma_f32 v[98:99], v[40:41], v[42:43], v[0:1] op_sel:[1,0,0] op_sel_hi:[0,1,0]
	v_pk_fma_f32 v[40:41], v[40:41], v[42:43], v[44:45] op_sel_hi:[1,1,0] neg_lo:[0,0,1] neg_hi:[0,0,1]
	s_delay_alu instid0(VALU_DEP_2) | instskip(NEXT) | instid1(VALU_DEP_1)
	v_mov_b32_e32 v41, v99
	v_pk_add_f32 v[42:43], v[40:41], 0 neg_lo:[1,1] neg_hi:[1,1]
	ds_store_b64 v53, v[42:43]
.LBB150_711:                            ;   in Loop: Header=BB150_3 Depth=1
	s_or_b32 exec_lo, exec_lo, s11
	s_wait_loadcnt_dscnt 0x0
	s_barrier_signal -1
	s_barrier_wait -1
	s_and_saveexec_b32 s11, s94
	s_cbranch_execz .LBB150_713
; %bb.712:                              ;   in Loop: Header=BB150_3 Depth=1
	ds_load_b64 v[42:43], v54 offset:9856
	ds_load_b64 v[44:45], v53
	s_wait_dscnt 0x0
	v_pk_mul_f32 v[98:99], v[44:45], v[42:43] op_sel:[1,1] op_sel_hi:[0,1]
	s_delay_alu instid0(VALU_DEP_1) | instskip(SKIP_1) | instid1(VALU_DEP_2)
	v_pk_fma_f32 v[100:101], v[44:45], v[42:43], v[98:99] op_sel_hi:[1,0,1]
	v_pk_fma_f32 v[42:43], v[44:45], v[42:43], v[98:99] neg_lo:[0,0,1] neg_hi:[0,0,1]
	v_mov_b32_e32 v43, v101
	s_delay_alu instid0(VALU_DEP_1)
	v_pk_add_f32 v[40:41], v[40:41], v[42:43] neg_lo:[0,1] neg_hi:[0,1]
.LBB150_713:                            ;   in Loop: Header=BB150_3 Depth=1
	s_or_b32 exec_lo, exec_lo, s11
	s_barrier_signal -1
	s_barrier_wait -1
	s_and_saveexec_b32 s11, s95
	s_cbranch_execz .LBB150_715
; %bb.714:                              ;   in Loop: Header=BB150_3 Depth=1
	ds_load_b64 v[42:43], v1 offset:9360
	s_wait_dscnt 0x0
	v_pk_mul_f32 v[44:45], v[40:41], v[42:43] op_sel:[1,1] op_sel_hi:[1,0]
	s_delay_alu instid0(VALU_DEP_1) | instskip(SKIP_1) | instid1(VALU_DEP_2)
	v_pk_fma_f32 v[98:99], v[40:41], v[42:43], v[44:45] op_sel_hi:[0,1,1]
	v_pk_fma_f32 v[40:41], v[40:41], v[42:43], v[44:45] neg_lo:[0,0,1] neg_hi:[0,0,1]
	v_mov_b32_e32 v41, v99
	s_delay_alu instid0(VALU_DEP_1)
	v_pk_add_f32 v[42:43], v[40:41], 0 neg_lo:[1,1] neg_hi:[1,1]
	ds_store_b64 v53, v[42:43]
.LBB150_715:                            ;   in Loop: Header=BB150_3 Depth=1
	s_or_b32 exec_lo, exec_lo, s11
	s_wait_dscnt 0x0
	s_barrier_signal -1
	s_barrier_wait -1
	s_and_saveexec_b32 s11, s96
	s_cbranch_execz .LBB150_717
; %bb.716:                              ;   in Loop: Header=BB150_3 Depth=1
	ds_load_b64 v[42:43], v54 offset:9344
	ds_load_b64 v[44:45], v53
	s_wait_dscnt 0x0
	v_pk_mul_f32 v[98:99], v[44:45], v[42:43] op_sel:[1,1] op_sel_hi:[0,1]
	s_delay_alu instid0(VALU_DEP_1) | instskip(SKIP_1) | instid1(VALU_DEP_2)
	v_pk_fma_f32 v[100:101], v[44:45], v[42:43], v[98:99] op_sel_hi:[1,0,1]
	v_pk_fma_f32 v[42:43], v[44:45], v[42:43], v[98:99] neg_lo:[0,0,1] neg_hi:[0,0,1]
	v_mov_b32_e32 v43, v101
	s_delay_alu instid0(VALU_DEP_1)
	v_pk_add_f32 v[40:41], v[40:41], v[42:43] neg_lo:[0,1] neg_hi:[0,1]
.LBB150_717:                            ;   in Loop: Header=BB150_3 Depth=1
	s_or_b32 exec_lo, exec_lo, s11
	s_barrier_signal -1
	s_barrier_wait -1
	s_and_saveexec_b32 s11, s97
	s_cbranch_execz .LBB150_719
; %bb.718:                              ;   in Loop: Header=BB150_3 Depth=1
	ds_load_b64 v[42:43], v1 offset:8840
	s_wait_dscnt 0x0
	v_pk_mul_f32 v[44:45], v[40:41], v[42:43] op_sel:[1,1] op_sel_hi:[1,0]
	s_delay_alu instid0(VALU_DEP_1) | instskip(SKIP_1) | instid1(VALU_DEP_2)
	v_pk_fma_f32 v[98:99], v[40:41], v[42:43], v[44:45] op_sel_hi:[0,1,1]
	v_pk_fma_f32 v[40:41], v[40:41], v[42:43], v[44:45] neg_lo:[0,0,1] neg_hi:[0,0,1]
	v_mov_b32_e32 v41, v99
	s_delay_alu instid0(VALU_DEP_1)
	v_pk_add_f32 v[42:43], v[40:41], 0 neg_lo:[1,1] neg_hi:[1,1]
	ds_store_b64 v53, v[42:43]
.LBB150_719:                            ;   in Loop: Header=BB150_3 Depth=1
	s_or_b32 exec_lo, exec_lo, s11
	s_wait_dscnt 0x0
	;; [unrolled: 35-line block ×3, first 2 shown]
	s_barrier_signal -1
	s_barrier_wait -1
	s_barrier_signal -1
	s_barrier_wait -1
	s_and_saveexec_b32 s11, s3
; %bb.724:                              ;   in Loop: Header=BB150_3 Depth=1
	ds_store_b64 v58, v[40:41] offset:11904
; %bb.725:                              ;   in Loop: Header=BB150_3 Depth=1
	s_or_b32 exec_lo, exec_lo, s11
	s_wait_dscnt 0x0
	s_barrier_signal -1
	s_barrier_wait -1
	s_barrier_signal -1
	s_barrier_wait -1
	s_and_saveexec_b32 s11, s99
	s_cbranch_execz .LBB150_727
; %bb.726:                              ;   in Loop: Header=BB150_3 Depth=1
	ds_load_b64 v[40:41], v80 offset:10368
	s_wait_dscnt 0x0
	ds_store_b64 v83, v[40:41] offset:8352
	ds_load_b64 v[40:41], v80 offset:10376
	s_wait_dscnt 0x0
	ds_store_b64 v83, v[40:41] offset:8864
	;; [unrolled: 3-line block ×4, first 2 shown]
.LBB150_727:                            ;   in Loop: Header=BB150_3 Depth=1
	s_or_b32 exec_lo, exec_lo, s11
	s_wait_dscnt 0x0
	s_barrier_signal -1
	s_barrier_wait -1
	s_and_saveexec_b32 s11, s14
	s_cbranch_execz .LBB150_729
; %bb.728:                              ;   in Loop: Header=BB150_3 Depth=1
	v_add_nc_u32_e64 v0, 0x90, 0
	ds_load_b64 v[44:45], v1 offset:9880
	ds_load_2addr_stride64_b64 v[40:43], v0 offset0:18 offset1:19
	s_wait_dscnt 0x0
	v_dual_mul_f32 v97, v45, v41 :: v_dual_mul_f32 v0, v44, v41
	s_delay_alu instid0(VALU_DEP_1) | instskip(NEXT) | instid1(VALU_DEP_1)
	v_xor_b32_e32 v98, 0x80000000, v97
	v_dual_fmac_f32 v0, v45, v40 :: v_dual_fmac_f32 v98, v44, v40
	s_delay_alu instid0(VALU_DEP_1) | instskip(SKIP_1) | instid1(VALU_DEP_2)
	v_pk_mul_f32 v[40:41], v[0:1], v[42:43] op_sel:[0,1] op_sel_hi:[0,0]
	v_add_nc_u32_e64 v0, 0x2000, 0
	v_pk_fma_f32 v[44:45], v[98:99], v[42:43], v[40:41] op_sel_hi:[0,1,1]
	v_pk_fma_f32 v[40:41], v[98:99], v[42:43], v[40:41] neg_lo:[0,0,1] neg_hi:[0,0,1]
	s_delay_alu instid0(VALU_DEP_2)
	v_mov_b32_e32 v41, v45
	ds_store_2addr_b64 v0, v[40:41], v[40:41] offset0:147 offset1:210
.LBB150_729:                            ;   in Loop: Header=BB150_3 Depth=1
	s_or_b32 exec_lo, exec_lo, s11
	v_dual_mov_b32 v40, 0 :: v_dual_mov_b32 v41, 0
	s_wait_dscnt 0x0
	s_barrier_signal -1
	s_barrier_wait -1
	global_wb scope:SCOPE_DEV
	s_wait_storecnt 0x0
	global_inv scope:SCOPE_DEV
	s_and_saveexec_b32 s11, s1
	s_cbranch_execz .LBB150_733
; %bb.730:                              ;   in Loop: Header=BB150_3 Depth=1
	ds_load_b64 v[40:41], v48 offset:9344
	ds_load_b64 v[42:43], v49 offset:9872
	s_wait_dscnt 0x0
	v_pk_mul_f32 v[44:45], v[42:43], v[40:41] op_sel:[1,1] op_sel_hi:[0,1]
	s_delay_alu instid0(VALU_DEP_1) | instskip(SKIP_1) | instid1(VALU_DEP_2)
	v_pk_fma_f32 v[98:99], v[42:43], v[40:41], v[44:45] op_sel_hi:[1,0,1]
	v_pk_fma_f32 v[40:41], v[42:43], v[40:41], v[44:45] neg_lo:[0,0,1] neg_hi:[0,0,1]
	v_mov_b32_e32 v41, v99
	s_delay_alu instid0(VALU_DEP_1)
	v_pk_add_f32 v[40:41], v[40:41], 0 op_sel_hi:[1,0]
	s_and_saveexec_b32 s12, s17
	s_cbranch_execz .LBB150_732
; %bb.731:                              ;   in Loop: Header=BB150_3 Depth=1
	ds_load_b64 v[42:43], v83 offset:9856
	ds_load_b64 v[44:45], v1 offset:9880
	s_wait_dscnt 0x0
	v_pk_mul_f32 v[98:99], v[44:45], v[42:43] op_sel:[1,1] op_sel_hi:[0,1]
	s_delay_alu instid0(VALU_DEP_1) | instskip(SKIP_1) | instid1(VALU_DEP_2)
	v_pk_fma_f32 v[100:101], v[44:45], v[42:43], v[98:99] op_sel_hi:[1,0,1]
	v_pk_fma_f32 v[42:43], v[44:45], v[42:43], v[98:99] neg_lo:[0,0,1] neg_hi:[0,0,1]
	v_mov_b32_e32 v43, v101
	s_delay_alu instid0(VALU_DEP_1)
	v_pk_add_f32 v[40:41], v[40:41], v[42:43]
.LBB150_732:                            ;   in Loop: Header=BB150_3 Depth=1
	s_or_b32 exec_lo, exec_lo, s12
.LBB150_733:                            ;   in Loop: Header=BB150_3 Depth=1
	s_delay_alu instid0(SALU_CYCLE_1)
	s_or_b32 exec_lo, exec_lo, s11
	s_and_saveexec_b32 s11, s90
	s_cbranch_execz .LBB150_735
; %bb.734:                              ;   in Loop: Header=BB150_3 Depth=1
	ds_load_b64 v[42:43], v1 offset:8840
	s_wait_dscnt 0x0
	v_pk_mul_f32 v[44:45], v[40:41], v[42:43] op_sel:[1,1] op_sel_hi:[1,0]
	s_delay_alu instid0(VALU_DEP_1) | instskip(SKIP_1) | instid1(VALU_DEP_2)
	v_pk_fma_f32 v[98:99], v[40:41], v[42:43], v[44:45] op_sel_hi:[0,1,1]
	v_pk_fma_f32 v[40:41], v[40:41], v[42:43], v[44:45] neg_lo:[0,0,1] neg_hi:[0,0,1]
	v_mov_b32_e32 v41, v99
	s_delay_alu instid0(VALU_DEP_1)
	v_pk_add_f32 v[42:43], v[40:41], 0 neg_lo:[1,1] neg_hi:[1,1]
	ds_store_b64 v3, v[42:43]
.LBB150_735:                            ;   in Loop: Header=BB150_3 Depth=1
	s_or_b32 exec_lo, exec_lo, s11
	s_wait_loadcnt_dscnt 0x0
	s_barrier_signal -1
	s_barrier_wait -1
	s_and_saveexec_b32 s11, s91
	s_cbranch_execz .LBB150_737
; %bb.736:                              ;   in Loop: Header=BB150_3 Depth=1
	ds_load_b64 v[42:43], v1 offset:8832
	ds_load_b64 v[44:45], v3
	s_wait_dscnt 0x0
	v_pk_mul_f32 v[98:99], v[44:45], v[42:43] op_sel:[1,1] op_sel_hi:[0,1]
	s_delay_alu instid0(VALU_DEP_1) | instskip(SKIP_1) | instid1(VALU_DEP_2)
	v_pk_fma_f32 v[100:101], v[44:45], v[42:43], v[98:99] op_sel_hi:[1,0,1]
	v_pk_fma_f32 v[42:43], v[44:45], v[42:43], v[98:99] neg_lo:[0,0,1] neg_hi:[0,0,1]
	v_mov_b32_e32 v43, v101
	s_delay_alu instid0(VALU_DEP_1)
	v_pk_add_f32 v[40:41], v[40:41], v[42:43] neg_lo:[0,1] neg_hi:[0,1]
.LBB150_737:                            ;   in Loop: Header=BB150_3 Depth=1
	s_or_b32 exec_lo, exec_lo, s11
	s_barrier_signal -1
	s_barrier_wait -1
	s_and_saveexec_b32 s11, s91
	s_cbranch_execz .LBB150_739
; %bb.738:                              ;   in Loop: Header=BB150_3 Depth=1
	ds_load_b64 v[42:43], v1 offset:8320
	s_wait_dscnt 0x0
	v_pk_mul_f32 v[44:45], v[40:41], v[42:43] op_sel:[1,1] op_sel_hi:[1,0]
	s_delay_alu instid0(VALU_DEP_1) | instskip(SKIP_1) | instid1(VALU_DEP_2)
	v_pk_fma_f32 v[98:99], v[40:41], v[42:43], v[44:45] op_sel_hi:[0,1,1]
	v_pk_fma_f32 v[40:41], v[40:41], v[42:43], v[44:45] neg_lo:[0,0,1] neg_hi:[0,0,1]
	v_mov_b32_e32 v41, v99
	s_delay_alu instid0(VALU_DEP_1)
	v_pk_add_f32 v[42:43], v[40:41], 0 neg_lo:[1,1] neg_hi:[1,1]
	ds_store_b64 v3, v[42:43]
.LBB150_739:                            ;   in Loop: Header=BB150_3 Depth=1
	s_or_b32 exec_lo, exec_lo, s11
	s_wait_dscnt 0x0
	s_barrier_signal -1
	s_barrier_wait -1
	s_barrier_signal -1
	s_barrier_wait -1
	s_and_saveexec_b32 s11, s1
; %bb.740:                              ;   in Loop: Header=BB150_3 Depth=1
	ds_store_b64 v51, v[40:41] offset:9856
; %bb.741:                              ;   in Loop: Header=BB150_3 Depth=1
	s_or_b32 exec_lo, exec_lo, s11
	s_wait_dscnt 0x0
	s_barrier_signal -1
	s_barrier_wait -1
	s_barrier_signal -1
	s_barrier_wait -1
	s_and_saveexec_b32 s11, s92
	s_cbranch_execz .LBB150_743
; %bb.742:                              ;   in Loop: Header=BB150_3 Depth=1
	ds_load_b64 v[40:41], v85 offset:9344
	s_wait_dscnt 0x0
	ds_store_b64 v83, v[40:41] offset:8336
	ds_load_b64 v[40:41], v85 offset:9352
	s_wait_dscnt 0x0
	ds_store_b64 v83, v[40:41] offset:8848
.LBB150_743:                            ;   in Loop: Header=BB150_3 Depth=1
	s_or_b32 exec_lo, exec_lo, s11
	s_wait_dscnt 0x0
	s_barrier_signal -1
	s_barrier_wait -1
	s_and_saveexec_b32 s11, s14
	s_cbranch_execz .LBB150_745
; %bb.744:                              ;   in Loop: Header=BB150_3 Depth=1
	v_add_nc_u32_e64 v0, 0x80, 0
	ds_load_b64 v[44:45], v1 offset:8840
	ds_load_2addr_stride64_b64 v[40:43], v0 offset0:16 offset1:17
	s_wait_dscnt 0x0
	v_dual_mul_f32 v97, v45, v41 :: v_dual_mul_f32 v0, v44, v41
	s_delay_alu instid0(VALU_DEP_1) | instskip(NEXT) | instid1(VALU_DEP_1)
	v_xor_b32_e32 v98, 0x80000000, v97
	v_dual_fmac_f32 v0, v45, v40 :: v_dual_fmac_f32 v98, v44, v40
	s_delay_alu instid0(VALU_DEP_1) | instskip(SKIP_1) | instid1(VALU_DEP_2)
	v_pk_mul_f32 v[40:41], v[0:1], v[42:43] op_sel:[0,1] op_sel_hi:[0,0]
	v_add_nc_u32_e64 v0, 0x2000, 0
	v_pk_fma_f32 v[44:45], v[98:99], v[42:43], v[40:41] op_sel_hi:[0,1,1]
	v_pk_fma_f32 v[40:41], v[98:99], v[42:43], v[40:41] neg_lo:[0,0,1] neg_hi:[0,0,1]
	s_delay_alu instid0(VALU_DEP_2)
	v_mov_b32_e32 v41, v45
	ds_store_2addr_b64 v0, v[40:41], v[40:41] offset0:17 offset1:80
.LBB150_745:                            ;   in Loop: Header=BB150_3 Depth=1
	s_or_b32 exec_lo, exec_lo, s11
	v_mov_b64_e32 v[40:41], 0
	s_wait_dscnt 0x0
	s_barrier_signal -1
	s_barrier_wait -1
	global_wb scope:SCOPE_DEV
	s_wait_storecnt 0x0
	global_inv scope:SCOPE_DEV
	s_and_saveexec_b32 s65, s5
	s_cbranch_execz .LBB150_773
; %bb.746:                              ;   in Loop: Header=BB150_3 Depth=1
	ds_load_b64 v[40:41], v65 offset:8192
	ds_load_b64 v[42:43], v66 offset:16000
	s_wait_dscnt 0x0
	v_dual_mul_f32 v0, v43, v41 :: v_dual_mul_f32 v41, v42, v41
	s_delay_alu instid0(VALU_DEP_1) | instskip(NEXT) | instid1(VALU_DEP_1)
	v_dual_fma_f32 v0, v42, v40, -v0 :: v_dual_fmac_f32 v41, v43, v40
	v_dual_add_f32 v40, 0, v0 :: v_dual_add_f32 v41, 0, v41
	s_mov_b32 s11, exec_lo
	v_readlane_b32 s12, v107, 26
	s_and_b32 s12, s11, s12
	s_delay_alu instid0(SALU_CYCLE_1)
	s_mov_b32 exec_lo, s12
	s_cbranch_execz .LBB150_748
; %bb.747:                              ;   in Loop: Header=BB150_3 Depth=1
	ds_load_b64 v[42:43], v65 offset:8704
	ds_load_b64 v[44:45], v66 offset:16008
	s_wait_dscnt 0x0
	v_dual_mul_f32 v0, v45, v43 :: v_dual_mul_f32 v43, v44, v43
	s_delay_alu instid0(VALU_DEP_1) | instskip(NEXT) | instid1(VALU_DEP_1)
	v_dual_fma_f32 v0, v44, v42, -v0 :: v_dual_fmac_f32 v43, v45, v42
	v_dual_add_f32 v40, v40, v0 :: v_dual_add_f32 v41, v41, v43
.LBB150_748:                            ;   in Loop: Header=BB150_3 Depth=1
	s_or_b32 exec_lo, exec_lo, s11
	s_delay_alu instid0(SALU_CYCLE_1) | instskip(SKIP_2) | instid1(SALU_CYCLE_1)
	s_mov_b32 s11, exec_lo
	v_readlane_b32 s12, v107, 27
	s_and_b32 s12, s11, s12
	s_mov_b32 exec_lo, s12
	s_cbranch_execz .LBB150_750
; %bb.749:                              ;   in Loop: Header=BB150_3 Depth=1
	ds_load_b64 v[42:43], v65 offset:9216
	ds_load_b64 v[44:45], v66 offset:16016
	s_wait_dscnt 0x0
	v_dual_mul_f32 v0, v45, v43 :: v_dual_mul_f32 v43, v44, v43
	s_delay_alu instid0(VALU_DEP_1) | instskip(NEXT) | instid1(VALU_DEP_1)
	v_dual_fma_f32 v0, v44, v42, -v0 :: v_dual_fmac_f32 v43, v45, v42
	v_dual_add_f32 v40, v40, v0 :: v_dual_add_f32 v41, v41, v43
.LBB150_750:                            ;   in Loop: Header=BB150_3 Depth=1
	s_or_b32 exec_lo, exec_lo, s11
	s_delay_alu instid0(SALU_CYCLE_1) | instskip(SKIP_2) | instid1(SALU_CYCLE_1)
	s_mov_b32 s11, exec_lo
	v_readlane_b32 s12, v107, 28
	s_and_b32 s12, s11, s12
	;; [unrolled: 16-line block ×10, first 2 shown]
	s_mov_b32 exec_lo, s12
	s_cbranch_execnz .LBB150_1160
; %bb.767:                              ;   in Loop: Header=BB150_3 Depth=1
	s_or_b32 exec_lo, exec_lo, s11
	s_and_saveexec_b32 s11, s4
	s_cbranch_execnz .LBB150_1161
.LBB150_768:                            ;   in Loop: Header=BB150_3 Depth=1
	s_or_b32 exec_lo, exec_lo, s11
	s_and_saveexec_b32 s11, s21
	s_cbranch_execnz .LBB150_1162
.LBB150_769:                            ;   in Loop: Header=BB150_3 Depth=1
	s_or_b32 exec_lo, exec_lo, s11
	s_and_saveexec_b32 s11, s23
	s_cbranch_execnz .LBB150_1163
.LBB150_770:                            ;   in Loop: Header=BB150_3 Depth=1
	s_or_b32 exec_lo, exec_lo, s11
	s_and_saveexec_b32 s11, s3
	s_cbranch_execz .LBB150_772
.LBB150_771:                            ;   in Loop: Header=BB150_3 Depth=1
	ds_load_b64 v[42:43], v50 offset:15872
	ds_load_b64 v[44:45], v1 offset:16120
	s_wait_dscnt 0x0
	v_dual_mul_f32 v0, v45, v43 :: v_dual_mul_f32 v99, v44, v43
	s_delay_alu instid0(VALU_DEP_1) | instskip(NEXT) | instid1(VALU_DEP_1)
	v_dual_fma_f32 v98, v44, v42, -v0 :: v_dual_fmac_f32 v99, v45, v42
	v_pk_add_f32 v[40:41], v[40:41], v[98:99]
.LBB150_772:                            ;   in Loop: Header=BB150_3 Depth=1
	s_or_b32 exec_lo, exec_lo, s11
.LBB150_773:                            ;   in Loop: Header=BB150_3 Depth=1
	s_delay_alu instid0(SALU_CYCLE_1) | instskip(NEXT) | instid1(SALU_CYCLE_1)
	s_or_b32 exec_lo, exec_lo, s65
	s_mov_b32 s11, exec_lo
	v_readlane_b32 s12, v107, 1
	s_and_b32 s12, s11, s12
	s_delay_alu instid0(SALU_CYCLE_1)
	s_mov_b32 exec_lo, s12
	s_cbranch_execz .LBB150_775
; %bb.774:                              ;   in Loop: Header=BB150_3 Depth=1
	ds_load_b64 v[42:43], v1 offset:7800
	s_wait_dscnt 0x0
	v_pk_mul_f32 v[44:45], v[40:41], v[42:43] op_sel:[1,1] op_sel_hi:[1,0]
	s_delay_alu instid0(VALU_DEP_1) | instskip(SKIP_1) | instid1(VALU_DEP_2)
	v_pk_fma_f32 v[98:99], v[40:41], v[42:43], v[44:45] op_sel_hi:[0,1,1]
	v_pk_fma_f32 v[40:41], v[40:41], v[42:43], v[44:45] neg_lo:[0,0,1] neg_hi:[0,0,1]
	v_mov_b32_e32 v41, v99
	s_delay_alu instid0(VALU_DEP_1)
	v_pk_add_f32 v[42:43], v[40:41], 0 neg_lo:[1,1] neg_hi:[1,1]
	ds_store_b64 v64, v[42:43]
.LBB150_775:                            ;   in Loop: Header=BB150_3 Depth=1
	s_or_b32 exec_lo, exec_lo, s11
	s_wait_loadcnt_dscnt 0x0
	s_barrier_signal -1
	s_barrier_wait -1
	s_mov_b32 s11, exec_lo
	v_readlane_b32 s12, v107, 2
	s_and_b32 s12, s11, s12
	s_delay_alu instid0(SALU_CYCLE_1)
	s_mov_b32 exec_lo, s12
	s_cbranch_execz .LBB150_777
; %bb.776:                              ;   in Loop: Header=BB150_3 Depth=1
	ds_load_b64 v[42:43], v65 offset:7680
	ds_load_b64 v[44:45], v64
	s_wait_dscnt 0x0
	v_pk_mul_f32 v[98:99], v[44:45], v[42:43] op_sel:[1,1] op_sel_hi:[0,1]
	s_delay_alu instid0(VALU_DEP_1) | instskip(SKIP_1) | instid1(VALU_DEP_2)
	v_pk_fma_f32 v[100:101], v[44:45], v[42:43], v[98:99] op_sel_hi:[1,0,1]
	v_pk_fma_f32 v[42:43], v[44:45], v[42:43], v[98:99] neg_lo:[0,0,1] neg_hi:[0,0,1]
	v_mov_b32_e32 v43, v101
	s_delay_alu instid0(VALU_DEP_1)
	v_pk_add_f32 v[40:41], v[40:41], v[42:43] neg_lo:[0,1] neg_hi:[0,1]
.LBB150_777:                            ;   in Loop: Header=BB150_3 Depth=1
	s_or_b32 exec_lo, exec_lo, s11
	s_barrier_signal -1
	s_barrier_wait -1
	s_mov_b32 s11, exec_lo
	v_readlane_b32 s12, v107, 3
	s_and_b32 s12, s11, s12
	s_delay_alu instid0(SALU_CYCLE_1)
	s_mov_b32 exec_lo, s12
	s_cbranch_execz .LBB150_779
; %bb.778:                              ;   in Loop: Header=BB150_3 Depth=1
	ds_load_b64 v[42:43], v1 offset:7280
	s_wait_dscnt 0x0
	v_pk_mul_f32 v[44:45], v[40:41], v[42:43] op_sel:[1,1] op_sel_hi:[1,0]
	s_delay_alu instid0(VALU_DEP_1) | instskip(SKIP_1) | instid1(VALU_DEP_2)
	v_pk_fma_f32 v[98:99], v[40:41], v[42:43], v[44:45] op_sel_hi:[0,1,1]
	v_pk_fma_f32 v[40:41], v[40:41], v[42:43], v[44:45] neg_lo:[0,0,1] neg_hi:[0,0,1]
	v_mov_b32_e32 v41, v99
	s_delay_alu instid0(VALU_DEP_1)
	v_pk_add_f32 v[42:43], v[40:41], 0 neg_lo:[1,1] neg_hi:[1,1]
	ds_store_b64 v64, v[42:43]
.LBB150_779:                            ;   in Loop: Header=BB150_3 Depth=1
	s_or_b32 exec_lo, exec_lo, s11
	s_wait_dscnt 0x0
	s_barrier_signal -1
	s_barrier_wait -1
	s_mov_b32 s11, exec_lo
	v_readlane_b32 s12, v107, 4
	s_and_b32 s12, s11, s12
	s_delay_alu instid0(SALU_CYCLE_1)
	s_mov_b32 exec_lo, s12
	s_cbranch_execz .LBB150_781
; %bb.780:                              ;   in Loop: Header=BB150_3 Depth=1
	ds_load_b64 v[42:43], v65 offset:7168
	ds_load_b64 v[44:45], v64
	s_wait_dscnt 0x0
	v_pk_mul_f32 v[98:99], v[44:45], v[42:43] op_sel:[1,1] op_sel_hi:[0,1]
	s_delay_alu instid0(VALU_DEP_1) | instskip(SKIP_1) | instid1(VALU_DEP_2)
	v_pk_fma_f32 v[100:101], v[44:45], v[42:43], v[98:99] op_sel_hi:[1,0,1]
	v_pk_fma_f32 v[42:43], v[44:45], v[42:43], v[98:99] neg_lo:[0,0,1] neg_hi:[0,0,1]
	v_mov_b32_e32 v43, v101
	s_delay_alu instid0(VALU_DEP_1)
	v_pk_add_f32 v[40:41], v[40:41], v[42:43] neg_lo:[0,1] neg_hi:[0,1]
.LBB150_781:                            ;   in Loop: Header=BB150_3 Depth=1
	s_or_b32 exec_lo, exec_lo, s11
	s_barrier_signal -1
	s_barrier_wait -1
	s_mov_b32 s11, exec_lo
	v_readlane_b32 s12, v107, 5
	s_and_b32 s12, s11, s12
	s_delay_alu instid0(SALU_CYCLE_1)
	s_mov_b32 exec_lo, s12
	s_cbranch_execz .LBB150_783
; %bb.782:                              ;   in Loop: Header=BB150_3 Depth=1
	ds_load_b64 v[42:43], v1 offset:6760
	s_wait_dscnt 0x0
	v_pk_mul_f32 v[44:45], v[40:41], v[42:43] op_sel:[1,1] op_sel_hi:[1,0]
	s_delay_alu instid0(VALU_DEP_1) | instskip(SKIP_1) | instid1(VALU_DEP_2)
	v_pk_fma_f32 v[98:99], v[40:41], v[42:43], v[44:45] op_sel_hi:[0,1,1]
	v_pk_fma_f32 v[40:41], v[40:41], v[42:43], v[44:45] neg_lo:[0,0,1] neg_hi:[0,0,1]
	v_mov_b32_e32 v41, v99
	s_delay_alu instid0(VALU_DEP_1)
	v_pk_add_f32 v[42:43], v[40:41], 0 neg_lo:[1,1] neg_hi:[1,1]
	ds_store_b64 v64, v[42:43]
.LBB150_783:                            ;   in Loop: Header=BB150_3 Depth=1
	s_or_b32 exec_lo, exec_lo, s11
	s_wait_dscnt 0x0
	s_barrier_signal -1
	s_barrier_wait -1
	s_and_saveexec_b32 s11, s53
	s_cbranch_execz .LBB150_785
; %bb.784:                              ;   in Loop: Header=BB150_3 Depth=1
	ds_load_b64 v[42:43], v65 offset:6656
	ds_load_b64 v[44:45], v64
	s_wait_dscnt 0x0
	v_pk_mul_f32 v[98:99], v[44:45], v[42:43] op_sel:[1,1] op_sel_hi:[0,1]
	s_delay_alu instid0(VALU_DEP_1) | instskip(SKIP_1) | instid1(VALU_DEP_2)
	v_pk_fma_f32 v[100:101], v[44:45], v[42:43], v[98:99] op_sel_hi:[1,0,1]
	v_pk_fma_f32 v[42:43], v[44:45], v[42:43], v[98:99] neg_lo:[0,0,1] neg_hi:[0,0,1]
	v_mov_b32_e32 v43, v101
	s_delay_alu instid0(VALU_DEP_1)
	v_pk_add_f32 v[40:41], v[40:41], v[42:43] neg_lo:[0,1] neg_hi:[0,1]
.LBB150_785:                            ;   in Loop: Header=BB150_3 Depth=1
	s_or_b32 exec_lo, exec_lo, s11
	s_delay_alu instid0(VALU_DEP_1)
	v_dual_mov_b32 v42, v41 :: v_dual_mov_b32 v43, v40
	s_barrier_signal -1
	s_barrier_wait -1
	s_and_saveexec_b32 s11, s54
	s_cbranch_execz .LBB150_787
; %bb.786:                              ;   in Loop: Header=BB150_3 Depth=1
	ds_load_b64 v[44:45], v1 offset:6240
	s_wait_dscnt 0x0
	v_dual_mul_f32 v0, v43, v45 :: v_dual_mul_f32 v98, v41, v45
	s_delay_alu instid0(VALU_DEP_1) | instskip(NEXT) | instid1(VALU_DEP_2)
	v_pk_fma_f32 v[42:43], v[42:43], v[44:45], v[0:1] op_sel_hi:[1,1,0]
	v_pk_fma_f32 v[40:41], v[40:41], v[44:45], v[98:99] op_sel_hi:[1,1,0] neg_lo:[0,0,1] neg_hi:[0,0,1]
	s_delay_alu instid0(VALU_DEP_1) | instskip(NEXT) | instid1(VALU_DEP_1)
	v_dual_mov_b32 v41, v42 :: v_dual_mov_b32 v43, v40
	v_pk_add_f32 v[44:45], v[40:41], 0 neg_lo:[1,1] neg_hi:[1,1]
	ds_store_b64 v64, v[44:45]
.LBB150_787:                            ;   in Loop: Header=BB150_3 Depth=1
	s_or_b32 exec_lo, exec_lo, s11
	s_wait_dscnt 0x0
	s_barrier_signal -1
	s_barrier_wait -1
	s_and_saveexec_b32 s11, s55
	s_cbranch_execz .LBB150_789
; %bb.788:                              ;   in Loop: Header=BB150_3 Depth=1
	ds_load_b64 v[40:41], v65 offset:6144
	ds_load_b64 v[44:45], v64
	s_wait_dscnt 0x0
	v_dual_mul_f32 v0, v45, v41 :: v_dual_mul_f32 v98, v44, v41
	s_delay_alu instid0(VALU_DEP_1) | instskip(NEXT) | instid1(VALU_DEP_1)
	v_dual_fma_f32 v99, v44, v40, -v0 :: v_dual_fmac_f32 v98, v45, v40
	v_pk_add_f32 v[42:43], v[42:43], v[98:99] neg_lo:[0,1] neg_hi:[0,1]
.LBB150_789:                            ;   in Loop: Header=BB150_3 Depth=1
	s_or_b32 exec_lo, exec_lo, s11
	s_barrier_signal -1
	s_barrier_wait -1
	s_and_saveexec_b32 s11, s56
	s_cbranch_execz .LBB150_791
; %bb.790:                              ;   in Loop: Header=BB150_3 Depth=1
	ds_load_b64 v[40:41], v1 offset:5720
	s_wait_dscnt 0x0
	v_pk_mul_f32 v[44:45], v[42:43], v[40:41] op_sel_hi:[0,1]
	s_delay_alu instid0(VALU_DEP_1) | instskip(SKIP_1) | instid1(VALU_DEP_2)
	v_pk_fma_f32 v[98:99], v[42:43], v[40:41], v[44:45] op_sel:[1,1,0] op_sel_hi:[1,0,1] neg_lo:[0,0,1] neg_hi:[0,0,1]
	v_pk_fma_f32 v[42:43], v[42:43], v[40:41], v[44:45] op_sel:[1,1,0] op_sel_hi:[1,0,1]
	v_mov_b32_e32 v43, v99
	s_delay_alu instid0(VALU_DEP_2)
	v_xor_b32_e32 v41, 0x80000000, v42
	v_xor_b32_e32 v40, 0x80000000, v99
	ds_store_b64 v64, v[40:41]
.LBB150_791:                            ;   in Loop: Header=BB150_3 Depth=1
	s_or_b32 exec_lo, exec_lo, s11
	s_wait_dscnt 0x0
	s_barrier_signal -1
	s_barrier_wait -1
	s_and_saveexec_b32 s11, s57
	s_cbranch_execz .LBB150_793
; %bb.792:                              ;   in Loop: Header=BB150_3 Depth=1
	ds_load_b64 v[40:41], v65 offset:5632
	ds_load_b64 v[44:45], v64
	s_wait_dscnt 0x0
	v_pk_mul_f32 v[98:99], v[44:45], v[40:41] op_sel:[0,1]
	s_delay_alu instid0(VALU_DEP_1) | instskip(SKIP_1) | instid1(VALU_DEP_2)
	v_pk_fma_f32 v[100:101], v[44:45], v[40:41], v[98:99] op_sel:[1,0,0] op_sel_hi:[0,0,1] neg_lo:[0,0,1] neg_hi:[0,0,1]
	v_pk_fma_f32 v[40:41], v[44:45], v[40:41], v[98:99] op_sel:[1,0,0] op_sel_hi:[0,1,1]
	v_mov_b32_e32 v41, v101
	s_delay_alu instid0(VALU_DEP_1)
	v_pk_add_f32 v[42:43], v[42:43], v[40:41] neg_lo:[0,1] neg_hi:[0,1]
.LBB150_793:                            ;   in Loop: Header=BB150_3 Depth=1
	s_or_b32 exec_lo, exec_lo, s11
	s_barrier_signal -1
	s_barrier_wait -1
	s_and_saveexec_b32 s11, s58
	s_cbranch_execz .LBB150_795
; %bb.794:                              ;   in Loop: Header=BB150_3 Depth=1
	ds_load_b64 v[40:41], v1 offset:5200
	s_wait_dscnt 0x0
	v_pk_mul_f32 v[44:45], v[42:43], v[40:41] op_sel_hi:[0,1]
	s_delay_alu instid0(VALU_DEP_1) | instskip(SKIP_1) | instid1(VALU_DEP_2)
	v_pk_fma_f32 v[98:99], v[42:43], v[40:41], v[44:45] op_sel:[1,1,0] op_sel_hi:[1,0,1] neg_lo:[0,0,1] neg_hi:[0,0,1]
	v_pk_fma_f32 v[42:43], v[42:43], v[40:41], v[44:45] op_sel:[1,1,0] op_sel_hi:[1,0,1]
	v_mov_b32_e32 v43, v99
	s_delay_alu instid0(VALU_DEP_2)
	v_xor_b32_e32 v41, 0x80000000, v42
	v_xor_b32_e32 v40, 0x80000000, v99
	ds_store_b64 v64, v[40:41]
.LBB150_795:                            ;   in Loop: Header=BB150_3 Depth=1
	s_or_b32 exec_lo, exec_lo, s11
	s_wait_dscnt 0x0
	s_barrier_signal -1
	s_barrier_wait -1
	s_and_saveexec_b32 s11, s59
	s_cbranch_execz .LBB150_797
; %bb.796:                              ;   in Loop: Header=BB150_3 Depth=1
	ds_load_b64 v[40:41], v65 offset:5120
	ds_load_b64 v[44:45], v64
	s_wait_dscnt 0x0
	v_pk_mul_f32 v[98:99], v[44:45], v[40:41] op_sel:[0,1]
	s_delay_alu instid0(VALU_DEP_1) | instskip(SKIP_1) | instid1(VALU_DEP_2)
	v_pk_fma_f32 v[100:101], v[44:45], v[40:41], v[98:99] op_sel:[1,0,0] op_sel_hi:[0,0,1] neg_lo:[0,0,1] neg_hi:[0,0,1]
	v_pk_fma_f32 v[40:41], v[44:45], v[40:41], v[98:99] op_sel:[1,0,0] op_sel_hi:[0,1,1]
	v_mov_b32_e32 v41, v101
	s_delay_alu instid0(VALU_DEP_1)
	v_pk_add_f32 v[42:43], v[42:43], v[40:41] neg_lo:[0,1] neg_hi:[0,1]
.LBB150_797:                            ;   in Loop: Header=BB150_3 Depth=1
	;; [unrolled: 36-line block ×3, first 2 shown]
	s_or_b32 exec_lo, exec_lo, s11
	s_delay_alu instid0(VALU_DEP_1)
	v_dual_mov_b32 v40, v43 :: v_dual_mov_b32 v41, v42
	s_barrier_signal -1
	s_barrier_wait -1
	s_and_saveexec_b32 s11, s62
	s_cbranch_execz .LBB150_803
; %bb.802:                              ;   in Loop: Header=BB150_3 Depth=1
	ds_load_b64 v[44:45], v1 offset:4160
	s_wait_dscnt 0x0
	v_dual_mul_f32 v0, v42, v44 :: v_dual_mul_f32 v98, v41, v45
	s_delay_alu instid0(VALU_DEP_1) | instskip(NEXT) | instid1(VALU_DEP_2)
	v_pk_fma_f32 v[42:43], v[42:43], v[44:45], v[0:1] op_sel_hi:[1,1,0]
	v_pk_fma_f32 v[40:41], v[40:41], v[44:45], v[98:99] op_sel_hi:[1,1,0] neg_lo:[0,0,1] neg_hi:[0,0,1]
	s_delay_alu instid0(VALU_DEP_2) | instskip(NEXT) | instid1(VALU_DEP_1)
	v_mov_b32_e32 v41, v43
	v_pk_add_f32 v[42:43], v[40:41], 0 neg_lo:[1,1] neg_hi:[1,1]
	ds_store_b64 v64, v[42:43]
.LBB150_803:                            ;   in Loop: Header=BB150_3 Depth=1
	s_or_b32 exec_lo, exec_lo, s11
	s_wait_dscnt 0x0
	s_barrier_signal -1
	s_barrier_wait -1
	s_and_saveexec_b32 s11, s63
	s_cbranch_execz .LBB150_805
; %bb.804:                              ;   in Loop: Header=BB150_3 Depth=1
	ds_load_b64 v[42:43], v65 offset:4096
	ds_load_b64 v[44:45], v64
	s_wait_dscnt 0x0
	v_dual_mul_f32 v0, v45, v43 :: v_dual_mul_f32 v99, v44, v43
	s_delay_alu instid0(VALU_DEP_1) | instskip(NEXT) | instid1(VALU_DEP_1)
	v_dual_fma_f32 v98, v44, v42, -v0 :: v_dual_fmac_f32 v99, v45, v42
	v_pk_add_f32 v[40:41], v[40:41], v[98:99] neg_lo:[0,1] neg_hi:[0,1]
.LBB150_805:                            ;   in Loop: Header=BB150_3 Depth=1
	s_or_b32 exec_lo, exec_lo, s11
	s_barrier_signal -1
	s_barrier_wait -1
	s_and_saveexec_b32 s11, s64
	s_cbranch_execz .LBB150_807
; %bb.806:                              ;   in Loop: Header=BB150_3 Depth=1
	ds_load_b64 v[42:43], v1 offset:3640
	s_wait_dscnt 0x0
	v_pk_mul_f32 v[44:45], v[40:41], v[42:43] op_sel:[1,1] op_sel_hi:[1,0]
	s_delay_alu instid0(VALU_DEP_1) | instskip(SKIP_1) | instid1(VALU_DEP_2)
	v_pk_fma_f32 v[98:99], v[40:41], v[42:43], v[44:45] op_sel_hi:[0,1,1]
	v_pk_fma_f32 v[40:41], v[40:41], v[42:43], v[44:45] neg_lo:[0,0,1] neg_hi:[0,0,1]
	v_mov_b32_e32 v41, v99
	s_delay_alu instid0(VALU_DEP_1)
	v_pk_add_f32 v[42:43], v[40:41], 0 neg_lo:[1,1] neg_hi:[1,1]
	ds_store_b64 v64, v[42:43]
.LBB150_807:                            ;   in Loop: Header=BB150_3 Depth=1
	s_or_b32 exec_lo, exec_lo, s11
	s_wait_dscnt 0x0
	s_barrier_signal -1
	s_barrier_wait -1
	s_and_saveexec_b32 s11, s25
	s_cbranch_execz .LBB150_809
; %bb.808:                              ;   in Loop: Header=BB150_3 Depth=1
	ds_load_b64 v[42:43], v65 offset:3584
	ds_load_b64 v[44:45], v64
	s_wait_dscnt 0x0
	v_pk_mul_f32 v[98:99], v[44:45], v[42:43] op_sel:[1,1] op_sel_hi:[0,1]
	s_delay_alu instid0(VALU_DEP_1) | instskip(SKIP_1) | instid1(VALU_DEP_2)
	v_pk_fma_f32 v[100:101], v[44:45], v[42:43], v[98:99] op_sel_hi:[1,0,1]
	v_pk_fma_f32 v[42:43], v[44:45], v[42:43], v[98:99] neg_lo:[0,0,1] neg_hi:[0,0,1]
	v_mov_b32_e32 v43, v101
	s_delay_alu instid0(VALU_DEP_1)
	v_pk_add_f32 v[40:41], v[40:41], v[42:43] neg_lo:[0,1] neg_hi:[0,1]
.LBB150_809:                            ;   in Loop: Header=BB150_3 Depth=1
	s_or_b32 exec_lo, exec_lo, s11
	s_barrier_signal -1
	s_barrier_wait -1
	s_and_saveexec_b32 s11, s27
	s_cbranch_execz .LBB150_811
; %bb.810:                              ;   in Loop: Header=BB150_3 Depth=1
	ds_load_b64 v[42:43], v1 offset:3120
	s_wait_dscnt 0x0
	v_pk_mul_f32 v[44:45], v[40:41], v[42:43] op_sel:[1,1] op_sel_hi:[1,0]
	s_delay_alu instid0(VALU_DEP_1) | instskip(SKIP_1) | instid1(VALU_DEP_2)
	v_pk_fma_f32 v[98:99], v[40:41], v[42:43], v[44:45] op_sel_hi:[0,1,1]
	v_pk_fma_f32 v[40:41], v[40:41], v[42:43], v[44:45] neg_lo:[0,0,1] neg_hi:[0,0,1]
	v_mov_b32_e32 v41, v99
	s_delay_alu instid0(VALU_DEP_1)
	v_pk_add_f32 v[42:43], v[40:41], 0 neg_lo:[1,1] neg_hi:[1,1]
	ds_store_b64 v64, v[42:43]
.LBB150_811:                            ;   in Loop: Header=BB150_3 Depth=1
	s_or_b32 exec_lo, exec_lo, s11
	s_wait_dscnt 0x0
	s_barrier_signal -1
	s_barrier_wait -1
	s_and_saveexec_b32 s11, s29
	s_cbranch_execz .LBB150_813
; %bb.812:                              ;   in Loop: Header=BB150_3 Depth=1
	ds_load_b64 v[42:43], v65 offset:3072
	ds_load_b64 v[44:45], v64
	s_wait_dscnt 0x0
	v_pk_mul_f32 v[98:99], v[44:45], v[42:43] op_sel:[1,1] op_sel_hi:[0,1]
	s_delay_alu instid0(VALU_DEP_1) | instskip(SKIP_1) | instid1(VALU_DEP_2)
	v_pk_fma_f32 v[100:101], v[44:45], v[42:43], v[98:99] op_sel_hi:[1,0,1]
	v_pk_fma_f32 v[42:43], v[44:45], v[42:43], v[98:99] neg_lo:[0,0,1] neg_hi:[0,0,1]
	v_mov_b32_e32 v43, v101
	s_delay_alu instid0(VALU_DEP_1)
	v_pk_add_f32 v[40:41], v[40:41], v[42:43] neg_lo:[0,1] neg_hi:[0,1]
.LBB150_813:                            ;   in Loop: Header=BB150_3 Depth=1
	;; [unrolled: 35-line block ×3, first 2 shown]
	s_or_b32 exec_lo, exec_lo, s11
	s_barrier_signal -1
	s_barrier_wait -1
	s_and_saveexec_b32 s11, s36
	s_cbranch_execz .LBB150_819
; %bb.818:                              ;   in Loop: Header=BB150_3 Depth=1
	ds_load_b64 v[42:43], v1 offset:2080
	s_wait_dscnt 0x0
	v_pk_mul_f32 v[44:45], v[40:41], v[42:43]
	v_pk_mul_f32 v[40:41], v[40:41], v[42:43] op_sel:[1,0] op_sel_hi:[0,1]
	s_delay_alu instid0(VALU_DEP_1) | instskip(NEXT) | instid1(VALU_DEP_3)
	v_dual_mov_b32 v42, v44 :: v_dual_mov_b32 v43, v40
	v_mov_b32_e32 v40, v45
	s_delay_alu instid0(VALU_DEP_1) | instskip(SKIP_1) | instid1(VALU_DEP_2)
	v_pk_add_f32 v[44:45], v[42:43], v[40:41]
	v_pk_add_f32 v[40:41], v[42:43], v[40:41] neg_lo:[0,1] neg_hi:[0,1]
	v_mov_b32_e32 v41, v45
	s_delay_alu instid0(VALU_DEP_1)
	v_pk_add_f32 v[42:43], v[40:41], 0 neg_lo:[1,1] neg_hi:[1,1]
	ds_store_b64 v64, v[42:43]
.LBB150_819:                            ;   in Loop: Header=BB150_3 Depth=1
	s_or_b32 exec_lo, exec_lo, s11
	s_wait_dscnt 0x0
	s_barrier_signal -1
	s_barrier_wait -1
	s_and_saveexec_b32 s11, s26
	s_cbranch_execz .LBB150_821
; %bb.820:                              ;   in Loop: Header=BB150_3 Depth=1
	ds_load_b64 v[42:43], v65 offset:2048
	ds_load_b64 v[44:45], v64
	s_wait_dscnt 0x0
	v_dual_mul_f32 v0, v45, v43 :: v_dual_mul_f32 v43, v44, v43
	s_delay_alu instid0(VALU_DEP_1) | instskip(NEXT) | instid1(VALU_DEP_1)
	v_dual_fma_f32 v0, v44, v42, -v0 :: v_dual_fmac_f32 v43, v45, v42
	v_dual_sub_f32 v40, v40, v0 :: v_dual_sub_f32 v41, v41, v43
.LBB150_821:                            ;   in Loop: Header=BB150_3 Depth=1
	s_or_b32 exec_lo, exec_lo, s11
	s_barrier_signal -1
	s_barrier_wait -1
	s_and_saveexec_b32 s11, s28
	s_cbranch_execz .LBB150_823
; %bb.822:                              ;   in Loop: Header=BB150_3 Depth=1
	ds_load_b64 v[42:43], v1 offset:1560
	s_wait_dscnt 0x0
	v_dual_mul_f32 v0, v41, v42 :: v_dual_mul_f32 v44, v41, v43
	s_delay_alu instid0(VALU_DEP_1) | instskip(NEXT) | instid1(VALU_DEP_2)
	v_pk_fma_f32 v[98:99], v[40:41], v[42:43], v[0:1] op_sel:[1,0,0] op_sel_hi:[0,1,0]
	v_pk_fma_f32 v[40:41], v[40:41], v[42:43], v[44:45] op_sel_hi:[1,1,0] neg_lo:[0,0,1] neg_hi:[0,0,1]
	s_delay_alu instid0(VALU_DEP_2) | instskip(NEXT) | instid1(VALU_DEP_1)
	v_mov_b32_e32 v41, v99
	v_pk_add_f32 v[42:43], v[40:41], 0 neg_lo:[1,1] neg_hi:[1,1]
	ds_store_b64 v64, v[42:43]
.LBB150_823:                            ;   in Loop: Header=BB150_3 Depth=1
	s_or_b32 exec_lo, exec_lo, s11
	s_wait_dscnt 0x0
	s_barrier_signal -1
	s_barrier_wait -1
	s_and_saveexec_b32 s11, s30
	s_cbranch_execz .LBB150_825
; %bb.824:                              ;   in Loop: Header=BB150_3 Depth=1
	ds_load_b64 v[42:43], v65 offset:1536
	ds_load_b64 v[44:45], v64
	s_wait_dscnt 0x0
	v_pk_mul_f32 v[98:99], v[44:45], v[42:43] op_sel:[1,1] op_sel_hi:[0,1]
	s_delay_alu instid0(VALU_DEP_1) | instskip(SKIP_1) | instid1(VALU_DEP_2)
	v_pk_fma_f32 v[100:101], v[44:45], v[42:43], v[98:99] op_sel_hi:[1,0,1]
	v_pk_fma_f32 v[42:43], v[44:45], v[42:43], v[98:99] neg_lo:[0,0,1] neg_hi:[0,0,1]
	v_mov_b32_e32 v43, v101
	s_delay_alu instid0(VALU_DEP_1)
	v_pk_add_f32 v[40:41], v[40:41], v[42:43] neg_lo:[0,1] neg_hi:[0,1]
.LBB150_825:                            ;   in Loop: Header=BB150_3 Depth=1
	s_or_b32 exec_lo, exec_lo, s11
	s_barrier_signal -1
	s_barrier_wait -1
	s_and_saveexec_b32 s11, s33
	s_cbranch_execz .LBB150_827
; %bb.826:                              ;   in Loop: Header=BB150_3 Depth=1
	ds_load_b64 v[42:43], v1 offset:1040
	s_wait_dscnt 0x0
	v_pk_mul_f32 v[44:45], v[40:41], v[42:43] op_sel:[1,1] op_sel_hi:[1,0]
	s_delay_alu instid0(VALU_DEP_1) | instskip(SKIP_1) | instid1(VALU_DEP_2)
	v_pk_fma_f32 v[98:99], v[40:41], v[42:43], v[44:45] op_sel_hi:[0,1,1]
	v_pk_fma_f32 v[40:41], v[40:41], v[42:43], v[44:45] neg_lo:[0,0,1] neg_hi:[0,0,1]
	v_mov_b32_e32 v41, v99
	s_delay_alu instid0(VALU_DEP_1)
	v_pk_add_f32 v[42:43], v[40:41], 0 neg_lo:[1,1] neg_hi:[1,1]
	ds_store_b64 v64, v[42:43]
.LBB150_827:                            ;   in Loop: Header=BB150_3 Depth=1
	s_or_b32 exec_lo, exec_lo, s11
	s_wait_dscnt 0x0
	s_barrier_signal -1
	s_barrier_wait -1
	s_and_saveexec_b32 s11, s35
	s_cbranch_execz .LBB150_829
; %bb.828:                              ;   in Loop: Header=BB150_3 Depth=1
	ds_load_b64 v[42:43], v65 offset:1024
	ds_load_b64 v[44:45], v64
	s_wait_dscnt 0x0
	v_pk_mul_f32 v[98:99], v[44:45], v[42:43] op_sel:[1,1] op_sel_hi:[0,1]
	s_delay_alu instid0(VALU_DEP_1) | instskip(SKIP_1) | instid1(VALU_DEP_2)
	v_pk_fma_f32 v[100:101], v[44:45], v[42:43], v[98:99] op_sel_hi:[1,0,1]
	v_pk_fma_f32 v[42:43], v[44:45], v[42:43], v[98:99] neg_lo:[0,0,1] neg_hi:[0,0,1]
	v_mov_b32_e32 v43, v101
	s_delay_alu instid0(VALU_DEP_1)
	v_pk_add_f32 v[40:41], v[40:41], v[42:43] neg_lo:[0,1] neg_hi:[0,1]
.LBB150_829:                            ;   in Loop: Header=BB150_3 Depth=1
	s_or_b32 exec_lo, exec_lo, s11
	s_barrier_signal -1
	s_barrier_wait -1
	s_and_saveexec_b32 s11, s87
	s_cbranch_execz .LBB150_831
; %bb.830:                              ;   in Loop: Header=BB150_3 Depth=1
	ds_load_b64 v[42:43], v1 offset:520
	s_wait_dscnt 0x0
	v_pk_mul_f32 v[44:45], v[40:41], v[42:43] op_sel:[1,1] op_sel_hi:[1,0]
	s_delay_alu instid0(VALU_DEP_1) | instskip(SKIP_1) | instid1(VALU_DEP_2)
	v_pk_fma_f32 v[98:99], v[40:41], v[42:43], v[44:45] op_sel_hi:[0,1,1]
	v_pk_fma_f32 v[40:41], v[40:41], v[42:43], v[44:45] neg_lo:[0,0,1] neg_hi:[0,0,1]
	v_mov_b32_e32 v41, v99
	s_delay_alu instid0(VALU_DEP_1)
	v_pk_add_f32 v[42:43], v[40:41], 0 neg_lo:[1,1] neg_hi:[1,1]
	ds_store_b64 v64, v[42:43]
.LBB150_831:                            ;   in Loop: Header=BB150_3 Depth=1
	s_or_b32 exec_lo, exec_lo, s11
	s_wait_dscnt 0x0
	s_barrier_signal -1
	s_barrier_wait -1
	s_and_saveexec_b32 s11, s48
	s_cbranch_execz .LBB150_833
; %bb.832:                              ;   in Loop: Header=BB150_3 Depth=1
	ds_load_b64 v[42:43], v1 offset:512
	ds_load_b64 v[44:45], v64
	s_wait_dscnt 0x0
	v_pk_mul_f32 v[98:99], v[44:45], v[42:43] op_sel:[1,1] op_sel_hi:[0,1]
	s_delay_alu instid0(VALU_DEP_1) | instskip(SKIP_1) | instid1(VALU_DEP_2)
	v_pk_fma_f32 v[100:101], v[44:45], v[42:43], v[98:99] op_sel_hi:[1,0,1]
	v_pk_fma_f32 v[42:43], v[44:45], v[42:43], v[98:99] neg_lo:[0,0,1] neg_hi:[0,0,1]
	v_mov_b32_e32 v43, v101
	s_delay_alu instid0(VALU_DEP_1)
	v_pk_add_f32 v[40:41], v[40:41], v[42:43] neg_lo:[0,1] neg_hi:[0,1]
.LBB150_833:                            ;   in Loop: Header=BB150_3 Depth=1
	s_or_b32 exec_lo, exec_lo, s11
	s_barrier_signal -1
	s_barrier_wait -1
	s_and_saveexec_b32 s11, s48
	s_cbranch_execz .LBB150_835
; %bb.834:                              ;   in Loop: Header=BB150_3 Depth=1
	ds_load_b64 v[42:43], v1
	s_wait_dscnt 0x0
	v_pk_mul_f32 v[44:45], v[40:41], v[42:43] op_sel:[1,1] op_sel_hi:[1,0]
	s_delay_alu instid0(VALU_DEP_1) | instskip(SKIP_1) | instid1(VALU_DEP_2)
	v_pk_fma_f32 v[98:99], v[40:41], v[42:43], v[44:45] op_sel_hi:[0,1,1]
	v_pk_fma_f32 v[40:41], v[40:41], v[42:43], v[44:45] neg_lo:[0,0,1] neg_hi:[0,0,1]
	v_mov_b32_e32 v41, v99
	s_delay_alu instid0(VALU_DEP_1)
	v_pk_add_f32 v[42:43], v[40:41], 0 neg_lo:[1,1] neg_hi:[1,1]
	ds_store_b64 v64, v[42:43]
.LBB150_835:                            ;   in Loop: Header=BB150_3 Depth=1
	s_or_b32 exec_lo, exec_lo, s11
	s_wait_dscnt 0x0
	s_barrier_signal -1
	s_barrier_wait -1
	s_barrier_signal -1
	s_barrier_wait -1
	s_and_saveexec_b32 s11, s5
; %bb.836:                              ;   in Loop: Header=BB150_3 Depth=1
	ds_store_b64 v68, v[40:41] offset:15872
; %bb.837:                              ;   in Loop: Header=BB150_3 Depth=1
	s_or_b32 exec_lo, exec_lo, s11
	s_wait_dscnt 0x0
	s_barrier_signal -1
	s_barrier_wait -1
	s_barrier_signal -1
	s_barrier_wait -1
	s_and_saveexec_b32 s11, s49
	s_cbranch_execz .LBB150_839
; %bb.838:                              ;   in Loop: Header=BB150_3 Depth=1
	ds_load_b64 v[40:41], v52 offset:8192
	s_wait_dscnt 0x0
	ds_store_b64 v57, v[40:41] offset:128
	ds_load_b64 v[40:41], v52 offset:8200
	s_wait_dscnt 0x0
	ds_store_b64 v57, v[40:41] offset:640
	;; [unrolled: 3-line block ×16, first 2 shown]
.LBB150_839:                            ;   in Loop: Header=BB150_3 Depth=1
	s_or_b32 exec_lo, exec_lo, s11
	s_wait_dscnt 0x0
	s_barrier_signal -1
	s_barrier_wait -1
	s_and_saveexec_b32 s11, s14
	s_cbranch_execz .LBB150_841
; %bb.840:                              ;   in Loop: Header=BB150_3 Depth=1
	v_add_nc_u32_e64 v0, 0x70, 0
	ds_load_b64 v[44:45], v1 offset:7800
	ds_load_2addr_stride64_b64 v[40:43], v0 offset0:14 offset1:15
	s_wait_dscnt 0x0
	v_dual_mul_f32 v97, v45, v41 :: v_dual_mul_f32 v0, v44, v41
	s_delay_alu instid0(VALU_DEP_1) | instskip(NEXT) | instid1(VALU_DEP_1)
	v_xor_b32_e32 v98, 0x80000000, v97
	v_dual_fmac_f32 v0, v45, v40 :: v_dual_fmac_f32 v98, v44, v40
	s_delay_alu instid0(VALU_DEP_1) | instskip(SKIP_1) | instid1(VALU_DEP_2)
	v_pk_mul_f32 v[40:41], v[0:1], v[42:43] op_sel:[0,1] op_sel_hi:[0,0]
	v_add_nc_u32_e64 v0, 0x1800, 0
	v_pk_fma_f32 v[44:45], v[98:99], v[42:43], v[40:41] op_sel_hi:[0,1,1]
	v_pk_fma_f32 v[40:41], v[98:99], v[42:43], v[40:41] neg_lo:[0,0,1] neg_hi:[0,0,1]
	s_delay_alu instid0(VALU_DEP_2)
	v_mov_b32_e32 v41, v45
	ds_store_2addr_b64 v0, v[40:41], v[40:41] offset0:143 offset1:206
.LBB150_841:                            ;   in Loop: Header=BB150_3 Depth=1
	s_or_b32 exec_lo, exec_lo, s11
	v_dual_mov_b32 v40, 0 :: v_dual_mov_b32 v41, 0
	s_wait_dscnt 0x0
	s_barrier_signal -1
	s_barrier_wait -1
	global_wb scope:SCOPE_DEV
	s_wait_storecnt 0x0
	global_inv scope:SCOPE_DEV
	s_and_saveexec_b32 s11, s1
	s_cbranch_execz .LBB150_845
; %bb.842:                              ;   in Loop: Header=BB150_3 Depth=1
	ds_load_b64 v[40:41], v48 offset:7264
	ds_load_b64 v[42:43], v49 offset:7792
	s_wait_dscnt 0x0
	v_pk_mul_f32 v[44:45], v[42:43], v[40:41] op_sel:[1,1] op_sel_hi:[0,1]
	s_delay_alu instid0(VALU_DEP_1) | instskip(SKIP_1) | instid1(VALU_DEP_2)
	v_pk_fma_f32 v[98:99], v[42:43], v[40:41], v[44:45] op_sel_hi:[1,0,1]
	v_pk_fma_f32 v[40:41], v[42:43], v[40:41], v[44:45] neg_lo:[0,0,1] neg_hi:[0,0,1]
	v_mov_b32_e32 v41, v99
	s_delay_alu instid0(VALU_DEP_1)
	v_pk_add_f32 v[40:41], v[40:41], 0 op_sel_hi:[1,0]
	s_and_saveexec_b32 s12, s17
	s_cbranch_execz .LBB150_844
; %bb.843:                              ;   in Loop: Header=BB150_3 Depth=1
	ds_load_b64 v[42:43], v50 offset:7776
	ds_load_b64 v[44:45], v1 offset:7800
	s_wait_dscnt 0x0
	v_pk_mul_f32 v[98:99], v[44:45], v[42:43] op_sel:[1,1] op_sel_hi:[0,1]
	s_delay_alu instid0(VALU_DEP_1) | instskip(SKIP_1) | instid1(VALU_DEP_2)
	v_pk_fma_f32 v[100:101], v[44:45], v[42:43], v[98:99] op_sel_hi:[1,0,1]
	v_pk_fma_f32 v[42:43], v[44:45], v[42:43], v[98:99] neg_lo:[0,0,1] neg_hi:[0,0,1]
	v_mov_b32_e32 v43, v101
	s_delay_alu instid0(VALU_DEP_1)
	v_pk_add_f32 v[40:41], v[40:41], v[42:43]
.LBB150_844:                            ;   in Loop: Header=BB150_3 Depth=1
	s_or_b32 exec_lo, exec_lo, s12
.LBB150_845:                            ;   in Loop: Header=BB150_3 Depth=1
	s_delay_alu instid0(SALU_CYCLE_1)
	s_or_b32 exec_lo, exec_lo, s11
	s_and_saveexec_b32 s11, s90
	s_cbranch_execz .LBB150_847
; %bb.846:                              ;   in Loop: Header=BB150_3 Depth=1
	ds_load_b64 v[42:43], v1 offset:6760
	s_wait_dscnt 0x0
	v_pk_mul_f32 v[44:45], v[40:41], v[42:43] op_sel:[1,1] op_sel_hi:[1,0]
	s_delay_alu instid0(VALU_DEP_1) | instskip(SKIP_1) | instid1(VALU_DEP_2)
	v_pk_fma_f32 v[98:99], v[40:41], v[42:43], v[44:45] op_sel_hi:[0,1,1]
	v_pk_fma_f32 v[40:41], v[40:41], v[42:43], v[44:45] neg_lo:[0,0,1] neg_hi:[0,0,1]
	v_mov_b32_e32 v41, v99
	s_delay_alu instid0(VALU_DEP_1)
	v_pk_add_f32 v[42:43], v[40:41], 0 neg_lo:[1,1] neg_hi:[1,1]
	ds_store_b64 v3, v[42:43]
.LBB150_847:                            ;   in Loop: Header=BB150_3 Depth=1
	s_or_b32 exec_lo, exec_lo, s11
	s_wait_loadcnt_dscnt 0x0
	s_barrier_signal -1
	s_barrier_wait -1
	s_and_saveexec_b32 s11, s91
	s_cbranch_execz .LBB150_849
; %bb.848:                              ;   in Loop: Header=BB150_3 Depth=1
	ds_load_b64 v[42:43], v1 offset:6752
	ds_load_b64 v[44:45], v3
	s_wait_dscnt 0x0
	v_pk_mul_f32 v[98:99], v[44:45], v[42:43] op_sel:[1,1] op_sel_hi:[0,1]
	s_delay_alu instid0(VALU_DEP_1) | instskip(SKIP_1) | instid1(VALU_DEP_2)
	v_pk_fma_f32 v[100:101], v[44:45], v[42:43], v[98:99] op_sel_hi:[1,0,1]
	v_pk_fma_f32 v[42:43], v[44:45], v[42:43], v[98:99] neg_lo:[0,0,1] neg_hi:[0,0,1]
	v_mov_b32_e32 v43, v101
	s_delay_alu instid0(VALU_DEP_1)
	v_pk_add_f32 v[40:41], v[40:41], v[42:43] neg_lo:[0,1] neg_hi:[0,1]
.LBB150_849:                            ;   in Loop: Header=BB150_3 Depth=1
	s_or_b32 exec_lo, exec_lo, s11
	s_barrier_signal -1
	s_barrier_wait -1
	s_and_saveexec_b32 s11, s91
	s_cbranch_execz .LBB150_851
; %bb.850:                              ;   in Loop: Header=BB150_3 Depth=1
	ds_load_b64 v[42:43], v1 offset:6240
	s_wait_dscnt 0x0
	v_pk_mul_f32 v[44:45], v[40:41], v[42:43] op_sel:[1,1] op_sel_hi:[1,0]
	s_delay_alu instid0(VALU_DEP_1) | instskip(SKIP_1) | instid1(VALU_DEP_2)
	v_pk_fma_f32 v[98:99], v[40:41], v[42:43], v[44:45] op_sel_hi:[0,1,1]
	v_pk_fma_f32 v[40:41], v[40:41], v[42:43], v[44:45] neg_lo:[0,0,1] neg_hi:[0,0,1]
	v_mov_b32_e32 v41, v99
	s_delay_alu instid0(VALU_DEP_1)
	v_pk_add_f32 v[42:43], v[40:41], 0 neg_lo:[1,1] neg_hi:[1,1]
	ds_store_b64 v3, v[42:43]
.LBB150_851:                            ;   in Loop: Header=BB150_3 Depth=1
	s_or_b32 exec_lo, exec_lo, s11
	s_wait_dscnt 0x0
	s_barrier_signal -1
	s_barrier_wait -1
	s_barrier_signal -1
	s_barrier_wait -1
	s_and_saveexec_b32 s11, s1
; %bb.852:                              ;   in Loop: Header=BB150_3 Depth=1
	ds_store_b64 v51, v[40:41] offset:7776
; %bb.853:                              ;   in Loop: Header=BB150_3 Depth=1
	s_or_b32 exec_lo, exec_lo, s11
	s_wait_dscnt 0x0
	s_barrier_signal -1
	s_barrier_wait -1
	s_barrier_signal -1
	s_barrier_wait -1
	s_and_saveexec_b32 s11, s92
	s_cbranch_execz .LBB150_855
; %bb.854:                              ;   in Loop: Header=BB150_3 Depth=1
	ds_load_b64 v[40:41], v52 offset:7264
	s_wait_dscnt 0x0
	ds_store_b64 v50, v[40:41] offset:6256
	ds_load_b64 v[40:41], v52 offset:7272
	s_wait_dscnt 0x0
	ds_store_b64 v50, v[40:41] offset:6768
.LBB150_855:                            ;   in Loop: Header=BB150_3 Depth=1
	s_or_b32 exec_lo, exec_lo, s11
	s_wait_dscnt 0x0
	s_barrier_signal -1
	s_barrier_wait -1
	s_and_saveexec_b32 s11, s14
	s_cbranch_execz .LBB150_857
; %bb.856:                              ;   in Loop: Header=BB150_3 Depth=1
	v_add_nc_u32_e64 v0, 0x60, 0
	ds_load_b64 v[44:45], v1 offset:6760
	ds_load_2addr_stride64_b64 v[40:43], v0 offset0:12 offset1:13
	s_wait_dscnt 0x0
	v_dual_mul_f32 v97, v45, v41 :: v_dual_mul_f32 v0, v44, v41
	s_delay_alu instid0(VALU_DEP_1) | instskip(NEXT) | instid1(VALU_DEP_1)
	v_xor_b32_e32 v98, 0x80000000, v97
	v_dual_fmac_f32 v0, v45, v40 :: v_dual_fmac_f32 v98, v44, v40
	s_delay_alu instid0(VALU_DEP_1) | instskip(SKIP_1) | instid1(VALU_DEP_2)
	v_pk_mul_f32 v[40:41], v[0:1], v[42:43] op_sel:[0,1] op_sel_hi:[0,0]
	v_add_nc_u32_e64 v0, 0x1800, 0
	v_pk_fma_f32 v[44:45], v[98:99], v[42:43], v[40:41] op_sel_hi:[0,1,1]
	v_pk_fma_f32 v[40:41], v[98:99], v[42:43], v[40:41] neg_lo:[0,0,1] neg_hi:[0,0,1]
	s_delay_alu instid0(VALU_DEP_2)
	v_mov_b32_e32 v41, v45
	ds_store_2addr_b64 v0, v[40:41], v[40:41] offset0:13 offset1:76
.LBB150_857:                            ;   in Loop: Header=BB150_3 Depth=1
	s_or_b32 exec_lo, exec_lo, s11
	v_mov_b64_e32 v[40:41], 0
	s_wait_dscnt 0x0
	s_barrier_signal -1
	s_barrier_wait -1
	global_wb scope:SCOPE_DEV
	s_wait_storecnt 0x0
	global_inv scope:SCOPE_DEV
	s_and_saveexec_b32 s11, s3
	s_cbranch_execz .LBB150_863
; %bb.858:                              ;   in Loop: Header=BB150_3 Depth=1
	ds_load_b64 v[40:41], v54 offset:6208
	ds_load_b64 v[42:43], v55 offset:7776
	s_wait_dscnt 0x0
	v_dual_mul_f32 v0, v43, v41 :: v_dual_mul_f32 v41, v42, v41
	s_delay_alu instid0(VALU_DEP_1) | instskip(NEXT) | instid1(VALU_DEP_1)
	v_dual_fma_f32 v0, v42, v40, -v0 :: v_dual_fmac_f32 v41, v43, v40
	v_dual_add_f32 v40, 0, v0 :: v_dual_add_f32 v41, 0, v41
	s_and_saveexec_b32 s12, s18
	s_cbranch_execnz .LBB150_1164
; %bb.859:                              ;   in Loop: Header=BB150_3 Depth=1
	s_or_b32 exec_lo, exec_lo, s12
	s_and_saveexec_b32 s12, s19
	s_cbranch_execnz .LBB150_1165
.LBB150_860:                            ;   in Loop: Header=BB150_3 Depth=1
	s_or_b32 exec_lo, exec_lo, s12
	s_and_saveexec_b32 s12, s1
	s_cbranch_execz .LBB150_862
.LBB150_861:                            ;   in Loop: Header=BB150_3 Depth=1
	ds_load_b64 v[42:43], v57 offset:7744
	ds_load_b64 v[44:45], v1 offset:7800
	s_wait_dscnt 0x0
	v_dual_mul_f32 v0, v45, v43 :: v_dual_mul_f32 v43, v44, v43
	s_delay_alu instid0(VALU_DEP_1) | instskip(NEXT) | instid1(VALU_DEP_1)
	v_dual_fma_f32 v0, v44, v42, -v0 :: v_dual_fmac_f32 v43, v45, v42
	v_dual_add_f32 v40, v40, v0 :: v_dual_add_f32 v41, v41, v43
.LBB150_862:                            ;   in Loop: Header=BB150_3 Depth=1
	s_or_b32 exec_lo, exec_lo, s12
.LBB150_863:                            ;   in Loop: Header=BB150_3 Depth=1
	s_delay_alu instid0(SALU_CYCLE_1)
	s_or_b32 exec_lo, exec_lo, s11
	s_and_saveexec_b32 s11, s93
	s_cbranch_execz .LBB150_865
; %bb.864:                              ;   in Loop: Header=BB150_3 Depth=1
	ds_load_b64 v[42:43], v1 offset:5720
	s_wait_dscnt 0x0
	v_dual_mul_f32 v0, v41, v42 :: v_dual_mul_f32 v44, v41, v43
	s_delay_alu instid0(VALU_DEP_1) | instskip(NEXT) | instid1(VALU_DEP_2)
	v_pk_fma_f32 v[98:99], v[40:41], v[42:43], v[0:1] op_sel:[1,0,0] op_sel_hi:[0,1,0]
	v_pk_fma_f32 v[40:41], v[40:41], v[42:43], v[44:45] op_sel_hi:[1,1,0] neg_lo:[0,0,1] neg_hi:[0,0,1]
	s_delay_alu instid0(VALU_DEP_2) | instskip(NEXT) | instid1(VALU_DEP_1)
	v_mov_b32_e32 v41, v99
	v_pk_add_f32 v[42:43], v[40:41], 0 neg_lo:[1,1] neg_hi:[1,1]
	ds_store_b64 v53, v[42:43]
.LBB150_865:                            ;   in Loop: Header=BB150_3 Depth=1
	s_or_b32 exec_lo, exec_lo, s11
	s_wait_loadcnt_dscnt 0x0
	s_barrier_signal -1
	s_barrier_wait -1
	s_and_saveexec_b32 s11, s94
	s_cbranch_execz .LBB150_867
; %bb.866:                              ;   in Loop: Header=BB150_3 Depth=1
	ds_load_b64 v[42:43], v54 offset:5696
	ds_load_b64 v[44:45], v53
	s_wait_dscnt 0x0
	v_pk_mul_f32 v[98:99], v[44:45], v[42:43] op_sel:[1,1] op_sel_hi:[0,1]
	s_delay_alu instid0(VALU_DEP_1) | instskip(SKIP_1) | instid1(VALU_DEP_2)
	v_pk_fma_f32 v[100:101], v[44:45], v[42:43], v[98:99] op_sel_hi:[1,0,1]
	v_pk_fma_f32 v[42:43], v[44:45], v[42:43], v[98:99] neg_lo:[0,0,1] neg_hi:[0,0,1]
	v_mov_b32_e32 v43, v101
	s_delay_alu instid0(VALU_DEP_1)
	v_pk_add_f32 v[40:41], v[40:41], v[42:43] neg_lo:[0,1] neg_hi:[0,1]
.LBB150_867:                            ;   in Loop: Header=BB150_3 Depth=1
	s_or_b32 exec_lo, exec_lo, s11
	s_barrier_signal -1
	s_barrier_wait -1
	s_and_saveexec_b32 s11, s95
	s_cbranch_execz .LBB150_869
; %bb.868:                              ;   in Loop: Header=BB150_3 Depth=1
	ds_load_b64 v[42:43], v1 offset:5200
	s_wait_dscnt 0x0
	v_pk_mul_f32 v[44:45], v[40:41], v[42:43] op_sel:[1,1] op_sel_hi:[1,0]
	s_delay_alu instid0(VALU_DEP_1) | instskip(SKIP_1) | instid1(VALU_DEP_2)
	v_pk_fma_f32 v[98:99], v[40:41], v[42:43], v[44:45] op_sel_hi:[0,1,1]
	v_pk_fma_f32 v[40:41], v[40:41], v[42:43], v[44:45] neg_lo:[0,0,1] neg_hi:[0,0,1]
	v_mov_b32_e32 v41, v99
	s_delay_alu instid0(VALU_DEP_1)
	v_pk_add_f32 v[42:43], v[40:41], 0 neg_lo:[1,1] neg_hi:[1,1]
	ds_store_b64 v53, v[42:43]
.LBB150_869:                            ;   in Loop: Header=BB150_3 Depth=1
	s_or_b32 exec_lo, exec_lo, s11
	s_wait_dscnt 0x0
	s_barrier_signal -1
	s_barrier_wait -1
	s_and_saveexec_b32 s11, s96
	s_cbranch_execz .LBB150_871
; %bb.870:                              ;   in Loop: Header=BB150_3 Depth=1
	ds_load_b64 v[42:43], v54 offset:5184
	ds_load_b64 v[44:45], v53
	s_wait_dscnt 0x0
	v_pk_mul_f32 v[98:99], v[44:45], v[42:43] op_sel:[1,1] op_sel_hi:[0,1]
	s_delay_alu instid0(VALU_DEP_1) | instskip(SKIP_1) | instid1(VALU_DEP_2)
	v_pk_fma_f32 v[100:101], v[44:45], v[42:43], v[98:99] op_sel_hi:[1,0,1]
	v_pk_fma_f32 v[42:43], v[44:45], v[42:43], v[98:99] neg_lo:[0,0,1] neg_hi:[0,0,1]
	v_mov_b32_e32 v43, v101
	s_delay_alu instid0(VALU_DEP_1)
	v_pk_add_f32 v[40:41], v[40:41], v[42:43] neg_lo:[0,1] neg_hi:[0,1]
.LBB150_871:                            ;   in Loop: Header=BB150_3 Depth=1
	s_or_b32 exec_lo, exec_lo, s11
	s_barrier_signal -1
	s_barrier_wait -1
	s_and_saveexec_b32 s11, s97
	s_cbranch_execz .LBB150_873
; %bb.872:                              ;   in Loop: Header=BB150_3 Depth=1
	ds_load_b64 v[42:43], v1 offset:4680
	s_wait_dscnt 0x0
	v_pk_mul_f32 v[44:45], v[40:41], v[42:43] op_sel:[1,1] op_sel_hi:[1,0]
	s_delay_alu instid0(VALU_DEP_1) | instskip(SKIP_1) | instid1(VALU_DEP_2)
	v_pk_fma_f32 v[98:99], v[40:41], v[42:43], v[44:45] op_sel_hi:[0,1,1]
	v_pk_fma_f32 v[40:41], v[40:41], v[42:43], v[44:45] neg_lo:[0,0,1] neg_hi:[0,0,1]
	v_mov_b32_e32 v41, v99
	s_delay_alu instid0(VALU_DEP_1)
	v_pk_add_f32 v[42:43], v[40:41], 0 neg_lo:[1,1] neg_hi:[1,1]
	ds_store_b64 v53, v[42:43]
.LBB150_873:                            ;   in Loop: Header=BB150_3 Depth=1
	s_or_b32 exec_lo, exec_lo, s11
	s_wait_dscnt 0x0
	s_barrier_signal -1
	s_barrier_wait -1
	s_and_saveexec_b32 s11, s98
	s_cbranch_execz .LBB150_875
; %bb.874:                              ;   in Loop: Header=BB150_3 Depth=1
	ds_load_b64 v[42:43], v1 offset:4672
	ds_load_b64 v[44:45], v53
	s_wait_dscnt 0x0
	v_pk_mul_f32 v[98:99], v[44:45], v[42:43] op_sel:[1,1] op_sel_hi:[0,1]
	s_delay_alu instid0(VALU_DEP_1) | instskip(SKIP_1) | instid1(VALU_DEP_2)
	v_pk_fma_f32 v[100:101], v[44:45], v[42:43], v[98:99] op_sel_hi:[1,0,1]
	v_pk_fma_f32 v[42:43], v[44:45], v[42:43], v[98:99] neg_lo:[0,0,1] neg_hi:[0,0,1]
	v_mov_b32_e32 v43, v101
	s_delay_alu instid0(VALU_DEP_1)
	v_pk_add_f32 v[40:41], v[40:41], v[42:43] neg_lo:[0,1] neg_hi:[0,1]
.LBB150_875:                            ;   in Loop: Header=BB150_3 Depth=1
	s_or_b32 exec_lo, exec_lo, s11
	s_barrier_signal -1
	s_barrier_wait -1
	s_and_saveexec_b32 s11, s98
	s_cbranch_execz .LBB150_877
; %bb.876:                              ;   in Loop: Header=BB150_3 Depth=1
	ds_load_b64 v[42:43], v1 offset:4160
	s_wait_dscnt 0x0
	v_pk_mul_f32 v[44:45], v[40:41], v[42:43] op_sel:[1,1] op_sel_hi:[1,0]
	s_delay_alu instid0(VALU_DEP_1) | instskip(SKIP_1) | instid1(VALU_DEP_2)
	v_pk_fma_f32 v[98:99], v[40:41], v[42:43], v[44:45] op_sel_hi:[0,1,1]
	v_pk_fma_f32 v[40:41], v[40:41], v[42:43], v[44:45] neg_lo:[0,0,1] neg_hi:[0,0,1]
	v_mov_b32_e32 v41, v99
	s_delay_alu instid0(VALU_DEP_1)
	v_pk_add_f32 v[42:43], v[40:41], 0 neg_lo:[1,1] neg_hi:[1,1]
	ds_store_b64 v53, v[42:43]
.LBB150_877:                            ;   in Loop: Header=BB150_3 Depth=1
	s_or_b32 exec_lo, exec_lo, s11
	s_wait_dscnt 0x0
	s_barrier_signal -1
	s_barrier_wait -1
	s_barrier_signal -1
	s_barrier_wait -1
	s_and_saveexec_b32 s11, s3
; %bb.878:                              ;   in Loop: Header=BB150_3 Depth=1
	ds_store_b64 v58, v[40:41] offset:7744
; %bb.879:                              ;   in Loop: Header=BB150_3 Depth=1
	s_or_b32 exec_lo, exec_lo, s11
	s_wait_dscnt 0x0
	s_barrier_signal -1
	s_barrier_wait -1
	s_barrier_signal -1
	s_barrier_wait -1
	s_and_saveexec_b32 s11, s99
	s_cbranch_execz .LBB150_881
; %bb.880:                              ;   in Loop: Header=BB150_3 Depth=1
	ds_load_b64 v[40:41], v59 offset:6208
	s_wait_dscnt 0x0
	ds_store_b64 v5, v[40:41] offset:4192
	ds_load_b64 v[40:41], v59 offset:6216
	s_wait_dscnt 0x0
	ds_store_b64 v5, v[40:41] offset:4704
	;; [unrolled: 3-line block ×4, first 2 shown]
.LBB150_881:                            ;   in Loop: Header=BB150_3 Depth=1
	s_or_b32 exec_lo, exec_lo, s11
	s_wait_dscnt 0x0
	s_barrier_signal -1
	s_barrier_wait -1
	s_and_saveexec_b32 s11, s14
	s_cbranch_execz .LBB150_883
; %bb.882:                              ;   in Loop: Header=BB150_3 Depth=1
	v_add_nc_u32_e64 v0, 0x50, 0
	ds_load_b64 v[44:45], v1 offset:5720
	ds_load_2addr_stride64_b64 v[40:43], v0 offset0:10 offset1:11
	s_wait_dscnt 0x0
	v_dual_mul_f32 v97, v45, v41 :: v_dual_mul_f32 v0, v44, v41
	s_delay_alu instid0(VALU_DEP_1) | instskip(NEXT) | instid1(VALU_DEP_1)
	v_xor_b32_e32 v98, 0x80000000, v97
	v_dual_fmac_f32 v0, v45, v40 :: v_dual_fmac_f32 v98, v44, v40
	s_delay_alu instid0(VALU_DEP_1) | instskip(SKIP_1) | instid1(VALU_DEP_2)
	v_pk_mul_f32 v[40:41], v[0:1], v[42:43] op_sel:[0,1] op_sel_hi:[0,0]
	v_add_nc_u32_e64 v0, 0x1000, 0
	v_pk_fma_f32 v[44:45], v[98:99], v[42:43], v[40:41] op_sel_hi:[0,1,1]
	v_pk_fma_f32 v[40:41], v[98:99], v[42:43], v[40:41] neg_lo:[0,0,1] neg_hi:[0,0,1]
	s_delay_alu instid0(VALU_DEP_2)
	v_mov_b32_e32 v41, v45
	ds_store_2addr_b64 v0, v[40:41], v[40:41] offset0:139 offset1:202
.LBB150_883:                            ;   in Loop: Header=BB150_3 Depth=1
	s_or_b32 exec_lo, exec_lo, s11
	v_dual_mov_b32 v40, 0 :: v_dual_mov_b32 v41, 0
	s_wait_dscnt 0x0
	s_barrier_signal -1
	s_barrier_wait -1
	global_wb scope:SCOPE_DEV
	s_wait_storecnt 0x0
	global_inv scope:SCOPE_DEV
	s_and_saveexec_b32 s11, s1
	s_cbranch_execz .LBB150_887
; %bb.884:                              ;   in Loop: Header=BB150_3 Depth=1
	ds_load_b64 v[40:41], v48 offset:5184
	ds_load_b64 v[42:43], v49 offset:5712
	s_wait_dscnt 0x0
	v_pk_mul_f32 v[44:45], v[42:43], v[40:41] op_sel:[1,1] op_sel_hi:[0,1]
	s_delay_alu instid0(VALU_DEP_1) | instskip(SKIP_1) | instid1(VALU_DEP_2)
	v_pk_fma_f32 v[98:99], v[42:43], v[40:41], v[44:45] op_sel_hi:[1,0,1]
	v_pk_fma_f32 v[40:41], v[42:43], v[40:41], v[44:45] neg_lo:[0,0,1] neg_hi:[0,0,1]
	v_mov_b32_e32 v41, v99
	s_delay_alu instid0(VALU_DEP_1)
	v_pk_add_f32 v[40:41], v[40:41], 0 op_sel_hi:[1,0]
	s_and_saveexec_b32 s12, s17
	s_cbranch_execz .LBB150_886
; %bb.885:                              ;   in Loop: Header=BB150_3 Depth=1
	ds_load_b64 v[42:43], v5 offset:5696
	ds_load_b64 v[44:45], v1 offset:5720
	s_wait_dscnt 0x0
	v_pk_mul_f32 v[98:99], v[44:45], v[42:43] op_sel:[1,1] op_sel_hi:[0,1]
	s_delay_alu instid0(VALU_DEP_1) | instskip(SKIP_1) | instid1(VALU_DEP_2)
	v_pk_fma_f32 v[100:101], v[44:45], v[42:43], v[98:99] op_sel_hi:[1,0,1]
	v_pk_fma_f32 v[42:43], v[44:45], v[42:43], v[98:99] neg_lo:[0,0,1] neg_hi:[0,0,1]
	v_mov_b32_e32 v43, v101
	s_delay_alu instid0(VALU_DEP_1)
	v_pk_add_f32 v[40:41], v[40:41], v[42:43]
.LBB150_886:                            ;   in Loop: Header=BB150_3 Depth=1
	s_or_b32 exec_lo, exec_lo, s12
.LBB150_887:                            ;   in Loop: Header=BB150_3 Depth=1
	s_delay_alu instid0(SALU_CYCLE_1)
	s_or_b32 exec_lo, exec_lo, s11
	s_and_saveexec_b32 s11, s90
	s_cbranch_execz .LBB150_889
; %bb.888:                              ;   in Loop: Header=BB150_3 Depth=1
	ds_load_b64 v[42:43], v1 offset:4680
	s_wait_dscnt 0x0
	v_pk_mul_f32 v[44:45], v[40:41], v[42:43] op_sel:[1,1] op_sel_hi:[1,0]
	s_delay_alu instid0(VALU_DEP_1) | instskip(SKIP_1) | instid1(VALU_DEP_2)
	v_pk_fma_f32 v[98:99], v[40:41], v[42:43], v[44:45] op_sel_hi:[0,1,1]
	v_pk_fma_f32 v[40:41], v[40:41], v[42:43], v[44:45] neg_lo:[0,0,1] neg_hi:[0,0,1]
	v_mov_b32_e32 v41, v99
	s_delay_alu instid0(VALU_DEP_1)
	v_pk_add_f32 v[42:43], v[40:41], 0 neg_lo:[1,1] neg_hi:[1,1]
	ds_store_b64 v3, v[42:43]
.LBB150_889:                            ;   in Loop: Header=BB150_3 Depth=1
	s_or_b32 exec_lo, exec_lo, s11
	s_wait_loadcnt_dscnt 0x0
	s_barrier_signal -1
	s_barrier_wait -1
	s_and_saveexec_b32 s11, s91
	s_cbranch_execz .LBB150_891
; %bb.890:                              ;   in Loop: Header=BB150_3 Depth=1
	ds_load_b64 v[42:43], v1 offset:4672
	ds_load_b64 v[44:45], v3
	s_wait_dscnt 0x0
	v_pk_mul_f32 v[98:99], v[44:45], v[42:43] op_sel:[1,1] op_sel_hi:[0,1]
	s_delay_alu instid0(VALU_DEP_1) | instskip(SKIP_1) | instid1(VALU_DEP_2)
	v_pk_fma_f32 v[100:101], v[44:45], v[42:43], v[98:99] op_sel_hi:[1,0,1]
	v_pk_fma_f32 v[42:43], v[44:45], v[42:43], v[98:99] neg_lo:[0,0,1] neg_hi:[0,0,1]
	v_mov_b32_e32 v43, v101
	s_delay_alu instid0(VALU_DEP_1)
	v_pk_add_f32 v[40:41], v[40:41], v[42:43] neg_lo:[0,1] neg_hi:[0,1]
.LBB150_891:                            ;   in Loop: Header=BB150_3 Depth=1
	s_or_b32 exec_lo, exec_lo, s11
	s_barrier_signal -1
	s_barrier_wait -1
	s_and_saveexec_b32 s11, s91
	s_cbranch_execz .LBB150_893
; %bb.892:                              ;   in Loop: Header=BB150_3 Depth=1
	ds_load_b64 v[42:43], v1 offset:4160
	s_wait_dscnt 0x0
	v_pk_mul_f32 v[44:45], v[40:41], v[42:43] op_sel:[1,1] op_sel_hi:[1,0]
	s_delay_alu instid0(VALU_DEP_1) | instskip(SKIP_1) | instid1(VALU_DEP_2)
	v_pk_fma_f32 v[98:99], v[40:41], v[42:43], v[44:45] op_sel_hi:[0,1,1]
	v_pk_fma_f32 v[40:41], v[40:41], v[42:43], v[44:45] neg_lo:[0,0,1] neg_hi:[0,0,1]
	v_mov_b32_e32 v41, v99
	s_delay_alu instid0(VALU_DEP_1)
	v_pk_add_f32 v[42:43], v[40:41], 0 neg_lo:[1,1] neg_hi:[1,1]
	ds_store_b64 v3, v[42:43]
.LBB150_893:                            ;   in Loop: Header=BB150_3 Depth=1
	s_or_b32 exec_lo, exec_lo, s11
	s_wait_dscnt 0x0
	s_barrier_signal -1
	s_barrier_wait -1
	s_barrier_signal -1
	s_barrier_wait -1
	s_and_saveexec_b32 s11, s1
; %bb.894:                              ;   in Loop: Header=BB150_3 Depth=1
	ds_store_b64 v51, v[40:41] offset:5696
; %bb.895:                              ;   in Loop: Header=BB150_3 Depth=1
	s_or_b32 exec_lo, exec_lo, s11
	s_wait_dscnt 0x0
	s_barrier_signal -1
	s_barrier_wait -1
	s_barrier_signal -1
	s_barrier_wait -1
	s_and_saveexec_b32 s11, s92
	s_cbranch_execz .LBB150_897
; %bb.896:                              ;   in Loop: Header=BB150_3 Depth=1
	ds_load_b64 v[40:41], v73 offset:5184
	s_wait_dscnt 0x0
	ds_store_b64 v5, v[40:41] offset:4176
	ds_load_b64 v[40:41], v73 offset:5192
	s_wait_dscnt 0x0
	ds_store_b64 v5, v[40:41] offset:4688
.LBB150_897:                            ;   in Loop: Header=BB150_3 Depth=1
	s_or_b32 exec_lo, exec_lo, s11
	s_wait_dscnt 0x0
	s_barrier_signal -1
	s_barrier_wait -1
	s_and_saveexec_b32 s11, s14
	s_cbranch_execz .LBB150_899
; %bb.898:                              ;   in Loop: Header=BB150_3 Depth=1
	v_add_nc_u32_e64 v0, 64, 0
	ds_load_b64 v[44:45], v1 offset:4680
	ds_load_2addr_stride64_b64 v[40:43], v0 offset0:8 offset1:9
	s_wait_dscnt 0x0
	v_dual_mul_f32 v97, v45, v41 :: v_dual_mul_f32 v0, v44, v41
	s_delay_alu instid0(VALU_DEP_1) | instskip(NEXT) | instid1(VALU_DEP_1)
	v_xor_b32_e32 v98, 0x80000000, v97
	v_dual_fmac_f32 v0, v45, v40 :: v_dual_fmac_f32 v98, v44, v40
	s_delay_alu instid0(VALU_DEP_1) | instskip(SKIP_1) | instid1(VALU_DEP_2)
	v_pk_mul_f32 v[40:41], v[0:1], v[42:43] op_sel:[0,1] op_sel_hi:[0,0]
	v_add_nc_u32_e64 v0, 0x1000, 0
	v_pk_fma_f32 v[44:45], v[98:99], v[42:43], v[40:41] op_sel_hi:[0,1,1]
	v_pk_fma_f32 v[40:41], v[98:99], v[42:43], v[40:41] neg_lo:[0,0,1] neg_hi:[0,0,1]
	s_delay_alu instid0(VALU_DEP_2)
	v_mov_b32_e32 v41, v45
	ds_store_2addr_b64 v0, v[40:41], v[40:41] offset0:9 offset1:72
.LBB150_899:                            ;   in Loop: Header=BB150_3 Depth=1
	s_or_b32 exec_lo, exec_lo, s11
	v_mov_b64_e32 v[40:41], 0
	s_wait_dscnt 0x0
	s_barrier_signal -1
	s_barrier_wait -1
	global_wb scope:SCOPE_DEV
	s_wait_storecnt 0x0
	global_inv scope:SCOPE_DEV
	s_and_saveexec_b32 s11, s4
	s_cbranch_execz .LBB150_909
; %bb.900:                              ;   in Loop: Header=BB150_3 Depth=1
	ds_load_b64 v[40:41], v61 offset:4096
	ds_load_b64 v[42:43], v62 offset:7744
	s_wait_dscnt 0x0
	v_dual_mul_f32 v0, v43, v41 :: v_dual_mul_f32 v41, v42, v41
	s_delay_alu instid0(VALU_DEP_1) | instskip(NEXT) | instid1(VALU_DEP_1)
	v_dual_fma_f32 v0, v42, v40, -v0 :: v_dual_fmac_f32 v41, v43, v40
	v_dual_add_f32 v40, 0, v0 :: v_dual_add_f32 v41, 0, v41
	s_and_saveexec_b32 s12, s20
	s_cbranch_execnz .LBB150_1166
; %bb.901:                              ;   in Loop: Header=BB150_3 Depth=1
	s_or_b32 exec_lo, exec_lo, s12
	s_and_saveexec_b32 s12, s21
	s_cbranch_execnz .LBB150_1167
.LBB150_902:                            ;   in Loop: Header=BB150_3 Depth=1
	s_or_b32 exec_lo, exec_lo, s12
	s_and_saveexec_b32 s12, s22
	s_cbranch_execnz .LBB150_1168
.LBB150_903:                            ;   in Loop: Header=BB150_3 Depth=1
	s_or_b32 exec_lo, exec_lo, s12
	s_and_saveexec_b32 s12, s23
	s_cbranch_execnz .LBB150_1169
.LBB150_904:                            ;   in Loop: Header=BB150_3 Depth=1
	s_or_b32 exec_lo, exec_lo, s12
	s_and_saveexec_b32 s12, s24
	s_cbranch_execnz .LBB150_1170
.LBB150_905:                            ;   in Loop: Header=BB150_3 Depth=1
	s_or_b32 exec_lo, exec_lo, s12
	s_and_saveexec_b32 s12, s3
	s_cbranch_execnz .LBB150_1171
.LBB150_906:                            ;   in Loop: Header=BB150_3 Depth=1
	s_or_b32 exec_lo, exec_lo, s12
	s_and_saveexec_b32 s12, s19
	s_cbranch_execz .LBB150_908
.LBB150_907:                            ;   in Loop: Header=BB150_3 Depth=1
	ds_load_b64 v[42:43], v74 offset:7680
	ds_load_b64 v[44:45], v1 offset:7800
	s_wait_dscnt 0x0
	v_dual_mul_f32 v0, v45, v43 :: v_dual_mul_f32 v99, v44, v43
	s_delay_alu instid0(VALU_DEP_1) | instskip(NEXT) | instid1(VALU_DEP_1)
	v_dual_fma_f32 v98, v44, v42, -v0 :: v_dual_fmac_f32 v99, v45, v42
	v_pk_add_f32 v[40:41], v[40:41], v[98:99]
.LBB150_908:                            ;   in Loop: Header=BB150_3 Depth=1
	s_or_b32 exec_lo, exec_lo, s12
.LBB150_909:                            ;   in Loop: Header=BB150_3 Depth=1
	s_delay_alu instid0(SALU_CYCLE_1)
	s_or_b32 exec_lo, exec_lo, s11
	s_and_saveexec_b32 s11, s100
	s_cbranch_execz .LBB150_911
; %bb.910:                              ;   in Loop: Header=BB150_3 Depth=1
	ds_load_b64 v[42:43], v1 offset:3640
	s_wait_dscnt 0x0
	v_pk_mul_f32 v[44:45], v[40:41], v[42:43] op_sel:[1,1] op_sel_hi:[1,0]
	s_delay_alu instid0(VALU_DEP_1) | instskip(SKIP_1) | instid1(VALU_DEP_2)
	v_pk_fma_f32 v[98:99], v[40:41], v[42:43], v[44:45] op_sel_hi:[0,1,1]
	v_pk_fma_f32 v[40:41], v[40:41], v[42:43], v[44:45] neg_lo:[0,0,1] neg_hi:[0,0,1]
	v_mov_b32_e32 v41, v99
	s_delay_alu instid0(VALU_DEP_1)
	v_pk_add_f32 v[42:43], v[40:41], 0 neg_lo:[1,1] neg_hi:[1,1]
	ds_store_b64 v60, v[42:43]
.LBB150_911:                            ;   in Loop: Header=BB150_3 Depth=1
	s_or_b32 exec_lo, exec_lo, s11
	s_wait_loadcnt_dscnt 0x0
	s_barrier_signal -1
	s_barrier_wait -1
	s_and_saveexec_b32 s11, s101
	s_cbranch_execz .LBB150_913
; %bb.912:                              ;   in Loop: Header=BB150_3 Depth=1
	ds_load_b64 v[42:43], v61 offset:3584
	ds_load_b64 v[44:45], v60
	s_wait_dscnt 0x0
	v_pk_mul_f32 v[98:99], v[44:45], v[42:43] op_sel:[1,1] op_sel_hi:[0,1]
	s_delay_alu instid0(VALU_DEP_1) | instskip(SKIP_1) | instid1(VALU_DEP_2)
	v_pk_fma_f32 v[100:101], v[44:45], v[42:43], v[98:99] op_sel_hi:[1,0,1]
	v_pk_fma_f32 v[42:43], v[44:45], v[42:43], v[98:99] neg_lo:[0,0,1] neg_hi:[0,0,1]
	v_mov_b32_e32 v43, v101
	s_delay_alu instid0(VALU_DEP_1)
	v_pk_add_f32 v[40:41], v[40:41], v[42:43] neg_lo:[0,1] neg_hi:[0,1]
.LBB150_913:                            ;   in Loop: Header=BB150_3 Depth=1
	s_or_b32 exec_lo, exec_lo, s11
	s_barrier_signal -1
	s_barrier_wait -1
	s_and_saveexec_b32 s11, s102
	s_cbranch_execz .LBB150_915
; %bb.914:                              ;   in Loop: Header=BB150_3 Depth=1
	ds_load_b64 v[42:43], v1 offset:3120
	s_wait_dscnt 0x0
	v_pk_mul_f32 v[44:45], v[40:41], v[42:43] op_sel:[1,1] op_sel_hi:[1,0]
	s_delay_alu instid0(VALU_DEP_1) | instskip(SKIP_1) | instid1(VALU_DEP_2)
	v_pk_fma_f32 v[98:99], v[40:41], v[42:43], v[44:45] op_sel_hi:[0,1,1]
	v_pk_fma_f32 v[40:41], v[40:41], v[42:43], v[44:45] neg_lo:[0,0,1] neg_hi:[0,0,1]
	v_mov_b32_e32 v41, v99
	s_delay_alu instid0(VALU_DEP_1)
	v_pk_add_f32 v[42:43], v[40:41], 0 neg_lo:[1,1] neg_hi:[1,1]
	ds_store_b64 v60, v[42:43]
.LBB150_915:                            ;   in Loop: Header=BB150_3 Depth=1
	s_or_b32 exec_lo, exec_lo, s11
	s_wait_dscnt 0x0
	s_barrier_signal -1
	s_barrier_wait -1
	s_and_saveexec_b32 s11, s103
	s_cbranch_execz .LBB150_917
; %bb.916:                              ;   in Loop: Header=BB150_3 Depth=1
	ds_load_b64 v[42:43], v61 offset:3072
	ds_load_b64 v[44:45], v60
	s_wait_dscnt 0x0
	v_pk_mul_f32 v[98:99], v[44:45], v[42:43] op_sel:[1,1] op_sel_hi:[0,1]
	s_delay_alu instid0(VALU_DEP_1) | instskip(SKIP_1) | instid1(VALU_DEP_2)
	v_pk_fma_f32 v[100:101], v[44:45], v[42:43], v[98:99] op_sel_hi:[1,0,1]
	v_pk_fma_f32 v[42:43], v[44:45], v[42:43], v[98:99] neg_lo:[0,0,1] neg_hi:[0,0,1]
	v_mov_b32_e32 v43, v101
	s_delay_alu instid0(VALU_DEP_1)
	v_pk_add_f32 v[40:41], v[40:41], v[42:43] neg_lo:[0,1] neg_hi:[0,1]
.LBB150_917:                            ;   in Loop: Header=BB150_3 Depth=1
	s_or_b32 exec_lo, exec_lo, s11
	s_barrier_signal -1
	s_barrier_wait -1
	s_and_saveexec_b32 s11, s104
	s_cbranch_execz .LBB150_919
; %bb.918:                              ;   in Loop: Header=BB150_3 Depth=1
	ds_load_b64 v[42:43], v1 offset:2600
	s_wait_dscnt 0x0
	v_pk_mul_f32 v[44:45], v[40:41], v[42:43] op_sel:[1,1] op_sel_hi:[1,0]
	s_delay_alu instid0(VALU_DEP_1) | instskip(SKIP_1) | instid1(VALU_DEP_2)
	v_pk_fma_f32 v[98:99], v[40:41], v[42:43], v[44:45] op_sel_hi:[0,1,1]
	v_pk_fma_f32 v[40:41], v[40:41], v[42:43], v[44:45] neg_lo:[0,0,1] neg_hi:[0,0,1]
	v_mov_b32_e32 v41, v99
	s_delay_alu instid0(VALU_DEP_1)
	v_pk_add_f32 v[42:43], v[40:41], 0 neg_lo:[1,1] neg_hi:[1,1]
	ds_store_b64 v60, v[42:43]
.LBB150_919:                            ;   in Loop: Header=BB150_3 Depth=1
	s_or_b32 exec_lo, exec_lo, s11
	s_wait_dscnt 0x0
	s_barrier_signal -1
	s_barrier_wait -1
	s_and_saveexec_b32 s11, vcc_hi
	s_cbranch_execz .LBB150_921
; %bb.920:                              ;   in Loop: Header=BB150_3 Depth=1
	ds_load_b64 v[42:43], v61 offset:2560
	ds_load_b64 v[44:45], v60
	s_wait_dscnt 0x0
	v_pk_mul_f32 v[98:99], v[44:45], v[42:43] op_sel:[1,1] op_sel_hi:[0,1]
	s_delay_alu instid0(VALU_DEP_1) | instskip(SKIP_1) | instid1(VALU_DEP_2)
	v_pk_fma_f32 v[100:101], v[44:45], v[42:43], v[98:99] op_sel_hi:[1,0,1]
	v_pk_fma_f32 v[42:43], v[44:45], v[42:43], v[98:99] neg_lo:[0,0,1] neg_hi:[0,0,1]
	v_mov_b32_e32 v43, v101
	s_delay_alu instid0(VALU_DEP_1)
	v_pk_add_f32 v[40:41], v[40:41], v[42:43] neg_lo:[0,1] neg_hi:[0,1]
.LBB150_921:                            ;   in Loop: Header=BB150_3 Depth=1
	s_or_b32 exec_lo, exec_lo, s11
	s_barrier_signal -1
	s_barrier_wait -1
	s_and_saveexec_b32 s11, s15
	s_cbranch_execz .LBB150_923
; %bb.922:                              ;   in Loop: Header=BB150_3 Depth=1
	ds_load_b64 v[42:43], v1 offset:2080
	s_wait_dscnt 0x0
	v_pk_mul_f32 v[44:45], v[40:41], v[42:43]
	v_pk_mul_f32 v[40:41], v[40:41], v[42:43] op_sel:[1,0] op_sel_hi:[0,1]
	s_delay_alu instid0(VALU_DEP_1) | instskip(NEXT) | instid1(VALU_DEP_3)
	v_dual_mov_b32 v42, v44 :: v_dual_mov_b32 v43, v40
	v_mov_b32_e32 v40, v45
	s_delay_alu instid0(VALU_DEP_1) | instskip(SKIP_1) | instid1(VALU_DEP_2)
	v_pk_add_f32 v[44:45], v[42:43], v[40:41]
	v_pk_add_f32 v[40:41], v[42:43], v[40:41] neg_lo:[0,1] neg_hi:[0,1]
	v_mov_b32_e32 v41, v45
	s_delay_alu instid0(VALU_DEP_1)
	v_pk_add_f32 v[42:43], v[40:41], 0 neg_lo:[1,1] neg_hi:[1,1]
	ds_store_b64 v60, v[42:43]
.LBB150_923:                            ;   in Loop: Header=BB150_3 Depth=1
	s_or_b32 exec_lo, exec_lo, s11
	s_wait_dscnt 0x0
	s_barrier_signal -1
	s_barrier_wait -1
	s_and_saveexec_b32 s11, s40
	s_cbranch_execz .LBB150_925
; %bb.924:                              ;   in Loop: Header=BB150_3 Depth=1
	ds_load_b64 v[42:43], v61 offset:2048
	ds_load_b64 v[44:45], v60
	s_wait_dscnt 0x0
	v_dual_mul_f32 v0, v45, v43 :: v_dual_mul_f32 v43, v44, v43
	s_delay_alu instid0(VALU_DEP_1) | instskip(NEXT) | instid1(VALU_DEP_1)
	v_dual_fma_f32 v0, v44, v42, -v0 :: v_dual_fmac_f32 v43, v45, v42
	v_dual_sub_f32 v40, v40, v0 :: v_dual_sub_f32 v41, v41, v43
.LBB150_925:                            ;   in Loop: Header=BB150_3 Depth=1
	s_or_b32 exec_lo, exec_lo, s11
	s_barrier_signal -1
	s_barrier_wait -1
	s_and_saveexec_b32 s11, s41
	s_cbranch_execz .LBB150_927
; %bb.926:                              ;   in Loop: Header=BB150_3 Depth=1
	ds_load_b64 v[42:43], v1 offset:1560
	s_wait_dscnt 0x0
	v_dual_mul_f32 v0, v41, v42 :: v_dual_mul_f32 v44, v41, v43
	s_delay_alu instid0(VALU_DEP_1) | instskip(NEXT) | instid1(VALU_DEP_2)
	v_pk_fma_f32 v[98:99], v[40:41], v[42:43], v[0:1] op_sel:[1,0,0] op_sel_hi:[0,1,0]
	v_pk_fma_f32 v[40:41], v[40:41], v[42:43], v[44:45] op_sel_hi:[1,1,0] neg_lo:[0,0,1] neg_hi:[0,0,1]
	s_delay_alu instid0(VALU_DEP_2) | instskip(NEXT) | instid1(VALU_DEP_1)
	v_mov_b32_e32 v41, v99
	v_pk_add_f32 v[42:43], v[40:41], 0 neg_lo:[1,1] neg_hi:[1,1]
	ds_store_b64 v60, v[42:43]
.LBB150_927:                            ;   in Loop: Header=BB150_3 Depth=1
	s_or_b32 exec_lo, exec_lo, s11
	s_wait_dscnt 0x0
	s_barrier_signal -1
	s_barrier_wait -1
	s_and_saveexec_b32 s11, s42
	s_cbranch_execz .LBB150_929
; %bb.928:                              ;   in Loop: Header=BB150_3 Depth=1
	ds_load_b64 v[42:43], v61 offset:1536
	ds_load_b64 v[44:45], v60
	s_wait_dscnt 0x0
	v_pk_mul_f32 v[98:99], v[44:45], v[42:43] op_sel:[1,1] op_sel_hi:[0,1]
	s_delay_alu instid0(VALU_DEP_1) | instskip(SKIP_1) | instid1(VALU_DEP_2)
	v_pk_fma_f32 v[100:101], v[44:45], v[42:43], v[98:99] op_sel_hi:[1,0,1]
	v_pk_fma_f32 v[42:43], v[44:45], v[42:43], v[98:99] neg_lo:[0,0,1] neg_hi:[0,0,1]
	v_mov_b32_e32 v43, v101
	s_delay_alu instid0(VALU_DEP_1)
	v_pk_add_f32 v[40:41], v[40:41], v[42:43] neg_lo:[0,1] neg_hi:[0,1]
.LBB150_929:                            ;   in Loop: Header=BB150_3 Depth=1
	s_or_b32 exec_lo, exec_lo, s11
	s_barrier_signal -1
	s_barrier_wait -1
	s_and_saveexec_b32 s11, s43
	s_cbranch_execz .LBB150_931
; %bb.930:                              ;   in Loop: Header=BB150_3 Depth=1
	ds_load_b64 v[42:43], v1 offset:1040
	s_wait_dscnt 0x0
	v_pk_mul_f32 v[44:45], v[40:41], v[42:43] op_sel:[1,1] op_sel_hi:[1,0]
	s_delay_alu instid0(VALU_DEP_1) | instskip(SKIP_1) | instid1(VALU_DEP_2)
	v_pk_fma_f32 v[98:99], v[40:41], v[42:43], v[44:45] op_sel_hi:[0,1,1]
	v_pk_fma_f32 v[40:41], v[40:41], v[42:43], v[44:45] neg_lo:[0,0,1] neg_hi:[0,0,1]
	v_mov_b32_e32 v41, v99
	s_delay_alu instid0(VALU_DEP_1)
	v_pk_add_f32 v[42:43], v[40:41], 0 neg_lo:[1,1] neg_hi:[1,1]
	ds_store_b64 v60, v[42:43]
.LBB150_931:                            ;   in Loop: Header=BB150_3 Depth=1
	s_or_b32 exec_lo, exec_lo, s11
	s_wait_dscnt 0x0
	s_barrier_signal -1
	s_barrier_wait -1
	s_and_saveexec_b32 s11, s44
	s_cbranch_execz .LBB150_933
; %bb.932:                              ;   in Loop: Header=BB150_3 Depth=1
	ds_load_b64 v[42:43], v61 offset:1024
	ds_load_b64 v[44:45], v60
	s_wait_dscnt 0x0
	v_pk_mul_f32 v[98:99], v[44:45], v[42:43] op_sel:[1,1] op_sel_hi:[0,1]
	s_delay_alu instid0(VALU_DEP_1) | instskip(SKIP_1) | instid1(VALU_DEP_2)
	v_pk_fma_f32 v[100:101], v[44:45], v[42:43], v[98:99] op_sel_hi:[1,0,1]
	v_pk_fma_f32 v[42:43], v[44:45], v[42:43], v[98:99] neg_lo:[0,0,1] neg_hi:[0,0,1]
	v_mov_b32_e32 v43, v101
	s_delay_alu instid0(VALU_DEP_1)
	v_pk_add_f32 v[40:41], v[40:41], v[42:43] neg_lo:[0,1] neg_hi:[0,1]
.LBB150_933:                            ;   in Loop: Header=BB150_3 Depth=1
	s_or_b32 exec_lo, exec_lo, s11
	s_barrier_signal -1
	s_barrier_wait -1
	s_and_saveexec_b32 s11, s45
	s_cbranch_execz .LBB150_935
; %bb.934:                              ;   in Loop: Header=BB150_3 Depth=1
	ds_load_b64 v[42:43], v1 offset:520
	s_wait_dscnt 0x0
	v_pk_mul_f32 v[44:45], v[40:41], v[42:43] op_sel:[1,1] op_sel_hi:[1,0]
	s_delay_alu instid0(VALU_DEP_1) | instskip(SKIP_1) | instid1(VALU_DEP_2)
	v_pk_fma_f32 v[98:99], v[40:41], v[42:43], v[44:45] op_sel_hi:[0,1,1]
	v_pk_fma_f32 v[40:41], v[40:41], v[42:43], v[44:45] neg_lo:[0,0,1] neg_hi:[0,0,1]
	v_mov_b32_e32 v41, v99
	s_delay_alu instid0(VALU_DEP_1)
	v_pk_add_f32 v[42:43], v[40:41], 0 neg_lo:[1,1] neg_hi:[1,1]
	ds_store_b64 v60, v[42:43]
.LBB150_935:                            ;   in Loop: Header=BB150_3 Depth=1
	s_or_b32 exec_lo, exec_lo, s11
	s_wait_dscnt 0x0
	s_barrier_signal -1
	s_barrier_wait -1
	s_and_saveexec_b32 s11, s46
	s_cbranch_execz .LBB150_937
; %bb.936:                              ;   in Loop: Header=BB150_3 Depth=1
	ds_load_b64 v[42:43], v1 offset:512
	ds_load_b64 v[44:45], v60
	s_wait_dscnt 0x0
	v_pk_mul_f32 v[98:99], v[44:45], v[42:43] op_sel:[1,1] op_sel_hi:[0,1]
	s_delay_alu instid0(VALU_DEP_1) | instskip(SKIP_1) | instid1(VALU_DEP_2)
	v_pk_fma_f32 v[100:101], v[44:45], v[42:43], v[98:99] op_sel_hi:[1,0,1]
	v_pk_fma_f32 v[42:43], v[44:45], v[42:43], v[98:99] neg_lo:[0,0,1] neg_hi:[0,0,1]
	v_mov_b32_e32 v43, v101
	s_delay_alu instid0(VALU_DEP_1)
	v_pk_add_f32 v[40:41], v[40:41], v[42:43] neg_lo:[0,1] neg_hi:[0,1]
.LBB150_937:                            ;   in Loop: Header=BB150_3 Depth=1
	s_or_b32 exec_lo, exec_lo, s11
	s_barrier_signal -1
	s_barrier_wait -1
	s_and_saveexec_b32 s11, s46
	s_cbranch_execz .LBB150_939
; %bb.938:                              ;   in Loop: Header=BB150_3 Depth=1
	ds_load_b64 v[42:43], v1
	s_wait_dscnt 0x0
	v_pk_mul_f32 v[44:45], v[40:41], v[42:43] op_sel:[1,1] op_sel_hi:[1,0]
	s_delay_alu instid0(VALU_DEP_1) | instskip(SKIP_1) | instid1(VALU_DEP_2)
	v_pk_fma_f32 v[98:99], v[40:41], v[42:43], v[44:45] op_sel_hi:[0,1,1]
	v_pk_fma_f32 v[40:41], v[40:41], v[42:43], v[44:45] neg_lo:[0,0,1] neg_hi:[0,0,1]
	v_mov_b32_e32 v41, v99
	s_delay_alu instid0(VALU_DEP_1)
	v_pk_add_f32 v[42:43], v[40:41], 0 neg_lo:[1,1] neg_hi:[1,1]
	ds_store_b64 v60, v[42:43]
.LBB150_939:                            ;   in Loop: Header=BB150_3 Depth=1
	s_or_b32 exec_lo, exec_lo, s11
	s_wait_dscnt 0x0
	s_barrier_signal -1
	s_barrier_wait -1
	s_barrier_signal -1
	s_barrier_wait -1
	s_and_saveexec_b32 s11, s4
; %bb.940:                              ;   in Loop: Header=BB150_3 Depth=1
	ds_store_b64 v63, v[40:41] offset:7680
; %bb.941:                              ;   in Loop: Header=BB150_3 Depth=1
	s_or_b32 exec_lo, exec_lo, s11
	s_wait_dscnt 0x0
	s_barrier_signal -1
	s_barrier_wait -1
	s_barrier_signal -1
	s_barrier_wait -1
	s_and_saveexec_b32 s11, s47
	s_cbranch_execz .LBB150_943
; %bb.942:                              ;   in Loop: Header=BB150_3 Depth=1
	ds_load_b64 v[40:41], v75 offset:4096
	s_wait_dscnt 0x0
	ds_store_b64 v76, v[40:41] offset:64
	ds_load_b64 v[40:41], v75 offset:4104
	s_wait_dscnt 0x0
	ds_store_b64 v76, v[40:41] offset:576
	;; [unrolled: 3-line block ×8, first 2 shown]
.LBB150_943:                            ;   in Loop: Header=BB150_3 Depth=1
	s_or_b32 exec_lo, exec_lo, s11
	s_wait_dscnt 0x0
	s_barrier_signal -1
	s_barrier_wait -1
	s_and_saveexec_b32 s11, s14
	s_cbranch_execz .LBB150_945
; %bb.944:                              ;   in Loop: Header=BB150_3 Depth=1
	v_add_nc_u32_e64 v0, 48, 0
	ds_load_b64 v[44:45], v1 offset:3640
	ds_load_2addr_stride64_b64 v[40:43], v0 offset0:6 offset1:7
	s_wait_dscnt 0x0
	v_dual_mul_f32 v97, v45, v41 :: v_dual_mul_f32 v0, v44, v41
	s_delay_alu instid0(VALU_DEP_1) | instskip(NEXT) | instid1(VALU_DEP_1)
	v_xor_b32_e32 v98, 0x80000000, v97
	v_dual_fmac_f32 v0, v45, v40 :: v_dual_fmac_f32 v98, v44, v40
	s_delay_alu instid0(VALU_DEP_1) | instskip(SKIP_1) | instid1(VALU_DEP_2)
	v_pk_mul_f32 v[40:41], v[0:1], v[42:43] op_sel:[0,1] op_sel_hi:[0,0]
	v_add_nc_u32_e64 v0, 0x800, 0
	v_pk_fma_f32 v[44:45], v[98:99], v[42:43], v[40:41] op_sel_hi:[0,1,1]
	v_pk_fma_f32 v[40:41], v[98:99], v[42:43], v[40:41] neg_lo:[0,0,1] neg_hi:[0,0,1]
	s_delay_alu instid0(VALU_DEP_2)
	v_mov_b32_e32 v41, v45
	ds_store_2addr_b64 v0, v[40:41], v[40:41] offset0:135 offset1:198
.LBB150_945:                            ;   in Loop: Header=BB150_3 Depth=1
	s_or_b32 exec_lo, exec_lo, s11
	v_dual_mov_b32 v40, 0 :: v_dual_mov_b32 v41, 0
	s_wait_dscnt 0x0
	s_barrier_signal -1
	s_barrier_wait -1
	global_wb scope:SCOPE_DEV
	s_wait_storecnt 0x0
	global_inv scope:SCOPE_DEV
	s_and_saveexec_b32 s11, s1
	s_cbranch_execz .LBB150_949
; %bb.946:                              ;   in Loop: Header=BB150_3 Depth=1
	ds_load_b64 v[40:41], v48 offset:3104
	ds_load_b64 v[42:43], v49 offset:3632
	s_wait_dscnt 0x0
	v_pk_mul_f32 v[44:45], v[42:43], v[40:41] op_sel:[1,1] op_sel_hi:[0,1]
	s_delay_alu instid0(VALU_DEP_1) | instskip(SKIP_1) | instid1(VALU_DEP_2)
	v_pk_fma_f32 v[98:99], v[42:43], v[40:41], v[44:45] op_sel_hi:[1,0,1]
	v_pk_fma_f32 v[40:41], v[42:43], v[40:41], v[44:45] neg_lo:[0,0,1] neg_hi:[0,0,1]
	v_mov_b32_e32 v41, v99
	s_delay_alu instid0(VALU_DEP_1)
	v_pk_add_f32 v[40:41], v[40:41], 0 op_sel_hi:[1,0]
	s_and_saveexec_b32 s12, s17
	s_cbranch_execz .LBB150_948
; %bb.947:                              ;   in Loop: Header=BB150_3 Depth=1
	ds_load_b64 v[42:43], v76 offset:3616
	ds_load_b64 v[44:45], v1 offset:3640
	s_wait_dscnt 0x0
	v_pk_mul_f32 v[98:99], v[44:45], v[42:43] op_sel:[1,1] op_sel_hi:[0,1]
	s_delay_alu instid0(VALU_DEP_1) | instskip(SKIP_1) | instid1(VALU_DEP_2)
	v_pk_fma_f32 v[100:101], v[44:45], v[42:43], v[98:99] op_sel_hi:[1,0,1]
	v_pk_fma_f32 v[42:43], v[44:45], v[42:43], v[98:99] neg_lo:[0,0,1] neg_hi:[0,0,1]
	v_mov_b32_e32 v43, v101
	s_delay_alu instid0(VALU_DEP_1)
	v_pk_add_f32 v[40:41], v[40:41], v[42:43]
.LBB150_948:                            ;   in Loop: Header=BB150_3 Depth=1
	s_or_b32 exec_lo, exec_lo, s12
.LBB150_949:                            ;   in Loop: Header=BB150_3 Depth=1
	s_delay_alu instid0(SALU_CYCLE_1)
	s_or_b32 exec_lo, exec_lo, s11
	s_and_saveexec_b32 s11, s90
	s_cbranch_execz .LBB150_951
; %bb.950:                              ;   in Loop: Header=BB150_3 Depth=1
	ds_load_b64 v[42:43], v1 offset:2600
	s_wait_dscnt 0x0
	v_pk_mul_f32 v[44:45], v[40:41], v[42:43] op_sel:[1,1] op_sel_hi:[1,0]
	s_delay_alu instid0(VALU_DEP_1) | instskip(SKIP_1) | instid1(VALU_DEP_2)
	v_pk_fma_f32 v[98:99], v[40:41], v[42:43], v[44:45] op_sel_hi:[0,1,1]
	v_pk_fma_f32 v[40:41], v[40:41], v[42:43], v[44:45] neg_lo:[0,0,1] neg_hi:[0,0,1]
	v_mov_b32_e32 v41, v99
	s_delay_alu instid0(VALU_DEP_1)
	v_pk_add_f32 v[42:43], v[40:41], 0 neg_lo:[1,1] neg_hi:[1,1]
	ds_store_b64 v3, v[42:43]
.LBB150_951:                            ;   in Loop: Header=BB150_3 Depth=1
	s_or_b32 exec_lo, exec_lo, s11
	s_wait_loadcnt_dscnt 0x0
	s_barrier_signal -1
	s_barrier_wait -1
	s_and_saveexec_b32 s11, s91
	s_cbranch_execz .LBB150_953
; %bb.952:                              ;   in Loop: Header=BB150_3 Depth=1
	ds_load_b64 v[42:43], v1 offset:2592
	ds_load_b64 v[44:45], v3
	s_wait_dscnt 0x0
	v_pk_mul_f32 v[98:99], v[44:45], v[42:43] op_sel:[1,1] op_sel_hi:[0,1]
	s_delay_alu instid0(VALU_DEP_1) | instskip(SKIP_1) | instid1(VALU_DEP_2)
	v_pk_fma_f32 v[100:101], v[44:45], v[42:43], v[98:99] op_sel_hi:[1,0,1]
	v_pk_fma_f32 v[42:43], v[44:45], v[42:43], v[98:99] neg_lo:[0,0,1] neg_hi:[0,0,1]
	v_mov_b32_e32 v43, v101
	s_delay_alu instid0(VALU_DEP_1)
	v_pk_add_f32 v[40:41], v[40:41], v[42:43] neg_lo:[0,1] neg_hi:[0,1]
.LBB150_953:                            ;   in Loop: Header=BB150_3 Depth=1
	s_or_b32 exec_lo, exec_lo, s11
	s_barrier_signal -1
	s_barrier_wait -1
	s_and_saveexec_b32 s11, s91
	s_cbranch_execz .LBB150_955
; %bb.954:                              ;   in Loop: Header=BB150_3 Depth=1
	ds_load_b64 v[42:43], v1 offset:2080
	s_wait_dscnt 0x0
	v_pk_mul_f32 v[44:45], v[40:41], v[42:43] op_sel:[1,1] op_sel_hi:[1,0]
	s_delay_alu instid0(VALU_DEP_1) | instskip(SKIP_1) | instid1(VALU_DEP_2)
	v_pk_fma_f32 v[98:99], v[40:41], v[42:43], v[44:45] op_sel_hi:[0,1,1]
	v_pk_fma_f32 v[40:41], v[40:41], v[42:43], v[44:45] neg_lo:[0,0,1] neg_hi:[0,0,1]
	v_mov_b32_e32 v41, v99
	s_delay_alu instid0(VALU_DEP_1)
	v_pk_add_f32 v[42:43], v[40:41], 0 neg_lo:[1,1] neg_hi:[1,1]
	ds_store_b64 v3, v[42:43]
.LBB150_955:                            ;   in Loop: Header=BB150_3 Depth=1
	s_or_b32 exec_lo, exec_lo, s11
	s_wait_dscnt 0x0
	s_barrier_signal -1
	s_barrier_wait -1
	s_barrier_signal -1
	s_barrier_wait -1
	s_and_saveexec_b32 s11, s1
; %bb.956:                              ;   in Loop: Header=BB150_3 Depth=1
	ds_store_b64 v51, v[40:41] offset:3616
; %bb.957:                              ;   in Loop: Header=BB150_3 Depth=1
	s_or_b32 exec_lo, exec_lo, s11
	s_wait_dscnt 0x0
	s_barrier_signal -1
	s_barrier_wait -1
	s_barrier_signal -1
	s_barrier_wait -1
	s_and_saveexec_b32 s11, s92
	s_cbranch_execz .LBB150_959
; %bb.958:                              ;   in Loop: Header=BB150_3 Depth=1
	ds_load_b64 v[40:41], v77 offset:3104
	s_wait_dscnt 0x0
	ds_store_b64 v76, v[40:41] offset:2096
	ds_load_b64 v[40:41], v77 offset:3112
	s_wait_dscnt 0x0
	ds_store_b64 v76, v[40:41] offset:2608
.LBB150_959:                            ;   in Loop: Header=BB150_3 Depth=1
	s_or_b32 exec_lo, exec_lo, s11
	s_wait_dscnt 0x0
	s_barrier_signal -1
	s_barrier_wait -1
	s_and_saveexec_b32 s11, s14
	s_cbranch_execz .LBB150_961
; %bb.960:                              ;   in Loop: Header=BB150_3 Depth=1
	v_add_nc_u32_e64 v0, 32, 0
	ds_load_b64 v[44:45], v1 offset:2600
	ds_load_2addr_stride64_b64 v[40:43], v0 offset0:4 offset1:5
	s_wait_dscnt 0x0
	v_dual_mul_f32 v97, v45, v41 :: v_dual_mul_f32 v0, v44, v41
	s_delay_alu instid0(VALU_DEP_1) | instskip(NEXT) | instid1(VALU_DEP_1)
	v_xor_b32_e32 v98, 0x80000000, v97
	v_dual_fmac_f32 v0, v45, v40 :: v_dual_fmac_f32 v98, v44, v40
	s_delay_alu instid0(VALU_DEP_1) | instskip(SKIP_1) | instid1(VALU_DEP_2)
	v_pk_mul_f32 v[40:41], v[0:1], v[42:43] op_sel:[0,1] op_sel_hi:[0,0]
	v_add_nc_u32_e64 v0, 0x800, 0
	v_pk_fma_f32 v[44:45], v[98:99], v[42:43], v[40:41] op_sel_hi:[0,1,1]
	v_pk_fma_f32 v[40:41], v[98:99], v[42:43], v[40:41] neg_lo:[0,0,1] neg_hi:[0,0,1]
	s_delay_alu instid0(VALU_DEP_2)
	v_mov_b32_e32 v41, v45
	ds_store_2addr_b64 v0, v[40:41], v[40:41] offset0:5 offset1:68
.LBB150_961:                            ;   in Loop: Header=BB150_3 Depth=1
	s_or_b32 exec_lo, exec_lo, s11
	v_mov_b64_e32 v[40:41], 0
	s_wait_dscnt 0x0
	s_barrier_signal -1
	s_barrier_wait -1
	global_wb scope:SCOPE_DEV
	s_wait_storecnt 0x0
	global_inv scope:SCOPE_DEV
	s_and_saveexec_b32 s11, s3
	s_cbranch_execz .LBB150_967
; %bb.962:                              ;   in Loop: Header=BB150_3 Depth=1
	ds_load_b64 v[40:41], v54 offset:2048
	ds_load_b64 v[42:43], v55 offset:3616
	s_wait_dscnt 0x0
	v_dual_mul_f32 v0, v43, v41 :: v_dual_mul_f32 v41, v42, v41
	s_delay_alu instid0(VALU_DEP_1) | instskip(NEXT) | instid1(VALU_DEP_1)
	v_dual_fma_f32 v0, v42, v40, -v0 :: v_dual_fmac_f32 v41, v43, v40
	v_dual_add_f32 v40, 0, v0 :: v_dual_add_f32 v41, 0, v41
	s_and_saveexec_b32 s12, s18
	s_cbranch_execnz .LBB150_1172
; %bb.963:                              ;   in Loop: Header=BB150_3 Depth=1
	s_or_b32 exec_lo, exec_lo, s12
	s_and_saveexec_b32 s12, s19
	s_cbranch_execnz .LBB150_1173
.LBB150_964:                            ;   in Loop: Header=BB150_3 Depth=1
	s_or_b32 exec_lo, exec_lo, s12
	s_and_saveexec_b32 s12, s1
	s_cbranch_execz .LBB150_966
.LBB150_965:                            ;   in Loop: Header=BB150_3 Depth=1
	ds_load_b64 v[42:43], v79 offset:3584
	ds_load_b64 v[44:45], v1 offset:3640
	s_wait_dscnt 0x0
	v_dual_mul_f32 v0, v45, v43 :: v_dual_mul_f32 v43, v44, v43
	s_delay_alu instid0(VALU_DEP_1) | instskip(NEXT) | instid1(VALU_DEP_1)
	v_dual_fma_f32 v0, v44, v42, -v0 :: v_dual_fmac_f32 v43, v45, v42
	v_dual_add_f32 v40, v40, v0 :: v_dual_add_f32 v41, v41, v43
.LBB150_966:                            ;   in Loop: Header=BB150_3 Depth=1
	s_or_b32 exec_lo, exec_lo, s12
.LBB150_967:                            ;   in Loop: Header=BB150_3 Depth=1
	s_delay_alu instid0(SALU_CYCLE_1)
	s_or_b32 exec_lo, exec_lo, s11
	s_and_saveexec_b32 s11, s93
	s_cbranch_execz .LBB150_969
; %bb.968:                              ;   in Loop: Header=BB150_3 Depth=1
	ds_load_b64 v[42:43], v1 offset:1560
	s_wait_dscnt 0x0
	v_dual_mul_f32 v0, v41, v42 :: v_dual_mul_f32 v44, v41, v43
	s_delay_alu instid0(VALU_DEP_1) | instskip(NEXT) | instid1(VALU_DEP_2)
	v_pk_fma_f32 v[98:99], v[40:41], v[42:43], v[0:1] op_sel:[1,0,0] op_sel_hi:[0,1,0]
	v_pk_fma_f32 v[40:41], v[40:41], v[42:43], v[44:45] op_sel_hi:[1,1,0] neg_lo:[0,0,1] neg_hi:[0,0,1]
	s_delay_alu instid0(VALU_DEP_2) | instskip(NEXT) | instid1(VALU_DEP_1)
	v_mov_b32_e32 v41, v99
	v_pk_add_f32 v[42:43], v[40:41], 0 neg_lo:[1,1] neg_hi:[1,1]
	ds_store_b64 v53, v[42:43]
.LBB150_969:                            ;   in Loop: Header=BB150_3 Depth=1
	s_or_b32 exec_lo, exec_lo, s11
	s_wait_loadcnt_dscnt 0x0
	s_barrier_signal -1
	s_barrier_wait -1
	s_and_saveexec_b32 s11, s94
	s_cbranch_execz .LBB150_971
; %bb.970:                              ;   in Loop: Header=BB150_3 Depth=1
	ds_load_b64 v[42:43], v54 offset:1536
	ds_load_b64 v[44:45], v53
	s_wait_dscnt 0x0
	v_pk_mul_f32 v[98:99], v[44:45], v[42:43] op_sel:[1,1] op_sel_hi:[0,1]
	s_delay_alu instid0(VALU_DEP_1) | instskip(SKIP_1) | instid1(VALU_DEP_2)
	v_pk_fma_f32 v[100:101], v[44:45], v[42:43], v[98:99] op_sel_hi:[1,0,1]
	v_pk_fma_f32 v[42:43], v[44:45], v[42:43], v[98:99] neg_lo:[0,0,1] neg_hi:[0,0,1]
	v_mov_b32_e32 v43, v101
	s_delay_alu instid0(VALU_DEP_1)
	v_pk_add_f32 v[40:41], v[40:41], v[42:43] neg_lo:[0,1] neg_hi:[0,1]
.LBB150_971:                            ;   in Loop: Header=BB150_3 Depth=1
	s_or_b32 exec_lo, exec_lo, s11
	s_barrier_signal -1
	s_barrier_wait -1
	s_and_saveexec_b32 s11, s95
	s_cbranch_execz .LBB150_973
; %bb.972:                              ;   in Loop: Header=BB150_3 Depth=1
	ds_load_b64 v[42:43], v1 offset:1040
	s_wait_dscnt 0x0
	v_pk_mul_f32 v[44:45], v[40:41], v[42:43] op_sel:[1,1] op_sel_hi:[1,0]
	s_delay_alu instid0(VALU_DEP_1) | instskip(SKIP_1) | instid1(VALU_DEP_2)
	v_pk_fma_f32 v[98:99], v[40:41], v[42:43], v[44:45] op_sel_hi:[0,1,1]
	v_pk_fma_f32 v[40:41], v[40:41], v[42:43], v[44:45] neg_lo:[0,0,1] neg_hi:[0,0,1]
	v_mov_b32_e32 v41, v99
	s_delay_alu instid0(VALU_DEP_1)
	v_pk_add_f32 v[42:43], v[40:41], 0 neg_lo:[1,1] neg_hi:[1,1]
	ds_store_b64 v53, v[42:43]
.LBB150_973:                            ;   in Loop: Header=BB150_3 Depth=1
	s_or_b32 exec_lo, exec_lo, s11
	s_wait_dscnt 0x0
	s_barrier_signal -1
	s_barrier_wait -1
	s_and_saveexec_b32 s11, s96
	s_cbranch_execz .LBB150_975
; %bb.974:                              ;   in Loop: Header=BB150_3 Depth=1
	ds_load_b64 v[42:43], v54 offset:1024
	ds_load_b64 v[44:45], v53
	s_wait_dscnt 0x0
	v_pk_mul_f32 v[98:99], v[44:45], v[42:43] op_sel:[1,1] op_sel_hi:[0,1]
	s_delay_alu instid0(VALU_DEP_1) | instskip(SKIP_1) | instid1(VALU_DEP_2)
	v_pk_fma_f32 v[100:101], v[44:45], v[42:43], v[98:99] op_sel_hi:[1,0,1]
	v_pk_fma_f32 v[42:43], v[44:45], v[42:43], v[98:99] neg_lo:[0,0,1] neg_hi:[0,0,1]
	v_mov_b32_e32 v43, v101
	s_delay_alu instid0(VALU_DEP_1)
	v_pk_add_f32 v[40:41], v[40:41], v[42:43] neg_lo:[0,1] neg_hi:[0,1]
.LBB150_975:                            ;   in Loop: Header=BB150_3 Depth=1
	s_or_b32 exec_lo, exec_lo, s11
	s_barrier_signal -1
	s_barrier_wait -1
	s_and_saveexec_b32 s11, s97
	s_cbranch_execz .LBB150_977
; %bb.976:                              ;   in Loop: Header=BB150_3 Depth=1
	ds_load_b64 v[42:43], v1 offset:520
	s_wait_dscnt 0x0
	v_pk_mul_f32 v[44:45], v[40:41], v[42:43] op_sel:[1,1] op_sel_hi:[1,0]
	s_delay_alu instid0(VALU_DEP_1) | instskip(SKIP_1) | instid1(VALU_DEP_2)
	v_pk_fma_f32 v[98:99], v[40:41], v[42:43], v[44:45] op_sel_hi:[0,1,1]
	v_pk_fma_f32 v[40:41], v[40:41], v[42:43], v[44:45] neg_lo:[0,0,1] neg_hi:[0,0,1]
	v_mov_b32_e32 v41, v99
	s_delay_alu instid0(VALU_DEP_1)
	v_pk_add_f32 v[42:43], v[40:41], 0 neg_lo:[1,1] neg_hi:[1,1]
	ds_store_b64 v53, v[42:43]
.LBB150_977:                            ;   in Loop: Header=BB150_3 Depth=1
	s_or_b32 exec_lo, exec_lo, s11
	s_wait_dscnt 0x0
	s_barrier_signal -1
	s_barrier_wait -1
	s_and_saveexec_b32 s11, s98
	s_cbranch_execz .LBB150_979
; %bb.978:                              ;   in Loop: Header=BB150_3 Depth=1
	ds_load_b64 v[42:43], v1 offset:512
	ds_load_b64 v[44:45], v53
	s_wait_dscnt 0x0
	v_pk_mul_f32 v[98:99], v[44:45], v[42:43] op_sel:[1,1] op_sel_hi:[0,1]
	s_delay_alu instid0(VALU_DEP_1) | instskip(SKIP_1) | instid1(VALU_DEP_2)
	v_pk_fma_f32 v[100:101], v[44:45], v[42:43], v[98:99] op_sel_hi:[1,0,1]
	v_pk_fma_f32 v[42:43], v[44:45], v[42:43], v[98:99] neg_lo:[0,0,1] neg_hi:[0,0,1]
	v_mov_b32_e32 v43, v101
	s_delay_alu instid0(VALU_DEP_1)
	v_pk_add_f32 v[40:41], v[40:41], v[42:43] neg_lo:[0,1] neg_hi:[0,1]
.LBB150_979:                            ;   in Loop: Header=BB150_3 Depth=1
	s_or_b32 exec_lo, exec_lo, s11
	s_barrier_signal -1
	s_barrier_wait -1
	s_and_saveexec_b32 s11, s98
	s_cbranch_execz .LBB150_981
; %bb.980:                              ;   in Loop: Header=BB150_3 Depth=1
	ds_load_b64 v[42:43], v1
	s_wait_dscnt 0x0
	v_pk_mul_f32 v[44:45], v[40:41], v[42:43] op_sel:[1,1] op_sel_hi:[1,0]
	s_delay_alu instid0(VALU_DEP_1) | instskip(SKIP_1) | instid1(VALU_DEP_2)
	v_pk_fma_f32 v[98:99], v[40:41], v[42:43], v[44:45] op_sel_hi:[0,1,1]
	v_pk_fma_f32 v[40:41], v[40:41], v[42:43], v[44:45] neg_lo:[0,0,1] neg_hi:[0,0,1]
	v_mov_b32_e32 v41, v99
	s_delay_alu instid0(VALU_DEP_1)
	v_pk_add_f32 v[42:43], v[40:41], 0 neg_lo:[1,1] neg_hi:[1,1]
	ds_store_b64 v53, v[42:43]
.LBB150_981:                            ;   in Loop: Header=BB150_3 Depth=1
	s_or_b32 exec_lo, exec_lo, s11
	s_wait_dscnt 0x0
	s_barrier_signal -1
	s_barrier_wait -1
	s_barrier_signal -1
	s_barrier_wait -1
	s_and_saveexec_b32 s11, s3
; %bb.982:                              ;   in Loop: Header=BB150_3 Depth=1
	ds_store_b64 v58, v[40:41] offset:3584
; %bb.983:                              ;   in Loop: Header=BB150_3 Depth=1
	s_or_b32 exec_lo, exec_lo, s11
	s_wait_dscnt 0x0
	s_barrier_signal -1
	s_barrier_wait -1
	s_barrier_signal -1
	s_barrier_wait -1
	s_and_saveexec_b32 s11, s99
	s_cbranch_execz .LBB150_985
; %bb.984:                              ;   in Loop: Header=BB150_3 Depth=1
	ds_load_b64 v[40:41], v80 offset:2048
	s_wait_dscnt 0x0
	ds_store_b64 v83, v[40:41] offset:32
	ds_load_b64 v[40:41], v80 offset:2056
	s_wait_dscnt 0x0
	ds_store_b64 v83, v[40:41] offset:544
	;; [unrolled: 3-line block ×4, first 2 shown]
.LBB150_985:                            ;   in Loop: Header=BB150_3 Depth=1
	s_or_b32 exec_lo, exec_lo, s11
	s_wait_dscnt 0x0
	s_barrier_signal -1
	s_barrier_wait -1
	s_and_saveexec_b32 s11, s14
	s_cbranch_execz .LBB150_987
; %bb.986:                              ;   in Loop: Header=BB150_3 Depth=1
	ds_load_2addr_b64 v[40:43], v1 offset0:130 offset1:194
	ds_load_b64 v[44:45], v1 offset:1560
	s_wait_dscnt 0x0
	v_dual_mul_f32 v97, v45, v41 :: v_dual_mul_f32 v0, v44, v41
	s_delay_alu instid0(VALU_DEP_1) | instskip(NEXT) | instid1(VALU_DEP_1)
	v_xor_b32_e32 v98, 0x80000000, v97
	v_dual_fmac_f32 v0, v45, v40 :: v_dual_fmac_f32 v98, v44, v40
	s_delay_alu instid0(VALU_DEP_1) | instskip(NEXT) | instid1(VALU_DEP_1)
	v_pk_mul_f32 v[40:41], v[0:1], v[42:43] op_sel:[0,1] op_sel_hi:[0,0]
	v_pk_fma_f32 v[44:45], v[98:99], v[42:43], v[40:41] op_sel_hi:[0,1,1]
	v_pk_fma_f32 v[40:41], v[98:99], v[42:43], v[40:41] neg_lo:[0,0,1] neg_hi:[0,0,1]
	s_delay_alu instid0(VALU_DEP_2)
	v_mov_b32_e32 v41, v45
	ds_store_2addr_b64 v1, v[40:41], v[40:41] offset0:131 offset1:194
.LBB150_987:                            ;   in Loop: Header=BB150_3 Depth=1
	s_or_b32 exec_lo, exec_lo, s11
	v_dual_mov_b32 v40, 0 :: v_dual_mov_b32 v41, 0
	s_wait_dscnt 0x0
	s_barrier_signal -1
	s_barrier_wait -1
	global_wb scope:SCOPE_DEV
	s_wait_storecnt 0x0
	global_inv scope:SCOPE_DEV
	s_and_saveexec_b32 s11, s1
	s_cbranch_execz .LBB150_991
; %bb.988:                              ;   in Loop: Header=BB150_3 Depth=1
	ds_load_b64 v[40:41], v48 offset:1024
	ds_load_b64 v[42:43], v49 offset:1552
	s_wait_dscnt 0x0
	v_pk_mul_f32 v[44:45], v[42:43], v[40:41] op_sel:[1,1] op_sel_hi:[0,1]
	s_delay_alu instid0(VALU_DEP_1) | instskip(SKIP_1) | instid1(VALU_DEP_2)
	v_pk_fma_f32 v[98:99], v[42:43], v[40:41], v[44:45] op_sel_hi:[1,0,1]
	v_pk_fma_f32 v[40:41], v[42:43], v[40:41], v[44:45] neg_lo:[0,0,1] neg_hi:[0,0,1]
	v_mov_b32_e32 v41, v99
	s_delay_alu instid0(VALU_DEP_1)
	v_pk_add_f32 v[40:41], v[40:41], 0 op_sel_hi:[1,0]
	s_and_saveexec_b32 s12, s17
	s_cbranch_execz .LBB150_990
; %bb.989:                              ;   in Loop: Header=BB150_3 Depth=1
	ds_load_b64 v[42:43], v83 offset:1536
	ds_load_b64 v[44:45], v1 offset:1560
	s_wait_dscnt 0x0
	v_pk_mul_f32 v[98:99], v[44:45], v[42:43] op_sel:[1,1] op_sel_hi:[0,1]
	s_delay_alu instid0(VALU_DEP_1) | instskip(SKIP_1) | instid1(VALU_DEP_2)
	v_pk_fma_f32 v[100:101], v[44:45], v[42:43], v[98:99] op_sel_hi:[1,0,1]
	v_pk_fma_f32 v[42:43], v[44:45], v[42:43], v[98:99] neg_lo:[0,0,1] neg_hi:[0,0,1]
	v_mov_b32_e32 v43, v101
	s_delay_alu instid0(VALU_DEP_1)
	v_pk_add_f32 v[40:41], v[40:41], v[42:43]
.LBB150_990:                            ;   in Loop: Header=BB150_3 Depth=1
	s_or_b32 exec_lo, exec_lo, s12
.LBB150_991:                            ;   in Loop: Header=BB150_3 Depth=1
	s_delay_alu instid0(SALU_CYCLE_1)
	s_or_b32 exec_lo, exec_lo, s11
	s_and_saveexec_b32 s11, s90
	s_cbranch_execz .LBB150_993
; %bb.992:                              ;   in Loop: Header=BB150_3 Depth=1
	ds_load_b64 v[42:43], v1 offset:520
	s_wait_dscnt 0x0
	v_pk_mul_f32 v[44:45], v[40:41], v[42:43] op_sel:[1,1] op_sel_hi:[1,0]
	s_delay_alu instid0(VALU_DEP_1) | instskip(SKIP_1) | instid1(VALU_DEP_2)
	v_pk_fma_f32 v[98:99], v[40:41], v[42:43], v[44:45] op_sel_hi:[0,1,1]
	v_pk_fma_f32 v[40:41], v[40:41], v[42:43], v[44:45] neg_lo:[0,0,1] neg_hi:[0,0,1]
	v_mov_b32_e32 v41, v99
	s_delay_alu instid0(VALU_DEP_1)
	v_pk_add_f32 v[42:43], v[40:41], 0 neg_lo:[1,1] neg_hi:[1,1]
	ds_store_b64 v3, v[42:43]
.LBB150_993:                            ;   in Loop: Header=BB150_3 Depth=1
	s_or_b32 exec_lo, exec_lo, s11
	s_wait_loadcnt_dscnt 0x0
	s_barrier_signal -1
	s_barrier_wait -1
	s_and_saveexec_b32 s11, s91
	s_cbranch_execz .LBB150_995
; %bb.994:                              ;   in Loop: Header=BB150_3 Depth=1
	ds_load_b64 v[42:43], v1 offset:512
	ds_load_b64 v[44:45], v3
	s_wait_dscnt 0x0
	v_pk_mul_f32 v[98:99], v[44:45], v[42:43] op_sel:[1,1] op_sel_hi:[0,1]
	s_delay_alu instid0(VALU_DEP_1) | instskip(SKIP_1) | instid1(VALU_DEP_2)
	v_pk_fma_f32 v[100:101], v[44:45], v[42:43], v[98:99] op_sel_hi:[1,0,1]
	v_pk_fma_f32 v[42:43], v[44:45], v[42:43], v[98:99] neg_lo:[0,0,1] neg_hi:[0,0,1]
	v_mov_b32_e32 v43, v101
	s_delay_alu instid0(VALU_DEP_1)
	v_pk_add_f32 v[40:41], v[40:41], v[42:43] neg_lo:[0,1] neg_hi:[0,1]
.LBB150_995:                            ;   in Loop: Header=BB150_3 Depth=1
	s_or_b32 exec_lo, exec_lo, s11
	s_barrier_signal -1
	s_barrier_wait -1
	s_and_saveexec_b32 s11, s91
	s_cbranch_execz .LBB150_997
; %bb.996:                              ;   in Loop: Header=BB150_3 Depth=1
	ds_load_b64 v[42:43], v1
	s_wait_dscnt 0x0
	v_pk_mul_f32 v[44:45], v[40:41], v[42:43] op_sel:[1,1] op_sel_hi:[1,0]
	s_delay_alu instid0(VALU_DEP_1) | instskip(SKIP_1) | instid1(VALU_DEP_2)
	v_pk_fma_f32 v[98:99], v[40:41], v[42:43], v[44:45] op_sel_hi:[0,1,1]
	v_pk_fma_f32 v[40:41], v[40:41], v[42:43], v[44:45] neg_lo:[0,0,1] neg_hi:[0,0,1]
	v_mov_b32_e32 v41, v99
	s_delay_alu instid0(VALU_DEP_1)
	v_pk_add_f32 v[42:43], v[40:41], 0 neg_lo:[1,1] neg_hi:[1,1]
	ds_store_b64 v3, v[42:43]
.LBB150_997:                            ;   in Loop: Header=BB150_3 Depth=1
	s_or_b32 exec_lo, exec_lo, s11
	s_wait_dscnt 0x0
	s_barrier_signal -1
	s_barrier_wait -1
	s_barrier_signal -1
	s_barrier_wait -1
	s_and_saveexec_b32 s11, s1
; %bb.998:                              ;   in Loop: Header=BB150_3 Depth=1
	ds_store_b64 v51, v[40:41] offset:1536
; %bb.999:                              ;   in Loop: Header=BB150_3 Depth=1
	s_or_b32 exec_lo, exec_lo, s11
	s_wait_dscnt 0x0
	s_barrier_signal -1
	s_barrier_wait -1
	s_barrier_signal -1
	s_barrier_wait -1
	s_and_saveexec_b32 s11, s92
	s_cbranch_execz .LBB150_1001
; %bb.1000:                             ;   in Loop: Header=BB150_3 Depth=1
	ds_load_b64 v[40:41], v85 offset:1024
	s_wait_dscnt 0x0
	ds_store_b64 v83, v[40:41] offset:16
	ds_load_b64 v[40:41], v85 offset:1032
	s_wait_dscnt 0x0
	ds_store_b64 v83, v[40:41] offset:528
.LBB150_1001:                           ;   in Loop: Header=BB150_3 Depth=1
	s_or_b32 exec_lo, exec_lo, s11
	s_wait_dscnt 0x0
	s_barrier_signal -1
	s_barrier_wait -1
	s_and_saveexec_b32 s11, s14
	s_cbranch_execz .LBB150_1003
; %bb.1002:                             ;   in Loop: Header=BB150_3 Depth=1
	ds_load_2addr_stride64_b64 v[40:43], v1 offset1:1
	ds_load_b64 v[44:45], v1 offset:520
	s_wait_dscnt 0x0
	v_dual_mul_f32 v97, v45, v41 :: v_dual_mul_f32 v0, v44, v41
	s_delay_alu instid0(VALU_DEP_1) | instskip(NEXT) | instid1(VALU_DEP_1)
	v_xor_b32_e32 v98, 0x80000000, v97
	v_dual_fmac_f32 v0, v45, v40 :: v_dual_fmac_f32 v98, v44, v40
	s_delay_alu instid0(VALU_DEP_1) | instskip(NEXT) | instid1(VALU_DEP_1)
	v_pk_mul_f32 v[40:41], v[0:1], v[42:43] op_sel:[0,1] op_sel_hi:[0,0]
	v_pk_fma_f32 v[44:45], v[98:99], v[42:43], v[40:41] op_sel_hi:[0,1,1]
	v_pk_fma_f32 v[40:41], v[98:99], v[42:43], v[40:41] neg_lo:[0,0,1] neg_hi:[0,0,1]
	s_delay_alu instid0(VALU_DEP_2)
	v_mov_b32_e32 v41, v45
	ds_store_2addr_b64 v1, v[40:41], v[40:41] offset0:1 offset1:64
.LBB150_1003:                           ;   in Loop: Header=BB150_3 Depth=1
	s_or_b32 exec_lo, exec_lo, s11
.LBB150_1004:                           ;   in Loop: Header=BB150_3 Depth=1
	v_add_nc_u64_e32 v[38:39], s[72:73], v[38:39]
	v_mov_b64_e32 v[40:41], 0
	s_wait_dscnt 0x0
	s_barrier_signal -1
	s_barrier_wait -1
	s_wait_xcnt 0x0
	s_and_saveexec_b32 s11, s51
	s_cbranch_execz .LBB150_1006
; %bb.1005:                             ;   in Loop: Header=BB150_3 Depth=1
	v_lshl_add_u64 v[40:41], v[10:11], 3, v[38:39]
	flat_load_b64 v[40:41], v[40:41]
	s_wait_loadcnt_dscnt 0x0
	v_pk_mul_f32 v[42:43], v[36:37], v[40:41] op_sel:[1,0] neg_lo:[1,0]
	s_delay_alu instid0(VALU_DEP_1)
	v_pk_fma_f32 v[40:41], v[36:37], v[40:41], v[42:43] op_sel:[0,0,1] op_sel_hi:[0,1,0] neg_lo:[1,0,0] neg_hi:[1,0,0]
.LBB150_1006:                           ;   in Loop: Header=BB150_3 Depth=1
	s_or_b32 exec_lo, exec_lo, s11
	s_delay_alu instid0(SALU_CYCLE_1)
	s_and_not1_b32 vcc_lo, exec_lo, s52
	s_cbranch_vccnz .LBB150_1041
; %bb.1007:                             ;   in Loop: Header=BB150_3 Depth=1
	v_mov_b32_e32 v45, -1
	s_lshl_b64 s[82:83], s[66:67], 2
	s_mov_b32 s11, 0
	s_add_nc_u64 s[82:83], s[80:81], s[82:83]
	s_branch .LBB150_1010
.LBB150_1008:                           ;   in Loop: Header=BB150_1010 Depth=2
	s_wait_xcnt 0x0
	ds_load_b64 v[36:37], v86 offset:384
	s_wait_loadcnt_dscnt 0x0
	v_pk_mul_f32 v[42:43], v[42:43], v[36:37] op_sel:[0,1] op_sel_hi:[0,0]
	s_delay_alu instid0(VALU_DEP_1) | instskip(SKIP_1) | instid1(VALU_DEP_2)
	v_pk_fma_f32 v[98:99], v[0:1], v[36:37], v[42:43] op_sel_hi:[0,1,1] neg_lo:[0,0,1] neg_hi:[0,0,1]
	v_pk_fma_f32 v[36:37], v[0:1], v[36:37], v[42:43]
	v_mov_b32_e32 v37, v99
	s_delay_alu instid0(VALU_DEP_1)
	v_pk_add_f32 v[40:41], v[40:41], v[36:37]
.LBB150_1009:                           ;   in Loop: Header=BB150_1010 Depth=2
	s_or_b32 exec_lo, exec_lo, s65
	s_add_co_i32 s11, s11, 1
	s_delay_alu instid0(SALU_CYCLE_1)
	s_cmp_eq_u32 s11, s86
	s_cbranch_scc1 .LBB150_1041
.LBB150_1010:                           ;   Parent Loop BB150_3 Depth=1
                                        ; =>  This Loop Header: Depth=2
                                        ;       Child Loop BB150_1012 Depth 3
	v_cmp_gt_i32_e32 vcc_lo, s11, v45
	s_and_b32 s65, s38, vcc_lo
	s_delay_alu instid0(SALU_CYCLE_1)
	s_and_saveexec_b32 s12, s65
	s_cbranch_execz .LBB150_1013
; %bb.1011:                             ;   in Loop: Header=BB150_1010 Depth=2
	global_load_b32 v45, v1, s[82:83]
	s_wait_loadcnt 0x0
	v_cmp_le_i32_e32 vcc_lo, s11, v45
	s_cbranch_vccnz .LBB150_1013
.LBB150_1012:                           ;   Parent Loop BB150_3 Depth=1
                                        ;     Parent Loop BB150_1010 Depth=2
                                        ; =>    This Inner Loop Header: Depth=3
	global_wb scope:SCOPE_DEV
	s_wait_storecnt 0x0
	global_inv scope:SCOPE_DEV
	global_load_b32 v45, v1, s[82:83]
	s_wait_loadcnt 0x0
	v_cmp_gt_i32_e32 vcc_lo, s11, v45
	s_cbranch_vccnz .LBB150_1012
.LBB150_1013:                           ;   in Loop: Header=BB150_1010 Depth=2
	s_or_b32 exec_lo, exec_lo, s12
	s_lshl_b32 s65, s11, 6
	global_wb scope:SCOPE_DEV
	s_wait_storecnt 0x0
	global_inv scope:SCOPE_DEV
	s_wait_loadcnt 0x0
	s_barrier_signal -1
	s_barrier_wait -1
	s_and_saveexec_b32 s12, s39
	s_cbranch_execz .LBB150_1018
; %bb.1014:                             ;   in Loop: Header=BB150_1010 Depth=2
	v_or_b32_e32 v0, s65, v4
	s_delay_alu instid0(VALU_DEP_1) | instskip(SKIP_1) | instid1(SALU_CYCLE_1)
	v_cmp_le_i32_e32 vcc_lo, s85, v0
	s_and_saveexec_b32 s13, vcc_lo
	s_xor_b32 vcc_lo, exec_lo, s13
; %bb.1015:                             ;   in Loop: Header=BB150_1010 Depth=2
	ds_store_b64 v88, v[24:25]
; %bb.1016:                             ;   in Loop: Header=BB150_1010 Depth=2
	s_and_not1_saveexec_b32 s13, vcc_lo
	s_cbranch_execz .LBB150_1018
; %bb.1017:                             ;   in Loop: Header=BB150_1010 Depth=2
	v_mul_u64_e32 v[36:37], s[74:75], v[0:1]
	s_delay_alu instid0(VALU_DEP_1)
	v_lshl_add_u64 v[36:37], v[36:37], 3, v[38:39]
	flat_load_b64 v[36:37], v[36:37]
	s_wait_loadcnt_dscnt 0x0
	ds_store_b64 v88, v[36:37]
.LBB150_1018:                           ;   in Loop: Header=BB150_1010 Depth=2
	s_or_b32 exec_lo, exec_lo, s12
	v_add_nc_u32_e32 v0, s65, v46
	v_cmp_ne_u32_e32 vcc_lo, s11, v47
	s_wait_dscnt 0x0
	s_barrier_signal -1
	s_barrier_wait -1
	v_cmp_gt_i32_e64 s65, s85, v0
	v_lshl_add_u64 v[36:37], v[0:1], 3, v[34:35]
	v_cndmask_b32_e64 v97, 0, 1, vcc_lo
	s_and_b32 s12, s65, s0
	s_delay_alu instid0(SALU_CYCLE_1)
	s_and_saveexec_b32 s65, s12
	s_cbranch_execz .LBB150_1024
; %bb.1019:                             ;   in Loop: Header=BB150_1010 Depth=2
	v_mov_b32_e32 v42, v26
	s_and_not1_b32 vcc_lo, exec_lo, vcc_lo
	s_cbranch_vccnz .LBB150_1021
; %bb.1020:                             ;   in Loop: Header=BB150_1010 Depth=2
	flat_load_b32 v42, v[36:37]
.LBB150_1021:                           ;   in Loop: Header=BB150_1010 Depth=2
	v_cmp_ne_u32_e32 vcc_lo, 1, v97
	v_mov_b32_e32 v44, v27
	s_cbranch_vccnz .LBB150_1023
; %bb.1022:                             ;   in Loop: Header=BB150_1010 Depth=2
	flat_load_b32 v44, v[36:37] offset:4
.LBB150_1023:                           ;   in Loop: Header=BB150_1010 Depth=2
	ds_load_b64 v[98:99], v86
	s_wait_loadcnt_dscnt 0x0
	v_pk_mul_f32 v[100:101], v[44:45], v[98:99] op_sel:[0,1] op_sel_hi:[0,0]
	s_delay_alu instid0(VALU_DEP_1) | instskip(SKIP_1) | instid1(VALU_DEP_2)
	v_pk_fma_f32 v[102:103], v[42:43], v[98:99], v[100:101] op_sel_hi:[0,1,1] neg_lo:[0,0,1] neg_hi:[0,0,1]
	v_pk_fma_f32 v[42:43], v[42:43], v[98:99], v[100:101]
	v_mov_b32_e32 v43, v103
	s_delay_alu instid0(VALU_DEP_1)
	v_pk_add_f32 v[40:41], v[40:41], v[42:43]
.LBB150_1024:                           ;   in Loop: Header=BB150_1010 Depth=2
	s_or_b32 exec_lo, exec_lo, s65
	v_add_nc_u32_e32 v42, 16, v0
	s_delay_alu instid0(VALU_DEP_1) | instskip(SKIP_1) | instid1(SALU_CYCLE_1)
	v_cmp_gt_i32_e32 vcc_lo, s85, v42
	s_and_b32 s12, vcc_lo, s0
	s_and_saveexec_b32 s65, s12
	s_cbranch_execz .LBB150_1030
; %bb.1025:                             ;   in Loop: Header=BB150_1010 Depth=2
	v_cmp_ne_u32_e32 vcc_lo, 1, v97
	v_mov_b32_e32 v42, v28
	s_cbranch_vccnz .LBB150_1027
; %bb.1026:                             ;   in Loop: Header=BB150_1010 Depth=2
	flat_load_b32 v42, v[36:37] offset:128
.LBB150_1027:                           ;   in Loop: Header=BB150_1010 Depth=2
	v_cmp_ne_u32_e32 vcc_lo, 1, v97
	v_mov_b32_e32 v43, v29
	s_cbranch_vccnz .LBB150_1029
; %bb.1028:                             ;   in Loop: Header=BB150_1010 Depth=2
	flat_load_b32 v43, v[36:37] offset:132
.LBB150_1029:                           ;   in Loop: Header=BB150_1010 Depth=2
	ds_load_b64 v[98:99], v86 offset:128
	s_wait_loadcnt_dscnt 0x1
	v_dual_mov_b32 v100, v43 :: v_dual_mov_b32 v101, v42
	s_wait_dscnt 0x0
	v_dual_mul_f32 v44, v43, v98 :: v_dual_mul_f32 v102, v43, v99
	s_delay_alu instid0(VALU_DEP_1) | instskip(NEXT) | instid1(VALU_DEP_2)
	v_pk_fma_f32 v[100:101], v[100:101], v[98:99], v[44:45] op_sel_hi:[1,1,0] neg_lo:[0,0,1] neg_hi:[0,0,1]
	v_pk_fma_f32 v[42:43], v[42:43], v[98:99], v[102:103] op_sel_hi:[1,1,0]
	s_delay_alu instid0(VALU_DEP_2) | instskip(NEXT) | instid1(VALU_DEP_1)
	v_mov_b32_e32 v43, v101
	v_pk_add_f32 v[40:41], v[40:41], v[42:43]
.LBB150_1030:                           ;   in Loop: Header=BB150_1010 Depth=2
	s_or_b32 exec_lo, exec_lo, s65
	v_add_nc_u32_e32 v42, 32, v0
	s_delay_alu instid0(VALU_DEP_1) | instskip(SKIP_1) | instid1(SALU_CYCLE_1)
	v_cmp_gt_i32_e32 vcc_lo, s85, v42
	s_and_b32 s12, vcc_lo, s0
	s_and_saveexec_b32 s65, s12
	s_cbranch_execz .LBB150_1036
; %bb.1031:                             ;   in Loop: Header=BB150_1010 Depth=2
	v_cmp_ne_u32_e32 vcc_lo, 1, v97
	v_mov_b32_e32 v42, v30
	s_cbranch_vccnz .LBB150_1033
; %bb.1032:                             ;   in Loop: Header=BB150_1010 Depth=2
	flat_load_b32 v42, v[36:37] offset:256
.LBB150_1033:                           ;   in Loop: Header=BB150_1010 Depth=2
	v_cmp_ne_u32_e32 vcc_lo, 1, v97
	v_mov_b32_e32 v44, v31
	s_cbranch_vccnz .LBB150_1035
; %bb.1034:                             ;   in Loop: Header=BB150_1010 Depth=2
	flat_load_b32 v44, v[36:37] offset:260
.LBB150_1035:                           ;   in Loop: Header=BB150_1010 Depth=2
	ds_load_b64 v[98:99], v86 offset:256
	s_wait_loadcnt_dscnt 0x0
	v_pk_mul_f32 v[100:101], v[44:45], v[98:99] op_sel:[0,1] op_sel_hi:[0,0]
	s_delay_alu instid0(VALU_DEP_1) | instskip(SKIP_1) | instid1(VALU_DEP_2)
	v_pk_fma_f32 v[102:103], v[42:43], v[98:99], v[100:101] op_sel_hi:[0,1,1] neg_lo:[0,0,1] neg_hi:[0,0,1]
	v_pk_fma_f32 v[42:43], v[42:43], v[98:99], v[100:101]
	v_mov_b32_e32 v43, v103
	s_delay_alu instid0(VALU_DEP_1)
	v_pk_add_f32 v[40:41], v[40:41], v[42:43]
.LBB150_1036:                           ;   in Loop: Header=BB150_1010 Depth=2
	s_or_b32 exec_lo, exec_lo, s65
	v_add_nc_u32_e32 v0, 48, v0
	s_delay_alu instid0(VALU_DEP_1) | instskip(SKIP_1) | instid1(SALU_CYCLE_1)
	v_cmp_gt_i32_e32 vcc_lo, s85, v0
	s_and_b32 s12, vcc_lo, s0
	s_and_saveexec_b32 s65, s12
	s_cbranch_execz .LBB150_1009
; %bb.1037:                             ;   in Loop: Header=BB150_1010 Depth=2
	v_cmp_ne_u32_e32 vcc_lo, 1, v97
	v_mov_b32_e32 v0, v32
	s_cbranch_vccnz .LBB150_1039
; %bb.1038:                             ;   in Loop: Header=BB150_1010 Depth=2
	flat_load_b32 v0, v[36:37] offset:384
.LBB150_1039:                           ;   in Loop: Header=BB150_1010 Depth=2
	v_cmp_ne_u32_e32 vcc_lo, 1, v97
	v_mov_b32_e32 v42, v33
	s_cbranch_vccnz .LBB150_1008
; %bb.1040:                             ;   in Loop: Header=BB150_1010 Depth=2
	flat_load_b32 v42, v[36:37] offset:388
	s_branch .LBB150_1008
.LBB150_1041:                           ;   in Loop: Header=BB150_3 Depth=1
	ds_store_b64 v89, v[40:41]
	s_wait_dscnt 0x0
	s_barrier_signal -1
	s_barrier_wait -1
	s_and_saveexec_b32 s11, s2
	s_cbranch_execz .LBB150_1043
; %bb.1042:                             ;   in Loop: Header=BB150_3 Depth=1
	ds_load_2addr_stride64_b64 v[34:37], v90 offset0:1 offset1:2
	ds_load_2addr_stride64_b64 v[42:45], v90 offset0:3 offset1:4
	ds_load_2addr_stride64_b64 v[98:101], v90 offset0:5 offset1:6
	s_wait_dscnt 0x2
	v_pk_add_f32 v[34:35], v[40:41], v[34:35]
	s_delay_alu instid0(VALU_DEP_1) | instskip(SKIP_3) | instid1(VALU_DEP_1)
	v_pk_add_f32 v[40:41], v[34:35], v[36:37]
	ds_load_2addr_stride64_b64 v[34:37], v90 offset0:7 offset1:8
	s_wait_dscnt 0x2
	v_pk_add_f32 v[40:41], v[40:41], v[42:43]
	v_pk_add_f32 v[44:45], v[40:41], v[44:45]
	ds_load_2addr_stride64_b64 v[40:43], v90 offset0:9 offset1:10
	s_wait_dscnt 0x2
	v_pk_add_f32 v[44:45], v[44:45], v[98:99]
	s_delay_alu instid0(VALU_DEP_1) | instskip(SKIP_3) | instid1(VALU_DEP_1)
	v_pk_add_f32 v[44:45], v[44:45], v[100:101]
	ds_load_2addr_stride64_b64 v[98:101], v90 offset0:11 offset1:12
	s_wait_dscnt 0x2
	v_pk_add_f32 v[34:35], v[44:45], v[34:35]
	v_pk_add_f32 v[44:45], v[34:35], v[36:37]
	ds_load_2addr_stride64_b64 v[34:37], v90 offset0:13 offset1:14
	s_wait_dscnt 0x2
	v_pk_add_f32 v[40:41], v[44:45], v[40:41]
	s_delay_alu instid0(VALU_DEP_1) | instskip(SKIP_3) | instid1(VALU_DEP_1)
	v_pk_add_f32 v[40:41], v[40:41], v[42:43]
	ds_load_b64 v[42:43], v90 offset:7680
	s_wait_dscnt 0x2
	v_pk_add_f32 v[40:41], v[40:41], v[98:99]
	v_pk_add_f32 v[40:41], v[40:41], v[100:101]
	s_wait_dscnt 0x1
	s_delay_alu instid0(VALU_DEP_1) | instskip(NEXT) | instid1(VALU_DEP_1)
	v_pk_add_f32 v[34:35], v[40:41], v[34:35]
	v_pk_add_f32 v[34:35], v[34:35], v[36:37]
	s_wait_dscnt 0x0
	s_delay_alu instid0(VALU_DEP_1) | instskip(NEXT) | instid1(VALU_DEP_1)
	v_pk_add_f32 v[34:35], v[34:35], v[42:43]
	v_cndmask_b32_e64 v41, -v35, 0, s50
	s_delay_alu instid0(VALU_DEP_2)
	v_cndmask_b32_e64 v40, -v34, 0, s50
.LBB150_1043:                           ;   in Loop: Header=BB150_3 Depth=1
	s_or_b32 exec_lo, exec_lo, s11
	s_delay_alu instid0(SALU_CYCLE_1)
	s_and_not1_b32 vcc_lo, exec_lo, s89
	s_cbranch_vccnz .LBB150_1053
; %bb.1044:                             ;   in Loop: Header=BB150_3 Depth=1
	s_and_saveexec_b32 s11, s2
; %bb.1045:                             ;   in Loop: Header=BB150_3 Depth=1
	ds_store_b64 v92, v[40:41]
; %bb.1046:                             ;   in Loop: Header=BB150_3 Depth=1
	s_or_b32 exec_lo, exec_lo, s11
	v_mov_b64_e32 v[34:35], 0
	s_wait_dscnt 0x0
	s_barrier_signal -1
	s_barrier_wait -1
	s_and_saveexec_b32 s11, s6
	s_cbranch_execnz .LBB150_1116
; %bb.1047:                             ;   in Loop: Header=BB150_3 Depth=1
	s_or_b32 exec_lo, exec_lo, s11
	s_and_saveexec_b32 s11, s7
	s_cbranch_execnz .LBB150_1117
.LBB150_1048:                           ;   in Loop: Header=BB150_3 Depth=1
	s_or_b32 exec_lo, exec_lo, s11
	s_and_saveexec_b32 s11, s8
	s_cbranch_execnz .LBB150_1118
.LBB150_1049:                           ;   in Loop: Header=BB150_3 Depth=1
	s_or_b32 exec_lo, exec_lo, s11
	s_and_saveexec_b32 s11, s9
	s_cbranch_execz .LBB150_1051
.LBB150_1050:                           ;   in Loop: Header=BB150_3 Depth=1
	ds_load_b64 v[36:37], v91 offset:24576
	ds_load_b64 v[42:43], v86 offset:384
	s_wait_dscnt 0x0
	v_pk_mul_f32 v[44:45], v[42:43], v[36:37] op_sel:[1,1] op_sel_hi:[0,1]
	s_delay_alu instid0(VALU_DEP_1) | instskip(SKIP_1) | instid1(VALU_DEP_2)
	v_pk_fma_f32 v[98:99], v[42:43], v[36:37], v[44:45] op_sel_hi:[1,0,1]
	v_pk_fma_f32 v[36:37], v[42:43], v[36:37], v[44:45] neg_lo:[0,0,1] neg_hi:[0,0,1]
	v_mov_b32_e32 v37, v99
	s_delay_alu instid0(VALU_DEP_1)
	v_pk_add_f32 v[34:35], v[34:35], v[36:37]
.LBB150_1051:                           ;   in Loop: Header=BB150_3 Depth=1
	s_or_b32 exec_lo, exec_lo, s11
	s_mov_b32 s65, 0
	s_mov_b32 s11, 0
	ds_store_b64 v89, v[34:35]
	s_wait_dscnt 0x0
	s_barrier_signal -1
	s_barrier_wait -1
                                        ; implicit-def: $vgpr36_vgpr37
	s_and_saveexec_b32 s82, s2
	s_cbranch_execz .LBB150_1119
; %bb.1052:                             ;   in Loop: Header=BB150_3 Depth=1
	ds_load_2addr_stride64_b64 v[42:45], v90 offset0:1 offset1:2
	ds_load_2addr_stride64_b64 v[98:101], v90 offset0:3 offset1:4
	;; [unrolled: 1-line block ×3, first 2 shown]
	s_mov_b32 s11, exec_lo
	s_wait_dscnt 0x2
	v_pk_add_f32 v[34:35], v[34:35], v[42:43]
	s_delay_alu instid0(VALU_DEP_1) | instskip(SKIP_3) | instid1(VALU_DEP_1)
	v_pk_add_f32 v[42:43], v[34:35], v[44:45]
	ds_load_2addr_stride64_b64 v[34:37], v90 offset0:7 offset1:8
	s_wait_dscnt 0x2
	v_pk_add_f32 v[42:43], v[42:43], v[98:99]
	v_pk_add_f32 v[98:99], v[42:43], v[100:101]
	ds_load_2addr_stride64_b64 v[42:45], v90 offset0:9 offset1:10
	s_wait_dscnt 0x2
	v_pk_add_f32 v[98:99], v[98:99], v[102:103]
	s_delay_alu instid0(VALU_DEP_1) | instskip(SKIP_3) | instid1(VALU_DEP_1)
	v_pk_add_f32 v[102:103], v[98:99], v[104:105]
	ds_load_2addr_stride64_b64 v[98:101], v90 offset0:11 offset1:12
	s_wait_dscnt 0x2
	v_pk_add_f32 v[34:35], v[102:103], v[34:35]
	v_pk_add_f32 v[34:35], v[34:35], v[36:37]
	s_wait_dscnt 0x1
	s_delay_alu instid0(VALU_DEP_1)
	v_pk_add_f32 v[42:43], v[34:35], v[42:43]
	ds_load_2addr_stride64_b64 v[34:37], v90 offset0:13 offset1:14
	v_pk_add_f32 v[42:43], v[42:43], v[44:45]
	ds_load_b64 v[44:45], v90 offset:7680
	s_wait_dscnt 0x2
	v_pk_add_f32 v[42:43], v[42:43], v[98:99]
	s_delay_alu instid0(VALU_DEP_1) | instskip(SKIP_1) | instid1(VALU_DEP_1)
	v_pk_add_f32 v[42:43], v[42:43], v[100:101]
	s_wait_dscnt 0x1
	v_pk_add_f32 v[34:35], v[42:43], v[34:35]
	s_delay_alu instid0(VALU_DEP_1) | instskip(SKIP_1) | instid1(VALU_DEP_1)
	v_pk_add_f32 v[34:35], v[34:35], v[36:37]
	s_wait_dscnt 0x0
	v_pk_add_f32 v[36:37], v[34:35], v[44:45]
	s_or_b32 exec_lo, exec_lo, s82
	s_delay_alu instid0(SALU_CYCLE_1)
	s_and_b32 vcc_lo, exec_lo, s65
	s_cbranch_vccnz .LBB150_1054
	s_branch .LBB150_1120
.LBB150_1053:                           ;   in Loop: Header=BB150_3 Depth=1
	s_mov_b32 s11, 0
                                        ; implicit-def: $vgpr36_vgpr37
	s_cbranch_execz .LBB150_1120
.LBB150_1054:                           ;   in Loop: Header=BB150_3 Depth=1
	v_dual_mov_b32 v0, v2 :: v_dual_mov_b32 v34, v96
	s_mov_b32 s65, 0
	s_branch .LBB150_1056
.LBB150_1055:                           ;   in Loop: Header=BB150_1056 Depth=2
	s_or_b32 exec_lo, exec_lo, s12
	v_add_nc_u32_e32 v34, 0x400, v34
	v_add_nc_u32_e32 v0, -2, v0
	s_add_co_i32 s65, s65, 2
	s_delay_alu instid0(SALU_CYCLE_1)
	s_cmp_lg_u32 s65, 64
	s_barrier_signal -1
	s_barrier_wait -1
	s_cbranch_scc0 .LBB150_1064
.LBB150_1056:                           ;   Parent Loop BB150_3 Depth=1
                                        ; =>  This Inner Loop Header: Depth=2
	s_delay_alu instid0(VALU_DEP_1) | instskip(SKIP_2) | instid1(SALU_CYCLE_1)
	v_cmp_eq_u32_e32 vcc_lo, 0, v0
	v_add_nc_u32_e32 v35, v85, v50
	s_and_b32 s13, s2, vcc_lo
	s_and_saveexec_b32 s12, s13
	s_cbranch_execz .LBB150_1058
; %bb.1057:                             ;   in Loop: Header=BB150_1056 Depth=2
	ds_load_b64 v[36:37], v35
	s_wait_dscnt 0x0
	v_pk_mul_f32 v[42:43], v[40:41], v[36:37] op_sel:[1,1] op_sel_hi:[1,0]
	s_delay_alu instid0(VALU_DEP_1) | instskip(SKIP_1) | instid1(VALU_DEP_2)
	v_pk_fma_f32 v[44:45], v[40:41], v[36:37], v[42:43] op_sel_hi:[0,1,1]
	v_pk_fma_f32 v[36:37], v[40:41], v[36:37], v[42:43] neg_lo:[0,0,1] neg_hi:[0,0,1]
	v_mov_b32_e32 v37, v45
	s_delay_alu instid0(VALU_DEP_1)
	v_mov_b64_e32 v[40:41], v[36:37]
	ds_store_b64 v1, v[36:37] offset:41472
.LBB150_1058:                           ;   in Loop: Header=BB150_1056 Depth=2
	s_or_b32 exec_lo, exec_lo, s12
	v_cmp_lt_u32_e32 vcc_lo, s65, v2
	s_wait_dscnt 0x0
	s_barrier_signal -1
	s_barrier_wait -1
	s_and_b32 s13, s2, vcc_lo
	s_delay_alu instid0(SALU_CYCLE_1)
	s_and_saveexec_b32 s12, s13
	s_cbranch_execz .LBB150_1060
; %bb.1059:                             ;   in Loop: Header=BB150_1056 Depth=2
	ds_load_b64 v[36:37], v34
	ds_load_b64 v[42:43], v1 offset:41472
	s_wait_dscnt 0x0
	v_pk_mul_f32 v[44:45], v[42:43], v[36:37] op_sel:[1,1] op_sel_hi:[0,1]
	s_delay_alu instid0(VALU_DEP_1) | instskip(SKIP_1) | instid1(VALU_DEP_2)
	v_pk_fma_f32 v[98:99], v[42:43], v[36:37], v[44:45] op_sel_hi:[1,0,1]
	v_pk_fma_f32 v[36:37], v[42:43], v[36:37], v[44:45] neg_lo:[0,0,1] neg_hi:[0,0,1]
	v_mov_b32_e32 v37, v99
	s_delay_alu instid0(VALU_DEP_1)
	v_pk_add_f32 v[40:41], v[40:41], v[36:37]
.LBB150_1060:                           ;   in Loop: Header=BB150_1056 Depth=2
	s_or_b32 exec_lo, exec_lo, s12
	s_or_b32 s12, s65, 1
	s_delay_alu instid0(SALU_CYCLE_1) | instskip(SKIP_3) | instid1(SALU_CYCLE_1)
	v_cmp_eq_u32_e32 vcc_lo, s12, v2
	s_barrier_signal -1
	s_barrier_wait -1
	s_and_b32 s13, s2, vcc_lo
	s_and_saveexec_b32 s82, s13
	s_cbranch_execz .LBB150_1062
; %bb.1061:                             ;   in Loop: Header=BB150_1056 Depth=2
	ds_load_b64 v[36:37], v35
	s_wait_dscnt 0x0
	v_pk_mul_f32 v[42:43], v[40:41], v[36:37] op_sel:[1,1] op_sel_hi:[1,0]
	s_delay_alu instid0(VALU_DEP_1) | instskip(SKIP_1) | instid1(VALU_DEP_2)
	v_pk_fma_f32 v[44:45], v[40:41], v[36:37], v[42:43] op_sel_hi:[0,1,1]
	v_pk_fma_f32 v[36:37], v[40:41], v[36:37], v[42:43] neg_lo:[0,0,1] neg_hi:[0,0,1]
	v_mov_b32_e32 v37, v45
	s_delay_alu instid0(VALU_DEP_1)
	v_mov_b64_e32 v[40:41], v[36:37]
	ds_store_b64 v1, v[36:37] offset:41472
.LBB150_1062:                           ;   in Loop: Header=BB150_1056 Depth=2
	s_or_b32 exec_lo, exec_lo, s82
	v_cmp_lt_u32_e32 vcc_lo, s12, v2
	s_wait_dscnt 0x0
	s_barrier_signal -1
	s_barrier_wait -1
	s_and_b32 s13, s2, vcc_lo
	s_delay_alu instid0(SALU_CYCLE_1)
	s_and_saveexec_b32 s12, s13
	s_cbranch_execz .LBB150_1055
; %bb.1063:                             ;   in Loop: Header=BB150_1056 Depth=2
	ds_load_b64 v[36:37], v34 offset:512
	ds_load_b64 v[42:43], v1 offset:41472
	s_wait_dscnt 0x0
	v_pk_mul_f32 v[44:45], v[42:43], v[36:37] op_sel:[1,1] op_sel_hi:[0,1]
	s_delay_alu instid0(VALU_DEP_1) | instskip(SKIP_1) | instid1(VALU_DEP_2)
	v_pk_fma_f32 v[98:99], v[42:43], v[36:37], v[44:45] op_sel_hi:[1,0,1]
	v_pk_fma_f32 v[36:37], v[42:43], v[36:37], v[44:45] neg_lo:[0,0,1] neg_hi:[0,0,1]
	v_mov_b32_e32 v37, v99
	s_delay_alu instid0(VALU_DEP_1)
	v_pk_add_f32 v[40:41], v[40:41], v[36:37]
	s_branch .LBB150_1055
.LBB150_1064:                           ;   in Loop: Header=BB150_3 Depth=1
	s_and_b32 vcc_lo, exec_lo, s88
	s_mov_b32 s12, -1
	s_cbranch_vccz .LBB150_1066
; %bb.1065:                             ;   in Loop: Header=BB150_3 Depth=1
	s_and_not1_b32 s11, s11, exec_lo
	s_and_b32 s13, s2, exec_lo
	s_mov_b32 s12, 0
	s_or_b32 s11, s11, s13
.LBB150_1066:                           ;   in Loop: Header=BB150_3 Depth=1
	s_and_not1_b32 vcc_lo, exec_lo, s12
	s_cbranch_vccnz .LBB150_1068
; %bb.1067:                             ;   in Loop: Header=BB150_3 Depth=1
	v_readlane_b32 s12, v107, 7
	s_and_not1_b32 s11, s11, exec_lo
	s_and_b32 s12, s12, exec_lo
	s_delay_alu instid0(SALU_CYCLE_1)
	s_or_b32 s11, s11, s12
.LBB150_1068:                           ;   in Loop: Header=BB150_3 Depth=1
	v_mov_b64_e32 v[34:35], v[20:21]
	s_and_saveexec_b32 s12, s11
	s_cbranch_execnz .LBB150_1121
	s_branch .LBB150_1122
.LBB150_1069:                           ;   in Loop: Header=BB150_3 Depth=1
	v_readlane_b32 s13, v107, 16
	s_and_saveexec_b32 s12, s13
	s_delay_alu instid0(SALU_CYCLE_1)
	s_xor_b32 s12, exec_lo, s12
	s_cbranch_execz .LBB150_1073
; %bb.1070:                             ;   in Loop: Header=BB150_3 Depth=1
	v_readlane_b32 s13, v107, 24
	s_and_saveexec_b32 s65, s13
; %bb.1071:                             ;   in Loop: Header=BB150_3 Depth=1
	ds_store_b64 v78, v[24:25]
; %bb.1072:                             ;   in Loop: Header=BB150_3 Depth=1
	s_or_b32 exec_lo, exec_lo, s65
.LBB150_1073:                           ;   in Loop: Header=BB150_3 Depth=1
	s_and_not1_saveexec_b32 s65, s12
	s_cbranch_execz .LBB150_1079
; %bb.1074:                             ;   in Loop: Header=BB150_3 Depth=1
	v_lshl_add_u64 v[42:43], v[12:13], 3, v[40:41]
	s_mov_b32 s82, exec_lo
                                        ; implicit-def: $vgpr44_vgpr45
	flat_load_b64 v[42:43], v[42:43]
	s_wait_loadcnt_dscnt 0x0
	v_cmpx_ngt_f32_e64 |v42|, |v43|
	s_xor_b32 s82, exec_lo, s82
	s_cbranch_execz .LBB150_1076
; %bb.1075:                             ;   in Loop: Header=BB150_3 Depth=1
	v_div_scale_f32 v0, null, -v43, -v43, v42
	v_div_scale_f32 v97, vcc_lo, v42, -v43, v42
	s_delay_alu instid0(VALU_DEP_2) | instskip(SKIP_1) | instid1(TRANS32_DEP_1)
	v_rcp_f32_e32 v44, v0
	v_nop
	v_fma_f32 v45, -v0, v44, 1.0
	s_delay_alu instid0(VALU_DEP_1) | instskip(NEXT) | instid1(VALU_DEP_1)
	v_fmac_f32_e32 v44, v45, v44
	v_mul_f32_e32 v45, v97, v44
	s_delay_alu instid0(VALU_DEP_1) | instskip(NEXT) | instid1(VALU_DEP_1)
	v_fma_f32 v98, -v0, v45, v97
	v_fmac_f32_e32 v45, v98, v44
	s_delay_alu instid0(VALU_DEP_1) | instskip(NEXT) | instid1(VALU_DEP_1)
	v_fma_f32 v0, -v0, v45, v97
	v_div_fmas_f32 v0, v0, v44, v45
	s_delay_alu instid0(VALU_DEP_1) | instskip(NEXT) | instid1(VALU_DEP_1)
	v_div_fixup_f32 v0, v0, -v43, v42
	v_fma_f32 v42, v42, v0, -v43
	s_delay_alu instid0(VALU_DEP_1) | instskip(SKIP_1) | instid1(VALU_DEP_2)
	v_div_scale_f32 v43, null, v42, v42, 1.0
	v_div_scale_f32 v97, vcc_lo, 1.0, v42, 1.0
	v_rcp_f32_e32 v44, v43
	v_nop
	s_delay_alu instid0(TRANS32_DEP_1) | instskip(NEXT) | instid1(VALU_DEP_1)
	v_fma_f32 v45, -v43, v44, 1.0
	v_fmac_f32_e32 v44, v45, v44
	s_delay_alu instid0(VALU_DEP_1) | instskip(NEXT) | instid1(VALU_DEP_1)
	v_mul_f32_e32 v45, v97, v44
	v_fma_f32 v98, -v43, v45, v97
	s_delay_alu instid0(VALU_DEP_1) | instskip(NEXT) | instid1(VALU_DEP_1)
	v_fmac_f32_e32 v45, v98, v44
	v_fma_f32 v43, -v43, v45, v97
	s_delay_alu instid0(VALU_DEP_1) | instskip(NEXT) | instid1(VALU_DEP_1)
	v_div_fmas_f32 v43, v43, v44, v45
	v_div_fixup_f32 v42, v43, v42, 1.0
	s_delay_alu instid0(VALU_DEP_1)
	v_mul_f32_e32 v44, v0, v42
	v_xor_b32_e32 v45, 0x80000000, v42
                                        ; implicit-def: $vgpr42_vgpr43
.LBB150_1076:                           ;   in Loop: Header=BB150_3 Depth=1
	s_and_not1_saveexec_b32 s82, s82
	s_cbranch_execz .LBB150_1078
; %bb.1077:                             ;   in Loop: Header=BB150_3 Depth=1
	v_div_scale_f32 v0, null, v42, v42, -v43
	v_div_scale_f32 v97, vcc_lo, -v43, v42, -v43
	s_delay_alu instid0(VALU_DEP_2) | instskip(SKIP_1) | instid1(TRANS32_DEP_1)
	v_rcp_f32_e32 v44, v0
	v_nop
	v_fma_f32 v45, -v0, v44, 1.0
	s_delay_alu instid0(VALU_DEP_1) | instskip(NEXT) | instid1(VALU_DEP_1)
	v_fmac_f32_e32 v44, v45, v44
	v_mul_f32_e32 v45, v97, v44
	s_delay_alu instid0(VALU_DEP_1) | instskip(NEXT) | instid1(VALU_DEP_1)
	v_fma_f32 v98, -v0, v45, v97
	v_fmac_f32_e32 v45, v98, v44
	s_delay_alu instid0(VALU_DEP_1) | instskip(NEXT) | instid1(VALU_DEP_1)
	v_fma_f32 v0, -v0, v45, v97
	v_div_fmas_f32 v0, v0, v44, v45
	s_delay_alu instid0(VALU_DEP_1) | instskip(NEXT) | instid1(VALU_DEP_1)
	v_div_fixup_f32 v0, v0, v42, -v43
	v_fma_f32 v42, -v43, v0, v42
	s_delay_alu instid0(VALU_DEP_1) | instskip(NEXT) | instid1(VALU_DEP_1)
	v_div_scale_f32 v43, null, v42, v42, 1.0
	v_rcp_f32_e32 v44, v43
	v_nop
	s_delay_alu instid0(TRANS32_DEP_1) | instskip(NEXT) | instid1(VALU_DEP_1)
	v_fma_f32 v45, -v43, v44, 1.0
	v_fmac_f32_e32 v44, v45, v44
	v_div_scale_f32 v45, vcc_lo, 1.0, v42, 1.0
	s_delay_alu instid0(VALU_DEP_1) | instskip(NEXT) | instid1(VALU_DEP_1)
	v_mul_f32_e32 v97, v45, v44
	v_fma_f32 v98, -v43, v97, v45
	s_delay_alu instid0(VALU_DEP_1) | instskip(NEXT) | instid1(VALU_DEP_1)
	v_fmac_f32_e32 v97, v98, v44
	v_fma_f32 v43, -v43, v97, v45
	s_delay_alu instid0(VALU_DEP_1) | instskip(NEXT) | instid1(VALU_DEP_1)
	v_div_fmas_f32 v43, v43, v44, v97
	v_div_fixup_f32 v44, v43, v42, 1.0
	s_delay_alu instid0(VALU_DEP_1)
	v_mul_f32_e64 v45, v0, -v44
.LBB150_1078:                           ;   in Loop: Header=BB150_3 Depth=1
	s_or_b32 exec_lo, exec_lo, s82
	ds_store_b64 v78, v[44:45]
.LBB150_1079:                           ;   in Loop: Header=BB150_3 Depth=1
	s_or_b32 exec_lo, exec_lo, s65
	s_and_not1_saveexec_b32 s11, s11
	s_cbranch_execz .LBB150_17
.LBB150_1080:                           ;   in Loop: Header=BB150_3 Depth=1
	v_lshl_add_u64 v[42:43], v[12:13], 3, v[40:41]
	flat_load_b64 v[42:43], v[42:43]
	s_wait_loadcnt_dscnt 0x0
	v_xor_b32_e32 v42, 0x80000000, v42
	ds_store_b64 v78, v[42:43]
	s_or_b32 exec_lo, exec_lo, s11
	s_and_saveexec_b32 s11, s7
	s_delay_alu instid0(SALU_CYCLE_1)
	s_xor_b32 s11, exec_lo, s11
	s_cbranch_execz .LBB150_18
.LBB150_1081:                           ;   in Loop: Header=BB150_3 Depth=1
	v_readlane_b32 s13, v107, 18
	s_and_saveexec_b32 s12, s13
	s_delay_alu instid0(SALU_CYCLE_1)
	s_xor_b32 s12, exec_lo, s12
	s_cbranch_execz .LBB150_1085
; %bb.1082:                             ;   in Loop: Header=BB150_3 Depth=1
	v_readlane_b32 s13, v107, 25
	s_and_saveexec_b32 s65, s13
; %bb.1083:                             ;   in Loop: Header=BB150_3 Depth=1
	ds_store_b64 v81, v[24:25]
; %bb.1084:                             ;   in Loop: Header=BB150_3 Depth=1
	s_or_b32 exec_lo, exec_lo, s65
.LBB150_1085:                           ;   in Loop: Header=BB150_3 Depth=1
	s_and_not1_saveexec_b32 s65, s12
	s_cbranch_execz .LBB150_1091
; %bb.1086:                             ;   in Loop: Header=BB150_3 Depth=1
	v_lshl_add_u64 v[42:43], v[14:15], 3, v[40:41]
	s_mov_b32 s82, exec_lo
                                        ; implicit-def: $vgpr44_vgpr45
	flat_load_b64 v[42:43], v[42:43]
	s_wait_loadcnt_dscnt 0x0
	v_cmpx_ngt_f32_e64 |v42|, |v43|
	s_xor_b32 s82, exec_lo, s82
	s_cbranch_execz .LBB150_1088
; %bb.1087:                             ;   in Loop: Header=BB150_3 Depth=1
	v_div_scale_f32 v0, null, -v43, -v43, v42
	v_div_scale_f32 v97, vcc_lo, v42, -v43, v42
	s_delay_alu instid0(VALU_DEP_2) | instskip(SKIP_1) | instid1(TRANS32_DEP_1)
	v_rcp_f32_e32 v44, v0
	v_nop
	v_fma_f32 v45, -v0, v44, 1.0
	s_delay_alu instid0(VALU_DEP_1) | instskip(NEXT) | instid1(VALU_DEP_1)
	v_fmac_f32_e32 v44, v45, v44
	v_mul_f32_e32 v45, v97, v44
	s_delay_alu instid0(VALU_DEP_1) | instskip(NEXT) | instid1(VALU_DEP_1)
	v_fma_f32 v98, -v0, v45, v97
	v_fmac_f32_e32 v45, v98, v44
	s_delay_alu instid0(VALU_DEP_1) | instskip(NEXT) | instid1(VALU_DEP_1)
	v_fma_f32 v0, -v0, v45, v97
	v_div_fmas_f32 v0, v0, v44, v45
	s_delay_alu instid0(VALU_DEP_1) | instskip(NEXT) | instid1(VALU_DEP_1)
	v_div_fixup_f32 v0, v0, -v43, v42
	v_fma_f32 v42, v42, v0, -v43
	s_delay_alu instid0(VALU_DEP_1) | instskip(SKIP_1) | instid1(VALU_DEP_2)
	v_div_scale_f32 v43, null, v42, v42, 1.0
	v_div_scale_f32 v97, vcc_lo, 1.0, v42, 1.0
	v_rcp_f32_e32 v44, v43
	v_nop
	s_delay_alu instid0(TRANS32_DEP_1) | instskip(NEXT) | instid1(VALU_DEP_1)
	v_fma_f32 v45, -v43, v44, 1.0
	v_fmac_f32_e32 v44, v45, v44
	s_delay_alu instid0(VALU_DEP_1) | instskip(NEXT) | instid1(VALU_DEP_1)
	v_mul_f32_e32 v45, v97, v44
	v_fma_f32 v98, -v43, v45, v97
	s_delay_alu instid0(VALU_DEP_1) | instskip(NEXT) | instid1(VALU_DEP_1)
	v_fmac_f32_e32 v45, v98, v44
	v_fma_f32 v43, -v43, v45, v97
	s_delay_alu instid0(VALU_DEP_1) | instskip(NEXT) | instid1(VALU_DEP_1)
	v_div_fmas_f32 v43, v43, v44, v45
	v_div_fixup_f32 v42, v43, v42, 1.0
	s_delay_alu instid0(VALU_DEP_1)
	v_mul_f32_e32 v44, v0, v42
	v_xor_b32_e32 v45, 0x80000000, v42
                                        ; implicit-def: $vgpr42_vgpr43
.LBB150_1088:                           ;   in Loop: Header=BB150_3 Depth=1
	s_and_not1_saveexec_b32 s82, s82
	s_cbranch_execz .LBB150_1090
; %bb.1089:                             ;   in Loop: Header=BB150_3 Depth=1
	v_div_scale_f32 v0, null, v42, v42, -v43
	v_div_scale_f32 v97, vcc_lo, -v43, v42, -v43
	s_delay_alu instid0(VALU_DEP_2) | instskip(SKIP_1) | instid1(TRANS32_DEP_1)
	v_rcp_f32_e32 v44, v0
	v_nop
	v_fma_f32 v45, -v0, v44, 1.0
	s_delay_alu instid0(VALU_DEP_1) | instskip(NEXT) | instid1(VALU_DEP_1)
	v_fmac_f32_e32 v44, v45, v44
	v_mul_f32_e32 v45, v97, v44
	s_delay_alu instid0(VALU_DEP_1) | instskip(NEXT) | instid1(VALU_DEP_1)
	v_fma_f32 v98, -v0, v45, v97
	v_fmac_f32_e32 v45, v98, v44
	s_delay_alu instid0(VALU_DEP_1) | instskip(NEXT) | instid1(VALU_DEP_1)
	v_fma_f32 v0, -v0, v45, v97
	v_div_fmas_f32 v0, v0, v44, v45
	s_delay_alu instid0(VALU_DEP_1) | instskip(NEXT) | instid1(VALU_DEP_1)
	v_div_fixup_f32 v0, v0, v42, -v43
	v_fma_f32 v42, -v43, v0, v42
	s_delay_alu instid0(VALU_DEP_1) | instskip(NEXT) | instid1(VALU_DEP_1)
	v_div_scale_f32 v43, null, v42, v42, 1.0
	v_rcp_f32_e32 v44, v43
	v_nop
	s_delay_alu instid0(TRANS32_DEP_1) | instskip(NEXT) | instid1(VALU_DEP_1)
	v_fma_f32 v45, -v43, v44, 1.0
	v_fmac_f32_e32 v44, v45, v44
	v_div_scale_f32 v45, vcc_lo, 1.0, v42, 1.0
	s_delay_alu instid0(VALU_DEP_1) | instskip(NEXT) | instid1(VALU_DEP_1)
	v_mul_f32_e32 v97, v45, v44
	v_fma_f32 v98, -v43, v97, v45
	s_delay_alu instid0(VALU_DEP_1) | instskip(NEXT) | instid1(VALU_DEP_1)
	v_fmac_f32_e32 v97, v98, v44
	v_fma_f32 v43, -v43, v97, v45
	s_delay_alu instid0(VALU_DEP_1) | instskip(NEXT) | instid1(VALU_DEP_1)
	v_div_fmas_f32 v43, v43, v44, v97
	v_div_fixup_f32 v44, v43, v42, 1.0
	s_delay_alu instid0(VALU_DEP_1)
	v_mul_f32_e64 v45, v0, -v44
.LBB150_1090:                           ;   in Loop: Header=BB150_3 Depth=1
	s_or_b32 exec_lo, exec_lo, s82
	ds_store_b64 v81, v[44:45]
.LBB150_1091:                           ;   in Loop: Header=BB150_3 Depth=1
	s_or_b32 exec_lo, exec_lo, s65
	s_and_not1_saveexec_b32 s11, s11
	s_cbranch_execz .LBB150_19
.LBB150_1092:                           ;   in Loop: Header=BB150_3 Depth=1
	v_lshl_add_u64 v[42:43], v[14:15], 3, v[40:41]
	flat_load_b64 v[42:43], v[42:43]
	s_wait_loadcnt_dscnt 0x0
	v_xor_b32_e32 v42, 0x80000000, v42
	ds_store_b64 v81, v[42:43]
	s_or_b32 exec_lo, exec_lo, s11
	s_and_saveexec_b32 s11, s8
	s_delay_alu instid0(SALU_CYCLE_1)
	s_xor_b32 s11, exec_lo, s11
	s_cbranch_execz .LBB150_20
.LBB150_1093:                           ;   in Loop: Header=BB150_3 Depth=1
	v_readlane_b32 s13, v107, 20
	s_and_saveexec_b32 s12, s13
	s_delay_alu instid0(SALU_CYCLE_1)
	s_xor_b32 s12, exec_lo, s12
	s_cbranch_execz .LBB150_1097
; %bb.1094:                             ;   in Loop: Header=BB150_3 Depth=1
	v_readlane_b32 s13, v106, 5
	s_and_saveexec_b32 s65, s13
; %bb.1095:                             ;   in Loop: Header=BB150_3 Depth=1
	ds_store_b64 v82, v[24:25]
; %bb.1096:                             ;   in Loop: Header=BB150_3 Depth=1
	s_or_b32 exec_lo, exec_lo, s65
.LBB150_1097:                           ;   in Loop: Header=BB150_3 Depth=1
	s_and_not1_saveexec_b32 s65, s12
	s_cbranch_execz .LBB150_1103
; %bb.1098:                             ;   in Loop: Header=BB150_3 Depth=1
	v_lshl_add_u64 v[42:43], v[16:17], 3, v[40:41]
	s_mov_b32 s82, exec_lo
                                        ; implicit-def: $vgpr44_vgpr45
	flat_load_b64 v[42:43], v[42:43]
	s_wait_loadcnt_dscnt 0x0
	v_cmpx_ngt_f32_e64 |v42|, |v43|
	s_xor_b32 s82, exec_lo, s82
	s_cbranch_execz .LBB150_1100
; %bb.1099:                             ;   in Loop: Header=BB150_3 Depth=1
	v_div_scale_f32 v0, null, -v43, -v43, v42
	v_div_scale_f32 v97, vcc_lo, v42, -v43, v42
	s_delay_alu instid0(VALU_DEP_2) | instskip(SKIP_1) | instid1(TRANS32_DEP_1)
	v_rcp_f32_e32 v44, v0
	v_nop
	v_fma_f32 v45, -v0, v44, 1.0
	s_delay_alu instid0(VALU_DEP_1) | instskip(NEXT) | instid1(VALU_DEP_1)
	v_fmac_f32_e32 v44, v45, v44
	v_mul_f32_e32 v45, v97, v44
	s_delay_alu instid0(VALU_DEP_1) | instskip(NEXT) | instid1(VALU_DEP_1)
	v_fma_f32 v98, -v0, v45, v97
	v_fmac_f32_e32 v45, v98, v44
	s_delay_alu instid0(VALU_DEP_1) | instskip(NEXT) | instid1(VALU_DEP_1)
	v_fma_f32 v0, -v0, v45, v97
	v_div_fmas_f32 v0, v0, v44, v45
	s_delay_alu instid0(VALU_DEP_1) | instskip(NEXT) | instid1(VALU_DEP_1)
	v_div_fixup_f32 v0, v0, -v43, v42
	v_fma_f32 v42, v42, v0, -v43
	s_delay_alu instid0(VALU_DEP_1) | instskip(SKIP_1) | instid1(VALU_DEP_2)
	v_div_scale_f32 v43, null, v42, v42, 1.0
	v_div_scale_f32 v97, vcc_lo, 1.0, v42, 1.0
	v_rcp_f32_e32 v44, v43
	v_nop
	s_delay_alu instid0(TRANS32_DEP_1) | instskip(NEXT) | instid1(VALU_DEP_1)
	v_fma_f32 v45, -v43, v44, 1.0
	v_fmac_f32_e32 v44, v45, v44
	s_delay_alu instid0(VALU_DEP_1) | instskip(NEXT) | instid1(VALU_DEP_1)
	v_mul_f32_e32 v45, v97, v44
	v_fma_f32 v98, -v43, v45, v97
	s_delay_alu instid0(VALU_DEP_1) | instskip(NEXT) | instid1(VALU_DEP_1)
	v_fmac_f32_e32 v45, v98, v44
	v_fma_f32 v43, -v43, v45, v97
	s_delay_alu instid0(VALU_DEP_1) | instskip(NEXT) | instid1(VALU_DEP_1)
	v_div_fmas_f32 v43, v43, v44, v45
	v_div_fixup_f32 v42, v43, v42, 1.0
	s_delay_alu instid0(VALU_DEP_1)
	v_mul_f32_e32 v44, v0, v42
	v_xor_b32_e32 v45, 0x80000000, v42
                                        ; implicit-def: $vgpr42_vgpr43
.LBB150_1100:                           ;   in Loop: Header=BB150_3 Depth=1
	s_and_not1_saveexec_b32 s82, s82
	s_cbranch_execz .LBB150_1102
; %bb.1101:                             ;   in Loop: Header=BB150_3 Depth=1
	v_div_scale_f32 v0, null, v42, v42, -v43
	v_div_scale_f32 v97, vcc_lo, -v43, v42, -v43
	s_delay_alu instid0(VALU_DEP_2) | instskip(SKIP_1) | instid1(TRANS32_DEP_1)
	v_rcp_f32_e32 v44, v0
	v_nop
	v_fma_f32 v45, -v0, v44, 1.0
	s_delay_alu instid0(VALU_DEP_1) | instskip(NEXT) | instid1(VALU_DEP_1)
	v_fmac_f32_e32 v44, v45, v44
	v_mul_f32_e32 v45, v97, v44
	s_delay_alu instid0(VALU_DEP_1) | instskip(NEXT) | instid1(VALU_DEP_1)
	v_fma_f32 v98, -v0, v45, v97
	v_fmac_f32_e32 v45, v98, v44
	s_delay_alu instid0(VALU_DEP_1) | instskip(NEXT) | instid1(VALU_DEP_1)
	v_fma_f32 v0, -v0, v45, v97
	v_div_fmas_f32 v0, v0, v44, v45
	s_delay_alu instid0(VALU_DEP_1) | instskip(NEXT) | instid1(VALU_DEP_1)
	v_div_fixup_f32 v0, v0, v42, -v43
	v_fma_f32 v42, -v43, v0, v42
	s_delay_alu instid0(VALU_DEP_1) | instskip(NEXT) | instid1(VALU_DEP_1)
	v_div_scale_f32 v43, null, v42, v42, 1.0
	v_rcp_f32_e32 v44, v43
	v_nop
	s_delay_alu instid0(TRANS32_DEP_1) | instskip(NEXT) | instid1(VALU_DEP_1)
	v_fma_f32 v45, -v43, v44, 1.0
	v_fmac_f32_e32 v44, v45, v44
	v_div_scale_f32 v45, vcc_lo, 1.0, v42, 1.0
	s_delay_alu instid0(VALU_DEP_1) | instskip(NEXT) | instid1(VALU_DEP_1)
	v_mul_f32_e32 v97, v45, v44
	v_fma_f32 v98, -v43, v97, v45
	s_delay_alu instid0(VALU_DEP_1) | instskip(NEXT) | instid1(VALU_DEP_1)
	v_fmac_f32_e32 v97, v98, v44
	v_fma_f32 v43, -v43, v97, v45
	s_delay_alu instid0(VALU_DEP_1) | instskip(NEXT) | instid1(VALU_DEP_1)
	v_div_fmas_f32 v43, v43, v44, v97
	v_div_fixup_f32 v44, v43, v42, 1.0
	s_delay_alu instid0(VALU_DEP_1)
	v_mul_f32_e64 v45, v0, -v44
.LBB150_1102:                           ;   in Loop: Header=BB150_3 Depth=1
	s_or_b32 exec_lo, exec_lo, s82
	ds_store_b64 v82, v[44:45]
.LBB150_1103:                           ;   in Loop: Header=BB150_3 Depth=1
	s_or_b32 exec_lo, exec_lo, s65
	s_and_not1_saveexec_b32 s11, s11
	s_cbranch_execz .LBB150_21
.LBB150_1104:                           ;   in Loop: Header=BB150_3 Depth=1
	v_lshl_add_u64 v[42:43], v[16:17], 3, v[40:41]
	flat_load_b64 v[42:43], v[42:43]
	s_wait_loadcnt_dscnt 0x0
	v_xor_b32_e32 v42, 0x80000000, v42
	ds_store_b64 v82, v[42:43]
	s_or_b32 exec_lo, exec_lo, s11
	s_and_saveexec_b32 s11, s9
	s_delay_alu instid0(SALU_CYCLE_1)
	s_xor_b32 s11, exec_lo, s11
	s_cbranch_execz .LBB150_22
.LBB150_1105:                           ;   in Loop: Header=BB150_3 Depth=1
	v_readlane_b32 s13, v107, 22
	s_and_saveexec_b32 s12, s13
	s_delay_alu instid0(SALU_CYCLE_1)
	s_xor_b32 s12, exec_lo, s12
	s_cbranch_execz .LBB150_1109
; %bb.1106:                             ;   in Loop: Header=BB150_3 Depth=1
	v_readlane_b32 s13, v106, 6
	s_and_saveexec_b32 s65, s13
; %bb.1107:                             ;   in Loop: Header=BB150_3 Depth=1
	ds_store_b64 v84, v[24:25]
; %bb.1108:                             ;   in Loop: Header=BB150_3 Depth=1
	s_or_b32 exec_lo, exec_lo, s65
.LBB150_1109:                           ;   in Loop: Header=BB150_3 Depth=1
	s_and_not1_saveexec_b32 s65, s12
	s_cbranch_execz .LBB150_1115
; %bb.1110:                             ;   in Loop: Header=BB150_3 Depth=1
	v_lshl_add_u64 v[42:43], v[18:19], 3, v[40:41]
	s_mov_b32 s82, exec_lo
                                        ; implicit-def: $vgpr44_vgpr45
	flat_load_b64 v[42:43], v[42:43]
	s_wait_loadcnt_dscnt 0x0
	v_cmpx_ngt_f32_e64 |v42|, |v43|
	s_xor_b32 s82, exec_lo, s82
	s_cbranch_execz .LBB150_1112
; %bb.1111:                             ;   in Loop: Header=BB150_3 Depth=1
	v_div_scale_f32 v0, null, -v43, -v43, v42
	v_div_scale_f32 v97, vcc_lo, v42, -v43, v42
	s_delay_alu instid0(VALU_DEP_2) | instskip(SKIP_1) | instid1(TRANS32_DEP_1)
	v_rcp_f32_e32 v44, v0
	v_nop
	v_fma_f32 v45, -v0, v44, 1.0
	s_delay_alu instid0(VALU_DEP_1) | instskip(NEXT) | instid1(VALU_DEP_1)
	v_fmac_f32_e32 v44, v45, v44
	v_mul_f32_e32 v45, v97, v44
	s_delay_alu instid0(VALU_DEP_1) | instskip(NEXT) | instid1(VALU_DEP_1)
	v_fma_f32 v98, -v0, v45, v97
	v_fmac_f32_e32 v45, v98, v44
	s_delay_alu instid0(VALU_DEP_1) | instskip(NEXT) | instid1(VALU_DEP_1)
	v_fma_f32 v0, -v0, v45, v97
	v_div_fmas_f32 v0, v0, v44, v45
	s_delay_alu instid0(VALU_DEP_1) | instskip(NEXT) | instid1(VALU_DEP_1)
	v_div_fixup_f32 v0, v0, -v43, v42
	v_fma_f32 v42, v42, v0, -v43
	s_delay_alu instid0(VALU_DEP_1) | instskip(SKIP_1) | instid1(VALU_DEP_2)
	v_div_scale_f32 v43, null, v42, v42, 1.0
	v_div_scale_f32 v97, vcc_lo, 1.0, v42, 1.0
	v_rcp_f32_e32 v44, v43
	v_nop
	s_delay_alu instid0(TRANS32_DEP_1) | instskip(NEXT) | instid1(VALU_DEP_1)
	v_fma_f32 v45, -v43, v44, 1.0
	v_fmac_f32_e32 v44, v45, v44
	s_delay_alu instid0(VALU_DEP_1) | instskip(NEXT) | instid1(VALU_DEP_1)
	v_mul_f32_e32 v45, v97, v44
	v_fma_f32 v98, -v43, v45, v97
	s_delay_alu instid0(VALU_DEP_1) | instskip(NEXT) | instid1(VALU_DEP_1)
	v_fmac_f32_e32 v45, v98, v44
	v_fma_f32 v43, -v43, v45, v97
	s_delay_alu instid0(VALU_DEP_1) | instskip(NEXT) | instid1(VALU_DEP_1)
	v_div_fmas_f32 v43, v43, v44, v45
	v_div_fixup_f32 v42, v43, v42, 1.0
	s_delay_alu instid0(VALU_DEP_1)
	v_mul_f32_e32 v44, v0, v42
	v_xor_b32_e32 v45, 0x80000000, v42
                                        ; implicit-def: $vgpr42_vgpr43
.LBB150_1112:                           ;   in Loop: Header=BB150_3 Depth=1
	s_and_not1_saveexec_b32 s82, s82
	s_cbranch_execz .LBB150_1114
; %bb.1113:                             ;   in Loop: Header=BB150_3 Depth=1
	v_div_scale_f32 v0, null, v42, v42, -v43
	v_div_scale_f32 v97, vcc_lo, -v43, v42, -v43
	s_delay_alu instid0(VALU_DEP_2) | instskip(SKIP_1) | instid1(TRANS32_DEP_1)
	v_rcp_f32_e32 v44, v0
	v_nop
	v_fma_f32 v45, -v0, v44, 1.0
	s_delay_alu instid0(VALU_DEP_1) | instskip(NEXT) | instid1(VALU_DEP_1)
	v_fmac_f32_e32 v44, v45, v44
	v_mul_f32_e32 v45, v97, v44
	s_delay_alu instid0(VALU_DEP_1) | instskip(NEXT) | instid1(VALU_DEP_1)
	v_fma_f32 v98, -v0, v45, v97
	v_fmac_f32_e32 v45, v98, v44
	s_delay_alu instid0(VALU_DEP_1) | instskip(NEXT) | instid1(VALU_DEP_1)
	v_fma_f32 v0, -v0, v45, v97
	v_div_fmas_f32 v0, v0, v44, v45
	s_delay_alu instid0(VALU_DEP_1) | instskip(NEXT) | instid1(VALU_DEP_1)
	v_div_fixup_f32 v0, v0, v42, -v43
	v_fma_f32 v42, -v43, v0, v42
	s_delay_alu instid0(VALU_DEP_1) | instskip(NEXT) | instid1(VALU_DEP_1)
	v_div_scale_f32 v43, null, v42, v42, 1.0
	v_rcp_f32_e32 v44, v43
	v_nop
	s_delay_alu instid0(TRANS32_DEP_1) | instskip(NEXT) | instid1(VALU_DEP_1)
	v_fma_f32 v45, -v43, v44, 1.0
	v_fmac_f32_e32 v44, v45, v44
	v_div_scale_f32 v45, vcc_lo, 1.0, v42, 1.0
	s_delay_alu instid0(VALU_DEP_1) | instskip(NEXT) | instid1(VALU_DEP_1)
	v_mul_f32_e32 v97, v45, v44
	v_fma_f32 v98, -v43, v97, v45
	s_delay_alu instid0(VALU_DEP_1) | instskip(NEXT) | instid1(VALU_DEP_1)
	v_fmac_f32_e32 v97, v98, v44
	v_fma_f32 v43, -v43, v97, v45
	s_delay_alu instid0(VALU_DEP_1) | instskip(NEXT) | instid1(VALU_DEP_1)
	v_div_fmas_f32 v43, v43, v44, v97
	v_div_fixup_f32 v44, v43, v42, 1.0
	s_delay_alu instid0(VALU_DEP_1)
	v_mul_f32_e64 v45, v0, -v44
.LBB150_1114:                           ;   in Loop: Header=BB150_3 Depth=1
	s_or_b32 exec_lo, exec_lo, s82
	ds_store_b64 v84, v[44:45]
.LBB150_1115:                           ;   in Loop: Header=BB150_3 Depth=1
	s_or_b32 exec_lo, exec_lo, s65
	s_and_not1_saveexec_b32 s11, s11
	s_cbranch_execnz .LBB150_23
	s_branch .LBB150_24
.LBB150_1116:                           ;   in Loop: Header=BB150_3 Depth=1
	ds_load_b64 v[34:35], v91
	ds_load_b64 v[36:37], v86
	s_wait_dscnt 0x0
	v_dual_mul_f32 v0, v37, v35 :: v_dual_mul_f32 v35, v36, v35
	s_delay_alu instid0(VALU_DEP_1) | instskip(NEXT) | instid1(VALU_DEP_1)
	v_dual_fma_f32 v0, v36, v34, -v0 :: v_dual_fmac_f32 v35, v37, v34
	v_dual_add_f32 v34, 0, v0 :: v_dual_add_f32 v35, 0, v35
	s_or_b32 exec_lo, exec_lo, s11
	s_and_saveexec_b32 s11, s7
	s_cbranch_execz .LBB150_1048
.LBB150_1117:                           ;   in Loop: Header=BB150_3 Depth=1
	ds_load_b64 v[36:37], v91 offset:8192
	ds_load_b64 v[42:43], v86 offset:128
	s_wait_dscnt 0x0
	v_dual_mul_f32 v0, v43, v37 :: v_dual_mul_f32 v45, v42, v37
	s_delay_alu instid0(VALU_DEP_1) | instskip(NEXT) | instid1(VALU_DEP_1)
	v_dual_fma_f32 v44, v42, v36, -v0 :: v_dual_fmac_f32 v45, v43, v36
	v_pk_add_f32 v[34:35], v[34:35], v[44:45]
	s_or_b32 exec_lo, exec_lo, s11
	s_and_saveexec_b32 s11, s8
	s_cbranch_execz .LBB150_1049
.LBB150_1118:                           ;   in Loop: Header=BB150_3 Depth=1
	ds_load_b64 v[36:37], v91 offset:16384
	ds_load_b64 v[42:43], v86 offset:256
	s_wait_dscnt 0x0
	v_pk_mul_f32 v[44:45], v[42:43], v[36:37] op_sel:[1,1] op_sel_hi:[0,1]
	s_delay_alu instid0(VALU_DEP_1) | instskip(SKIP_1) | instid1(VALU_DEP_2)
	v_pk_fma_f32 v[98:99], v[42:43], v[36:37], v[44:45] op_sel_hi:[1,0,1]
	v_pk_fma_f32 v[36:37], v[42:43], v[36:37], v[44:45] neg_lo:[0,0,1] neg_hi:[0,0,1]
	v_mov_b32_e32 v37, v99
	s_delay_alu instid0(VALU_DEP_1)
	v_pk_add_f32 v[34:35], v[34:35], v[36:37]
	s_or_b32 exec_lo, exec_lo, s11
	s_and_saveexec_b32 s11, s9
	s_cbranch_execnz .LBB150_1050
	s_branch .LBB150_1051
.LBB150_1119:                           ;   in Loop: Header=BB150_3 Depth=1
	s_or_b32 exec_lo, exec_lo, s82
	s_delay_alu instid0(SALU_CYCLE_1)
	s_and_b32 vcc_lo, exec_lo, s65
	s_cbranch_vccnz .LBB150_1054
.LBB150_1120:                           ;   in Loop: Header=BB150_3 Depth=1
	v_mov_b64_e32 v[40:41], v[36:37]
	v_mov_b64_e32 v[34:35], v[22:23]
	s_and_saveexec_b32 s12, s11
	s_cbranch_execz .LBB150_1122
.LBB150_1121:                           ;   in Loop: Header=BB150_3 Depth=1
	s_delay_alu instid0(VALU_DEP_1)
	v_lshl_add_u64 v[34:35], v[34:35], 3, v[38:39]
	flat_store_b64 v[34:35], v[40:41]
.LBB150_1122:                           ;   in Loop: Header=BB150_3 Depth=1
	s_wait_xcnt 0x0
	s_or_b32 exec_lo, exec_lo, s12
	global_wb scope:SCOPE_DEV
	s_wait_storecnt_dscnt 0x0
	global_inv scope:SCOPE_DEV
	s_wait_loadcnt 0x0
	s_barrier_signal -1
	s_barrier_wait -1
	s_and_saveexec_b32 s11, s38
	s_cbranch_execz .LBB150_2
; %bb.1123:                             ;   in Loop: Header=BB150_3 Depth=1
	s_lshl_b64 s[82:83], s[66:67], 2
	s_delay_alu instid0(SALU_CYCLE_1)
	s_add_nc_u64 s[82:83], s[80:81], s[82:83]
	global_load_b32 v0, v1, s[82:83]
	s_wait_loadcnt 0x0
	v_add_nc_u32_e32 v0, 1, v0
	global_store_b32 v1, v0, s[82:83]
	s_branch .LBB150_2
.LBB150_1124:                           ;   in Loop: Header=BB150_3 Depth=1
	ds_load_b64 v[42:43], v54 offset:31680
	ds_load_b64 v[44:45], v55 offset:32744
	s_wait_dscnt 0x0
	v_dual_mul_f32 v0, v45, v43 :: v_dual_mul_f32 v43, v44, v43
	s_delay_alu instid0(VALU_DEP_1) | instskip(NEXT) | instid1(VALU_DEP_1)
	v_dual_fma_f32 v0, v44, v42, -v0 :: v_dual_fmac_f32 v43, v45, v42
	v_dual_add_f32 v40, v40, v0 :: v_dual_add_f32 v41, v41, v43
	s_or_b32 exec_lo, exec_lo, s12
	s_and_saveexec_b32 s12, s19
	s_cbranch_execz .LBB150_104
.LBB150_1125:                           ;   in Loop: Header=BB150_3 Depth=1
	ds_load_b64 v[42:43], v54 offset:32192
	ds_load_b64 v[44:45], v55 offset:32752
	s_wait_dscnt 0x0
	v_dual_mul_f32 v0, v45, v43 :: v_dual_mul_f32 v43, v44, v43
	s_delay_alu instid0(VALU_DEP_1) | instskip(NEXT) | instid1(VALU_DEP_1)
	v_dual_fma_f32 v0, v44, v42, -v0 :: v_dual_fmac_f32 v43, v45, v42
	v_dual_add_f32 v40, v40, v0 :: v_dual_add_f32 v41, v41, v43
	s_or_b32 exec_lo, exec_lo, s12
	s_and_saveexec_b32 s12, s1
	s_cbranch_execnz .LBB150_105
	s_branch .LBB150_106
.LBB150_1126:                           ;   in Loop: Header=BB150_3 Depth=1
	ds_load_b64 v[42:43], v61 offset:29568
	ds_load_b64 v[44:45], v62 offset:32712
	s_wait_dscnt 0x0
	v_dual_mul_f32 v0, v45, v43 :: v_dual_mul_f32 v43, v44, v43
	s_delay_alu instid0(VALU_DEP_1) | instskip(NEXT) | instid1(VALU_DEP_1)
	v_dual_fma_f32 v0, v44, v42, -v0 :: v_dual_fmac_f32 v43, v45, v42
	v_dual_add_f32 v40, v40, v0 :: v_dual_add_f32 v41, v41, v43
	s_or_b32 exec_lo, exec_lo, s12
	s_and_saveexec_b32 s12, s21
	s_cbranch_execz .LBB150_146
.LBB150_1127:                           ;   in Loop: Header=BB150_3 Depth=1
	ds_load_b64 v[42:43], v61 offset:30080
	ds_load_b64 v[44:45], v62 offset:32720
	s_wait_dscnt 0x0
	v_dual_mul_f32 v0, v45, v43 :: v_dual_mul_f32 v43, v44, v43
	s_delay_alu instid0(VALU_DEP_1) | instskip(NEXT) | instid1(VALU_DEP_1)
	v_dual_fma_f32 v0, v44, v42, -v0 :: v_dual_fmac_f32 v43, v45, v42
	v_dual_add_f32 v40, v40, v0 :: v_dual_add_f32 v41, v41, v43
	s_or_b32 exec_lo, exec_lo, s12
	s_and_saveexec_b32 s12, s22
	s_cbranch_execz .LBB150_147
.LBB150_1128:                           ;   in Loop: Header=BB150_3 Depth=1
	ds_load_b64 v[42:43], v61 offset:30592
	ds_load_b64 v[44:45], v62 offset:32728
	s_wait_dscnt 0x0
	v_dual_mul_f32 v0, v45, v43 :: v_dual_mul_f32 v43, v44, v43
	s_delay_alu instid0(VALU_DEP_1) | instskip(NEXT) | instid1(VALU_DEP_1)
	v_dual_fma_f32 v0, v44, v42, -v0 :: v_dual_fmac_f32 v43, v45, v42
	v_dual_add_f32 v40, v40, v0 :: v_dual_add_f32 v41, v41, v43
	s_or_b32 exec_lo, exec_lo, s12
	s_and_saveexec_b32 s12, s23
	s_cbranch_execz .LBB150_148
.LBB150_1129:                           ;   in Loop: Header=BB150_3 Depth=1
	ds_load_b64 v[42:43], v61 offset:31104
	ds_load_b64 v[44:45], v62 offset:32736
	s_wait_dscnt 0x0
	v_dual_mul_f32 v0, v45, v43 :: v_dual_mul_f32 v43, v44, v43
	s_delay_alu instid0(VALU_DEP_1) | instskip(NEXT) | instid1(VALU_DEP_1)
	v_dual_fma_f32 v0, v44, v42, -v0 :: v_dual_fmac_f32 v43, v45, v42
	v_dual_add_f32 v40, v40, v0 :: v_dual_add_f32 v41, v41, v43
	s_or_b32 exec_lo, exec_lo, s12
	s_and_saveexec_b32 s12, s24
	s_cbranch_execz .LBB150_149
.LBB150_1130:                           ;   in Loop: Header=BB150_3 Depth=1
	ds_load_b64 v[42:43], v61 offset:31616
	ds_load_b64 v[44:45], v62 offset:32744
	s_wait_dscnt 0x0
	v_dual_mul_f32 v0, v45, v43 :: v_dual_mul_f32 v43, v44, v43
	s_delay_alu instid0(VALU_DEP_1) | instskip(NEXT) | instid1(VALU_DEP_1)
	v_dual_fma_f32 v0, v44, v42, -v0 :: v_dual_fmac_f32 v43, v45, v42
	v_dual_add_f32 v40, v40, v0 :: v_dual_add_f32 v41, v41, v43
	s_or_b32 exec_lo, exec_lo, s12
	s_and_saveexec_b32 s12, s3
	s_cbranch_execz .LBB150_150
.LBB150_1131:                           ;   in Loop: Header=BB150_3 Depth=1
	ds_load_b64 v[42:43], v61 offset:32128
	ds_load_b64 v[44:45], v62 offset:32752
	s_wait_dscnt 0x0
	v_dual_mul_f32 v0, v45, v43 :: v_dual_mul_f32 v43, v44, v43
	s_delay_alu instid0(VALU_DEP_1) | instskip(NEXT) | instid1(VALU_DEP_1)
	v_dual_fma_f32 v0, v44, v42, -v0 :: v_dual_fmac_f32 v43, v45, v42
	v_dual_add_f32 v40, v40, v0 :: v_dual_add_f32 v41, v41, v43
	s_or_b32 exec_lo, exec_lo, s12
	s_and_saveexec_b32 s12, s19
	s_cbranch_execnz .LBB150_151
	s_branch .LBB150_152
.LBB150_1132:                           ;   in Loop: Header=BB150_3 Depth=1
	ds_load_b64 v[42:43], v54 offset:27520
	ds_load_b64 v[44:45], v55 offset:28584
	s_wait_dscnt 0x0
	v_dual_mul_f32 v0, v45, v43 :: v_dual_mul_f32 v43, v44, v43
	s_delay_alu instid0(VALU_DEP_1) | instskip(NEXT) | instid1(VALU_DEP_1)
	v_dual_fma_f32 v0, v44, v42, -v0 :: v_dual_fmac_f32 v43, v45, v42
	v_dual_add_f32 v40, v40, v0 :: v_dual_add_f32 v41, v41, v43
	s_or_b32 exec_lo, exec_lo, s12
	s_and_saveexec_b32 s12, s19
	s_cbranch_execz .LBB150_208
.LBB150_1133:                           ;   in Loop: Header=BB150_3 Depth=1
	ds_load_b64 v[42:43], v54 offset:28032
	ds_load_b64 v[44:45], v55 offset:28592
	s_wait_dscnt 0x0
	v_dual_mul_f32 v0, v45, v43 :: v_dual_mul_f32 v43, v44, v43
	s_delay_alu instid0(VALU_DEP_1) | instskip(NEXT) | instid1(VALU_DEP_1)
	v_dual_fma_f32 v0, v44, v42, -v0 :: v_dual_fmac_f32 v43, v45, v42
	v_dual_add_f32 v40, v40, v0 :: v_dual_add_f32 v41, v41, v43
	s_or_b32 exec_lo, exec_lo, s12
	s_and_saveexec_b32 s12, s1
	s_cbranch_execnz .LBB150_209
	s_branch .LBB150_210
.LBB150_1134:                           ;   in Loop: Header=BB150_3 Depth=1
	ds_load_b64 v[42:43], v65 offset:30464
	ds_load_b64 v[44:45], v66 offset:32728
	s_wait_dscnt 0x0
	v_dual_mul_f32 v0, v45, v43 :: v_dual_mul_f32 v43, v44, v43
	s_delay_alu instid0(VALU_DEP_1) | instskip(NEXT) | instid1(VALU_DEP_1)
	v_dual_fma_f32 v0, v44, v42, -v0 :: v_dual_fmac_f32 v43, v45, v42
	v_dual_add_f32 v40, v40, v0 :: v_dual_add_f32 v41, v41, v43
	s_or_b32 exec_lo, exec_lo, s11
	s_and_saveexec_b32 s11, s4
	s_cbranch_execz .LBB150_270
.LBB150_1135:                           ;   in Loop: Header=BB150_3 Depth=1
	ds_load_b64 v[42:43], v65 offset:30976
	ds_load_b64 v[44:45], v66 offset:32736
	s_wait_dscnt 0x0
	v_dual_mul_f32 v0, v45, v43 :: v_dual_mul_f32 v43, v44, v43
	s_delay_alu instid0(VALU_DEP_1) | instskip(NEXT) | instid1(VALU_DEP_1)
	v_dual_fma_f32 v0, v44, v42, -v0 :: v_dual_fmac_f32 v43, v45, v42
	v_dual_add_f32 v40, v40, v0 :: v_dual_add_f32 v41, v41, v43
	s_or_b32 exec_lo, exec_lo, s11
	s_and_saveexec_b32 s11, s21
	s_cbranch_execz .LBB150_271
.LBB150_1136:                           ;   in Loop: Header=BB150_3 Depth=1
	ds_load_b64 v[42:43], v65 offset:31488
	ds_load_b64 v[44:45], v66 offset:32744
	s_wait_dscnt 0x0
	v_dual_mul_f32 v0, v45, v43 :: v_dual_mul_f32 v43, v44, v43
	s_delay_alu instid0(VALU_DEP_1) | instskip(NEXT) | instid1(VALU_DEP_1)
	v_dual_fma_f32 v0, v44, v42, -v0 :: v_dual_fmac_f32 v43, v45, v42
	v_dual_add_f32 v40, v40, v0 :: v_dual_add_f32 v41, v41, v43
	s_or_b32 exec_lo, exec_lo, s11
	s_and_saveexec_b32 s11, s23
	s_cbranch_execz .LBB150_272
.LBB150_1137:                           ;   in Loop: Header=BB150_3 Depth=1
	ds_load_b64 v[42:43], v65 offset:32000
	ds_load_b64 v[44:45], v66 offset:32752
	s_wait_dscnt 0x0
	v_dual_mul_f32 v0, v45, v43 :: v_dual_mul_f32 v43, v44, v43
	s_delay_alu instid0(VALU_DEP_1) | instskip(NEXT) | instid1(VALU_DEP_1)
	v_dual_fma_f32 v0, v44, v42, -v0 :: v_dual_fmac_f32 v43, v45, v42
	v_dual_add_f32 v40, v40, v0 :: v_dual_add_f32 v41, v41, v43
	s_or_b32 exec_lo, exec_lo, s11
	s_and_saveexec_b32 s11, s3
	s_cbranch_execnz .LBB150_273
	s_branch .LBB150_274
.LBB150_1138:                           ;   in Loop: Header=BB150_3 Depth=1
	ds_load_b64 v[42:43], v54 offset:23360
	ds_load_b64 v[44:45], v55 offset:24424
	s_wait_dscnt 0x0
	v_dual_mul_f32 v0, v45, v43 :: v_dual_mul_f32 v43, v44, v43
	s_delay_alu instid0(VALU_DEP_1) | instskip(NEXT) | instid1(VALU_DEP_1)
	v_dual_fma_f32 v0, v44, v42, -v0 :: v_dual_fmac_f32 v43, v45, v42
	v_dual_add_f32 v40, v40, v0 :: v_dual_add_f32 v41, v41, v43
	s_or_b32 exec_lo, exec_lo, s12
	s_and_saveexec_b32 s12, s19
	s_cbranch_execz .LBB150_362
.LBB150_1139:                           ;   in Loop: Header=BB150_3 Depth=1
	ds_load_b64 v[42:43], v54 offset:23872
	ds_load_b64 v[44:45], v55 offset:24432
	s_wait_dscnt 0x0
	v_dual_mul_f32 v0, v45, v43 :: v_dual_mul_f32 v43, v44, v43
	s_delay_alu instid0(VALU_DEP_1) | instskip(NEXT) | instid1(VALU_DEP_1)
	v_dual_fma_f32 v0, v44, v42, -v0 :: v_dual_fmac_f32 v43, v45, v42
	v_dual_add_f32 v40, v40, v0 :: v_dual_add_f32 v41, v41, v43
	s_or_b32 exec_lo, exec_lo, s12
	s_and_saveexec_b32 s12, s1
	s_cbranch_execnz .LBB150_363
	s_branch .LBB150_364
.LBB150_1140:                           ;   in Loop: Header=BB150_3 Depth=1
	ds_load_b64 v[42:43], v61 offset:21248
	ds_load_b64 v[44:45], v62 offset:24392
	s_wait_dscnt 0x0
	v_dual_mul_f32 v0, v45, v43 :: v_dual_mul_f32 v43, v44, v43
	s_delay_alu instid0(VALU_DEP_1) | instskip(NEXT) | instid1(VALU_DEP_1)
	v_dual_fma_f32 v0, v44, v42, -v0 :: v_dual_fmac_f32 v43, v45, v42
	v_dual_add_f32 v40, v40, v0 :: v_dual_add_f32 v41, v41, v43
	s_or_b32 exec_lo, exec_lo, s12
	s_and_saveexec_b32 s12, s21
	s_cbranch_execz .LBB150_404
.LBB150_1141:                           ;   in Loop: Header=BB150_3 Depth=1
	ds_load_b64 v[42:43], v61 offset:21760
	ds_load_b64 v[44:45], v62 offset:24400
	s_wait_dscnt 0x0
	v_dual_mul_f32 v0, v45, v43 :: v_dual_mul_f32 v43, v44, v43
	s_delay_alu instid0(VALU_DEP_1) | instskip(NEXT) | instid1(VALU_DEP_1)
	v_dual_fma_f32 v0, v44, v42, -v0 :: v_dual_fmac_f32 v43, v45, v42
	v_dual_add_f32 v40, v40, v0 :: v_dual_add_f32 v41, v41, v43
	s_or_b32 exec_lo, exec_lo, s12
	s_and_saveexec_b32 s12, s22
	s_cbranch_execz .LBB150_405
.LBB150_1142:                           ;   in Loop: Header=BB150_3 Depth=1
	ds_load_b64 v[42:43], v61 offset:22272
	ds_load_b64 v[44:45], v62 offset:24408
	s_wait_dscnt 0x0
	v_dual_mul_f32 v0, v45, v43 :: v_dual_mul_f32 v43, v44, v43
	s_delay_alu instid0(VALU_DEP_1) | instskip(NEXT) | instid1(VALU_DEP_1)
	v_dual_fma_f32 v0, v44, v42, -v0 :: v_dual_fmac_f32 v43, v45, v42
	v_dual_add_f32 v40, v40, v0 :: v_dual_add_f32 v41, v41, v43
	s_or_b32 exec_lo, exec_lo, s12
	s_and_saveexec_b32 s12, s23
	s_cbranch_execz .LBB150_406
.LBB150_1143:                           ;   in Loop: Header=BB150_3 Depth=1
	ds_load_b64 v[42:43], v61 offset:22784
	ds_load_b64 v[44:45], v62 offset:24416
	s_wait_dscnt 0x0
	v_dual_mul_f32 v0, v45, v43 :: v_dual_mul_f32 v43, v44, v43
	s_delay_alu instid0(VALU_DEP_1) | instskip(NEXT) | instid1(VALU_DEP_1)
	v_dual_fma_f32 v0, v44, v42, -v0 :: v_dual_fmac_f32 v43, v45, v42
	v_dual_add_f32 v40, v40, v0 :: v_dual_add_f32 v41, v41, v43
	s_or_b32 exec_lo, exec_lo, s12
	s_and_saveexec_b32 s12, s24
	s_cbranch_execz .LBB150_407
.LBB150_1144:                           ;   in Loop: Header=BB150_3 Depth=1
	ds_load_b64 v[42:43], v61 offset:23296
	ds_load_b64 v[44:45], v62 offset:24424
	s_wait_dscnt 0x0
	v_dual_mul_f32 v0, v45, v43 :: v_dual_mul_f32 v43, v44, v43
	s_delay_alu instid0(VALU_DEP_1) | instskip(NEXT) | instid1(VALU_DEP_1)
	v_dual_fma_f32 v0, v44, v42, -v0 :: v_dual_fmac_f32 v43, v45, v42
	v_dual_add_f32 v40, v40, v0 :: v_dual_add_f32 v41, v41, v43
	s_or_b32 exec_lo, exec_lo, s12
	s_and_saveexec_b32 s12, s3
	s_cbranch_execz .LBB150_408
.LBB150_1145:                           ;   in Loop: Header=BB150_3 Depth=1
	ds_load_b64 v[42:43], v61 offset:23808
	ds_load_b64 v[44:45], v62 offset:24432
	s_wait_dscnt 0x0
	v_dual_mul_f32 v0, v45, v43 :: v_dual_mul_f32 v43, v44, v43
	s_delay_alu instid0(VALU_DEP_1) | instskip(NEXT) | instid1(VALU_DEP_1)
	v_dual_fma_f32 v0, v44, v42, -v0 :: v_dual_fmac_f32 v43, v45, v42
	v_dual_add_f32 v40, v40, v0 :: v_dual_add_f32 v41, v41, v43
	s_or_b32 exec_lo, exec_lo, s12
	s_and_saveexec_b32 s12, s19
	s_cbranch_execnz .LBB150_409
	s_branch .LBB150_410
.LBB150_1146:                           ;   in Loop: Header=BB150_3 Depth=1
	ds_load_b64 v[42:43], v54 offset:19200
	ds_load_b64 v[44:45], v55 offset:20264
	s_wait_dscnt 0x0
	v_dual_mul_f32 v0, v45, v43 :: v_dual_mul_f32 v43, v44, v43
	s_delay_alu instid0(VALU_DEP_1) | instskip(NEXT) | instid1(VALU_DEP_1)
	v_dual_fma_f32 v0, v44, v42, -v0 :: v_dual_fmac_f32 v43, v45, v42
	v_dual_add_f32 v40, v40, v0 :: v_dual_add_f32 v41, v41, v43
	s_or_b32 exec_lo, exec_lo, s12
	s_and_saveexec_b32 s12, s19
	s_cbranch_execz .LBB150_466
.LBB150_1147:                           ;   in Loop: Header=BB150_3 Depth=1
	ds_load_b64 v[42:43], v54 offset:19712
	ds_load_b64 v[44:45], v55 offset:20272
	s_wait_dscnt 0x0
	v_dual_mul_f32 v0, v45, v43 :: v_dual_mul_f32 v43, v44, v43
	s_delay_alu instid0(VALU_DEP_1) | instskip(NEXT) | instid1(VALU_DEP_1)
	v_dual_fma_f32 v0, v44, v42, -v0 :: v_dual_fmac_f32 v43, v45, v42
	v_dual_add_f32 v40, v40, v0 :: v_dual_add_f32 v41, v41, v43
	s_or_b32 exec_lo, exec_lo, s12
	s_and_saveexec_b32 s12, s1
	s_cbranch_execnz .LBB150_467
	s_branch .LBB150_468
.LBB150_1148:                           ;   in Loop: Header=BB150_3 Depth=1
	ds_load_b64 v[42:43], v69 offset:31232
	ds_load_b64 v[44:45], v71 offset:32744
	s_wait_dscnt 0x0
	v_pk_mul_f32 v[98:99], v[44:45], v[42:43] op_sel:[1,1] op_sel_hi:[0,1]
	s_delay_alu instid0(VALU_DEP_1) | instskip(SKIP_1) | instid1(VALU_DEP_2)
	v_pk_fma_f32 v[100:101], v[44:45], v[42:43], v[98:99] op_sel_hi:[1,0,1]
	v_pk_fma_f32 v[42:43], v[44:45], v[42:43], v[98:99] neg_lo:[0,0,1] neg_hi:[0,0,1]
	v_mov_b32_e32 v43, v101
	s_delay_alu instid0(VALU_DEP_1)
	v_pk_add_f32 v[40:41], v[40:41], v[42:43]
	s_or_b32 exec_lo, exec_lo, s11
	s_and_saveexec_b32 s11, s4
	s_cbranch_execz .LBB150_564
.LBB150_1149:                           ;   in Loop: Header=BB150_3 Depth=1
	ds_load_b64 v[42:43], v69 offset:31744
	ds_load_b64 v[44:45], v71 offset:32752
	s_wait_dscnt 0x0
	v_pk_mul_f32 v[98:99], v[44:45], v[42:43] op_sel:[1,1] op_sel_hi:[0,1]
	s_delay_alu instid0(VALU_DEP_1) | instskip(SKIP_1) | instid1(VALU_DEP_2)
	v_pk_fma_f32 v[100:101], v[44:45], v[42:43], v[98:99] op_sel_hi:[1,0,1]
	v_pk_fma_f32 v[42:43], v[44:45], v[42:43], v[98:99] neg_lo:[0,0,1] neg_hi:[0,0,1]
	v_mov_b32_e32 v43, v101
	s_delay_alu instid0(VALU_DEP_1) | instskip(SKIP_2) | instid1(SALU_CYCLE_1)
	v_pk_add_f32 v[40:41], v[40:41], v[42:43]
	s_or_b32 exec_lo, exec_lo, s11
	s_and_saveexec_b32 s11, s23
	s_xor_b32 s11, exec_lo, s11
	s_cbranch_execnz .LBB150_565
	s_branch .LBB150_566
.LBB150_1150:                           ;   in Loop: Header=BB150_3 Depth=1
	ds_load_b64 v[42:43], v54 offset:15040
	ds_load_b64 v[44:45], v55 offset:16104
	s_wait_dscnt 0x0
	v_dual_mul_f32 v0, v45, v43 :: v_dual_mul_f32 v43, v44, v43
	s_delay_alu instid0(VALU_DEP_1) | instskip(NEXT) | instid1(VALU_DEP_1)
	v_dual_fma_f32 v0, v44, v42, -v0 :: v_dual_fmac_f32 v43, v45, v42
	v_dual_add_f32 v40, v40, v0 :: v_dual_add_f32 v41, v41, v43
	s_or_b32 exec_lo, exec_lo, s12
	s_and_saveexec_b32 s12, s19
	s_cbranch_execz .LBB150_602
.LBB150_1151:                           ;   in Loop: Header=BB150_3 Depth=1
	ds_load_b64 v[42:43], v54 offset:15552
	ds_load_b64 v[44:45], v55 offset:16112
	s_wait_dscnt 0x0
	v_dual_mul_f32 v0, v45, v43 :: v_dual_mul_f32 v43, v44, v43
	s_delay_alu instid0(VALU_DEP_1) | instskip(NEXT) | instid1(VALU_DEP_1)
	v_dual_fma_f32 v0, v44, v42, -v0 :: v_dual_fmac_f32 v43, v45, v42
	v_dual_add_f32 v40, v40, v0 :: v_dual_add_f32 v41, v41, v43
	s_or_b32 exec_lo, exec_lo, s12
	s_and_saveexec_b32 s12, s1
	s_cbranch_execnz .LBB150_603
	s_branch .LBB150_604
.LBB150_1152:                           ;   in Loop: Header=BB150_3 Depth=1
	ds_load_b64 v[42:43], v61 offset:12928
	ds_load_b64 v[44:45], v62 offset:16072
	s_wait_dscnt 0x0
	v_dual_mul_f32 v0, v45, v43 :: v_dual_mul_f32 v43, v44, v43
	s_delay_alu instid0(VALU_DEP_1) | instskip(NEXT) | instid1(VALU_DEP_1)
	v_dual_fma_f32 v0, v44, v42, -v0 :: v_dual_fmac_f32 v43, v45, v42
	v_dual_add_f32 v40, v40, v0 :: v_dual_add_f32 v41, v41, v43
	s_or_b32 exec_lo, exec_lo, s12
	s_and_saveexec_b32 s12, s21
	s_cbranch_execz .LBB150_644
.LBB150_1153:                           ;   in Loop: Header=BB150_3 Depth=1
	ds_load_b64 v[42:43], v61 offset:13440
	ds_load_b64 v[44:45], v62 offset:16080
	s_wait_dscnt 0x0
	v_dual_mul_f32 v0, v45, v43 :: v_dual_mul_f32 v43, v44, v43
	s_delay_alu instid0(VALU_DEP_1) | instskip(NEXT) | instid1(VALU_DEP_1)
	v_dual_fma_f32 v0, v44, v42, -v0 :: v_dual_fmac_f32 v43, v45, v42
	v_dual_add_f32 v40, v40, v0 :: v_dual_add_f32 v41, v41, v43
	s_or_b32 exec_lo, exec_lo, s12
	s_and_saveexec_b32 s12, s22
	s_cbranch_execz .LBB150_645
.LBB150_1154:                           ;   in Loop: Header=BB150_3 Depth=1
	ds_load_b64 v[42:43], v61 offset:13952
	ds_load_b64 v[44:45], v62 offset:16088
	s_wait_dscnt 0x0
	v_dual_mul_f32 v0, v45, v43 :: v_dual_mul_f32 v43, v44, v43
	s_delay_alu instid0(VALU_DEP_1) | instskip(NEXT) | instid1(VALU_DEP_1)
	v_dual_fma_f32 v0, v44, v42, -v0 :: v_dual_fmac_f32 v43, v45, v42
	v_dual_add_f32 v40, v40, v0 :: v_dual_add_f32 v41, v41, v43
	s_or_b32 exec_lo, exec_lo, s12
	s_and_saveexec_b32 s12, s23
	s_cbranch_execz .LBB150_646
.LBB150_1155:                           ;   in Loop: Header=BB150_3 Depth=1
	ds_load_b64 v[42:43], v61 offset:14464
	ds_load_b64 v[44:45], v62 offset:16096
	s_wait_dscnt 0x0
	v_dual_mul_f32 v0, v45, v43 :: v_dual_mul_f32 v43, v44, v43
	s_delay_alu instid0(VALU_DEP_1) | instskip(NEXT) | instid1(VALU_DEP_1)
	v_dual_fma_f32 v0, v44, v42, -v0 :: v_dual_fmac_f32 v43, v45, v42
	v_dual_add_f32 v40, v40, v0 :: v_dual_add_f32 v41, v41, v43
	s_or_b32 exec_lo, exec_lo, s12
	s_and_saveexec_b32 s12, s24
	s_cbranch_execz .LBB150_647
.LBB150_1156:                           ;   in Loop: Header=BB150_3 Depth=1
	ds_load_b64 v[42:43], v61 offset:14976
	ds_load_b64 v[44:45], v62 offset:16104
	s_wait_dscnt 0x0
	v_dual_mul_f32 v0, v45, v43 :: v_dual_mul_f32 v43, v44, v43
	s_delay_alu instid0(VALU_DEP_1) | instskip(NEXT) | instid1(VALU_DEP_1)
	v_dual_fma_f32 v0, v44, v42, -v0 :: v_dual_fmac_f32 v43, v45, v42
	v_dual_add_f32 v40, v40, v0 :: v_dual_add_f32 v41, v41, v43
	s_or_b32 exec_lo, exec_lo, s12
	s_and_saveexec_b32 s12, s3
	s_cbranch_execz .LBB150_648
.LBB150_1157:                           ;   in Loop: Header=BB150_3 Depth=1
	ds_load_b64 v[42:43], v61 offset:15488
	ds_load_b64 v[44:45], v62 offset:16112
	s_wait_dscnt 0x0
	v_dual_mul_f32 v0, v45, v43 :: v_dual_mul_f32 v43, v44, v43
	s_delay_alu instid0(VALU_DEP_1) | instskip(NEXT) | instid1(VALU_DEP_1)
	v_dual_fma_f32 v0, v44, v42, -v0 :: v_dual_fmac_f32 v43, v45, v42
	v_dual_add_f32 v40, v40, v0 :: v_dual_add_f32 v41, v41, v43
	s_or_b32 exec_lo, exec_lo, s12
	s_and_saveexec_b32 s12, s19
	s_cbranch_execnz .LBB150_649
	s_branch .LBB150_650
.LBB150_1158:                           ;   in Loop: Header=BB150_3 Depth=1
	ds_load_b64 v[42:43], v54 offset:10880
	ds_load_b64 v[44:45], v55 offset:11944
	s_wait_dscnt 0x0
	v_dual_mul_f32 v0, v45, v43 :: v_dual_mul_f32 v43, v44, v43
	s_delay_alu instid0(VALU_DEP_1) | instskip(NEXT) | instid1(VALU_DEP_1)
	v_dual_fma_f32 v0, v44, v42, -v0 :: v_dual_fmac_f32 v43, v45, v42
	v_dual_add_f32 v40, v40, v0 :: v_dual_add_f32 v41, v41, v43
	s_or_b32 exec_lo, exec_lo, s12
	s_and_saveexec_b32 s12, s19
	s_cbranch_execz .LBB150_706
.LBB150_1159:                           ;   in Loop: Header=BB150_3 Depth=1
	ds_load_b64 v[42:43], v54 offset:11392
	ds_load_b64 v[44:45], v55 offset:11952
	s_wait_dscnt 0x0
	v_dual_mul_f32 v0, v45, v43 :: v_dual_mul_f32 v43, v44, v43
	s_delay_alu instid0(VALU_DEP_1) | instskip(NEXT) | instid1(VALU_DEP_1)
	v_dual_fma_f32 v0, v44, v42, -v0 :: v_dual_fmac_f32 v43, v45, v42
	v_dual_add_f32 v40, v40, v0 :: v_dual_add_f32 v41, v41, v43
	s_or_b32 exec_lo, exec_lo, s12
	s_and_saveexec_b32 s12, s1
	s_cbranch_execnz .LBB150_707
	s_branch .LBB150_708
.LBB150_1160:                           ;   in Loop: Header=BB150_3 Depth=1
	ds_load_b64 v[42:43], v65 offset:13824
	ds_load_b64 v[44:45], v66 offset:16088
	s_wait_dscnt 0x0
	v_dual_mul_f32 v0, v45, v43 :: v_dual_mul_f32 v43, v44, v43
	s_delay_alu instid0(VALU_DEP_1) | instskip(NEXT) | instid1(VALU_DEP_1)
	v_dual_fma_f32 v0, v44, v42, -v0 :: v_dual_fmac_f32 v43, v45, v42
	v_dual_add_f32 v40, v40, v0 :: v_dual_add_f32 v41, v41, v43
	s_or_b32 exec_lo, exec_lo, s11
	s_and_saveexec_b32 s11, s4
	s_cbranch_execz .LBB150_768
.LBB150_1161:                           ;   in Loop: Header=BB150_3 Depth=1
	ds_load_b64 v[42:43], v65 offset:14336
	ds_load_b64 v[44:45], v66 offset:16096
	s_wait_dscnt 0x0
	v_dual_mul_f32 v0, v45, v43 :: v_dual_mul_f32 v43, v44, v43
	s_delay_alu instid0(VALU_DEP_1) | instskip(NEXT) | instid1(VALU_DEP_1)
	v_dual_fma_f32 v0, v44, v42, -v0 :: v_dual_fmac_f32 v43, v45, v42
	v_dual_add_f32 v40, v40, v0 :: v_dual_add_f32 v41, v41, v43
	s_or_b32 exec_lo, exec_lo, s11
	s_and_saveexec_b32 s11, s21
	s_cbranch_execz .LBB150_769
.LBB150_1162:                           ;   in Loop: Header=BB150_3 Depth=1
	ds_load_b64 v[42:43], v65 offset:14848
	ds_load_b64 v[44:45], v66 offset:16104
	s_wait_dscnt 0x0
	v_dual_mul_f32 v0, v45, v43 :: v_dual_mul_f32 v43, v44, v43
	s_delay_alu instid0(VALU_DEP_1) | instskip(NEXT) | instid1(VALU_DEP_1)
	v_dual_fma_f32 v0, v44, v42, -v0 :: v_dual_fmac_f32 v43, v45, v42
	v_dual_add_f32 v40, v40, v0 :: v_dual_add_f32 v41, v41, v43
	s_or_b32 exec_lo, exec_lo, s11
	s_and_saveexec_b32 s11, s23
	s_cbranch_execz .LBB150_770
.LBB150_1163:                           ;   in Loop: Header=BB150_3 Depth=1
	ds_load_b64 v[42:43], v65 offset:15360
	ds_load_b64 v[44:45], v66 offset:16112
	s_wait_dscnt 0x0
	v_dual_mul_f32 v0, v45, v43 :: v_dual_mul_f32 v43, v44, v43
	s_delay_alu instid0(VALU_DEP_1) | instskip(NEXT) | instid1(VALU_DEP_1)
	v_dual_fma_f32 v0, v44, v42, -v0 :: v_dual_fmac_f32 v43, v45, v42
	v_dual_add_f32 v40, v40, v0 :: v_dual_add_f32 v41, v41, v43
	s_or_b32 exec_lo, exec_lo, s11
	s_and_saveexec_b32 s11, s3
	s_cbranch_execnz .LBB150_771
	s_branch .LBB150_772
.LBB150_1164:                           ;   in Loop: Header=BB150_3 Depth=1
	ds_load_b64 v[42:43], v54 offset:6720
	ds_load_b64 v[44:45], v55 offset:7784
	s_wait_dscnt 0x0
	v_dual_mul_f32 v0, v45, v43 :: v_dual_mul_f32 v43, v44, v43
	s_delay_alu instid0(VALU_DEP_1) | instskip(NEXT) | instid1(VALU_DEP_1)
	v_dual_fma_f32 v0, v44, v42, -v0 :: v_dual_fmac_f32 v43, v45, v42
	v_dual_add_f32 v40, v40, v0 :: v_dual_add_f32 v41, v41, v43
	s_or_b32 exec_lo, exec_lo, s12
	s_and_saveexec_b32 s12, s19
	s_cbranch_execz .LBB150_860
.LBB150_1165:                           ;   in Loop: Header=BB150_3 Depth=1
	ds_load_b64 v[42:43], v54 offset:7232
	ds_load_b64 v[44:45], v55 offset:7792
	s_wait_dscnt 0x0
	v_dual_mul_f32 v0, v45, v43 :: v_dual_mul_f32 v43, v44, v43
	s_delay_alu instid0(VALU_DEP_1) | instskip(NEXT) | instid1(VALU_DEP_1)
	v_dual_fma_f32 v0, v44, v42, -v0 :: v_dual_fmac_f32 v43, v45, v42
	v_dual_add_f32 v40, v40, v0 :: v_dual_add_f32 v41, v41, v43
	s_or_b32 exec_lo, exec_lo, s12
	s_and_saveexec_b32 s12, s1
	s_cbranch_execnz .LBB150_861
	s_branch .LBB150_862
.LBB150_1166:                           ;   in Loop: Header=BB150_3 Depth=1
	ds_load_b64 v[42:43], v61 offset:4608
	ds_load_b64 v[44:45], v62 offset:7752
	s_wait_dscnt 0x0
	v_dual_mul_f32 v0, v45, v43 :: v_dual_mul_f32 v43, v44, v43
	s_delay_alu instid0(VALU_DEP_1) | instskip(NEXT) | instid1(VALU_DEP_1)
	v_dual_fma_f32 v0, v44, v42, -v0 :: v_dual_fmac_f32 v43, v45, v42
	v_dual_add_f32 v40, v40, v0 :: v_dual_add_f32 v41, v41, v43
	s_or_b32 exec_lo, exec_lo, s12
	s_and_saveexec_b32 s12, s21
	s_cbranch_execz .LBB150_902
.LBB150_1167:                           ;   in Loop: Header=BB150_3 Depth=1
	ds_load_b64 v[42:43], v61 offset:5120
	ds_load_b64 v[44:45], v62 offset:7760
	s_wait_dscnt 0x0
	v_dual_mul_f32 v0, v45, v43 :: v_dual_mul_f32 v43, v44, v43
	s_delay_alu instid0(VALU_DEP_1) | instskip(NEXT) | instid1(VALU_DEP_1)
	v_dual_fma_f32 v0, v44, v42, -v0 :: v_dual_fmac_f32 v43, v45, v42
	v_dual_add_f32 v40, v40, v0 :: v_dual_add_f32 v41, v41, v43
	s_or_b32 exec_lo, exec_lo, s12
	s_and_saveexec_b32 s12, s22
	s_cbranch_execz .LBB150_903
.LBB150_1168:                           ;   in Loop: Header=BB150_3 Depth=1
	ds_load_b64 v[42:43], v61 offset:5632
	ds_load_b64 v[44:45], v62 offset:7768
	s_wait_dscnt 0x0
	v_dual_mul_f32 v0, v45, v43 :: v_dual_mul_f32 v43, v44, v43
	s_delay_alu instid0(VALU_DEP_1) | instskip(NEXT) | instid1(VALU_DEP_1)
	v_dual_fma_f32 v0, v44, v42, -v0 :: v_dual_fmac_f32 v43, v45, v42
	v_dual_add_f32 v40, v40, v0 :: v_dual_add_f32 v41, v41, v43
	s_or_b32 exec_lo, exec_lo, s12
	s_and_saveexec_b32 s12, s23
	s_cbranch_execz .LBB150_904
.LBB150_1169:                           ;   in Loop: Header=BB150_3 Depth=1
	ds_load_b64 v[42:43], v61 offset:6144
	ds_load_b64 v[44:45], v62 offset:7776
	s_wait_dscnt 0x0
	v_dual_mul_f32 v0, v45, v43 :: v_dual_mul_f32 v43, v44, v43
	s_delay_alu instid0(VALU_DEP_1) | instskip(NEXT) | instid1(VALU_DEP_1)
	v_dual_fma_f32 v0, v44, v42, -v0 :: v_dual_fmac_f32 v43, v45, v42
	v_dual_add_f32 v40, v40, v0 :: v_dual_add_f32 v41, v41, v43
	s_or_b32 exec_lo, exec_lo, s12
	s_and_saveexec_b32 s12, s24
	s_cbranch_execz .LBB150_905
.LBB150_1170:                           ;   in Loop: Header=BB150_3 Depth=1
	ds_load_b64 v[42:43], v61 offset:6656
	ds_load_b64 v[44:45], v62 offset:7784
	s_wait_dscnt 0x0
	v_dual_mul_f32 v0, v45, v43 :: v_dual_mul_f32 v43, v44, v43
	s_delay_alu instid0(VALU_DEP_1) | instskip(NEXT) | instid1(VALU_DEP_1)
	v_dual_fma_f32 v0, v44, v42, -v0 :: v_dual_fmac_f32 v43, v45, v42
	v_dual_add_f32 v40, v40, v0 :: v_dual_add_f32 v41, v41, v43
	s_or_b32 exec_lo, exec_lo, s12
	s_and_saveexec_b32 s12, s3
	s_cbranch_execz .LBB150_906
.LBB150_1171:                           ;   in Loop: Header=BB150_3 Depth=1
	ds_load_b64 v[42:43], v61 offset:7168
	ds_load_b64 v[44:45], v62 offset:7792
	s_wait_dscnt 0x0
	v_dual_mul_f32 v0, v45, v43 :: v_dual_mul_f32 v43, v44, v43
	s_delay_alu instid0(VALU_DEP_1) | instskip(NEXT) | instid1(VALU_DEP_1)
	v_dual_fma_f32 v0, v44, v42, -v0 :: v_dual_fmac_f32 v43, v45, v42
	v_dual_add_f32 v40, v40, v0 :: v_dual_add_f32 v41, v41, v43
	s_or_b32 exec_lo, exec_lo, s12
	s_and_saveexec_b32 s12, s19
	s_cbranch_execnz .LBB150_907
	s_branch .LBB150_908
.LBB150_1172:                           ;   in Loop: Header=BB150_3 Depth=1
	ds_load_b64 v[42:43], v54 offset:2560
	ds_load_b64 v[44:45], v55 offset:3624
	s_wait_dscnt 0x0
	v_dual_mul_f32 v0, v45, v43 :: v_dual_mul_f32 v43, v44, v43
	s_delay_alu instid0(VALU_DEP_1) | instskip(NEXT) | instid1(VALU_DEP_1)
	v_dual_fma_f32 v0, v44, v42, -v0 :: v_dual_fmac_f32 v43, v45, v42
	v_dual_add_f32 v40, v40, v0 :: v_dual_add_f32 v41, v41, v43
	s_or_b32 exec_lo, exec_lo, s12
	s_and_saveexec_b32 s12, s19
	s_cbranch_execz .LBB150_964
.LBB150_1173:                           ;   in Loop: Header=BB150_3 Depth=1
	ds_load_b64 v[42:43], v54 offset:3072
	ds_load_b64 v[44:45], v55 offset:3632
	s_wait_dscnt 0x0
	v_dual_mul_f32 v0, v45, v43 :: v_dual_mul_f32 v43, v44, v43
	s_delay_alu instid0(VALU_DEP_1) | instskip(NEXT) | instid1(VALU_DEP_1)
	v_dual_fma_f32 v0, v44, v42, -v0 :: v_dual_fmac_f32 v43, v45, v42
	v_dual_add_f32 v40, v40, v0 :: v_dual_add_f32 v41, v41, v43
	s_or_b32 exec_lo, exec_lo, s12
	s_and_saveexec_b32 s12, s1
	s_cbranch_execnz .LBB150_965
	s_branch .LBB150_966
.LBB150_1174:
	s_endpgm
	.section	.rodata,"a",@progbits
	.p2align	6, 0x0
	.amdhsa_kernel _ZL19rocblas_trsv_deviceILi64ELi16ELb0ELb1ELb1ELb0E19rocblas_complex_numIfEPKS1_PKS3_PKPS1_EviT7_lllT6_T8_lllPii
		.amdhsa_group_segment_fixed_size 41480
		.amdhsa_private_segment_fixed_size 0
		.amdhsa_kernarg_size 352
		.amdhsa_user_sgpr_count 2
		.amdhsa_user_sgpr_dispatch_ptr 0
		.amdhsa_user_sgpr_queue_ptr 0
		.amdhsa_user_sgpr_kernarg_segment_ptr 1
		.amdhsa_user_sgpr_dispatch_id 0
		.amdhsa_user_sgpr_kernarg_preload_length 0
		.amdhsa_user_sgpr_kernarg_preload_offset 0
		.amdhsa_user_sgpr_private_segment_size 0
		.amdhsa_wavefront_size32 1
		.amdhsa_uses_dynamic_stack 0
		.amdhsa_enable_private_segment 0
		.amdhsa_system_sgpr_workgroup_id_x 1
		.amdhsa_system_sgpr_workgroup_id_y 0
		.amdhsa_system_sgpr_workgroup_id_z 1
		.amdhsa_system_sgpr_workgroup_info 0
		.amdhsa_system_vgpr_workitem_id 1
		.amdhsa_next_free_vgpr 108
		.amdhsa_next_free_sgpr 105
		.amdhsa_named_barrier_count 0
		.amdhsa_reserve_vcc 1
		.amdhsa_float_round_mode_32 0
		.amdhsa_float_round_mode_16_64 0
		.amdhsa_float_denorm_mode_32 3
		.amdhsa_float_denorm_mode_16_64 3
		.amdhsa_fp16_overflow 0
		.amdhsa_memory_ordered 1
		.amdhsa_forward_progress 1
		.amdhsa_inst_pref_size 255
		.amdhsa_round_robin_scheduling 0
		.amdhsa_exception_fp_ieee_invalid_op 0
		.amdhsa_exception_fp_denorm_src 0
		.amdhsa_exception_fp_ieee_div_zero 0
		.amdhsa_exception_fp_ieee_overflow 0
		.amdhsa_exception_fp_ieee_underflow 0
		.amdhsa_exception_fp_ieee_inexact 0
		.amdhsa_exception_int_div_zero 0
	.end_amdhsa_kernel
	.section	.text._ZL19rocblas_trsv_deviceILi64ELi16ELb0ELb1ELb1ELb0E19rocblas_complex_numIfEPKS1_PKS3_PKPS1_EviT7_lllT6_T8_lllPii,"axG",@progbits,_ZL19rocblas_trsv_deviceILi64ELi16ELb0ELb1ELb1ELb0E19rocblas_complex_numIfEPKS1_PKS3_PKPS1_EviT7_lllT6_T8_lllPii,comdat
.Lfunc_end150:
	.size	_ZL19rocblas_trsv_deviceILi64ELi16ELb0ELb1ELb1ELb0E19rocblas_complex_numIfEPKS1_PKS3_PKPS1_EviT7_lllT6_T8_lllPii, .Lfunc_end150-_ZL19rocblas_trsv_deviceILi64ELi16ELb0ELb1ELb1ELb0E19rocblas_complex_numIfEPKS1_PKS3_PKPS1_EviT7_lllT6_T8_lllPii
                                        ; -- End function
	.set _ZL19rocblas_trsv_deviceILi64ELi16ELb0ELb1ELb1ELb0E19rocblas_complex_numIfEPKS1_PKS3_PKPS1_EviT7_lllT6_T8_lllPii.num_vgpr, 108
	.set _ZL19rocblas_trsv_deviceILi64ELi16ELb0ELb1ELb1ELb0E19rocblas_complex_numIfEPKS1_PKS3_PKPS1_EviT7_lllT6_T8_lllPii.num_agpr, 0
	.set _ZL19rocblas_trsv_deviceILi64ELi16ELb0ELb1ELb1ELb0E19rocblas_complex_numIfEPKS1_PKS3_PKPS1_EviT7_lllT6_T8_lllPii.numbered_sgpr, 105
	.set _ZL19rocblas_trsv_deviceILi64ELi16ELb0ELb1ELb1ELb0E19rocblas_complex_numIfEPKS1_PKS3_PKPS1_EviT7_lllT6_T8_lllPii.num_named_barrier, 0
	.set _ZL19rocblas_trsv_deviceILi64ELi16ELb0ELb1ELb1ELb0E19rocblas_complex_numIfEPKS1_PKS3_PKPS1_EviT7_lllT6_T8_lllPii.private_seg_size, 0
	.set _ZL19rocblas_trsv_deviceILi64ELi16ELb0ELb1ELb1ELb0E19rocblas_complex_numIfEPKS1_PKS3_PKPS1_EviT7_lllT6_T8_lllPii.uses_vcc, 1
	.set _ZL19rocblas_trsv_deviceILi64ELi16ELb0ELb1ELb1ELb0E19rocblas_complex_numIfEPKS1_PKS3_PKPS1_EviT7_lllT6_T8_lllPii.uses_flat_scratch, 0
	.set _ZL19rocblas_trsv_deviceILi64ELi16ELb0ELb1ELb1ELb0E19rocblas_complex_numIfEPKS1_PKS3_PKPS1_EviT7_lllT6_T8_lllPii.has_dyn_sized_stack, 0
	.set _ZL19rocblas_trsv_deviceILi64ELi16ELb0ELb1ELb1ELb0E19rocblas_complex_numIfEPKS1_PKS3_PKPS1_EviT7_lllT6_T8_lllPii.has_recursion, 0
	.set _ZL19rocblas_trsv_deviceILi64ELi16ELb0ELb1ELb1ELb0E19rocblas_complex_numIfEPKS1_PKS3_PKPS1_EviT7_lllT6_T8_lllPii.has_indirect_call, 0
	.section	.AMDGPU.csdata,"",@progbits
; Kernel info:
; codeLenInByte = 55172
; TotalNumSgprs: 107
; NumVgprs: 108
; ScratchSize: 0
; MemoryBound: 0
; FloatMode: 240
; IeeeMode: 1
; LDSByteSize: 41480 bytes/workgroup (compile time only)
; SGPRBlocks: 0
; VGPRBlocks: 6
; NumSGPRsForWavesPerEU: 107
; NumVGPRsForWavesPerEU: 108
; NamedBarCnt: 0
; Occupancy: 9
; WaveLimiterHint : 1
; COMPUTE_PGM_RSRC2:SCRATCH_EN: 0
; COMPUTE_PGM_RSRC2:USER_SGPR: 2
; COMPUTE_PGM_RSRC2:TRAP_HANDLER: 0
; COMPUTE_PGM_RSRC2:TGID_X_EN: 1
; COMPUTE_PGM_RSRC2:TGID_Y_EN: 0
; COMPUTE_PGM_RSRC2:TGID_Z_EN: 1
; COMPUTE_PGM_RSRC2:TIDIG_COMP_CNT: 1
	.section	.text._ZL19rocblas_trsv_deviceILi64ELi16ELb1ELb0ELb0ELb1E19rocblas_complex_numIfEPKS1_PKS3_PKPS1_EviT7_lllT6_T8_lllPii,"axG",@progbits,_ZL19rocblas_trsv_deviceILi64ELi16ELb1ELb0ELb0ELb1E19rocblas_complex_numIfEPKS1_PKS3_PKPS1_EviT7_lllT6_T8_lllPii,comdat
	.globl	_ZL19rocblas_trsv_deviceILi64ELi16ELb1ELb0ELb0ELb1E19rocblas_complex_numIfEPKS1_PKS3_PKPS1_EviT7_lllT6_T8_lllPii ; -- Begin function _ZL19rocblas_trsv_deviceILi64ELi16ELb1ELb0ELb0ELb1E19rocblas_complex_numIfEPKS1_PKS3_PKPS1_EviT7_lllT6_T8_lllPii
	.p2align	8
	.type	_ZL19rocblas_trsv_deviceILi64ELi16ELb1ELb0ELb0ELb1E19rocblas_complex_numIfEPKS1_PKS3_PKPS1_EviT7_lllT6_T8_lllPii,@function
_ZL19rocblas_trsv_deviceILi64ELi16ELb1ELb0ELb0ELb1E19rocblas_complex_numIfEPKS1_PKS3_PKPS1_EviT7_lllT6_T8_lllPii: ; @_ZL19rocblas_trsv_deviceILi64ELi16ELb1ELb0ELb0ELb1E19rocblas_complex_numIfEPKS1_PKS3_PKPS1_EviT7_lllT6_T8_lllPii
; %bb.0:
	s_load_b32 s67, s[0:1], 0x58
	s_bfe_u32 s2, ttmp6, 0x40014
	s_lshr_b32 s3, ttmp7, 16
	s_add_co_i32 s2, s2, 1
	s_bfe_u32 s5, ttmp6, 0x40008
	s_mul_i32 s4, s3, s2
	s_getreg_b32 s2, hwreg(HW_REG_IB_STS2, 6, 4)
	s_add_co_i32 s5, s5, s4
	s_cmp_eq_u32 s2, 0
	s_mov_b32 s81, 0
	s_cselect_b32 s80, s3, s5
	s_wait_kmcnt 0x0
	s_cmp_ge_u32 s80, s67
	s_cbranch_scc1 .LBB151_1050
; %bb.1:
	s_clause 0x3
	s_load_b32 s3, s[0:1], 0x6c
	s_load_b32 s96, s[0:1], 0x0
	s_load_b64 s[82:83], s[0:1], 0x18
	s_load_b256 s[68:75], s[0:1], 0x28
	s_bfe_u32 s5, ttmp6, 0x4000c
	s_and_b32 s4, ttmp6, 15
	s_add_co_i32 s5, s5, 1
	s_clause 0x1
	s_load_b64 s[84:85], s[0:1], 0x50
	s_load_b128 s[76:79], s[0:1], 0x8
	s_wait_xcnt 0x0
	s_mul_i32 s0, ttmp9, s5
	v_bfe_u32 v2, v0, 10, 10
	s_add_co_i32 s4, s4, s0
	s_cmp_eq_u32 s2, 0
	v_and_b32_e32 v4, 0x3ff, v0
	s_cselect_b32 s97, ttmp9, s4
	v_dual_mov_b32 v1, 0 :: v_dual_lshlrev_b32 v3, 6, v2
	v_sub_co_u32 v5, s5, s97, 1
                                        ; implicit-def: $vgpr95 : SGPR spill to VGPR lane
                                        ; implicit-def: $vgpr94 : SGPR spill to VGPR lane
	v_lshl_add_u32 v78, v2, 3, 0xa000
	s_wait_kmcnt 0x0
	s_and_b32 s2, s3, 0xffff
	s_add_co_i32 s0, s96, -1
	s_ashr_i32 s1, s96, 31
	s_ashr_i32 s3, s0, 31
	s_lshr_b32 s1, s1, 26
	s_lshr_b32 s3, s3, 26
	s_add_co_i32 s1, s96, s1
	s_add_co_i32 s0, s0, s3
	s_and_not1_b32 s1, s1, 63
	s_ashr_i32 s0, s0, 6
	s_sub_co_i32 s16, s96, s1
	s_cmp_eq_u32 s0, s97
	v_dual_mov_b32 v7, v1 :: v_dual_bitop2_b32 v14, v3, v4 bitop3:0x40
	s_cselect_b32 s3, -1, 0
	s_cmp_lg_u32 s16, 0
	s_add_nc_u64 s[0:1], s[82:83], 1
	s_cselect_b32 s4, -1, 0
	s_lshl_b32 s12, s97, 6
	s_delay_alu instid0(SALU_CYCLE_1) | instskip(SKIP_2) | instid1(VALU_DEP_2)
	v_dual_add_nc_u32 v16, s12, v2 :: v_dual_bitop2_b32 v6, v3, v4 bitop3:0x14
	v_dual_add_nc_u32 v8, s12, v4 :: v_dual_add_nc_u32 v42, v3, v4
	s_and_b32 s10, s4, s3
	v_lshrrev_b16 v15, 1, v6
	s_delay_alu instid0(VALU_DEP_3) | instskip(NEXT) | instid1(VALU_DEP_3)
	v_subrev_nc_u32_e32 v12, 64, v16
	v_ashrrev_i32_e32 v9, 31, v8
	v_mad_u32_u24 v6, v2, s2, v4
	s_xor_b32 s2, s5, -1
	v_add_nc_u16 v14, v14, v15
	v_and_b32_e32 v15, 1, v0
	v_ashrrev_i32_e32 v13, 31, v12
	s_ashr_i32 s13, s12, 31
	s_xor_b32 s99, s10, -1
	v_and_b32_e32 v3, 0xffff, v14
	v_lshlrev_b32_e32 v14, 3, v15
	v_mul_u64_e32 v[10:11], s[82:83], v[12:13]
	v_lshrrev_b32_e32 v13, 10, v0
	s_cmp_gt_i32 s97, 4
	v_writelane_b32 v95, s2, 0
	v_lshl_or_b32 v53, v3, 9, v14
	v_and_b32_e32 v14, 3, v0
	v_bitop3_b32 v43, v0, v13, 0x3ff bitop3:0xa8
	v_lshrrev_b32_e32 v13, 2, v42
	s_mul_u64 s[14:15], s[0:1], s[12:13]
	s_cselect_b32 s1, -1, 0
	v_lshl_add_u32 v52, v3, 3, 0x8000
	v_mul_u32_u24_e32 v54, 0x208, v3
	v_lshlrev_b32_e32 v3, 3, v13
	v_cmp_eq_u32_e64 s2, 1, v15
	s_and_b32 s100, s1, s99
	v_cmp_gt_u32_e64 s1, 4, v42
	v_dual_lshlrev_b32 v55, 3, v4 :: v_dual_lshlrev_b32 v58, 3, v14
	s_xor_b32 s3, s2, -1
	v_mul_u32_u24_e32 v56, 0x208, v13
	s_and_b32 s101, s3, s1
	s_and_b32 s102, s2, s1
	v_cmp_gt_u32_e64 s2, 16, v42
	v_cmp_eq_u32_e64 s3, 0, v14
	v_cmp_ne_u32_e64 s4, 0, v14
	v_dual_mov_b32 v20, 0 :: v_dual_add_nc_u32 v57, 0x8000, v3
	v_sub_nc_u32_e32 v3, v56, v3
	v_cmp_eq_u32_e64 s5, 1, v14
	v_lshl_or_b32 v59, v13, 9, v58
	s_and_b32 s103, s3, s2
	s_and_b32 s104, s4, s2
	v_cmp_lt_u32_e64 s3, 1, v14
	v_cmp_eq_u32_e64 s4, 2, v14
	v_and_b32_e32 v13, 7, v0
	s_and_b32 vcc_hi, s5, s2
	v_cmp_eq_u32_e64 s5, 3, v14
	s_and_b32 s43, s3, s2
	s_and_b32 s44, s4, s2
	v_cmp_gt_u32_e64 s3, 64, v42
	v_cmp_eq_u32_e64 s4, 0, v13
	s_and_b32 s45, s5, s2
	v_cmp_ne_u32_e64 s5, 0, v13
	v_cmp_lt_u32_e64 s6, 1, v13
	v_cmp_eq_u32_e64 s7, 2, v13
	s_and_b32 s46, s4, s3
	v_cmp_eq_u32_e64 s4, 1, v13
	v_cmp_lt_u32_e64 s8, 2, v13
	s_and_b32 s47, s5, s3
	s_and_b32 s49, s6, s3
	v_cmp_lt_u32_e64 s5, 3, v13
	s_and_b32 s48, s4, s3
	v_cmp_eq_u32_e64 s4, 3, v13
	v_cmp_eq_u32_e64 s6, 4, v13
	v_dual_add_nc_u32 v60, v3, v58 :: v_dual_lshlrev_b32 v62, 3, v13
	v_lshrrev_b32_e32 v3, 3, v42
	s_and_b32 s50, s7, s3
	s_and_b32 s51, s8, s3
	v_cmp_lt_u32_e64 s7, 4, v13
	v_cmp_eq_u32_e64 s8, 5, v13
	s_and_b32 s52, s4, s3
	s_and_b32 s53, s5, s3
	;; [unrolled: 1-line block ×3, first 2 shown]
	v_cmp_lt_u32_e64 s4, 5, v13
	v_cmp_eq_u32_e64 s5, 6, v13
	v_cmp_eq_u32_e64 s6, 7, v13
	v_and_b32_e32 v13, 15, v0
	s_and_b32 s55, s7, s3
	s_and_b32 s57, s4, s3
	;; [unrolled: 1-line block ×3, first 2 shown]
	v_cmp_gt_u32_e64 s4, 0x100, v42
	v_cmp_eq_u32_e64 s5, 0, v13
	s_and_b32 s59, s6, s3
	v_cmp_ne_u32_e64 s6, 0, v13
	v_cmp_eq_u32_e64 s7, 1, v13
	s_and_b32 s56, s8, s3
	s_and_b32 s5, s5, s4
	v_cmp_lt_u32_e64 s8, 1, v13
	v_writelane_b32 v95, s5, 1
	s_and_b32 s6, s6, s4
	v_cmp_eq_u32_e64 s5, 2, v13
	v_and_b32_e32 v14, 0x1fff8, v42
	v_mul_u32_u24_e32 v61, 0x208, v3
	v_writelane_b32 v95, s6, 2
	s_and_b32 s6, s7, s4
	s_and_b32 s5, s5, s4
	v_cmp_lt_u32_e64 s7, 3, v13
	v_lshl_or_b32 v64, v3, 9, v62
	v_writelane_b32 v95, s6, 3
	s_and_b32 s6, s8, s4
	v_cmp_eq_u32_e64 s8, 4, v13
	v_lshrrev_b32_e32 v3, 4, v42
	v_cmp_le_i32_e64 s9, s16, v4
	v_writelane_b32 v95, s6, 4
	v_cmp_lt_u32_e64 s6, 2, v13
	v_sub_nc_u32_e32 v15, v61, v14
	v_add_nc_u32_e32 v63, 0x8000, v14
	v_lshlrev_b32_e32 v14, 3, v3
	v_writelane_b32 v95, s5, 5
	v_cmp_eq_u32_e64 s5, 3, v13
	s_and_b32 s6, s6, s4
	v_mul_u32_u24_e32 v66, 0x208, v3
	s_and_b32 s23, s9, s10
	v_writelane_b32 v95, s6, 6
	s_and_b32 s5, s5, s4
	v_cmp_lt_u32_e64 s6, 4, v13
	v_cmp_gt_i32_e32 vcc_lo, s16, v4
	v_dual_add_nc_u32 v65, v15, v62 :: v_dual_lshlrev_b32 v67, 3, v13
	v_writelane_b32 v95, s5, 7
	s_and_b32 s5, s7, s4
	s_and_b32 s29, s6, s4
	v_cmp_lt_u32_e64 s6, 5, v13
	v_cmp_eq_u32_e64 s7, 6, v13
	v_writelane_b32 v95, s5, 8
	s_and_b32 s5, s8, s4
	v_cmp_lt_u32_e64 s8, 6, v13
	s_and_b32 s33, s6, s4
	v_cmp_lt_u32_e64 s6, 7, v13
	v_writelane_b32 v95, s5, 9
	v_cmp_eq_u32_e64 s5, 5, v13
	s_and_b32 s35, s7, s4
	s_and_b32 s39, s8, s4
	;; [unrolled: 1-line block ×3, first 2 shown]
	v_cmp_lt_u32_e64 s6, 9, v13
	s_and_b32 s30, s5, s4
	v_cmp_eq_u32_e64 s5, 7, v13
	v_cmp_lt_u32_e64 s7, 8, v13
	v_cmp_eq_u32_e64 s8, 9, v13
	s_and_b32 s28, s6, s4
	v_cmp_lt_u32_e64 s6, 10, v13
	s_and_b32 s40, s5, s4
	v_cmp_eq_u32_e64 s5, 8, v13
	s_and_b32 s24, s7, s4
	s_and_b32 s26, s8, s4
	;; [unrolled: 1-line block ×3, first 2 shown]
	v_cmp_lt_u32_e64 s6, 12, v13
	s_and_b32 s42, s5, s4
	v_cmp_eq_u32_e64 s5, 10, v13
	v_cmp_eq_u32_e64 s7, 11, v13
	v_cmp_lt_u32_e64 s8, 11, v13
	s_and_b32 s62, s6, s4
	v_cmp_eq_u32_e64 s6, 15, v13
	s_and_b32 s31, s5, s4
	v_cmp_eq_u32_e64 s5, 12, v13
	s_and_b32 s98, s7, s4
	s_and_b32 s60, s8, s4
	v_cmp_lt_u32_e64 s7, 13, v13
	v_cmp_eq_u32_e64 s8, 14, v13
	s_and_b32 s61, s5, s4
	v_cmp_eq_u32_e64 s5, 13, v13
	v_dual_sub_nc_u32 v15, v66, v14 :: v_dual_bitop2_b32 v71, 31, v0 bitop3:0x40
	s_and_b32 s65, s6, s4
	s_xor_b32 s6, s23, -1
	s_and_b32 s63, s5, s4
	v_cmp_eq_u32_e64 s5, 0, v2
	s_and_b32 s64, s7, s4
	s_and_b32 s8, s8, s4
	v_cmp_gt_i32_e64 s0, s96, v8
	v_add_nc_u32_e32 v70, v15, v67
	s_and_b32 s25, s5, s6
	s_cmp_gt_i32 s97, 0
	v_lshl_or_b32 v69, v3, 9, v67
	s_cselect_b32 s27, -1, 0
	v_subrev_nc_u32_e32 v3, 48, v16
	s_and_b32 s6, s5, vcc_lo
	v_cmp_gt_i32_e32 vcc_lo, s96, v12
	v_writelane_b32 v95, s6, 10
	v_add_nc_u32_e32 v68, 0x8000, v14
	v_add_nc_u64_e32 v[14:15], s[12:13], v[6:7]
	v_subrev_nc_u32_e32 v7, 32, v16
	v_cmp_gt_i32_e64 s6, s96, v3
	s_and_b32 s11, s0, vcc_lo
	v_dual_mov_b32 v27, v1 :: v_dual_lshrrev_b32 v0, 5, v42
	v_writelane_b32 v95, s11, 11
	v_cmp_gt_i32_e64 s7, s96, v7
	s_and_b32 s6, s0, s6
	v_cmp_le_u32_e64 s13, v4, v2
	v_cmp_le_i32_e32 vcc_lo, s16, v2
	v_writelane_b32 v95, s6, 12
	s_and_b32 s6, s0, s7
	v_dual_lshlrev_b32 v72, 3, v0 :: v_dual_add_nc_u32 v26, 16, v2
	v_dual_add_nc_u32 v44, 32, v2 :: v_dual_lshlrev_b32 v73, 9, v0
	v_writelane_b32 v95, s6, 13
	s_or_b32 s6, vcc_lo, s9
	s_delay_alu instid0(VALU_DEP_3)
	v_cmp_le_u32_e64 s17, v4, v26
	s_or_b32 s6, s6, s13
	v_cmp_le_i32_e64 s11, s16, v26
	v_writelane_b32 v95, s13, 14
	v_dual_add_nc_u32 v40, 48, v2 :: v_dual_bitop2_b32 v46, v26, v4 bitop3:0x54
	v_cmp_le_u32_e64 s18, v4, v44
	s_or_b32 s7, s11, s9
	v_writelane_b32 v95, s6, 15
	s_or_b32 s6, s7, s17
	v_cmp_le_i32_e32 vcc_lo, s16, v44
	v_dual_add_nc_u32 v0, s12, v6 :: v_dual_bitop2_b32 v47, v44, v4 bitop3:0x54
	v_writelane_b32 v95, s17, 16
	v_cmp_le_i32_e64 s12, s16, v40
	s_or_b32 s11, vcc_lo, s9
	v_add_max_i32_e64 v28, v16, -16, v8
	v_dual_add_nc_u32 v83, v78, v55 :: v_dual_bitop2_b32 v48, v40, v4 bitop3:0x54
	v_writelane_b32 v95, s6, 17
	s_or_b32 s6, s11, s18
	s_or_b32 s9, s12, s9
	v_cmp_le_u32_e64 s12, v4, v40
	v_mul_u64_e32 v[12:13], s[74:75], v[14:15]
	v_writelane_b32 v95, s18, 18
	v_mbcnt_lo_u32_b32 v14, -1, 0
	v_dual_mov_b32 v45, v1 :: v_dual_mov_b32 v3, v1
	v_mov_b32_e32 v41, v1
	v_writelane_b32 v95, s6, 19
	s_or_b32 s6, s9, s12
	v_cmp_gt_u32_e64 s9, 0x50, v42
	v_lshlrev_b32_e32 v21, 20, v14
	v_lshl_add_u32 v7, v26, 9, v55
	v_writelane_b32 v95, s12, 20
	v_mul_u64_e32 v[24:25], s[82:83], v[26:27]
	v_mul_u64_e32 v[30:31], s[74:75], v[0:1]
	v_add_nc_u64_e32 v[14:15], src_flat_scratch_base_lo, v[20:21]
	v_mov_b32_e32 v20, 8
	v_writelane_b32 v95, s6, 21
	v_cmp_ge_u32_e64 s6, v4, v26
	v_mul_u64_e32 v[26:27], s[82:83], v[44:45]
	v_mul_u64_e32 v[32:33], s[82:83], v[2:3]
	v_add_nc_u64_e32 v[16:17], src_flat_scratch_base_lo, v[20:21]
	v_mov_b32_e32 v20, 16
	v_writelane_b32 v95, s6, 22
	v_cmp_le_i32_e64 s6, s96, v28
	v_mul_u64_e32 v[28:29], s[74:75], v[8:9]
	v_mul_u64_e32 v[34:35], s[82:83], v[40:41]
	v_add_nc_u64_e32 v[18:19], src_flat_scratch_base_lo, v[20:21]
	v_dual_mov_b32 v20, 24 :: v_dual_lshlrev_b32 v75, 3, v71
	v_writelane_b32 v95, s6, 23
	v_cmp_gt_u32_e64 s6, 64, v43
	v_cmp_lt_u32_e64 s10, 0x3ff, v42
	s_delay_alu instid0(VALU_DEP_4)
	v_add_nc_u64_e32 v[20:21], src_flat_scratch_base_lo, v[20:21]
	v_mov_b64_e32 v[36:37], 0
	v_mov_b64_e32 v[38:39], 0x3f800000
	v_writelane_b32 v95, s6, 24
	v_cmp_gt_u32_e64 s6, 64, v46
	v_lshl_add_u32 v74, v44, 9, v55
	s_lshl_b64 s[86:87], s[14:15], 3
	v_dual_mov_b32 v23, v1 :: v_dual_lshlrev_b32 v22, 3, v4
	v_writelane_b32 v95, s6, 25
	v_cmp_gt_u32_e64 s6, 0xf0, v42
	v_add_nc_u32_e32 v76, 0x8000, v72
	v_or_b32_e32 v77, v73, v75
	v_lshl_add_u32 v79, v6, 3, 0xa000
	v_lshl_add_u32 v80, v42, 3, 0x8000
	v_writelane_b32 v95, s6, 26
	v_cmp_gt_u32_e64 s6, 0xe0, v42
	v_add_nc_u32_e32 v81, 0x8000, v55
	v_lshl_add_u32 v82, v2, 9, v55
	v_lshl_add_u32 v84, v40, 9, v55
	v_or_b32_e32 v85, 0x4100, v75
	v_writelane_b32 v95, s6, 27
	v_cmp_gt_u32_e64 s6, 0xd0, v42
	v_cmp_eq_u32_e64 s12, 0, v43
	v_cmp_gt_u32_e64 s15, 2, v42
	v_cmp_gt_u32_e64 s16, 12, v42
	;; [unrolled: 1-line block ×3, first 2 shown]
	v_writelane_b32 v95, s6, 28
	v_cmp_gt_u32_e64 s6, 0xc0, v42
	v_cmp_gt_u32_e64 s18, 56, v42
	;; [unrolled: 1-line block ×5, first 2 shown]
	v_writelane_b32 v95, s6, 29
	v_cmp_gt_u32_e64 s6, 0xb0, v42
	v_cmp_gt_u32_e64 s22, 24, v42
	;; [unrolled: 1-line block ×4, first 2 shown]
	v_cmp_eq_u32_e64 s37, 0, v6
	v_writelane_b32 v95, s6, 30
	v_cmp_gt_u32_e64 s6, 0xa0, v42
	v_cmp_gt_u32_e64 s38, 64, v6
	s_xor_b32 s7, s10, -1
	s_lshl_b64 s[88:89], s[82:83], 7
	s_lshl_b64 s[90:91], s[82:83], 8
	v_writelane_b32 v95, s6, 31
	v_cmp_ge_u32_e64 s6, v4, v44
	s_mul_u64 s[92:93], s[82:83], 0x180
	s_lshl_b64 s[78:79], s[78:79], 3
	s_lshl_b64 s[72:73], s[72:73], 3
	v_writelane_b32 v94, s6, 0
	v_cmp_gt_u32_e64 s6, 0x90, v42
	s_delay_alu instid0(VALU_DEP_1) | instskip(SKIP_1) | instid1(VALU_DEP_1)
	v_writelane_b32 v94, s6, 1
	v_cmp_gt_u32_e64 s6, 0x70, v42
	v_writelane_b32 v94, s6, 2
	v_cmp_gt_u32_e64 s6, 0x60, v42
	v_writelane_b32 v94, s9, 3
	v_cmp_ge_u32_e64 s9, v4, v2
	s_delay_alu instid0(VALU_DEP_1) | instskip(SKIP_1) | instid1(VALU_DEP_1)
	v_writelane_b32 v94, s9, 4
	v_cmp_ge_u32_e64 s9, v4, v40
	v_writelane_b32 v94, s9, 5
	v_cmp_gt_u32_e64 s9, 64, v47
	s_delay_alu instid0(VALU_DEP_1) | instskip(SKIP_1) | instid1(VALU_DEP_1)
	v_writelane_b32 v94, s9, 6
	v_cmp_gt_u32_e64 s9, 64, v48
	v_writelane_b32 v94, s9, 7
	v_cmp_gt_u32_e64 s9, 0x3e0, v42
	s_delay_alu instid0(VALU_DEP_1) | instskip(SKIP_1) | instid1(VALU_DEP_1)
	v_writelane_b32 v94, s9, 8
	v_cmp_gt_u32_e64 s9, 0x3c0, v42
	;; [unrolled: 5-line block ×12, first 2 shown]
	v_writelane_b32 v94, s9, 29
	v_cmp_gt_u32_e64 s9, 0x120, v42
	s_delay_alu instid0(VALU_DEP_1)
	v_writelane_b32 v94, s9, 30
	s_branch .LBB151_3
.LBB151_2:                              ;   in Loop: Header=BB151_3 Depth=1
	s_wait_xcnt 0x0
	s_or_b32 exec_lo, exec_lo, s9
	s_add_co_i32 s80, s80, 0x10000
	global_wb scope:SCOPE_DEV
	s_wait_storecnt 0x0
	global_inv scope:SCOPE_DEV
	s_cmp_lt_u32 s80, s67
	s_cbranch_scc0 .LBB151_1050
.LBB151_3:                              ; =>This Loop Header: Depth=1
                                        ;     Child Loop BB151_522 Depth 2
                                        ;     Child Loop BB151_938 Depth 2
                                        ;       Child Loop BB151_940 Depth 3
                                        ;     Child Loop BB151_972 Depth 2
	v_mov_b32_e32 v0, s80
	v_readlane_b32 s9, v95, 0
	s_clause 0x1
	global_load_b64 v[40:41], v0, s[76:77] scale_offset
	global_load_b64 v[44:45], v0, s[70:71] scale_offset
	global_load_b64 v[42:43], v1, s[68:69]
	s_and_not1_b32 vcc_lo, exec_lo, s9
	s_wait_loadcnt 0x2
	v_add_nc_u64_e32 v[40:41], s[78:79], v[40:41]
	s_cbranch_vccnz .LBB151_15
; %bb.4:                                ;   in Loop: Header=BB151_3 Depth=1
	s_delay_alu instid0(VALU_DEP_1) | instskip(SKIP_3) | instid1(VALU_DEP_4)
	v_lshl_add_u64 v[46:47], v[10:11], 3, v[40:41]
	v_dual_mov_b32 v48, 0 :: v_dual_mov_b32 v50, 0
	v_mov_b32_e32 v51, 0
	v_readlane_b32 s10, v95, 11
	v_lshl_add_u64 v[46:47], v[8:9], 3, v[46:47]
	s_wait_loadcnt 0x0
	s_barrier_signal -1
	s_barrier_wait -1
	s_wait_xcnt 0x0
	s_and_saveexec_b32 s9, s10
	s_cbranch_execz .LBB151_6
; %bb.5:                                ;   in Loop: Header=BB151_3 Depth=1
	flat_load_b64 v[50:51], v[46:47]
.LBB151_6:                              ;   in Loop: Header=BB151_3 Depth=1
	s_wait_xcnt 0x0
	s_or_b32 exec_lo, exec_lo, s9
	v_mov_b32_e32 v49, 0
	v_readlane_b32 s10, v95, 12
	s_wait_loadcnt_dscnt 0x0
	scratch_store_b64 off, v[50:51], off
	s_wait_storecnt 0x0
	s_barrier_signal -1
	s_barrier_wait -1
	s_wait_xcnt 0x0
	s_and_saveexec_b32 s9, s10
	s_cbranch_execz .LBB151_8
; %bb.7:                                ;   in Loop: Header=BB151_3 Depth=1
	v_add_nc_u64_e32 v[48:49], s[88:89], v[46:47]
	flat_load_b64 v[48:49], v[48:49]
.LBB151_8:                              ;   in Loop: Header=BB151_3 Depth=1
	s_wait_xcnt 0x0
	s_or_b32 exec_lo, exec_lo, s9
	s_wait_loadcnt_dscnt 0x0
	scratch_store_b64 off, v[48:49], off offset:8
	s_wait_xcnt 0x0
	v_dual_mov_b32 v48, 0 :: v_dual_mov_b32 v49, 0
	v_readlane_b32 s10, v95, 13
	s_wait_storecnt 0x0
	s_barrier_signal -1
	s_barrier_wait -1
	s_and_saveexec_b32 s9, s10
	s_cbranch_execz .LBB151_10
; %bb.9:                                ;   in Loop: Header=BB151_3 Depth=1
	v_add_nc_u64_e32 v[48:49], s[90:91], v[46:47]
	flat_load_b64 v[48:49], v[48:49]
.LBB151_10:                             ;   in Loop: Header=BB151_3 Depth=1
	s_wait_xcnt 0x0
	s_or_b32 exec_lo, exec_lo, s9
	v_readlane_b32 s10, v95, 23
	s_wait_loadcnt_dscnt 0x0
	scratch_store_b64 off, v[48:49], off offset:16
	s_wait_storecnt 0x0
	s_barrier_signal -1
	s_barrier_wait -1
	s_wait_xcnt 0x0
	s_and_saveexec_b32 s9, s10
	s_delay_alu instid0(SALU_CYCLE_1)
	s_xor_b32 s9, exec_lo, s9
	s_cbranch_execz .LBB151_12
; %bb.11:                               ;   in Loop: Header=BB151_3 Depth=1
	scratch_store_b64 off, v[36:37], off offset:24
                                        ; implicit-def: $vgpr46_vgpr47
.LBB151_12:                             ;   in Loop: Header=BB151_3 Depth=1
	s_wait_xcnt 0x0
	s_and_not1_saveexec_b32 s9, s9
	s_cbranch_execz .LBB151_14
; %bb.13:                               ;   in Loop: Header=BB151_3 Depth=1
	v_add_nc_u64_e32 v[46:47], s[92:93], v[46:47]
	flat_load_b64 v[46:47], v[46:47]
	s_wait_loadcnt_dscnt 0x0
	scratch_store_b64 off, v[46:47], off offset:24
.LBB151_14:                             ;   in Loop: Header=BB151_3 Depth=1
	s_wait_xcnt 0x0
	s_or_b32 exec_lo, exec_lo, s9
.LBB151_15:                             ;   in Loop: Header=BB151_3 Depth=1
	s_delay_alu instid0(VALU_DEP_1) | instskip(SKIP_2) | instid1(VALU_DEP_1)
	v_add_nc_u64_e32 v[46:47], s[86:87], v[40:41]
	s_and_not1_b32 vcc_lo, exec_lo, s99
	s_mov_b32 s9, -1
	v_add_nc_u64_e32 v[46:47], v[46:47], v[22:23]
	s_cbranch_vccnz .LBB151_41
; %bb.16:                               ;   in Loop: Header=BB151_3 Depth=1
	v_readlane_b32 s10, v95, 14
	s_wait_xcnt 0x0
	s_and_saveexec_b32 s9, s10
	s_delay_alu instid0(SALU_CYCLE_1)
	s_xor_b32 s9, exec_lo, s9
	s_cbranch_execz .LBB151_20
; %bb.17:                               ;   in Loop: Header=BB151_3 Depth=1
	v_readlane_b32 s10, v95, 24
	s_and_saveexec_b32 s14, s10
; %bb.18:                               ;   in Loop: Header=BB151_3 Depth=1
	ds_store_b64 v82, v[36:37]
; %bb.19:                               ;   in Loop: Header=BB151_3 Depth=1
	s_or_b32 exec_lo, exec_lo, s14
.LBB151_20:                             ;   in Loop: Header=BB151_3 Depth=1
	s_and_not1_saveexec_b32 s9, s9
	s_cbranch_execz .LBB151_22
; %bb.21:                               ;   in Loop: Header=BB151_3 Depth=1
	v_lshl_add_u64 v[48:49], v[32:33], 3, v[46:47]
	flat_load_b64 v[48:49], v[48:49]
	s_wait_loadcnt_dscnt 0x0
	v_pk_add_f32 v[48:49], v[48:49], 0 neg_lo:[1,1] neg_hi:[1,1]
	ds_store_b64 v82, v[48:49]
.LBB151_22:                             ;   in Loop: Header=BB151_3 Depth=1
	s_or_b32 exec_lo, exec_lo, s9
	v_readlane_b32 s10, v95, 16
	s_and_saveexec_b32 s9, s10
	s_delay_alu instid0(SALU_CYCLE_1)
	s_xor_b32 s9, exec_lo, s9
	s_cbranch_execz .LBB151_26
; %bb.23:                               ;   in Loop: Header=BB151_3 Depth=1
	v_readlane_b32 s10, v95, 25
	s_and_saveexec_b32 s14, s10
; %bb.24:                               ;   in Loop: Header=BB151_3 Depth=1
	ds_store_b64 v7, v[36:37]
; %bb.25:                               ;   in Loop: Header=BB151_3 Depth=1
	s_or_b32 exec_lo, exec_lo, s14
.LBB151_26:                             ;   in Loop: Header=BB151_3 Depth=1
	s_and_not1_saveexec_b32 s9, s9
	s_cbranch_execz .LBB151_28
; %bb.27:                               ;   in Loop: Header=BB151_3 Depth=1
	v_lshl_add_u64 v[48:49], v[24:25], 3, v[46:47]
	flat_load_b64 v[48:49], v[48:49]
	s_wait_loadcnt_dscnt 0x0
	v_pk_add_f32 v[48:49], v[48:49], 0 neg_lo:[1,1] neg_hi:[1,1]
	ds_store_b64 v7, v[48:49]
.LBB151_28:                             ;   in Loop: Header=BB151_3 Depth=1
	s_or_b32 exec_lo, exec_lo, s9
	v_readlane_b32 s10, v95, 18
	;; [unrolled: 23-line block ×3, first 2 shown]
	s_and_saveexec_b32 s9, s10
	s_delay_alu instid0(SALU_CYCLE_1)
	s_xor_b32 s9, exec_lo, s9
	s_cbranch_execz .LBB151_38
; %bb.35:                               ;   in Loop: Header=BB151_3 Depth=1
	v_readlane_b32 s10, v94, 7
	s_and_saveexec_b32 s14, s10
; %bb.36:                               ;   in Loop: Header=BB151_3 Depth=1
	ds_store_b64 v84, v[36:37]
; %bb.37:                               ;   in Loop: Header=BB151_3 Depth=1
	s_or_b32 exec_lo, exec_lo, s14
.LBB151_38:                             ;   in Loop: Header=BB151_3 Depth=1
	s_and_not1_saveexec_b32 s9, s9
	s_cbranch_execz .LBB151_40
; %bb.39:                               ;   in Loop: Header=BB151_3 Depth=1
	v_lshl_add_u64 v[48:49], v[34:35], 3, v[46:47]
	flat_load_b64 v[48:49], v[48:49]
	s_wait_loadcnt_dscnt 0x0
	v_pk_add_f32 v[48:49], v[48:49], 0 neg_lo:[1,1] neg_hi:[1,1]
	ds_store_b64 v84, v[48:49]
.LBB151_40:                             ;   in Loop: Header=BB151_3 Depth=1
	s_or_b32 exec_lo, exec_lo, s9
	s_mov_b32 s9, 0
.LBB151_41:                             ;   in Loop: Header=BB151_3 Depth=1
	s_delay_alu instid0(SALU_CYCLE_1)
	s_and_b32 vcc_lo, exec_lo, s9
	s_cbranch_vccz .LBB151_67
; %bb.42:                               ;   in Loop: Header=BB151_3 Depth=1
	v_readlane_b32 s10, v95, 15
	s_wait_xcnt 0x0
	s_and_saveexec_b32 s9, s10
	s_delay_alu instid0(SALU_CYCLE_1)
	s_xor_b32 s9, exec_lo, s9
	s_cbranch_execz .LBB151_46
; %bb.43:                               ;   in Loop: Header=BB151_3 Depth=1
	v_readlane_b32 s10, v95, 24
	s_and_saveexec_b32 s14, s10
; %bb.44:                               ;   in Loop: Header=BB151_3 Depth=1
	ds_store_b64 v82, v[36:37]
; %bb.45:                               ;   in Loop: Header=BB151_3 Depth=1
	s_or_b32 exec_lo, exec_lo, s14
.LBB151_46:                             ;   in Loop: Header=BB151_3 Depth=1
	s_and_not1_saveexec_b32 s9, s9
	s_cbranch_execz .LBB151_48
; %bb.47:                               ;   in Loop: Header=BB151_3 Depth=1
	v_lshl_add_u64 v[48:49], v[32:33], 3, v[46:47]
	flat_load_b64 v[48:49], v[48:49]
	s_wait_loadcnt_dscnt 0x0
	v_pk_add_f32 v[48:49], v[48:49], 0 neg_lo:[1,1] neg_hi:[1,1]
	ds_store_b64 v82, v[48:49]
.LBB151_48:                             ;   in Loop: Header=BB151_3 Depth=1
	s_or_b32 exec_lo, exec_lo, s9
	v_readlane_b32 s10, v95, 17
	s_and_saveexec_b32 s9, s10
	s_delay_alu instid0(SALU_CYCLE_1)
	s_xor_b32 s9, exec_lo, s9
	s_cbranch_execz .LBB151_52
; %bb.49:                               ;   in Loop: Header=BB151_3 Depth=1
	v_readlane_b32 s10, v95, 25
	s_and_saveexec_b32 s14, s10
; %bb.50:                               ;   in Loop: Header=BB151_3 Depth=1
	ds_store_b64 v7, v[36:37]
; %bb.51:                               ;   in Loop: Header=BB151_3 Depth=1
	s_or_b32 exec_lo, exec_lo, s14
.LBB151_52:                             ;   in Loop: Header=BB151_3 Depth=1
	s_and_not1_saveexec_b32 s9, s9
	s_cbranch_execz .LBB151_54
; %bb.53:                               ;   in Loop: Header=BB151_3 Depth=1
	v_lshl_add_u64 v[48:49], v[24:25], 3, v[46:47]
	flat_load_b64 v[48:49], v[48:49]
	s_wait_loadcnt_dscnt 0x0
	v_pk_add_f32 v[48:49], v[48:49], 0 neg_lo:[1,1] neg_hi:[1,1]
	ds_store_b64 v7, v[48:49]
.LBB151_54:                             ;   in Loop: Header=BB151_3 Depth=1
	s_or_b32 exec_lo, exec_lo, s9
	v_readlane_b32 s10, v95, 19
	;; [unrolled: 23-line block ×3, first 2 shown]
	s_and_saveexec_b32 s9, s10
	s_delay_alu instid0(SALU_CYCLE_1)
	s_xor_b32 s9, exec_lo, s9
	s_cbranch_execz .LBB151_64
; %bb.61:                               ;   in Loop: Header=BB151_3 Depth=1
	v_readlane_b32 s10, v94, 7
	s_and_saveexec_b32 s14, s10
; %bb.62:                               ;   in Loop: Header=BB151_3 Depth=1
	ds_store_b64 v84, v[36:37]
; %bb.63:                               ;   in Loop: Header=BB151_3 Depth=1
	s_or_b32 exec_lo, exec_lo, s14
                                        ; implicit-def: $vgpr46_vgpr47
.LBB151_64:                             ;   in Loop: Header=BB151_3 Depth=1
	s_and_not1_saveexec_b32 s9, s9
	s_cbranch_execz .LBB151_66
; %bb.65:                               ;   in Loop: Header=BB151_3 Depth=1
	v_lshl_add_u64 v[46:47], v[34:35], 3, v[46:47]
	flat_load_b64 v[46:47], v[46:47]
	s_wait_loadcnt_dscnt 0x0
	v_pk_add_f32 v[46:47], v[46:47], 0 neg_lo:[1,1] neg_hi:[1,1]
	ds_store_b64 v84, v[46:47]
.LBB151_66:                             ;   in Loop: Header=BB151_3 Depth=1
	s_or_b32 exec_lo, exec_lo, s9
.LBB151_67:                             ;   in Loop: Header=BB151_3 Depth=1
	s_delay_alu instid0(SALU_CYCLE_1)
	s_and_not1_b32 vcc_lo, exec_lo, s100
	s_wait_storecnt 0x0
	s_wait_loadcnt_dscnt 0x0
	s_barrier_signal -1
	s_barrier_wait -1
	s_cbranch_vccnz .LBB151_933
; %bb.68:                               ;   in Loop: Header=BB151_3 Depth=1
	s_wait_xcnt 0x0
	s_and_saveexec_b32 s9, s12
; %bb.69:                               ;   in Loop: Header=BB151_3 Depth=1
	ds_store_2addr_b64 v1, v[38:39], v[38:39] offset1:65
; %bb.70:                               ;   in Loop: Header=BB151_3 Depth=1
	s_or_b32 exec_lo, exec_lo, s9
	v_mov_b64_e32 v[46:47], 0
	s_wait_dscnt 0x0
	s_barrier_signal -1
	s_barrier_wait -1
	s_and_saveexec_b32 s9, s1
	s_cbranch_execz .LBB151_74
; %bb.71:                               ;   in Loop: Header=BB151_3 Depth=1
	ds_load_b64 v[46:47], v53 offset:16
	ds_load_b64 v[48:49], v54
	s_wait_dscnt 0x0
	v_pk_mul_f32 v[50:51], v[48:49], v[46:47] op_sel:[1,1] op_sel_hi:[0,1]
	s_delay_alu instid0(VALU_DEP_1) | instskip(SKIP_1) | instid1(VALU_DEP_2)
	v_pk_fma_f32 v[86:87], v[48:49], v[46:47], v[50:51] op_sel_hi:[1,0,1]
	v_pk_fma_f32 v[46:47], v[48:49], v[46:47], v[50:51] neg_lo:[0,0,1] neg_hi:[0,0,1]
	v_mov_b32_e32 v47, v87
	s_delay_alu instid0(VALU_DEP_1)
	v_pk_add_f32 v[46:47], v[46:47], 0 op_sel_hi:[1,0]
	s_and_saveexec_b32 s14, s15
	s_cbranch_execz .LBB151_73
; %bb.72:                               ;   in Loop: Header=BB151_3 Depth=1
	ds_load_b64 v[48:49], v55 offset:528
	ds_load_b64 v[50:51], v1 offset:8
	s_wait_dscnt 0x0
	v_pk_mul_f32 v[86:87], v[50:51], v[48:49] op_sel:[1,1] op_sel_hi:[0,1]
	s_delay_alu instid0(VALU_DEP_1) | instskip(SKIP_1) | instid1(VALU_DEP_2)
	v_pk_fma_f32 v[88:89], v[50:51], v[48:49], v[86:87] op_sel_hi:[1,0,1]
	v_pk_fma_f32 v[48:49], v[50:51], v[48:49], v[86:87] neg_lo:[0,0,1] neg_hi:[0,0,1]
	v_mov_b32_e32 v49, v89
	s_delay_alu instid0(VALU_DEP_1)
	v_pk_add_f32 v[46:47], v[46:47], v[48:49]
.LBB151_73:                             ;   in Loop: Header=BB151_3 Depth=1
	s_or_b32 exec_lo, exec_lo, s14
	s_delay_alu instid0(VALU_DEP_1)
	v_pk_add_f32 v[46:47], v[46:47], 0 neg_lo:[1,1] neg_hi:[1,1]
.LBB151_74:                             ;   in Loop: Header=BB151_3 Depth=1
	s_or_b32 exec_lo, exec_lo, s9
	s_and_saveexec_b32 s9, s101
; %bb.75:                               ;   in Loop: Header=BB151_3 Depth=1
	ds_store_b64 v52, v[46:47]
; %bb.76:                               ;   in Loop: Header=BB151_3 Depth=1
	s_or_b32 exec_lo, exec_lo, s9
	s_wait_dscnt 0x0
	s_barrier_signal -1
	s_barrier_wait -1
	s_and_saveexec_b32 s9, s102
	s_cbranch_execz .LBB151_78
; %bb.77:                               ;   in Loop: Header=BB151_3 Depth=1
	ds_load_b64 v[48:49], v1 offset:1048
	ds_load_b64 v[50:51], v52
	s_wait_dscnt 0x0
	v_pk_mul_f32 v[86:87], v[50:51], v[48:49] op_sel:[1,1] op_sel_hi:[0,1]
	s_delay_alu instid0(VALU_DEP_1) | instskip(SKIP_1) | instid1(VALU_DEP_2)
	v_pk_fma_f32 v[88:89], v[50:51], v[48:49], v[86:87] op_sel_hi:[1,0,1]
	v_pk_fma_f32 v[48:49], v[50:51], v[48:49], v[86:87] neg_lo:[0,0,1] neg_hi:[0,0,1]
	v_mov_b32_e32 v49, v89
	s_delay_alu instid0(VALU_DEP_1)
	v_pk_add_f32 v[46:47], v[46:47], v[48:49]
.LBB151_78:                             ;   in Loop: Header=BB151_3 Depth=1
	s_or_b32 exec_lo, exec_lo, s9
	s_barrier_signal -1
	s_barrier_wait -1
	s_and_saveexec_b32 s9, s102
; %bb.79:                               ;   in Loop: Header=BB151_3 Depth=1
	ds_store_b64 v52, v[46:47]
; %bb.80:                               ;   in Loop: Header=BB151_3 Depth=1
	s_or_b32 exec_lo, exec_lo, s9
	s_wait_dscnt 0x0
	s_barrier_signal -1
	s_barrier_wait -1
	s_barrier_signal -1
	s_barrier_wait -1
	s_and_saveexec_b32 s9, s1
; %bb.81:                               ;   in Loop: Header=BB151_3 Depth=1
	v_pk_add_f32 v[46:47], v[46:47], 0 neg_lo:[1,1] neg_hi:[1,1]
	ds_store_b64 v53, v[46:47] offset:16
; %bb.82:                               ;   in Loop: Header=BB151_3 Depth=1
	s_or_b32 exec_lo, exec_lo, s9
	s_wait_dscnt 0x0
	s_barrier_signal -1
	s_barrier_wait -1
	s_barrier_signal -1
	s_barrier_wait -1
	s_and_saveexec_b32 s9, s12
; %bb.83:                               ;   in Loop: Header=BB151_3 Depth=1
	ds_store_2addr_b64 v1, v[38:39], v[38:39] offset0:130 offset1:195
; %bb.84:                               ;   in Loop: Header=BB151_3 Depth=1
	s_or_b32 exec_lo, exec_lo, s9
	v_mov_b64_e32 v[46:47], 0
	s_wait_dscnt 0x0
	s_barrier_signal -1
	s_barrier_wait -1
	s_and_saveexec_b32 s9, s2
	s_cbranch_execz .LBB151_90
; %bb.85:                               ;   in Loop: Header=BB151_3 Depth=1
	ds_load_b64 v[46:47], v59 offset:32
	ds_load_b64 v[48:49], v56
	s_wait_dscnt 0x0
	v_dual_mul_f32 v0, v49, v47 :: v_dual_mul_f32 v3, v48, v47
	s_delay_alu instid0(VALU_DEP_1) | instskip(NEXT) | instid1(VALU_DEP_1)
	v_dual_fma_f32 v0, v48, v46, -v0 :: v_dual_fmac_f32 v3, v49, v46
	v_dual_add_f32 v46, 0, v0 :: v_dual_add_f32 v47, 0, v3
	s_and_saveexec_b32 s14, s16
	s_cbranch_execnz .LBB151_998
; %bb.86:                               ;   in Loop: Header=BB151_3 Depth=1
	s_or_b32 exec_lo, exec_lo, s14
	s_and_saveexec_b32 s14, s17
	s_cbranch_execnz .LBB151_999
.LBB151_87:                             ;   in Loop: Header=BB151_3 Depth=1
	s_or_b32 exec_lo, exec_lo, s14
	s_and_saveexec_b32 s14, s1
	s_cbranch_execz .LBB151_89
.LBB151_88:                             ;   in Loop: Header=BB151_3 Depth=1
	ds_load_b64 v[48:49], v55 offset:1568
	ds_load_b64 v[50:51], v1 offset:24
	s_wait_dscnt 0x0
	v_dual_mul_f32 v0, v51, v49 :: v_dual_mul_f32 v87, v50, v49
	s_delay_alu instid0(VALU_DEP_1) | instskip(NEXT) | instid1(VALU_DEP_1)
	v_dual_fma_f32 v86, v50, v48, -v0 :: v_dual_fmac_f32 v87, v51, v48
	v_pk_add_f32 v[46:47], v[46:47], v[86:87]
.LBB151_89:                             ;   in Loop: Header=BB151_3 Depth=1
	s_or_b32 exec_lo, exec_lo, s14
	s_delay_alu instid0(VALU_DEP_1)
	v_pk_add_f32 v[46:47], v[46:47], 0 neg_lo:[1,1] neg_hi:[1,1]
.LBB151_90:                             ;   in Loop: Header=BB151_3 Depth=1
	s_or_b32 exec_lo, exec_lo, s9
	s_and_saveexec_b32 s9, s103
; %bb.91:                               ;   in Loop: Header=BB151_3 Depth=1
	ds_store_b64 v57, v[46:47]
; %bb.92:                               ;   in Loop: Header=BB151_3 Depth=1
	s_or_b32 exec_lo, exec_lo, s9
	s_wait_dscnt 0x0
	s_barrier_signal -1
	s_barrier_wait -1
	s_and_saveexec_b32 s9, s104
	s_cbranch_execz .LBB151_94
; %bb.93:                               ;   in Loop: Header=BB151_3 Depth=1
	ds_load_b64 v[48:49], v58 offset:2080
	ds_load_b64 v[50:51], v57
	s_wait_dscnt 0x0
	v_pk_mul_f32 v[86:87], v[50:51], v[48:49] op_sel:[1,1] op_sel_hi:[0,1]
	s_delay_alu instid0(VALU_DEP_1) | instskip(SKIP_1) | instid1(VALU_DEP_2)
	v_pk_fma_f32 v[88:89], v[50:51], v[48:49], v[86:87] op_sel_hi:[1,0,1]
	v_pk_fma_f32 v[48:49], v[50:51], v[48:49], v[86:87] neg_lo:[0,0,1] neg_hi:[0,0,1]
	v_mov_b32_e32 v49, v89
	s_delay_alu instid0(VALU_DEP_1)
	v_pk_add_f32 v[46:47], v[46:47], v[48:49]
.LBB151_94:                             ;   in Loop: Header=BB151_3 Depth=1
	s_or_b32 exec_lo, exec_lo, s9
	s_barrier_signal -1
	s_barrier_wait -1
	s_and_saveexec_b32 s9, vcc_hi
; %bb.95:                               ;   in Loop: Header=BB151_3 Depth=1
	ds_store_b64 v57, v[46:47]
; %bb.96:                               ;   in Loop: Header=BB151_3 Depth=1
	s_or_b32 exec_lo, exec_lo, s9
	s_wait_dscnt 0x0
	s_barrier_signal -1
	s_barrier_wait -1
	s_and_saveexec_b32 s9, s43
	s_cbranch_execz .LBB151_98
; %bb.97:                               ;   in Loop: Header=BB151_3 Depth=1
	ds_load_b64 v[48:49], v58 offset:2592
	ds_load_b64 v[50:51], v57
	s_wait_dscnt 0x0
	v_pk_mul_f32 v[86:87], v[50:51], v[48:49] op_sel:[1,1] op_sel_hi:[0,1]
	s_delay_alu instid0(VALU_DEP_1) | instskip(SKIP_1) | instid1(VALU_DEP_2)
	v_pk_fma_f32 v[88:89], v[50:51], v[48:49], v[86:87] op_sel_hi:[1,0,1]
	v_pk_fma_f32 v[48:49], v[50:51], v[48:49], v[86:87] neg_lo:[0,0,1] neg_hi:[0,0,1]
	v_mov_b32_e32 v49, v89
	s_delay_alu instid0(VALU_DEP_1)
	v_pk_add_f32 v[46:47], v[46:47], v[48:49]
.LBB151_98:                             ;   in Loop: Header=BB151_3 Depth=1
	s_or_b32 exec_lo, exec_lo, s9
	s_barrier_signal -1
	s_barrier_wait -1
	s_and_saveexec_b32 s9, s44
; %bb.99:                               ;   in Loop: Header=BB151_3 Depth=1
	ds_store_b64 v57, v[46:47]
; %bb.100:                              ;   in Loop: Header=BB151_3 Depth=1
	s_or_b32 exec_lo, exec_lo, s9
	s_wait_dscnt 0x0
	s_barrier_signal -1
	s_barrier_wait -1
	s_and_saveexec_b32 s9, s45
	s_cbranch_execz .LBB151_102
; %bb.101:                              ;   in Loop: Header=BB151_3 Depth=1
	ds_load_b64 v[48:49], v1 offset:3128
	ds_load_b64 v[50:51], v57
	s_wait_dscnt 0x0
	v_pk_mul_f32 v[86:87], v[50:51], v[48:49] op_sel:[1,1] op_sel_hi:[0,1]
	s_delay_alu instid0(VALU_DEP_1) | instskip(SKIP_1) | instid1(VALU_DEP_2)
	v_pk_fma_f32 v[88:89], v[50:51], v[48:49], v[86:87] op_sel_hi:[1,0,1]
	v_pk_fma_f32 v[48:49], v[50:51], v[48:49], v[86:87] neg_lo:[0,0,1] neg_hi:[0,0,1]
	v_mov_b32_e32 v49, v89
	s_delay_alu instid0(VALU_DEP_1)
	v_pk_add_f32 v[46:47], v[46:47], v[48:49]
.LBB151_102:                            ;   in Loop: Header=BB151_3 Depth=1
	s_or_b32 exec_lo, exec_lo, s9
	s_barrier_signal -1
	s_barrier_wait -1
	s_and_saveexec_b32 s9, s45
; %bb.103:                              ;   in Loop: Header=BB151_3 Depth=1
	ds_store_b64 v57, v[46:47]
; %bb.104:                              ;   in Loop: Header=BB151_3 Depth=1
	s_or_b32 exec_lo, exec_lo, s9
	s_wait_dscnt 0x0
	s_barrier_signal -1
	s_barrier_wait -1
	s_barrier_signal -1
	s_barrier_wait -1
	s_and_saveexec_b32 s9, s2
; %bb.105:                              ;   in Loop: Header=BB151_3 Depth=1
	v_pk_add_f32 v[46:47], v[46:47], 0 neg_lo:[1,1] neg_hi:[1,1]
	ds_store_b64 v59, v[46:47] offset:32
; %bb.106:                              ;   in Loop: Header=BB151_3 Depth=1
	s_or_b32 exec_lo, exec_lo, s9
	s_wait_dscnt 0x0
	s_barrier_signal -1
	s_barrier_wait -1
	s_barrier_signal -1
	s_barrier_wait -1
	s_and_saveexec_b32 s9, s12
; %bb.107:                              ;   in Loop: Header=BB151_3 Depth=1
	v_add_nc_u32_e64 v0, 0x800, 0
	ds_store_2addr_b64 v0, v[38:39], v[38:39] offset0:4 offset1:69
; %bb.108:                              ;   in Loop: Header=BB151_3 Depth=1
	s_or_b32 exec_lo, exec_lo, s9
	v_mov_b64_e32 v[46:47], 0
	s_wait_dscnt 0x0
	s_barrier_signal -1
	s_barrier_wait -1
	s_and_saveexec_b32 s9, s1
	s_cbranch_execz .LBB151_112
; %bb.109:                              ;   in Loop: Header=BB151_3 Depth=1
	ds_load_b64 v[46:47], v53 offset:2096
	ds_load_b64 v[48:49], v54 offset:2080
	s_wait_dscnt 0x0
	v_pk_mul_f32 v[50:51], v[48:49], v[46:47] op_sel:[1,1] op_sel_hi:[0,1]
	s_delay_alu instid0(VALU_DEP_1) | instskip(SKIP_1) | instid1(VALU_DEP_2)
	v_pk_fma_f32 v[86:87], v[48:49], v[46:47], v[50:51] op_sel_hi:[1,0,1]
	v_pk_fma_f32 v[46:47], v[48:49], v[46:47], v[50:51] neg_lo:[0,0,1] neg_hi:[0,0,1]
	v_mov_b32_e32 v47, v87
	s_delay_alu instid0(VALU_DEP_1)
	v_pk_add_f32 v[46:47], v[46:47], 0 op_sel_hi:[1,0]
	s_and_saveexec_b32 s14, s15
	s_cbranch_execz .LBB151_111
; %bb.110:                              ;   in Loop: Header=BB151_3 Depth=1
	ds_load_b64 v[48:49], v55 offset:2608
	ds_load_b64 v[50:51], v1 offset:2088
	s_wait_dscnt 0x0
	v_pk_mul_f32 v[86:87], v[50:51], v[48:49] op_sel:[1,1] op_sel_hi:[0,1]
	s_delay_alu instid0(VALU_DEP_1) | instskip(SKIP_1) | instid1(VALU_DEP_2)
	v_pk_fma_f32 v[88:89], v[50:51], v[48:49], v[86:87] op_sel_hi:[1,0,1]
	v_pk_fma_f32 v[48:49], v[50:51], v[48:49], v[86:87] neg_lo:[0,0,1] neg_hi:[0,0,1]
	v_mov_b32_e32 v49, v89
	s_delay_alu instid0(VALU_DEP_1)
	v_pk_add_f32 v[46:47], v[46:47], v[48:49]
.LBB151_111:                            ;   in Loop: Header=BB151_3 Depth=1
	s_or_b32 exec_lo, exec_lo, s14
	s_delay_alu instid0(VALU_DEP_1)
	v_pk_add_f32 v[46:47], v[46:47], 0 neg_lo:[1,1] neg_hi:[1,1]
.LBB151_112:                            ;   in Loop: Header=BB151_3 Depth=1
	s_or_b32 exec_lo, exec_lo, s9
	s_and_saveexec_b32 s9, s101
; %bb.113:                              ;   in Loop: Header=BB151_3 Depth=1
	ds_store_b64 v52, v[46:47]
; %bb.114:                              ;   in Loop: Header=BB151_3 Depth=1
	s_or_b32 exec_lo, exec_lo, s9
	s_wait_dscnt 0x0
	s_barrier_signal -1
	s_barrier_wait -1
	s_and_saveexec_b32 s9, s102
	s_cbranch_execz .LBB151_116
; %bb.115:                              ;   in Loop: Header=BB151_3 Depth=1
	ds_load_b64 v[48:49], v1 offset:3128
	ds_load_b64 v[50:51], v52
	s_wait_dscnt 0x0
	v_pk_mul_f32 v[86:87], v[50:51], v[48:49] op_sel:[1,1] op_sel_hi:[0,1]
	s_delay_alu instid0(VALU_DEP_1) | instskip(SKIP_1) | instid1(VALU_DEP_2)
	v_pk_fma_f32 v[88:89], v[50:51], v[48:49], v[86:87] op_sel_hi:[1,0,1]
	v_pk_fma_f32 v[48:49], v[50:51], v[48:49], v[86:87] neg_lo:[0,0,1] neg_hi:[0,0,1]
	v_mov_b32_e32 v49, v89
	s_delay_alu instid0(VALU_DEP_1)
	v_pk_add_f32 v[46:47], v[46:47], v[48:49]
.LBB151_116:                            ;   in Loop: Header=BB151_3 Depth=1
	s_or_b32 exec_lo, exec_lo, s9
	s_barrier_signal -1
	s_barrier_wait -1
	s_and_saveexec_b32 s9, s102
; %bb.117:                              ;   in Loop: Header=BB151_3 Depth=1
	ds_store_b64 v52, v[46:47]
; %bb.118:                              ;   in Loop: Header=BB151_3 Depth=1
	s_or_b32 exec_lo, exec_lo, s9
	s_wait_dscnt 0x0
	s_barrier_signal -1
	s_barrier_wait -1
	s_barrier_signal -1
	s_barrier_wait -1
	s_and_saveexec_b32 s9, s1
; %bb.119:                              ;   in Loop: Header=BB151_3 Depth=1
	v_pk_add_f32 v[46:47], v[46:47], 0 neg_lo:[1,1] neg_hi:[1,1]
	ds_store_b64 v53, v[46:47] offset:2096
; %bb.120:                              ;   in Loop: Header=BB151_3 Depth=1
	s_or_b32 exec_lo, exec_lo, s9
	s_wait_dscnt 0x0
	s_barrier_signal -1
	s_barrier_wait -1
	s_barrier_signal -1
	s_barrier_wait -1
	s_and_saveexec_b32 s9, s12
; %bb.121:                              ;   in Loop: Header=BB151_3 Depth=1
	v_add_nc_u32_e64 v0, 0x800, 0
	ds_store_2addr_b64 v0, v[38:39], v[38:39] offset0:134 offset1:199
; %bb.122:                              ;   in Loop: Header=BB151_3 Depth=1
	s_or_b32 exec_lo, exec_lo, s9
	v_mov_b64_e32 v[46:47], 0
	s_wait_dscnt 0x0
	s_barrier_signal -1
	s_barrier_wait -1
	s_and_saveexec_b32 s9, s3
	s_cbranch_execz .LBB151_132
; %bb.123:                              ;   in Loop: Header=BB151_3 Depth=1
	ds_load_b64 v[46:47], v64 offset:64
	ds_load_b64 v[48:49], v61
	s_wait_dscnt 0x0
	v_dual_mul_f32 v0, v49, v47 :: v_dual_mul_f32 v3, v48, v47
	s_delay_alu instid0(VALU_DEP_1) | instskip(NEXT) | instid1(VALU_DEP_1)
	v_dual_fma_f32 v0, v48, v46, -v0 :: v_dual_fmac_f32 v3, v49, v46
	v_dual_add_f32 v46, 0, v0 :: v_dual_add_f32 v47, 0, v3
	s_and_saveexec_b32 s14, s18
	s_cbranch_execnz .LBB151_1000
; %bb.124:                              ;   in Loop: Header=BB151_3 Depth=1
	s_or_b32 exec_lo, exec_lo, s14
	s_and_saveexec_b32 s14, s19
	s_cbranch_execnz .LBB151_1001
.LBB151_125:                            ;   in Loop: Header=BB151_3 Depth=1
	s_or_b32 exec_lo, exec_lo, s14
	s_and_saveexec_b32 s14, s20
	s_cbranch_execnz .LBB151_1002
.LBB151_126:                            ;   in Loop: Header=BB151_3 Depth=1
	s_or_b32 exec_lo, exec_lo, s14
	s_and_saveexec_b32 s14, s21
	s_cbranch_execnz .LBB151_1003
.LBB151_127:                            ;   in Loop: Header=BB151_3 Depth=1
	s_or_b32 exec_lo, exec_lo, s14
	s_and_saveexec_b32 s14, s22
	s_cbranch_execnz .LBB151_1004
.LBB151_128:                            ;   in Loop: Header=BB151_3 Depth=1
	s_or_b32 exec_lo, exec_lo, s14
	s_and_saveexec_b32 s14, s2
	s_cbranch_execnz .LBB151_1005
.LBB151_129:                            ;   in Loop: Header=BB151_3 Depth=1
	s_or_b32 exec_lo, exec_lo, s14
	s_and_saveexec_b32 s14, s17
	s_cbranch_execz .LBB151_131
.LBB151_130:                            ;   in Loop: Header=BB151_3 Depth=1
	ds_load_b64 v[48:49], v55 offset:3648
	ds_load_b64 v[50:51], v1 offset:56
	s_wait_dscnt 0x0
	v_pk_mul_f32 v[86:87], v[50:51], v[48:49] op_sel:[1,1] op_sel_hi:[0,1]
	s_delay_alu instid0(VALU_DEP_1) | instskip(SKIP_1) | instid1(VALU_DEP_2)
	v_pk_fma_f32 v[88:89], v[50:51], v[48:49], v[86:87] op_sel_hi:[1,0,1]
	v_pk_fma_f32 v[48:49], v[50:51], v[48:49], v[86:87] neg_lo:[0,0,1] neg_hi:[0,0,1]
	v_mov_b32_e32 v49, v89
	s_delay_alu instid0(VALU_DEP_1)
	v_pk_add_f32 v[46:47], v[46:47], v[48:49]
.LBB151_131:                            ;   in Loop: Header=BB151_3 Depth=1
	s_or_b32 exec_lo, exec_lo, s14
	s_delay_alu instid0(VALU_DEP_1)
	v_pk_add_f32 v[46:47], v[46:47], 0 neg_lo:[1,1] neg_hi:[1,1]
.LBB151_132:                            ;   in Loop: Header=BB151_3 Depth=1
	s_or_b32 exec_lo, exec_lo, s9
	s_and_saveexec_b32 s9, s46
; %bb.133:                              ;   in Loop: Header=BB151_3 Depth=1
	ds_store_b64 v63, v[46:47]
; %bb.134:                              ;   in Loop: Header=BB151_3 Depth=1
	s_or_b32 exec_lo, exec_lo, s9
	s_wait_dscnt 0x0
	s_barrier_signal -1
	s_barrier_wait -1
	s_and_saveexec_b32 s9, s47
	s_cbranch_execz .LBB151_136
; %bb.135:                              ;   in Loop: Header=BB151_3 Depth=1
	ds_load_b64 v[48:49], v62 offset:4160
	ds_load_b64 v[50:51], v63
	s_wait_dscnt 0x0
	v_pk_mul_f32 v[86:87], v[50:51], v[48:49] op_sel:[1,1] op_sel_hi:[0,1]
	s_delay_alu instid0(VALU_DEP_1) | instskip(SKIP_1) | instid1(VALU_DEP_2)
	v_pk_fma_f32 v[88:89], v[50:51], v[48:49], v[86:87] op_sel_hi:[1,0,1]
	v_pk_fma_f32 v[48:49], v[50:51], v[48:49], v[86:87] neg_lo:[0,0,1] neg_hi:[0,0,1]
	v_mov_b32_e32 v49, v89
	s_delay_alu instid0(VALU_DEP_1)
	v_pk_add_f32 v[46:47], v[46:47], v[48:49]
.LBB151_136:                            ;   in Loop: Header=BB151_3 Depth=1
	s_or_b32 exec_lo, exec_lo, s9
	s_barrier_signal -1
	s_barrier_wait -1
	s_and_saveexec_b32 s9, s48
; %bb.137:                              ;   in Loop: Header=BB151_3 Depth=1
	ds_store_b64 v63, v[46:47]
; %bb.138:                              ;   in Loop: Header=BB151_3 Depth=1
	s_or_b32 exec_lo, exec_lo, s9
	s_wait_dscnt 0x0
	s_barrier_signal -1
	s_barrier_wait -1
	s_and_saveexec_b32 s9, s49
	s_cbranch_execz .LBB151_140
; %bb.139:                              ;   in Loop: Header=BB151_3 Depth=1
	ds_load_b64 v[48:49], v62 offset:4672
	ds_load_b64 v[50:51], v63
	s_wait_dscnt 0x0
	v_dual_mul_f32 v0, v51, v49 :: v_dual_mul_f32 v3, v50, v49
	s_delay_alu instid0(VALU_DEP_1) | instskip(NEXT) | instid1(VALU_DEP_1)
	v_dual_fma_f32 v0, v50, v48, -v0 :: v_dual_fmac_f32 v3, v51, v48
	v_dual_add_f32 v46, v46, v0 :: v_dual_add_f32 v47, v47, v3
.LBB151_140:                            ;   in Loop: Header=BB151_3 Depth=1
	s_or_b32 exec_lo, exec_lo, s9
	s_barrier_signal -1
	s_barrier_wait -1
	s_and_saveexec_b32 s9, s50
; %bb.141:                              ;   in Loop: Header=BB151_3 Depth=1
	ds_store_b64 v63, v[46:47]
; %bb.142:                              ;   in Loop: Header=BB151_3 Depth=1
	s_or_b32 exec_lo, exec_lo, s9
	s_wait_dscnt 0x0
	s_barrier_signal -1
	s_barrier_wait -1
	s_and_saveexec_b32 s9, s51
	s_cbranch_execz .LBB151_144
; %bb.143:                              ;   in Loop: Header=BB151_3 Depth=1
	ds_load_b64 v[48:49], v62 offset:5184
	ds_load_b64 v[50:51], v63
	s_wait_dscnt 0x0
	v_dual_mul_f32 v0, v51, v49 :: v_dual_mul_f32 v87, v50, v49
	s_delay_alu instid0(VALU_DEP_1) | instskip(NEXT) | instid1(VALU_DEP_1)
	v_dual_fma_f32 v86, v50, v48, -v0 :: v_dual_fmac_f32 v87, v51, v48
	v_pk_add_f32 v[46:47], v[46:47], v[86:87]
.LBB151_144:                            ;   in Loop: Header=BB151_3 Depth=1
	s_or_b32 exec_lo, exec_lo, s9
	s_barrier_signal -1
	s_barrier_wait -1
	s_and_saveexec_b32 s9, s52
; %bb.145:                              ;   in Loop: Header=BB151_3 Depth=1
	ds_store_b64 v63, v[46:47]
; %bb.146:                              ;   in Loop: Header=BB151_3 Depth=1
	s_or_b32 exec_lo, exec_lo, s9
	s_wait_dscnt 0x0
	s_barrier_signal -1
	s_barrier_wait -1
	s_and_saveexec_b32 s9, s53
	s_cbranch_execz .LBB151_148
; %bb.147:                              ;   in Loop: Header=BB151_3 Depth=1
	ds_load_b64 v[48:49], v62 offset:5696
	ds_load_b64 v[50:51], v63
	s_wait_dscnt 0x0
	v_pk_mul_f32 v[86:87], v[50:51], v[48:49] op_sel:[1,1] op_sel_hi:[0,1]
	s_delay_alu instid0(VALU_DEP_1) | instskip(SKIP_1) | instid1(VALU_DEP_2)
	v_pk_fma_f32 v[88:89], v[50:51], v[48:49], v[86:87] op_sel_hi:[1,0,1]
	v_pk_fma_f32 v[48:49], v[50:51], v[48:49], v[86:87] neg_lo:[0,0,1] neg_hi:[0,0,1]
	v_mov_b32_e32 v49, v89
	s_delay_alu instid0(VALU_DEP_1)
	v_pk_add_f32 v[46:47], v[46:47], v[48:49]
.LBB151_148:                            ;   in Loop: Header=BB151_3 Depth=1
	s_or_b32 exec_lo, exec_lo, s9
	s_barrier_signal -1
	s_barrier_wait -1
	s_and_saveexec_b32 s9, s54
; %bb.149:                              ;   in Loop: Header=BB151_3 Depth=1
	ds_store_b64 v63, v[46:47]
; %bb.150:                              ;   in Loop: Header=BB151_3 Depth=1
	s_or_b32 exec_lo, exec_lo, s9
	s_wait_dscnt 0x0
	s_barrier_signal -1
	s_barrier_wait -1
	s_and_saveexec_b32 s9, s55
	s_cbranch_execz .LBB151_152
; %bb.151:                              ;   in Loop: Header=BB151_3 Depth=1
	ds_load_b64 v[48:49], v62 offset:6208
	ds_load_b64 v[50:51], v63
	s_wait_dscnt 0x0
	v_pk_mul_f32 v[86:87], v[50:51], v[48:49] op_sel:[1,1] op_sel_hi:[0,1]
	s_delay_alu instid0(VALU_DEP_1) | instskip(SKIP_1) | instid1(VALU_DEP_2)
	v_pk_fma_f32 v[88:89], v[50:51], v[48:49], v[86:87] op_sel_hi:[1,0,1]
	v_pk_fma_f32 v[48:49], v[50:51], v[48:49], v[86:87] neg_lo:[0,0,1] neg_hi:[0,0,1]
	v_mov_b32_e32 v49, v89
	s_delay_alu instid0(VALU_DEP_1)
	v_pk_add_f32 v[46:47], v[46:47], v[48:49]
.LBB151_152:                            ;   in Loop: Header=BB151_3 Depth=1
	;; [unrolled: 25-line block ×4, first 2 shown]
	s_or_b32 exec_lo, exec_lo, s9
	s_barrier_signal -1
	s_barrier_wait -1
	s_and_saveexec_b32 s9, s59
; %bb.161:                              ;   in Loop: Header=BB151_3 Depth=1
	ds_store_b64 v63, v[46:47]
; %bb.162:                              ;   in Loop: Header=BB151_3 Depth=1
	s_or_b32 exec_lo, exec_lo, s9
	s_wait_dscnt 0x0
	s_barrier_signal -1
	s_barrier_wait -1
	s_barrier_signal -1
	s_barrier_wait -1
	s_and_saveexec_b32 s9, s3
; %bb.163:                              ;   in Loop: Header=BB151_3 Depth=1
	v_pk_add_f32 v[46:47], v[46:47], 0 neg_lo:[1,1] neg_hi:[1,1]
	ds_store_b64 v64, v[46:47] offset:64
; %bb.164:                              ;   in Loop: Header=BB151_3 Depth=1
	s_or_b32 exec_lo, exec_lo, s9
	s_wait_dscnt 0x0
	s_barrier_signal -1
	s_barrier_wait -1
	s_barrier_signal -1
	s_barrier_wait -1
	s_and_saveexec_b32 s9, s12
; %bb.165:                              ;   in Loop: Header=BB151_3 Depth=1
	v_add_nc_u32_e64 v0, 0x1000, 0
	ds_store_2addr_b64 v0, v[38:39], v[38:39] offset0:8 offset1:73
; %bb.166:                              ;   in Loop: Header=BB151_3 Depth=1
	s_or_b32 exec_lo, exec_lo, s9
	v_mov_b64_e32 v[46:47], 0
	s_wait_dscnt 0x0
	s_barrier_signal -1
	s_barrier_wait -1
	s_and_saveexec_b32 s9, s1
	s_cbranch_execz .LBB151_170
; %bb.167:                              ;   in Loop: Header=BB151_3 Depth=1
	ds_load_b64 v[46:47], v53 offset:4176
	ds_load_b64 v[48:49], v54 offset:4160
	s_wait_dscnt 0x0
	v_pk_mul_f32 v[50:51], v[48:49], v[46:47] op_sel:[1,1] op_sel_hi:[0,1]
	s_delay_alu instid0(VALU_DEP_1) | instskip(SKIP_1) | instid1(VALU_DEP_2)
	v_pk_fma_f32 v[86:87], v[48:49], v[46:47], v[50:51] op_sel_hi:[1,0,1]
	v_pk_fma_f32 v[46:47], v[48:49], v[46:47], v[50:51] neg_lo:[0,0,1] neg_hi:[0,0,1]
	v_mov_b32_e32 v47, v87
	s_delay_alu instid0(VALU_DEP_1)
	v_pk_add_f32 v[46:47], v[46:47], 0 op_sel_hi:[1,0]
	s_and_saveexec_b32 s14, s15
	s_cbranch_execz .LBB151_169
; %bb.168:                              ;   in Loop: Header=BB151_3 Depth=1
	ds_load_b64 v[48:49], v55 offset:4688
	ds_load_b64 v[50:51], v1 offset:4168
	s_wait_dscnt 0x0
	v_pk_mul_f32 v[86:87], v[50:51], v[48:49] op_sel:[1,1] op_sel_hi:[0,1]
	s_delay_alu instid0(VALU_DEP_1) | instskip(SKIP_1) | instid1(VALU_DEP_2)
	v_pk_fma_f32 v[88:89], v[50:51], v[48:49], v[86:87] op_sel_hi:[1,0,1]
	v_pk_fma_f32 v[48:49], v[50:51], v[48:49], v[86:87] neg_lo:[0,0,1] neg_hi:[0,0,1]
	v_mov_b32_e32 v49, v89
	s_delay_alu instid0(VALU_DEP_1)
	v_pk_add_f32 v[46:47], v[46:47], v[48:49]
.LBB151_169:                            ;   in Loop: Header=BB151_3 Depth=1
	s_or_b32 exec_lo, exec_lo, s14
	s_delay_alu instid0(VALU_DEP_1)
	v_pk_add_f32 v[46:47], v[46:47], 0 neg_lo:[1,1] neg_hi:[1,1]
.LBB151_170:                            ;   in Loop: Header=BB151_3 Depth=1
	s_or_b32 exec_lo, exec_lo, s9
	s_and_saveexec_b32 s9, s101
; %bb.171:                              ;   in Loop: Header=BB151_3 Depth=1
	ds_store_b64 v52, v[46:47]
; %bb.172:                              ;   in Loop: Header=BB151_3 Depth=1
	s_or_b32 exec_lo, exec_lo, s9
	s_wait_dscnt 0x0
	s_barrier_signal -1
	s_barrier_wait -1
	s_and_saveexec_b32 s9, s102
	s_cbranch_execz .LBB151_174
; %bb.173:                              ;   in Loop: Header=BB151_3 Depth=1
	ds_load_b64 v[48:49], v1 offset:5208
	ds_load_b64 v[50:51], v52
	s_wait_dscnt 0x0
	v_pk_mul_f32 v[86:87], v[50:51], v[48:49] op_sel:[1,1] op_sel_hi:[0,1]
	s_delay_alu instid0(VALU_DEP_1) | instskip(SKIP_1) | instid1(VALU_DEP_2)
	v_pk_fma_f32 v[88:89], v[50:51], v[48:49], v[86:87] op_sel_hi:[1,0,1]
	v_pk_fma_f32 v[48:49], v[50:51], v[48:49], v[86:87] neg_lo:[0,0,1] neg_hi:[0,0,1]
	v_mov_b32_e32 v49, v89
	s_delay_alu instid0(VALU_DEP_1)
	v_pk_add_f32 v[46:47], v[46:47], v[48:49]
.LBB151_174:                            ;   in Loop: Header=BB151_3 Depth=1
	s_or_b32 exec_lo, exec_lo, s9
	s_barrier_signal -1
	s_barrier_wait -1
	s_and_saveexec_b32 s9, s102
; %bb.175:                              ;   in Loop: Header=BB151_3 Depth=1
	ds_store_b64 v52, v[46:47]
; %bb.176:                              ;   in Loop: Header=BB151_3 Depth=1
	s_or_b32 exec_lo, exec_lo, s9
	s_wait_dscnt 0x0
	s_barrier_signal -1
	s_barrier_wait -1
	s_barrier_signal -1
	s_barrier_wait -1
	s_and_saveexec_b32 s9, s1
; %bb.177:                              ;   in Loop: Header=BB151_3 Depth=1
	v_pk_add_f32 v[46:47], v[46:47], 0 neg_lo:[1,1] neg_hi:[1,1]
	ds_store_b64 v53, v[46:47] offset:4176
; %bb.178:                              ;   in Loop: Header=BB151_3 Depth=1
	s_or_b32 exec_lo, exec_lo, s9
	s_wait_dscnt 0x0
	s_barrier_signal -1
	s_barrier_wait -1
	s_barrier_signal -1
	s_barrier_wait -1
	s_and_saveexec_b32 s9, s12
; %bb.179:                              ;   in Loop: Header=BB151_3 Depth=1
	v_add_nc_u32_e64 v0, 0x1000, 0
	ds_store_2addr_b64 v0, v[38:39], v[38:39] offset0:138 offset1:203
; %bb.180:                              ;   in Loop: Header=BB151_3 Depth=1
	s_or_b32 exec_lo, exec_lo, s9
	v_mov_b64_e32 v[46:47], 0
	s_wait_dscnt 0x0
	s_barrier_signal -1
	s_barrier_wait -1
	s_and_saveexec_b32 s9, s2
	s_cbranch_execz .LBB151_186
; %bb.181:                              ;   in Loop: Header=BB151_3 Depth=1
	ds_load_b64 v[46:47], v59 offset:4192
	ds_load_b64 v[48:49], v56 offset:4160
	s_wait_dscnt 0x0
	v_dual_mul_f32 v0, v49, v47 :: v_dual_mul_f32 v3, v48, v47
	s_delay_alu instid0(VALU_DEP_1) | instskip(NEXT) | instid1(VALU_DEP_1)
	v_dual_fma_f32 v0, v48, v46, -v0 :: v_dual_fmac_f32 v3, v49, v46
	v_dual_add_f32 v46, 0, v0 :: v_dual_add_f32 v47, 0, v3
	s_and_saveexec_b32 s14, s16
	s_cbranch_execnz .LBB151_1006
; %bb.182:                              ;   in Loop: Header=BB151_3 Depth=1
	s_or_b32 exec_lo, exec_lo, s14
	s_and_saveexec_b32 s14, s17
	s_cbranch_execnz .LBB151_1007
.LBB151_183:                            ;   in Loop: Header=BB151_3 Depth=1
	s_or_b32 exec_lo, exec_lo, s14
	s_and_saveexec_b32 s14, s1
	s_cbranch_execz .LBB151_185
.LBB151_184:                            ;   in Loop: Header=BB151_3 Depth=1
	ds_load_b64 v[48:49], v55 offset:5728
	ds_load_b64 v[50:51], v1 offset:4184
	s_wait_dscnt 0x0
	v_dual_mul_f32 v0, v51, v49 :: v_dual_mul_f32 v87, v50, v49
	s_delay_alu instid0(VALU_DEP_1) | instskip(NEXT) | instid1(VALU_DEP_1)
	v_dual_fma_f32 v86, v50, v48, -v0 :: v_dual_fmac_f32 v87, v51, v48
	v_pk_add_f32 v[46:47], v[46:47], v[86:87]
.LBB151_185:                            ;   in Loop: Header=BB151_3 Depth=1
	s_or_b32 exec_lo, exec_lo, s14
	s_delay_alu instid0(VALU_DEP_1)
	v_pk_add_f32 v[46:47], v[46:47], 0 neg_lo:[1,1] neg_hi:[1,1]
.LBB151_186:                            ;   in Loop: Header=BB151_3 Depth=1
	s_or_b32 exec_lo, exec_lo, s9
	s_and_saveexec_b32 s9, s103
; %bb.187:                              ;   in Loop: Header=BB151_3 Depth=1
	ds_store_b64 v57, v[46:47]
; %bb.188:                              ;   in Loop: Header=BB151_3 Depth=1
	s_or_b32 exec_lo, exec_lo, s9
	s_wait_dscnt 0x0
	s_barrier_signal -1
	s_barrier_wait -1
	s_and_saveexec_b32 s9, s104
	s_cbranch_execz .LBB151_190
; %bb.189:                              ;   in Loop: Header=BB151_3 Depth=1
	ds_load_b64 v[48:49], v58 offset:6240
	ds_load_b64 v[50:51], v57
	s_wait_dscnt 0x0
	v_pk_mul_f32 v[86:87], v[50:51], v[48:49] op_sel:[1,1] op_sel_hi:[0,1]
	s_delay_alu instid0(VALU_DEP_1) | instskip(SKIP_1) | instid1(VALU_DEP_2)
	v_pk_fma_f32 v[88:89], v[50:51], v[48:49], v[86:87] op_sel_hi:[1,0,1]
	v_pk_fma_f32 v[48:49], v[50:51], v[48:49], v[86:87] neg_lo:[0,0,1] neg_hi:[0,0,1]
	v_mov_b32_e32 v49, v89
	s_delay_alu instid0(VALU_DEP_1)
	v_pk_add_f32 v[46:47], v[46:47], v[48:49]
.LBB151_190:                            ;   in Loop: Header=BB151_3 Depth=1
	s_or_b32 exec_lo, exec_lo, s9
	s_barrier_signal -1
	s_barrier_wait -1
	s_and_saveexec_b32 s9, vcc_hi
; %bb.191:                              ;   in Loop: Header=BB151_3 Depth=1
	ds_store_b64 v57, v[46:47]
; %bb.192:                              ;   in Loop: Header=BB151_3 Depth=1
	s_or_b32 exec_lo, exec_lo, s9
	s_wait_dscnt 0x0
	s_barrier_signal -1
	s_barrier_wait -1
	s_and_saveexec_b32 s9, s43
	s_cbranch_execz .LBB151_194
; %bb.193:                              ;   in Loop: Header=BB151_3 Depth=1
	ds_load_b64 v[48:49], v58 offset:6752
	ds_load_b64 v[50:51], v57
	s_wait_dscnt 0x0
	v_pk_mul_f32 v[86:87], v[50:51], v[48:49] op_sel:[1,1] op_sel_hi:[0,1]
	s_delay_alu instid0(VALU_DEP_1) | instskip(SKIP_1) | instid1(VALU_DEP_2)
	v_pk_fma_f32 v[88:89], v[50:51], v[48:49], v[86:87] op_sel_hi:[1,0,1]
	v_pk_fma_f32 v[48:49], v[50:51], v[48:49], v[86:87] neg_lo:[0,0,1] neg_hi:[0,0,1]
	v_mov_b32_e32 v49, v89
	s_delay_alu instid0(VALU_DEP_1)
	v_pk_add_f32 v[46:47], v[46:47], v[48:49]
.LBB151_194:                            ;   in Loop: Header=BB151_3 Depth=1
	s_or_b32 exec_lo, exec_lo, s9
	s_barrier_signal -1
	s_barrier_wait -1
	s_and_saveexec_b32 s9, s44
; %bb.195:                              ;   in Loop: Header=BB151_3 Depth=1
	ds_store_b64 v57, v[46:47]
; %bb.196:                              ;   in Loop: Header=BB151_3 Depth=1
	s_or_b32 exec_lo, exec_lo, s9
	s_wait_dscnt 0x0
	s_barrier_signal -1
	s_barrier_wait -1
	s_and_saveexec_b32 s9, s45
	s_cbranch_execz .LBB151_198
; %bb.197:                              ;   in Loop: Header=BB151_3 Depth=1
	ds_load_b64 v[48:49], v1 offset:7288
	ds_load_b64 v[50:51], v57
	s_wait_dscnt 0x0
	v_pk_mul_f32 v[86:87], v[50:51], v[48:49] op_sel:[1,1] op_sel_hi:[0,1]
	s_delay_alu instid0(VALU_DEP_1) | instskip(SKIP_1) | instid1(VALU_DEP_2)
	v_pk_fma_f32 v[88:89], v[50:51], v[48:49], v[86:87] op_sel_hi:[1,0,1]
	v_pk_fma_f32 v[48:49], v[50:51], v[48:49], v[86:87] neg_lo:[0,0,1] neg_hi:[0,0,1]
	v_mov_b32_e32 v49, v89
	s_delay_alu instid0(VALU_DEP_1)
	v_pk_add_f32 v[46:47], v[46:47], v[48:49]
.LBB151_198:                            ;   in Loop: Header=BB151_3 Depth=1
	s_or_b32 exec_lo, exec_lo, s9
	s_barrier_signal -1
	s_barrier_wait -1
	s_and_saveexec_b32 s9, s45
; %bb.199:                              ;   in Loop: Header=BB151_3 Depth=1
	ds_store_b64 v57, v[46:47]
; %bb.200:                              ;   in Loop: Header=BB151_3 Depth=1
	s_or_b32 exec_lo, exec_lo, s9
	s_wait_dscnt 0x0
	s_barrier_signal -1
	s_barrier_wait -1
	s_barrier_signal -1
	s_barrier_wait -1
	s_and_saveexec_b32 s9, s2
; %bb.201:                              ;   in Loop: Header=BB151_3 Depth=1
	v_pk_add_f32 v[46:47], v[46:47], 0 neg_lo:[1,1] neg_hi:[1,1]
	ds_store_b64 v59, v[46:47] offset:4192
; %bb.202:                              ;   in Loop: Header=BB151_3 Depth=1
	s_or_b32 exec_lo, exec_lo, s9
	s_wait_dscnt 0x0
	s_barrier_signal -1
	s_barrier_wait -1
	s_barrier_signal -1
	s_barrier_wait -1
	s_and_saveexec_b32 s9, s12
; %bb.203:                              ;   in Loop: Header=BB151_3 Depth=1
	v_add_nc_u32_e64 v0, 0x1800, 0
	ds_store_2addr_b64 v0, v[38:39], v[38:39] offset0:12 offset1:77
; %bb.204:                              ;   in Loop: Header=BB151_3 Depth=1
	s_or_b32 exec_lo, exec_lo, s9
	v_mov_b64_e32 v[46:47], 0
	s_wait_dscnt 0x0
	s_barrier_signal -1
	s_barrier_wait -1
	s_and_saveexec_b32 s9, s1
	s_cbranch_execz .LBB151_208
; %bb.205:                              ;   in Loop: Header=BB151_3 Depth=1
	ds_load_b64 v[46:47], v53 offset:6256
	ds_load_b64 v[48:49], v54 offset:6240
	s_wait_dscnt 0x0
	v_pk_mul_f32 v[50:51], v[48:49], v[46:47] op_sel:[1,1] op_sel_hi:[0,1]
	s_delay_alu instid0(VALU_DEP_1) | instskip(SKIP_1) | instid1(VALU_DEP_2)
	v_pk_fma_f32 v[86:87], v[48:49], v[46:47], v[50:51] op_sel_hi:[1,0,1]
	v_pk_fma_f32 v[46:47], v[48:49], v[46:47], v[50:51] neg_lo:[0,0,1] neg_hi:[0,0,1]
	v_mov_b32_e32 v47, v87
	s_delay_alu instid0(VALU_DEP_1)
	v_pk_add_f32 v[46:47], v[46:47], 0 op_sel_hi:[1,0]
	s_and_saveexec_b32 s14, s15
	s_cbranch_execz .LBB151_207
; %bb.206:                              ;   in Loop: Header=BB151_3 Depth=1
	ds_load_b64 v[48:49], v55 offset:6768
	ds_load_b64 v[50:51], v1 offset:6248
	s_wait_dscnt 0x0
	v_pk_mul_f32 v[86:87], v[50:51], v[48:49] op_sel:[1,1] op_sel_hi:[0,1]
	s_delay_alu instid0(VALU_DEP_1) | instskip(SKIP_1) | instid1(VALU_DEP_2)
	v_pk_fma_f32 v[88:89], v[50:51], v[48:49], v[86:87] op_sel_hi:[1,0,1]
	v_pk_fma_f32 v[48:49], v[50:51], v[48:49], v[86:87] neg_lo:[0,0,1] neg_hi:[0,0,1]
	v_mov_b32_e32 v49, v89
	s_delay_alu instid0(VALU_DEP_1)
	v_pk_add_f32 v[46:47], v[46:47], v[48:49]
.LBB151_207:                            ;   in Loop: Header=BB151_3 Depth=1
	s_or_b32 exec_lo, exec_lo, s14
	s_delay_alu instid0(VALU_DEP_1)
	v_pk_add_f32 v[46:47], v[46:47], 0 neg_lo:[1,1] neg_hi:[1,1]
.LBB151_208:                            ;   in Loop: Header=BB151_3 Depth=1
	s_or_b32 exec_lo, exec_lo, s9
	s_and_saveexec_b32 s9, s101
; %bb.209:                              ;   in Loop: Header=BB151_3 Depth=1
	ds_store_b64 v52, v[46:47]
; %bb.210:                              ;   in Loop: Header=BB151_3 Depth=1
	s_or_b32 exec_lo, exec_lo, s9
	s_wait_dscnt 0x0
	s_barrier_signal -1
	s_barrier_wait -1
	s_and_saveexec_b32 s9, s102
	s_cbranch_execz .LBB151_212
; %bb.211:                              ;   in Loop: Header=BB151_3 Depth=1
	ds_load_b64 v[48:49], v1 offset:7288
	ds_load_b64 v[50:51], v52
	s_wait_dscnt 0x0
	v_pk_mul_f32 v[86:87], v[50:51], v[48:49] op_sel:[1,1] op_sel_hi:[0,1]
	s_delay_alu instid0(VALU_DEP_1) | instskip(SKIP_1) | instid1(VALU_DEP_2)
	v_pk_fma_f32 v[88:89], v[50:51], v[48:49], v[86:87] op_sel_hi:[1,0,1]
	v_pk_fma_f32 v[48:49], v[50:51], v[48:49], v[86:87] neg_lo:[0,0,1] neg_hi:[0,0,1]
	v_mov_b32_e32 v49, v89
	s_delay_alu instid0(VALU_DEP_1)
	v_pk_add_f32 v[46:47], v[46:47], v[48:49]
.LBB151_212:                            ;   in Loop: Header=BB151_3 Depth=1
	s_or_b32 exec_lo, exec_lo, s9
	s_barrier_signal -1
	s_barrier_wait -1
	s_and_saveexec_b32 s9, s102
; %bb.213:                              ;   in Loop: Header=BB151_3 Depth=1
	ds_store_b64 v52, v[46:47]
; %bb.214:                              ;   in Loop: Header=BB151_3 Depth=1
	s_or_b32 exec_lo, exec_lo, s9
	s_wait_dscnt 0x0
	s_barrier_signal -1
	s_barrier_wait -1
	s_barrier_signal -1
	s_barrier_wait -1
	s_and_saveexec_b32 s9, s1
; %bb.215:                              ;   in Loop: Header=BB151_3 Depth=1
	v_pk_add_f32 v[46:47], v[46:47], 0 neg_lo:[1,1] neg_hi:[1,1]
	ds_store_b64 v53, v[46:47] offset:6256
; %bb.216:                              ;   in Loop: Header=BB151_3 Depth=1
	s_or_b32 exec_lo, exec_lo, s9
	s_wait_dscnt 0x0
	s_barrier_signal -1
	s_barrier_wait -1
	s_barrier_signal -1
	s_barrier_wait -1
	s_and_saveexec_b32 s9, s12
; %bb.217:                              ;   in Loop: Header=BB151_3 Depth=1
	v_add_nc_u32_e64 v0, 0x1800, 0
	ds_store_2addr_b64 v0, v[38:39], v[38:39] offset0:142 offset1:207
; %bb.218:                              ;   in Loop: Header=BB151_3 Depth=1
	s_or_b32 exec_lo, exec_lo, s9
	v_mov_b64_e32 v[46:47], 0
	s_wait_dscnt 0x0
	s_barrier_signal -1
	s_barrier_wait -1
	s_and_saveexec_b32 s66, s4
	s_cbranch_execz .LBB151_246
; %bb.219:                              ;   in Loop: Header=BB151_3 Depth=1
	ds_load_b64 v[46:47], v69 offset:128
	ds_load_b64 v[48:49], v66
	v_readlane_b32 s10, v95, 26
	s_wait_dscnt 0x0
	v_dual_mul_f32 v0, v49, v47 :: v_dual_mul_f32 v3, v48, v47
	s_delay_alu instid0(VALU_DEP_1) | instskip(NEXT) | instid1(VALU_DEP_1)
	v_dual_fma_f32 v0, v48, v46, -v0 :: v_dual_fmac_f32 v3, v49, v46
	v_dual_add_f32 v46, 0, v0 :: v_dual_add_f32 v47, 0, v3
	s_and_saveexec_b32 s9, s10
	s_cbranch_execz .LBB151_221
; %bb.220:                              ;   in Loop: Header=BB151_3 Depth=1
	ds_load_b64 v[48:49], v70 offset:640
	ds_load_b64 v[50:51], v66 offset:8
	s_wait_dscnt 0x0
	v_dual_mul_f32 v0, v51, v49 :: v_dual_mul_f32 v3, v50, v49
	s_delay_alu instid0(VALU_DEP_1) | instskip(NEXT) | instid1(VALU_DEP_1)
	v_dual_fma_f32 v0, v50, v48, -v0 :: v_dual_fmac_f32 v3, v51, v48
	v_dual_add_f32 v46, v46, v0 :: v_dual_add_f32 v47, v47, v3
.LBB151_221:                            ;   in Loop: Header=BB151_3 Depth=1
	s_or_b32 exec_lo, exec_lo, s9
	v_readlane_b32 s10, v95, 27
	s_and_saveexec_b32 s9, s10
	s_cbranch_execz .LBB151_223
; %bb.222:                              ;   in Loop: Header=BB151_3 Depth=1
	ds_load_b64 v[48:49], v70 offset:1152
	ds_load_b64 v[50:51], v66 offset:16
	s_wait_dscnt 0x0
	v_dual_mul_f32 v0, v51, v49 :: v_dual_mul_f32 v3, v50, v49
	s_delay_alu instid0(VALU_DEP_1) | instskip(NEXT) | instid1(VALU_DEP_1)
	v_dual_fma_f32 v0, v50, v48, -v0 :: v_dual_fmac_f32 v3, v51, v48
	v_dual_add_f32 v46, v46, v0 :: v_dual_add_f32 v47, v47, v3
.LBB151_223:                            ;   in Loop: Header=BB151_3 Depth=1
	s_or_b32 exec_lo, exec_lo, s9
	v_readlane_b32 s10, v95, 28
	;; [unrolled: 13-line block ×6, first 2 shown]
	s_and_saveexec_b32 s9, s10
	s_cbranch_execz .LBB151_233
; %bb.232:                              ;   in Loop: Header=BB151_3 Depth=1
	ds_load_b64 v[48:49], v70 offset:3712
	ds_load_b64 v[50:51], v66 offset:56
	s_wait_dscnt 0x0
	v_dual_mul_f32 v0, v51, v49 :: v_dual_mul_f32 v3, v50, v49
	s_delay_alu instid0(VALU_DEP_1) | instskip(NEXT) | instid1(VALU_DEP_1)
	v_dual_fma_f32 v0, v50, v48, -v0 :: v_dual_fmac_f32 v3, v51, v48
	v_dual_add_f32 v46, v46, v0 :: v_dual_add_f32 v47, v47, v3
.LBB151_233:                            ;   in Loop: Header=BB151_3 Depth=1
	s_or_b32 exec_lo, exec_lo, s9
	s_and_saveexec_b32 s9, s13
	s_cbranch_execz .LBB151_235
; %bb.234:                              ;   in Loop: Header=BB151_3 Depth=1
	ds_load_b64 v[48:49], v69 offset:4224
	ds_load_b64 v[50:51], v66 offset:64
	s_wait_dscnt 0x0
	v_dual_mul_f32 v0, v51, v49 :: v_dual_mul_f32 v3, v50, v49
	s_delay_alu instid0(VALU_DEP_1) | instskip(NEXT) | instid1(VALU_DEP_1)
	v_dual_fma_f32 v0, v50, v48, -v0 :: v_dual_fmac_f32 v3, v51, v48
	v_dual_add_f32 v46, v46, v0 :: v_dual_add_f32 v47, v47, v3
.LBB151_235:                            ;   in Loop: Header=BB151_3 Depth=1
	s_or_b32 exec_lo, exec_lo, s9
	v_readlane_b32 s10, v94, 2
	s_and_saveexec_b32 s9, s10
	s_cbranch_execz .LBB151_237
; %bb.236:                              ;   in Loop: Header=BB151_3 Depth=1
	ds_load_b64 v[48:49], v70 offset:4736
	ds_load_b64 v[50:51], v66 offset:72
	s_wait_dscnt 0x0
	v_dual_mul_f32 v0, v51, v49 :: v_dual_mul_f32 v3, v50, v49
	s_delay_alu instid0(VALU_DEP_1) | instskip(NEXT) | instid1(VALU_DEP_1)
	v_dual_fma_f32 v0, v50, v48, -v0 :: v_dual_fmac_f32 v3, v51, v48
	v_dual_add_f32 v46, v46, v0 :: v_dual_add_f32 v47, v47, v3
.LBB151_237:                            ;   in Loop: Header=BB151_3 Depth=1
	s_or_b32 exec_lo, exec_lo, s9
	s_and_saveexec_b32 s9, s6
	s_cbranch_execz .LBB151_239
; %bb.238:                              ;   in Loop: Header=BB151_3 Depth=1
	ds_load_b64 v[48:49], v70 offset:5248
	ds_load_b64 v[50:51], v66 offset:80
	s_wait_dscnt 0x0
	v_dual_mul_f32 v0, v51, v49 :: v_dual_mul_f32 v3, v50, v49
	s_delay_alu instid0(VALU_DEP_1) | instskip(NEXT) | instid1(VALU_DEP_1)
	v_dual_fma_f32 v0, v50, v48, -v0 :: v_dual_fmac_f32 v3, v51, v48
	v_dual_add_f32 v46, v46, v0 :: v_dual_add_f32 v47, v47, v3
.LBB151_239:                            ;   in Loop: Header=BB151_3 Depth=1
	s_or_b32 exec_lo, exec_lo, s9
	v_readlane_b32 s10, v94, 3
	s_and_saveexec_b32 s9, s10
	s_cbranch_execnz .LBB151_1008
; %bb.240:                              ;   in Loop: Header=BB151_3 Depth=1
	s_or_b32 exec_lo, exec_lo, s9
	s_and_saveexec_b32 s9, s3
	s_cbranch_execnz .LBB151_1009
.LBB151_241:                            ;   in Loop: Header=BB151_3 Depth=1
	s_or_b32 exec_lo, exec_lo, s9
	s_and_saveexec_b32 s9, s19
	s_cbranch_execnz .LBB151_1010
.LBB151_242:                            ;   in Loop: Header=BB151_3 Depth=1
	s_or_b32 exec_lo, exec_lo, s9
	s_and_saveexec_b32 s9, s21
	s_cbranch_execnz .LBB151_1011
.LBB151_243:                            ;   in Loop: Header=BB151_3 Depth=1
	s_or_b32 exec_lo, exec_lo, s9
	s_and_saveexec_b32 s9, s2
	s_cbranch_execz .LBB151_245
.LBB151_244:                            ;   in Loop: Header=BB151_3 Depth=1
	ds_load_b64 v[48:49], v55 offset:7808
	ds_load_b64 v[50:51], v1 offset:120
	s_wait_dscnt 0x0
	v_dual_mul_f32 v0, v51, v49 :: v_dual_mul_f32 v87, v50, v49
	s_delay_alu instid0(VALU_DEP_1) | instskip(NEXT) | instid1(VALU_DEP_1)
	v_dual_fma_f32 v86, v50, v48, -v0 :: v_dual_fmac_f32 v87, v51, v48
	v_pk_add_f32 v[46:47], v[46:47], v[86:87]
.LBB151_245:                            ;   in Loop: Header=BB151_3 Depth=1
	s_or_b32 exec_lo, exec_lo, s9
	s_delay_alu instid0(VALU_DEP_1)
	v_pk_add_f32 v[46:47], v[46:47], 0 neg_lo:[1,1] neg_hi:[1,1]
.LBB151_246:                            ;   in Loop: Header=BB151_3 Depth=1
	s_or_b32 exec_lo, exec_lo, s66
	v_readlane_b32 s10, v95, 1
	s_and_saveexec_b32 s9, s10
; %bb.247:                              ;   in Loop: Header=BB151_3 Depth=1
	ds_store_b64 v68, v[46:47]
; %bb.248:                              ;   in Loop: Header=BB151_3 Depth=1
	s_or_b32 exec_lo, exec_lo, s9
	v_readlane_b32 s10, v95, 2
	s_wait_dscnt 0x0
	s_barrier_signal -1
	s_barrier_wait -1
	s_and_saveexec_b32 s9, s10
	s_cbranch_execz .LBB151_250
; %bb.249:                              ;   in Loop: Header=BB151_3 Depth=1
	ds_load_b64 v[48:49], v67 offset:8320
	ds_load_b64 v[50:51], v68
	s_wait_dscnt 0x0
	v_pk_mul_f32 v[86:87], v[50:51], v[48:49] op_sel:[1,1] op_sel_hi:[0,1]
	s_delay_alu instid0(VALU_DEP_1) | instskip(SKIP_1) | instid1(VALU_DEP_2)
	v_pk_fma_f32 v[88:89], v[50:51], v[48:49], v[86:87] op_sel_hi:[1,0,1]
	v_pk_fma_f32 v[48:49], v[50:51], v[48:49], v[86:87] neg_lo:[0,0,1] neg_hi:[0,0,1]
	v_mov_b32_e32 v49, v89
	s_delay_alu instid0(VALU_DEP_1)
	v_pk_add_f32 v[46:47], v[46:47], v[48:49]
.LBB151_250:                            ;   in Loop: Header=BB151_3 Depth=1
	s_or_b32 exec_lo, exec_lo, s9
	v_readlane_b32 s10, v95, 3
	s_barrier_signal -1
	s_barrier_wait -1
	s_and_saveexec_b32 s9, s10
; %bb.251:                              ;   in Loop: Header=BB151_3 Depth=1
	ds_store_b64 v68, v[46:47]
; %bb.252:                              ;   in Loop: Header=BB151_3 Depth=1
	s_or_b32 exec_lo, exec_lo, s9
	v_readlane_b32 s10, v95, 4
	s_wait_dscnt 0x0
	s_barrier_signal -1
	s_barrier_wait -1
	s_and_saveexec_b32 s9, s10
	s_cbranch_execz .LBB151_254
; %bb.253:                              ;   in Loop: Header=BB151_3 Depth=1
	ds_load_b64 v[48:49], v67 offset:8832
	ds_load_b64 v[50:51], v68
	s_wait_dscnt 0x0
	v_pk_mul_f32 v[86:87], v[50:51], v[48:49] op_sel:[1,1] op_sel_hi:[0,1]
	s_delay_alu instid0(VALU_DEP_1) | instskip(SKIP_1) | instid1(VALU_DEP_2)
	v_pk_fma_f32 v[88:89], v[50:51], v[48:49], v[86:87] op_sel_hi:[1,0,1]
	v_pk_fma_f32 v[48:49], v[50:51], v[48:49], v[86:87] neg_lo:[0,0,1] neg_hi:[0,0,1]
	v_mov_b32_e32 v49, v89
	s_delay_alu instid0(VALU_DEP_1)
	v_pk_add_f32 v[46:47], v[46:47], v[48:49]
.LBB151_254:                            ;   in Loop: Header=BB151_3 Depth=1
	s_or_b32 exec_lo, exec_lo, s9
	v_readlane_b32 s10, v95, 5
	s_barrier_signal -1
	s_barrier_wait -1
	;; [unrolled: 27-line block ×3, first 2 shown]
	s_and_saveexec_b32 s9, s10
; %bb.259:                              ;   in Loop: Header=BB151_3 Depth=1
	ds_store_b64 v68, v[46:47]
; %bb.260:                              ;   in Loop: Header=BB151_3 Depth=1
	s_or_b32 exec_lo, exec_lo, s9
	v_readlane_b32 s10, v95, 8
	s_wait_dscnt 0x0
	s_barrier_signal -1
	s_barrier_wait -1
	s_and_saveexec_b32 s9, s10
	s_cbranch_execz .LBB151_262
; %bb.261:                              ;   in Loop: Header=BB151_3 Depth=1
	ds_load_b64 v[48:49], v67 offset:9856
	ds_load_b64 v[50:51], v68
	s_wait_dscnt 0x0
	v_dual_mul_f32 v0, v51, v49 :: v_dual_mul_f32 v3, v50, v49
	s_delay_alu instid0(VALU_DEP_1) | instskip(NEXT) | instid1(VALU_DEP_1)
	v_dual_fma_f32 v0, v50, v48, -v0 :: v_dual_fmac_f32 v3, v51, v48
	v_dual_add_f32 v46, v46, v0 :: v_dual_add_f32 v47, v47, v3
.LBB151_262:                            ;   in Loop: Header=BB151_3 Depth=1
	s_or_b32 exec_lo, exec_lo, s9
	v_readlane_b32 s10, v95, 9
	s_barrier_signal -1
	s_barrier_wait -1
	s_and_saveexec_b32 s9, s10
; %bb.263:                              ;   in Loop: Header=BB151_3 Depth=1
	ds_store_b64 v68, v[46:47]
; %bb.264:                              ;   in Loop: Header=BB151_3 Depth=1
	s_or_b32 exec_lo, exec_lo, s9
	s_wait_dscnt 0x0
	s_barrier_signal -1
	s_barrier_wait -1
	s_and_saveexec_b32 s9, s29
	s_cbranch_execz .LBB151_266
; %bb.265:                              ;   in Loop: Header=BB151_3 Depth=1
	ds_load_b64 v[48:49], v67 offset:10368
	ds_load_b64 v[50:51], v68
	s_wait_dscnt 0x0
	v_dual_mul_f32 v0, v51, v49 :: v_dual_mul_f32 v87, v50, v49
	s_delay_alu instid0(VALU_DEP_1) | instskip(NEXT) | instid1(VALU_DEP_1)
	v_dual_fma_f32 v86, v50, v48, -v0 :: v_dual_fmac_f32 v87, v51, v48
	v_pk_add_f32 v[46:47], v[46:47], v[86:87]
.LBB151_266:                            ;   in Loop: Header=BB151_3 Depth=1
	s_or_b32 exec_lo, exec_lo, s9
	s_barrier_signal -1
	s_barrier_wait -1
	s_and_saveexec_b32 s9, s30
; %bb.267:                              ;   in Loop: Header=BB151_3 Depth=1
	ds_store_b64 v68, v[46:47]
; %bb.268:                              ;   in Loop: Header=BB151_3 Depth=1
	s_or_b32 exec_lo, exec_lo, s9
	s_wait_dscnt 0x0
	s_barrier_signal -1
	s_barrier_wait -1
	s_and_saveexec_b32 s9, s33
	s_cbranch_execz .LBB151_270
; %bb.269:                              ;   in Loop: Header=BB151_3 Depth=1
	ds_load_b64 v[48:49], v67 offset:10880
	ds_load_b64 v[50:51], v68
	s_wait_dscnt 0x0
	v_pk_mul_f32 v[86:87], v[50:51], v[48:49] op_sel:[1,1] op_sel_hi:[0,1]
	s_delay_alu instid0(VALU_DEP_1) | instskip(SKIP_1) | instid1(VALU_DEP_2)
	v_pk_fma_f32 v[88:89], v[50:51], v[48:49], v[86:87] op_sel_hi:[1,0,1]
	v_pk_fma_f32 v[48:49], v[50:51], v[48:49], v[86:87] neg_lo:[0,0,1] neg_hi:[0,0,1]
	v_mov_b32_e32 v49, v89
	s_delay_alu instid0(VALU_DEP_1)
	v_pk_add_f32 v[46:47], v[46:47], v[48:49]
.LBB151_270:                            ;   in Loop: Header=BB151_3 Depth=1
	s_or_b32 exec_lo, exec_lo, s9
	s_barrier_signal -1
	s_barrier_wait -1
	s_and_saveexec_b32 s9, s35
; %bb.271:                              ;   in Loop: Header=BB151_3 Depth=1
	ds_store_b64 v68, v[46:47]
; %bb.272:                              ;   in Loop: Header=BB151_3 Depth=1
	s_or_b32 exec_lo, exec_lo, s9
	s_wait_dscnt 0x0
	s_barrier_signal -1
	s_barrier_wait -1
	s_and_saveexec_b32 s9, s39
	s_cbranch_execz .LBB151_274
; %bb.273:                              ;   in Loop: Header=BB151_3 Depth=1
	ds_load_b64 v[48:49], v67 offset:11392
	ds_load_b64 v[50:51], v68
	s_wait_dscnt 0x0
	v_pk_mul_f32 v[86:87], v[50:51], v[48:49] op_sel:[1,1] op_sel_hi:[0,1]
	s_delay_alu instid0(VALU_DEP_1) | instskip(SKIP_1) | instid1(VALU_DEP_2)
	v_pk_fma_f32 v[88:89], v[50:51], v[48:49], v[86:87] op_sel_hi:[1,0,1]
	v_pk_fma_f32 v[48:49], v[50:51], v[48:49], v[86:87] neg_lo:[0,0,1] neg_hi:[0,0,1]
	v_mov_b32_e32 v49, v89
	s_delay_alu instid0(VALU_DEP_1)
	v_pk_add_f32 v[46:47], v[46:47], v[48:49]
.LBB151_274:                            ;   in Loop: Header=BB151_3 Depth=1
	;; [unrolled: 25-line block ×4, first 2 shown]
	s_or_b32 exec_lo, exec_lo, s9
	s_barrier_signal -1
	s_barrier_wait -1
	s_and_saveexec_b32 s9, s26
; %bb.283:                              ;   in Loop: Header=BB151_3 Depth=1
	ds_store_b64 v68, v[46:47]
; %bb.284:                              ;   in Loop: Header=BB151_3 Depth=1
	s_or_b32 exec_lo, exec_lo, s9
	s_wait_dscnt 0x0
	s_barrier_signal -1
	s_barrier_wait -1
	s_and_saveexec_b32 s9, s28
	s_cbranch_execz .LBB151_286
; %bb.285:                              ;   in Loop: Header=BB151_3 Depth=1
	ds_load_b64 v[48:49], v67 offset:12928
	ds_load_b64 v[50:51], v68
	s_wait_dscnt 0x0
	v_dual_mul_f32 v0, v51, v49 :: v_dual_mul_f32 v3, v50, v49
	s_delay_alu instid0(VALU_DEP_1) | instskip(NEXT) | instid1(VALU_DEP_1)
	v_dual_fma_f32 v0, v50, v48, -v0 :: v_dual_fmac_f32 v3, v51, v48
	v_dual_add_f32 v46, v46, v0 :: v_dual_add_f32 v47, v47, v3
.LBB151_286:                            ;   in Loop: Header=BB151_3 Depth=1
	s_or_b32 exec_lo, exec_lo, s9
	s_barrier_signal -1
	s_barrier_wait -1
	s_and_saveexec_b32 s9, s31
; %bb.287:                              ;   in Loop: Header=BB151_3 Depth=1
	ds_store_b64 v68, v[46:47]
; %bb.288:                              ;   in Loop: Header=BB151_3 Depth=1
	s_or_b32 exec_lo, exec_lo, s9
	s_wait_dscnt 0x0
	s_barrier_signal -1
	s_barrier_wait -1
	s_and_saveexec_b32 s9, s34
	s_cbranch_execz .LBB151_290
; %bb.289:                              ;   in Loop: Header=BB151_3 Depth=1
	ds_load_b64 v[48:49], v67 offset:13440
	ds_load_b64 v[50:51], v68
	s_wait_dscnt 0x0
	v_dual_mul_f32 v0, v51, v49 :: v_dual_mul_f32 v87, v50, v49
	s_delay_alu instid0(VALU_DEP_1) | instskip(NEXT) | instid1(VALU_DEP_1)
	v_dual_fma_f32 v86, v50, v48, -v0 :: v_dual_fmac_f32 v87, v51, v48
	v_pk_add_f32 v[46:47], v[46:47], v[86:87]
.LBB151_290:                            ;   in Loop: Header=BB151_3 Depth=1
	s_or_b32 exec_lo, exec_lo, s9
	s_barrier_signal -1
	s_barrier_wait -1
	s_and_saveexec_b32 s9, s98
; %bb.291:                              ;   in Loop: Header=BB151_3 Depth=1
	ds_store_b64 v68, v[46:47]
; %bb.292:                              ;   in Loop: Header=BB151_3 Depth=1
	s_or_b32 exec_lo, exec_lo, s9
	s_wait_dscnt 0x0
	s_barrier_signal -1
	s_barrier_wait -1
	s_and_saveexec_b32 s9, s60
	s_cbranch_execz .LBB151_294
; %bb.293:                              ;   in Loop: Header=BB151_3 Depth=1
	ds_load_b64 v[48:49], v67 offset:13952
	ds_load_b64 v[50:51], v68
	s_wait_dscnt 0x0
	v_pk_mul_f32 v[86:87], v[50:51], v[48:49] op_sel:[1,1] op_sel_hi:[0,1]
	s_delay_alu instid0(VALU_DEP_1) | instskip(SKIP_1) | instid1(VALU_DEP_2)
	v_pk_fma_f32 v[88:89], v[50:51], v[48:49], v[86:87] op_sel_hi:[1,0,1]
	v_pk_fma_f32 v[48:49], v[50:51], v[48:49], v[86:87] neg_lo:[0,0,1] neg_hi:[0,0,1]
	v_mov_b32_e32 v49, v89
	s_delay_alu instid0(VALU_DEP_1)
	v_pk_add_f32 v[46:47], v[46:47], v[48:49]
.LBB151_294:                            ;   in Loop: Header=BB151_3 Depth=1
	s_or_b32 exec_lo, exec_lo, s9
	s_barrier_signal -1
	s_barrier_wait -1
	s_and_saveexec_b32 s9, s61
; %bb.295:                              ;   in Loop: Header=BB151_3 Depth=1
	ds_store_b64 v68, v[46:47]
; %bb.296:                              ;   in Loop: Header=BB151_3 Depth=1
	s_or_b32 exec_lo, exec_lo, s9
	s_wait_dscnt 0x0
	s_barrier_signal -1
	s_barrier_wait -1
	s_and_saveexec_b32 s9, s62
	s_cbranch_execz .LBB151_298
; %bb.297:                              ;   in Loop: Header=BB151_3 Depth=1
	ds_load_b64 v[48:49], v67 offset:14464
	ds_load_b64 v[50:51], v68
	s_wait_dscnt 0x0
	v_pk_mul_f32 v[86:87], v[50:51], v[48:49] op_sel:[1,1] op_sel_hi:[0,1]
	s_delay_alu instid0(VALU_DEP_1) | instskip(SKIP_1) | instid1(VALU_DEP_2)
	v_pk_fma_f32 v[88:89], v[50:51], v[48:49], v[86:87] op_sel_hi:[1,0,1]
	v_pk_fma_f32 v[48:49], v[50:51], v[48:49], v[86:87] neg_lo:[0,0,1] neg_hi:[0,0,1]
	v_mov_b32_e32 v49, v89
	s_delay_alu instid0(VALU_DEP_1)
	v_pk_add_f32 v[46:47], v[46:47], v[48:49]
.LBB151_298:                            ;   in Loop: Header=BB151_3 Depth=1
	;; [unrolled: 25-line block ×4, first 2 shown]
	s_or_b32 exec_lo, exec_lo, s9
	s_barrier_signal -1
	s_barrier_wait -1
	s_and_saveexec_b32 s9, s65
; %bb.307:                              ;   in Loop: Header=BB151_3 Depth=1
	ds_store_b64 v68, v[46:47]
; %bb.308:                              ;   in Loop: Header=BB151_3 Depth=1
	s_or_b32 exec_lo, exec_lo, s9
	s_wait_dscnt 0x0
	s_barrier_signal -1
	s_barrier_wait -1
	s_barrier_signal -1
	s_barrier_wait -1
	s_and_saveexec_b32 s9, s4
; %bb.309:                              ;   in Loop: Header=BB151_3 Depth=1
	v_pk_add_f32 v[46:47], v[46:47], 0 neg_lo:[1,1] neg_hi:[1,1]
	ds_store_b64 v69, v[46:47] offset:128
; %bb.310:                              ;   in Loop: Header=BB151_3 Depth=1
	s_or_b32 exec_lo, exec_lo, s9
	s_wait_dscnt 0x0
	s_barrier_signal -1
	s_barrier_wait -1
	s_barrier_signal -1
	s_barrier_wait -1
	s_and_saveexec_b32 s9, s12
; %bb.311:                              ;   in Loop: Header=BB151_3 Depth=1
	v_add_nc_u32_e64 v0, 0x2000, 0
	ds_store_2addr_b64 v0, v[38:39], v[38:39] offset0:16 offset1:81
; %bb.312:                              ;   in Loop: Header=BB151_3 Depth=1
	s_or_b32 exec_lo, exec_lo, s9
	v_mov_b64_e32 v[46:47], 0
	s_wait_dscnt 0x0
	s_barrier_signal -1
	s_barrier_wait -1
	s_and_saveexec_b32 s9, s1
	s_cbranch_execz .LBB151_316
; %bb.313:                              ;   in Loop: Header=BB151_3 Depth=1
	ds_load_b64 v[46:47], v53 offset:8336
	ds_load_b64 v[48:49], v54 offset:8320
	s_wait_dscnt 0x0
	v_pk_mul_f32 v[50:51], v[48:49], v[46:47] op_sel:[1,1] op_sel_hi:[0,1]
	s_delay_alu instid0(VALU_DEP_1) | instskip(SKIP_1) | instid1(VALU_DEP_2)
	v_pk_fma_f32 v[86:87], v[48:49], v[46:47], v[50:51] op_sel_hi:[1,0,1]
	v_pk_fma_f32 v[46:47], v[48:49], v[46:47], v[50:51] neg_lo:[0,0,1] neg_hi:[0,0,1]
	v_mov_b32_e32 v47, v87
	s_delay_alu instid0(VALU_DEP_1)
	v_pk_add_f32 v[46:47], v[46:47], 0 op_sel_hi:[1,0]
	s_and_saveexec_b32 s14, s15
	s_cbranch_execz .LBB151_315
; %bb.314:                              ;   in Loop: Header=BB151_3 Depth=1
	ds_load_b64 v[48:49], v55 offset:8848
	ds_load_b64 v[50:51], v1 offset:8328
	s_wait_dscnt 0x0
	v_pk_mul_f32 v[86:87], v[50:51], v[48:49] op_sel:[1,1] op_sel_hi:[0,1]
	s_delay_alu instid0(VALU_DEP_1) | instskip(SKIP_1) | instid1(VALU_DEP_2)
	v_pk_fma_f32 v[88:89], v[50:51], v[48:49], v[86:87] op_sel_hi:[1,0,1]
	v_pk_fma_f32 v[48:49], v[50:51], v[48:49], v[86:87] neg_lo:[0,0,1] neg_hi:[0,0,1]
	v_mov_b32_e32 v49, v89
	s_delay_alu instid0(VALU_DEP_1)
	v_pk_add_f32 v[46:47], v[46:47], v[48:49]
.LBB151_315:                            ;   in Loop: Header=BB151_3 Depth=1
	s_or_b32 exec_lo, exec_lo, s14
	s_delay_alu instid0(VALU_DEP_1)
	v_pk_add_f32 v[46:47], v[46:47], 0 neg_lo:[1,1] neg_hi:[1,1]
.LBB151_316:                            ;   in Loop: Header=BB151_3 Depth=1
	s_or_b32 exec_lo, exec_lo, s9
	s_and_saveexec_b32 s9, s101
; %bb.317:                              ;   in Loop: Header=BB151_3 Depth=1
	ds_store_b64 v52, v[46:47]
; %bb.318:                              ;   in Loop: Header=BB151_3 Depth=1
	s_or_b32 exec_lo, exec_lo, s9
	s_wait_dscnt 0x0
	s_barrier_signal -1
	s_barrier_wait -1
	s_and_saveexec_b32 s9, s102
	s_cbranch_execz .LBB151_320
; %bb.319:                              ;   in Loop: Header=BB151_3 Depth=1
	ds_load_b64 v[48:49], v1 offset:9368
	ds_load_b64 v[50:51], v52
	s_wait_dscnt 0x0
	v_pk_mul_f32 v[86:87], v[50:51], v[48:49] op_sel:[1,1] op_sel_hi:[0,1]
	s_delay_alu instid0(VALU_DEP_1) | instskip(SKIP_1) | instid1(VALU_DEP_2)
	v_pk_fma_f32 v[88:89], v[50:51], v[48:49], v[86:87] op_sel_hi:[1,0,1]
	v_pk_fma_f32 v[48:49], v[50:51], v[48:49], v[86:87] neg_lo:[0,0,1] neg_hi:[0,0,1]
	v_mov_b32_e32 v49, v89
	s_delay_alu instid0(VALU_DEP_1)
	v_pk_add_f32 v[46:47], v[46:47], v[48:49]
.LBB151_320:                            ;   in Loop: Header=BB151_3 Depth=1
	s_or_b32 exec_lo, exec_lo, s9
	s_barrier_signal -1
	s_barrier_wait -1
	s_and_saveexec_b32 s9, s102
; %bb.321:                              ;   in Loop: Header=BB151_3 Depth=1
	ds_store_b64 v52, v[46:47]
; %bb.322:                              ;   in Loop: Header=BB151_3 Depth=1
	s_or_b32 exec_lo, exec_lo, s9
	s_wait_dscnt 0x0
	s_barrier_signal -1
	s_barrier_wait -1
	s_barrier_signal -1
	s_barrier_wait -1
	s_and_saveexec_b32 s9, s1
; %bb.323:                              ;   in Loop: Header=BB151_3 Depth=1
	v_pk_add_f32 v[46:47], v[46:47], 0 neg_lo:[1,1] neg_hi:[1,1]
	ds_store_b64 v53, v[46:47] offset:8336
; %bb.324:                              ;   in Loop: Header=BB151_3 Depth=1
	s_or_b32 exec_lo, exec_lo, s9
	s_wait_dscnt 0x0
	s_barrier_signal -1
	s_barrier_wait -1
	s_barrier_signal -1
	s_barrier_wait -1
	s_and_saveexec_b32 s9, s12
; %bb.325:                              ;   in Loop: Header=BB151_3 Depth=1
	v_add_nc_u32_e64 v0, 0x2000, 0
	ds_store_2addr_b64 v0, v[38:39], v[38:39] offset0:146 offset1:211
; %bb.326:                              ;   in Loop: Header=BB151_3 Depth=1
	s_or_b32 exec_lo, exec_lo, s9
	v_mov_b64_e32 v[46:47], 0
	s_wait_dscnt 0x0
	s_barrier_signal -1
	s_barrier_wait -1
	s_and_saveexec_b32 s9, s2
	s_cbranch_execz .LBB151_332
; %bb.327:                              ;   in Loop: Header=BB151_3 Depth=1
	ds_load_b64 v[46:47], v59 offset:8352
	ds_load_b64 v[48:49], v56 offset:8320
	s_wait_dscnt 0x0
	v_dual_mul_f32 v0, v49, v47 :: v_dual_mul_f32 v3, v48, v47
	s_delay_alu instid0(VALU_DEP_1) | instskip(NEXT) | instid1(VALU_DEP_1)
	v_dual_fma_f32 v0, v48, v46, -v0 :: v_dual_fmac_f32 v3, v49, v46
	v_dual_add_f32 v46, 0, v0 :: v_dual_add_f32 v47, 0, v3
	s_and_saveexec_b32 s14, s16
	s_cbranch_execnz .LBB151_1012
; %bb.328:                              ;   in Loop: Header=BB151_3 Depth=1
	s_or_b32 exec_lo, exec_lo, s14
	s_and_saveexec_b32 s14, s17
	s_cbranch_execnz .LBB151_1013
.LBB151_329:                            ;   in Loop: Header=BB151_3 Depth=1
	s_or_b32 exec_lo, exec_lo, s14
	s_and_saveexec_b32 s14, s1
	s_cbranch_execz .LBB151_331
.LBB151_330:                            ;   in Loop: Header=BB151_3 Depth=1
	ds_load_b64 v[48:49], v55 offset:9888
	ds_load_b64 v[50:51], v1 offset:8344
	s_wait_dscnt 0x0
	v_dual_mul_f32 v0, v51, v49 :: v_dual_mul_f32 v87, v50, v49
	s_delay_alu instid0(VALU_DEP_1) | instskip(NEXT) | instid1(VALU_DEP_1)
	v_dual_fma_f32 v86, v50, v48, -v0 :: v_dual_fmac_f32 v87, v51, v48
	v_pk_add_f32 v[46:47], v[46:47], v[86:87]
.LBB151_331:                            ;   in Loop: Header=BB151_3 Depth=1
	s_or_b32 exec_lo, exec_lo, s14
	s_delay_alu instid0(VALU_DEP_1)
	v_pk_add_f32 v[46:47], v[46:47], 0 neg_lo:[1,1] neg_hi:[1,1]
.LBB151_332:                            ;   in Loop: Header=BB151_3 Depth=1
	s_or_b32 exec_lo, exec_lo, s9
	s_and_saveexec_b32 s9, s103
; %bb.333:                              ;   in Loop: Header=BB151_3 Depth=1
	ds_store_b64 v57, v[46:47]
; %bb.334:                              ;   in Loop: Header=BB151_3 Depth=1
	s_or_b32 exec_lo, exec_lo, s9
	s_wait_dscnt 0x0
	s_barrier_signal -1
	s_barrier_wait -1
	s_and_saveexec_b32 s9, s104
	s_cbranch_execz .LBB151_336
; %bb.335:                              ;   in Loop: Header=BB151_3 Depth=1
	ds_load_b64 v[48:49], v58 offset:10400
	ds_load_b64 v[50:51], v57
	s_wait_dscnt 0x0
	v_pk_mul_f32 v[86:87], v[50:51], v[48:49] op_sel:[1,1] op_sel_hi:[0,1]
	s_delay_alu instid0(VALU_DEP_1) | instskip(SKIP_1) | instid1(VALU_DEP_2)
	v_pk_fma_f32 v[88:89], v[50:51], v[48:49], v[86:87] op_sel_hi:[1,0,1]
	v_pk_fma_f32 v[48:49], v[50:51], v[48:49], v[86:87] neg_lo:[0,0,1] neg_hi:[0,0,1]
	v_mov_b32_e32 v49, v89
	s_delay_alu instid0(VALU_DEP_1)
	v_pk_add_f32 v[46:47], v[46:47], v[48:49]
.LBB151_336:                            ;   in Loop: Header=BB151_3 Depth=1
	s_or_b32 exec_lo, exec_lo, s9
	s_barrier_signal -1
	s_barrier_wait -1
	s_and_saveexec_b32 s9, vcc_hi
; %bb.337:                              ;   in Loop: Header=BB151_3 Depth=1
	ds_store_b64 v57, v[46:47]
; %bb.338:                              ;   in Loop: Header=BB151_3 Depth=1
	s_or_b32 exec_lo, exec_lo, s9
	s_wait_dscnt 0x0
	s_barrier_signal -1
	s_barrier_wait -1
	s_and_saveexec_b32 s9, s43
	s_cbranch_execz .LBB151_340
; %bb.339:                              ;   in Loop: Header=BB151_3 Depth=1
	ds_load_b64 v[48:49], v58 offset:10912
	ds_load_b64 v[50:51], v57
	s_wait_dscnt 0x0
	v_pk_mul_f32 v[86:87], v[50:51], v[48:49] op_sel:[1,1] op_sel_hi:[0,1]
	s_delay_alu instid0(VALU_DEP_1) | instskip(SKIP_1) | instid1(VALU_DEP_2)
	v_pk_fma_f32 v[88:89], v[50:51], v[48:49], v[86:87] op_sel_hi:[1,0,1]
	v_pk_fma_f32 v[48:49], v[50:51], v[48:49], v[86:87] neg_lo:[0,0,1] neg_hi:[0,0,1]
	v_mov_b32_e32 v49, v89
	s_delay_alu instid0(VALU_DEP_1)
	v_pk_add_f32 v[46:47], v[46:47], v[48:49]
.LBB151_340:                            ;   in Loop: Header=BB151_3 Depth=1
	s_or_b32 exec_lo, exec_lo, s9
	s_barrier_signal -1
	s_barrier_wait -1
	s_and_saveexec_b32 s9, s44
; %bb.341:                              ;   in Loop: Header=BB151_3 Depth=1
	ds_store_b64 v57, v[46:47]
; %bb.342:                              ;   in Loop: Header=BB151_3 Depth=1
	s_or_b32 exec_lo, exec_lo, s9
	s_wait_dscnt 0x0
	s_barrier_signal -1
	s_barrier_wait -1
	s_and_saveexec_b32 s9, s45
	s_cbranch_execz .LBB151_344
; %bb.343:                              ;   in Loop: Header=BB151_3 Depth=1
	ds_load_b64 v[48:49], v1 offset:11448
	ds_load_b64 v[50:51], v57
	s_wait_dscnt 0x0
	v_pk_mul_f32 v[86:87], v[50:51], v[48:49] op_sel:[1,1] op_sel_hi:[0,1]
	s_delay_alu instid0(VALU_DEP_1) | instskip(SKIP_1) | instid1(VALU_DEP_2)
	v_pk_fma_f32 v[88:89], v[50:51], v[48:49], v[86:87] op_sel_hi:[1,0,1]
	v_pk_fma_f32 v[48:49], v[50:51], v[48:49], v[86:87] neg_lo:[0,0,1] neg_hi:[0,0,1]
	v_mov_b32_e32 v49, v89
	s_delay_alu instid0(VALU_DEP_1)
	v_pk_add_f32 v[46:47], v[46:47], v[48:49]
.LBB151_344:                            ;   in Loop: Header=BB151_3 Depth=1
	s_or_b32 exec_lo, exec_lo, s9
	s_barrier_signal -1
	s_barrier_wait -1
	s_and_saveexec_b32 s9, s45
; %bb.345:                              ;   in Loop: Header=BB151_3 Depth=1
	ds_store_b64 v57, v[46:47]
; %bb.346:                              ;   in Loop: Header=BB151_3 Depth=1
	s_or_b32 exec_lo, exec_lo, s9
	s_wait_dscnt 0x0
	s_barrier_signal -1
	s_barrier_wait -1
	s_barrier_signal -1
	s_barrier_wait -1
	s_and_saveexec_b32 s9, s2
; %bb.347:                              ;   in Loop: Header=BB151_3 Depth=1
	v_pk_add_f32 v[46:47], v[46:47], 0 neg_lo:[1,1] neg_hi:[1,1]
	ds_store_b64 v59, v[46:47] offset:8352
; %bb.348:                              ;   in Loop: Header=BB151_3 Depth=1
	s_or_b32 exec_lo, exec_lo, s9
	s_wait_dscnt 0x0
	s_barrier_signal -1
	s_barrier_wait -1
	s_barrier_signal -1
	s_barrier_wait -1
	s_and_saveexec_b32 s9, s12
; %bb.349:                              ;   in Loop: Header=BB151_3 Depth=1
	v_add_nc_u32_e64 v0, 0x2800, 0
	ds_store_2addr_b64 v0, v[38:39], v[38:39] offset0:20 offset1:85
; %bb.350:                              ;   in Loop: Header=BB151_3 Depth=1
	s_or_b32 exec_lo, exec_lo, s9
	v_mov_b64_e32 v[46:47], 0
	s_wait_dscnt 0x0
	s_barrier_signal -1
	s_barrier_wait -1
	s_and_saveexec_b32 s9, s1
	s_cbranch_execz .LBB151_354
; %bb.351:                              ;   in Loop: Header=BB151_3 Depth=1
	ds_load_b64 v[46:47], v53 offset:10416
	ds_load_b64 v[48:49], v54 offset:10400
	s_wait_dscnt 0x0
	v_pk_mul_f32 v[50:51], v[48:49], v[46:47] op_sel:[1,1] op_sel_hi:[0,1]
	s_delay_alu instid0(VALU_DEP_1) | instskip(SKIP_1) | instid1(VALU_DEP_2)
	v_pk_fma_f32 v[86:87], v[48:49], v[46:47], v[50:51] op_sel_hi:[1,0,1]
	v_pk_fma_f32 v[46:47], v[48:49], v[46:47], v[50:51] neg_lo:[0,0,1] neg_hi:[0,0,1]
	v_mov_b32_e32 v47, v87
	s_delay_alu instid0(VALU_DEP_1)
	v_pk_add_f32 v[46:47], v[46:47], 0 op_sel_hi:[1,0]
	s_and_saveexec_b32 s14, s15
	s_cbranch_execz .LBB151_353
; %bb.352:                              ;   in Loop: Header=BB151_3 Depth=1
	ds_load_b64 v[48:49], v55 offset:10928
	ds_load_b64 v[50:51], v1 offset:10408
	s_wait_dscnt 0x0
	v_pk_mul_f32 v[86:87], v[50:51], v[48:49] op_sel:[1,1] op_sel_hi:[0,1]
	s_delay_alu instid0(VALU_DEP_1) | instskip(SKIP_1) | instid1(VALU_DEP_2)
	v_pk_fma_f32 v[88:89], v[50:51], v[48:49], v[86:87] op_sel_hi:[1,0,1]
	v_pk_fma_f32 v[48:49], v[50:51], v[48:49], v[86:87] neg_lo:[0,0,1] neg_hi:[0,0,1]
	v_mov_b32_e32 v49, v89
	s_delay_alu instid0(VALU_DEP_1)
	v_pk_add_f32 v[46:47], v[46:47], v[48:49]
.LBB151_353:                            ;   in Loop: Header=BB151_3 Depth=1
	s_or_b32 exec_lo, exec_lo, s14
	s_delay_alu instid0(VALU_DEP_1)
	v_pk_add_f32 v[46:47], v[46:47], 0 neg_lo:[1,1] neg_hi:[1,1]
.LBB151_354:                            ;   in Loop: Header=BB151_3 Depth=1
	s_or_b32 exec_lo, exec_lo, s9
	s_and_saveexec_b32 s9, s101
; %bb.355:                              ;   in Loop: Header=BB151_3 Depth=1
	ds_store_b64 v52, v[46:47]
; %bb.356:                              ;   in Loop: Header=BB151_3 Depth=1
	s_or_b32 exec_lo, exec_lo, s9
	s_wait_dscnt 0x0
	s_barrier_signal -1
	s_barrier_wait -1
	s_and_saveexec_b32 s9, s102
	s_cbranch_execz .LBB151_358
; %bb.357:                              ;   in Loop: Header=BB151_3 Depth=1
	ds_load_b64 v[48:49], v1 offset:11448
	ds_load_b64 v[50:51], v52
	s_wait_dscnt 0x0
	v_pk_mul_f32 v[86:87], v[50:51], v[48:49] op_sel:[1,1] op_sel_hi:[0,1]
	s_delay_alu instid0(VALU_DEP_1) | instskip(SKIP_1) | instid1(VALU_DEP_2)
	v_pk_fma_f32 v[88:89], v[50:51], v[48:49], v[86:87] op_sel_hi:[1,0,1]
	v_pk_fma_f32 v[48:49], v[50:51], v[48:49], v[86:87] neg_lo:[0,0,1] neg_hi:[0,0,1]
	v_mov_b32_e32 v49, v89
	s_delay_alu instid0(VALU_DEP_1)
	v_pk_add_f32 v[46:47], v[46:47], v[48:49]
.LBB151_358:                            ;   in Loop: Header=BB151_3 Depth=1
	s_or_b32 exec_lo, exec_lo, s9
	s_barrier_signal -1
	s_barrier_wait -1
	s_and_saveexec_b32 s9, s102
; %bb.359:                              ;   in Loop: Header=BB151_3 Depth=1
	ds_store_b64 v52, v[46:47]
; %bb.360:                              ;   in Loop: Header=BB151_3 Depth=1
	s_or_b32 exec_lo, exec_lo, s9
	s_wait_dscnt 0x0
	s_barrier_signal -1
	s_barrier_wait -1
	s_barrier_signal -1
	s_barrier_wait -1
	s_and_saveexec_b32 s9, s1
; %bb.361:                              ;   in Loop: Header=BB151_3 Depth=1
	v_pk_add_f32 v[46:47], v[46:47], 0 neg_lo:[1,1] neg_hi:[1,1]
	ds_store_b64 v53, v[46:47] offset:10416
; %bb.362:                              ;   in Loop: Header=BB151_3 Depth=1
	s_or_b32 exec_lo, exec_lo, s9
	s_wait_dscnt 0x0
	s_barrier_signal -1
	s_barrier_wait -1
	s_barrier_signal -1
	s_barrier_wait -1
	s_and_saveexec_b32 s9, s12
; %bb.363:                              ;   in Loop: Header=BB151_3 Depth=1
	v_add_nc_u32_e64 v0, 0x2800, 0
	ds_store_2addr_b64 v0, v[38:39], v[38:39] offset0:150 offset1:215
; %bb.364:                              ;   in Loop: Header=BB151_3 Depth=1
	s_or_b32 exec_lo, exec_lo, s9
	v_mov_b64_e32 v[46:47], 0
	s_wait_dscnt 0x0
	s_barrier_signal -1
	s_barrier_wait -1
	s_and_saveexec_b32 s9, s3
	s_cbranch_execz .LBB151_374
; %bb.365:                              ;   in Loop: Header=BB151_3 Depth=1
	ds_load_b64 v[46:47], v64 offset:8384
	ds_load_b64 v[48:49], v61 offset:8320
	s_wait_dscnt 0x0
	v_dual_mul_f32 v0, v49, v47 :: v_dual_mul_f32 v3, v48, v47
	s_delay_alu instid0(VALU_DEP_1) | instskip(NEXT) | instid1(VALU_DEP_1)
	v_dual_fma_f32 v0, v48, v46, -v0 :: v_dual_fmac_f32 v3, v49, v46
	v_dual_add_f32 v46, 0, v0 :: v_dual_add_f32 v47, 0, v3
	s_and_saveexec_b32 s14, s18
	s_cbranch_execnz .LBB151_1014
; %bb.366:                              ;   in Loop: Header=BB151_3 Depth=1
	s_or_b32 exec_lo, exec_lo, s14
	s_and_saveexec_b32 s14, s19
	s_cbranch_execnz .LBB151_1015
.LBB151_367:                            ;   in Loop: Header=BB151_3 Depth=1
	s_or_b32 exec_lo, exec_lo, s14
	s_and_saveexec_b32 s14, s20
	s_cbranch_execnz .LBB151_1016
.LBB151_368:                            ;   in Loop: Header=BB151_3 Depth=1
	s_or_b32 exec_lo, exec_lo, s14
	s_and_saveexec_b32 s14, s21
	s_cbranch_execnz .LBB151_1017
.LBB151_369:                            ;   in Loop: Header=BB151_3 Depth=1
	s_or_b32 exec_lo, exec_lo, s14
	s_and_saveexec_b32 s14, s22
	s_cbranch_execnz .LBB151_1018
.LBB151_370:                            ;   in Loop: Header=BB151_3 Depth=1
	s_or_b32 exec_lo, exec_lo, s14
	s_and_saveexec_b32 s14, s2
	s_cbranch_execnz .LBB151_1019
.LBB151_371:                            ;   in Loop: Header=BB151_3 Depth=1
	s_or_b32 exec_lo, exec_lo, s14
	s_and_saveexec_b32 s14, s17
	s_cbranch_execz .LBB151_373
.LBB151_372:                            ;   in Loop: Header=BB151_3 Depth=1
	ds_load_b64 v[48:49], v55 offset:11968
	ds_load_b64 v[50:51], v1 offset:8376
	s_wait_dscnt 0x0
	v_pk_mul_f32 v[86:87], v[50:51], v[48:49] op_sel:[1,1] op_sel_hi:[0,1]
	s_delay_alu instid0(VALU_DEP_1) | instskip(SKIP_1) | instid1(VALU_DEP_2)
	v_pk_fma_f32 v[88:89], v[50:51], v[48:49], v[86:87] op_sel_hi:[1,0,1]
	v_pk_fma_f32 v[48:49], v[50:51], v[48:49], v[86:87] neg_lo:[0,0,1] neg_hi:[0,0,1]
	v_mov_b32_e32 v49, v89
	s_delay_alu instid0(VALU_DEP_1)
	v_pk_add_f32 v[46:47], v[46:47], v[48:49]
.LBB151_373:                            ;   in Loop: Header=BB151_3 Depth=1
	s_or_b32 exec_lo, exec_lo, s14
	s_delay_alu instid0(VALU_DEP_1)
	v_pk_add_f32 v[46:47], v[46:47], 0 neg_lo:[1,1] neg_hi:[1,1]
.LBB151_374:                            ;   in Loop: Header=BB151_3 Depth=1
	s_or_b32 exec_lo, exec_lo, s9
	s_and_saveexec_b32 s9, s46
; %bb.375:                              ;   in Loop: Header=BB151_3 Depth=1
	ds_store_b64 v63, v[46:47]
; %bb.376:                              ;   in Loop: Header=BB151_3 Depth=1
	s_or_b32 exec_lo, exec_lo, s9
	s_wait_dscnt 0x0
	s_barrier_signal -1
	s_barrier_wait -1
	s_and_saveexec_b32 s9, s47
	s_cbranch_execz .LBB151_378
; %bb.377:                              ;   in Loop: Header=BB151_3 Depth=1
	ds_load_b64 v[48:49], v62 offset:12480
	ds_load_b64 v[50:51], v63
	s_wait_dscnt 0x0
	v_pk_mul_f32 v[86:87], v[50:51], v[48:49] op_sel:[1,1] op_sel_hi:[0,1]
	s_delay_alu instid0(VALU_DEP_1) | instskip(SKIP_1) | instid1(VALU_DEP_2)
	v_pk_fma_f32 v[88:89], v[50:51], v[48:49], v[86:87] op_sel_hi:[1,0,1]
	v_pk_fma_f32 v[48:49], v[50:51], v[48:49], v[86:87] neg_lo:[0,0,1] neg_hi:[0,0,1]
	v_mov_b32_e32 v49, v89
	s_delay_alu instid0(VALU_DEP_1)
	v_pk_add_f32 v[46:47], v[46:47], v[48:49]
.LBB151_378:                            ;   in Loop: Header=BB151_3 Depth=1
	s_or_b32 exec_lo, exec_lo, s9
	s_barrier_signal -1
	s_barrier_wait -1
	s_and_saveexec_b32 s9, s48
; %bb.379:                              ;   in Loop: Header=BB151_3 Depth=1
	ds_store_b64 v63, v[46:47]
; %bb.380:                              ;   in Loop: Header=BB151_3 Depth=1
	s_or_b32 exec_lo, exec_lo, s9
	s_wait_dscnt 0x0
	s_barrier_signal -1
	s_barrier_wait -1
	s_and_saveexec_b32 s9, s49
	s_cbranch_execz .LBB151_382
; %bb.381:                              ;   in Loop: Header=BB151_3 Depth=1
	ds_load_b64 v[48:49], v62 offset:12992
	ds_load_b64 v[50:51], v63
	s_wait_dscnt 0x0
	v_dual_mul_f32 v0, v51, v49 :: v_dual_mul_f32 v3, v50, v49
	s_delay_alu instid0(VALU_DEP_1) | instskip(NEXT) | instid1(VALU_DEP_1)
	v_dual_fma_f32 v0, v50, v48, -v0 :: v_dual_fmac_f32 v3, v51, v48
	v_dual_add_f32 v46, v46, v0 :: v_dual_add_f32 v47, v47, v3
.LBB151_382:                            ;   in Loop: Header=BB151_3 Depth=1
	s_or_b32 exec_lo, exec_lo, s9
	s_barrier_signal -1
	s_barrier_wait -1
	s_and_saveexec_b32 s9, s50
; %bb.383:                              ;   in Loop: Header=BB151_3 Depth=1
	ds_store_b64 v63, v[46:47]
; %bb.384:                              ;   in Loop: Header=BB151_3 Depth=1
	s_or_b32 exec_lo, exec_lo, s9
	s_wait_dscnt 0x0
	s_barrier_signal -1
	s_barrier_wait -1
	s_and_saveexec_b32 s9, s51
	s_cbranch_execz .LBB151_386
; %bb.385:                              ;   in Loop: Header=BB151_3 Depth=1
	ds_load_b64 v[48:49], v62 offset:13504
	ds_load_b64 v[50:51], v63
	s_wait_dscnt 0x0
	v_dual_mul_f32 v0, v51, v49 :: v_dual_mul_f32 v87, v50, v49
	s_delay_alu instid0(VALU_DEP_1) | instskip(NEXT) | instid1(VALU_DEP_1)
	v_dual_fma_f32 v86, v50, v48, -v0 :: v_dual_fmac_f32 v87, v51, v48
	v_pk_add_f32 v[46:47], v[46:47], v[86:87]
.LBB151_386:                            ;   in Loop: Header=BB151_3 Depth=1
	s_or_b32 exec_lo, exec_lo, s9
	s_barrier_signal -1
	s_barrier_wait -1
	s_and_saveexec_b32 s9, s52
; %bb.387:                              ;   in Loop: Header=BB151_3 Depth=1
	ds_store_b64 v63, v[46:47]
; %bb.388:                              ;   in Loop: Header=BB151_3 Depth=1
	s_or_b32 exec_lo, exec_lo, s9
	s_wait_dscnt 0x0
	s_barrier_signal -1
	s_barrier_wait -1
	s_and_saveexec_b32 s9, s53
	s_cbranch_execz .LBB151_390
; %bb.389:                              ;   in Loop: Header=BB151_3 Depth=1
	ds_load_b64 v[48:49], v62 offset:14016
	ds_load_b64 v[50:51], v63
	s_wait_dscnt 0x0
	v_pk_mul_f32 v[86:87], v[50:51], v[48:49] op_sel:[1,1] op_sel_hi:[0,1]
	s_delay_alu instid0(VALU_DEP_1) | instskip(SKIP_1) | instid1(VALU_DEP_2)
	v_pk_fma_f32 v[88:89], v[50:51], v[48:49], v[86:87] op_sel_hi:[1,0,1]
	v_pk_fma_f32 v[48:49], v[50:51], v[48:49], v[86:87] neg_lo:[0,0,1] neg_hi:[0,0,1]
	v_mov_b32_e32 v49, v89
	s_delay_alu instid0(VALU_DEP_1)
	v_pk_add_f32 v[46:47], v[46:47], v[48:49]
.LBB151_390:                            ;   in Loop: Header=BB151_3 Depth=1
	s_or_b32 exec_lo, exec_lo, s9
	s_barrier_signal -1
	s_barrier_wait -1
	s_and_saveexec_b32 s9, s54
; %bb.391:                              ;   in Loop: Header=BB151_3 Depth=1
	ds_store_b64 v63, v[46:47]
; %bb.392:                              ;   in Loop: Header=BB151_3 Depth=1
	s_or_b32 exec_lo, exec_lo, s9
	s_wait_dscnt 0x0
	s_barrier_signal -1
	s_barrier_wait -1
	s_and_saveexec_b32 s9, s55
	s_cbranch_execz .LBB151_394
; %bb.393:                              ;   in Loop: Header=BB151_3 Depth=1
	ds_load_b64 v[48:49], v62 offset:14528
	ds_load_b64 v[50:51], v63
	s_wait_dscnt 0x0
	v_pk_mul_f32 v[86:87], v[50:51], v[48:49] op_sel:[1,1] op_sel_hi:[0,1]
	s_delay_alu instid0(VALU_DEP_1) | instskip(SKIP_1) | instid1(VALU_DEP_2)
	v_pk_fma_f32 v[88:89], v[50:51], v[48:49], v[86:87] op_sel_hi:[1,0,1]
	v_pk_fma_f32 v[48:49], v[50:51], v[48:49], v[86:87] neg_lo:[0,0,1] neg_hi:[0,0,1]
	v_mov_b32_e32 v49, v89
	s_delay_alu instid0(VALU_DEP_1)
	v_pk_add_f32 v[46:47], v[46:47], v[48:49]
.LBB151_394:                            ;   in Loop: Header=BB151_3 Depth=1
	s_or_b32 exec_lo, exec_lo, s9
	s_barrier_signal -1
	s_barrier_wait -1
	s_and_saveexec_b32 s9, s56
; %bb.395:                              ;   in Loop: Header=BB151_3 Depth=1
	ds_store_b64 v63, v[46:47]
; %bb.396:                              ;   in Loop: Header=BB151_3 Depth=1
	s_or_b32 exec_lo, exec_lo, s9
	s_wait_dscnt 0x0
	s_barrier_signal -1
	s_barrier_wait -1
	s_and_saveexec_b32 s9, s57
	s_cbranch_execz .LBB151_398
; %bb.397:                              ;   in Loop: Header=BB151_3 Depth=1
	ds_load_b64 v[48:49], v62 offset:15040
	ds_load_b64 v[50:51], v63
	s_wait_dscnt 0x0
	v_pk_mul_f32 v[86:87], v[50:51], v[48:49] op_sel:[1,1] op_sel_hi:[0,1]
	s_delay_alu instid0(VALU_DEP_1) | instskip(SKIP_1) | instid1(VALU_DEP_2)
	v_pk_fma_f32 v[88:89], v[50:51], v[48:49], v[86:87] op_sel_hi:[1,0,1]
	v_pk_fma_f32 v[48:49], v[50:51], v[48:49], v[86:87] neg_lo:[0,0,1] neg_hi:[0,0,1]
	v_mov_b32_e32 v49, v89
	s_delay_alu instid0(VALU_DEP_1)
	v_pk_add_f32 v[46:47], v[46:47], v[48:49]
.LBB151_398:                            ;   in Loop: Header=BB151_3 Depth=1
	s_or_b32 exec_lo, exec_lo, s9
	s_barrier_signal -1
	s_barrier_wait -1
	s_and_saveexec_b32 s9, s58
; %bb.399:                              ;   in Loop: Header=BB151_3 Depth=1
	ds_store_b64 v63, v[46:47]
; %bb.400:                              ;   in Loop: Header=BB151_3 Depth=1
	s_or_b32 exec_lo, exec_lo, s9
	s_wait_dscnt 0x0
	s_barrier_signal -1
	s_barrier_wait -1
	s_and_saveexec_b32 s9, s59
	s_cbranch_execz .LBB151_402
; %bb.401:                              ;   in Loop: Header=BB151_3 Depth=1
	ds_load_b64 v[48:49], v1 offset:15608
	ds_load_b64 v[50:51], v63
	s_wait_dscnt 0x0
	v_pk_mul_f32 v[86:87], v[50:51], v[48:49] op_sel:[1,1] op_sel_hi:[0,1]
	s_delay_alu instid0(VALU_DEP_1) | instskip(SKIP_1) | instid1(VALU_DEP_2)
	v_pk_fma_f32 v[88:89], v[50:51], v[48:49], v[86:87] op_sel_hi:[1,0,1]
	v_pk_fma_f32 v[48:49], v[50:51], v[48:49], v[86:87] neg_lo:[0,0,1] neg_hi:[0,0,1]
	v_mov_b32_e32 v49, v89
	s_delay_alu instid0(VALU_DEP_1)
	v_pk_add_f32 v[46:47], v[46:47], v[48:49]
.LBB151_402:                            ;   in Loop: Header=BB151_3 Depth=1
	s_or_b32 exec_lo, exec_lo, s9
	s_barrier_signal -1
	s_barrier_wait -1
	s_and_saveexec_b32 s9, s59
; %bb.403:                              ;   in Loop: Header=BB151_3 Depth=1
	ds_store_b64 v63, v[46:47]
; %bb.404:                              ;   in Loop: Header=BB151_3 Depth=1
	s_or_b32 exec_lo, exec_lo, s9
	s_wait_dscnt 0x0
	s_barrier_signal -1
	s_barrier_wait -1
	s_barrier_signal -1
	s_barrier_wait -1
	s_and_saveexec_b32 s9, s3
; %bb.405:                              ;   in Loop: Header=BB151_3 Depth=1
	v_pk_add_f32 v[46:47], v[46:47], 0 neg_lo:[1,1] neg_hi:[1,1]
	ds_store_b64 v64, v[46:47] offset:8384
; %bb.406:                              ;   in Loop: Header=BB151_3 Depth=1
	s_or_b32 exec_lo, exec_lo, s9
	s_wait_dscnt 0x0
	s_barrier_signal -1
	s_barrier_wait -1
	s_barrier_signal -1
	s_barrier_wait -1
	s_and_saveexec_b32 s9, s12
; %bb.407:                              ;   in Loop: Header=BB151_3 Depth=1
	v_add_nc_u32_e64 v0, 0x3000, 0
	ds_store_2addr_b64 v0, v[38:39], v[38:39] offset0:24 offset1:89
; %bb.408:                              ;   in Loop: Header=BB151_3 Depth=1
	s_or_b32 exec_lo, exec_lo, s9
	v_mov_b64_e32 v[46:47], 0
	s_wait_dscnt 0x0
	s_barrier_signal -1
	s_barrier_wait -1
	s_and_saveexec_b32 s9, s1
	s_cbranch_execz .LBB151_412
; %bb.409:                              ;   in Loop: Header=BB151_3 Depth=1
	ds_load_b64 v[46:47], v53 offset:12496
	ds_load_b64 v[48:49], v54 offset:12480
	s_wait_dscnt 0x0
	v_pk_mul_f32 v[50:51], v[48:49], v[46:47] op_sel:[1,1] op_sel_hi:[0,1]
	s_delay_alu instid0(VALU_DEP_1) | instskip(SKIP_1) | instid1(VALU_DEP_2)
	v_pk_fma_f32 v[86:87], v[48:49], v[46:47], v[50:51] op_sel_hi:[1,0,1]
	v_pk_fma_f32 v[46:47], v[48:49], v[46:47], v[50:51] neg_lo:[0,0,1] neg_hi:[0,0,1]
	v_mov_b32_e32 v47, v87
	s_delay_alu instid0(VALU_DEP_1)
	v_pk_add_f32 v[46:47], v[46:47], 0 op_sel_hi:[1,0]
	s_and_saveexec_b32 s14, s15
	s_cbranch_execz .LBB151_411
; %bb.410:                              ;   in Loop: Header=BB151_3 Depth=1
	ds_load_b64 v[48:49], v55 offset:13008
	ds_load_b64 v[50:51], v1 offset:12488
	s_wait_dscnt 0x0
	v_pk_mul_f32 v[86:87], v[50:51], v[48:49] op_sel:[1,1] op_sel_hi:[0,1]
	s_delay_alu instid0(VALU_DEP_1) | instskip(SKIP_1) | instid1(VALU_DEP_2)
	v_pk_fma_f32 v[88:89], v[50:51], v[48:49], v[86:87] op_sel_hi:[1,0,1]
	v_pk_fma_f32 v[48:49], v[50:51], v[48:49], v[86:87] neg_lo:[0,0,1] neg_hi:[0,0,1]
	v_mov_b32_e32 v49, v89
	s_delay_alu instid0(VALU_DEP_1)
	v_pk_add_f32 v[46:47], v[46:47], v[48:49]
.LBB151_411:                            ;   in Loop: Header=BB151_3 Depth=1
	s_or_b32 exec_lo, exec_lo, s14
	s_delay_alu instid0(VALU_DEP_1)
	v_pk_add_f32 v[46:47], v[46:47], 0 neg_lo:[1,1] neg_hi:[1,1]
.LBB151_412:                            ;   in Loop: Header=BB151_3 Depth=1
	s_or_b32 exec_lo, exec_lo, s9
	s_and_saveexec_b32 s9, s101
; %bb.413:                              ;   in Loop: Header=BB151_3 Depth=1
	ds_store_b64 v52, v[46:47]
; %bb.414:                              ;   in Loop: Header=BB151_3 Depth=1
	s_or_b32 exec_lo, exec_lo, s9
	s_wait_dscnt 0x0
	s_barrier_signal -1
	s_barrier_wait -1
	s_and_saveexec_b32 s9, s102
	s_cbranch_execz .LBB151_416
; %bb.415:                              ;   in Loop: Header=BB151_3 Depth=1
	ds_load_b64 v[48:49], v1 offset:13528
	ds_load_b64 v[50:51], v52
	s_wait_dscnt 0x0
	v_pk_mul_f32 v[86:87], v[50:51], v[48:49] op_sel:[1,1] op_sel_hi:[0,1]
	s_delay_alu instid0(VALU_DEP_1) | instskip(SKIP_1) | instid1(VALU_DEP_2)
	v_pk_fma_f32 v[88:89], v[50:51], v[48:49], v[86:87] op_sel_hi:[1,0,1]
	v_pk_fma_f32 v[48:49], v[50:51], v[48:49], v[86:87] neg_lo:[0,0,1] neg_hi:[0,0,1]
	v_mov_b32_e32 v49, v89
	s_delay_alu instid0(VALU_DEP_1)
	v_pk_add_f32 v[46:47], v[46:47], v[48:49]
.LBB151_416:                            ;   in Loop: Header=BB151_3 Depth=1
	s_or_b32 exec_lo, exec_lo, s9
	s_barrier_signal -1
	s_barrier_wait -1
	s_and_saveexec_b32 s9, s102
; %bb.417:                              ;   in Loop: Header=BB151_3 Depth=1
	ds_store_b64 v52, v[46:47]
; %bb.418:                              ;   in Loop: Header=BB151_3 Depth=1
	s_or_b32 exec_lo, exec_lo, s9
	s_wait_dscnt 0x0
	s_barrier_signal -1
	s_barrier_wait -1
	s_barrier_signal -1
	s_barrier_wait -1
	s_and_saveexec_b32 s9, s1
; %bb.419:                              ;   in Loop: Header=BB151_3 Depth=1
	v_pk_add_f32 v[46:47], v[46:47], 0 neg_lo:[1,1] neg_hi:[1,1]
	ds_store_b64 v53, v[46:47] offset:12496
; %bb.420:                              ;   in Loop: Header=BB151_3 Depth=1
	s_or_b32 exec_lo, exec_lo, s9
	s_wait_dscnt 0x0
	s_barrier_signal -1
	s_barrier_wait -1
	s_barrier_signal -1
	s_barrier_wait -1
	s_and_saveexec_b32 s9, s12
; %bb.421:                              ;   in Loop: Header=BB151_3 Depth=1
	v_add_nc_u32_e64 v0, 0x3000, 0
	ds_store_2addr_b64 v0, v[38:39], v[38:39] offset0:154 offset1:219
; %bb.422:                              ;   in Loop: Header=BB151_3 Depth=1
	s_or_b32 exec_lo, exec_lo, s9
	v_mov_b64_e32 v[46:47], 0
	s_wait_dscnt 0x0
	s_barrier_signal -1
	s_barrier_wait -1
	s_and_saveexec_b32 s9, s2
	s_cbranch_execz .LBB151_428
; %bb.423:                              ;   in Loop: Header=BB151_3 Depth=1
	ds_load_b64 v[46:47], v59 offset:12512
	ds_load_b64 v[48:49], v56 offset:12480
	s_wait_dscnt 0x0
	v_dual_mul_f32 v0, v49, v47 :: v_dual_mul_f32 v3, v48, v47
	s_delay_alu instid0(VALU_DEP_1) | instskip(NEXT) | instid1(VALU_DEP_1)
	v_dual_fma_f32 v0, v48, v46, -v0 :: v_dual_fmac_f32 v3, v49, v46
	v_dual_add_f32 v46, 0, v0 :: v_dual_add_f32 v47, 0, v3
	s_and_saveexec_b32 s14, s16
	s_cbranch_execnz .LBB151_1020
; %bb.424:                              ;   in Loop: Header=BB151_3 Depth=1
	s_or_b32 exec_lo, exec_lo, s14
	s_and_saveexec_b32 s14, s17
	s_cbranch_execnz .LBB151_1021
.LBB151_425:                            ;   in Loop: Header=BB151_3 Depth=1
	s_or_b32 exec_lo, exec_lo, s14
	s_and_saveexec_b32 s14, s1
	s_cbranch_execz .LBB151_427
.LBB151_426:                            ;   in Loop: Header=BB151_3 Depth=1
	ds_load_b64 v[48:49], v55 offset:14048
	ds_load_b64 v[50:51], v1 offset:12504
	s_wait_dscnt 0x0
	v_dual_mul_f32 v0, v51, v49 :: v_dual_mul_f32 v87, v50, v49
	s_delay_alu instid0(VALU_DEP_1) | instskip(NEXT) | instid1(VALU_DEP_1)
	v_dual_fma_f32 v86, v50, v48, -v0 :: v_dual_fmac_f32 v87, v51, v48
	v_pk_add_f32 v[46:47], v[46:47], v[86:87]
.LBB151_427:                            ;   in Loop: Header=BB151_3 Depth=1
	s_or_b32 exec_lo, exec_lo, s14
	s_delay_alu instid0(VALU_DEP_1)
	v_pk_add_f32 v[46:47], v[46:47], 0 neg_lo:[1,1] neg_hi:[1,1]
.LBB151_428:                            ;   in Loop: Header=BB151_3 Depth=1
	s_or_b32 exec_lo, exec_lo, s9
	s_and_saveexec_b32 s9, s103
; %bb.429:                              ;   in Loop: Header=BB151_3 Depth=1
	ds_store_b64 v57, v[46:47]
; %bb.430:                              ;   in Loop: Header=BB151_3 Depth=1
	s_or_b32 exec_lo, exec_lo, s9
	s_wait_dscnt 0x0
	s_barrier_signal -1
	s_barrier_wait -1
	s_and_saveexec_b32 s9, s104
	s_cbranch_execz .LBB151_432
; %bb.431:                              ;   in Loop: Header=BB151_3 Depth=1
	ds_load_b64 v[48:49], v58 offset:14560
	ds_load_b64 v[50:51], v57
	s_wait_dscnt 0x0
	v_pk_mul_f32 v[86:87], v[50:51], v[48:49] op_sel:[1,1] op_sel_hi:[0,1]
	s_delay_alu instid0(VALU_DEP_1) | instskip(SKIP_1) | instid1(VALU_DEP_2)
	v_pk_fma_f32 v[88:89], v[50:51], v[48:49], v[86:87] op_sel_hi:[1,0,1]
	v_pk_fma_f32 v[48:49], v[50:51], v[48:49], v[86:87] neg_lo:[0,0,1] neg_hi:[0,0,1]
	v_mov_b32_e32 v49, v89
	s_delay_alu instid0(VALU_DEP_1)
	v_pk_add_f32 v[46:47], v[46:47], v[48:49]
.LBB151_432:                            ;   in Loop: Header=BB151_3 Depth=1
	s_or_b32 exec_lo, exec_lo, s9
	s_barrier_signal -1
	s_barrier_wait -1
	s_and_saveexec_b32 s9, vcc_hi
; %bb.433:                              ;   in Loop: Header=BB151_3 Depth=1
	ds_store_b64 v57, v[46:47]
; %bb.434:                              ;   in Loop: Header=BB151_3 Depth=1
	s_or_b32 exec_lo, exec_lo, s9
	s_wait_dscnt 0x0
	s_barrier_signal -1
	s_barrier_wait -1
	s_and_saveexec_b32 s9, s43
	s_cbranch_execz .LBB151_436
; %bb.435:                              ;   in Loop: Header=BB151_3 Depth=1
	ds_load_b64 v[48:49], v58 offset:15072
	ds_load_b64 v[50:51], v57
	s_wait_dscnt 0x0
	v_pk_mul_f32 v[86:87], v[50:51], v[48:49] op_sel:[1,1] op_sel_hi:[0,1]
	s_delay_alu instid0(VALU_DEP_1) | instskip(SKIP_1) | instid1(VALU_DEP_2)
	v_pk_fma_f32 v[88:89], v[50:51], v[48:49], v[86:87] op_sel_hi:[1,0,1]
	v_pk_fma_f32 v[48:49], v[50:51], v[48:49], v[86:87] neg_lo:[0,0,1] neg_hi:[0,0,1]
	v_mov_b32_e32 v49, v89
	s_delay_alu instid0(VALU_DEP_1)
	v_pk_add_f32 v[46:47], v[46:47], v[48:49]
.LBB151_436:                            ;   in Loop: Header=BB151_3 Depth=1
	s_or_b32 exec_lo, exec_lo, s9
	s_barrier_signal -1
	s_barrier_wait -1
	s_and_saveexec_b32 s9, s44
; %bb.437:                              ;   in Loop: Header=BB151_3 Depth=1
	ds_store_b64 v57, v[46:47]
; %bb.438:                              ;   in Loop: Header=BB151_3 Depth=1
	s_or_b32 exec_lo, exec_lo, s9
	s_wait_dscnt 0x0
	s_barrier_signal -1
	s_barrier_wait -1
	s_and_saveexec_b32 s9, s45
	s_cbranch_execz .LBB151_440
; %bb.439:                              ;   in Loop: Header=BB151_3 Depth=1
	ds_load_b64 v[48:49], v1 offset:15608
	ds_load_b64 v[50:51], v57
	s_wait_dscnt 0x0
	v_pk_mul_f32 v[86:87], v[50:51], v[48:49] op_sel:[1,1] op_sel_hi:[0,1]
	s_delay_alu instid0(VALU_DEP_1) | instskip(SKIP_1) | instid1(VALU_DEP_2)
	v_pk_fma_f32 v[88:89], v[50:51], v[48:49], v[86:87] op_sel_hi:[1,0,1]
	v_pk_fma_f32 v[48:49], v[50:51], v[48:49], v[86:87] neg_lo:[0,0,1] neg_hi:[0,0,1]
	v_mov_b32_e32 v49, v89
	s_delay_alu instid0(VALU_DEP_1)
	v_pk_add_f32 v[46:47], v[46:47], v[48:49]
.LBB151_440:                            ;   in Loop: Header=BB151_3 Depth=1
	s_or_b32 exec_lo, exec_lo, s9
	s_barrier_signal -1
	s_barrier_wait -1
	s_and_saveexec_b32 s9, s45
; %bb.441:                              ;   in Loop: Header=BB151_3 Depth=1
	ds_store_b64 v57, v[46:47]
; %bb.442:                              ;   in Loop: Header=BB151_3 Depth=1
	s_or_b32 exec_lo, exec_lo, s9
	s_wait_dscnt 0x0
	s_barrier_signal -1
	s_barrier_wait -1
	s_barrier_signal -1
	s_barrier_wait -1
	s_and_saveexec_b32 s9, s2
; %bb.443:                              ;   in Loop: Header=BB151_3 Depth=1
	v_pk_add_f32 v[46:47], v[46:47], 0 neg_lo:[1,1] neg_hi:[1,1]
	ds_store_b64 v59, v[46:47] offset:12512
; %bb.444:                              ;   in Loop: Header=BB151_3 Depth=1
	s_or_b32 exec_lo, exec_lo, s9
	s_wait_dscnt 0x0
	s_barrier_signal -1
	s_barrier_wait -1
	s_barrier_signal -1
	s_barrier_wait -1
	s_and_saveexec_b32 s9, s12
; %bb.445:                              ;   in Loop: Header=BB151_3 Depth=1
	v_add_nc_u32_e64 v0, 0x3800, 0
	ds_store_2addr_b64 v0, v[38:39], v[38:39] offset0:28 offset1:93
; %bb.446:                              ;   in Loop: Header=BB151_3 Depth=1
	s_or_b32 exec_lo, exec_lo, s9
	v_mov_b64_e32 v[46:47], 0
	s_wait_dscnt 0x0
	s_barrier_signal -1
	s_barrier_wait -1
	s_and_saveexec_b32 s9, s1
	s_cbranch_execz .LBB151_450
; %bb.447:                              ;   in Loop: Header=BB151_3 Depth=1
	ds_load_b64 v[46:47], v53 offset:14576
	ds_load_b64 v[48:49], v54 offset:14560
	s_wait_dscnt 0x0
	v_pk_mul_f32 v[50:51], v[48:49], v[46:47] op_sel:[1,1] op_sel_hi:[0,1]
	s_delay_alu instid0(VALU_DEP_1) | instskip(SKIP_1) | instid1(VALU_DEP_2)
	v_pk_fma_f32 v[86:87], v[48:49], v[46:47], v[50:51] op_sel_hi:[1,0,1]
	v_pk_fma_f32 v[46:47], v[48:49], v[46:47], v[50:51] neg_lo:[0,0,1] neg_hi:[0,0,1]
	v_mov_b32_e32 v47, v87
	s_delay_alu instid0(VALU_DEP_1)
	v_pk_add_f32 v[46:47], v[46:47], 0 op_sel_hi:[1,0]
	s_and_saveexec_b32 s14, s15
	s_cbranch_execz .LBB151_449
; %bb.448:                              ;   in Loop: Header=BB151_3 Depth=1
	ds_load_b64 v[48:49], v55 offset:15088
	ds_load_b64 v[50:51], v1 offset:14568
	s_wait_dscnt 0x0
	v_pk_mul_f32 v[86:87], v[50:51], v[48:49] op_sel:[1,1] op_sel_hi:[0,1]
	s_delay_alu instid0(VALU_DEP_1) | instskip(SKIP_1) | instid1(VALU_DEP_2)
	v_pk_fma_f32 v[88:89], v[50:51], v[48:49], v[86:87] op_sel_hi:[1,0,1]
	v_pk_fma_f32 v[48:49], v[50:51], v[48:49], v[86:87] neg_lo:[0,0,1] neg_hi:[0,0,1]
	v_mov_b32_e32 v49, v89
	s_delay_alu instid0(VALU_DEP_1)
	v_pk_add_f32 v[46:47], v[46:47], v[48:49]
.LBB151_449:                            ;   in Loop: Header=BB151_3 Depth=1
	s_or_b32 exec_lo, exec_lo, s14
	s_delay_alu instid0(VALU_DEP_1)
	v_pk_add_f32 v[46:47], v[46:47], 0 neg_lo:[1,1] neg_hi:[1,1]
.LBB151_450:                            ;   in Loop: Header=BB151_3 Depth=1
	s_or_b32 exec_lo, exec_lo, s9
	s_and_saveexec_b32 s9, s101
; %bb.451:                              ;   in Loop: Header=BB151_3 Depth=1
	ds_store_b64 v52, v[46:47]
; %bb.452:                              ;   in Loop: Header=BB151_3 Depth=1
	s_or_b32 exec_lo, exec_lo, s9
	s_wait_dscnt 0x0
	s_barrier_signal -1
	s_barrier_wait -1
	s_and_saveexec_b32 s9, s102
	s_cbranch_execz .LBB151_454
; %bb.453:                              ;   in Loop: Header=BB151_3 Depth=1
	ds_load_b64 v[48:49], v1 offset:15608
	ds_load_b64 v[50:51], v52
	s_wait_dscnt 0x0
	v_pk_mul_f32 v[86:87], v[50:51], v[48:49] op_sel:[1,1] op_sel_hi:[0,1]
	s_delay_alu instid0(VALU_DEP_1) | instskip(SKIP_1) | instid1(VALU_DEP_2)
	v_pk_fma_f32 v[88:89], v[50:51], v[48:49], v[86:87] op_sel_hi:[1,0,1]
	v_pk_fma_f32 v[48:49], v[50:51], v[48:49], v[86:87] neg_lo:[0,0,1] neg_hi:[0,0,1]
	v_mov_b32_e32 v49, v89
	s_delay_alu instid0(VALU_DEP_1)
	v_pk_add_f32 v[46:47], v[46:47], v[48:49]
.LBB151_454:                            ;   in Loop: Header=BB151_3 Depth=1
	s_or_b32 exec_lo, exec_lo, s9
	s_barrier_signal -1
	s_barrier_wait -1
	s_and_saveexec_b32 s9, s102
; %bb.455:                              ;   in Loop: Header=BB151_3 Depth=1
	ds_store_b64 v52, v[46:47]
; %bb.456:                              ;   in Loop: Header=BB151_3 Depth=1
	s_or_b32 exec_lo, exec_lo, s9
	s_wait_dscnt 0x0
	s_barrier_signal -1
	s_barrier_wait -1
	s_barrier_signal -1
	s_barrier_wait -1
	s_and_saveexec_b32 s9, s1
; %bb.457:                              ;   in Loop: Header=BB151_3 Depth=1
	v_pk_add_f32 v[46:47], v[46:47], 0 neg_lo:[1,1] neg_hi:[1,1]
	ds_store_b64 v53, v[46:47] offset:14576
; %bb.458:                              ;   in Loop: Header=BB151_3 Depth=1
	s_or_b32 exec_lo, exec_lo, s9
	s_wait_dscnt 0x0
	s_barrier_signal -1
	s_barrier_wait -1
	s_barrier_signal -1
	s_barrier_wait -1
	s_and_saveexec_b32 s9, s12
; %bb.459:                              ;   in Loop: Header=BB151_3 Depth=1
	v_add_nc_u32_e64 v0, 0x3800, 0
	ds_store_2addr_b64 v0, v[38:39], v[38:39] offset0:158 offset1:223
; %bb.460:                              ;   in Loop: Header=BB151_3 Depth=1
	s_or_b32 exec_lo, exec_lo, s9
	v_mov_b64_e32 v[46:47], 0
	s_wait_dscnt 0x0
	s_barrier_signal -1
	s_barrier_wait -1
	s_and_saveexec_b32 s66, s36
	s_cbranch_execz .LBB151_520
; %bb.461:                              ;   in Loop: Header=BB151_3 Depth=1
	v_dual_add_nc_u32 v3, v75, v73 :: v_dual_add_nc_u32 v0, v73, v72
	v_readlane_b32 s10, v94, 8
	ds_load_b64 v[46:47], v3 offset:256
	ds_load_b64 v[48:49], v0
	s_wait_dscnt 0x0
	v_pk_mul_f32 v[50:51], v[48:49], v[46:47] op_sel:[1,1] op_sel_hi:[0,1]
	s_delay_alu instid0(VALU_DEP_1) | instskip(SKIP_1) | instid1(VALU_DEP_2)
	v_pk_fma_f32 v[86:87], v[48:49], v[46:47], v[50:51] op_sel_hi:[1,0,1]
	v_pk_fma_f32 v[46:47], v[48:49], v[46:47], v[50:51] neg_lo:[0,0,1] neg_hi:[0,0,1]
	v_mov_b32_e32 v47, v87
	s_delay_alu instid0(VALU_DEP_1)
	v_pk_add_f32 v[46:47], v[46:47], 0 op_sel_hi:[1,0]
	s_and_saveexec_b32 s9, s10
	s_cbranch_execz .LBB151_463
; %bb.462:                              ;   in Loop: Header=BB151_3 Depth=1
	ds_load_b64 v[48:49], v3 offset:768
	ds_load_b64 v[50:51], v0 offset:8
	s_wait_dscnt 0x0
	v_pk_mul_f32 v[86:87], v[50:51], v[48:49] op_sel:[1,1] op_sel_hi:[0,1]
	s_delay_alu instid0(VALU_DEP_1) | instskip(SKIP_1) | instid1(VALU_DEP_2)
	v_pk_fma_f32 v[88:89], v[50:51], v[48:49], v[86:87] op_sel_hi:[1,0,1]
	v_pk_fma_f32 v[48:49], v[50:51], v[48:49], v[86:87] neg_lo:[0,0,1] neg_hi:[0,0,1]
	v_mov_b32_e32 v49, v89
	s_delay_alu instid0(VALU_DEP_1)
	v_pk_add_f32 v[46:47], v[46:47], v[48:49]
.LBB151_463:                            ;   in Loop: Header=BB151_3 Depth=1
	s_or_b32 exec_lo, exec_lo, s9
	v_readlane_b32 s10, v94, 9
	s_and_saveexec_b32 s9, s10
	s_cbranch_execz .LBB151_465
; %bb.464:                              ;   in Loop: Header=BB151_3 Depth=1
	ds_load_b64 v[48:49], v3 offset:1280
	ds_load_b64 v[50:51], v0 offset:16
	s_wait_dscnt 0x0
	v_pk_mul_f32 v[86:87], v[50:51], v[48:49] op_sel:[1,1] op_sel_hi:[0,1]
	s_delay_alu instid0(VALU_DEP_1) | instskip(SKIP_1) | instid1(VALU_DEP_2)
	v_pk_fma_f32 v[88:89], v[50:51], v[48:49], v[86:87] op_sel_hi:[1,0,1]
	v_pk_fma_f32 v[48:49], v[50:51], v[48:49], v[86:87] neg_lo:[0,0,1] neg_hi:[0,0,1]
	v_mov_b32_e32 v49, v89
	s_delay_alu instid0(VALU_DEP_1)
	v_pk_add_f32 v[46:47], v[46:47], v[48:49]
.LBB151_465:                            ;   in Loop: Header=BB151_3 Depth=1
	s_or_b32 exec_lo, exec_lo, s9
	v_readlane_b32 s10, v94, 10
	;; [unrolled: 16-line block ×22, first 2 shown]
	s_and_saveexec_b32 s9, s10
	s_cbranch_execz .LBB151_507
; %bb.506:                              ;   in Loop: Header=BB151_3 Depth=1
	ds_load_b64 v[48:49], v3 offset:12032
	ds_load_b64 v[50:51], v0 offset:184
	s_wait_dscnt 0x0
	v_pk_mul_f32 v[86:87], v[50:51], v[48:49] op_sel:[1,1] op_sel_hi:[0,1]
	s_delay_alu instid0(VALU_DEP_1) | instskip(SKIP_1) | instid1(VALU_DEP_2)
	v_pk_fma_f32 v[88:89], v[50:51], v[48:49], v[86:87] op_sel_hi:[1,0,1]
	v_pk_fma_f32 v[48:49], v[50:51], v[48:49], v[86:87] neg_lo:[0,0,1] neg_hi:[0,0,1]
	v_mov_b32_e32 v49, v89
	s_delay_alu instid0(VALU_DEP_1)
	v_pk_add_f32 v[46:47], v[46:47], v[48:49]
.LBB151_507:                            ;   in Loop: Header=BB151_3 Depth=1
	s_or_b32 exec_lo, exec_lo, s9
	s_and_saveexec_b32 s9, s4
	s_cbranch_execz .LBB151_509
; %bb.508:                              ;   in Loop: Header=BB151_3 Depth=1
	ds_load_b64 v[48:49], v3 offset:12544
	ds_load_b64 v[50:51], v0 offset:192
	s_wait_dscnt 0x0
	v_pk_mul_f32 v[86:87], v[50:51], v[48:49] op_sel:[1,1] op_sel_hi:[0,1]
	s_delay_alu instid0(VALU_DEP_1) | instskip(SKIP_1) | instid1(VALU_DEP_2)
	v_pk_fma_f32 v[88:89], v[50:51], v[48:49], v[86:87] op_sel_hi:[1,0,1]
	v_pk_fma_f32 v[48:49], v[50:51], v[48:49], v[86:87] neg_lo:[0,0,1] neg_hi:[0,0,1]
	v_mov_b32_e32 v49, v89
	s_delay_alu instid0(VALU_DEP_1)
	v_pk_add_f32 v[46:47], v[46:47], v[48:49]
.LBB151_509:                            ;   in Loop: Header=BB151_3 Depth=1
	s_or_b32 exec_lo, exec_lo, s9
	v_readlane_b32 s10, v95, 27
	s_and_saveexec_b32 s9, s10
	s_cbranch_execz .LBB151_511
; %bb.510:                              ;   in Loop: Header=BB151_3 Depth=1
	ds_load_b64 v[48:49], v3 offset:13056
	ds_load_b64 v[50:51], v0 offset:200
	s_wait_dscnt 0x0
	v_pk_mul_f32 v[86:87], v[50:51], v[48:49] op_sel:[1,1] op_sel_hi:[0,1]
	s_delay_alu instid0(VALU_DEP_1) | instskip(SKIP_1) | instid1(VALU_DEP_2)
	v_pk_fma_f32 v[88:89], v[50:51], v[48:49], v[86:87] op_sel_hi:[1,0,1]
	v_pk_fma_f32 v[48:49], v[50:51], v[48:49], v[86:87] neg_lo:[0,0,1] neg_hi:[0,0,1]
	v_mov_b32_e32 v49, v89
	s_delay_alu instid0(VALU_DEP_1)
	v_pk_add_f32 v[46:47], v[46:47], v[48:49]
.LBB151_511:                            ;   in Loop: Header=BB151_3 Depth=1
	s_or_b32 exec_lo, exec_lo, s9
	v_readlane_b32 s10, v95, 29
	;; [unrolled: 16-line block ×3, first 2 shown]
	s_and_saveexec_b32 s9, s10
	s_cbranch_execnz .LBB151_1022
; %bb.514:                              ;   in Loop: Header=BB151_3 Depth=1
	s_or_b32 exec_lo, exec_lo, s9
	s_and_saveexec_b32 s9, s13
	s_cbranch_execnz .LBB151_1023
.LBB151_515:                            ;   in Loop: Header=BB151_3 Depth=1
	s_or_b32 exec_lo, exec_lo, s9
	s_and_saveexec_b32 s9, s6
	s_cbranch_execnz .LBB151_1024
.LBB151_516:                            ;   in Loop: Header=BB151_3 Depth=1
	s_or_b32 exec_lo, exec_lo, s9
	s_and_saveexec_b32 s9, s3
	s_cbranch_execnz .LBB151_1025
.LBB151_517:                            ;   in Loop: Header=BB151_3 Depth=1
	s_or_b32 exec_lo, exec_lo, s9
	s_and_saveexec_b32 s9, s21
	s_cbranch_execz .LBB151_519
.LBB151_518:                            ;   in Loop: Header=BB151_3 Depth=1
	ds_load_b64 v[48:49], v75 offset:16128
	ds_load_b64 v[50:51], v0 offset:248
	s_wait_dscnt 0x0
	v_pk_mul_f32 v[86:87], v[50:51], v[48:49] op_sel:[1,1] op_sel_hi:[0,1]
	s_delay_alu instid0(VALU_DEP_1) | instskip(SKIP_1) | instid1(VALU_DEP_2)
	v_pk_fma_f32 v[88:89], v[50:51], v[48:49], v[86:87] op_sel_hi:[1,0,1]
	v_pk_fma_f32 v[48:49], v[50:51], v[48:49], v[86:87] neg_lo:[0,0,1] neg_hi:[0,0,1]
	v_mov_b32_e32 v49, v89
	s_delay_alu instid0(VALU_DEP_1)
	v_pk_add_f32 v[46:47], v[46:47], v[48:49]
.LBB151_519:                            ;   in Loop: Header=BB151_3 Depth=1
	s_or_b32 exec_lo, exec_lo, s9
	s_delay_alu instid0(VALU_DEP_1)
	v_pk_add_f32 v[46:47], v[46:47], 0 neg_lo:[1,1] neg_hi:[1,1]
.LBB151_520:                            ;   in Loop: Header=BB151_3 Depth=1
	s_or_b32 exec_lo, exec_lo, s66
	v_dual_mov_b32 v0, v71 :: v_dual_mov_b32 v3, v85
	s_mov_b32 s9, 0
	s_branch .LBB151_522
.LBB151_521:                            ;   in Loop: Header=BB151_522 Depth=2
	s_or_b32 exec_lo, exec_lo, s14
	v_add_nc_u32_e32 v3, 0x800, v3
	v_add_nc_u32_e32 v0, -4, v0
	s_add_co_i32 s9, s9, 4
	s_delay_alu instid0(SALU_CYCLE_1)
	s_cmp_eq_u32 s9, 32
	s_barrier_signal -1
	s_barrier_wait -1
	s_cbranch_scc1 .LBB151_538
.LBB151_522:                            ;   Parent Loop BB151_3 Depth=1
                                        ; =>  This Inner Loop Header: Depth=2
	s_delay_alu instid0(VALU_DEP_1) | instskip(SKIP_1) | instid1(SALU_CYCLE_1)
	v_cmp_eq_u32_e32 vcc_lo, 0, v0
	s_and_b32 s66, s7, vcc_lo
	s_and_saveexec_b32 s14, s66
; %bb.523:                              ;   in Loop: Header=BB151_522 Depth=2
	ds_store_b64 v76, v[46:47]
; %bb.524:                              ;   in Loop: Header=BB151_522 Depth=2
	s_or_b32 exec_lo, exec_lo, s14
	v_cmp_lt_u32_e32 vcc_lo, s9, v71
	s_wait_dscnt 0x0
	s_barrier_signal -1
	s_barrier_wait -1
	s_and_b32 s66, s7, vcc_lo
	s_delay_alu instid0(SALU_CYCLE_1)
	s_and_saveexec_b32 s14, s66
	s_cbranch_execz .LBB151_526
; %bb.525:                              ;   in Loop: Header=BB151_522 Depth=2
	ds_load_b64 v[48:49], v3
	ds_load_b64 v[50:51], v76
	s_wait_dscnt 0x0
	v_pk_mul_f32 v[86:87], v[50:51], v[48:49] op_sel:[1,1] op_sel_hi:[0,1]
	s_delay_alu instid0(VALU_DEP_1) | instskip(SKIP_1) | instid1(VALU_DEP_2)
	v_pk_fma_f32 v[88:89], v[50:51], v[48:49], v[86:87] op_sel_hi:[1,0,1]
	v_pk_fma_f32 v[48:49], v[50:51], v[48:49], v[86:87] neg_lo:[0,0,1] neg_hi:[0,0,1]
	v_mov_b32_e32 v49, v89
	s_delay_alu instid0(VALU_DEP_1)
	v_pk_add_f32 v[46:47], v[46:47], v[48:49]
.LBB151_526:                            ;   in Loop: Header=BB151_522 Depth=2
	s_or_b32 exec_lo, exec_lo, s14
	s_or_b32 s14, s9, 1
	s_delay_alu instid0(SALU_CYCLE_1) | instskip(SKIP_3) | instid1(SALU_CYCLE_1)
	v_cmp_eq_u32_e32 vcc_lo, s14, v71
	s_barrier_signal -1
	s_barrier_wait -1
	s_and_b32 s94, s7, vcc_lo
	s_and_saveexec_b32 s66, s94
; %bb.527:                              ;   in Loop: Header=BB151_522 Depth=2
	ds_store_b64 v76, v[46:47]
; %bb.528:                              ;   in Loop: Header=BB151_522 Depth=2
	s_or_b32 exec_lo, exec_lo, s66
	v_cmp_lt_u32_e32 vcc_lo, s14, v71
	s_wait_dscnt 0x0
	s_barrier_signal -1
	s_barrier_wait -1
	s_and_b32 s66, s7, vcc_lo
	s_delay_alu instid0(SALU_CYCLE_1)
	s_and_saveexec_b32 s14, s66
	s_cbranch_execz .LBB151_530
; %bb.529:                              ;   in Loop: Header=BB151_522 Depth=2
	ds_load_b64 v[48:49], v3 offset:512
	ds_load_b64 v[50:51], v76
	s_wait_dscnt 0x0
	v_pk_mul_f32 v[86:87], v[50:51], v[48:49] op_sel:[1,1] op_sel_hi:[0,1]
	s_delay_alu instid0(VALU_DEP_1) | instskip(SKIP_1) | instid1(VALU_DEP_2)
	v_pk_fma_f32 v[88:89], v[50:51], v[48:49], v[86:87] op_sel_hi:[1,0,1]
	v_pk_fma_f32 v[48:49], v[50:51], v[48:49], v[86:87] neg_lo:[0,0,1] neg_hi:[0,0,1]
	v_mov_b32_e32 v49, v89
	s_delay_alu instid0(VALU_DEP_1)
	v_pk_add_f32 v[46:47], v[46:47], v[48:49]
.LBB151_530:                            ;   in Loop: Header=BB151_522 Depth=2
	s_or_b32 exec_lo, exec_lo, s14
	s_or_b32 s14, s9, 2
	s_delay_alu instid0(SALU_CYCLE_1) | instskip(SKIP_3) | instid1(SALU_CYCLE_1)
	v_cmp_eq_u32_e32 vcc_lo, s14, v71
	s_barrier_signal -1
	s_barrier_wait -1
	s_and_b32 s94, s7, vcc_lo
	s_and_saveexec_b32 s66, s94
; %bb.531:                              ;   in Loop: Header=BB151_522 Depth=2
	ds_store_b64 v76, v[46:47]
; %bb.532:                              ;   in Loop: Header=BB151_522 Depth=2
	s_or_b32 exec_lo, exec_lo, s66
	v_cmp_lt_u32_e32 vcc_lo, s14, v71
	s_wait_dscnt 0x0
	s_barrier_signal -1
	s_barrier_wait -1
	s_and_b32 s66, s7, vcc_lo
	s_delay_alu instid0(SALU_CYCLE_1)
	s_and_saveexec_b32 s14, s66
	s_cbranch_execz .LBB151_534
; %bb.533:                              ;   in Loop: Header=BB151_522 Depth=2
	ds_load_b64 v[48:49], v3 offset:1024
	ds_load_b64 v[50:51], v76
	s_wait_dscnt 0x0
	v_pk_mul_f32 v[86:87], v[50:51], v[48:49] op_sel:[1,1] op_sel_hi:[0,1]
	s_delay_alu instid0(VALU_DEP_1) | instskip(SKIP_1) | instid1(VALU_DEP_2)
	v_pk_fma_f32 v[88:89], v[50:51], v[48:49], v[86:87] op_sel_hi:[1,0,1]
	v_pk_fma_f32 v[48:49], v[50:51], v[48:49], v[86:87] neg_lo:[0,0,1] neg_hi:[0,0,1]
	v_mov_b32_e32 v49, v89
	s_delay_alu instid0(VALU_DEP_1)
	v_pk_add_f32 v[46:47], v[46:47], v[48:49]
.LBB151_534:                            ;   in Loop: Header=BB151_522 Depth=2
	s_or_b32 exec_lo, exec_lo, s14
	s_or_b32 s14, s9, 3
	s_delay_alu instid0(SALU_CYCLE_1) | instskip(SKIP_3) | instid1(SALU_CYCLE_1)
	v_cmp_eq_u32_e32 vcc_lo, s14, v71
	s_barrier_signal -1
	s_barrier_wait -1
	s_and_b32 s94, s7, vcc_lo
	s_and_saveexec_b32 s66, s94
; %bb.535:                              ;   in Loop: Header=BB151_522 Depth=2
	ds_store_b64 v76, v[46:47]
; %bb.536:                              ;   in Loop: Header=BB151_522 Depth=2
	s_or_b32 exec_lo, exec_lo, s66
	v_cmp_lt_u32_e32 vcc_lo, s14, v71
	s_wait_dscnt 0x0
	s_barrier_signal -1
	s_barrier_wait -1
	s_and_b32 s66, s7, vcc_lo
	s_delay_alu instid0(SALU_CYCLE_1)
	s_and_saveexec_b32 s14, s66
	s_cbranch_execz .LBB151_521
; %bb.537:                              ;   in Loop: Header=BB151_522 Depth=2
	ds_load_b64 v[48:49], v3 offset:1536
	ds_load_b64 v[50:51], v76
	s_wait_dscnt 0x0
	v_pk_mul_f32 v[86:87], v[50:51], v[48:49] op_sel:[1,1] op_sel_hi:[0,1]
	s_delay_alu instid0(VALU_DEP_1) | instskip(SKIP_1) | instid1(VALU_DEP_2)
	v_pk_fma_f32 v[88:89], v[50:51], v[48:49], v[86:87] op_sel_hi:[1,0,1]
	v_pk_fma_f32 v[48:49], v[50:51], v[48:49], v[86:87] neg_lo:[0,0,1] neg_hi:[0,0,1]
	v_mov_b32_e32 v49, v89
	s_delay_alu instid0(VALU_DEP_1)
	v_pk_add_f32 v[46:47], v[46:47], v[48:49]
	s_branch .LBB151_521
.LBB151_538:                            ;   in Loop: Header=BB151_3 Depth=1
	s_and_saveexec_b32 s9, s36
; %bb.539:                              ;   in Loop: Header=BB151_3 Depth=1
	v_pk_add_f32 v[46:47], v[46:47], 0 neg_lo:[1,1] neg_hi:[1,1]
	ds_store_b64 v77, v[46:47] offset:256
; %bb.540:                              ;   in Loop: Header=BB151_3 Depth=1
	s_or_b32 exec_lo, exec_lo, s9
	s_wait_dscnt 0x0
	s_barrier_signal -1
	s_barrier_wait -1
	s_barrier_signal -1
	s_barrier_wait -1
	s_and_saveexec_b32 s9, s12
; %bb.541:                              ;   in Loop: Header=BB151_3 Depth=1
	v_add_nc_u32_e64 v0, 0x4000, 0
	ds_store_2addr_b64 v0, v[38:39], v[38:39] offset0:32 offset1:97
; %bb.542:                              ;   in Loop: Header=BB151_3 Depth=1
	s_or_b32 exec_lo, exec_lo, s9
	v_mov_b64_e32 v[46:47], 0
	s_wait_dscnt 0x0
	s_barrier_signal -1
	s_barrier_wait -1
	s_and_saveexec_b32 s9, s1
	s_cbranch_execz .LBB151_546
; %bb.543:                              ;   in Loop: Header=BB151_3 Depth=1
	ds_load_b64 v[46:47], v53 offset:16656
	ds_load_b64 v[48:49], v54 offset:16640
	s_wait_dscnt 0x0
	v_pk_mul_f32 v[50:51], v[48:49], v[46:47] op_sel:[1,1] op_sel_hi:[0,1]
	s_delay_alu instid0(VALU_DEP_1) | instskip(SKIP_1) | instid1(VALU_DEP_2)
	v_pk_fma_f32 v[86:87], v[48:49], v[46:47], v[50:51] op_sel_hi:[1,0,1]
	v_pk_fma_f32 v[46:47], v[48:49], v[46:47], v[50:51] neg_lo:[0,0,1] neg_hi:[0,0,1]
	v_mov_b32_e32 v47, v87
	s_delay_alu instid0(VALU_DEP_1)
	v_pk_add_f32 v[46:47], v[46:47], 0 op_sel_hi:[1,0]
	s_and_saveexec_b32 s14, s15
	s_cbranch_execz .LBB151_545
; %bb.544:                              ;   in Loop: Header=BB151_3 Depth=1
	ds_load_b64 v[48:49], v55 offset:17168
	ds_load_b64 v[50:51], v1 offset:16648
	s_wait_dscnt 0x0
	v_pk_mul_f32 v[86:87], v[50:51], v[48:49] op_sel:[1,1] op_sel_hi:[0,1]
	s_delay_alu instid0(VALU_DEP_1) | instskip(SKIP_1) | instid1(VALU_DEP_2)
	v_pk_fma_f32 v[88:89], v[50:51], v[48:49], v[86:87] op_sel_hi:[1,0,1]
	v_pk_fma_f32 v[48:49], v[50:51], v[48:49], v[86:87] neg_lo:[0,0,1] neg_hi:[0,0,1]
	v_mov_b32_e32 v49, v89
	s_delay_alu instid0(VALU_DEP_1)
	v_pk_add_f32 v[46:47], v[46:47], v[48:49]
.LBB151_545:                            ;   in Loop: Header=BB151_3 Depth=1
	s_or_b32 exec_lo, exec_lo, s14
	s_delay_alu instid0(VALU_DEP_1)
	v_pk_add_f32 v[46:47], v[46:47], 0 neg_lo:[1,1] neg_hi:[1,1]
.LBB151_546:                            ;   in Loop: Header=BB151_3 Depth=1
	s_or_b32 exec_lo, exec_lo, s9
	s_and_saveexec_b32 s9, s101
; %bb.547:                              ;   in Loop: Header=BB151_3 Depth=1
	ds_store_b64 v52, v[46:47]
; %bb.548:                              ;   in Loop: Header=BB151_3 Depth=1
	s_or_b32 exec_lo, exec_lo, s9
	s_wait_dscnt 0x0
	s_barrier_signal -1
	s_barrier_wait -1
	s_and_saveexec_b32 s9, s102
	s_cbranch_execz .LBB151_550
; %bb.549:                              ;   in Loop: Header=BB151_3 Depth=1
	ds_load_b64 v[48:49], v1 offset:17688
	ds_load_b64 v[50:51], v52
	s_wait_dscnt 0x0
	v_pk_mul_f32 v[86:87], v[50:51], v[48:49] op_sel:[1,1] op_sel_hi:[0,1]
	s_delay_alu instid0(VALU_DEP_1) | instskip(SKIP_1) | instid1(VALU_DEP_2)
	v_pk_fma_f32 v[88:89], v[50:51], v[48:49], v[86:87] op_sel_hi:[1,0,1]
	v_pk_fma_f32 v[48:49], v[50:51], v[48:49], v[86:87] neg_lo:[0,0,1] neg_hi:[0,0,1]
	v_mov_b32_e32 v49, v89
	s_delay_alu instid0(VALU_DEP_1)
	v_pk_add_f32 v[46:47], v[46:47], v[48:49]
.LBB151_550:                            ;   in Loop: Header=BB151_3 Depth=1
	s_or_b32 exec_lo, exec_lo, s9
	s_barrier_signal -1
	s_barrier_wait -1
	s_and_saveexec_b32 s9, s102
; %bb.551:                              ;   in Loop: Header=BB151_3 Depth=1
	ds_store_b64 v52, v[46:47]
; %bb.552:                              ;   in Loop: Header=BB151_3 Depth=1
	s_or_b32 exec_lo, exec_lo, s9
	s_wait_dscnt 0x0
	s_barrier_signal -1
	s_barrier_wait -1
	s_barrier_signal -1
	s_barrier_wait -1
	s_and_saveexec_b32 s9, s1
; %bb.553:                              ;   in Loop: Header=BB151_3 Depth=1
	v_pk_add_f32 v[46:47], v[46:47], 0 neg_lo:[1,1] neg_hi:[1,1]
	ds_store_b64 v53, v[46:47] offset:16656
; %bb.554:                              ;   in Loop: Header=BB151_3 Depth=1
	s_or_b32 exec_lo, exec_lo, s9
	s_wait_dscnt 0x0
	s_barrier_signal -1
	s_barrier_wait -1
	s_barrier_signal -1
	s_barrier_wait -1
	s_and_saveexec_b32 s9, s12
; %bb.555:                              ;   in Loop: Header=BB151_3 Depth=1
	v_add_nc_u32_e64 v0, 0x4000, 0
	ds_store_2addr_b64 v0, v[38:39], v[38:39] offset0:162 offset1:227
; %bb.556:                              ;   in Loop: Header=BB151_3 Depth=1
	s_or_b32 exec_lo, exec_lo, s9
	v_mov_b64_e32 v[46:47], 0
	s_wait_dscnt 0x0
	s_barrier_signal -1
	s_barrier_wait -1
	s_and_saveexec_b32 s9, s2
	s_cbranch_execz .LBB151_562
; %bb.557:                              ;   in Loop: Header=BB151_3 Depth=1
	ds_load_b64 v[46:47], v59 offset:16672
	ds_load_b64 v[48:49], v56 offset:16640
	s_wait_dscnt 0x0
	v_dual_mul_f32 v0, v49, v47 :: v_dual_mul_f32 v3, v48, v47
	s_delay_alu instid0(VALU_DEP_1) | instskip(NEXT) | instid1(VALU_DEP_1)
	v_dual_fma_f32 v0, v48, v46, -v0 :: v_dual_fmac_f32 v3, v49, v46
	v_dual_add_f32 v46, 0, v0 :: v_dual_add_f32 v47, 0, v3
	s_and_saveexec_b32 s14, s16
	s_cbranch_execnz .LBB151_1026
; %bb.558:                              ;   in Loop: Header=BB151_3 Depth=1
	s_or_b32 exec_lo, exec_lo, s14
	s_and_saveexec_b32 s14, s17
	s_cbranch_execnz .LBB151_1027
.LBB151_559:                            ;   in Loop: Header=BB151_3 Depth=1
	s_or_b32 exec_lo, exec_lo, s14
	s_and_saveexec_b32 s14, s1
	s_cbranch_execz .LBB151_561
.LBB151_560:                            ;   in Loop: Header=BB151_3 Depth=1
	ds_load_b64 v[48:49], v55 offset:18208
	ds_load_b64 v[50:51], v1 offset:16664
	s_wait_dscnt 0x0
	v_dual_mul_f32 v0, v51, v49 :: v_dual_mul_f32 v87, v50, v49
	s_delay_alu instid0(VALU_DEP_1) | instskip(NEXT) | instid1(VALU_DEP_1)
	v_dual_fma_f32 v86, v50, v48, -v0 :: v_dual_fmac_f32 v87, v51, v48
	v_pk_add_f32 v[46:47], v[46:47], v[86:87]
.LBB151_561:                            ;   in Loop: Header=BB151_3 Depth=1
	s_or_b32 exec_lo, exec_lo, s14
	s_delay_alu instid0(VALU_DEP_1)
	v_pk_add_f32 v[46:47], v[46:47], 0 neg_lo:[1,1] neg_hi:[1,1]
.LBB151_562:                            ;   in Loop: Header=BB151_3 Depth=1
	s_or_b32 exec_lo, exec_lo, s9
	s_and_saveexec_b32 s9, s103
; %bb.563:                              ;   in Loop: Header=BB151_3 Depth=1
	ds_store_b64 v57, v[46:47]
; %bb.564:                              ;   in Loop: Header=BB151_3 Depth=1
	s_or_b32 exec_lo, exec_lo, s9
	s_wait_dscnt 0x0
	s_barrier_signal -1
	s_barrier_wait -1
	s_and_saveexec_b32 s9, s104
	s_cbranch_execz .LBB151_566
; %bb.565:                              ;   in Loop: Header=BB151_3 Depth=1
	ds_load_b64 v[48:49], v58 offset:18720
	ds_load_b64 v[50:51], v57
	s_wait_dscnt 0x0
	v_pk_mul_f32 v[86:87], v[50:51], v[48:49] op_sel:[1,1] op_sel_hi:[0,1]
	s_delay_alu instid0(VALU_DEP_1) | instskip(SKIP_1) | instid1(VALU_DEP_2)
	v_pk_fma_f32 v[88:89], v[50:51], v[48:49], v[86:87] op_sel_hi:[1,0,1]
	v_pk_fma_f32 v[48:49], v[50:51], v[48:49], v[86:87] neg_lo:[0,0,1] neg_hi:[0,0,1]
	v_mov_b32_e32 v49, v89
	s_delay_alu instid0(VALU_DEP_1)
	v_pk_add_f32 v[46:47], v[46:47], v[48:49]
.LBB151_566:                            ;   in Loop: Header=BB151_3 Depth=1
	s_or_b32 exec_lo, exec_lo, s9
	s_barrier_signal -1
	s_barrier_wait -1
	s_and_saveexec_b32 s9, vcc_hi
; %bb.567:                              ;   in Loop: Header=BB151_3 Depth=1
	ds_store_b64 v57, v[46:47]
; %bb.568:                              ;   in Loop: Header=BB151_3 Depth=1
	s_or_b32 exec_lo, exec_lo, s9
	s_wait_dscnt 0x0
	s_barrier_signal -1
	s_barrier_wait -1
	s_and_saveexec_b32 s9, s43
	s_cbranch_execz .LBB151_570
; %bb.569:                              ;   in Loop: Header=BB151_3 Depth=1
	ds_load_b64 v[48:49], v58 offset:19232
	ds_load_b64 v[50:51], v57
	s_wait_dscnt 0x0
	v_pk_mul_f32 v[86:87], v[50:51], v[48:49] op_sel:[1,1] op_sel_hi:[0,1]
	s_delay_alu instid0(VALU_DEP_1) | instskip(SKIP_1) | instid1(VALU_DEP_2)
	v_pk_fma_f32 v[88:89], v[50:51], v[48:49], v[86:87] op_sel_hi:[1,0,1]
	v_pk_fma_f32 v[48:49], v[50:51], v[48:49], v[86:87] neg_lo:[0,0,1] neg_hi:[0,0,1]
	v_mov_b32_e32 v49, v89
	s_delay_alu instid0(VALU_DEP_1)
	v_pk_add_f32 v[46:47], v[46:47], v[48:49]
.LBB151_570:                            ;   in Loop: Header=BB151_3 Depth=1
	s_or_b32 exec_lo, exec_lo, s9
	s_barrier_signal -1
	s_barrier_wait -1
	s_and_saveexec_b32 s9, s44
; %bb.571:                              ;   in Loop: Header=BB151_3 Depth=1
	ds_store_b64 v57, v[46:47]
; %bb.572:                              ;   in Loop: Header=BB151_3 Depth=1
	s_or_b32 exec_lo, exec_lo, s9
	s_wait_dscnt 0x0
	s_barrier_signal -1
	s_barrier_wait -1
	s_and_saveexec_b32 s9, s45
	s_cbranch_execz .LBB151_574
; %bb.573:                              ;   in Loop: Header=BB151_3 Depth=1
	ds_load_b64 v[48:49], v1 offset:19768
	ds_load_b64 v[50:51], v57
	s_wait_dscnt 0x0
	v_pk_mul_f32 v[86:87], v[50:51], v[48:49] op_sel:[1,1] op_sel_hi:[0,1]
	s_delay_alu instid0(VALU_DEP_1) | instskip(SKIP_1) | instid1(VALU_DEP_2)
	v_pk_fma_f32 v[88:89], v[50:51], v[48:49], v[86:87] op_sel_hi:[1,0,1]
	v_pk_fma_f32 v[48:49], v[50:51], v[48:49], v[86:87] neg_lo:[0,0,1] neg_hi:[0,0,1]
	v_mov_b32_e32 v49, v89
	s_delay_alu instid0(VALU_DEP_1)
	v_pk_add_f32 v[46:47], v[46:47], v[48:49]
.LBB151_574:                            ;   in Loop: Header=BB151_3 Depth=1
	s_or_b32 exec_lo, exec_lo, s9
	s_barrier_signal -1
	s_barrier_wait -1
	s_and_saveexec_b32 s9, s45
; %bb.575:                              ;   in Loop: Header=BB151_3 Depth=1
	ds_store_b64 v57, v[46:47]
; %bb.576:                              ;   in Loop: Header=BB151_3 Depth=1
	s_or_b32 exec_lo, exec_lo, s9
	s_wait_dscnt 0x0
	s_barrier_signal -1
	s_barrier_wait -1
	s_barrier_signal -1
	s_barrier_wait -1
	s_and_saveexec_b32 s9, s2
; %bb.577:                              ;   in Loop: Header=BB151_3 Depth=1
	v_pk_add_f32 v[46:47], v[46:47], 0 neg_lo:[1,1] neg_hi:[1,1]
	ds_store_b64 v59, v[46:47] offset:16672
; %bb.578:                              ;   in Loop: Header=BB151_3 Depth=1
	s_or_b32 exec_lo, exec_lo, s9
	s_wait_dscnt 0x0
	s_barrier_signal -1
	s_barrier_wait -1
	s_barrier_signal -1
	s_barrier_wait -1
	s_and_saveexec_b32 s9, s12
; %bb.579:                              ;   in Loop: Header=BB151_3 Depth=1
	v_add_nc_u32_e64 v0, 0x4800, 0
	ds_store_2addr_b64 v0, v[38:39], v[38:39] offset0:36 offset1:101
; %bb.580:                              ;   in Loop: Header=BB151_3 Depth=1
	s_or_b32 exec_lo, exec_lo, s9
	v_mov_b64_e32 v[46:47], 0
	s_wait_dscnt 0x0
	s_barrier_signal -1
	s_barrier_wait -1
	s_and_saveexec_b32 s9, s1
	s_cbranch_execz .LBB151_584
; %bb.581:                              ;   in Loop: Header=BB151_3 Depth=1
	ds_load_b64 v[46:47], v53 offset:18736
	ds_load_b64 v[48:49], v54 offset:18720
	s_wait_dscnt 0x0
	v_pk_mul_f32 v[50:51], v[48:49], v[46:47] op_sel:[1,1] op_sel_hi:[0,1]
	s_delay_alu instid0(VALU_DEP_1) | instskip(SKIP_1) | instid1(VALU_DEP_2)
	v_pk_fma_f32 v[86:87], v[48:49], v[46:47], v[50:51] op_sel_hi:[1,0,1]
	v_pk_fma_f32 v[46:47], v[48:49], v[46:47], v[50:51] neg_lo:[0,0,1] neg_hi:[0,0,1]
	v_mov_b32_e32 v47, v87
	s_delay_alu instid0(VALU_DEP_1)
	v_pk_add_f32 v[46:47], v[46:47], 0 op_sel_hi:[1,0]
	s_and_saveexec_b32 s14, s15
	s_cbranch_execz .LBB151_583
; %bb.582:                              ;   in Loop: Header=BB151_3 Depth=1
	ds_load_b64 v[48:49], v55 offset:19248
	ds_load_b64 v[50:51], v1 offset:18728
	s_wait_dscnt 0x0
	v_pk_mul_f32 v[86:87], v[50:51], v[48:49] op_sel:[1,1] op_sel_hi:[0,1]
	s_delay_alu instid0(VALU_DEP_1) | instskip(SKIP_1) | instid1(VALU_DEP_2)
	v_pk_fma_f32 v[88:89], v[50:51], v[48:49], v[86:87] op_sel_hi:[1,0,1]
	v_pk_fma_f32 v[48:49], v[50:51], v[48:49], v[86:87] neg_lo:[0,0,1] neg_hi:[0,0,1]
	v_mov_b32_e32 v49, v89
	s_delay_alu instid0(VALU_DEP_1)
	v_pk_add_f32 v[46:47], v[46:47], v[48:49]
.LBB151_583:                            ;   in Loop: Header=BB151_3 Depth=1
	s_or_b32 exec_lo, exec_lo, s14
	s_delay_alu instid0(VALU_DEP_1)
	v_pk_add_f32 v[46:47], v[46:47], 0 neg_lo:[1,1] neg_hi:[1,1]
.LBB151_584:                            ;   in Loop: Header=BB151_3 Depth=1
	s_or_b32 exec_lo, exec_lo, s9
	s_and_saveexec_b32 s9, s101
; %bb.585:                              ;   in Loop: Header=BB151_3 Depth=1
	ds_store_b64 v52, v[46:47]
; %bb.586:                              ;   in Loop: Header=BB151_3 Depth=1
	s_or_b32 exec_lo, exec_lo, s9
	s_wait_dscnt 0x0
	s_barrier_signal -1
	s_barrier_wait -1
	s_and_saveexec_b32 s9, s102
	s_cbranch_execz .LBB151_588
; %bb.587:                              ;   in Loop: Header=BB151_3 Depth=1
	ds_load_b64 v[48:49], v1 offset:19768
	ds_load_b64 v[50:51], v52
	s_wait_dscnt 0x0
	v_pk_mul_f32 v[86:87], v[50:51], v[48:49] op_sel:[1,1] op_sel_hi:[0,1]
	s_delay_alu instid0(VALU_DEP_1) | instskip(SKIP_1) | instid1(VALU_DEP_2)
	v_pk_fma_f32 v[88:89], v[50:51], v[48:49], v[86:87] op_sel_hi:[1,0,1]
	v_pk_fma_f32 v[48:49], v[50:51], v[48:49], v[86:87] neg_lo:[0,0,1] neg_hi:[0,0,1]
	v_mov_b32_e32 v49, v89
	s_delay_alu instid0(VALU_DEP_1)
	v_pk_add_f32 v[46:47], v[46:47], v[48:49]
.LBB151_588:                            ;   in Loop: Header=BB151_3 Depth=1
	s_or_b32 exec_lo, exec_lo, s9
	s_barrier_signal -1
	s_barrier_wait -1
	s_and_saveexec_b32 s9, s102
; %bb.589:                              ;   in Loop: Header=BB151_3 Depth=1
	ds_store_b64 v52, v[46:47]
; %bb.590:                              ;   in Loop: Header=BB151_3 Depth=1
	s_or_b32 exec_lo, exec_lo, s9
	s_wait_dscnt 0x0
	s_barrier_signal -1
	s_barrier_wait -1
	s_barrier_signal -1
	s_barrier_wait -1
	s_and_saveexec_b32 s9, s1
; %bb.591:                              ;   in Loop: Header=BB151_3 Depth=1
	v_pk_add_f32 v[46:47], v[46:47], 0 neg_lo:[1,1] neg_hi:[1,1]
	ds_store_b64 v53, v[46:47] offset:18736
; %bb.592:                              ;   in Loop: Header=BB151_3 Depth=1
	s_or_b32 exec_lo, exec_lo, s9
	s_wait_dscnt 0x0
	s_barrier_signal -1
	s_barrier_wait -1
	s_barrier_signal -1
	s_barrier_wait -1
	s_and_saveexec_b32 s9, s12
; %bb.593:                              ;   in Loop: Header=BB151_3 Depth=1
	v_add_nc_u32_e64 v0, 0x4800, 0
	ds_store_2addr_b64 v0, v[38:39], v[38:39] offset0:166 offset1:231
; %bb.594:                              ;   in Loop: Header=BB151_3 Depth=1
	s_or_b32 exec_lo, exec_lo, s9
	v_mov_b64_e32 v[46:47], 0
	s_wait_dscnt 0x0
	s_barrier_signal -1
	s_barrier_wait -1
	s_and_saveexec_b32 s9, s3
	s_cbranch_execz .LBB151_604
; %bb.595:                              ;   in Loop: Header=BB151_3 Depth=1
	ds_load_b64 v[46:47], v64 offset:16704
	ds_load_b64 v[48:49], v61 offset:16640
	s_wait_dscnt 0x0
	v_dual_mul_f32 v0, v49, v47 :: v_dual_mul_f32 v3, v48, v47
	s_delay_alu instid0(VALU_DEP_1) | instskip(NEXT) | instid1(VALU_DEP_1)
	v_dual_fma_f32 v0, v48, v46, -v0 :: v_dual_fmac_f32 v3, v49, v46
	v_dual_add_f32 v46, 0, v0 :: v_dual_add_f32 v47, 0, v3
	s_and_saveexec_b32 s14, s18
	s_cbranch_execnz .LBB151_1028
; %bb.596:                              ;   in Loop: Header=BB151_3 Depth=1
	s_or_b32 exec_lo, exec_lo, s14
	s_and_saveexec_b32 s14, s19
	s_cbranch_execnz .LBB151_1029
.LBB151_597:                            ;   in Loop: Header=BB151_3 Depth=1
	s_or_b32 exec_lo, exec_lo, s14
	s_and_saveexec_b32 s14, s20
	s_cbranch_execnz .LBB151_1030
.LBB151_598:                            ;   in Loop: Header=BB151_3 Depth=1
	s_or_b32 exec_lo, exec_lo, s14
	s_and_saveexec_b32 s14, s21
	s_cbranch_execnz .LBB151_1031
.LBB151_599:                            ;   in Loop: Header=BB151_3 Depth=1
	s_or_b32 exec_lo, exec_lo, s14
	s_and_saveexec_b32 s14, s22
	s_cbranch_execnz .LBB151_1032
.LBB151_600:                            ;   in Loop: Header=BB151_3 Depth=1
	s_or_b32 exec_lo, exec_lo, s14
	s_and_saveexec_b32 s14, s2
	s_cbranch_execnz .LBB151_1033
.LBB151_601:                            ;   in Loop: Header=BB151_3 Depth=1
	s_or_b32 exec_lo, exec_lo, s14
	s_and_saveexec_b32 s14, s17
	s_cbranch_execz .LBB151_603
.LBB151_602:                            ;   in Loop: Header=BB151_3 Depth=1
	ds_load_b64 v[48:49], v55 offset:20288
	ds_load_b64 v[50:51], v1 offset:16696
	s_wait_dscnt 0x0
	v_pk_mul_f32 v[86:87], v[50:51], v[48:49] op_sel:[1,1] op_sel_hi:[0,1]
	s_delay_alu instid0(VALU_DEP_1) | instskip(SKIP_1) | instid1(VALU_DEP_2)
	v_pk_fma_f32 v[88:89], v[50:51], v[48:49], v[86:87] op_sel_hi:[1,0,1]
	v_pk_fma_f32 v[48:49], v[50:51], v[48:49], v[86:87] neg_lo:[0,0,1] neg_hi:[0,0,1]
	v_mov_b32_e32 v49, v89
	s_delay_alu instid0(VALU_DEP_1)
	v_pk_add_f32 v[46:47], v[46:47], v[48:49]
.LBB151_603:                            ;   in Loop: Header=BB151_3 Depth=1
	s_or_b32 exec_lo, exec_lo, s14
	s_delay_alu instid0(VALU_DEP_1)
	v_pk_add_f32 v[46:47], v[46:47], 0 neg_lo:[1,1] neg_hi:[1,1]
.LBB151_604:                            ;   in Loop: Header=BB151_3 Depth=1
	s_or_b32 exec_lo, exec_lo, s9
	s_and_saveexec_b32 s9, s46
; %bb.605:                              ;   in Loop: Header=BB151_3 Depth=1
	ds_store_b64 v63, v[46:47]
; %bb.606:                              ;   in Loop: Header=BB151_3 Depth=1
	s_or_b32 exec_lo, exec_lo, s9
	s_wait_dscnt 0x0
	s_barrier_signal -1
	s_barrier_wait -1
	s_and_saveexec_b32 s9, s47
	s_cbranch_execz .LBB151_608
; %bb.607:                              ;   in Loop: Header=BB151_3 Depth=1
	ds_load_b64 v[48:49], v62 offset:20800
	ds_load_b64 v[50:51], v63
	s_wait_dscnt 0x0
	v_pk_mul_f32 v[86:87], v[50:51], v[48:49] op_sel:[1,1] op_sel_hi:[0,1]
	s_delay_alu instid0(VALU_DEP_1) | instskip(SKIP_1) | instid1(VALU_DEP_2)
	v_pk_fma_f32 v[88:89], v[50:51], v[48:49], v[86:87] op_sel_hi:[1,0,1]
	v_pk_fma_f32 v[48:49], v[50:51], v[48:49], v[86:87] neg_lo:[0,0,1] neg_hi:[0,0,1]
	v_mov_b32_e32 v49, v89
	s_delay_alu instid0(VALU_DEP_1)
	v_pk_add_f32 v[46:47], v[46:47], v[48:49]
.LBB151_608:                            ;   in Loop: Header=BB151_3 Depth=1
	s_or_b32 exec_lo, exec_lo, s9
	s_barrier_signal -1
	s_barrier_wait -1
	s_and_saveexec_b32 s9, s48
; %bb.609:                              ;   in Loop: Header=BB151_3 Depth=1
	ds_store_b64 v63, v[46:47]
; %bb.610:                              ;   in Loop: Header=BB151_3 Depth=1
	s_or_b32 exec_lo, exec_lo, s9
	s_wait_dscnt 0x0
	s_barrier_signal -1
	s_barrier_wait -1
	s_and_saveexec_b32 s9, s49
	s_cbranch_execz .LBB151_612
; %bb.611:                              ;   in Loop: Header=BB151_3 Depth=1
	ds_load_b64 v[48:49], v62 offset:21312
	ds_load_b64 v[50:51], v63
	s_wait_dscnt 0x0
	v_dual_mul_f32 v0, v51, v49 :: v_dual_mul_f32 v3, v50, v49
	s_delay_alu instid0(VALU_DEP_1) | instskip(NEXT) | instid1(VALU_DEP_1)
	v_dual_fma_f32 v0, v50, v48, -v0 :: v_dual_fmac_f32 v3, v51, v48
	v_dual_add_f32 v46, v46, v0 :: v_dual_add_f32 v47, v47, v3
.LBB151_612:                            ;   in Loop: Header=BB151_3 Depth=1
	s_or_b32 exec_lo, exec_lo, s9
	s_barrier_signal -1
	s_barrier_wait -1
	s_and_saveexec_b32 s9, s50
; %bb.613:                              ;   in Loop: Header=BB151_3 Depth=1
	ds_store_b64 v63, v[46:47]
; %bb.614:                              ;   in Loop: Header=BB151_3 Depth=1
	s_or_b32 exec_lo, exec_lo, s9
	s_wait_dscnt 0x0
	s_barrier_signal -1
	s_barrier_wait -1
	s_and_saveexec_b32 s9, s51
	s_cbranch_execz .LBB151_616
; %bb.615:                              ;   in Loop: Header=BB151_3 Depth=1
	ds_load_b64 v[48:49], v62 offset:21824
	ds_load_b64 v[50:51], v63
	s_wait_dscnt 0x0
	v_dual_mul_f32 v0, v51, v49 :: v_dual_mul_f32 v87, v50, v49
	s_delay_alu instid0(VALU_DEP_1) | instskip(NEXT) | instid1(VALU_DEP_1)
	v_dual_fma_f32 v86, v50, v48, -v0 :: v_dual_fmac_f32 v87, v51, v48
	v_pk_add_f32 v[46:47], v[46:47], v[86:87]
.LBB151_616:                            ;   in Loop: Header=BB151_3 Depth=1
	s_or_b32 exec_lo, exec_lo, s9
	s_barrier_signal -1
	s_barrier_wait -1
	s_and_saveexec_b32 s9, s52
; %bb.617:                              ;   in Loop: Header=BB151_3 Depth=1
	ds_store_b64 v63, v[46:47]
; %bb.618:                              ;   in Loop: Header=BB151_3 Depth=1
	s_or_b32 exec_lo, exec_lo, s9
	s_wait_dscnt 0x0
	s_barrier_signal -1
	s_barrier_wait -1
	s_and_saveexec_b32 s9, s53
	s_cbranch_execz .LBB151_620
; %bb.619:                              ;   in Loop: Header=BB151_3 Depth=1
	ds_load_b64 v[48:49], v62 offset:22336
	ds_load_b64 v[50:51], v63
	s_wait_dscnt 0x0
	v_pk_mul_f32 v[86:87], v[50:51], v[48:49] op_sel:[1,1] op_sel_hi:[0,1]
	s_delay_alu instid0(VALU_DEP_1) | instskip(SKIP_1) | instid1(VALU_DEP_2)
	v_pk_fma_f32 v[88:89], v[50:51], v[48:49], v[86:87] op_sel_hi:[1,0,1]
	v_pk_fma_f32 v[48:49], v[50:51], v[48:49], v[86:87] neg_lo:[0,0,1] neg_hi:[0,0,1]
	v_mov_b32_e32 v49, v89
	s_delay_alu instid0(VALU_DEP_1)
	v_pk_add_f32 v[46:47], v[46:47], v[48:49]
.LBB151_620:                            ;   in Loop: Header=BB151_3 Depth=1
	s_or_b32 exec_lo, exec_lo, s9
	s_barrier_signal -1
	s_barrier_wait -1
	s_and_saveexec_b32 s9, s54
; %bb.621:                              ;   in Loop: Header=BB151_3 Depth=1
	ds_store_b64 v63, v[46:47]
; %bb.622:                              ;   in Loop: Header=BB151_3 Depth=1
	s_or_b32 exec_lo, exec_lo, s9
	s_wait_dscnt 0x0
	s_barrier_signal -1
	s_barrier_wait -1
	s_and_saveexec_b32 s9, s55
	s_cbranch_execz .LBB151_624
; %bb.623:                              ;   in Loop: Header=BB151_3 Depth=1
	ds_load_b64 v[48:49], v62 offset:22848
	ds_load_b64 v[50:51], v63
	s_wait_dscnt 0x0
	v_pk_mul_f32 v[86:87], v[50:51], v[48:49] op_sel:[1,1] op_sel_hi:[0,1]
	s_delay_alu instid0(VALU_DEP_1) | instskip(SKIP_1) | instid1(VALU_DEP_2)
	v_pk_fma_f32 v[88:89], v[50:51], v[48:49], v[86:87] op_sel_hi:[1,0,1]
	v_pk_fma_f32 v[48:49], v[50:51], v[48:49], v[86:87] neg_lo:[0,0,1] neg_hi:[0,0,1]
	v_mov_b32_e32 v49, v89
	s_delay_alu instid0(VALU_DEP_1)
	v_pk_add_f32 v[46:47], v[46:47], v[48:49]
.LBB151_624:                            ;   in Loop: Header=BB151_3 Depth=1
	;; [unrolled: 25-line block ×4, first 2 shown]
	s_or_b32 exec_lo, exec_lo, s9
	s_barrier_signal -1
	s_barrier_wait -1
	s_and_saveexec_b32 s9, s59
; %bb.633:                              ;   in Loop: Header=BB151_3 Depth=1
	ds_store_b64 v63, v[46:47]
; %bb.634:                              ;   in Loop: Header=BB151_3 Depth=1
	s_or_b32 exec_lo, exec_lo, s9
	s_wait_dscnt 0x0
	s_barrier_signal -1
	s_barrier_wait -1
	s_barrier_signal -1
	s_barrier_wait -1
	s_and_saveexec_b32 s9, s3
; %bb.635:                              ;   in Loop: Header=BB151_3 Depth=1
	v_pk_add_f32 v[46:47], v[46:47], 0 neg_lo:[1,1] neg_hi:[1,1]
	ds_store_b64 v64, v[46:47] offset:16704
; %bb.636:                              ;   in Loop: Header=BB151_3 Depth=1
	s_or_b32 exec_lo, exec_lo, s9
	s_wait_dscnt 0x0
	s_barrier_signal -1
	s_barrier_wait -1
	s_barrier_signal -1
	s_barrier_wait -1
	s_and_saveexec_b32 s9, s12
; %bb.637:                              ;   in Loop: Header=BB151_3 Depth=1
	v_add_nc_u32_e64 v0, 0x5000, 0
	ds_store_2addr_b64 v0, v[38:39], v[38:39] offset0:40 offset1:105
; %bb.638:                              ;   in Loop: Header=BB151_3 Depth=1
	s_or_b32 exec_lo, exec_lo, s9
	v_mov_b64_e32 v[46:47], 0
	s_wait_dscnt 0x0
	s_barrier_signal -1
	s_barrier_wait -1
	s_and_saveexec_b32 s9, s1
	s_cbranch_execz .LBB151_642
; %bb.639:                              ;   in Loop: Header=BB151_3 Depth=1
	ds_load_b64 v[46:47], v53 offset:20816
	ds_load_b64 v[48:49], v54 offset:20800
	s_wait_dscnt 0x0
	v_pk_mul_f32 v[50:51], v[48:49], v[46:47] op_sel:[1,1] op_sel_hi:[0,1]
	s_delay_alu instid0(VALU_DEP_1) | instskip(SKIP_1) | instid1(VALU_DEP_2)
	v_pk_fma_f32 v[86:87], v[48:49], v[46:47], v[50:51] op_sel_hi:[1,0,1]
	v_pk_fma_f32 v[46:47], v[48:49], v[46:47], v[50:51] neg_lo:[0,0,1] neg_hi:[0,0,1]
	v_mov_b32_e32 v47, v87
	s_delay_alu instid0(VALU_DEP_1)
	v_pk_add_f32 v[46:47], v[46:47], 0 op_sel_hi:[1,0]
	s_and_saveexec_b32 s14, s15
	s_cbranch_execz .LBB151_641
; %bb.640:                              ;   in Loop: Header=BB151_3 Depth=1
	ds_load_b64 v[48:49], v55 offset:21328
	ds_load_b64 v[50:51], v1 offset:20808
	s_wait_dscnt 0x0
	v_pk_mul_f32 v[86:87], v[50:51], v[48:49] op_sel:[1,1] op_sel_hi:[0,1]
	s_delay_alu instid0(VALU_DEP_1) | instskip(SKIP_1) | instid1(VALU_DEP_2)
	v_pk_fma_f32 v[88:89], v[50:51], v[48:49], v[86:87] op_sel_hi:[1,0,1]
	v_pk_fma_f32 v[48:49], v[50:51], v[48:49], v[86:87] neg_lo:[0,0,1] neg_hi:[0,0,1]
	v_mov_b32_e32 v49, v89
	s_delay_alu instid0(VALU_DEP_1)
	v_pk_add_f32 v[46:47], v[46:47], v[48:49]
.LBB151_641:                            ;   in Loop: Header=BB151_3 Depth=1
	s_or_b32 exec_lo, exec_lo, s14
	s_delay_alu instid0(VALU_DEP_1)
	v_pk_add_f32 v[46:47], v[46:47], 0 neg_lo:[1,1] neg_hi:[1,1]
.LBB151_642:                            ;   in Loop: Header=BB151_3 Depth=1
	s_or_b32 exec_lo, exec_lo, s9
	s_and_saveexec_b32 s9, s101
; %bb.643:                              ;   in Loop: Header=BB151_3 Depth=1
	ds_store_b64 v52, v[46:47]
; %bb.644:                              ;   in Loop: Header=BB151_3 Depth=1
	s_or_b32 exec_lo, exec_lo, s9
	s_wait_dscnt 0x0
	s_barrier_signal -1
	s_barrier_wait -1
	s_and_saveexec_b32 s9, s102
	s_cbranch_execz .LBB151_646
; %bb.645:                              ;   in Loop: Header=BB151_3 Depth=1
	ds_load_b64 v[48:49], v1 offset:21848
	ds_load_b64 v[50:51], v52
	s_wait_dscnt 0x0
	v_pk_mul_f32 v[86:87], v[50:51], v[48:49] op_sel:[1,1] op_sel_hi:[0,1]
	s_delay_alu instid0(VALU_DEP_1) | instskip(SKIP_1) | instid1(VALU_DEP_2)
	v_pk_fma_f32 v[88:89], v[50:51], v[48:49], v[86:87] op_sel_hi:[1,0,1]
	v_pk_fma_f32 v[48:49], v[50:51], v[48:49], v[86:87] neg_lo:[0,0,1] neg_hi:[0,0,1]
	v_mov_b32_e32 v49, v89
	s_delay_alu instid0(VALU_DEP_1)
	v_pk_add_f32 v[46:47], v[46:47], v[48:49]
.LBB151_646:                            ;   in Loop: Header=BB151_3 Depth=1
	s_or_b32 exec_lo, exec_lo, s9
	s_barrier_signal -1
	s_barrier_wait -1
	s_and_saveexec_b32 s9, s102
; %bb.647:                              ;   in Loop: Header=BB151_3 Depth=1
	ds_store_b64 v52, v[46:47]
; %bb.648:                              ;   in Loop: Header=BB151_3 Depth=1
	s_or_b32 exec_lo, exec_lo, s9
	s_wait_dscnt 0x0
	s_barrier_signal -1
	s_barrier_wait -1
	s_barrier_signal -1
	s_barrier_wait -1
	s_and_saveexec_b32 s9, s1
; %bb.649:                              ;   in Loop: Header=BB151_3 Depth=1
	v_pk_add_f32 v[46:47], v[46:47], 0 neg_lo:[1,1] neg_hi:[1,1]
	ds_store_b64 v53, v[46:47] offset:20816
; %bb.650:                              ;   in Loop: Header=BB151_3 Depth=1
	s_or_b32 exec_lo, exec_lo, s9
	s_wait_dscnt 0x0
	s_barrier_signal -1
	s_barrier_wait -1
	s_barrier_signal -1
	s_barrier_wait -1
	s_and_saveexec_b32 s9, s12
; %bb.651:                              ;   in Loop: Header=BB151_3 Depth=1
	v_add_nc_u32_e64 v0, 0x5000, 0
	ds_store_2addr_b64 v0, v[38:39], v[38:39] offset0:170 offset1:235
; %bb.652:                              ;   in Loop: Header=BB151_3 Depth=1
	s_or_b32 exec_lo, exec_lo, s9
	v_mov_b64_e32 v[46:47], 0
	s_wait_dscnt 0x0
	s_barrier_signal -1
	s_barrier_wait -1
	s_and_saveexec_b32 s9, s2
	s_cbranch_execz .LBB151_658
; %bb.653:                              ;   in Loop: Header=BB151_3 Depth=1
	ds_load_b64 v[46:47], v59 offset:20832
	ds_load_b64 v[48:49], v56 offset:20800
	s_wait_dscnt 0x0
	v_dual_mul_f32 v0, v49, v47 :: v_dual_mul_f32 v3, v48, v47
	s_delay_alu instid0(VALU_DEP_1) | instskip(NEXT) | instid1(VALU_DEP_1)
	v_dual_fma_f32 v0, v48, v46, -v0 :: v_dual_fmac_f32 v3, v49, v46
	v_dual_add_f32 v46, 0, v0 :: v_dual_add_f32 v47, 0, v3
	s_and_saveexec_b32 s14, s16
	s_cbranch_execnz .LBB151_1034
; %bb.654:                              ;   in Loop: Header=BB151_3 Depth=1
	s_or_b32 exec_lo, exec_lo, s14
	s_and_saveexec_b32 s14, s17
	s_cbranch_execnz .LBB151_1035
.LBB151_655:                            ;   in Loop: Header=BB151_3 Depth=1
	s_or_b32 exec_lo, exec_lo, s14
	s_and_saveexec_b32 s14, s1
	s_cbranch_execz .LBB151_657
.LBB151_656:                            ;   in Loop: Header=BB151_3 Depth=1
	ds_load_b64 v[48:49], v55 offset:22368
	ds_load_b64 v[50:51], v1 offset:20824
	s_wait_dscnt 0x0
	v_dual_mul_f32 v0, v51, v49 :: v_dual_mul_f32 v87, v50, v49
	s_delay_alu instid0(VALU_DEP_1) | instskip(NEXT) | instid1(VALU_DEP_1)
	v_dual_fma_f32 v86, v50, v48, -v0 :: v_dual_fmac_f32 v87, v51, v48
	v_pk_add_f32 v[46:47], v[46:47], v[86:87]
.LBB151_657:                            ;   in Loop: Header=BB151_3 Depth=1
	s_or_b32 exec_lo, exec_lo, s14
	s_delay_alu instid0(VALU_DEP_1)
	v_pk_add_f32 v[46:47], v[46:47], 0 neg_lo:[1,1] neg_hi:[1,1]
.LBB151_658:                            ;   in Loop: Header=BB151_3 Depth=1
	s_or_b32 exec_lo, exec_lo, s9
	s_and_saveexec_b32 s9, s103
; %bb.659:                              ;   in Loop: Header=BB151_3 Depth=1
	ds_store_b64 v57, v[46:47]
; %bb.660:                              ;   in Loop: Header=BB151_3 Depth=1
	s_or_b32 exec_lo, exec_lo, s9
	s_wait_dscnt 0x0
	s_barrier_signal -1
	s_barrier_wait -1
	s_and_saveexec_b32 s9, s104
	s_cbranch_execz .LBB151_662
; %bb.661:                              ;   in Loop: Header=BB151_3 Depth=1
	ds_load_b64 v[48:49], v58 offset:22880
	ds_load_b64 v[50:51], v57
	s_wait_dscnt 0x0
	v_pk_mul_f32 v[86:87], v[50:51], v[48:49] op_sel:[1,1] op_sel_hi:[0,1]
	s_delay_alu instid0(VALU_DEP_1) | instskip(SKIP_1) | instid1(VALU_DEP_2)
	v_pk_fma_f32 v[88:89], v[50:51], v[48:49], v[86:87] op_sel_hi:[1,0,1]
	v_pk_fma_f32 v[48:49], v[50:51], v[48:49], v[86:87] neg_lo:[0,0,1] neg_hi:[0,0,1]
	v_mov_b32_e32 v49, v89
	s_delay_alu instid0(VALU_DEP_1)
	v_pk_add_f32 v[46:47], v[46:47], v[48:49]
.LBB151_662:                            ;   in Loop: Header=BB151_3 Depth=1
	s_or_b32 exec_lo, exec_lo, s9
	s_barrier_signal -1
	s_barrier_wait -1
	s_and_saveexec_b32 s9, vcc_hi
; %bb.663:                              ;   in Loop: Header=BB151_3 Depth=1
	ds_store_b64 v57, v[46:47]
; %bb.664:                              ;   in Loop: Header=BB151_3 Depth=1
	s_or_b32 exec_lo, exec_lo, s9
	s_wait_dscnt 0x0
	s_barrier_signal -1
	s_barrier_wait -1
	s_and_saveexec_b32 s9, s43
	s_cbranch_execz .LBB151_666
; %bb.665:                              ;   in Loop: Header=BB151_3 Depth=1
	ds_load_b64 v[48:49], v58 offset:23392
	ds_load_b64 v[50:51], v57
	s_wait_dscnt 0x0
	v_pk_mul_f32 v[86:87], v[50:51], v[48:49] op_sel:[1,1] op_sel_hi:[0,1]
	s_delay_alu instid0(VALU_DEP_1) | instskip(SKIP_1) | instid1(VALU_DEP_2)
	v_pk_fma_f32 v[88:89], v[50:51], v[48:49], v[86:87] op_sel_hi:[1,0,1]
	v_pk_fma_f32 v[48:49], v[50:51], v[48:49], v[86:87] neg_lo:[0,0,1] neg_hi:[0,0,1]
	v_mov_b32_e32 v49, v89
	s_delay_alu instid0(VALU_DEP_1)
	v_pk_add_f32 v[46:47], v[46:47], v[48:49]
.LBB151_666:                            ;   in Loop: Header=BB151_3 Depth=1
	s_or_b32 exec_lo, exec_lo, s9
	s_barrier_signal -1
	s_barrier_wait -1
	s_and_saveexec_b32 s9, s44
; %bb.667:                              ;   in Loop: Header=BB151_3 Depth=1
	ds_store_b64 v57, v[46:47]
; %bb.668:                              ;   in Loop: Header=BB151_3 Depth=1
	s_or_b32 exec_lo, exec_lo, s9
	s_wait_dscnt 0x0
	s_barrier_signal -1
	s_barrier_wait -1
	s_and_saveexec_b32 s9, s45
	s_cbranch_execz .LBB151_670
; %bb.669:                              ;   in Loop: Header=BB151_3 Depth=1
	ds_load_b64 v[48:49], v1 offset:23928
	ds_load_b64 v[50:51], v57
	s_wait_dscnt 0x0
	v_pk_mul_f32 v[86:87], v[50:51], v[48:49] op_sel:[1,1] op_sel_hi:[0,1]
	s_delay_alu instid0(VALU_DEP_1) | instskip(SKIP_1) | instid1(VALU_DEP_2)
	v_pk_fma_f32 v[88:89], v[50:51], v[48:49], v[86:87] op_sel_hi:[1,0,1]
	v_pk_fma_f32 v[48:49], v[50:51], v[48:49], v[86:87] neg_lo:[0,0,1] neg_hi:[0,0,1]
	v_mov_b32_e32 v49, v89
	s_delay_alu instid0(VALU_DEP_1)
	v_pk_add_f32 v[46:47], v[46:47], v[48:49]
.LBB151_670:                            ;   in Loop: Header=BB151_3 Depth=1
	s_or_b32 exec_lo, exec_lo, s9
	s_barrier_signal -1
	s_barrier_wait -1
	s_and_saveexec_b32 s9, s45
; %bb.671:                              ;   in Loop: Header=BB151_3 Depth=1
	ds_store_b64 v57, v[46:47]
; %bb.672:                              ;   in Loop: Header=BB151_3 Depth=1
	s_or_b32 exec_lo, exec_lo, s9
	s_wait_dscnt 0x0
	s_barrier_signal -1
	s_barrier_wait -1
	s_barrier_signal -1
	s_barrier_wait -1
	s_and_saveexec_b32 s9, s2
; %bb.673:                              ;   in Loop: Header=BB151_3 Depth=1
	v_pk_add_f32 v[46:47], v[46:47], 0 neg_lo:[1,1] neg_hi:[1,1]
	ds_store_b64 v59, v[46:47] offset:20832
; %bb.674:                              ;   in Loop: Header=BB151_3 Depth=1
	s_or_b32 exec_lo, exec_lo, s9
	s_wait_dscnt 0x0
	s_barrier_signal -1
	s_barrier_wait -1
	s_barrier_signal -1
	s_barrier_wait -1
	s_and_saveexec_b32 s9, s12
; %bb.675:                              ;   in Loop: Header=BB151_3 Depth=1
	v_add_nc_u32_e64 v0, 0x5800, 0
	ds_store_2addr_b64 v0, v[38:39], v[38:39] offset0:44 offset1:109
; %bb.676:                              ;   in Loop: Header=BB151_3 Depth=1
	s_or_b32 exec_lo, exec_lo, s9
	v_mov_b64_e32 v[46:47], 0
	s_wait_dscnt 0x0
	s_barrier_signal -1
	s_barrier_wait -1
	s_and_saveexec_b32 s9, s1
	s_cbranch_execz .LBB151_680
; %bb.677:                              ;   in Loop: Header=BB151_3 Depth=1
	ds_load_b64 v[46:47], v53 offset:22896
	ds_load_b64 v[48:49], v54 offset:22880
	s_wait_dscnt 0x0
	v_pk_mul_f32 v[50:51], v[48:49], v[46:47] op_sel:[1,1] op_sel_hi:[0,1]
	s_delay_alu instid0(VALU_DEP_1) | instskip(SKIP_1) | instid1(VALU_DEP_2)
	v_pk_fma_f32 v[86:87], v[48:49], v[46:47], v[50:51] op_sel_hi:[1,0,1]
	v_pk_fma_f32 v[46:47], v[48:49], v[46:47], v[50:51] neg_lo:[0,0,1] neg_hi:[0,0,1]
	v_mov_b32_e32 v47, v87
	s_delay_alu instid0(VALU_DEP_1)
	v_pk_add_f32 v[46:47], v[46:47], 0 op_sel_hi:[1,0]
	s_and_saveexec_b32 s14, s15
	s_cbranch_execz .LBB151_679
; %bb.678:                              ;   in Loop: Header=BB151_3 Depth=1
	ds_load_b64 v[48:49], v55 offset:23408
	ds_load_b64 v[50:51], v1 offset:22888
	s_wait_dscnt 0x0
	v_pk_mul_f32 v[86:87], v[50:51], v[48:49] op_sel:[1,1] op_sel_hi:[0,1]
	s_delay_alu instid0(VALU_DEP_1) | instskip(SKIP_1) | instid1(VALU_DEP_2)
	v_pk_fma_f32 v[88:89], v[50:51], v[48:49], v[86:87] op_sel_hi:[1,0,1]
	v_pk_fma_f32 v[48:49], v[50:51], v[48:49], v[86:87] neg_lo:[0,0,1] neg_hi:[0,0,1]
	v_mov_b32_e32 v49, v89
	s_delay_alu instid0(VALU_DEP_1)
	v_pk_add_f32 v[46:47], v[46:47], v[48:49]
.LBB151_679:                            ;   in Loop: Header=BB151_3 Depth=1
	s_or_b32 exec_lo, exec_lo, s14
	s_delay_alu instid0(VALU_DEP_1)
	v_pk_add_f32 v[46:47], v[46:47], 0 neg_lo:[1,1] neg_hi:[1,1]
.LBB151_680:                            ;   in Loop: Header=BB151_3 Depth=1
	s_or_b32 exec_lo, exec_lo, s9
	s_and_saveexec_b32 s9, s101
; %bb.681:                              ;   in Loop: Header=BB151_3 Depth=1
	ds_store_b64 v52, v[46:47]
; %bb.682:                              ;   in Loop: Header=BB151_3 Depth=1
	s_or_b32 exec_lo, exec_lo, s9
	s_wait_dscnt 0x0
	s_barrier_signal -1
	s_barrier_wait -1
	s_and_saveexec_b32 s9, s102
	s_cbranch_execz .LBB151_684
; %bb.683:                              ;   in Loop: Header=BB151_3 Depth=1
	ds_load_b64 v[48:49], v1 offset:23928
	ds_load_b64 v[50:51], v52
	s_wait_dscnt 0x0
	v_pk_mul_f32 v[86:87], v[50:51], v[48:49] op_sel:[1,1] op_sel_hi:[0,1]
	s_delay_alu instid0(VALU_DEP_1) | instskip(SKIP_1) | instid1(VALU_DEP_2)
	v_pk_fma_f32 v[88:89], v[50:51], v[48:49], v[86:87] op_sel_hi:[1,0,1]
	v_pk_fma_f32 v[48:49], v[50:51], v[48:49], v[86:87] neg_lo:[0,0,1] neg_hi:[0,0,1]
	v_mov_b32_e32 v49, v89
	s_delay_alu instid0(VALU_DEP_1)
	v_pk_add_f32 v[46:47], v[46:47], v[48:49]
.LBB151_684:                            ;   in Loop: Header=BB151_3 Depth=1
	s_or_b32 exec_lo, exec_lo, s9
	s_barrier_signal -1
	s_barrier_wait -1
	s_and_saveexec_b32 s9, s102
; %bb.685:                              ;   in Loop: Header=BB151_3 Depth=1
	ds_store_b64 v52, v[46:47]
; %bb.686:                              ;   in Loop: Header=BB151_3 Depth=1
	s_or_b32 exec_lo, exec_lo, s9
	s_wait_dscnt 0x0
	s_barrier_signal -1
	s_barrier_wait -1
	s_barrier_signal -1
	s_barrier_wait -1
	s_and_saveexec_b32 s9, s1
; %bb.687:                              ;   in Loop: Header=BB151_3 Depth=1
	v_pk_add_f32 v[46:47], v[46:47], 0 neg_lo:[1,1] neg_hi:[1,1]
	ds_store_b64 v53, v[46:47] offset:22896
; %bb.688:                              ;   in Loop: Header=BB151_3 Depth=1
	s_or_b32 exec_lo, exec_lo, s9
	s_wait_dscnt 0x0
	s_barrier_signal -1
	s_barrier_wait -1
	s_barrier_signal -1
	s_barrier_wait -1
	s_and_saveexec_b32 s9, s12
; %bb.689:                              ;   in Loop: Header=BB151_3 Depth=1
	v_add_nc_u32_e64 v0, 0x5800, 0
	ds_store_2addr_b64 v0, v[38:39], v[38:39] offset0:174 offset1:239
; %bb.690:                              ;   in Loop: Header=BB151_3 Depth=1
	s_or_b32 exec_lo, exec_lo, s9
	v_mov_b64_e32 v[46:47], 0
	s_wait_dscnt 0x0
	s_barrier_signal -1
	s_barrier_wait -1
	s_and_saveexec_b32 s66, s4
	s_cbranch_execz .LBB151_718
; %bb.691:                              ;   in Loop: Header=BB151_3 Depth=1
	ds_load_b64 v[46:47], v69 offset:16768
	ds_load_b64 v[48:49], v66 offset:16640
	v_readlane_b32 s10, v95, 26
	s_wait_dscnt 0x0
	v_dual_mul_f32 v0, v49, v47 :: v_dual_mul_f32 v3, v48, v47
	s_delay_alu instid0(VALU_DEP_1) | instskip(NEXT) | instid1(VALU_DEP_1)
	v_dual_fma_f32 v0, v48, v46, -v0 :: v_dual_fmac_f32 v3, v49, v46
	v_dual_add_f32 v46, 0, v0 :: v_dual_add_f32 v47, 0, v3
	s_and_saveexec_b32 s9, s10
	s_cbranch_execz .LBB151_693
; %bb.692:                              ;   in Loop: Header=BB151_3 Depth=1
	ds_load_b64 v[48:49], v70 offset:17280
	ds_load_b64 v[50:51], v66 offset:16648
	s_wait_dscnt 0x0
	v_dual_mul_f32 v0, v51, v49 :: v_dual_mul_f32 v3, v50, v49
	s_delay_alu instid0(VALU_DEP_1) | instskip(NEXT) | instid1(VALU_DEP_1)
	v_dual_fma_f32 v0, v50, v48, -v0 :: v_dual_fmac_f32 v3, v51, v48
	v_dual_add_f32 v46, v46, v0 :: v_dual_add_f32 v47, v47, v3
.LBB151_693:                            ;   in Loop: Header=BB151_3 Depth=1
	s_or_b32 exec_lo, exec_lo, s9
	v_readlane_b32 s10, v95, 27
	s_and_saveexec_b32 s9, s10
	s_cbranch_execz .LBB151_695
; %bb.694:                              ;   in Loop: Header=BB151_3 Depth=1
	ds_load_b64 v[48:49], v70 offset:17792
	ds_load_b64 v[50:51], v66 offset:16656
	s_wait_dscnt 0x0
	v_dual_mul_f32 v0, v51, v49 :: v_dual_mul_f32 v3, v50, v49
	s_delay_alu instid0(VALU_DEP_1) | instskip(NEXT) | instid1(VALU_DEP_1)
	v_dual_fma_f32 v0, v50, v48, -v0 :: v_dual_fmac_f32 v3, v51, v48
	v_dual_add_f32 v46, v46, v0 :: v_dual_add_f32 v47, v47, v3
.LBB151_695:                            ;   in Loop: Header=BB151_3 Depth=1
	s_or_b32 exec_lo, exec_lo, s9
	v_readlane_b32 s10, v95, 28
	;; [unrolled: 13-line block ×6, first 2 shown]
	s_and_saveexec_b32 s9, s10
	s_cbranch_execz .LBB151_705
; %bb.704:                              ;   in Loop: Header=BB151_3 Depth=1
	ds_load_b64 v[48:49], v70 offset:20352
	ds_load_b64 v[50:51], v66 offset:16696
	s_wait_dscnt 0x0
	v_dual_mul_f32 v0, v51, v49 :: v_dual_mul_f32 v3, v50, v49
	s_delay_alu instid0(VALU_DEP_1) | instskip(NEXT) | instid1(VALU_DEP_1)
	v_dual_fma_f32 v0, v50, v48, -v0 :: v_dual_fmac_f32 v3, v51, v48
	v_dual_add_f32 v46, v46, v0 :: v_dual_add_f32 v47, v47, v3
.LBB151_705:                            ;   in Loop: Header=BB151_3 Depth=1
	s_or_b32 exec_lo, exec_lo, s9
	s_and_saveexec_b32 s9, s13
	s_cbranch_execz .LBB151_707
; %bb.706:                              ;   in Loop: Header=BB151_3 Depth=1
	ds_load_b64 v[48:49], v69 offset:20864
	ds_load_b64 v[50:51], v66 offset:16704
	s_wait_dscnt 0x0
	v_dual_mul_f32 v0, v51, v49 :: v_dual_mul_f32 v3, v50, v49
	s_delay_alu instid0(VALU_DEP_1) | instskip(NEXT) | instid1(VALU_DEP_1)
	v_dual_fma_f32 v0, v50, v48, -v0 :: v_dual_fmac_f32 v3, v51, v48
	v_dual_add_f32 v46, v46, v0 :: v_dual_add_f32 v47, v47, v3
.LBB151_707:                            ;   in Loop: Header=BB151_3 Depth=1
	s_or_b32 exec_lo, exec_lo, s9
	v_readlane_b32 s10, v94, 2
	s_and_saveexec_b32 s9, s10
	s_cbranch_execz .LBB151_709
; %bb.708:                              ;   in Loop: Header=BB151_3 Depth=1
	ds_load_b64 v[48:49], v70 offset:21376
	ds_load_b64 v[50:51], v66 offset:16712
	s_wait_dscnt 0x0
	v_dual_mul_f32 v0, v51, v49 :: v_dual_mul_f32 v3, v50, v49
	s_delay_alu instid0(VALU_DEP_1) | instskip(NEXT) | instid1(VALU_DEP_1)
	v_dual_fma_f32 v0, v50, v48, -v0 :: v_dual_fmac_f32 v3, v51, v48
	v_dual_add_f32 v46, v46, v0 :: v_dual_add_f32 v47, v47, v3
.LBB151_709:                            ;   in Loop: Header=BB151_3 Depth=1
	s_or_b32 exec_lo, exec_lo, s9
	s_and_saveexec_b32 s9, s6
	s_cbranch_execz .LBB151_711
; %bb.710:                              ;   in Loop: Header=BB151_3 Depth=1
	ds_load_b64 v[48:49], v70 offset:21888
	ds_load_b64 v[50:51], v66 offset:16720
	s_wait_dscnt 0x0
	v_dual_mul_f32 v0, v51, v49 :: v_dual_mul_f32 v3, v50, v49
	s_delay_alu instid0(VALU_DEP_1) | instskip(NEXT) | instid1(VALU_DEP_1)
	v_dual_fma_f32 v0, v50, v48, -v0 :: v_dual_fmac_f32 v3, v51, v48
	v_dual_add_f32 v46, v46, v0 :: v_dual_add_f32 v47, v47, v3
.LBB151_711:                            ;   in Loop: Header=BB151_3 Depth=1
	s_or_b32 exec_lo, exec_lo, s9
	v_readlane_b32 s10, v94, 3
	s_and_saveexec_b32 s9, s10
	s_cbranch_execnz .LBB151_1036
; %bb.712:                              ;   in Loop: Header=BB151_3 Depth=1
	s_or_b32 exec_lo, exec_lo, s9
	s_and_saveexec_b32 s9, s3
	s_cbranch_execnz .LBB151_1037
.LBB151_713:                            ;   in Loop: Header=BB151_3 Depth=1
	s_or_b32 exec_lo, exec_lo, s9
	s_and_saveexec_b32 s9, s19
	s_cbranch_execnz .LBB151_1038
.LBB151_714:                            ;   in Loop: Header=BB151_3 Depth=1
	s_or_b32 exec_lo, exec_lo, s9
	s_and_saveexec_b32 s9, s21
	s_cbranch_execnz .LBB151_1039
.LBB151_715:                            ;   in Loop: Header=BB151_3 Depth=1
	s_or_b32 exec_lo, exec_lo, s9
	s_and_saveexec_b32 s9, s2
	s_cbranch_execz .LBB151_717
.LBB151_716:                            ;   in Loop: Header=BB151_3 Depth=1
	ds_load_b64 v[48:49], v55 offset:24448
	ds_load_b64 v[50:51], v1 offset:16760
	s_wait_dscnt 0x0
	v_dual_mul_f32 v0, v51, v49 :: v_dual_mul_f32 v87, v50, v49
	s_delay_alu instid0(VALU_DEP_1) | instskip(NEXT) | instid1(VALU_DEP_1)
	v_dual_fma_f32 v86, v50, v48, -v0 :: v_dual_fmac_f32 v87, v51, v48
	v_pk_add_f32 v[46:47], v[46:47], v[86:87]
.LBB151_717:                            ;   in Loop: Header=BB151_3 Depth=1
	s_or_b32 exec_lo, exec_lo, s9
	s_delay_alu instid0(VALU_DEP_1)
	v_pk_add_f32 v[46:47], v[46:47], 0 neg_lo:[1,1] neg_hi:[1,1]
.LBB151_718:                            ;   in Loop: Header=BB151_3 Depth=1
	s_or_b32 exec_lo, exec_lo, s66
	v_readlane_b32 s10, v95, 1
	s_and_saveexec_b32 s9, s10
; %bb.719:                              ;   in Loop: Header=BB151_3 Depth=1
	ds_store_b64 v68, v[46:47]
; %bb.720:                              ;   in Loop: Header=BB151_3 Depth=1
	s_or_b32 exec_lo, exec_lo, s9
	v_readlane_b32 s10, v95, 2
	s_wait_dscnt 0x0
	s_barrier_signal -1
	s_barrier_wait -1
	s_and_saveexec_b32 s9, s10
	s_cbranch_execz .LBB151_722
; %bb.721:                              ;   in Loop: Header=BB151_3 Depth=1
	ds_load_b64 v[48:49], v67 offset:24960
	ds_load_b64 v[50:51], v68
	s_wait_dscnt 0x0
	v_pk_mul_f32 v[86:87], v[50:51], v[48:49] op_sel:[1,1] op_sel_hi:[0,1]
	s_delay_alu instid0(VALU_DEP_1) | instskip(SKIP_1) | instid1(VALU_DEP_2)
	v_pk_fma_f32 v[88:89], v[50:51], v[48:49], v[86:87] op_sel_hi:[1,0,1]
	v_pk_fma_f32 v[48:49], v[50:51], v[48:49], v[86:87] neg_lo:[0,0,1] neg_hi:[0,0,1]
	v_mov_b32_e32 v49, v89
	s_delay_alu instid0(VALU_DEP_1)
	v_pk_add_f32 v[46:47], v[46:47], v[48:49]
.LBB151_722:                            ;   in Loop: Header=BB151_3 Depth=1
	s_or_b32 exec_lo, exec_lo, s9
	v_readlane_b32 s10, v95, 3
	s_barrier_signal -1
	s_barrier_wait -1
	s_and_saveexec_b32 s9, s10
; %bb.723:                              ;   in Loop: Header=BB151_3 Depth=1
	ds_store_b64 v68, v[46:47]
; %bb.724:                              ;   in Loop: Header=BB151_3 Depth=1
	s_or_b32 exec_lo, exec_lo, s9
	v_readlane_b32 s10, v95, 4
	s_wait_dscnt 0x0
	s_barrier_signal -1
	s_barrier_wait -1
	s_and_saveexec_b32 s9, s10
	s_cbranch_execz .LBB151_726
; %bb.725:                              ;   in Loop: Header=BB151_3 Depth=1
	ds_load_b64 v[48:49], v67 offset:25472
	ds_load_b64 v[50:51], v68
	s_wait_dscnt 0x0
	v_pk_mul_f32 v[86:87], v[50:51], v[48:49] op_sel:[1,1] op_sel_hi:[0,1]
	s_delay_alu instid0(VALU_DEP_1) | instskip(SKIP_1) | instid1(VALU_DEP_2)
	v_pk_fma_f32 v[88:89], v[50:51], v[48:49], v[86:87] op_sel_hi:[1,0,1]
	v_pk_fma_f32 v[48:49], v[50:51], v[48:49], v[86:87] neg_lo:[0,0,1] neg_hi:[0,0,1]
	v_mov_b32_e32 v49, v89
	s_delay_alu instid0(VALU_DEP_1)
	v_pk_add_f32 v[46:47], v[46:47], v[48:49]
.LBB151_726:                            ;   in Loop: Header=BB151_3 Depth=1
	s_or_b32 exec_lo, exec_lo, s9
	v_readlane_b32 s10, v95, 5
	s_barrier_signal -1
	s_barrier_wait -1
	;; [unrolled: 27-line block ×3, first 2 shown]
	s_and_saveexec_b32 s9, s10
; %bb.731:                              ;   in Loop: Header=BB151_3 Depth=1
	ds_store_b64 v68, v[46:47]
; %bb.732:                              ;   in Loop: Header=BB151_3 Depth=1
	s_or_b32 exec_lo, exec_lo, s9
	v_readlane_b32 s10, v95, 8
	s_wait_dscnt 0x0
	s_barrier_signal -1
	s_barrier_wait -1
	s_and_saveexec_b32 s9, s10
	s_cbranch_execz .LBB151_734
; %bb.733:                              ;   in Loop: Header=BB151_3 Depth=1
	ds_load_b64 v[48:49], v67 offset:26496
	ds_load_b64 v[50:51], v68
	s_wait_dscnt 0x0
	v_dual_mul_f32 v0, v51, v49 :: v_dual_mul_f32 v3, v50, v49
	s_delay_alu instid0(VALU_DEP_1) | instskip(NEXT) | instid1(VALU_DEP_1)
	v_dual_fma_f32 v0, v50, v48, -v0 :: v_dual_fmac_f32 v3, v51, v48
	v_dual_add_f32 v46, v46, v0 :: v_dual_add_f32 v47, v47, v3
.LBB151_734:                            ;   in Loop: Header=BB151_3 Depth=1
	s_or_b32 exec_lo, exec_lo, s9
	v_readlane_b32 s10, v95, 9
	s_barrier_signal -1
	s_barrier_wait -1
	s_and_saveexec_b32 s9, s10
; %bb.735:                              ;   in Loop: Header=BB151_3 Depth=1
	ds_store_b64 v68, v[46:47]
; %bb.736:                              ;   in Loop: Header=BB151_3 Depth=1
	s_or_b32 exec_lo, exec_lo, s9
	s_wait_dscnt 0x0
	s_barrier_signal -1
	s_barrier_wait -1
	s_and_saveexec_b32 s9, s29
	s_cbranch_execz .LBB151_738
; %bb.737:                              ;   in Loop: Header=BB151_3 Depth=1
	ds_load_b64 v[48:49], v67 offset:27008
	ds_load_b64 v[50:51], v68
	s_wait_dscnt 0x0
	v_dual_mul_f32 v0, v51, v49 :: v_dual_mul_f32 v87, v50, v49
	s_delay_alu instid0(VALU_DEP_1) | instskip(NEXT) | instid1(VALU_DEP_1)
	v_dual_fma_f32 v86, v50, v48, -v0 :: v_dual_fmac_f32 v87, v51, v48
	v_pk_add_f32 v[46:47], v[46:47], v[86:87]
.LBB151_738:                            ;   in Loop: Header=BB151_3 Depth=1
	s_or_b32 exec_lo, exec_lo, s9
	s_barrier_signal -1
	s_barrier_wait -1
	s_and_saveexec_b32 s9, s30
; %bb.739:                              ;   in Loop: Header=BB151_3 Depth=1
	ds_store_b64 v68, v[46:47]
; %bb.740:                              ;   in Loop: Header=BB151_3 Depth=1
	s_or_b32 exec_lo, exec_lo, s9
	s_wait_dscnt 0x0
	s_barrier_signal -1
	s_barrier_wait -1
	s_and_saveexec_b32 s9, s33
	s_cbranch_execz .LBB151_742
; %bb.741:                              ;   in Loop: Header=BB151_3 Depth=1
	ds_load_b64 v[48:49], v67 offset:27520
	ds_load_b64 v[50:51], v68
	s_wait_dscnt 0x0
	v_pk_mul_f32 v[86:87], v[50:51], v[48:49] op_sel:[1,1] op_sel_hi:[0,1]
	s_delay_alu instid0(VALU_DEP_1) | instskip(SKIP_1) | instid1(VALU_DEP_2)
	v_pk_fma_f32 v[88:89], v[50:51], v[48:49], v[86:87] op_sel_hi:[1,0,1]
	v_pk_fma_f32 v[48:49], v[50:51], v[48:49], v[86:87] neg_lo:[0,0,1] neg_hi:[0,0,1]
	v_mov_b32_e32 v49, v89
	s_delay_alu instid0(VALU_DEP_1)
	v_pk_add_f32 v[46:47], v[46:47], v[48:49]
.LBB151_742:                            ;   in Loop: Header=BB151_3 Depth=1
	s_or_b32 exec_lo, exec_lo, s9
	s_barrier_signal -1
	s_barrier_wait -1
	s_and_saveexec_b32 s9, s35
; %bb.743:                              ;   in Loop: Header=BB151_3 Depth=1
	ds_store_b64 v68, v[46:47]
; %bb.744:                              ;   in Loop: Header=BB151_3 Depth=1
	s_or_b32 exec_lo, exec_lo, s9
	s_wait_dscnt 0x0
	s_barrier_signal -1
	s_barrier_wait -1
	s_and_saveexec_b32 s9, s39
	s_cbranch_execz .LBB151_746
; %bb.745:                              ;   in Loop: Header=BB151_3 Depth=1
	ds_load_b64 v[48:49], v67 offset:28032
	ds_load_b64 v[50:51], v68
	s_wait_dscnt 0x0
	v_pk_mul_f32 v[86:87], v[50:51], v[48:49] op_sel:[1,1] op_sel_hi:[0,1]
	s_delay_alu instid0(VALU_DEP_1) | instskip(SKIP_1) | instid1(VALU_DEP_2)
	v_pk_fma_f32 v[88:89], v[50:51], v[48:49], v[86:87] op_sel_hi:[1,0,1]
	v_pk_fma_f32 v[48:49], v[50:51], v[48:49], v[86:87] neg_lo:[0,0,1] neg_hi:[0,0,1]
	v_mov_b32_e32 v49, v89
	s_delay_alu instid0(VALU_DEP_1)
	v_pk_add_f32 v[46:47], v[46:47], v[48:49]
.LBB151_746:                            ;   in Loop: Header=BB151_3 Depth=1
	;; [unrolled: 25-line block ×4, first 2 shown]
	s_or_b32 exec_lo, exec_lo, s9
	s_barrier_signal -1
	s_barrier_wait -1
	s_and_saveexec_b32 s9, s26
; %bb.755:                              ;   in Loop: Header=BB151_3 Depth=1
	ds_store_b64 v68, v[46:47]
; %bb.756:                              ;   in Loop: Header=BB151_3 Depth=1
	s_or_b32 exec_lo, exec_lo, s9
	s_wait_dscnt 0x0
	s_barrier_signal -1
	s_barrier_wait -1
	s_and_saveexec_b32 s9, s28
	s_cbranch_execz .LBB151_758
; %bb.757:                              ;   in Loop: Header=BB151_3 Depth=1
	ds_load_b64 v[48:49], v67 offset:29568
	ds_load_b64 v[50:51], v68
	s_wait_dscnt 0x0
	v_dual_mul_f32 v0, v51, v49 :: v_dual_mul_f32 v3, v50, v49
	s_delay_alu instid0(VALU_DEP_1) | instskip(NEXT) | instid1(VALU_DEP_1)
	v_dual_fma_f32 v0, v50, v48, -v0 :: v_dual_fmac_f32 v3, v51, v48
	v_dual_add_f32 v46, v46, v0 :: v_dual_add_f32 v47, v47, v3
.LBB151_758:                            ;   in Loop: Header=BB151_3 Depth=1
	s_or_b32 exec_lo, exec_lo, s9
	s_barrier_signal -1
	s_barrier_wait -1
	s_and_saveexec_b32 s9, s31
; %bb.759:                              ;   in Loop: Header=BB151_3 Depth=1
	ds_store_b64 v68, v[46:47]
; %bb.760:                              ;   in Loop: Header=BB151_3 Depth=1
	s_or_b32 exec_lo, exec_lo, s9
	s_wait_dscnt 0x0
	s_barrier_signal -1
	s_barrier_wait -1
	s_and_saveexec_b32 s9, s34
	s_cbranch_execz .LBB151_762
; %bb.761:                              ;   in Loop: Header=BB151_3 Depth=1
	ds_load_b64 v[48:49], v67 offset:30080
	ds_load_b64 v[50:51], v68
	s_wait_dscnt 0x0
	v_dual_mul_f32 v0, v51, v49 :: v_dual_mul_f32 v87, v50, v49
	s_delay_alu instid0(VALU_DEP_1) | instskip(NEXT) | instid1(VALU_DEP_1)
	v_dual_fma_f32 v86, v50, v48, -v0 :: v_dual_fmac_f32 v87, v51, v48
	v_pk_add_f32 v[46:47], v[46:47], v[86:87]
.LBB151_762:                            ;   in Loop: Header=BB151_3 Depth=1
	s_or_b32 exec_lo, exec_lo, s9
	s_barrier_signal -1
	s_barrier_wait -1
	s_and_saveexec_b32 s9, s98
; %bb.763:                              ;   in Loop: Header=BB151_3 Depth=1
	ds_store_b64 v68, v[46:47]
; %bb.764:                              ;   in Loop: Header=BB151_3 Depth=1
	s_or_b32 exec_lo, exec_lo, s9
	s_wait_dscnt 0x0
	s_barrier_signal -1
	s_barrier_wait -1
	s_and_saveexec_b32 s9, s60
	s_cbranch_execz .LBB151_766
; %bb.765:                              ;   in Loop: Header=BB151_3 Depth=1
	ds_load_b64 v[48:49], v67 offset:30592
	ds_load_b64 v[50:51], v68
	s_wait_dscnt 0x0
	v_pk_mul_f32 v[86:87], v[50:51], v[48:49] op_sel:[1,1] op_sel_hi:[0,1]
	s_delay_alu instid0(VALU_DEP_1) | instskip(SKIP_1) | instid1(VALU_DEP_2)
	v_pk_fma_f32 v[88:89], v[50:51], v[48:49], v[86:87] op_sel_hi:[1,0,1]
	v_pk_fma_f32 v[48:49], v[50:51], v[48:49], v[86:87] neg_lo:[0,0,1] neg_hi:[0,0,1]
	v_mov_b32_e32 v49, v89
	s_delay_alu instid0(VALU_DEP_1)
	v_pk_add_f32 v[46:47], v[46:47], v[48:49]
.LBB151_766:                            ;   in Loop: Header=BB151_3 Depth=1
	s_or_b32 exec_lo, exec_lo, s9
	s_barrier_signal -1
	s_barrier_wait -1
	s_and_saveexec_b32 s9, s61
; %bb.767:                              ;   in Loop: Header=BB151_3 Depth=1
	ds_store_b64 v68, v[46:47]
; %bb.768:                              ;   in Loop: Header=BB151_3 Depth=1
	s_or_b32 exec_lo, exec_lo, s9
	s_wait_dscnt 0x0
	s_barrier_signal -1
	s_barrier_wait -1
	s_and_saveexec_b32 s9, s62
	s_cbranch_execz .LBB151_770
; %bb.769:                              ;   in Loop: Header=BB151_3 Depth=1
	ds_load_b64 v[48:49], v67 offset:31104
	ds_load_b64 v[50:51], v68
	s_wait_dscnt 0x0
	v_pk_mul_f32 v[86:87], v[50:51], v[48:49] op_sel:[1,1] op_sel_hi:[0,1]
	s_delay_alu instid0(VALU_DEP_1) | instskip(SKIP_1) | instid1(VALU_DEP_2)
	v_pk_fma_f32 v[88:89], v[50:51], v[48:49], v[86:87] op_sel_hi:[1,0,1]
	v_pk_fma_f32 v[48:49], v[50:51], v[48:49], v[86:87] neg_lo:[0,0,1] neg_hi:[0,0,1]
	v_mov_b32_e32 v49, v89
	s_delay_alu instid0(VALU_DEP_1)
	v_pk_add_f32 v[46:47], v[46:47], v[48:49]
.LBB151_770:                            ;   in Loop: Header=BB151_3 Depth=1
	;; [unrolled: 25-line block ×4, first 2 shown]
	s_or_b32 exec_lo, exec_lo, s9
	s_barrier_signal -1
	s_barrier_wait -1
	s_and_saveexec_b32 s9, s65
; %bb.779:                              ;   in Loop: Header=BB151_3 Depth=1
	ds_store_b64 v68, v[46:47]
; %bb.780:                              ;   in Loop: Header=BB151_3 Depth=1
	s_or_b32 exec_lo, exec_lo, s9
	s_wait_dscnt 0x0
	s_barrier_signal -1
	s_barrier_wait -1
	s_barrier_signal -1
	s_barrier_wait -1
	s_and_saveexec_b32 s9, s4
; %bb.781:                              ;   in Loop: Header=BB151_3 Depth=1
	v_pk_add_f32 v[46:47], v[46:47], 0 neg_lo:[1,1] neg_hi:[1,1]
	ds_store_b64 v69, v[46:47] offset:16768
; %bb.782:                              ;   in Loop: Header=BB151_3 Depth=1
	s_or_b32 exec_lo, exec_lo, s9
	s_wait_dscnt 0x0
	s_barrier_signal -1
	s_barrier_wait -1
	s_barrier_signal -1
	s_barrier_wait -1
	s_and_saveexec_b32 s9, s12
; %bb.783:                              ;   in Loop: Header=BB151_3 Depth=1
	v_add_nc_u32_e64 v0, 0x6000, 0
	ds_store_2addr_b64 v0, v[38:39], v[38:39] offset0:48 offset1:113
; %bb.784:                              ;   in Loop: Header=BB151_3 Depth=1
	s_or_b32 exec_lo, exec_lo, s9
	v_mov_b64_e32 v[46:47], 0
	s_wait_dscnt 0x0
	s_barrier_signal -1
	s_barrier_wait -1
	s_and_saveexec_b32 s9, s1
	s_cbranch_execz .LBB151_788
; %bb.785:                              ;   in Loop: Header=BB151_3 Depth=1
	ds_load_b64 v[46:47], v53 offset:24976
	ds_load_b64 v[48:49], v54 offset:24960
	s_wait_dscnt 0x0
	v_pk_mul_f32 v[50:51], v[48:49], v[46:47] op_sel:[1,1] op_sel_hi:[0,1]
	s_delay_alu instid0(VALU_DEP_1) | instskip(SKIP_1) | instid1(VALU_DEP_2)
	v_pk_fma_f32 v[86:87], v[48:49], v[46:47], v[50:51] op_sel_hi:[1,0,1]
	v_pk_fma_f32 v[46:47], v[48:49], v[46:47], v[50:51] neg_lo:[0,0,1] neg_hi:[0,0,1]
	v_mov_b32_e32 v47, v87
	s_delay_alu instid0(VALU_DEP_1)
	v_pk_add_f32 v[46:47], v[46:47], 0 op_sel_hi:[1,0]
	s_and_saveexec_b32 s14, s15
	s_cbranch_execz .LBB151_787
; %bb.786:                              ;   in Loop: Header=BB151_3 Depth=1
	ds_load_b64 v[48:49], v55 offset:25488
	ds_load_b64 v[50:51], v1 offset:24968
	s_wait_dscnt 0x0
	v_pk_mul_f32 v[86:87], v[50:51], v[48:49] op_sel:[1,1] op_sel_hi:[0,1]
	s_delay_alu instid0(VALU_DEP_1) | instskip(SKIP_1) | instid1(VALU_DEP_2)
	v_pk_fma_f32 v[88:89], v[50:51], v[48:49], v[86:87] op_sel_hi:[1,0,1]
	v_pk_fma_f32 v[48:49], v[50:51], v[48:49], v[86:87] neg_lo:[0,0,1] neg_hi:[0,0,1]
	v_mov_b32_e32 v49, v89
	s_delay_alu instid0(VALU_DEP_1)
	v_pk_add_f32 v[46:47], v[46:47], v[48:49]
.LBB151_787:                            ;   in Loop: Header=BB151_3 Depth=1
	s_or_b32 exec_lo, exec_lo, s14
	s_delay_alu instid0(VALU_DEP_1)
	v_pk_add_f32 v[46:47], v[46:47], 0 neg_lo:[1,1] neg_hi:[1,1]
.LBB151_788:                            ;   in Loop: Header=BB151_3 Depth=1
	s_or_b32 exec_lo, exec_lo, s9
	s_and_saveexec_b32 s9, s101
; %bb.789:                              ;   in Loop: Header=BB151_3 Depth=1
	ds_store_b64 v52, v[46:47]
; %bb.790:                              ;   in Loop: Header=BB151_3 Depth=1
	s_or_b32 exec_lo, exec_lo, s9
	s_wait_dscnt 0x0
	s_barrier_signal -1
	s_barrier_wait -1
	s_and_saveexec_b32 s9, s102
	s_cbranch_execz .LBB151_792
; %bb.791:                              ;   in Loop: Header=BB151_3 Depth=1
	ds_load_b64 v[48:49], v1 offset:26008
	ds_load_b64 v[50:51], v52
	s_wait_dscnt 0x0
	v_pk_mul_f32 v[86:87], v[50:51], v[48:49] op_sel:[1,1] op_sel_hi:[0,1]
	s_delay_alu instid0(VALU_DEP_1) | instskip(SKIP_1) | instid1(VALU_DEP_2)
	v_pk_fma_f32 v[88:89], v[50:51], v[48:49], v[86:87] op_sel_hi:[1,0,1]
	v_pk_fma_f32 v[48:49], v[50:51], v[48:49], v[86:87] neg_lo:[0,0,1] neg_hi:[0,0,1]
	v_mov_b32_e32 v49, v89
	s_delay_alu instid0(VALU_DEP_1)
	v_pk_add_f32 v[46:47], v[46:47], v[48:49]
.LBB151_792:                            ;   in Loop: Header=BB151_3 Depth=1
	s_or_b32 exec_lo, exec_lo, s9
	s_barrier_signal -1
	s_barrier_wait -1
	s_and_saveexec_b32 s9, s102
; %bb.793:                              ;   in Loop: Header=BB151_3 Depth=1
	ds_store_b64 v52, v[46:47]
; %bb.794:                              ;   in Loop: Header=BB151_3 Depth=1
	s_or_b32 exec_lo, exec_lo, s9
	s_wait_dscnt 0x0
	s_barrier_signal -1
	s_barrier_wait -1
	s_barrier_signal -1
	s_barrier_wait -1
	s_and_saveexec_b32 s9, s1
; %bb.795:                              ;   in Loop: Header=BB151_3 Depth=1
	v_pk_add_f32 v[46:47], v[46:47], 0 neg_lo:[1,1] neg_hi:[1,1]
	ds_store_b64 v53, v[46:47] offset:24976
; %bb.796:                              ;   in Loop: Header=BB151_3 Depth=1
	s_or_b32 exec_lo, exec_lo, s9
	s_wait_dscnt 0x0
	s_barrier_signal -1
	s_barrier_wait -1
	s_barrier_signal -1
	s_barrier_wait -1
	s_and_saveexec_b32 s9, s12
; %bb.797:                              ;   in Loop: Header=BB151_3 Depth=1
	v_add_nc_u32_e64 v0, 0x6000, 0
	ds_store_2addr_b64 v0, v[38:39], v[38:39] offset0:178 offset1:243
; %bb.798:                              ;   in Loop: Header=BB151_3 Depth=1
	s_or_b32 exec_lo, exec_lo, s9
	v_mov_b64_e32 v[46:47], 0
	s_wait_dscnt 0x0
	s_barrier_signal -1
	s_barrier_wait -1
	s_and_saveexec_b32 s9, s2
	s_cbranch_execz .LBB151_804
; %bb.799:                              ;   in Loop: Header=BB151_3 Depth=1
	ds_load_b64 v[46:47], v59 offset:24992
	ds_load_b64 v[48:49], v56 offset:24960
	s_wait_dscnt 0x0
	v_dual_mul_f32 v0, v49, v47 :: v_dual_mul_f32 v3, v48, v47
	s_delay_alu instid0(VALU_DEP_1) | instskip(NEXT) | instid1(VALU_DEP_1)
	v_dual_fma_f32 v0, v48, v46, -v0 :: v_dual_fmac_f32 v3, v49, v46
	v_dual_add_f32 v46, 0, v0 :: v_dual_add_f32 v47, 0, v3
	s_and_saveexec_b32 s14, s16
	s_cbranch_execnz .LBB151_1040
; %bb.800:                              ;   in Loop: Header=BB151_3 Depth=1
	s_or_b32 exec_lo, exec_lo, s14
	s_and_saveexec_b32 s14, s17
	s_cbranch_execnz .LBB151_1041
.LBB151_801:                            ;   in Loop: Header=BB151_3 Depth=1
	s_or_b32 exec_lo, exec_lo, s14
	s_and_saveexec_b32 s14, s1
	s_cbranch_execz .LBB151_803
.LBB151_802:                            ;   in Loop: Header=BB151_3 Depth=1
	ds_load_b64 v[48:49], v55 offset:26528
	ds_load_b64 v[50:51], v1 offset:24984
	s_wait_dscnt 0x0
	v_dual_mul_f32 v0, v51, v49 :: v_dual_mul_f32 v87, v50, v49
	s_delay_alu instid0(VALU_DEP_1) | instskip(NEXT) | instid1(VALU_DEP_1)
	v_dual_fma_f32 v86, v50, v48, -v0 :: v_dual_fmac_f32 v87, v51, v48
	v_pk_add_f32 v[46:47], v[46:47], v[86:87]
.LBB151_803:                            ;   in Loop: Header=BB151_3 Depth=1
	s_or_b32 exec_lo, exec_lo, s14
	s_delay_alu instid0(VALU_DEP_1)
	v_pk_add_f32 v[46:47], v[46:47], 0 neg_lo:[1,1] neg_hi:[1,1]
.LBB151_804:                            ;   in Loop: Header=BB151_3 Depth=1
	s_or_b32 exec_lo, exec_lo, s9
	s_and_saveexec_b32 s9, s103
; %bb.805:                              ;   in Loop: Header=BB151_3 Depth=1
	ds_store_b64 v57, v[46:47]
; %bb.806:                              ;   in Loop: Header=BB151_3 Depth=1
	s_or_b32 exec_lo, exec_lo, s9
	s_wait_dscnt 0x0
	s_barrier_signal -1
	s_barrier_wait -1
	s_and_saveexec_b32 s9, s104
	s_cbranch_execz .LBB151_808
; %bb.807:                              ;   in Loop: Header=BB151_3 Depth=1
	ds_load_b64 v[48:49], v58 offset:27040
	ds_load_b64 v[50:51], v57
	s_wait_dscnt 0x0
	v_pk_mul_f32 v[86:87], v[50:51], v[48:49] op_sel:[1,1] op_sel_hi:[0,1]
	s_delay_alu instid0(VALU_DEP_1) | instskip(SKIP_1) | instid1(VALU_DEP_2)
	v_pk_fma_f32 v[88:89], v[50:51], v[48:49], v[86:87] op_sel_hi:[1,0,1]
	v_pk_fma_f32 v[48:49], v[50:51], v[48:49], v[86:87] neg_lo:[0,0,1] neg_hi:[0,0,1]
	v_mov_b32_e32 v49, v89
	s_delay_alu instid0(VALU_DEP_1)
	v_pk_add_f32 v[46:47], v[46:47], v[48:49]
.LBB151_808:                            ;   in Loop: Header=BB151_3 Depth=1
	s_or_b32 exec_lo, exec_lo, s9
	s_barrier_signal -1
	s_barrier_wait -1
	s_and_saveexec_b32 s9, vcc_hi
; %bb.809:                              ;   in Loop: Header=BB151_3 Depth=1
	ds_store_b64 v57, v[46:47]
; %bb.810:                              ;   in Loop: Header=BB151_3 Depth=1
	s_or_b32 exec_lo, exec_lo, s9
	s_wait_dscnt 0x0
	s_barrier_signal -1
	s_barrier_wait -1
	s_and_saveexec_b32 s9, s43
	s_cbranch_execz .LBB151_812
; %bb.811:                              ;   in Loop: Header=BB151_3 Depth=1
	ds_load_b64 v[48:49], v58 offset:27552
	ds_load_b64 v[50:51], v57
	s_wait_dscnt 0x0
	v_pk_mul_f32 v[86:87], v[50:51], v[48:49] op_sel:[1,1] op_sel_hi:[0,1]
	s_delay_alu instid0(VALU_DEP_1) | instskip(SKIP_1) | instid1(VALU_DEP_2)
	v_pk_fma_f32 v[88:89], v[50:51], v[48:49], v[86:87] op_sel_hi:[1,0,1]
	v_pk_fma_f32 v[48:49], v[50:51], v[48:49], v[86:87] neg_lo:[0,0,1] neg_hi:[0,0,1]
	v_mov_b32_e32 v49, v89
	s_delay_alu instid0(VALU_DEP_1)
	v_pk_add_f32 v[46:47], v[46:47], v[48:49]
.LBB151_812:                            ;   in Loop: Header=BB151_3 Depth=1
	s_or_b32 exec_lo, exec_lo, s9
	s_barrier_signal -1
	s_barrier_wait -1
	s_and_saveexec_b32 s9, s44
; %bb.813:                              ;   in Loop: Header=BB151_3 Depth=1
	ds_store_b64 v57, v[46:47]
; %bb.814:                              ;   in Loop: Header=BB151_3 Depth=1
	s_or_b32 exec_lo, exec_lo, s9
	s_wait_dscnt 0x0
	s_barrier_signal -1
	s_barrier_wait -1
	s_and_saveexec_b32 s9, s45
	s_cbranch_execz .LBB151_816
; %bb.815:                              ;   in Loop: Header=BB151_3 Depth=1
	ds_load_b64 v[48:49], v1 offset:28088
	ds_load_b64 v[50:51], v57
	s_wait_dscnt 0x0
	v_pk_mul_f32 v[86:87], v[50:51], v[48:49] op_sel:[1,1] op_sel_hi:[0,1]
	s_delay_alu instid0(VALU_DEP_1) | instskip(SKIP_1) | instid1(VALU_DEP_2)
	v_pk_fma_f32 v[88:89], v[50:51], v[48:49], v[86:87] op_sel_hi:[1,0,1]
	v_pk_fma_f32 v[48:49], v[50:51], v[48:49], v[86:87] neg_lo:[0,0,1] neg_hi:[0,0,1]
	v_mov_b32_e32 v49, v89
	s_delay_alu instid0(VALU_DEP_1)
	v_pk_add_f32 v[46:47], v[46:47], v[48:49]
.LBB151_816:                            ;   in Loop: Header=BB151_3 Depth=1
	s_or_b32 exec_lo, exec_lo, s9
	s_barrier_signal -1
	s_barrier_wait -1
	s_and_saveexec_b32 s9, s45
; %bb.817:                              ;   in Loop: Header=BB151_3 Depth=1
	ds_store_b64 v57, v[46:47]
; %bb.818:                              ;   in Loop: Header=BB151_3 Depth=1
	s_or_b32 exec_lo, exec_lo, s9
	s_wait_dscnt 0x0
	s_barrier_signal -1
	s_barrier_wait -1
	s_barrier_signal -1
	s_barrier_wait -1
	s_and_saveexec_b32 s9, s2
; %bb.819:                              ;   in Loop: Header=BB151_3 Depth=1
	v_pk_add_f32 v[46:47], v[46:47], 0 neg_lo:[1,1] neg_hi:[1,1]
	ds_store_b64 v59, v[46:47] offset:24992
; %bb.820:                              ;   in Loop: Header=BB151_3 Depth=1
	s_or_b32 exec_lo, exec_lo, s9
	s_wait_dscnt 0x0
	s_barrier_signal -1
	s_barrier_wait -1
	s_barrier_signal -1
	s_barrier_wait -1
	s_and_saveexec_b32 s9, s12
; %bb.821:                              ;   in Loop: Header=BB151_3 Depth=1
	v_add_nc_u32_e64 v0, 0x6800, 0
	ds_store_2addr_b64 v0, v[38:39], v[38:39] offset0:52 offset1:117
; %bb.822:                              ;   in Loop: Header=BB151_3 Depth=1
	s_or_b32 exec_lo, exec_lo, s9
	v_mov_b64_e32 v[46:47], 0
	s_wait_dscnt 0x0
	s_barrier_signal -1
	s_barrier_wait -1
	s_and_saveexec_b32 s9, s1
	s_cbranch_execz .LBB151_826
; %bb.823:                              ;   in Loop: Header=BB151_3 Depth=1
	ds_load_b64 v[46:47], v53 offset:27056
	ds_load_b64 v[48:49], v54 offset:27040
	s_wait_dscnt 0x0
	v_pk_mul_f32 v[50:51], v[48:49], v[46:47] op_sel:[1,1] op_sel_hi:[0,1]
	s_delay_alu instid0(VALU_DEP_1) | instskip(SKIP_1) | instid1(VALU_DEP_2)
	v_pk_fma_f32 v[86:87], v[48:49], v[46:47], v[50:51] op_sel_hi:[1,0,1]
	v_pk_fma_f32 v[46:47], v[48:49], v[46:47], v[50:51] neg_lo:[0,0,1] neg_hi:[0,0,1]
	v_mov_b32_e32 v47, v87
	s_delay_alu instid0(VALU_DEP_1)
	v_pk_add_f32 v[46:47], v[46:47], 0 op_sel_hi:[1,0]
	s_and_saveexec_b32 s14, s15
	s_cbranch_execz .LBB151_825
; %bb.824:                              ;   in Loop: Header=BB151_3 Depth=1
	ds_load_b64 v[48:49], v55 offset:27568
	ds_load_b64 v[50:51], v1 offset:27048
	s_wait_dscnt 0x0
	v_pk_mul_f32 v[86:87], v[50:51], v[48:49] op_sel:[1,1] op_sel_hi:[0,1]
	s_delay_alu instid0(VALU_DEP_1) | instskip(SKIP_1) | instid1(VALU_DEP_2)
	v_pk_fma_f32 v[88:89], v[50:51], v[48:49], v[86:87] op_sel_hi:[1,0,1]
	v_pk_fma_f32 v[48:49], v[50:51], v[48:49], v[86:87] neg_lo:[0,0,1] neg_hi:[0,0,1]
	v_mov_b32_e32 v49, v89
	s_delay_alu instid0(VALU_DEP_1)
	v_pk_add_f32 v[46:47], v[46:47], v[48:49]
.LBB151_825:                            ;   in Loop: Header=BB151_3 Depth=1
	s_or_b32 exec_lo, exec_lo, s14
	s_delay_alu instid0(VALU_DEP_1)
	v_pk_add_f32 v[46:47], v[46:47], 0 neg_lo:[1,1] neg_hi:[1,1]
.LBB151_826:                            ;   in Loop: Header=BB151_3 Depth=1
	s_or_b32 exec_lo, exec_lo, s9
	s_and_saveexec_b32 s9, s101
; %bb.827:                              ;   in Loop: Header=BB151_3 Depth=1
	ds_store_b64 v52, v[46:47]
; %bb.828:                              ;   in Loop: Header=BB151_3 Depth=1
	s_or_b32 exec_lo, exec_lo, s9
	s_wait_dscnt 0x0
	s_barrier_signal -1
	s_barrier_wait -1
	s_and_saveexec_b32 s9, s102
	s_cbranch_execz .LBB151_830
; %bb.829:                              ;   in Loop: Header=BB151_3 Depth=1
	ds_load_b64 v[48:49], v1 offset:28088
	ds_load_b64 v[50:51], v52
	s_wait_dscnt 0x0
	v_pk_mul_f32 v[86:87], v[50:51], v[48:49] op_sel:[1,1] op_sel_hi:[0,1]
	s_delay_alu instid0(VALU_DEP_1) | instskip(SKIP_1) | instid1(VALU_DEP_2)
	v_pk_fma_f32 v[88:89], v[50:51], v[48:49], v[86:87] op_sel_hi:[1,0,1]
	v_pk_fma_f32 v[48:49], v[50:51], v[48:49], v[86:87] neg_lo:[0,0,1] neg_hi:[0,0,1]
	v_mov_b32_e32 v49, v89
	s_delay_alu instid0(VALU_DEP_1)
	v_pk_add_f32 v[46:47], v[46:47], v[48:49]
.LBB151_830:                            ;   in Loop: Header=BB151_3 Depth=1
	s_or_b32 exec_lo, exec_lo, s9
	s_barrier_signal -1
	s_barrier_wait -1
	s_and_saveexec_b32 s9, s102
; %bb.831:                              ;   in Loop: Header=BB151_3 Depth=1
	ds_store_b64 v52, v[46:47]
; %bb.832:                              ;   in Loop: Header=BB151_3 Depth=1
	s_or_b32 exec_lo, exec_lo, s9
	s_wait_dscnt 0x0
	s_barrier_signal -1
	s_barrier_wait -1
	s_barrier_signal -1
	s_barrier_wait -1
	s_and_saveexec_b32 s9, s1
; %bb.833:                              ;   in Loop: Header=BB151_3 Depth=1
	v_pk_add_f32 v[46:47], v[46:47], 0 neg_lo:[1,1] neg_hi:[1,1]
	ds_store_b64 v53, v[46:47] offset:27056
; %bb.834:                              ;   in Loop: Header=BB151_3 Depth=1
	s_or_b32 exec_lo, exec_lo, s9
	s_wait_dscnt 0x0
	s_barrier_signal -1
	s_barrier_wait -1
	s_barrier_signal -1
	s_barrier_wait -1
	s_and_saveexec_b32 s9, s12
; %bb.835:                              ;   in Loop: Header=BB151_3 Depth=1
	v_add_nc_u32_e64 v0, 0x6800, 0
	ds_store_2addr_b64 v0, v[38:39], v[38:39] offset0:182 offset1:247
; %bb.836:                              ;   in Loop: Header=BB151_3 Depth=1
	s_or_b32 exec_lo, exec_lo, s9
	v_mov_b64_e32 v[46:47], 0
	s_wait_dscnt 0x0
	s_barrier_signal -1
	s_barrier_wait -1
	s_and_saveexec_b32 s9, s3
	s_cbranch_execz .LBB151_846
; %bb.837:                              ;   in Loop: Header=BB151_3 Depth=1
	ds_load_b64 v[46:47], v64 offset:25024
	ds_load_b64 v[48:49], v61 offset:24960
	s_wait_dscnt 0x0
	v_dual_mul_f32 v0, v49, v47 :: v_dual_mul_f32 v3, v48, v47
	s_delay_alu instid0(VALU_DEP_1) | instskip(NEXT) | instid1(VALU_DEP_1)
	v_dual_fma_f32 v0, v48, v46, -v0 :: v_dual_fmac_f32 v3, v49, v46
	v_dual_add_f32 v46, 0, v0 :: v_dual_add_f32 v47, 0, v3
	s_and_saveexec_b32 s14, s18
	s_cbranch_execnz .LBB151_1042
; %bb.838:                              ;   in Loop: Header=BB151_3 Depth=1
	s_or_b32 exec_lo, exec_lo, s14
	s_and_saveexec_b32 s14, s19
	s_cbranch_execnz .LBB151_1043
.LBB151_839:                            ;   in Loop: Header=BB151_3 Depth=1
	s_or_b32 exec_lo, exec_lo, s14
	s_and_saveexec_b32 s14, s20
	s_cbranch_execnz .LBB151_1044
.LBB151_840:                            ;   in Loop: Header=BB151_3 Depth=1
	s_or_b32 exec_lo, exec_lo, s14
	s_and_saveexec_b32 s14, s21
	s_cbranch_execnz .LBB151_1045
.LBB151_841:                            ;   in Loop: Header=BB151_3 Depth=1
	s_or_b32 exec_lo, exec_lo, s14
	s_and_saveexec_b32 s14, s22
	s_cbranch_execnz .LBB151_1046
.LBB151_842:                            ;   in Loop: Header=BB151_3 Depth=1
	s_or_b32 exec_lo, exec_lo, s14
	s_and_saveexec_b32 s14, s2
	s_cbranch_execnz .LBB151_1047
.LBB151_843:                            ;   in Loop: Header=BB151_3 Depth=1
	s_or_b32 exec_lo, exec_lo, s14
	s_and_saveexec_b32 s14, s17
	s_cbranch_execz .LBB151_845
.LBB151_844:                            ;   in Loop: Header=BB151_3 Depth=1
	ds_load_b64 v[48:49], v55 offset:28608
	ds_load_b64 v[50:51], v1 offset:25016
	s_wait_dscnt 0x0
	v_pk_mul_f32 v[86:87], v[50:51], v[48:49] op_sel:[1,1] op_sel_hi:[0,1]
	s_delay_alu instid0(VALU_DEP_1) | instskip(SKIP_1) | instid1(VALU_DEP_2)
	v_pk_fma_f32 v[88:89], v[50:51], v[48:49], v[86:87] op_sel_hi:[1,0,1]
	v_pk_fma_f32 v[48:49], v[50:51], v[48:49], v[86:87] neg_lo:[0,0,1] neg_hi:[0,0,1]
	v_mov_b32_e32 v49, v89
	s_delay_alu instid0(VALU_DEP_1)
	v_pk_add_f32 v[46:47], v[46:47], v[48:49]
.LBB151_845:                            ;   in Loop: Header=BB151_3 Depth=1
	s_or_b32 exec_lo, exec_lo, s14
	s_delay_alu instid0(VALU_DEP_1)
	v_pk_add_f32 v[46:47], v[46:47], 0 neg_lo:[1,1] neg_hi:[1,1]
.LBB151_846:                            ;   in Loop: Header=BB151_3 Depth=1
	s_or_b32 exec_lo, exec_lo, s9
	s_and_saveexec_b32 s9, s46
; %bb.847:                              ;   in Loop: Header=BB151_3 Depth=1
	ds_store_b64 v63, v[46:47]
; %bb.848:                              ;   in Loop: Header=BB151_3 Depth=1
	s_or_b32 exec_lo, exec_lo, s9
	s_wait_dscnt 0x0
	s_barrier_signal -1
	s_barrier_wait -1
	s_and_saveexec_b32 s9, s47
	s_cbranch_execz .LBB151_850
; %bb.849:                              ;   in Loop: Header=BB151_3 Depth=1
	ds_load_b64 v[48:49], v62 offset:29120
	ds_load_b64 v[50:51], v63
	s_wait_dscnt 0x0
	v_pk_mul_f32 v[86:87], v[50:51], v[48:49] op_sel:[1,1] op_sel_hi:[0,1]
	s_delay_alu instid0(VALU_DEP_1) | instskip(SKIP_1) | instid1(VALU_DEP_2)
	v_pk_fma_f32 v[88:89], v[50:51], v[48:49], v[86:87] op_sel_hi:[1,0,1]
	v_pk_fma_f32 v[48:49], v[50:51], v[48:49], v[86:87] neg_lo:[0,0,1] neg_hi:[0,0,1]
	v_mov_b32_e32 v49, v89
	s_delay_alu instid0(VALU_DEP_1)
	v_pk_add_f32 v[46:47], v[46:47], v[48:49]
.LBB151_850:                            ;   in Loop: Header=BB151_3 Depth=1
	s_or_b32 exec_lo, exec_lo, s9
	s_barrier_signal -1
	s_barrier_wait -1
	s_and_saveexec_b32 s9, s48
; %bb.851:                              ;   in Loop: Header=BB151_3 Depth=1
	ds_store_b64 v63, v[46:47]
; %bb.852:                              ;   in Loop: Header=BB151_3 Depth=1
	s_or_b32 exec_lo, exec_lo, s9
	s_wait_dscnt 0x0
	s_barrier_signal -1
	s_barrier_wait -1
	s_and_saveexec_b32 s9, s49
	s_cbranch_execz .LBB151_854
; %bb.853:                              ;   in Loop: Header=BB151_3 Depth=1
	ds_load_b64 v[48:49], v62 offset:29632
	ds_load_b64 v[50:51], v63
	s_wait_dscnt 0x0
	v_dual_mul_f32 v0, v51, v49 :: v_dual_mul_f32 v3, v50, v49
	s_delay_alu instid0(VALU_DEP_1) | instskip(NEXT) | instid1(VALU_DEP_1)
	v_dual_fma_f32 v0, v50, v48, -v0 :: v_dual_fmac_f32 v3, v51, v48
	v_dual_add_f32 v46, v46, v0 :: v_dual_add_f32 v47, v47, v3
.LBB151_854:                            ;   in Loop: Header=BB151_3 Depth=1
	s_or_b32 exec_lo, exec_lo, s9
	s_barrier_signal -1
	s_barrier_wait -1
	s_and_saveexec_b32 s9, s50
; %bb.855:                              ;   in Loop: Header=BB151_3 Depth=1
	ds_store_b64 v63, v[46:47]
; %bb.856:                              ;   in Loop: Header=BB151_3 Depth=1
	s_or_b32 exec_lo, exec_lo, s9
	s_wait_dscnt 0x0
	s_barrier_signal -1
	s_barrier_wait -1
	s_and_saveexec_b32 s9, s51
	s_cbranch_execz .LBB151_858
; %bb.857:                              ;   in Loop: Header=BB151_3 Depth=1
	ds_load_b64 v[48:49], v62 offset:30144
	ds_load_b64 v[50:51], v63
	s_wait_dscnt 0x0
	v_dual_mul_f32 v0, v51, v49 :: v_dual_mul_f32 v87, v50, v49
	s_delay_alu instid0(VALU_DEP_1) | instskip(NEXT) | instid1(VALU_DEP_1)
	v_dual_fma_f32 v86, v50, v48, -v0 :: v_dual_fmac_f32 v87, v51, v48
	v_pk_add_f32 v[46:47], v[46:47], v[86:87]
.LBB151_858:                            ;   in Loop: Header=BB151_3 Depth=1
	s_or_b32 exec_lo, exec_lo, s9
	s_barrier_signal -1
	s_barrier_wait -1
	s_and_saveexec_b32 s9, s52
; %bb.859:                              ;   in Loop: Header=BB151_3 Depth=1
	ds_store_b64 v63, v[46:47]
; %bb.860:                              ;   in Loop: Header=BB151_3 Depth=1
	s_or_b32 exec_lo, exec_lo, s9
	s_wait_dscnt 0x0
	s_barrier_signal -1
	s_barrier_wait -1
	s_and_saveexec_b32 s9, s53
	s_cbranch_execz .LBB151_862
; %bb.861:                              ;   in Loop: Header=BB151_3 Depth=1
	ds_load_b64 v[48:49], v62 offset:30656
	ds_load_b64 v[50:51], v63
	s_wait_dscnt 0x0
	v_pk_mul_f32 v[86:87], v[50:51], v[48:49] op_sel:[1,1] op_sel_hi:[0,1]
	s_delay_alu instid0(VALU_DEP_1) | instskip(SKIP_1) | instid1(VALU_DEP_2)
	v_pk_fma_f32 v[88:89], v[50:51], v[48:49], v[86:87] op_sel_hi:[1,0,1]
	v_pk_fma_f32 v[48:49], v[50:51], v[48:49], v[86:87] neg_lo:[0,0,1] neg_hi:[0,0,1]
	v_mov_b32_e32 v49, v89
	s_delay_alu instid0(VALU_DEP_1)
	v_pk_add_f32 v[46:47], v[46:47], v[48:49]
.LBB151_862:                            ;   in Loop: Header=BB151_3 Depth=1
	s_or_b32 exec_lo, exec_lo, s9
	s_barrier_signal -1
	s_barrier_wait -1
	s_and_saveexec_b32 s9, s54
; %bb.863:                              ;   in Loop: Header=BB151_3 Depth=1
	ds_store_b64 v63, v[46:47]
; %bb.864:                              ;   in Loop: Header=BB151_3 Depth=1
	s_or_b32 exec_lo, exec_lo, s9
	s_wait_dscnt 0x0
	s_barrier_signal -1
	s_barrier_wait -1
	s_and_saveexec_b32 s9, s55
	s_cbranch_execz .LBB151_866
; %bb.865:                              ;   in Loop: Header=BB151_3 Depth=1
	ds_load_b64 v[48:49], v62 offset:31168
	ds_load_b64 v[50:51], v63
	s_wait_dscnt 0x0
	v_pk_mul_f32 v[86:87], v[50:51], v[48:49] op_sel:[1,1] op_sel_hi:[0,1]
	s_delay_alu instid0(VALU_DEP_1) | instskip(SKIP_1) | instid1(VALU_DEP_2)
	v_pk_fma_f32 v[88:89], v[50:51], v[48:49], v[86:87] op_sel_hi:[1,0,1]
	v_pk_fma_f32 v[48:49], v[50:51], v[48:49], v[86:87] neg_lo:[0,0,1] neg_hi:[0,0,1]
	v_mov_b32_e32 v49, v89
	s_delay_alu instid0(VALU_DEP_1)
	v_pk_add_f32 v[46:47], v[46:47], v[48:49]
.LBB151_866:                            ;   in Loop: Header=BB151_3 Depth=1
	;; [unrolled: 25-line block ×4, first 2 shown]
	s_or_b32 exec_lo, exec_lo, s9
	s_barrier_signal -1
	s_barrier_wait -1
	s_and_saveexec_b32 s9, s59
; %bb.875:                              ;   in Loop: Header=BB151_3 Depth=1
	ds_store_b64 v63, v[46:47]
; %bb.876:                              ;   in Loop: Header=BB151_3 Depth=1
	s_or_b32 exec_lo, exec_lo, s9
	s_wait_dscnt 0x0
	s_barrier_signal -1
	s_barrier_wait -1
	s_barrier_signal -1
	s_barrier_wait -1
	s_and_saveexec_b32 s9, s3
; %bb.877:                              ;   in Loop: Header=BB151_3 Depth=1
	v_pk_add_f32 v[46:47], v[46:47], 0 neg_lo:[1,1] neg_hi:[1,1]
	ds_store_b64 v64, v[46:47] offset:25024
; %bb.878:                              ;   in Loop: Header=BB151_3 Depth=1
	s_or_b32 exec_lo, exec_lo, s9
	s_wait_dscnt 0x0
	s_barrier_signal -1
	s_barrier_wait -1
	s_barrier_signal -1
	s_barrier_wait -1
	s_and_saveexec_b32 s9, s12
; %bb.879:                              ;   in Loop: Header=BB151_3 Depth=1
	v_add_nc_u32_e64 v0, 0x7000, 0
	ds_store_2addr_b64 v0, v[38:39], v[38:39] offset0:56 offset1:121
; %bb.880:                              ;   in Loop: Header=BB151_3 Depth=1
	s_or_b32 exec_lo, exec_lo, s9
	v_mov_b64_e32 v[46:47], 0
	s_wait_dscnt 0x0
	s_barrier_signal -1
	s_barrier_wait -1
	s_and_saveexec_b32 s9, s1
	s_cbranch_execz .LBB151_884
; %bb.881:                              ;   in Loop: Header=BB151_3 Depth=1
	ds_load_b64 v[46:47], v53 offset:29136
	ds_load_b64 v[48:49], v54 offset:29120
	s_wait_dscnt 0x0
	v_pk_mul_f32 v[50:51], v[48:49], v[46:47] op_sel:[1,1] op_sel_hi:[0,1]
	s_delay_alu instid0(VALU_DEP_1) | instskip(SKIP_1) | instid1(VALU_DEP_2)
	v_pk_fma_f32 v[86:87], v[48:49], v[46:47], v[50:51] op_sel_hi:[1,0,1]
	v_pk_fma_f32 v[46:47], v[48:49], v[46:47], v[50:51] neg_lo:[0,0,1] neg_hi:[0,0,1]
	v_mov_b32_e32 v47, v87
	s_delay_alu instid0(VALU_DEP_1)
	v_pk_add_f32 v[46:47], v[46:47], 0 op_sel_hi:[1,0]
	s_and_saveexec_b32 s14, s15
	s_cbranch_execz .LBB151_883
; %bb.882:                              ;   in Loop: Header=BB151_3 Depth=1
	ds_load_b64 v[48:49], v55 offset:29648
	ds_load_b64 v[50:51], v1 offset:29128
	s_wait_dscnt 0x0
	v_pk_mul_f32 v[86:87], v[50:51], v[48:49] op_sel:[1,1] op_sel_hi:[0,1]
	s_delay_alu instid0(VALU_DEP_1) | instskip(SKIP_1) | instid1(VALU_DEP_2)
	v_pk_fma_f32 v[88:89], v[50:51], v[48:49], v[86:87] op_sel_hi:[1,0,1]
	v_pk_fma_f32 v[48:49], v[50:51], v[48:49], v[86:87] neg_lo:[0,0,1] neg_hi:[0,0,1]
	v_mov_b32_e32 v49, v89
	s_delay_alu instid0(VALU_DEP_1)
	v_pk_add_f32 v[46:47], v[46:47], v[48:49]
.LBB151_883:                            ;   in Loop: Header=BB151_3 Depth=1
	s_or_b32 exec_lo, exec_lo, s14
	s_delay_alu instid0(VALU_DEP_1)
	v_pk_add_f32 v[46:47], v[46:47], 0 neg_lo:[1,1] neg_hi:[1,1]
.LBB151_884:                            ;   in Loop: Header=BB151_3 Depth=1
	s_or_b32 exec_lo, exec_lo, s9
	s_and_saveexec_b32 s9, s101
; %bb.885:                              ;   in Loop: Header=BB151_3 Depth=1
	ds_store_b64 v52, v[46:47]
; %bb.886:                              ;   in Loop: Header=BB151_3 Depth=1
	s_or_b32 exec_lo, exec_lo, s9
	s_wait_dscnt 0x0
	s_barrier_signal -1
	s_barrier_wait -1
	s_and_saveexec_b32 s9, s102
	s_cbranch_execz .LBB151_888
; %bb.887:                              ;   in Loop: Header=BB151_3 Depth=1
	ds_load_b64 v[48:49], v1 offset:30168
	ds_load_b64 v[50:51], v52
	s_wait_dscnt 0x0
	v_pk_mul_f32 v[86:87], v[50:51], v[48:49] op_sel:[1,1] op_sel_hi:[0,1]
	s_delay_alu instid0(VALU_DEP_1) | instskip(SKIP_1) | instid1(VALU_DEP_2)
	v_pk_fma_f32 v[88:89], v[50:51], v[48:49], v[86:87] op_sel_hi:[1,0,1]
	v_pk_fma_f32 v[48:49], v[50:51], v[48:49], v[86:87] neg_lo:[0,0,1] neg_hi:[0,0,1]
	v_mov_b32_e32 v49, v89
	s_delay_alu instid0(VALU_DEP_1)
	v_pk_add_f32 v[46:47], v[46:47], v[48:49]
.LBB151_888:                            ;   in Loop: Header=BB151_3 Depth=1
	s_or_b32 exec_lo, exec_lo, s9
	s_barrier_signal -1
	s_barrier_wait -1
	s_and_saveexec_b32 s9, s102
; %bb.889:                              ;   in Loop: Header=BB151_3 Depth=1
	ds_store_b64 v52, v[46:47]
; %bb.890:                              ;   in Loop: Header=BB151_3 Depth=1
	s_or_b32 exec_lo, exec_lo, s9
	s_wait_dscnt 0x0
	s_barrier_signal -1
	s_barrier_wait -1
	s_barrier_signal -1
	s_barrier_wait -1
	s_and_saveexec_b32 s9, s1
; %bb.891:                              ;   in Loop: Header=BB151_3 Depth=1
	v_pk_add_f32 v[46:47], v[46:47], 0 neg_lo:[1,1] neg_hi:[1,1]
	ds_store_b64 v53, v[46:47] offset:29136
; %bb.892:                              ;   in Loop: Header=BB151_3 Depth=1
	s_or_b32 exec_lo, exec_lo, s9
	s_wait_dscnt 0x0
	s_barrier_signal -1
	s_barrier_wait -1
	s_barrier_signal -1
	s_barrier_wait -1
	s_and_saveexec_b32 s9, s12
; %bb.893:                              ;   in Loop: Header=BB151_3 Depth=1
	v_add_nc_u32_e64 v0, 0x7000, 0
	ds_store_2addr_b64 v0, v[38:39], v[38:39] offset0:186 offset1:251
; %bb.894:                              ;   in Loop: Header=BB151_3 Depth=1
	s_or_b32 exec_lo, exec_lo, s9
	v_mov_b64_e32 v[46:47], 0
	s_wait_dscnt 0x0
	s_barrier_signal -1
	s_barrier_wait -1
	s_and_saveexec_b32 s9, s2
	s_cbranch_execz .LBB151_900
; %bb.895:                              ;   in Loop: Header=BB151_3 Depth=1
	ds_load_b64 v[46:47], v59 offset:29152
	ds_load_b64 v[48:49], v56 offset:29120
	s_wait_dscnt 0x0
	v_dual_mul_f32 v0, v49, v47 :: v_dual_mul_f32 v3, v48, v47
	s_delay_alu instid0(VALU_DEP_1) | instskip(NEXT) | instid1(VALU_DEP_1)
	v_dual_fma_f32 v0, v48, v46, -v0 :: v_dual_fmac_f32 v3, v49, v46
	v_dual_add_f32 v46, 0, v0 :: v_dual_add_f32 v47, 0, v3
	s_and_saveexec_b32 s14, s16
	s_cbranch_execnz .LBB151_1048
; %bb.896:                              ;   in Loop: Header=BB151_3 Depth=1
	s_or_b32 exec_lo, exec_lo, s14
	s_and_saveexec_b32 s14, s17
	s_cbranch_execnz .LBB151_1049
.LBB151_897:                            ;   in Loop: Header=BB151_3 Depth=1
	s_or_b32 exec_lo, exec_lo, s14
	s_and_saveexec_b32 s14, s1
	s_cbranch_execz .LBB151_899
.LBB151_898:                            ;   in Loop: Header=BB151_3 Depth=1
	ds_load_b64 v[48:49], v55 offset:30688
	ds_load_b64 v[50:51], v1 offset:29144
	s_wait_dscnt 0x0
	v_dual_mul_f32 v0, v51, v49 :: v_dual_mul_f32 v87, v50, v49
	s_delay_alu instid0(VALU_DEP_1) | instskip(NEXT) | instid1(VALU_DEP_1)
	v_dual_fma_f32 v86, v50, v48, -v0 :: v_dual_fmac_f32 v87, v51, v48
	v_pk_add_f32 v[46:47], v[46:47], v[86:87]
.LBB151_899:                            ;   in Loop: Header=BB151_3 Depth=1
	s_or_b32 exec_lo, exec_lo, s14
	s_delay_alu instid0(VALU_DEP_1)
	v_pk_add_f32 v[46:47], v[46:47], 0 neg_lo:[1,1] neg_hi:[1,1]
.LBB151_900:                            ;   in Loop: Header=BB151_3 Depth=1
	s_or_b32 exec_lo, exec_lo, s9
	s_and_saveexec_b32 s9, s103
; %bb.901:                              ;   in Loop: Header=BB151_3 Depth=1
	ds_store_b64 v57, v[46:47]
; %bb.902:                              ;   in Loop: Header=BB151_3 Depth=1
	s_or_b32 exec_lo, exec_lo, s9
	s_wait_dscnt 0x0
	s_barrier_signal -1
	s_barrier_wait -1
	s_and_saveexec_b32 s9, s104
	s_cbranch_execz .LBB151_904
; %bb.903:                              ;   in Loop: Header=BB151_3 Depth=1
	ds_load_b64 v[48:49], v58 offset:31200
	ds_load_b64 v[50:51], v57
	s_wait_dscnt 0x0
	v_pk_mul_f32 v[86:87], v[50:51], v[48:49] op_sel:[1,1] op_sel_hi:[0,1]
	s_delay_alu instid0(VALU_DEP_1) | instskip(SKIP_1) | instid1(VALU_DEP_2)
	v_pk_fma_f32 v[88:89], v[50:51], v[48:49], v[86:87] op_sel_hi:[1,0,1]
	v_pk_fma_f32 v[48:49], v[50:51], v[48:49], v[86:87] neg_lo:[0,0,1] neg_hi:[0,0,1]
	v_mov_b32_e32 v49, v89
	s_delay_alu instid0(VALU_DEP_1)
	v_pk_add_f32 v[46:47], v[46:47], v[48:49]
.LBB151_904:                            ;   in Loop: Header=BB151_3 Depth=1
	s_or_b32 exec_lo, exec_lo, s9
	s_barrier_signal -1
	s_barrier_wait -1
	s_and_saveexec_b32 s9, vcc_hi
; %bb.905:                              ;   in Loop: Header=BB151_3 Depth=1
	ds_store_b64 v57, v[46:47]
; %bb.906:                              ;   in Loop: Header=BB151_3 Depth=1
	s_or_b32 exec_lo, exec_lo, s9
	s_wait_dscnt 0x0
	s_barrier_signal -1
	s_barrier_wait -1
	s_and_saveexec_b32 s9, s43
	s_cbranch_execz .LBB151_908
; %bb.907:                              ;   in Loop: Header=BB151_3 Depth=1
	ds_load_b64 v[48:49], v58 offset:31712
	ds_load_b64 v[50:51], v57
	s_wait_dscnt 0x0
	v_pk_mul_f32 v[86:87], v[50:51], v[48:49] op_sel:[1,1] op_sel_hi:[0,1]
	s_delay_alu instid0(VALU_DEP_1) | instskip(SKIP_1) | instid1(VALU_DEP_2)
	v_pk_fma_f32 v[88:89], v[50:51], v[48:49], v[86:87] op_sel_hi:[1,0,1]
	v_pk_fma_f32 v[48:49], v[50:51], v[48:49], v[86:87] neg_lo:[0,0,1] neg_hi:[0,0,1]
	v_mov_b32_e32 v49, v89
	s_delay_alu instid0(VALU_DEP_1)
	v_pk_add_f32 v[46:47], v[46:47], v[48:49]
.LBB151_908:                            ;   in Loop: Header=BB151_3 Depth=1
	s_or_b32 exec_lo, exec_lo, s9
	s_barrier_signal -1
	s_barrier_wait -1
	s_and_saveexec_b32 s9, s44
; %bb.909:                              ;   in Loop: Header=BB151_3 Depth=1
	ds_store_b64 v57, v[46:47]
; %bb.910:                              ;   in Loop: Header=BB151_3 Depth=1
	s_or_b32 exec_lo, exec_lo, s9
	s_wait_dscnt 0x0
	s_barrier_signal -1
	s_barrier_wait -1
	s_and_saveexec_b32 s9, s45
	s_cbranch_execz .LBB151_912
; %bb.911:                              ;   in Loop: Header=BB151_3 Depth=1
	ds_load_b64 v[48:49], v1 offset:32248
	ds_load_b64 v[50:51], v57
	s_wait_dscnt 0x0
	v_pk_mul_f32 v[86:87], v[50:51], v[48:49] op_sel:[1,1] op_sel_hi:[0,1]
	s_delay_alu instid0(VALU_DEP_1) | instskip(SKIP_1) | instid1(VALU_DEP_2)
	v_pk_fma_f32 v[88:89], v[50:51], v[48:49], v[86:87] op_sel_hi:[1,0,1]
	v_pk_fma_f32 v[48:49], v[50:51], v[48:49], v[86:87] neg_lo:[0,0,1] neg_hi:[0,0,1]
	v_mov_b32_e32 v49, v89
	s_delay_alu instid0(VALU_DEP_1)
	v_pk_add_f32 v[46:47], v[46:47], v[48:49]
.LBB151_912:                            ;   in Loop: Header=BB151_3 Depth=1
	s_or_b32 exec_lo, exec_lo, s9
	s_barrier_signal -1
	s_barrier_wait -1
	s_and_saveexec_b32 s9, s45
; %bb.913:                              ;   in Loop: Header=BB151_3 Depth=1
	ds_store_b64 v57, v[46:47]
; %bb.914:                              ;   in Loop: Header=BB151_3 Depth=1
	s_or_b32 exec_lo, exec_lo, s9
	s_wait_dscnt 0x0
	s_barrier_signal -1
	s_barrier_wait -1
	s_barrier_signal -1
	s_barrier_wait -1
	s_and_saveexec_b32 s9, s2
; %bb.915:                              ;   in Loop: Header=BB151_3 Depth=1
	v_pk_add_f32 v[46:47], v[46:47], 0 neg_lo:[1,1] neg_hi:[1,1]
	ds_store_b64 v59, v[46:47] offset:29152
; %bb.916:                              ;   in Loop: Header=BB151_3 Depth=1
	s_or_b32 exec_lo, exec_lo, s9
	s_wait_dscnt 0x0
	s_barrier_signal -1
	s_barrier_wait -1
	s_barrier_signal -1
	s_barrier_wait -1
	s_and_saveexec_b32 s9, s12
; %bb.917:                              ;   in Loop: Header=BB151_3 Depth=1
	v_add_nc_u32_e64 v0, 0x7800, 0
	ds_store_2addr_b64 v0, v[38:39], v[38:39] offset0:60 offset1:125
; %bb.918:                              ;   in Loop: Header=BB151_3 Depth=1
	s_or_b32 exec_lo, exec_lo, s9
	v_mov_b64_e32 v[46:47], 0
	s_wait_dscnt 0x0
	s_barrier_signal -1
	s_barrier_wait -1
	s_and_saveexec_b32 s9, s1
	s_cbranch_execz .LBB151_922
; %bb.919:                              ;   in Loop: Header=BB151_3 Depth=1
	ds_load_b64 v[46:47], v53 offset:31216
	ds_load_b64 v[48:49], v54 offset:31200
	s_wait_dscnt 0x0
	v_pk_mul_f32 v[50:51], v[48:49], v[46:47] op_sel:[1,1] op_sel_hi:[0,1]
	s_delay_alu instid0(VALU_DEP_1) | instskip(SKIP_1) | instid1(VALU_DEP_2)
	v_pk_fma_f32 v[86:87], v[48:49], v[46:47], v[50:51] op_sel_hi:[1,0,1]
	v_pk_fma_f32 v[46:47], v[48:49], v[46:47], v[50:51] neg_lo:[0,0,1] neg_hi:[0,0,1]
	v_mov_b32_e32 v47, v87
	s_delay_alu instid0(VALU_DEP_1)
	v_pk_add_f32 v[46:47], v[46:47], 0 op_sel_hi:[1,0]
	s_and_saveexec_b32 s14, s15
	s_cbranch_execz .LBB151_921
; %bb.920:                              ;   in Loop: Header=BB151_3 Depth=1
	ds_load_b64 v[48:49], v55 offset:31728
	ds_load_b64 v[50:51], v1 offset:31208
	s_wait_dscnt 0x0
	v_pk_mul_f32 v[86:87], v[50:51], v[48:49] op_sel:[1,1] op_sel_hi:[0,1]
	s_delay_alu instid0(VALU_DEP_1) | instskip(SKIP_1) | instid1(VALU_DEP_2)
	v_pk_fma_f32 v[88:89], v[50:51], v[48:49], v[86:87] op_sel_hi:[1,0,1]
	v_pk_fma_f32 v[48:49], v[50:51], v[48:49], v[86:87] neg_lo:[0,0,1] neg_hi:[0,0,1]
	v_mov_b32_e32 v49, v89
	s_delay_alu instid0(VALU_DEP_1)
	v_pk_add_f32 v[46:47], v[46:47], v[48:49]
.LBB151_921:                            ;   in Loop: Header=BB151_3 Depth=1
	s_or_b32 exec_lo, exec_lo, s14
	s_delay_alu instid0(VALU_DEP_1)
	v_pk_add_f32 v[46:47], v[46:47], 0 neg_lo:[1,1] neg_hi:[1,1]
.LBB151_922:                            ;   in Loop: Header=BB151_3 Depth=1
	s_or_b32 exec_lo, exec_lo, s9
	s_and_saveexec_b32 s9, s101
; %bb.923:                              ;   in Loop: Header=BB151_3 Depth=1
	ds_store_b64 v52, v[46:47]
; %bb.924:                              ;   in Loop: Header=BB151_3 Depth=1
	s_or_b32 exec_lo, exec_lo, s9
	s_wait_dscnt 0x0
	s_barrier_signal -1
	s_barrier_wait -1
	s_and_saveexec_b32 s9, s102
	s_cbranch_execz .LBB151_926
; %bb.925:                              ;   in Loop: Header=BB151_3 Depth=1
	ds_load_b64 v[48:49], v1 offset:32248
	ds_load_b64 v[50:51], v52
	s_wait_dscnt 0x0
	v_pk_mul_f32 v[86:87], v[50:51], v[48:49] op_sel:[1,1] op_sel_hi:[0,1]
	s_delay_alu instid0(VALU_DEP_1) | instskip(SKIP_1) | instid1(VALU_DEP_2)
	v_pk_fma_f32 v[88:89], v[50:51], v[48:49], v[86:87] op_sel_hi:[1,0,1]
	v_pk_fma_f32 v[48:49], v[50:51], v[48:49], v[86:87] neg_lo:[0,0,1] neg_hi:[0,0,1]
	v_mov_b32_e32 v49, v89
	s_delay_alu instid0(VALU_DEP_1)
	v_pk_add_f32 v[46:47], v[46:47], v[48:49]
.LBB151_926:                            ;   in Loop: Header=BB151_3 Depth=1
	s_or_b32 exec_lo, exec_lo, s9
	s_barrier_signal -1
	s_barrier_wait -1
	s_and_saveexec_b32 s9, s102
; %bb.927:                              ;   in Loop: Header=BB151_3 Depth=1
	ds_store_b64 v52, v[46:47]
; %bb.928:                              ;   in Loop: Header=BB151_3 Depth=1
	s_or_b32 exec_lo, exec_lo, s9
	s_wait_dscnt 0x0
	s_barrier_signal -1
	s_barrier_wait -1
	s_barrier_signal -1
	s_barrier_wait -1
	s_and_saveexec_b32 s9, s1
; %bb.929:                              ;   in Loop: Header=BB151_3 Depth=1
	v_pk_add_f32 v[46:47], v[46:47], 0 neg_lo:[1,1] neg_hi:[1,1]
	ds_store_b64 v53, v[46:47] offset:31216
; %bb.930:                              ;   in Loop: Header=BB151_3 Depth=1
	s_or_b32 exec_lo, exec_lo, s9
	s_wait_dscnt 0x0
	s_barrier_signal -1
	s_barrier_wait -1
	s_barrier_signal -1
	s_barrier_wait -1
	s_and_saveexec_b32 s9, s12
; %bb.931:                              ;   in Loop: Header=BB151_3 Depth=1
	v_add_nc_u32_e64 v0, 0x7800, 0
	ds_store_2addr_b64 v0, v[38:39], v[38:39] offset0:190 offset1:255
; %bb.932:                              ;   in Loop: Header=BB151_3 Depth=1
	s_or_b32 exec_lo, exec_lo, s9
.LBB151_933:                            ;   in Loop: Header=BB151_3 Depth=1
	v_add_nc_u64_e32 v[44:45], s[72:73], v[44:45]
	v_mov_b64_e32 v[46:47], 0
	s_wait_dscnt 0x0
	s_barrier_signal -1
	s_barrier_wait -1
	s_wait_xcnt 0x0
	s_and_saveexec_b32 s9, s25
	s_cbranch_execz .LBB151_935
; %bb.934:                              ;   in Loop: Header=BB151_3 Depth=1
	v_lshl_add_u64 v[46:47], v[28:29], 3, v[44:45]
	flat_load_b64 v[46:47], v[46:47]
	s_wait_loadcnt_dscnt 0x0
	v_pk_mul_f32 v[48:49], v[42:43], v[46:47] op_sel:[1,0] neg_lo:[1,0]
	s_delay_alu instid0(VALU_DEP_1)
	v_pk_fma_f32 v[46:47], v[42:43], v[46:47], v[48:49] op_sel:[0,0,1] op_sel_hi:[0,1,0] neg_lo:[1,0,0] neg_hi:[1,0,0]
.LBB151_935:                            ;   in Loop: Header=BB151_3 Depth=1
	s_or_b32 exec_lo, exec_lo, s9
	s_delay_alu instid0(SALU_CYCLE_1)
	s_and_not1_b32 vcc_lo, exec_lo, s27
	s_cbranch_vccnz .LBB151_954
; %bb.936:                              ;   in Loop: Header=BB151_3 Depth=1
	v_lshl_add_u64 v[40:41], v[8:9], 3, v[40:41]
	v_mov_b32_e32 v3, -1
	s_lshl_b64 s[94:95], s[80:81], 2
	s_mov_b32 s9, 0
	s_add_nc_u64 s[94:95], s[84:85], s[94:95]
	s_branch .LBB151_938
.LBB151_937:                            ;   in Loop: Header=BB151_938 Depth=2
	s_or_b32 exec_lo, exec_lo, s14
	s_add_co_i32 s9, s9, 1
	s_delay_alu instid0(SALU_CYCLE_1)
	s_cmp_eq_u32 s9, s97
	s_cbranch_scc1 .LBB151_954
.LBB151_938:                            ;   Parent Loop BB151_3 Depth=1
                                        ; =>  This Loop Header: Depth=2
                                        ;       Child Loop BB151_940 Depth 3
	v_cmp_gt_i32_e32 vcc_lo, s9, v3
	s_and_b32 s66, s37, vcc_lo
	s_delay_alu instid0(SALU_CYCLE_1)
	s_and_saveexec_b32 s14, s66
	s_cbranch_execz .LBB151_941
; %bb.939:                              ;   in Loop: Header=BB151_938 Depth=2
	global_load_b32 v3, v1, s[94:95]
	s_wait_loadcnt 0x0
	v_cmp_le_i32_e32 vcc_lo, s9, v3
	s_cbranch_vccnz .LBB151_941
.LBB151_940:                            ;   Parent Loop BB151_3 Depth=1
                                        ;     Parent Loop BB151_938 Depth=2
                                        ; =>    This Inner Loop Header: Depth=3
	global_wb scope:SCOPE_DEV
	s_wait_storecnt 0x0
	global_inv scope:SCOPE_DEV
	global_load_b32 v3, v1, s[94:95]
	s_wait_loadcnt 0x0
	v_cmp_gt_i32_e32 vcc_lo, s9, v3
	s_cbranch_vccnz .LBB151_940
.LBB151_941:                            ;   in Loop: Header=BB151_938 Depth=2
	s_or_b32 exec_lo, exec_lo, s14
	s_lshl_b32 s66, s9, 6
	global_wb scope:SCOPE_DEV
	s_wait_storecnt 0x0
	global_inv scope:SCOPE_DEV
	s_wait_loadcnt 0x0
	s_barrier_signal -1
	s_barrier_wait -1
	s_and_saveexec_b32 s14, s38
	s_cbranch_execz .LBB151_946
; %bb.942:                              ;   in Loop: Header=BB151_938 Depth=2
	v_or_b32_e32 v0, s66, v6
	s_delay_alu instid0(VALU_DEP_1) | instskip(SKIP_1) | instid1(SALU_CYCLE_1)
	v_cmp_le_i32_e32 vcc_lo, s96, v0
	s_and_saveexec_b32 s10, vcc_lo
	s_xor_b32 vcc_lo, exec_lo, s10
; %bb.943:                              ;   in Loop: Header=BB151_938 Depth=2
	ds_store_b64 v79, v[36:37]
; %bb.944:                              ;   in Loop: Header=BB151_938 Depth=2
	s_and_not1_saveexec_b32 s10, vcc_lo
	s_cbranch_execz .LBB151_946
; %bb.945:                              ;   in Loop: Header=BB151_938 Depth=2
	v_mul_u64_e32 v[42:43], s[74:75], v[0:1]
	s_delay_alu instid0(VALU_DEP_1)
	v_lshl_add_u64 v[42:43], v[42:43], 3, v[44:45]
	flat_load_b64 v[42:43], v[42:43]
	s_wait_loadcnt_dscnt 0x0
	ds_store_b64 v79, v[42:43]
.LBB151_946:                            ;   in Loop: Header=BB151_938 Depth=2
	s_or_b32 exec_lo, exec_lo, s14
	v_add_nc_u32_e32 v0, s66, v2
	s_wait_dscnt 0x0
	v_cmp_eq_u32_e32 vcc_lo, s9, v5
	s_barrier_signal -1
	s_barrier_wait -1
	v_mul_u64_e32 v[42:43], s[82:83], v[0:1]
	v_cmp_gt_i32_e64 s66, s96, v0
	s_and_b32 s10, s0, s66
	v_lshl_add_u64 v[42:43], v[42:43], 3, v[40:41]
	s_and_saveexec_b32 s14, s10
	s_cbranch_execz .LBB151_948
; %bb.947:                              ;   in Loop: Header=BB151_938 Depth=2
	s_delay_alu instid0(VALU_DEP_1) | instskip(SKIP_4) | instid1(VALU_DEP_1)
	v_dual_cndmask_b32 v49, v43, v15 :: v_dual_cndmask_b32 v48, v42, v14
	ds_load_b64 v[50:51], v78
	flat_load_b64 v[48:49], v[48:49]
	s_wait_loadcnt_dscnt 0x0
	v_dual_mul_f32 v86, v51, v49 :: v_dual_mul_f32 v49, v50, v49
	v_dual_fma_f32 v50, v50, v48, -v86 :: v_dual_fmac_f32 v49, v51, v48
	s_delay_alu instid0(VALU_DEP_1)
	v_dual_add_f32 v46, v46, v50 :: v_dual_add_f32 v47, v47, v49
.LBB151_948:                            ;   in Loop: Header=BB151_938 Depth=2
	s_or_b32 exec_lo, exec_lo, s14
	v_add_nc_u32_e32 v48, 16, v0
	s_delay_alu instid0(VALU_DEP_1) | instskip(SKIP_1) | instid1(SALU_CYCLE_1)
	v_cmp_gt_i32_e64 s66, s96, v48
	s_and_b32 s10, s0, s66
	s_and_saveexec_b32 s14, s10
	s_cbranch_execz .LBB151_950
; %bb.949:                              ;   in Loop: Header=BB151_938 Depth=2
	v_add_nc_u64_e32 v[48:49], s[88:89], v[42:43]
	ds_load_b64 v[50:51], v78 offset:128
	v_dual_cndmask_b32 v49, v49, v17 :: v_dual_cndmask_b32 v48, v48, v16
	flat_load_b64 v[48:49], v[48:49]
	s_wait_loadcnt_dscnt 0x0
	v_dual_mul_f32 v86, v51, v49 :: v_dual_mul_f32 v49, v50, v49
	s_delay_alu instid0(VALU_DEP_1) | instskip(NEXT) | instid1(VALU_DEP_1)
	v_dual_fma_f32 v50, v50, v48, -v86 :: v_dual_fmac_f32 v49, v51, v48
	v_dual_add_f32 v46, v46, v50 :: v_dual_add_f32 v47, v47, v49
.LBB151_950:                            ;   in Loop: Header=BB151_938 Depth=2
	s_or_b32 exec_lo, exec_lo, s14
	v_add_nc_u32_e32 v48, 32, v0
	s_delay_alu instid0(VALU_DEP_1) | instskip(SKIP_1) | instid1(SALU_CYCLE_1)
	v_cmp_gt_i32_e64 s66, s96, v48
	s_and_b32 s10, s0, s66
	s_and_saveexec_b32 s14, s10
	s_cbranch_execz .LBB151_952
; %bb.951:                              ;   in Loop: Header=BB151_938 Depth=2
	v_add_nc_u64_e32 v[48:49], s[90:91], v[42:43]
	ds_load_b64 v[50:51], v78 offset:256
	v_dual_cndmask_b32 v49, v49, v19 :: v_dual_cndmask_b32 v48, v48, v18
	flat_load_b64 v[48:49], v[48:49]
	s_wait_loadcnt_dscnt 0x0
	v_dual_mul_f32 v86, v51, v49 :: v_dual_mul_f32 v87, v50, v49
	s_delay_alu instid0(VALU_DEP_1) | instskip(NEXT) | instid1(VALU_DEP_1)
	v_dual_fma_f32 v86, v50, v48, -v86 :: v_dual_fmac_f32 v87, v51, v48
	v_pk_add_f32 v[46:47], v[46:47], v[86:87]
.LBB151_952:                            ;   in Loop: Header=BB151_938 Depth=2
	s_or_b32 exec_lo, exec_lo, s14
	v_add_nc_u32_e32 v0, 48, v0
	s_delay_alu instid0(VALU_DEP_1) | instskip(SKIP_1) | instid1(SALU_CYCLE_1)
	v_cmp_gt_i32_e64 s66, s96, v0
	s_and_b32 s10, s0, s66
	s_and_saveexec_b32 s14, s10
	s_cbranch_execz .LBB151_937
; %bb.953:                              ;   in Loop: Header=BB151_938 Depth=2
	v_add_nc_u64_e32 v[42:43], s[92:93], v[42:43]
	ds_load_b64 v[48:49], v78 offset:384
	v_dual_cndmask_b32 v43, v43, v21 :: v_dual_cndmask_b32 v42, v42, v20
	flat_load_b64 v[42:43], v[42:43]
	s_wait_loadcnt_dscnt 0x0
	v_pk_mul_f32 v[50:51], v[48:49], v[42:43] op_sel:[1,1] op_sel_hi:[0,1]
	s_delay_alu instid0(VALU_DEP_1) | instskip(SKIP_1) | instid1(VALU_DEP_2)
	v_pk_fma_f32 v[86:87], v[48:49], v[42:43], v[50:51] op_sel_hi:[1,0,1]
	v_pk_fma_f32 v[42:43], v[48:49], v[42:43], v[50:51] neg_lo:[0,0,1] neg_hi:[0,0,1]
	v_mov_b32_e32 v43, v87
	s_delay_alu instid0(VALU_DEP_1)
	v_pk_add_f32 v[46:47], v[46:47], v[42:43]
	s_branch .LBB151_937
.LBB151_954:                            ;   in Loop: Header=BB151_3 Depth=1
	ds_store_b64 v80, v[46:47]
	s_wait_dscnt 0x0
	s_barrier_signal -1
	s_barrier_wait -1
	s_and_saveexec_b32 s9, s5
	s_cbranch_execz .LBB151_956
; %bb.955:                              ;   in Loop: Header=BB151_3 Depth=1
	ds_load_2addr_stride64_b64 v[40:43], v81 offset0:1 offset1:2
	ds_load_2addr_stride64_b64 v[48:51], v81 offset0:3 offset1:4
	;; [unrolled: 1-line block ×3, first 2 shown]
	s_wait_dscnt 0x2
	v_pk_add_f32 v[40:41], v[46:47], v[40:41]
	s_delay_alu instid0(VALU_DEP_1) | instskip(SKIP_3) | instid1(VALU_DEP_1)
	v_pk_add_f32 v[46:47], v[40:41], v[42:43]
	ds_load_2addr_stride64_b64 v[40:43], v81 offset0:7 offset1:8
	s_wait_dscnt 0x2
	v_pk_add_f32 v[46:47], v[46:47], v[48:49]
	v_pk_add_f32 v[50:51], v[46:47], v[50:51]
	ds_load_2addr_stride64_b64 v[46:49], v81 offset0:9 offset1:10
	s_wait_dscnt 0x2
	v_pk_add_f32 v[50:51], v[50:51], v[86:87]
	s_delay_alu instid0(VALU_DEP_1) | instskip(SKIP_3) | instid1(VALU_DEP_1)
	v_pk_add_f32 v[50:51], v[50:51], v[88:89]
	ds_load_2addr_stride64_b64 v[86:89], v81 offset0:11 offset1:12
	s_wait_dscnt 0x2
	v_pk_add_f32 v[40:41], v[50:51], v[40:41]
	v_pk_add_f32 v[50:51], v[40:41], v[42:43]
	ds_load_2addr_stride64_b64 v[40:43], v81 offset0:13 offset1:14
	s_wait_dscnt 0x2
	v_pk_add_f32 v[46:47], v[50:51], v[46:47]
	s_delay_alu instid0(VALU_DEP_1) | instskip(SKIP_3) | instid1(VALU_DEP_1)
	v_pk_add_f32 v[46:47], v[46:47], v[48:49]
	ds_load_b64 v[48:49], v81 offset:7680
	s_wait_dscnt 0x2
	v_pk_add_f32 v[46:47], v[46:47], v[86:87]
	v_pk_add_f32 v[46:47], v[46:47], v[88:89]
	s_wait_dscnt 0x1
	s_delay_alu instid0(VALU_DEP_1) | instskip(NEXT) | instid1(VALU_DEP_1)
	v_pk_add_f32 v[40:41], v[46:47], v[40:41]
	v_pk_add_f32 v[40:41], v[40:41], v[42:43]
	s_wait_dscnt 0x0
	s_delay_alu instid0(VALU_DEP_1) | instskip(NEXT) | instid1(VALU_DEP_1)
	v_pk_add_f32 v[40:41], v[40:41], v[48:49]
	v_cndmask_b32_e64 v47, -v41, 0, s23
	s_delay_alu instid0(VALU_DEP_2)
	v_cndmask_b32_e64 v46, -v40, 0, s23
.LBB151_956:                            ;   in Loop: Header=BB151_3 Depth=1
	s_or_b32 exec_lo, exec_lo, s9
	s_delay_alu instid0(SALU_CYCLE_1)
	s_and_not1_b32 vcc_lo, exec_lo, s100
	s_cbranch_vccnz .LBB151_969
; %bb.957:                              ;   in Loop: Header=BB151_3 Depth=1
	s_and_saveexec_b32 s9, s5
; %bb.958:                              ;   in Loop: Header=BB151_3 Depth=1
	ds_store_b64 v83, v[46:47]
; %bb.959:                              ;   in Loop: Header=BB151_3 Depth=1
	s_or_b32 exec_lo, exec_lo, s9
	v_mov_b64_e32 v[40:41], 0
	s_wait_dscnt 0x0
	s_barrier_signal -1
	s_barrier_wait -1
	s_mov_b32 s9, exec_lo
	v_readlane_b32 s10, v94, 4
	s_and_b32 s10, s9, s10
	s_delay_alu instid0(SALU_CYCLE_1)
	s_mov_b32 exec_lo, s10
	s_cbranch_execz .LBB151_961
; %bb.960:                              ;   in Loop: Header=BB151_3 Depth=1
	ds_load_b64 v[40:41], v82
	ds_load_b64 v[42:43], v78
	s_wait_dscnt 0x0
	v_dual_mul_f32 v0, v43, v41 :: v_dual_mul_f32 v3, v42, v41
	s_delay_alu instid0(VALU_DEP_1) | instskip(NEXT) | instid1(VALU_DEP_1)
	v_dual_fma_f32 v0, v42, v40, -v0 :: v_dual_fmac_f32 v3, v43, v40
	v_dual_add_f32 v40, 0, v0 :: v_dual_add_f32 v41, 0, v3
.LBB151_961:                            ;   in Loop: Header=BB151_3 Depth=1
	s_or_b32 exec_lo, exec_lo, s9
	s_delay_alu instid0(SALU_CYCLE_1) | instskip(SKIP_2) | instid1(SALU_CYCLE_1)
	s_mov_b32 s9, exec_lo
	v_readlane_b32 s10, v95, 22
	s_and_b32 s10, s9, s10
	s_mov_b32 exec_lo, s10
	s_cbranch_execz .LBB151_963
; %bb.962:                              ;   in Loop: Header=BB151_3 Depth=1
	ds_load_b64 v[42:43], v82 offset:8192
	ds_load_b64 v[48:49], v78 offset:128
	s_wait_dscnt 0x0
	v_dual_mul_f32 v0, v49, v43 :: v_dual_mul_f32 v51, v48, v43
	s_delay_alu instid0(VALU_DEP_1) | instskip(NEXT) | instid1(VALU_DEP_1)
	v_dual_fma_f32 v50, v48, v42, -v0 :: v_dual_fmac_f32 v51, v49, v42
	v_pk_add_f32 v[40:41], v[40:41], v[50:51]
.LBB151_963:                            ;   in Loop: Header=BB151_3 Depth=1
	s_or_b32 exec_lo, exec_lo, s9
	s_delay_alu instid0(SALU_CYCLE_1) | instskip(SKIP_2) | instid1(SALU_CYCLE_1)
	s_mov_b32 s9, exec_lo
	v_readlane_b32 s10, v94, 0
	s_and_b32 s10, s9, s10
	s_mov_b32 exec_lo, s10
	s_cbranch_execz .LBB151_965
; %bb.964:                              ;   in Loop: Header=BB151_3 Depth=1
	ds_load_b64 v[42:43], v82 offset:16384
	ds_load_b64 v[48:49], v78 offset:256
	s_wait_dscnt 0x0
	v_pk_mul_f32 v[50:51], v[48:49], v[42:43] op_sel:[1,1] op_sel_hi:[0,1]
	s_delay_alu instid0(VALU_DEP_1) | instskip(SKIP_1) | instid1(VALU_DEP_2)
	v_pk_fma_f32 v[86:87], v[48:49], v[42:43], v[50:51] op_sel_hi:[1,0,1]
	v_pk_fma_f32 v[42:43], v[48:49], v[42:43], v[50:51] neg_lo:[0,0,1] neg_hi:[0,0,1]
	v_mov_b32_e32 v43, v87
	s_delay_alu instid0(VALU_DEP_1)
	v_pk_add_f32 v[40:41], v[40:41], v[42:43]
.LBB151_965:                            ;   in Loop: Header=BB151_3 Depth=1
	s_or_b32 exec_lo, exec_lo, s9
	s_delay_alu instid0(SALU_CYCLE_1) | instskip(SKIP_2) | instid1(SALU_CYCLE_1)
	s_mov_b32 s9, exec_lo
	v_readlane_b32 s10, v94, 5
	s_and_b32 s10, s9, s10
	s_mov_b32 exec_lo, s10
	s_cbranch_execz .LBB151_967
; %bb.966:                              ;   in Loop: Header=BB151_3 Depth=1
	ds_load_b64 v[42:43], v82 offset:24576
	ds_load_b64 v[48:49], v78 offset:384
	s_wait_dscnt 0x0
	v_pk_mul_f32 v[50:51], v[48:49], v[42:43] op_sel:[1,1] op_sel_hi:[0,1]
	s_delay_alu instid0(VALU_DEP_1) | instskip(SKIP_1) | instid1(VALU_DEP_2)
	v_pk_fma_f32 v[86:87], v[48:49], v[42:43], v[50:51] op_sel_hi:[1,0,1]
	v_pk_fma_f32 v[42:43], v[48:49], v[42:43], v[50:51] neg_lo:[0,0,1] neg_hi:[0,0,1]
	v_mov_b32_e32 v43, v87
	s_delay_alu instid0(VALU_DEP_1)
	v_pk_add_f32 v[40:41], v[40:41], v[42:43]
.LBB151_967:                            ;   in Loop: Header=BB151_3 Depth=1
	s_or_b32 exec_lo, exec_lo, s9
	s_mov_b32 s9, 0
	s_mov_b32 s66, 0
	ds_store_b64 v80, v[40:41]
	s_wait_dscnt 0x0
	s_barrier_signal -1
	s_barrier_wait -1
                                        ; implicit-def: $vgpr42_vgpr43
	s_and_saveexec_b32 s94, s5
	s_cbranch_execz .LBB151_993
; %bb.968:                              ;   in Loop: Header=BB151_3 Depth=1
	ds_load_2addr_stride64_b64 v[48:51], v81 offset0:1 offset1:2
	ds_load_2addr_stride64_b64 v[86:89], v81 offset0:3 offset1:4
	;; [unrolled: 1-line block ×3, first 2 shown]
	s_mov_b32 s66, exec_lo
	s_wait_dscnt 0x2
	v_pk_add_f32 v[40:41], v[40:41], v[48:49]
	s_delay_alu instid0(VALU_DEP_1) | instskip(SKIP_3) | instid1(VALU_DEP_1)
	v_pk_add_f32 v[48:49], v[40:41], v[50:51]
	ds_load_2addr_stride64_b64 v[40:43], v81 offset0:7 offset1:8
	s_wait_dscnt 0x2
	v_pk_add_f32 v[48:49], v[48:49], v[86:87]
	v_pk_add_f32 v[86:87], v[48:49], v[88:89]
	ds_load_2addr_stride64_b64 v[48:51], v81 offset0:9 offset1:10
	s_wait_dscnt 0x2
	v_pk_add_f32 v[86:87], v[86:87], v[90:91]
	s_delay_alu instid0(VALU_DEP_1) | instskip(SKIP_3) | instid1(VALU_DEP_1)
	v_pk_add_f32 v[90:91], v[86:87], v[92:93]
	ds_load_2addr_stride64_b64 v[86:89], v81 offset0:11 offset1:12
	s_wait_dscnt 0x2
	v_pk_add_f32 v[40:41], v[90:91], v[40:41]
	v_pk_add_f32 v[40:41], v[40:41], v[42:43]
	s_wait_dscnt 0x1
	s_delay_alu instid0(VALU_DEP_1)
	v_pk_add_f32 v[48:49], v[40:41], v[48:49]
	ds_load_2addr_stride64_b64 v[40:43], v81 offset0:13 offset1:14
	v_pk_add_f32 v[48:49], v[48:49], v[50:51]
	ds_load_b64 v[50:51], v81 offset:7680
	s_wait_dscnt 0x2
	v_pk_add_f32 v[48:49], v[48:49], v[86:87]
	s_delay_alu instid0(VALU_DEP_1) | instskip(SKIP_1) | instid1(VALU_DEP_1)
	v_pk_add_f32 v[48:49], v[48:49], v[88:89]
	s_wait_dscnt 0x1
	v_pk_add_f32 v[40:41], v[48:49], v[40:41]
	s_delay_alu instid0(VALU_DEP_1) | instskip(SKIP_1) | instid1(VALU_DEP_1)
	v_pk_add_f32 v[40:41], v[40:41], v[42:43]
	s_wait_dscnt 0x0
	v_pk_add_f32 v[42:43], v[40:41], v[50:51]
	s_or_b32 exec_lo, exec_lo, s94
	s_delay_alu instid0(SALU_CYCLE_1)
	s_and_b32 vcc_lo, exec_lo, s9
	s_cbranch_vccnz .LBB151_970
	s_branch .LBB151_994
.LBB151_969:                            ;   in Loop: Header=BB151_3 Depth=1
	s_mov_b32 s66, 0
                                        ; implicit-def: $vgpr42_vgpr43
	s_cbranch_execz .LBB151_994
.LBB151_970:                            ;   in Loop: Header=BB151_3 Depth=1
	v_dual_mov_b32 v0, v4 :: v_dual_mov_b32 v3, v55
	s_mov_b32 s9, 0
	s_branch .LBB151_972
.LBB151_971:                            ;   in Loop: Header=BB151_972 Depth=2
	s_or_b32 exec_lo, exec_lo, s14
	v_add_nc_u32_e32 v3, 0x800, v3
	v_add_nc_u32_e32 v0, -4, v0
	s_add_co_i32 s9, s9, 4
	s_delay_alu instid0(SALU_CYCLE_1)
	s_cmp_lg_u32 s9, 64
	s_barrier_signal -1
	s_barrier_wait -1
	s_cbranch_scc0 .LBB151_988
.LBB151_972:                            ;   Parent Loop BB151_3 Depth=1
                                        ; =>  This Inner Loop Header: Depth=2
	s_delay_alu instid0(VALU_DEP_1) | instskip(SKIP_1) | instid1(SALU_CYCLE_1)
	v_cmp_eq_u32_e32 vcc_lo, 0, v0
	s_and_b32 s10, s5, vcc_lo
	s_and_saveexec_b32 s14, s10
; %bb.973:                              ;   in Loop: Header=BB151_972 Depth=2
	ds_store_b64 v1, v[46:47] offset:41472
; %bb.974:                              ;   in Loop: Header=BB151_972 Depth=2
	s_or_b32 exec_lo, exec_lo, s14
	v_cmp_lt_u32_e32 vcc_lo, s9, v4
	s_wait_dscnt 0x0
	s_barrier_signal -1
	s_barrier_wait -1
	s_and_b32 s10, s5, vcc_lo
	s_delay_alu instid0(SALU_CYCLE_1)
	s_and_saveexec_b32 s14, s10
	s_cbranch_execz .LBB151_976
; %bb.975:                              ;   in Loop: Header=BB151_972 Depth=2
	ds_load_b64 v[40:41], v3
	ds_load_b64 v[42:43], v1 offset:41472
	s_wait_dscnt 0x0
	v_pk_mul_f32 v[48:49], v[42:43], v[40:41] op_sel:[1,1] op_sel_hi:[0,1]
	s_delay_alu instid0(VALU_DEP_1) | instskip(SKIP_1) | instid1(VALU_DEP_2)
	v_pk_fma_f32 v[50:51], v[42:43], v[40:41], v[48:49] op_sel_hi:[1,0,1]
	v_pk_fma_f32 v[40:41], v[42:43], v[40:41], v[48:49] neg_lo:[0,0,1] neg_hi:[0,0,1]
	v_mov_b32_e32 v41, v51
	s_delay_alu instid0(VALU_DEP_1)
	v_pk_add_f32 v[46:47], v[46:47], v[40:41]
.LBB151_976:                            ;   in Loop: Header=BB151_972 Depth=2
	s_or_b32 exec_lo, exec_lo, s14
	s_or_b32 s14, s9, 1
	s_delay_alu instid0(SALU_CYCLE_1) | instskip(SKIP_3) | instid1(SALU_CYCLE_1)
	v_cmp_eq_u32_e32 vcc_lo, s14, v4
	s_barrier_signal -1
	s_barrier_wait -1
	s_and_b32 s10, s5, vcc_lo
	s_and_saveexec_b32 s94, s10
; %bb.977:                              ;   in Loop: Header=BB151_972 Depth=2
	ds_store_b64 v1, v[46:47] offset:41472
; %bb.978:                              ;   in Loop: Header=BB151_972 Depth=2
	s_or_b32 exec_lo, exec_lo, s94
	v_cmp_lt_u32_e32 vcc_lo, s14, v4
	s_wait_dscnt 0x0
	s_barrier_signal -1
	s_barrier_wait -1
	s_and_b32 s10, s5, vcc_lo
	s_delay_alu instid0(SALU_CYCLE_1)
	s_and_saveexec_b32 s14, s10
	s_cbranch_execz .LBB151_980
; %bb.979:                              ;   in Loop: Header=BB151_972 Depth=2
	ds_load_b64 v[40:41], v3 offset:512
	ds_load_b64 v[42:43], v1 offset:41472
	s_wait_dscnt 0x0
	v_pk_mul_f32 v[48:49], v[42:43], v[40:41] op_sel:[1,1] op_sel_hi:[0,1]
	s_delay_alu instid0(VALU_DEP_1) | instskip(SKIP_1) | instid1(VALU_DEP_2)
	v_pk_fma_f32 v[50:51], v[42:43], v[40:41], v[48:49] op_sel_hi:[1,0,1]
	v_pk_fma_f32 v[40:41], v[42:43], v[40:41], v[48:49] neg_lo:[0,0,1] neg_hi:[0,0,1]
	v_mov_b32_e32 v41, v51
	s_delay_alu instid0(VALU_DEP_1)
	v_pk_add_f32 v[46:47], v[46:47], v[40:41]
.LBB151_980:                            ;   in Loop: Header=BB151_972 Depth=2
	s_or_b32 exec_lo, exec_lo, s14
	s_or_b32 s14, s9, 2
	s_delay_alu instid0(SALU_CYCLE_1) | instskip(SKIP_3) | instid1(SALU_CYCLE_1)
	v_cmp_eq_u32_e32 vcc_lo, s14, v4
	s_barrier_signal -1
	s_barrier_wait -1
	s_and_b32 s10, s5, vcc_lo
	s_and_saveexec_b32 s94, s10
; %bb.981:                              ;   in Loop: Header=BB151_972 Depth=2
	ds_store_b64 v1, v[46:47] offset:41472
; %bb.982:                              ;   in Loop: Header=BB151_972 Depth=2
	s_or_b32 exec_lo, exec_lo, s94
	v_cmp_lt_u32_e32 vcc_lo, s14, v4
	s_wait_dscnt 0x0
	s_barrier_signal -1
	s_barrier_wait -1
	s_and_b32 s10, s5, vcc_lo
	s_delay_alu instid0(SALU_CYCLE_1)
	s_and_saveexec_b32 s14, s10
	s_cbranch_execz .LBB151_984
; %bb.983:                              ;   in Loop: Header=BB151_972 Depth=2
	ds_load_b64 v[40:41], v3 offset:1024
	ds_load_b64 v[42:43], v1 offset:41472
	s_wait_dscnt 0x0
	v_pk_mul_f32 v[48:49], v[42:43], v[40:41] op_sel:[1,1] op_sel_hi:[0,1]
	s_delay_alu instid0(VALU_DEP_1) | instskip(SKIP_1) | instid1(VALU_DEP_2)
	v_pk_fma_f32 v[50:51], v[42:43], v[40:41], v[48:49] op_sel_hi:[1,0,1]
	v_pk_fma_f32 v[40:41], v[42:43], v[40:41], v[48:49] neg_lo:[0,0,1] neg_hi:[0,0,1]
	v_mov_b32_e32 v41, v51
	s_delay_alu instid0(VALU_DEP_1)
	v_pk_add_f32 v[46:47], v[46:47], v[40:41]
.LBB151_984:                            ;   in Loop: Header=BB151_972 Depth=2
	s_or_b32 exec_lo, exec_lo, s14
	s_or_b32 s14, s9, 3
	s_delay_alu instid0(SALU_CYCLE_1) | instskip(SKIP_3) | instid1(SALU_CYCLE_1)
	v_cmp_eq_u32_e32 vcc_lo, s14, v4
	s_barrier_signal -1
	s_barrier_wait -1
	s_and_b32 s10, s5, vcc_lo
	s_and_saveexec_b32 s94, s10
; %bb.985:                              ;   in Loop: Header=BB151_972 Depth=2
	ds_store_b64 v1, v[46:47] offset:41472
; %bb.986:                              ;   in Loop: Header=BB151_972 Depth=2
	s_or_b32 exec_lo, exec_lo, s94
	v_cmp_lt_u32_e32 vcc_lo, s14, v4
	s_wait_dscnt 0x0
	s_barrier_signal -1
	s_barrier_wait -1
	s_and_b32 s10, s5, vcc_lo
	s_delay_alu instid0(SALU_CYCLE_1)
	s_and_saveexec_b32 s14, s10
	s_cbranch_execz .LBB151_971
; %bb.987:                              ;   in Loop: Header=BB151_972 Depth=2
	ds_load_b64 v[40:41], v3 offset:1536
	ds_load_b64 v[42:43], v1 offset:41472
	s_wait_dscnt 0x0
	v_pk_mul_f32 v[48:49], v[42:43], v[40:41] op_sel:[1,1] op_sel_hi:[0,1]
	s_delay_alu instid0(VALU_DEP_1) | instskip(SKIP_1) | instid1(VALU_DEP_2)
	v_pk_fma_f32 v[50:51], v[42:43], v[40:41], v[48:49] op_sel_hi:[1,0,1]
	v_pk_fma_f32 v[40:41], v[42:43], v[40:41], v[48:49] neg_lo:[0,0,1] neg_hi:[0,0,1]
	v_mov_b32_e32 v41, v51
	s_delay_alu instid0(VALU_DEP_1)
	v_pk_add_f32 v[46:47], v[46:47], v[40:41]
	s_branch .LBB151_971
.LBB151_988:                            ;   in Loop: Header=BB151_3 Depth=1
	s_and_b32 vcc_lo, exec_lo, s99
	s_mov_b32 s9, -1
	s_cbranch_vccz .LBB151_990
; %bb.989:                              ;   in Loop: Header=BB151_3 Depth=1
	s_and_not1_b32 s10, s66, exec_lo
	s_and_b32 s11, s5, exec_lo
	s_mov_b32 s9, 0
	s_or_b32 s66, s10, s11
.LBB151_990:                            ;   in Loop: Header=BB151_3 Depth=1
	s_and_not1_b32 vcc_lo, exec_lo, s9
	s_cbranch_vccnz .LBB151_992
; %bb.991:                              ;   in Loop: Header=BB151_3 Depth=1
	v_readlane_b32 s10, v95, 10
	s_and_not1_b32 s9, s66, exec_lo
	s_and_b32 s10, s10, exec_lo
	s_delay_alu instid0(SALU_CYCLE_1)
	s_or_b32 s66, s9, s10
.LBB151_992:                            ;   in Loop: Header=BB151_3 Depth=1
	v_mov_b64_e32 v[40:41], v[12:13]
	s_and_saveexec_b32 s9, s66
	s_cbranch_execnz .LBB151_995
	s_branch .LBB151_996
.LBB151_993:                            ;   in Loop: Header=BB151_3 Depth=1
	s_or_b32 exec_lo, exec_lo, s94
	s_delay_alu instid0(SALU_CYCLE_1)
	s_and_b32 vcc_lo, exec_lo, s9
	s_cbranch_vccnz .LBB151_970
.LBB151_994:                            ;   in Loop: Header=BB151_3 Depth=1
	v_mov_b64_e32 v[46:47], v[42:43]
	v_mov_b64_e32 v[40:41], v[30:31]
	s_and_saveexec_b32 s9, s66
	s_cbranch_execz .LBB151_996
.LBB151_995:                            ;   in Loop: Header=BB151_3 Depth=1
	s_delay_alu instid0(VALU_DEP_1)
	v_lshl_add_u64 v[40:41], v[40:41], 3, v[44:45]
	flat_store_b64 v[40:41], v[46:47]
.LBB151_996:                            ;   in Loop: Header=BB151_3 Depth=1
	s_wait_xcnt 0x0
	s_or_b32 exec_lo, exec_lo, s9
	global_wb scope:SCOPE_DEV
	s_wait_storecnt_dscnt 0x0
	global_inv scope:SCOPE_DEV
	s_wait_loadcnt 0x0
	s_barrier_signal -1
	s_barrier_wait -1
	s_and_saveexec_b32 s9, s37
	s_cbranch_execz .LBB151_2
; %bb.997:                              ;   in Loop: Header=BB151_3 Depth=1
	s_lshl_b64 s[94:95], s[80:81], 2
	s_delay_alu instid0(SALU_CYCLE_1)
	s_add_nc_u64 s[94:95], s[84:85], s[94:95]
	global_load_b32 v0, v1, s[94:95]
	s_wait_loadcnt 0x0
	v_add_nc_u32_e32 v0, 1, v0
	global_store_b32 v1, v0, s[94:95]
	s_branch .LBB151_2
.LBB151_998:                            ;   in Loop: Header=BB151_3 Depth=1
	ds_load_b64 v[48:49], v60 offset:544
	ds_load_b64 v[50:51], v56 offset:8
	s_wait_dscnt 0x0
	v_dual_mul_f32 v0, v51, v49 :: v_dual_mul_f32 v3, v50, v49
	s_delay_alu instid0(VALU_DEP_1) | instskip(NEXT) | instid1(VALU_DEP_1)
	v_dual_fma_f32 v0, v50, v48, -v0 :: v_dual_fmac_f32 v3, v51, v48
	v_dual_add_f32 v46, v46, v0 :: v_dual_add_f32 v47, v47, v3
	s_or_b32 exec_lo, exec_lo, s14
	s_and_saveexec_b32 s14, s17
	s_cbranch_execz .LBB151_87
.LBB151_999:                            ;   in Loop: Header=BB151_3 Depth=1
	ds_load_b64 v[48:49], v59 offset:1056
	ds_load_b64 v[50:51], v56 offset:16
	s_wait_dscnt 0x0
	v_dual_mul_f32 v0, v51, v49 :: v_dual_mul_f32 v3, v50, v49
	s_delay_alu instid0(VALU_DEP_1) | instskip(NEXT) | instid1(VALU_DEP_1)
	v_dual_fma_f32 v0, v50, v48, -v0 :: v_dual_fmac_f32 v3, v51, v48
	v_dual_add_f32 v46, v46, v0 :: v_dual_add_f32 v47, v47, v3
	s_or_b32 exec_lo, exec_lo, s14
	s_and_saveexec_b32 s14, s1
	s_cbranch_execnz .LBB151_88
	s_branch .LBB151_89
.LBB151_1000:                           ;   in Loop: Header=BB151_3 Depth=1
	ds_load_b64 v[48:49], v65 offset:576
	ds_load_b64 v[50:51], v61 offset:8
	s_wait_dscnt 0x0
	v_dual_mul_f32 v0, v51, v49 :: v_dual_mul_f32 v3, v50, v49
	s_delay_alu instid0(VALU_DEP_1) | instskip(NEXT) | instid1(VALU_DEP_1)
	v_dual_fma_f32 v0, v50, v48, -v0 :: v_dual_fmac_f32 v3, v51, v48
	v_dual_add_f32 v46, v46, v0 :: v_dual_add_f32 v47, v47, v3
	s_or_b32 exec_lo, exec_lo, s14
	s_and_saveexec_b32 s14, s19
	s_cbranch_execz .LBB151_125
.LBB151_1001:                           ;   in Loop: Header=BB151_3 Depth=1
	ds_load_b64 v[48:49], v65 offset:1088
	ds_load_b64 v[50:51], v61 offset:16
	s_wait_dscnt 0x0
	v_dual_mul_f32 v0, v51, v49 :: v_dual_mul_f32 v3, v50, v49
	s_delay_alu instid0(VALU_DEP_1) | instskip(NEXT) | instid1(VALU_DEP_1)
	v_dual_fma_f32 v0, v50, v48, -v0 :: v_dual_fmac_f32 v3, v51, v48
	v_dual_add_f32 v46, v46, v0 :: v_dual_add_f32 v47, v47, v3
	s_or_b32 exec_lo, exec_lo, s14
	s_and_saveexec_b32 s14, s20
	s_cbranch_execz .LBB151_126
.LBB151_1002:                           ;   in Loop: Header=BB151_3 Depth=1
	ds_load_b64 v[48:49], v65 offset:1600
	ds_load_b64 v[50:51], v61 offset:24
	s_wait_dscnt 0x0
	v_dual_mul_f32 v0, v51, v49 :: v_dual_mul_f32 v3, v50, v49
	s_delay_alu instid0(VALU_DEP_1) | instskip(NEXT) | instid1(VALU_DEP_1)
	v_dual_fma_f32 v0, v50, v48, -v0 :: v_dual_fmac_f32 v3, v51, v48
	v_dual_add_f32 v46, v46, v0 :: v_dual_add_f32 v47, v47, v3
	s_or_b32 exec_lo, exec_lo, s14
	s_and_saveexec_b32 s14, s21
	s_cbranch_execz .LBB151_127
.LBB151_1003:                           ;   in Loop: Header=BB151_3 Depth=1
	ds_load_b64 v[48:49], v64 offset:2112
	ds_load_b64 v[50:51], v61 offset:32
	s_wait_dscnt 0x0
	v_dual_mul_f32 v0, v51, v49 :: v_dual_mul_f32 v3, v50, v49
	s_delay_alu instid0(VALU_DEP_1) | instskip(NEXT) | instid1(VALU_DEP_1)
	v_dual_fma_f32 v0, v50, v48, -v0 :: v_dual_fmac_f32 v3, v51, v48
	v_dual_add_f32 v46, v46, v0 :: v_dual_add_f32 v47, v47, v3
	s_or_b32 exec_lo, exec_lo, s14
	s_and_saveexec_b32 s14, s22
	s_cbranch_execz .LBB151_128
.LBB151_1004:                           ;   in Loop: Header=BB151_3 Depth=1
	ds_load_b64 v[48:49], v65 offset:2624
	ds_load_b64 v[50:51], v61 offset:40
	s_wait_dscnt 0x0
	v_dual_mul_f32 v0, v51, v49 :: v_dual_mul_f32 v87, v50, v49
	s_delay_alu instid0(VALU_DEP_1) | instskip(NEXT) | instid1(VALU_DEP_1)
	v_dual_fma_f32 v86, v50, v48, -v0 :: v_dual_fmac_f32 v87, v51, v48
	v_pk_add_f32 v[46:47], v[46:47], v[86:87]
	s_or_b32 exec_lo, exec_lo, s14
	s_and_saveexec_b32 s14, s2
	s_cbranch_execz .LBB151_129
.LBB151_1005:                           ;   in Loop: Header=BB151_3 Depth=1
	ds_load_b64 v[48:49], v64 offset:3136
	ds_load_b64 v[50:51], v61 offset:48
	s_wait_dscnt 0x0
	v_pk_mul_f32 v[86:87], v[50:51], v[48:49] op_sel:[1,1] op_sel_hi:[0,1]
	s_delay_alu instid0(VALU_DEP_1) | instskip(SKIP_1) | instid1(VALU_DEP_2)
	v_pk_fma_f32 v[88:89], v[50:51], v[48:49], v[86:87] op_sel_hi:[1,0,1]
	v_pk_fma_f32 v[48:49], v[50:51], v[48:49], v[86:87] neg_lo:[0,0,1] neg_hi:[0,0,1]
	v_mov_b32_e32 v49, v89
	s_delay_alu instid0(VALU_DEP_1)
	v_pk_add_f32 v[46:47], v[46:47], v[48:49]
	s_or_b32 exec_lo, exec_lo, s14
	s_and_saveexec_b32 s14, s17
	s_cbranch_execnz .LBB151_130
	s_branch .LBB151_131
.LBB151_1006:                           ;   in Loop: Header=BB151_3 Depth=1
	ds_load_b64 v[48:49], v60 offset:4704
	ds_load_b64 v[50:51], v56 offset:4168
	s_wait_dscnt 0x0
	v_dual_mul_f32 v0, v51, v49 :: v_dual_mul_f32 v3, v50, v49
	s_delay_alu instid0(VALU_DEP_1) | instskip(NEXT) | instid1(VALU_DEP_1)
	v_dual_fma_f32 v0, v50, v48, -v0 :: v_dual_fmac_f32 v3, v51, v48
	v_dual_add_f32 v46, v46, v0 :: v_dual_add_f32 v47, v47, v3
	s_or_b32 exec_lo, exec_lo, s14
	s_and_saveexec_b32 s14, s17
	s_cbranch_execz .LBB151_183
.LBB151_1007:                           ;   in Loop: Header=BB151_3 Depth=1
	ds_load_b64 v[48:49], v59 offset:5216
	ds_load_b64 v[50:51], v56 offset:4176
	s_wait_dscnt 0x0
	v_dual_mul_f32 v0, v51, v49 :: v_dual_mul_f32 v3, v50, v49
	s_delay_alu instid0(VALU_DEP_1) | instskip(NEXT) | instid1(VALU_DEP_1)
	v_dual_fma_f32 v0, v50, v48, -v0 :: v_dual_fmac_f32 v3, v51, v48
	v_dual_add_f32 v46, v46, v0 :: v_dual_add_f32 v47, v47, v3
	s_or_b32 exec_lo, exec_lo, s14
	s_and_saveexec_b32 s14, s1
	s_cbranch_execnz .LBB151_184
	s_branch .LBB151_185
.LBB151_1008:                           ;   in Loop: Header=BB151_3 Depth=1
	ds_load_b64 v[48:49], v70 offset:5760
	ds_load_b64 v[50:51], v66 offset:88
	s_wait_dscnt 0x0
	v_dual_mul_f32 v0, v51, v49 :: v_dual_mul_f32 v3, v50, v49
	s_delay_alu instid0(VALU_DEP_1) | instskip(NEXT) | instid1(VALU_DEP_1)
	v_dual_fma_f32 v0, v50, v48, -v0 :: v_dual_fmac_f32 v3, v51, v48
	v_dual_add_f32 v46, v46, v0 :: v_dual_add_f32 v47, v47, v3
	s_or_b32 exec_lo, exec_lo, s9
	s_and_saveexec_b32 s9, s3
	s_cbranch_execz .LBB151_241
.LBB151_1009:                           ;   in Loop: Header=BB151_3 Depth=1
	ds_load_b64 v[48:49], v69 offset:6272
	ds_load_b64 v[50:51], v66 offset:96
	s_wait_dscnt 0x0
	v_dual_mul_f32 v0, v51, v49 :: v_dual_mul_f32 v3, v50, v49
	s_delay_alu instid0(VALU_DEP_1) | instskip(NEXT) | instid1(VALU_DEP_1)
	v_dual_fma_f32 v0, v50, v48, -v0 :: v_dual_fmac_f32 v3, v51, v48
	v_dual_add_f32 v46, v46, v0 :: v_dual_add_f32 v47, v47, v3
	s_or_b32 exec_lo, exec_lo, s9
	s_and_saveexec_b32 s9, s19
	s_cbranch_execz .LBB151_242
.LBB151_1010:                           ;   in Loop: Header=BB151_3 Depth=1
	ds_load_b64 v[48:49], v70 offset:6784
	ds_load_b64 v[50:51], v66 offset:104
	s_wait_dscnt 0x0
	v_dual_mul_f32 v0, v51, v49 :: v_dual_mul_f32 v3, v50, v49
	s_delay_alu instid0(VALU_DEP_1) | instskip(NEXT) | instid1(VALU_DEP_1)
	v_dual_fma_f32 v0, v50, v48, -v0 :: v_dual_fmac_f32 v3, v51, v48
	v_dual_add_f32 v46, v46, v0 :: v_dual_add_f32 v47, v47, v3
	s_or_b32 exec_lo, exec_lo, s9
	s_and_saveexec_b32 s9, s21
	s_cbranch_execz .LBB151_243
.LBB151_1011:                           ;   in Loop: Header=BB151_3 Depth=1
	ds_load_b64 v[48:49], v69 offset:7296
	ds_load_b64 v[50:51], v66 offset:112
	s_wait_dscnt 0x0
	v_dual_mul_f32 v0, v51, v49 :: v_dual_mul_f32 v3, v50, v49
	s_delay_alu instid0(VALU_DEP_1) | instskip(NEXT) | instid1(VALU_DEP_1)
	v_dual_fma_f32 v0, v50, v48, -v0 :: v_dual_fmac_f32 v3, v51, v48
	v_dual_add_f32 v46, v46, v0 :: v_dual_add_f32 v47, v47, v3
	s_or_b32 exec_lo, exec_lo, s9
	s_and_saveexec_b32 s9, s2
	s_cbranch_execnz .LBB151_244
	s_branch .LBB151_245
.LBB151_1012:                           ;   in Loop: Header=BB151_3 Depth=1
	ds_load_b64 v[48:49], v60 offset:8864
	ds_load_b64 v[50:51], v56 offset:8328
	s_wait_dscnt 0x0
	v_dual_mul_f32 v0, v51, v49 :: v_dual_mul_f32 v3, v50, v49
	s_delay_alu instid0(VALU_DEP_1) | instskip(NEXT) | instid1(VALU_DEP_1)
	v_dual_fma_f32 v0, v50, v48, -v0 :: v_dual_fmac_f32 v3, v51, v48
	v_dual_add_f32 v46, v46, v0 :: v_dual_add_f32 v47, v47, v3
	s_or_b32 exec_lo, exec_lo, s14
	s_and_saveexec_b32 s14, s17
	s_cbranch_execz .LBB151_329
.LBB151_1013:                           ;   in Loop: Header=BB151_3 Depth=1
	ds_load_b64 v[48:49], v59 offset:9376
	ds_load_b64 v[50:51], v56 offset:8336
	s_wait_dscnt 0x0
	v_dual_mul_f32 v0, v51, v49 :: v_dual_mul_f32 v3, v50, v49
	s_delay_alu instid0(VALU_DEP_1) | instskip(NEXT) | instid1(VALU_DEP_1)
	v_dual_fma_f32 v0, v50, v48, -v0 :: v_dual_fmac_f32 v3, v51, v48
	v_dual_add_f32 v46, v46, v0 :: v_dual_add_f32 v47, v47, v3
	s_or_b32 exec_lo, exec_lo, s14
	s_and_saveexec_b32 s14, s1
	s_cbranch_execnz .LBB151_330
	s_branch .LBB151_331
.LBB151_1014:                           ;   in Loop: Header=BB151_3 Depth=1
	ds_load_b64 v[48:49], v65 offset:8896
	ds_load_b64 v[50:51], v61 offset:8328
	s_wait_dscnt 0x0
	v_dual_mul_f32 v0, v51, v49 :: v_dual_mul_f32 v3, v50, v49
	s_delay_alu instid0(VALU_DEP_1) | instskip(NEXT) | instid1(VALU_DEP_1)
	v_dual_fma_f32 v0, v50, v48, -v0 :: v_dual_fmac_f32 v3, v51, v48
	v_dual_add_f32 v46, v46, v0 :: v_dual_add_f32 v47, v47, v3
	s_or_b32 exec_lo, exec_lo, s14
	s_and_saveexec_b32 s14, s19
	s_cbranch_execz .LBB151_367
.LBB151_1015:                           ;   in Loop: Header=BB151_3 Depth=1
	ds_load_b64 v[48:49], v65 offset:9408
	ds_load_b64 v[50:51], v61 offset:8336
	s_wait_dscnt 0x0
	v_dual_mul_f32 v0, v51, v49 :: v_dual_mul_f32 v3, v50, v49
	s_delay_alu instid0(VALU_DEP_1) | instskip(NEXT) | instid1(VALU_DEP_1)
	v_dual_fma_f32 v0, v50, v48, -v0 :: v_dual_fmac_f32 v3, v51, v48
	v_dual_add_f32 v46, v46, v0 :: v_dual_add_f32 v47, v47, v3
	s_or_b32 exec_lo, exec_lo, s14
	s_and_saveexec_b32 s14, s20
	s_cbranch_execz .LBB151_368
.LBB151_1016:                           ;   in Loop: Header=BB151_3 Depth=1
	ds_load_b64 v[48:49], v65 offset:9920
	ds_load_b64 v[50:51], v61 offset:8344
	s_wait_dscnt 0x0
	v_dual_mul_f32 v0, v51, v49 :: v_dual_mul_f32 v3, v50, v49
	s_delay_alu instid0(VALU_DEP_1) | instskip(NEXT) | instid1(VALU_DEP_1)
	v_dual_fma_f32 v0, v50, v48, -v0 :: v_dual_fmac_f32 v3, v51, v48
	v_dual_add_f32 v46, v46, v0 :: v_dual_add_f32 v47, v47, v3
	s_or_b32 exec_lo, exec_lo, s14
	s_and_saveexec_b32 s14, s21
	s_cbranch_execz .LBB151_369
.LBB151_1017:                           ;   in Loop: Header=BB151_3 Depth=1
	ds_load_b64 v[48:49], v64 offset:10432
	ds_load_b64 v[50:51], v61 offset:8352
	s_wait_dscnt 0x0
	v_dual_mul_f32 v0, v51, v49 :: v_dual_mul_f32 v3, v50, v49
	s_delay_alu instid0(VALU_DEP_1) | instskip(NEXT) | instid1(VALU_DEP_1)
	v_dual_fma_f32 v0, v50, v48, -v0 :: v_dual_fmac_f32 v3, v51, v48
	v_dual_add_f32 v46, v46, v0 :: v_dual_add_f32 v47, v47, v3
	s_or_b32 exec_lo, exec_lo, s14
	s_and_saveexec_b32 s14, s22
	s_cbranch_execz .LBB151_370
.LBB151_1018:                           ;   in Loop: Header=BB151_3 Depth=1
	ds_load_b64 v[48:49], v65 offset:10944
	ds_load_b64 v[50:51], v61 offset:8360
	s_wait_dscnt 0x0
	v_dual_mul_f32 v0, v51, v49 :: v_dual_mul_f32 v87, v50, v49
	s_delay_alu instid0(VALU_DEP_1) | instskip(NEXT) | instid1(VALU_DEP_1)
	v_dual_fma_f32 v86, v50, v48, -v0 :: v_dual_fmac_f32 v87, v51, v48
	v_pk_add_f32 v[46:47], v[46:47], v[86:87]
	s_or_b32 exec_lo, exec_lo, s14
	s_and_saveexec_b32 s14, s2
	s_cbranch_execz .LBB151_371
.LBB151_1019:                           ;   in Loop: Header=BB151_3 Depth=1
	ds_load_b64 v[48:49], v64 offset:11456
	ds_load_b64 v[50:51], v61 offset:8368
	s_wait_dscnt 0x0
	v_pk_mul_f32 v[86:87], v[50:51], v[48:49] op_sel:[1,1] op_sel_hi:[0,1]
	s_delay_alu instid0(VALU_DEP_1) | instskip(SKIP_1) | instid1(VALU_DEP_2)
	v_pk_fma_f32 v[88:89], v[50:51], v[48:49], v[86:87] op_sel_hi:[1,0,1]
	v_pk_fma_f32 v[48:49], v[50:51], v[48:49], v[86:87] neg_lo:[0,0,1] neg_hi:[0,0,1]
	v_mov_b32_e32 v49, v89
	s_delay_alu instid0(VALU_DEP_1)
	v_pk_add_f32 v[46:47], v[46:47], v[48:49]
	s_or_b32 exec_lo, exec_lo, s14
	s_and_saveexec_b32 s14, s17
	s_cbranch_execnz .LBB151_372
	s_branch .LBB151_373
.LBB151_1020:                           ;   in Loop: Header=BB151_3 Depth=1
	ds_load_b64 v[48:49], v60 offset:13024
	ds_load_b64 v[50:51], v56 offset:12488
	s_wait_dscnt 0x0
	v_dual_mul_f32 v0, v51, v49 :: v_dual_mul_f32 v3, v50, v49
	s_delay_alu instid0(VALU_DEP_1) | instskip(NEXT) | instid1(VALU_DEP_1)
	v_dual_fma_f32 v0, v50, v48, -v0 :: v_dual_fmac_f32 v3, v51, v48
	v_dual_add_f32 v46, v46, v0 :: v_dual_add_f32 v47, v47, v3
	s_or_b32 exec_lo, exec_lo, s14
	s_and_saveexec_b32 s14, s17
	s_cbranch_execz .LBB151_425
.LBB151_1021:                           ;   in Loop: Header=BB151_3 Depth=1
	ds_load_b64 v[48:49], v59 offset:13536
	ds_load_b64 v[50:51], v56 offset:12496
	s_wait_dscnt 0x0
	v_dual_mul_f32 v0, v51, v49 :: v_dual_mul_f32 v3, v50, v49
	s_delay_alu instid0(VALU_DEP_1) | instskip(NEXT) | instid1(VALU_DEP_1)
	v_dual_fma_f32 v0, v50, v48, -v0 :: v_dual_fmac_f32 v3, v51, v48
	v_dual_add_f32 v46, v46, v0 :: v_dual_add_f32 v47, v47, v3
	s_or_b32 exec_lo, exec_lo, s14
	s_and_saveexec_b32 s14, s1
	s_cbranch_execnz .LBB151_426
	s_branch .LBB151_427
.LBB151_1022:                           ;   in Loop: Header=BB151_3 Depth=1
	ds_load_b64 v[48:49], v3 offset:14080
	ds_load_b64 v[50:51], v0 offset:216
	s_wait_dscnt 0x0
	v_pk_mul_f32 v[86:87], v[50:51], v[48:49] op_sel:[1,1] op_sel_hi:[0,1]
	s_delay_alu instid0(VALU_DEP_1) | instskip(SKIP_1) | instid1(VALU_DEP_2)
	v_pk_fma_f32 v[88:89], v[50:51], v[48:49], v[86:87] op_sel_hi:[1,0,1]
	v_pk_fma_f32 v[48:49], v[50:51], v[48:49], v[86:87] neg_lo:[0,0,1] neg_hi:[0,0,1]
	v_mov_b32_e32 v49, v89
	s_delay_alu instid0(VALU_DEP_1)
	v_pk_add_f32 v[46:47], v[46:47], v[48:49]
	s_or_b32 exec_lo, exec_lo, s9
	s_and_saveexec_b32 s9, s13
	s_cbranch_execz .LBB151_515
.LBB151_1023:                           ;   in Loop: Header=BB151_3 Depth=1
	ds_load_b64 v[48:49], v3 offset:14592
	ds_load_b64 v[50:51], v0 offset:224
	s_wait_dscnt 0x0
	v_pk_mul_f32 v[86:87], v[50:51], v[48:49] op_sel:[1,1] op_sel_hi:[0,1]
	s_delay_alu instid0(VALU_DEP_1) | instskip(SKIP_1) | instid1(VALU_DEP_2)
	v_pk_fma_f32 v[88:89], v[50:51], v[48:49], v[86:87] op_sel_hi:[1,0,1]
	v_pk_fma_f32 v[48:49], v[50:51], v[48:49], v[86:87] neg_lo:[0,0,1] neg_hi:[0,0,1]
	v_mov_b32_e32 v49, v89
	s_delay_alu instid0(VALU_DEP_1)
	v_pk_add_f32 v[46:47], v[46:47], v[48:49]
	s_or_b32 exec_lo, exec_lo, s9
	s_and_saveexec_b32 s9, s6
	s_cbranch_execz .LBB151_516
.LBB151_1024:                           ;   in Loop: Header=BB151_3 Depth=1
	ds_load_b64 v[48:49], v3 offset:15104
	ds_load_b64 v[50:51], v0 offset:232
	s_wait_dscnt 0x0
	v_pk_mul_f32 v[86:87], v[50:51], v[48:49] op_sel:[1,1] op_sel_hi:[0,1]
	s_delay_alu instid0(VALU_DEP_1) | instskip(SKIP_1) | instid1(VALU_DEP_2)
	v_pk_fma_f32 v[88:89], v[50:51], v[48:49], v[86:87] op_sel_hi:[1,0,1]
	v_pk_fma_f32 v[48:49], v[50:51], v[48:49], v[86:87] neg_lo:[0,0,1] neg_hi:[0,0,1]
	v_mov_b32_e32 v49, v89
	s_delay_alu instid0(VALU_DEP_1)
	v_pk_add_f32 v[46:47], v[46:47], v[48:49]
	s_or_b32 exec_lo, exec_lo, s9
	s_and_saveexec_b32 s9, s3
	s_cbranch_execz .LBB151_517
.LBB151_1025:                           ;   in Loop: Header=BB151_3 Depth=1
	ds_load_b64 v[48:49], v3 offset:15616
	ds_load_b64 v[50:51], v0 offset:240
	s_wait_dscnt 0x0
	v_pk_mul_f32 v[86:87], v[50:51], v[48:49] op_sel:[1,1] op_sel_hi:[0,1]
	s_delay_alu instid0(VALU_DEP_1) | instskip(SKIP_1) | instid1(VALU_DEP_2)
	v_pk_fma_f32 v[88:89], v[50:51], v[48:49], v[86:87] op_sel_hi:[1,0,1]
	v_pk_fma_f32 v[48:49], v[50:51], v[48:49], v[86:87] neg_lo:[0,0,1] neg_hi:[0,0,1]
	v_mov_b32_e32 v49, v89
	s_delay_alu instid0(VALU_DEP_1)
	v_pk_add_f32 v[46:47], v[46:47], v[48:49]
	s_or_b32 exec_lo, exec_lo, s9
	s_and_saveexec_b32 s9, s21
	s_cbranch_execnz .LBB151_518
	s_branch .LBB151_519
.LBB151_1026:                           ;   in Loop: Header=BB151_3 Depth=1
	ds_load_b64 v[48:49], v60 offset:17184
	ds_load_b64 v[50:51], v56 offset:16648
	s_wait_dscnt 0x0
	v_dual_mul_f32 v0, v51, v49 :: v_dual_mul_f32 v3, v50, v49
	s_delay_alu instid0(VALU_DEP_1) | instskip(NEXT) | instid1(VALU_DEP_1)
	v_dual_fma_f32 v0, v50, v48, -v0 :: v_dual_fmac_f32 v3, v51, v48
	v_dual_add_f32 v46, v46, v0 :: v_dual_add_f32 v47, v47, v3
	s_or_b32 exec_lo, exec_lo, s14
	s_and_saveexec_b32 s14, s17
	s_cbranch_execz .LBB151_559
.LBB151_1027:                           ;   in Loop: Header=BB151_3 Depth=1
	ds_load_b64 v[48:49], v59 offset:17696
	ds_load_b64 v[50:51], v56 offset:16656
	s_wait_dscnt 0x0
	v_dual_mul_f32 v0, v51, v49 :: v_dual_mul_f32 v3, v50, v49
	s_delay_alu instid0(VALU_DEP_1) | instskip(NEXT) | instid1(VALU_DEP_1)
	v_dual_fma_f32 v0, v50, v48, -v0 :: v_dual_fmac_f32 v3, v51, v48
	v_dual_add_f32 v46, v46, v0 :: v_dual_add_f32 v47, v47, v3
	s_or_b32 exec_lo, exec_lo, s14
	s_and_saveexec_b32 s14, s1
	s_cbranch_execnz .LBB151_560
	s_branch .LBB151_561
.LBB151_1028:                           ;   in Loop: Header=BB151_3 Depth=1
	ds_load_b64 v[48:49], v65 offset:17216
	ds_load_b64 v[50:51], v61 offset:16648
	s_wait_dscnt 0x0
	v_dual_mul_f32 v0, v51, v49 :: v_dual_mul_f32 v3, v50, v49
	s_delay_alu instid0(VALU_DEP_1) | instskip(NEXT) | instid1(VALU_DEP_1)
	v_dual_fma_f32 v0, v50, v48, -v0 :: v_dual_fmac_f32 v3, v51, v48
	v_dual_add_f32 v46, v46, v0 :: v_dual_add_f32 v47, v47, v3
	s_or_b32 exec_lo, exec_lo, s14
	s_and_saveexec_b32 s14, s19
	s_cbranch_execz .LBB151_597
.LBB151_1029:                           ;   in Loop: Header=BB151_3 Depth=1
	ds_load_b64 v[48:49], v65 offset:17728
	ds_load_b64 v[50:51], v61 offset:16656
	s_wait_dscnt 0x0
	v_dual_mul_f32 v0, v51, v49 :: v_dual_mul_f32 v3, v50, v49
	s_delay_alu instid0(VALU_DEP_1) | instskip(NEXT) | instid1(VALU_DEP_1)
	v_dual_fma_f32 v0, v50, v48, -v0 :: v_dual_fmac_f32 v3, v51, v48
	v_dual_add_f32 v46, v46, v0 :: v_dual_add_f32 v47, v47, v3
	s_or_b32 exec_lo, exec_lo, s14
	s_and_saveexec_b32 s14, s20
	s_cbranch_execz .LBB151_598
.LBB151_1030:                           ;   in Loop: Header=BB151_3 Depth=1
	ds_load_b64 v[48:49], v65 offset:18240
	ds_load_b64 v[50:51], v61 offset:16664
	s_wait_dscnt 0x0
	v_dual_mul_f32 v0, v51, v49 :: v_dual_mul_f32 v3, v50, v49
	s_delay_alu instid0(VALU_DEP_1) | instskip(NEXT) | instid1(VALU_DEP_1)
	v_dual_fma_f32 v0, v50, v48, -v0 :: v_dual_fmac_f32 v3, v51, v48
	v_dual_add_f32 v46, v46, v0 :: v_dual_add_f32 v47, v47, v3
	s_or_b32 exec_lo, exec_lo, s14
	s_and_saveexec_b32 s14, s21
	s_cbranch_execz .LBB151_599
.LBB151_1031:                           ;   in Loop: Header=BB151_3 Depth=1
	ds_load_b64 v[48:49], v64 offset:18752
	ds_load_b64 v[50:51], v61 offset:16672
	s_wait_dscnt 0x0
	v_dual_mul_f32 v0, v51, v49 :: v_dual_mul_f32 v3, v50, v49
	s_delay_alu instid0(VALU_DEP_1) | instskip(NEXT) | instid1(VALU_DEP_1)
	v_dual_fma_f32 v0, v50, v48, -v0 :: v_dual_fmac_f32 v3, v51, v48
	v_dual_add_f32 v46, v46, v0 :: v_dual_add_f32 v47, v47, v3
	s_or_b32 exec_lo, exec_lo, s14
	s_and_saveexec_b32 s14, s22
	s_cbranch_execz .LBB151_600
.LBB151_1032:                           ;   in Loop: Header=BB151_3 Depth=1
	ds_load_b64 v[48:49], v65 offset:19264
	ds_load_b64 v[50:51], v61 offset:16680
	s_wait_dscnt 0x0
	v_dual_mul_f32 v0, v51, v49 :: v_dual_mul_f32 v87, v50, v49
	s_delay_alu instid0(VALU_DEP_1) | instskip(NEXT) | instid1(VALU_DEP_1)
	v_dual_fma_f32 v86, v50, v48, -v0 :: v_dual_fmac_f32 v87, v51, v48
	v_pk_add_f32 v[46:47], v[46:47], v[86:87]
	s_or_b32 exec_lo, exec_lo, s14
	s_and_saveexec_b32 s14, s2
	s_cbranch_execz .LBB151_601
.LBB151_1033:                           ;   in Loop: Header=BB151_3 Depth=1
	ds_load_b64 v[48:49], v64 offset:19776
	ds_load_b64 v[50:51], v61 offset:16688
	s_wait_dscnt 0x0
	v_pk_mul_f32 v[86:87], v[50:51], v[48:49] op_sel:[1,1] op_sel_hi:[0,1]
	s_delay_alu instid0(VALU_DEP_1) | instskip(SKIP_1) | instid1(VALU_DEP_2)
	v_pk_fma_f32 v[88:89], v[50:51], v[48:49], v[86:87] op_sel_hi:[1,0,1]
	v_pk_fma_f32 v[48:49], v[50:51], v[48:49], v[86:87] neg_lo:[0,0,1] neg_hi:[0,0,1]
	v_mov_b32_e32 v49, v89
	s_delay_alu instid0(VALU_DEP_1)
	v_pk_add_f32 v[46:47], v[46:47], v[48:49]
	s_or_b32 exec_lo, exec_lo, s14
	s_and_saveexec_b32 s14, s17
	s_cbranch_execnz .LBB151_602
	s_branch .LBB151_603
.LBB151_1034:                           ;   in Loop: Header=BB151_3 Depth=1
	ds_load_b64 v[48:49], v60 offset:21344
	ds_load_b64 v[50:51], v56 offset:20808
	s_wait_dscnt 0x0
	v_dual_mul_f32 v0, v51, v49 :: v_dual_mul_f32 v3, v50, v49
	s_delay_alu instid0(VALU_DEP_1) | instskip(NEXT) | instid1(VALU_DEP_1)
	v_dual_fma_f32 v0, v50, v48, -v0 :: v_dual_fmac_f32 v3, v51, v48
	v_dual_add_f32 v46, v46, v0 :: v_dual_add_f32 v47, v47, v3
	s_or_b32 exec_lo, exec_lo, s14
	s_and_saveexec_b32 s14, s17
	s_cbranch_execz .LBB151_655
.LBB151_1035:                           ;   in Loop: Header=BB151_3 Depth=1
	ds_load_b64 v[48:49], v59 offset:21856
	ds_load_b64 v[50:51], v56 offset:20816
	s_wait_dscnt 0x0
	v_dual_mul_f32 v0, v51, v49 :: v_dual_mul_f32 v3, v50, v49
	s_delay_alu instid0(VALU_DEP_1) | instskip(NEXT) | instid1(VALU_DEP_1)
	v_dual_fma_f32 v0, v50, v48, -v0 :: v_dual_fmac_f32 v3, v51, v48
	v_dual_add_f32 v46, v46, v0 :: v_dual_add_f32 v47, v47, v3
	s_or_b32 exec_lo, exec_lo, s14
	s_and_saveexec_b32 s14, s1
	s_cbranch_execnz .LBB151_656
	s_branch .LBB151_657
.LBB151_1036:                           ;   in Loop: Header=BB151_3 Depth=1
	ds_load_b64 v[48:49], v70 offset:22400
	ds_load_b64 v[50:51], v66 offset:16728
	s_wait_dscnt 0x0
	v_dual_mul_f32 v0, v51, v49 :: v_dual_mul_f32 v3, v50, v49
	s_delay_alu instid0(VALU_DEP_1) | instskip(NEXT) | instid1(VALU_DEP_1)
	v_dual_fma_f32 v0, v50, v48, -v0 :: v_dual_fmac_f32 v3, v51, v48
	v_dual_add_f32 v46, v46, v0 :: v_dual_add_f32 v47, v47, v3
	s_or_b32 exec_lo, exec_lo, s9
	s_and_saveexec_b32 s9, s3
	s_cbranch_execz .LBB151_713
.LBB151_1037:                           ;   in Loop: Header=BB151_3 Depth=1
	ds_load_b64 v[48:49], v69 offset:22912
	ds_load_b64 v[50:51], v66 offset:16736
	s_wait_dscnt 0x0
	v_dual_mul_f32 v0, v51, v49 :: v_dual_mul_f32 v3, v50, v49
	s_delay_alu instid0(VALU_DEP_1) | instskip(NEXT) | instid1(VALU_DEP_1)
	v_dual_fma_f32 v0, v50, v48, -v0 :: v_dual_fmac_f32 v3, v51, v48
	v_dual_add_f32 v46, v46, v0 :: v_dual_add_f32 v47, v47, v3
	s_or_b32 exec_lo, exec_lo, s9
	s_and_saveexec_b32 s9, s19
	s_cbranch_execz .LBB151_714
.LBB151_1038:                           ;   in Loop: Header=BB151_3 Depth=1
	ds_load_b64 v[48:49], v70 offset:23424
	ds_load_b64 v[50:51], v66 offset:16744
	s_wait_dscnt 0x0
	v_dual_mul_f32 v0, v51, v49 :: v_dual_mul_f32 v3, v50, v49
	s_delay_alu instid0(VALU_DEP_1) | instskip(NEXT) | instid1(VALU_DEP_1)
	v_dual_fma_f32 v0, v50, v48, -v0 :: v_dual_fmac_f32 v3, v51, v48
	v_dual_add_f32 v46, v46, v0 :: v_dual_add_f32 v47, v47, v3
	s_or_b32 exec_lo, exec_lo, s9
	s_and_saveexec_b32 s9, s21
	s_cbranch_execz .LBB151_715
.LBB151_1039:                           ;   in Loop: Header=BB151_3 Depth=1
	ds_load_b64 v[48:49], v69 offset:23936
	ds_load_b64 v[50:51], v66 offset:16752
	s_wait_dscnt 0x0
	v_dual_mul_f32 v0, v51, v49 :: v_dual_mul_f32 v3, v50, v49
	s_delay_alu instid0(VALU_DEP_1) | instskip(NEXT) | instid1(VALU_DEP_1)
	v_dual_fma_f32 v0, v50, v48, -v0 :: v_dual_fmac_f32 v3, v51, v48
	v_dual_add_f32 v46, v46, v0 :: v_dual_add_f32 v47, v47, v3
	s_or_b32 exec_lo, exec_lo, s9
	s_and_saveexec_b32 s9, s2
	s_cbranch_execnz .LBB151_716
	s_branch .LBB151_717
.LBB151_1040:                           ;   in Loop: Header=BB151_3 Depth=1
	ds_load_b64 v[48:49], v60 offset:25504
	ds_load_b64 v[50:51], v56 offset:24968
	s_wait_dscnt 0x0
	v_dual_mul_f32 v0, v51, v49 :: v_dual_mul_f32 v3, v50, v49
	s_delay_alu instid0(VALU_DEP_1) | instskip(NEXT) | instid1(VALU_DEP_1)
	v_dual_fma_f32 v0, v50, v48, -v0 :: v_dual_fmac_f32 v3, v51, v48
	v_dual_add_f32 v46, v46, v0 :: v_dual_add_f32 v47, v47, v3
	s_or_b32 exec_lo, exec_lo, s14
	s_and_saveexec_b32 s14, s17
	s_cbranch_execz .LBB151_801
.LBB151_1041:                           ;   in Loop: Header=BB151_3 Depth=1
	ds_load_b64 v[48:49], v59 offset:26016
	ds_load_b64 v[50:51], v56 offset:24976
	s_wait_dscnt 0x0
	v_dual_mul_f32 v0, v51, v49 :: v_dual_mul_f32 v3, v50, v49
	s_delay_alu instid0(VALU_DEP_1) | instskip(NEXT) | instid1(VALU_DEP_1)
	v_dual_fma_f32 v0, v50, v48, -v0 :: v_dual_fmac_f32 v3, v51, v48
	v_dual_add_f32 v46, v46, v0 :: v_dual_add_f32 v47, v47, v3
	s_or_b32 exec_lo, exec_lo, s14
	s_and_saveexec_b32 s14, s1
	s_cbranch_execnz .LBB151_802
	s_branch .LBB151_803
.LBB151_1042:                           ;   in Loop: Header=BB151_3 Depth=1
	ds_load_b64 v[48:49], v65 offset:25536
	ds_load_b64 v[50:51], v61 offset:24968
	s_wait_dscnt 0x0
	v_dual_mul_f32 v0, v51, v49 :: v_dual_mul_f32 v3, v50, v49
	s_delay_alu instid0(VALU_DEP_1) | instskip(NEXT) | instid1(VALU_DEP_1)
	v_dual_fma_f32 v0, v50, v48, -v0 :: v_dual_fmac_f32 v3, v51, v48
	v_dual_add_f32 v46, v46, v0 :: v_dual_add_f32 v47, v47, v3
	s_or_b32 exec_lo, exec_lo, s14
	s_and_saveexec_b32 s14, s19
	s_cbranch_execz .LBB151_839
.LBB151_1043:                           ;   in Loop: Header=BB151_3 Depth=1
	ds_load_b64 v[48:49], v65 offset:26048
	ds_load_b64 v[50:51], v61 offset:24976
	s_wait_dscnt 0x0
	v_dual_mul_f32 v0, v51, v49 :: v_dual_mul_f32 v3, v50, v49
	s_delay_alu instid0(VALU_DEP_1) | instskip(NEXT) | instid1(VALU_DEP_1)
	v_dual_fma_f32 v0, v50, v48, -v0 :: v_dual_fmac_f32 v3, v51, v48
	v_dual_add_f32 v46, v46, v0 :: v_dual_add_f32 v47, v47, v3
	s_or_b32 exec_lo, exec_lo, s14
	s_and_saveexec_b32 s14, s20
	s_cbranch_execz .LBB151_840
.LBB151_1044:                           ;   in Loop: Header=BB151_3 Depth=1
	ds_load_b64 v[48:49], v65 offset:26560
	ds_load_b64 v[50:51], v61 offset:24984
	s_wait_dscnt 0x0
	v_dual_mul_f32 v0, v51, v49 :: v_dual_mul_f32 v3, v50, v49
	s_delay_alu instid0(VALU_DEP_1) | instskip(NEXT) | instid1(VALU_DEP_1)
	v_dual_fma_f32 v0, v50, v48, -v0 :: v_dual_fmac_f32 v3, v51, v48
	v_dual_add_f32 v46, v46, v0 :: v_dual_add_f32 v47, v47, v3
	s_or_b32 exec_lo, exec_lo, s14
	s_and_saveexec_b32 s14, s21
	s_cbranch_execz .LBB151_841
.LBB151_1045:                           ;   in Loop: Header=BB151_3 Depth=1
	ds_load_b64 v[48:49], v64 offset:27072
	ds_load_b64 v[50:51], v61 offset:24992
	s_wait_dscnt 0x0
	v_dual_mul_f32 v0, v51, v49 :: v_dual_mul_f32 v3, v50, v49
	s_delay_alu instid0(VALU_DEP_1) | instskip(NEXT) | instid1(VALU_DEP_1)
	v_dual_fma_f32 v0, v50, v48, -v0 :: v_dual_fmac_f32 v3, v51, v48
	v_dual_add_f32 v46, v46, v0 :: v_dual_add_f32 v47, v47, v3
	s_or_b32 exec_lo, exec_lo, s14
	s_and_saveexec_b32 s14, s22
	s_cbranch_execz .LBB151_842
.LBB151_1046:                           ;   in Loop: Header=BB151_3 Depth=1
	ds_load_b64 v[48:49], v65 offset:27584
	ds_load_b64 v[50:51], v61 offset:25000
	s_wait_dscnt 0x0
	v_dual_mul_f32 v0, v51, v49 :: v_dual_mul_f32 v87, v50, v49
	s_delay_alu instid0(VALU_DEP_1) | instskip(NEXT) | instid1(VALU_DEP_1)
	v_dual_fma_f32 v86, v50, v48, -v0 :: v_dual_fmac_f32 v87, v51, v48
	v_pk_add_f32 v[46:47], v[46:47], v[86:87]
	s_or_b32 exec_lo, exec_lo, s14
	s_and_saveexec_b32 s14, s2
	s_cbranch_execz .LBB151_843
.LBB151_1047:                           ;   in Loop: Header=BB151_3 Depth=1
	ds_load_b64 v[48:49], v64 offset:28096
	ds_load_b64 v[50:51], v61 offset:25008
	s_wait_dscnt 0x0
	v_pk_mul_f32 v[86:87], v[50:51], v[48:49] op_sel:[1,1] op_sel_hi:[0,1]
	s_delay_alu instid0(VALU_DEP_1) | instskip(SKIP_1) | instid1(VALU_DEP_2)
	v_pk_fma_f32 v[88:89], v[50:51], v[48:49], v[86:87] op_sel_hi:[1,0,1]
	v_pk_fma_f32 v[48:49], v[50:51], v[48:49], v[86:87] neg_lo:[0,0,1] neg_hi:[0,0,1]
	v_mov_b32_e32 v49, v89
	s_delay_alu instid0(VALU_DEP_1)
	v_pk_add_f32 v[46:47], v[46:47], v[48:49]
	s_or_b32 exec_lo, exec_lo, s14
	s_and_saveexec_b32 s14, s17
	s_cbranch_execnz .LBB151_844
	s_branch .LBB151_845
.LBB151_1048:                           ;   in Loop: Header=BB151_3 Depth=1
	ds_load_b64 v[48:49], v60 offset:29664
	ds_load_b64 v[50:51], v56 offset:29128
	s_wait_dscnt 0x0
	v_dual_mul_f32 v0, v51, v49 :: v_dual_mul_f32 v3, v50, v49
	s_delay_alu instid0(VALU_DEP_1) | instskip(NEXT) | instid1(VALU_DEP_1)
	v_dual_fma_f32 v0, v50, v48, -v0 :: v_dual_fmac_f32 v3, v51, v48
	v_dual_add_f32 v46, v46, v0 :: v_dual_add_f32 v47, v47, v3
	s_or_b32 exec_lo, exec_lo, s14
	s_and_saveexec_b32 s14, s17
	s_cbranch_execz .LBB151_897
.LBB151_1049:                           ;   in Loop: Header=BB151_3 Depth=1
	ds_load_b64 v[48:49], v59 offset:30176
	ds_load_b64 v[50:51], v56 offset:29136
	s_wait_dscnt 0x0
	v_dual_mul_f32 v0, v51, v49 :: v_dual_mul_f32 v3, v50, v49
	s_delay_alu instid0(VALU_DEP_1) | instskip(NEXT) | instid1(VALU_DEP_1)
	v_dual_fma_f32 v0, v50, v48, -v0 :: v_dual_fmac_f32 v3, v51, v48
	v_dual_add_f32 v46, v46, v0 :: v_dual_add_f32 v47, v47, v3
	s_or_b32 exec_lo, exec_lo, s14
	s_and_saveexec_b32 s14, s1
	s_cbranch_execnz .LBB151_898
	s_branch .LBB151_899
.LBB151_1050:
	s_endpgm
	.section	.rodata,"a",@progbits
	.p2align	6, 0x0
	.amdhsa_kernel _ZL19rocblas_trsv_deviceILi64ELi16ELb1ELb0ELb0ELb1E19rocblas_complex_numIfEPKS1_PKS3_PKPS1_EviT7_lllT6_T8_lllPii
		.amdhsa_group_segment_fixed_size 41480
		.amdhsa_private_segment_fixed_size 48
		.amdhsa_kernarg_size 352
		.amdhsa_user_sgpr_count 2
		.amdhsa_user_sgpr_dispatch_ptr 0
		.amdhsa_user_sgpr_queue_ptr 0
		.amdhsa_user_sgpr_kernarg_segment_ptr 1
		.amdhsa_user_sgpr_dispatch_id 0
		.amdhsa_user_sgpr_kernarg_preload_length 0
		.amdhsa_user_sgpr_kernarg_preload_offset 0
		.amdhsa_user_sgpr_private_segment_size 0
		.amdhsa_wavefront_size32 1
		.amdhsa_uses_dynamic_stack 0
		.amdhsa_enable_private_segment 1
		.amdhsa_system_sgpr_workgroup_id_x 1
		.amdhsa_system_sgpr_workgroup_id_y 0
		.amdhsa_system_sgpr_workgroup_id_z 1
		.amdhsa_system_sgpr_workgroup_info 0
		.amdhsa_system_vgpr_workitem_id 1
		.amdhsa_next_free_vgpr 96
		.amdhsa_next_free_sgpr 105
		.amdhsa_named_barrier_count 0
		.amdhsa_reserve_vcc 1
		.amdhsa_float_round_mode_32 0
		.amdhsa_float_round_mode_16_64 0
		.amdhsa_float_denorm_mode_32 3
		.amdhsa_float_denorm_mode_16_64 3
		.amdhsa_fp16_overflow 0
		.amdhsa_memory_ordered 1
		.amdhsa_forward_progress 1
		.amdhsa_inst_pref_size 255
		.amdhsa_round_robin_scheduling 0
		.amdhsa_exception_fp_ieee_invalid_op 0
		.amdhsa_exception_fp_denorm_src 0
		.amdhsa_exception_fp_ieee_div_zero 0
		.amdhsa_exception_fp_ieee_overflow 0
		.amdhsa_exception_fp_ieee_underflow 0
		.amdhsa_exception_fp_ieee_inexact 0
		.amdhsa_exception_int_div_zero 0
	.end_amdhsa_kernel
	.section	.text._ZL19rocblas_trsv_deviceILi64ELi16ELb1ELb0ELb0ELb1E19rocblas_complex_numIfEPKS1_PKS3_PKPS1_EviT7_lllT6_T8_lllPii,"axG",@progbits,_ZL19rocblas_trsv_deviceILi64ELi16ELb1ELb0ELb0ELb1E19rocblas_complex_numIfEPKS1_PKS3_PKPS1_EviT7_lllT6_T8_lllPii,comdat
.Lfunc_end151:
	.size	_ZL19rocblas_trsv_deviceILi64ELi16ELb1ELb0ELb0ELb1E19rocblas_complex_numIfEPKS1_PKS3_PKPS1_EviT7_lllT6_T8_lllPii, .Lfunc_end151-_ZL19rocblas_trsv_deviceILi64ELi16ELb1ELb0ELb0ELb1E19rocblas_complex_numIfEPKS1_PKS3_PKPS1_EviT7_lllT6_T8_lllPii
                                        ; -- End function
	.set _ZL19rocblas_trsv_deviceILi64ELi16ELb1ELb0ELb0ELb1E19rocblas_complex_numIfEPKS1_PKS3_PKPS1_EviT7_lllT6_T8_lllPii.num_vgpr, 96
	.set _ZL19rocblas_trsv_deviceILi64ELi16ELb1ELb0ELb0ELb1E19rocblas_complex_numIfEPKS1_PKS3_PKPS1_EviT7_lllT6_T8_lllPii.num_agpr, 0
	.set _ZL19rocblas_trsv_deviceILi64ELi16ELb1ELb0ELb0ELb1E19rocblas_complex_numIfEPKS1_PKS3_PKPS1_EviT7_lllT6_T8_lllPii.numbered_sgpr, 105
	.set _ZL19rocblas_trsv_deviceILi64ELi16ELb1ELb0ELb0ELb1E19rocblas_complex_numIfEPKS1_PKS3_PKPS1_EviT7_lllT6_T8_lllPii.num_named_barrier, 0
	.set _ZL19rocblas_trsv_deviceILi64ELi16ELb1ELb0ELb0ELb1E19rocblas_complex_numIfEPKS1_PKS3_PKPS1_EviT7_lllT6_T8_lllPii.private_seg_size, 48
	.set _ZL19rocblas_trsv_deviceILi64ELi16ELb1ELb0ELb0ELb1E19rocblas_complex_numIfEPKS1_PKS3_PKPS1_EviT7_lllT6_T8_lllPii.uses_vcc, 1
	.set _ZL19rocblas_trsv_deviceILi64ELi16ELb1ELb0ELb0ELb1E19rocblas_complex_numIfEPKS1_PKS3_PKPS1_EviT7_lllT6_T8_lllPii.uses_flat_scratch, 0
	.set _ZL19rocblas_trsv_deviceILi64ELi16ELb1ELb0ELb0ELb1E19rocblas_complex_numIfEPKS1_PKS3_PKPS1_EviT7_lllT6_T8_lllPii.has_dyn_sized_stack, 0
	.set _ZL19rocblas_trsv_deviceILi64ELi16ELb1ELb0ELb0ELb1E19rocblas_complex_numIfEPKS1_PKS3_PKPS1_EviT7_lllT6_T8_lllPii.has_recursion, 0
	.set _ZL19rocblas_trsv_deviceILi64ELi16ELb1ELb0ELb0ELb1E19rocblas_complex_numIfEPKS1_PKS3_PKPS1_EviT7_lllT6_T8_lllPii.has_indirect_call, 0
	.section	.AMDGPU.csdata,"",@progbits
; Kernel info:
; codeLenInByte = 34824
; TotalNumSgprs: 107
; NumVgprs: 96
; ScratchSize: 48
; MemoryBound: 0
; FloatMode: 240
; IeeeMode: 1
; LDSByteSize: 41480 bytes/workgroup (compile time only)
; SGPRBlocks: 0
; VGPRBlocks: 5
; NumSGPRsForWavesPerEU: 107
; NumVGPRsForWavesPerEU: 96
; NamedBarCnt: 0
; Occupancy: 10
; WaveLimiterHint : 1
; COMPUTE_PGM_RSRC2:SCRATCH_EN: 1
; COMPUTE_PGM_RSRC2:USER_SGPR: 2
; COMPUTE_PGM_RSRC2:TRAP_HANDLER: 0
; COMPUTE_PGM_RSRC2:TGID_X_EN: 1
; COMPUTE_PGM_RSRC2:TGID_Y_EN: 0
; COMPUTE_PGM_RSRC2:TGID_Z_EN: 1
; COMPUTE_PGM_RSRC2:TIDIG_COMP_CNT: 1
	.section	.text._ZL19rocblas_trsv_deviceILi64ELi16ELb1ELb1ELb0ELb1E19rocblas_complex_numIfEPKS1_PKS3_PKPS1_EviT7_lllT6_T8_lllPii,"axG",@progbits,_ZL19rocblas_trsv_deviceILi64ELi16ELb1ELb1ELb0ELb1E19rocblas_complex_numIfEPKS1_PKS3_PKPS1_EviT7_lllT6_T8_lllPii,comdat
	.globl	_ZL19rocblas_trsv_deviceILi64ELi16ELb1ELb1ELb0ELb1E19rocblas_complex_numIfEPKS1_PKS3_PKPS1_EviT7_lllT6_T8_lllPii ; -- Begin function _ZL19rocblas_trsv_deviceILi64ELi16ELb1ELb1ELb0ELb1E19rocblas_complex_numIfEPKS1_PKS3_PKPS1_EviT7_lllT6_T8_lllPii
	.p2align	8
	.type	_ZL19rocblas_trsv_deviceILi64ELi16ELb1ELb1ELb0ELb1E19rocblas_complex_numIfEPKS1_PKS3_PKPS1_EviT7_lllT6_T8_lllPii,@function
_ZL19rocblas_trsv_deviceILi64ELi16ELb1ELb1ELb0ELb1E19rocblas_complex_numIfEPKS1_PKS3_PKPS1_EviT7_lllT6_T8_lllPii: ; @_ZL19rocblas_trsv_deviceILi64ELi16ELb1ELb1ELb0ELb1E19rocblas_complex_numIfEPKS1_PKS3_PKPS1_EviT7_lllT6_T8_lllPii
; %bb.0:
	s_load_b32 s6, s[0:1], 0x58
	s_bfe_u32 s2, ttmp6, 0x40014
	s_lshr_b32 s3, ttmp7, 16
	s_add_co_i32 s2, s2, 1
	s_bfe_u32 s5, ttmp6, 0x40008
	s_mul_i32 s4, s3, s2
	s_getreg_b32 s2, hwreg(HW_REG_IB_STS2, 6, 4)
	s_add_co_i32 s5, s5, s4
	s_cmp_eq_u32 s2, 0
	s_mov_b32 s77, 0
	s_cselect_b32 s76, s3, s5
                                        ; implicit-def: $vgpr108 : SGPR spill to VGPR lane
	s_wait_kmcnt 0x0
	s_cmp_ge_u32 s76, s6
	v_writelane_b32 v108, s6, 0
	s_cbranch_scc1 .LBB152_1112
; %bb.1:
	s_clause 0x2
	s_load_b32 s3, s[0:1], 0x6c
	s_load_b32 s87, s[0:1], 0x60
	;; [unrolled: 1-line block ×3, first 2 shown]
	s_bfe_u32 s5, ttmp6, 0x4000c
	s_and_b32 s4, ttmp6, 15
	s_add_co_i32 s5, s5, 1
	s_clause 0x1
	s_load_b64 s[12:13], s[0:1], 0x18
	s_load_b256 s[64:71], s[0:1], 0x28
	s_mul_i32 s5, ttmp9, s5
	s_clause 0x1
	s_load_b64 s[80:81], s[0:1], 0x50
	s_load_b128 s[72:75], s[0:1], 0x8
	s_add_co_i32 s4, s4, s5
	s_cmp_eq_u32 s2, 0
	v_and_b32_e32 v4, 0x3ff, v0
	s_cselect_b32 s86, ttmp9, s4
	v_bfe_u32 v6, v0, 10, 10
	v_dual_mov_b32 v3, 0 :: v_dual_bitop2_b32 v77, 31, v0 bitop3:0x40
	s_delay_alu instid0(VALU_DEP_3) | instskip(SKIP_1) | instid1(VALU_DEP_3)
	v_lshlrev_b32_e32 v1, 6, v4
	v_cmp_gt_u32_e64 s4, 2, v4
	v_dual_mov_b32 v9, v3 :: v_dual_add_nc_u32 v2, 16, v6
	s_wait_kmcnt 0x0
	s_and_b32 s0, s3, 0xffff
	s_add_co_i32 s1, s78, -1
	s_ashr_i32 s79, s78, 31
	s_ashr_i32 s2, s1, 31
	s_lshr_b32 s3, s79, 26
	s_lshr_b32 s2, s2, 26
	s_add_co_i32 s3, s78, s3
	s_add_co_i32 s87, s87, -1
	s_add_co_i32 s1, s1, s2
	s_and_not1_b32 s3, s3, 63
	s_sub_co_i32 s18, s87, s86
	s_ashr_i32 s1, s1, 6
	s_sub_co_i32 s11, s78, s3
	s_cmp_eq_u32 s1, s18
	v_lshl_add_u32 v36, v6, 6, v4
	s_cselect_b32 s1, -1, 0
	s_cmp_lg_u32 s11, 0
	v_lshl_add_u32 v14, v2, 6, v4
	s_cselect_b32 s2, -1, 0
	v_add_nc_u32_e32 v28, 32, v6
	s_and_b32 s19, s2, s1
	s_add_nc_u64 s[2:3], s[12:13], 1
	s_xor_b32 s88, s19, -1
	s_cmp_lg_u32 s86, 0
	v_add_nc_u32_e32 v30, 48, v6
	s_cselect_b32 s1, -1, 0
	s_lshl_b32 s16, s18, 6
	s_cmp_lt_i32 s86, 5
	v_dual_add_nc_u32 v24, s16, v6 :: v_dual_add_nc_u32 v20, s16, v4
	v_add_nc_u32_e32 v5, v6, v1
	v_add_nc_u32_e32 v7, v2, v1
	s_cselect_b32 vcc_lo, -1, 0
	s_delay_alu instid0(VALU_DEP_3) | instskip(NEXT) | instid1(VALU_DEP_3)
	v_add_nc_u32_e32 v10, 64, v24
	v_dual_ashrrev_i32 v21, 31, v20 :: v_dual_cndmask_b32 v25, v36, v5, vcc_lo
	s_or_b32 vcc_lo, vcc_lo, s19
	s_delay_alu instid0(SALU_CYCLE_1) | instskip(NEXT) | instid1(VALU_DEP_3)
	v_dual_cndmask_b32 v26, v14, v7, vcc_lo :: v_dual_bitop2_b32 v5, 1, v0 bitop3:0x40
	v_dual_ashrrev_i32 v11, 31, v10 :: v_dual_lshrrev_b32 v7, 10, v0
	s_ashr_i32 s17, s16, 31
	v_writelane_b32 v108, s1, 1
	s_mul_u64 s[14:15], s[2:3], s[16:17]
	v_cmp_eq_u32_e64 s3, 1, v5
	v_dual_lshrrev_b32 v14, 1, v36 :: v_dual_lshlrev_b32 v15, 3, v5
	v_bitop3_b32 v37, v0, v7, 0x3ff bitop3:0xa8
	v_cmp_gt_u32_e64 s1, 4, v36
	v_lshrrev_b32_e32 v7, 2, v36
	s_xor_b32 s2, s3, -1
	v_lshl_add_u32 v5, v14, 3, 0x8000
	v_lshl_or_b32 v50, v14, 9, v15
	v_mul_u32_u24_e32 v51, 0x208, v14
	v_dual_lshlrev_b32 v52, 3, v4 :: v_dual_lshlrev_b32 v15, 3, v7
	s_and_b32 s91, s2, s1
	v_cmp_eq_u32_e64 s2, 0, v6
	v_mul_u32_u24_e32 v53, 0x208, v7
	v_and_b32_e32 v14, 3, v0
	s_and_b32 s92, s3, s1
	v_cmp_gt_u32_e64 s3, 16, v36
	s_and_b32 s93, s2, s4
	v_sub_nc_u32_e32 v16, v53, v15
	v_cmp_eq_u32_e64 s4, 0, v14
	v_lshlrev_b32_e32 v54, 3, v14
	v_cmp_ne_u32_e64 s5, 0, v14
	v_cmp_eq_u32_e64 s7, 1, v14
	v_cmp_lt_u32_e64 s8, 1, v14
	s_and_b32 s94, s4, s3
	v_cmp_eq_u32_e64 s4, 2, v14
	v_lshl_or_b32 v57, v7, 9, v54
	s_and_b32 s95, s5, s3
	v_dual_lshrrev_b32 v7, 3, v36 :: v_dual_add_nc_u32 v58, v16, v54
	s_and_b32 s98, s4, s3
	v_cmp_eq_u32_e64 s4, 3, v14
	v_cmp_gt_u32_e64 s5, 4, v4
	v_and_b32_e32 v14, 7, v0
	s_and_b32 s96, s7, s3
	s_and_b32 s97, s8, s3
	;; [unrolled: 1-line block ×4, first 2 shown]
	v_cmp_gt_u32_e64 s4, 64, v36
	v_cmp_eq_u32_e64 s5, 0, v14
	v_cmp_ne_u32_e64 s7, 0, v14
	v_cmp_eq_u32_e64 s8, 1, v14
	v_mul_u32_u24_e32 v62, 0x208, v7
	v_lshlrev_b32_e32 v63, 3, v14
	s_and_b32 s101, s5, s4
	v_cmp_lt_u32_e64 s5, 1, v14
	s_and_b32 s102, s7, s4
	v_cmp_eq_u32_e64 s7, 2, v14
	s_and_b32 s103, s8, s4
	v_cmp_lt_u32_e64 s8, 2, v14
	s_and_b32 s104, s5, s4
	v_cmp_eq_u32_e64 s5, 3, v14
	s_and_b32 vcc_hi, s7, s4
	v_cmp_lt_u32_e64 s7, 3, v14
	s_and_b32 s38, s8, s4
	v_cmp_eq_u32_e64 s8, 4, v14
	s_and_b32 s39, s5, s4
	v_cmp_lt_u32_e64 s5, 4, v14
	s_and_b32 s41, s7, s4
	v_cmp_eq_u32_e64 s7, 5, v14
	s_and_b32 s42, s8, s4
	;; [unrolled: 4-line block ×3, first 2 shown]
	v_cmp_eq_u32_e64 s7, 7, v14
	v_and_b32_e32 v14, 15, v0
	s_and_b32 s45, s8, s4
	s_and_b32 s46, s5, s4
	v_cmp_gt_u32_e64 s5, 8, v4
	s_and_b32 s47, s7, s4
	v_cmp_eq_u32_e64 s7, 0, v14
	v_cmp_ne_u32_e64 s8, 0, v14
	v_cmp_lt_u32_e64 s9, 1, v14
	s_and_b32 s48, s2, s5
	v_cmp_gt_u32_e64 s5, 0x100, v36
	v_cmp_lt_u32_e64 s10, 2, v14
	v_add_nc_u32_e32 v0, v28, v1
	v_add_nc_u32_e32 v56, 0x8000, v15
	v_and_b32_e32 v15, -8, v36
	s_and_b32 s7, s7, s5
	s_and_b32 s8, s8, s5
	v_writelane_b32 v108, s7, 2
	v_cmp_eq_u32_e64 s7, 1, v14
	v_sub_nc_u32_e32 v16, v62, v15
	v_lshl_or_b32 v66, v7, 9, v63
	v_dual_lshrrev_b32 v7, 4, v36 :: v_dual_lshlrev_b32 v73, 3, v14
	v_writelane_b32 v108, s8, 3
	s_and_b32 s7, s7, s5
	v_cmp_eq_u32_e64 s8, 2, v14
	v_add_nc_u32_e32 v67, v16, v63
	v_mul_u32_u24_e32 v71, 0x208, v7
	v_writelane_b32 v108, s7, 4
	s_and_b32 s7, s9, s5
	s_and_b32 s8, s8, s5
	v_cmp_eq_u32_e64 s9, 4, v14
	v_dual_add_nc_u32 v1, v30, v1 :: v_dual_mov_b32 v31, v3
	v_writelane_b32 v108, s7, 5
	v_cmp_eq_u32_e64 s7, 3, v14
	v_lshl_or_b32 v75, v7, 9, v73
	v_mad_u32_u24 v55, 0x1f8, v4, v52
	v_cmp_gt_i32_e64 s6, s11, v4
	v_writelane_b32 v108, s8, 6
	s_and_b32 s8, s10, s5
	s_and_b32 s7, s7, s5
	v_cmp_eq_u32_e64 s10, 5, v14
	v_mad_i32_i24 v59, 0xfffffe08, v4, v55
	v_writelane_b32 v108, s8, 7
	v_cmp_lt_u32_e64 s8, 3, v14
	s_xor_b32 s90, vcc_lo, -1
	s_and_b32 s59, s10, s5
	v_cmp_lt_u32_e64 s10, 7, v14
	v_writelane_b32 v108, s7, 8
	s_and_b32 s8, s8, s5
	v_cmp_lt_u32_e64 s7, 4, v14
	v_mad_u32_u24 v60, 0x1f8, v4, v59
	s_and_b32 s27, s10, s5
	v_writelane_b32 v108, s8, 9
	s_and_b32 s8, s9, s5
	s_and_b32 s7, s7, s5
	v_cmp_lt_u32_e64 s9, 6, v14
	v_cmp_eq_u32_e64 s10, 10, v14
	v_writelane_b32 v108, s8, 10
	v_cmp_lt_u32_e64 s8, 5, v14
	v_mad_u32_u24 v8, v6, s0, v4
	s_and_b32 s23, s9, s5
	v_cmp_eq_u32_e64 s9, 9, v14
	v_writelane_b32 v108, s7, 11
	v_cmp_eq_u32_e64 s7, 6, v14
	s_and_b32 s60, s8, s5
	v_cmp_eq_u32_e64 s8, 7, v14
	s_and_b32 s34, s9, s5
	v_cmp_lt_u32_e64 s9, 11, v14
	s_and_b32 s61, s7, s5
	v_cmp_eq_u32_e64 s7, 8, v14
	s_and_b32 s25, s8, s5
	v_cmp_lt_u32_e64 s8, 8, v14
	s_and_b32 s24, s10, s5
	v_cmp_lt_u32_e64 s10, 12, v14
	;; [unrolled: 2-line block ×4, first 2 shown]
	s_and_b32 s30, s9, s5
	v_cmp_eq_u32_e64 s9, 14, v14
	s_and_b32 s40, s7, s5
	v_cmp_eq_u32_e64 s7, 11, v14
	;; [unrolled: 2-line block ×3, first 2 shown]
	s_and_b32 s89, s10, s5
	v_cmp_gt_u32_e64 s10, 16, v4
	s_and_b32 s28, s7, s5
	v_cmp_eq_u32_e64 s7, 13, v14
	s_and_b32 s33, s8, s5
	v_cmp_lt_u32_e64 s8, 13, v14
	s_and_b32 s63, s9, s5
	v_mov_b32_e32 v29, v3
	s_and_b32 s49, s7, s5
	v_cmp_eq_u32_e64 s7, 15, v14
	v_lshl_add_u32 v14, v30, 6, v4
	v_add_nc_u32_e32 v65, 0x8000, v15
	v_dual_lshlrev_b32 v15, 3, v7 :: v_dual_lshrrev_b32 v7, 5, v36
	s_and_b32 s50, s8, s5
	s_and_b32 s51, s7, s5
	v_cmp_le_i32_e64 s7, s11, v4
	s_delay_alu instid0(VALU_DEP_2) | instskip(SKIP_3) | instid1(VALU_DEP_4)
	v_sub_nc_u32_e32 v16, v71, v15
	v_cmp_gt_u32_e64 s8, 32, v4
	v_dual_lshlrev_b32 v78, 3, v7 :: v_dual_lshlrev_b32 v79, 9, v7
	v_lshl_add_u32 v7, v28, 6, v4
	v_add_nc_u32_e32 v76, v16, v73
	s_and_b32 s53, s7, s19
	s_and_b32 s8, s2, s8
	v_add_nc_u32_e32 v74, 0x8000, v15
	v_add_nc_u32_e32 v15, 0x50, v24
	s_xor_b32 s9, s53, -1
	v_cndmask_b32_e32 v35, v7, v0, vcc_lo
	v_writelane_b32 v108, s8, 12
	v_mov_b32_e32 v7, v3
	v_cmp_le_i32_e64 s8, s11, v6
	s_and_b32 s52, s2, s10
	s_and_b32 s54, s2, s9
	s_cmp_gt_i32 s86, 0
	v_cmp_gt_i32_e64 s0, s78, v20
	v_mul_u64_e32 v[12:13], s[12:13], v[20:21]
	v_cndmask_b32_e32 v38, v14, v1, vcc_lo
	v_cmp_gt_i32_e32 vcc_lo, s78, v15
	v_mul_u64_e32 v[0:1], s[12:13], v[28:29]
	v_mul_u64_e32 v[14:15], s[12:13], v[6:7]
	;; [unrolled: 1-line block ×4, first 2 shown]
	s_cselect_b32 s12, -1, 0
	s_or_b32 s13, s8, s7
	v_cmp_gt_i32_e64 s8, s78, v10
	s_and_b32 s6, s2, s6
	v_mad_i32_i24 v61, 0xfffffe08, v4, v60
	v_writelane_b32 v108, s6, 13
	v_add_nc_u32_e32 v32, 0x60, v24
	v_cmp_le_i32_e64 s9, s11, v2
	v_cmp_le_i32_e64 s10, s11, v28
	;; [unrolled: 1-line block ×3, first 2 shown]
	s_and_b32 s6, s8, s0
	v_mad_u32_u24 v64, 0x1f8, v4, v61
	v_writelane_b32 v108, s6, 14
	v_add_nc_u64_e32 v[22:23], s[16:17], v[8:9]
	s_or_b32 s9, s9, s7
	s_or_b32 s16, s10, s7
	;; [unrolled: 1-line block ×3, first 2 shown]
	v_cmp_gt_i32_e64 s7, s78, v32
	s_and_b32 s6, vcc_lo, s0
	v_mad_i32_i24 v68, 0xfffffe08, v4, v64
	v_writelane_b32 v108, s6, 15
	v_cmp_le_u32_e64 s8, v4, v28
	s_and_b32 s6, s7, s0
	v_add_max_i32_e64 v39, 0x70, v24, v20
	v_mad_u32_u24 v69, 0x1f8, v4, v68
	v_writelane_b32 v108, s6, 16
	v_cmp_le_u32_e64 s6, v4, v6
	v_mbcnt_lo_u32_b32 v24, -1, 0
	v_lshlrev_b32_e32 v9, 3, v25
	v_mad_i32_i24 v70, 0xfffffe08, v4, v69
	v_mov_b32_e32 v32, 0
	s_or_b32 s7, s13, s6
	v_lshlrev_b32_e32 v33, 20, v24
	v_writelane_b32 v108, s7, 17
	v_cmp_le_u32_e64 s7, v4, v2
	v_mad_u32_u24 v72, 0x1f8, v4, v70
	v_mul_u32_u24_e32 v27, 0x1f8, v4
	v_mul_i32_i24_e32 v34, 0xfffffe08, v4
	v_lshlrev_b32_e32 v81, 3, v26
	s_or_b32 s9, s9, s7
	v_mad_i32_i24 v7, 0xfffffe08, v4, v72
	v_writelane_b32 v108, s9, 18
	s_or_b32 s9, s16, s8
	v_add_nc_u64_e32 v[24:25], src_flat_scratch_base_lo, v[32:33]
	v_mov_b32_e32 v32, 8
	v_mad_u32_u24 v80, 0x1f8, v4, v7
	v_writelane_b32 v108, s9, 19
	v_cmp_le_u32_e64 s9, v4, v30
	v_add_lshl_u32 v34, v27, v34, 2
	v_dual_lshlrev_b32 v29, 3, v6 :: v_dual_lshlrev_b32 v83, 3, v35
	v_mad_i32_i24 v82, 0xfffffe08, v4, v80
	s_or_b32 s11, s11, s9
	v_add_nc_u64_e32 v[26:27], src_flat_scratch_base_lo, v[32:33]
	v_writelane_b32 v108, s11, 20
	v_cmp_le_i32_e64 s11, s78, v39
	v_mad_u32_u24 v85, 0x1f8, v4, v82
	v_dual_mov_b32 v32, 16 :: v_dual_bitop2_b32 v40, v30, v4 bitop3:0x54
	v_or_b32_e32 v41, v2, v4
	s_delay_alu instid0(VALU_DEP_4)
	v_writelane_b32 v108, s11, 21
	v_cmp_gt_u32_e64 s13, 64, v37
	v_dual_lshlrev_b32 v84, 3, v38 :: v_dual_lshlrev_b32 v87, 3, v77
	v_or_b32_e32 v86, 0xa000, v29
	v_dual_add_nc_u32 v90, v85, v29 :: v_dual_bitop2_b32 v38, v28, v4 bitop3:0x54
	v_add_nc_u64_e32 v[28:29], src_flat_scratch_base_lo, v[32:33]
	v_mov_b32_e32 v32, 24
	v_writelane_b32 v108, s13, 22
	v_cmp_gt_u32_e64 s13, 64, v41
                                        ; implicit-def: $vgpr99 : SGPR spill to VGPR lane
	v_mul_u64_e32 v[20:21], s[70:71], v[20:21]
	v_mul_u64_e32 v[22:23], s[70:71], v[22:23]
	v_add_nc_u64_e32 v[30:31], src_flat_scratch_base_lo, v[32:33]
	v_add3_u32 v96, v52, v34, 0x7800
	v_writelane_b32 v108, s13, 23
	v_cmp_gt_u32_e64 s13, 64, v38
	v_cmp_lt_u32_e32 vcc_lo, 0x3ff, v36
	v_mov_b64_e32 v[32:33], 0
	v_mov_b64_e32 v[34:35], 0x3f800000
	s_add_co_i32 s10, s18, 1
	v_writelane_b32 v108, s13, 24
	v_cmp_gt_u32_e64 s13, 0xf0, v36
	v_add_nc_u32_e32 v88, 0x8000, v78
	v_dual_add_nc_u32 v95, v86, v52 :: v_dual_bitop2_b32 v89, v79, v87 bitop3:0x54
	v_lshl_add_u32 v91, v8, 3, 0xa000
	s_delay_alu instid0(VALU_DEP_4)
	v_writelane_b32 v108, s13, 25
	v_cmp_gt_u32_e64 s13, 0xe0, v36
	v_lshl_add_u32 v92, v36, 3, 0x8000
	v_add_nc_u32_e32 v93, 0x8000, v52
	v_lshl_add_u32 v94, v6, 9, v7
	s_lshl_b64 s[82:83], s[14:15], 3
	v_writelane_b32 v108, s13, 26
	v_cmp_gt_u32_e64 s13, 0xd0, v36
	v_lshlrev_b32_e32 v2, 3, v4
	v_or_b32_e32 v97, 0x4100, v87
	v_subrev_nc_u32_e32 v98, 63, v4
	v_cmp_eq_u32_e64 s11, 0, v37
	v_writelane_b32 v108, s13, 27
	v_cmp_gt_u32_e64 s13, 0xc0, v36
	v_cmp_gt_u32_e64 s15, 2, v36
	;; [unrolled: 1-line block ×5, first 2 shown]
	v_writelane_b32 v108, s13, 28
	v_cmp_gt_u32_e64 s13, 0xb0, v36
	v_cmp_gt_u32_e64 s19, 48, v36
	;; [unrolled: 1-line block ×5, first 2 shown]
	v_writelane_b32 v108, s13, 29
	v_cmp_gt_u32_e64 s13, 0xa0, v36
	v_cmp_gt_u32_e64 s35, 0x400, v36
	v_cmp_eq_u32_e64 s36, 0, v8
	v_cmp_gt_u32_e64 s37, 64, v8
	s_xor_b32 s14, vcc_lo, -1
	v_writelane_b32 v108, s13, 30
	v_cmp_gt_u32_e64 s13, 0x90, v36
	s_lshl_b64 s[74:75], s[74:75], 3
	s_lshl_b64 s[68:69], s[68:69], 3
	v_writelane_b32 v108, s13, 31
	v_cmp_gt_u32_e64 s13, 0x80, v36
	s_delay_alu instid0(VALU_DEP_1) | instskip(SKIP_1) | instid1(VALU_DEP_1)
	v_writelane_b32 v99, s13, 0
	v_cmp_gt_u32_e64 s13, 0x70, v36
	v_writelane_b32 v99, s13, 1
	v_cmp_gt_u32_e64 s13, 0x60, v36
	s_delay_alu instid0(VALU_DEP_1) | instskip(SKIP_1) | instid1(VALU_DEP_1)
	v_writelane_b32 v99, s13, 2
	v_cmp_gt_u32_e64 s13, 0x50, v36
	;; [unrolled: 5-line block ×14, first 2 shown]
	v_writelane_b32 v99, s13, 27
	s_branch .LBB152_3
.LBB152_2:                              ;   in Loop: Header=BB152_3 Depth=1
	s_wait_xcnt 0x0
	s_or_b32 exec_lo, exec_lo, s13
	v_readlane_b32 s13, v108, 0
	s_add_co_i32 s76, s76, 0x10000
	global_wb scope:SCOPE_DEV
	s_wait_storecnt 0x0
	global_inv scope:SCOPE_DEV
	s_cmp_lt_u32 s76, s13
	s_cbranch_scc0 .LBB152_1112
.LBB152_3:                              ; =>This Loop Header: Depth=1
                                        ;     Child Loop BB152_539 Depth 2
                                        ;     Child Loop BB152_987 Depth 2
                                        ;       Child Loop BB152_989 Depth 3
                                        ;     Child Loop BB152_1018 Depth 2
	v_mov_b32_e32 v38, s76
	v_readlane_b32 s13, v108, 1
	s_clause 0x1
	global_load_b64 v[36:37], v38, s[72:73] scale_offset
	global_load_b64 v[40:41], v38, s[66:67] scale_offset
	global_load_b64 v[38:39], v3, s[64:65]
	s_and_not1_b32 vcc_lo, exec_lo, s13
	s_wait_loadcnt 0x2
	v_add_nc_u64_e32 v[42:43], s[74:75], v[36:37]
	s_delay_alu instid0(VALU_DEP_1)
	v_lshl_add_u64 v[36:37], v[12:13], 3, v[42:43]
	s_cbranch_vccnz .LBB152_15
; %bb.4:                                ;   in Loop: Header=BB152_3 Depth=1
	s_delay_alu instid0(VALU_DEP_1)
	v_lshl_add_u64 v[44:45], v[10:11], 3, v[36:37]
	v_dual_mov_b32 v46, 0 :: v_dual_mov_b32 v48, 0
	v_mov_b32_e32 v49, 0
	s_wait_loadcnt 0x0
	s_barrier_signal -1
	s_barrier_wait -1
	s_wait_xcnt 0x0
	s_mov_b32 s13, exec_lo
	v_readlane_b32 s55, v108, 14
	s_and_b32 s55, s13, s55
	s_delay_alu instid0(SALU_CYCLE_1)
	s_mov_b32 exec_lo, s55
	s_cbranch_execz .LBB152_6
; %bb.5:                                ;   in Loop: Header=BB152_3 Depth=1
	flat_load_b64 v[48:49], v[44:45]
.LBB152_6:                              ;   in Loop: Header=BB152_3 Depth=1
	s_wait_xcnt 0x0
	s_or_b32 exec_lo, exec_lo, s13
	v_mov_b32_e32 v47, 0
	s_wait_loadcnt_dscnt 0x0
	scratch_store_b64 off, v[48:49], off
	s_wait_storecnt 0x0
	s_barrier_signal -1
	s_barrier_wait -1
	s_wait_xcnt 0x0
	s_mov_b32 s13, exec_lo
	v_readlane_b32 s55, v108, 15
	s_and_b32 s55, s13, s55
	s_delay_alu instid0(SALU_CYCLE_1)
	s_mov_b32 exec_lo, s55
	s_cbranch_execz .LBB152_8
; %bb.7:                                ;   in Loop: Header=BB152_3 Depth=1
	flat_load_b64 v[46:47], v[44:45] offset:128
.LBB152_8:                              ;   in Loop: Header=BB152_3 Depth=1
	s_wait_xcnt 0x0
	s_or_b32 exec_lo, exec_lo, s13
	s_wait_loadcnt_dscnt 0x0
	scratch_store_b64 off, v[46:47], off offset:8
	s_wait_xcnt 0x0
	v_dual_mov_b32 v46, 0 :: v_dual_mov_b32 v47, 0
	s_wait_storecnt 0x0
	s_barrier_signal -1
	s_barrier_wait -1
	s_mov_b32 s13, exec_lo
	v_readlane_b32 s55, v108, 16
	s_and_b32 s55, s13, s55
	s_delay_alu instid0(SALU_CYCLE_1)
	s_mov_b32 exec_lo, s55
	s_cbranch_execz .LBB152_10
; %bb.9:                                ;   in Loop: Header=BB152_3 Depth=1
	flat_load_b64 v[46:47], v[44:45] offset:256
.LBB152_10:                             ;   in Loop: Header=BB152_3 Depth=1
	s_wait_xcnt 0x0
	s_or_b32 exec_lo, exec_lo, s13
	s_wait_loadcnt_dscnt 0x0
	scratch_store_b64 off, v[46:47], off offset:16
	s_wait_storecnt 0x0
	s_barrier_signal -1
	s_barrier_wait -1
	s_wait_xcnt 0x0
	s_mov_b32 s13, exec_lo
	v_readlane_b32 s55, v108, 21
	s_and_b32 s55, s13, s55
	s_delay_alu instid0(SALU_CYCLE_1)
	s_xor_b32 s13, s55, s13
	s_mov_b32 exec_lo, s55
	s_cbranch_execz .LBB152_12
; %bb.11:                               ;   in Loop: Header=BB152_3 Depth=1
	scratch_store_b64 off, v[32:33], off offset:24
                                        ; implicit-def: $vgpr44_vgpr45
.LBB152_12:                             ;   in Loop: Header=BB152_3 Depth=1
	s_wait_xcnt 0x0
	s_and_not1_saveexec_b32 s13, s13
	s_cbranch_execz .LBB152_14
; %bb.13:                               ;   in Loop: Header=BB152_3 Depth=1
	flat_load_b64 v[44:45], v[44:45] offset:384
	s_wait_loadcnt_dscnt 0x0
	scratch_store_b64 off, v[44:45], off offset:24
.LBB152_14:                             ;   in Loop: Header=BB152_3 Depth=1
	s_wait_xcnt 0x0
	s_or_b32 exec_lo, exec_lo, s13
.LBB152_15:                             ;   in Loop: Header=BB152_3 Depth=1
	v_add_nc_u64_e32 v[42:43], s[82:83], v[42:43]
	s_and_not1_b32 vcc_lo, exec_lo, s88
	s_mov_b32 s13, -1
	s_delay_alu instid0(VALU_DEP_1)
	v_add_nc_u64_e32 v[42:43], v[42:43], v[2:3]
	s_cbranch_vccnz .LBB152_26
; %bb.16:                               ;   in Loop: Header=BB152_3 Depth=1
	s_wait_xcnt 0x0
	s_and_saveexec_b32 s13, s6
	s_delay_alu instid0(SALU_CYCLE_1)
	s_xor_b32 s13, exec_lo, s13
	s_cbranch_execnz .LBB152_1040
; %bb.17:                               ;   in Loop: Header=BB152_3 Depth=1
	s_and_not1_saveexec_b32 s13, s13
	s_cbranch_execnz .LBB152_1043
.LBB152_18:                             ;   in Loop: Header=BB152_3 Depth=1
	s_or_b32 exec_lo, exec_lo, s13
	s_and_saveexec_b32 s13, s7
	s_delay_alu instid0(SALU_CYCLE_1)
	s_xor_b32 s13, exec_lo, s13
	s_cbranch_execnz .LBB152_1044
.LBB152_19:                             ;   in Loop: Header=BB152_3 Depth=1
	s_and_not1_saveexec_b32 s13, s13
	s_cbranch_execnz .LBB152_1047
.LBB152_20:                             ;   in Loop: Header=BB152_3 Depth=1
	s_or_b32 exec_lo, exec_lo, s13
	s_and_saveexec_b32 s13, s8
	s_delay_alu instid0(SALU_CYCLE_1)
	s_xor_b32 s13, exec_lo, s13
	s_cbranch_execnz .LBB152_1048
.LBB152_21:                             ;   in Loop: Header=BB152_3 Depth=1
	s_and_not1_saveexec_b32 s13, s13
	s_cbranch_execnz .LBB152_1051
.LBB152_22:                             ;   in Loop: Header=BB152_3 Depth=1
	s_or_b32 exec_lo, exec_lo, s13
	s_and_saveexec_b32 s13, s9
	s_delay_alu instid0(SALU_CYCLE_1)
	s_xor_b32 s13, exec_lo, s13
	s_cbranch_execnz .LBB152_1052
.LBB152_23:                             ;   in Loop: Header=BB152_3 Depth=1
	s_and_not1_saveexec_b32 s13, s13
	s_cbranch_execz .LBB152_25
.LBB152_24:                             ;   in Loop: Header=BB152_3 Depth=1
	v_lshl_add_u64 v[44:45], v[18:19], 3, v[42:43]
	flat_load_b64 v[44:45], v[44:45]
	s_wait_loadcnt_dscnt 0x0
	v_pk_add_f32 v[44:45], v[44:45], 0 neg_lo:[1,1] neg_hi:[1,1]
	ds_store_b64 v84, v[44:45]
.LBB152_25:                             ;   in Loop: Header=BB152_3 Depth=1
	s_or_b32 exec_lo, exec_lo, s13
	s_mov_b32 s13, 0
.LBB152_26:                             ;   in Loop: Header=BB152_3 Depth=1
	s_delay_alu instid0(SALU_CYCLE_1)
	s_and_b32 vcc_lo, exec_lo, s13
	s_cbranch_vccz .LBB152_52
; %bb.27:                               ;   in Loop: Header=BB152_3 Depth=1
	s_wait_xcnt 0x0
	s_mov_b32 s13, exec_lo
	v_readlane_b32 s55, v108, 17
	s_and_b32 s55, s13, s55
	s_delay_alu instid0(SALU_CYCLE_1)
	s_xor_b32 s13, s55, s13
	s_mov_b32 exec_lo, s55
	s_cbranch_execz .LBB152_31
; %bb.28:                               ;   in Loop: Header=BB152_3 Depth=1
	s_mov_b32 s55, exec_lo
	v_readlane_b32 s56, v108, 22
	s_and_b32 s56, s55, s56
	s_delay_alu instid0(SALU_CYCLE_1)
	s_mov_b32 exec_lo, s56
; %bb.29:                               ;   in Loop: Header=BB152_3 Depth=1
	ds_store_b64 v90, v[32:33]
; %bb.30:                               ;   in Loop: Header=BB152_3 Depth=1
	s_or_b32 exec_lo, exec_lo, s55
.LBB152_31:                             ;   in Loop: Header=BB152_3 Depth=1
	s_and_not1_saveexec_b32 s13, s13
	s_cbranch_execz .LBB152_33
; %bb.32:                               ;   in Loop: Header=BB152_3 Depth=1
	v_lshl_add_u64 v[44:45], v[14:15], 3, v[42:43]
	flat_load_b64 v[44:45], v[44:45]
	s_wait_loadcnt_dscnt 0x0
	v_pk_add_f32 v[44:45], v[44:45], 0 neg_lo:[1,1] neg_hi:[1,1]
	ds_store_b64 v90, v[44:45]
.LBB152_33:                             ;   in Loop: Header=BB152_3 Depth=1
	s_or_b32 exec_lo, exec_lo, s13
	s_delay_alu instid0(SALU_CYCLE_1) | instskip(SKIP_2) | instid1(SALU_CYCLE_1)
	s_mov_b32 s13, exec_lo
	v_readlane_b32 s55, v108, 18
	s_and_b32 s55, s13, s55
	s_xor_b32 s13, s55, s13
	s_mov_b32 exec_lo, s55
	s_cbranch_execz .LBB152_37
; %bb.34:                               ;   in Loop: Header=BB152_3 Depth=1
	s_mov_b32 s55, exec_lo
	v_readlane_b32 s56, v108, 23
	s_and_b32 s56, s55, s56
	s_delay_alu instid0(SALU_CYCLE_1)
	s_mov_b32 exec_lo, s56
; %bb.35:                               ;   in Loop: Header=BB152_3 Depth=1
	ds_store_b64 v81, v[32:33]
; %bb.36:                               ;   in Loop: Header=BB152_3 Depth=1
	s_or_b32 exec_lo, exec_lo, s55
.LBB152_37:                             ;   in Loop: Header=BB152_3 Depth=1
	s_and_not1_saveexec_b32 s13, s13
	s_cbranch_execz .LBB152_39
; %bb.38:                               ;   in Loop: Header=BB152_3 Depth=1
	v_lshl_add_u64 v[44:45], v[16:17], 3, v[42:43]
	flat_load_b64 v[44:45], v[44:45]
	s_wait_loadcnt_dscnt 0x0
	v_pk_add_f32 v[44:45], v[44:45], 0 neg_lo:[1,1] neg_hi:[1,1]
	ds_store_b64 v81, v[44:45]
.LBB152_39:                             ;   in Loop: Header=BB152_3 Depth=1
	s_or_b32 exec_lo, exec_lo, s13
	s_delay_alu instid0(SALU_CYCLE_1) | instskip(SKIP_2) | instid1(SALU_CYCLE_1)
	s_mov_b32 s13, exec_lo
	v_readlane_b32 s55, v108, 19
	s_and_b32 s55, s13, s55
	;; [unrolled: 28-line block ×3, first 2 shown]
	s_xor_b32 s13, s55, s13
	s_mov_b32 exec_lo, s55
	s_cbranch_execz .LBB152_49
; %bb.46:                               ;   in Loop: Header=BB152_3 Depth=1
	s_mov_b32 s55, exec_lo
	v_readlane_b32 s56, v99, 6
	s_and_b32 s56, s55, s56
	s_delay_alu instid0(SALU_CYCLE_1)
	s_mov_b32 exec_lo, s56
; %bb.47:                               ;   in Loop: Header=BB152_3 Depth=1
	ds_store_b64 v84, v[32:33]
; %bb.48:                               ;   in Loop: Header=BB152_3 Depth=1
	s_or_b32 exec_lo, exec_lo, s55
                                        ; implicit-def: $vgpr42_vgpr43
.LBB152_49:                             ;   in Loop: Header=BB152_3 Depth=1
	s_and_not1_saveexec_b32 s13, s13
	s_cbranch_execz .LBB152_51
; %bb.50:                               ;   in Loop: Header=BB152_3 Depth=1
	v_lshl_add_u64 v[42:43], v[18:19], 3, v[42:43]
	flat_load_b64 v[42:43], v[42:43]
	s_wait_loadcnt_dscnt 0x0
	v_pk_add_f32 v[42:43], v[42:43], 0 neg_lo:[1,1] neg_hi:[1,1]
	ds_store_b64 v84, v[42:43]
.LBB152_51:                             ;   in Loop: Header=BB152_3 Depth=1
	s_or_b32 exec_lo, exec_lo, s13
.LBB152_52:                             ;   in Loop: Header=BB152_3 Depth=1
	s_delay_alu instid0(SALU_CYCLE_1)
	s_and_not1_b32 vcc_lo, exec_lo, s90
	s_wait_storecnt 0x0
	s_wait_loadcnt_dscnt 0x0
	s_barrier_signal -1
	s_barrier_wait -1
	s_cbranch_vccnz .LBB152_982
; %bb.53:                               ;   in Loop: Header=BB152_3 Depth=1
	s_and_saveexec_b32 s13, s11
	s_cbranch_execz .LBB152_55
; %bb.54:                               ;   in Loop: Header=BB152_3 Depth=1
	ds_load_b64 v[42:43], v3 offset:8
	ds_store_b64 v3, v[34:35] offset:520
	s_wait_dscnt 0x1
	ds_store_2addr_stride64_b64 v3, v[34:35], v[42:43] offset1:1
.LBB152_55:                             ;   in Loop: Header=BB152_3 Depth=1
	s_or_b32 exec_lo, exec_lo, s13
	v_mov_b64_e32 v[42:43], 0
	s_wait_dscnt 0x0
	s_barrier_signal -1
	s_barrier_wait -1
	s_and_saveexec_b32 s13, s1
	s_cbranch_execz .LBB152_59
; %bb.56:                               ;   in Loop: Header=BB152_3 Depth=1
	ds_load_b64 v[42:43], v50 offset:16
	ds_load_b64 v[44:45], v51
	s_wait_dscnt 0x0
	v_pk_mul_f32 v[46:47], v[44:45], v[42:43] op_sel:[1,1] op_sel_hi:[0,1]
	s_delay_alu instid0(VALU_DEP_1) | instskip(SKIP_1) | instid1(VALU_DEP_2)
	v_pk_fma_f32 v[48:49], v[44:45], v[42:43], v[46:47] op_sel_hi:[1,0,1]
	v_pk_fma_f32 v[42:43], v[44:45], v[42:43], v[46:47] neg_lo:[0,0,1] neg_hi:[0,0,1]
	v_mov_b32_e32 v43, v49
	s_delay_alu instid0(VALU_DEP_1)
	v_pk_add_f32 v[42:43], v[42:43], 0 op_sel_hi:[1,0]
	s_and_saveexec_b32 s55, s15
	s_cbranch_execz .LBB152_58
; %bb.57:                               ;   in Loop: Header=BB152_3 Depth=1
	ds_load_b64 v[44:45], v52 offset:528
	ds_load_b64 v[46:47], v3 offset:8
	s_wait_dscnt 0x0
	v_pk_mul_f32 v[48:49], v[46:47], v[44:45] op_sel:[1,1] op_sel_hi:[0,1]
	s_delay_alu instid0(VALU_DEP_1) | instskip(SKIP_1) | instid1(VALU_DEP_2)
	v_pk_fma_f32 v[100:101], v[46:47], v[44:45], v[48:49] op_sel_hi:[1,0,1]
	v_pk_fma_f32 v[44:45], v[46:47], v[44:45], v[48:49] neg_lo:[0,0,1] neg_hi:[0,0,1]
	v_mov_b32_e32 v45, v101
	s_delay_alu instid0(VALU_DEP_1)
	v_pk_add_f32 v[42:43], v[42:43], v[44:45]
.LBB152_58:                             ;   in Loop: Header=BB152_3 Depth=1
	s_or_b32 exec_lo, exec_lo, s55
	s_delay_alu instid0(VALU_DEP_1)
	v_pk_add_f32 v[42:43], v[42:43], 0 neg_lo:[1,1] neg_hi:[1,1]
.LBB152_59:                             ;   in Loop: Header=BB152_3 Depth=1
	s_or_b32 exec_lo, exec_lo, s13
	s_and_saveexec_b32 s13, s91
; %bb.60:                               ;   in Loop: Header=BB152_3 Depth=1
	ds_store_b64 v5, v[42:43]
; %bb.61:                               ;   in Loop: Header=BB152_3 Depth=1
	s_or_b32 exec_lo, exec_lo, s13
	s_wait_dscnt 0x0
	s_barrier_signal -1
	s_barrier_wait -1
	s_and_saveexec_b32 s13, s92
	s_cbranch_execz .LBB152_63
; %bb.62:                               ;   in Loop: Header=BB152_3 Depth=1
	ds_load_b64 v[44:45], v3 offset:1048
	ds_load_b64 v[46:47], v5
	s_wait_dscnt 0x0
	v_pk_mul_f32 v[48:49], v[46:47], v[44:45] op_sel:[1,1] op_sel_hi:[0,1]
	s_delay_alu instid0(VALU_DEP_1) | instskip(SKIP_1) | instid1(VALU_DEP_2)
	v_pk_fma_f32 v[100:101], v[46:47], v[44:45], v[48:49] op_sel_hi:[1,0,1]
	v_pk_fma_f32 v[44:45], v[46:47], v[44:45], v[48:49] neg_lo:[0,0,1] neg_hi:[0,0,1]
	v_mov_b32_e32 v45, v101
	s_delay_alu instid0(VALU_DEP_1)
	v_pk_add_f32 v[42:43], v[42:43], v[44:45]
.LBB152_63:                             ;   in Loop: Header=BB152_3 Depth=1
	s_or_b32 exec_lo, exec_lo, s13
	s_barrier_signal -1
	s_barrier_wait -1
	s_and_saveexec_b32 s13, s92
; %bb.64:                               ;   in Loop: Header=BB152_3 Depth=1
	ds_store_b64 v5, v[42:43]
; %bb.65:                               ;   in Loop: Header=BB152_3 Depth=1
	s_or_b32 exec_lo, exec_lo, s13
	s_wait_dscnt 0x0
	s_barrier_signal -1
	s_barrier_wait -1
	s_barrier_signal -1
	s_barrier_wait -1
	s_and_saveexec_b32 s13, s1
; %bb.66:                               ;   in Loop: Header=BB152_3 Depth=1
	v_pk_add_f32 v[42:43], v[42:43], 0 neg_lo:[1,1] neg_hi:[1,1]
	ds_store_b64 v50, v[42:43] offset:16
; %bb.67:                               ;   in Loop: Header=BB152_3 Depth=1
	s_or_b32 exec_lo, exec_lo, s13
	s_wait_dscnt 0x0
	s_barrier_signal -1
	s_barrier_wait -1
	s_barrier_signal -1
	s_barrier_wait -1
	s_and_saveexec_b32 s13, s93
	s_cbranch_execz .LBB152_69
; %bb.68:                               ;   in Loop: Header=BB152_3 Depth=1
	ds_load_b64 v[42:43], v55 offset:16
	s_wait_dscnt 0x0
	ds_store_b64 v52, v[42:43] offset:1024
	ds_load_b64 v[42:43], v55 offset:24
	s_wait_dscnt 0x0
	ds_store_b64 v52, v[42:43] offset:1536
.LBB152_69:                             ;   in Loop: Header=BB152_3 Depth=1
	s_or_b32 exec_lo, exec_lo, s13
	s_wait_dscnt 0x0
	s_barrier_signal -1
	s_barrier_wait -1
	s_and_saveexec_b32 s13, s11
	s_cbranch_execz .LBB152_71
; %bb.70:                               ;   in Loop: Header=BB152_3 Depth=1
	ds_load_b64 v[42:43], v3 offset:1048
	ds_store_b64 v3, v[34:35] offset:1560
	s_wait_dscnt 0x1
	ds_store_2addr_b64 v3, v[34:35], v[42:43] offset0:130 offset1:194
.LBB152_71:                             ;   in Loop: Header=BB152_3 Depth=1
	s_or_b32 exec_lo, exec_lo, s13
	v_mov_b64_e32 v[42:43], 0
	s_wait_dscnt 0x0
	s_barrier_signal -1
	s_barrier_wait -1
	s_and_saveexec_b32 s13, s3
	s_cbranch_execz .LBB152_77
; %bb.72:                               ;   in Loop: Header=BB152_3 Depth=1
	ds_load_b64 v[42:43], v57 offset:32
	ds_load_b64 v[44:45], v53
	s_wait_dscnt 0x0
	v_dual_mul_f32 v46, v45, v43 :: v_dual_mul_f32 v43, v44, v43
	s_delay_alu instid0(VALU_DEP_1) | instskip(NEXT) | instid1(VALU_DEP_1)
	v_dual_fma_f32 v44, v44, v42, -v46 :: v_dual_fmac_f32 v43, v45, v42
	v_dual_add_f32 v42, 0, v44 :: v_dual_add_f32 v43, 0, v43
	s_and_saveexec_b32 s55, s16
	s_cbranch_execnz .LBB152_1062
; %bb.73:                               ;   in Loop: Header=BB152_3 Depth=1
	s_or_b32 exec_lo, exec_lo, s55
	s_and_saveexec_b32 s55, s17
	s_cbranch_execnz .LBB152_1063
.LBB152_74:                             ;   in Loop: Header=BB152_3 Depth=1
	s_or_b32 exec_lo, exec_lo, s55
	s_and_saveexec_b32 s55, s1
	s_cbranch_execz .LBB152_76
.LBB152_75:                             ;   in Loop: Header=BB152_3 Depth=1
	ds_load_b64 v[44:45], v59 offset:1568
	ds_load_b64 v[46:47], v3 offset:24
	s_wait_dscnt 0x0
	v_dual_mul_f32 v48, v47, v45 :: v_dual_mul_f32 v49, v46, v45
	s_delay_alu instid0(VALU_DEP_1) | instskip(NEXT) | instid1(VALU_DEP_1)
	v_dual_fma_f32 v48, v46, v44, -v48 :: v_dual_fmac_f32 v49, v47, v44
	v_pk_add_f32 v[42:43], v[42:43], v[48:49]
.LBB152_76:                             ;   in Loop: Header=BB152_3 Depth=1
	s_or_b32 exec_lo, exec_lo, s55
	s_delay_alu instid0(VALU_DEP_1)
	v_pk_add_f32 v[42:43], v[42:43], 0 neg_lo:[1,1] neg_hi:[1,1]
.LBB152_77:                             ;   in Loop: Header=BB152_3 Depth=1
	s_or_b32 exec_lo, exec_lo, s13
	s_and_saveexec_b32 s13, s94
; %bb.78:                               ;   in Loop: Header=BB152_3 Depth=1
	ds_store_b64 v56, v[42:43]
; %bb.79:                               ;   in Loop: Header=BB152_3 Depth=1
	s_or_b32 exec_lo, exec_lo, s13
	s_wait_dscnt 0x0
	s_barrier_signal -1
	s_barrier_wait -1
	s_and_saveexec_b32 s13, s95
	s_cbranch_execz .LBB152_81
; %bb.80:                               ;   in Loop: Header=BB152_3 Depth=1
	ds_load_b64 v[44:45], v54 offset:2080
	ds_load_b64 v[46:47], v56
	s_wait_dscnt 0x0
	v_pk_mul_f32 v[48:49], v[46:47], v[44:45] op_sel:[1,1] op_sel_hi:[0,1]
	s_delay_alu instid0(VALU_DEP_1) | instskip(SKIP_1) | instid1(VALU_DEP_2)
	v_pk_fma_f32 v[100:101], v[46:47], v[44:45], v[48:49] op_sel_hi:[1,0,1]
	v_pk_fma_f32 v[44:45], v[46:47], v[44:45], v[48:49] neg_lo:[0,0,1] neg_hi:[0,0,1]
	v_mov_b32_e32 v45, v101
	s_delay_alu instid0(VALU_DEP_1)
	v_pk_add_f32 v[42:43], v[42:43], v[44:45]
.LBB152_81:                             ;   in Loop: Header=BB152_3 Depth=1
	s_or_b32 exec_lo, exec_lo, s13
	s_barrier_signal -1
	s_barrier_wait -1
	s_and_saveexec_b32 s13, s96
; %bb.82:                               ;   in Loop: Header=BB152_3 Depth=1
	ds_store_b64 v56, v[42:43]
; %bb.83:                               ;   in Loop: Header=BB152_3 Depth=1
	s_or_b32 exec_lo, exec_lo, s13
	s_wait_dscnt 0x0
	s_barrier_signal -1
	s_barrier_wait -1
	s_and_saveexec_b32 s13, s97
	s_cbranch_execz .LBB152_85
; %bb.84:                               ;   in Loop: Header=BB152_3 Depth=1
	ds_load_b64 v[44:45], v54 offset:2592
	ds_load_b64 v[46:47], v56
	s_wait_dscnt 0x0
	v_pk_mul_f32 v[48:49], v[46:47], v[44:45] op_sel:[1,1] op_sel_hi:[0,1]
	s_delay_alu instid0(VALU_DEP_1) | instskip(SKIP_1) | instid1(VALU_DEP_2)
	v_pk_fma_f32 v[100:101], v[46:47], v[44:45], v[48:49] op_sel_hi:[1,0,1]
	v_pk_fma_f32 v[44:45], v[46:47], v[44:45], v[48:49] neg_lo:[0,0,1] neg_hi:[0,0,1]
	v_mov_b32_e32 v45, v101
	s_delay_alu instid0(VALU_DEP_1)
	v_pk_add_f32 v[42:43], v[42:43], v[44:45]
.LBB152_85:                             ;   in Loop: Header=BB152_3 Depth=1
	s_or_b32 exec_lo, exec_lo, s13
	s_barrier_signal -1
	s_barrier_wait -1
	;; [unrolled: 25-line block ×3, first 2 shown]
	s_and_saveexec_b32 s13, s99
; %bb.90:                               ;   in Loop: Header=BB152_3 Depth=1
	ds_store_b64 v56, v[42:43]
; %bb.91:                               ;   in Loop: Header=BB152_3 Depth=1
	s_or_b32 exec_lo, exec_lo, s13
	s_wait_dscnt 0x0
	s_barrier_signal -1
	s_barrier_wait -1
	s_barrier_signal -1
	s_barrier_wait -1
	s_and_saveexec_b32 s13, s3
; %bb.92:                               ;   in Loop: Header=BB152_3 Depth=1
	v_pk_add_f32 v[42:43], v[42:43], 0 neg_lo:[1,1] neg_hi:[1,1]
	ds_store_b64 v57, v[42:43] offset:32
; %bb.93:                               ;   in Loop: Header=BB152_3 Depth=1
	s_or_b32 exec_lo, exec_lo, s13
	s_wait_dscnt 0x0
	s_barrier_signal -1
	s_barrier_wait -1
	s_barrier_signal -1
	s_barrier_wait -1
	s_and_saveexec_b32 s13, s100
	s_cbranch_execz .LBB152_95
; %bb.94:                               ;   in Loop: Header=BB152_3 Depth=1
	ds_load_b64 v[42:43], v60 offset:32
	s_wait_dscnt 0x0
	ds_store_b64 v61, v[42:43] offset:2048
	ds_load_b64 v[42:43], v60 offset:40
	s_wait_dscnt 0x0
	ds_store_b64 v61, v[42:43] offset:2560
	;; [unrolled: 3-line block ×4, first 2 shown]
.LBB152_95:                             ;   in Loop: Header=BB152_3 Depth=1
	s_or_b32 exec_lo, exec_lo, s13
	s_wait_dscnt 0x0
	s_barrier_signal -1
	s_barrier_wait -1
	s_and_saveexec_b32 s13, s11
	s_cbranch_execz .LBB152_97
; %bb.96:                               ;   in Loop: Header=BB152_3 Depth=1
	ds_load_b64 v[42:43], v3 offset:2088
	v_add_nc_u32_e64 v44, 32, 0
	ds_store_b64 v3, v[34:35] offset:2600
	s_wait_dscnt 0x1
	ds_store_2addr_stride64_b64 v44, v[34:35], v[42:43] offset0:4 offset1:5
.LBB152_97:                             ;   in Loop: Header=BB152_3 Depth=1
	s_or_b32 exec_lo, exec_lo, s13
	v_mov_b64_e32 v[42:43], 0
	s_wait_dscnt 0x0
	s_barrier_signal -1
	s_barrier_wait -1
	s_and_saveexec_b32 s13, s1
	s_cbranch_execz .LBB152_101
; %bb.98:                               ;   in Loop: Header=BB152_3 Depth=1
	ds_load_b64 v[42:43], v50 offset:2096
	ds_load_b64 v[44:45], v51 offset:2080
	s_wait_dscnt 0x0
	v_pk_mul_f32 v[46:47], v[44:45], v[42:43] op_sel:[1,1] op_sel_hi:[0,1]
	s_delay_alu instid0(VALU_DEP_1) | instskip(SKIP_1) | instid1(VALU_DEP_2)
	v_pk_fma_f32 v[48:49], v[44:45], v[42:43], v[46:47] op_sel_hi:[1,0,1]
	v_pk_fma_f32 v[42:43], v[44:45], v[42:43], v[46:47] neg_lo:[0,0,1] neg_hi:[0,0,1]
	v_mov_b32_e32 v43, v49
	s_delay_alu instid0(VALU_DEP_1)
	v_pk_add_f32 v[42:43], v[42:43], 0 op_sel_hi:[1,0]
	s_and_saveexec_b32 s55, s15
	s_cbranch_execz .LBB152_100
; %bb.99:                               ;   in Loop: Header=BB152_3 Depth=1
	ds_load_b64 v[44:45], v61 offset:2608
	ds_load_b64 v[46:47], v3 offset:2088
	s_wait_dscnt 0x0
	v_pk_mul_f32 v[48:49], v[46:47], v[44:45] op_sel:[1,1] op_sel_hi:[0,1]
	s_delay_alu instid0(VALU_DEP_1) | instskip(SKIP_1) | instid1(VALU_DEP_2)
	v_pk_fma_f32 v[100:101], v[46:47], v[44:45], v[48:49] op_sel_hi:[1,0,1]
	v_pk_fma_f32 v[44:45], v[46:47], v[44:45], v[48:49] neg_lo:[0,0,1] neg_hi:[0,0,1]
	v_mov_b32_e32 v45, v101
	s_delay_alu instid0(VALU_DEP_1)
	v_pk_add_f32 v[42:43], v[42:43], v[44:45]
.LBB152_100:                            ;   in Loop: Header=BB152_3 Depth=1
	s_or_b32 exec_lo, exec_lo, s55
	s_delay_alu instid0(VALU_DEP_1)
	v_pk_add_f32 v[42:43], v[42:43], 0 neg_lo:[1,1] neg_hi:[1,1]
.LBB152_101:                            ;   in Loop: Header=BB152_3 Depth=1
	s_or_b32 exec_lo, exec_lo, s13
	s_and_saveexec_b32 s13, s91
; %bb.102:                              ;   in Loop: Header=BB152_3 Depth=1
	ds_store_b64 v5, v[42:43]
; %bb.103:                              ;   in Loop: Header=BB152_3 Depth=1
	s_or_b32 exec_lo, exec_lo, s13
	s_wait_dscnt 0x0
	s_barrier_signal -1
	s_barrier_wait -1
	s_and_saveexec_b32 s13, s92
	s_cbranch_execz .LBB152_105
; %bb.104:                              ;   in Loop: Header=BB152_3 Depth=1
	ds_load_b64 v[44:45], v3 offset:3128
	ds_load_b64 v[46:47], v5
	s_wait_dscnt 0x0
	v_pk_mul_f32 v[48:49], v[46:47], v[44:45] op_sel:[1,1] op_sel_hi:[0,1]
	s_delay_alu instid0(VALU_DEP_1) | instskip(SKIP_1) | instid1(VALU_DEP_2)
	v_pk_fma_f32 v[100:101], v[46:47], v[44:45], v[48:49] op_sel_hi:[1,0,1]
	v_pk_fma_f32 v[44:45], v[46:47], v[44:45], v[48:49] neg_lo:[0,0,1] neg_hi:[0,0,1]
	v_mov_b32_e32 v45, v101
	s_delay_alu instid0(VALU_DEP_1)
	v_pk_add_f32 v[42:43], v[42:43], v[44:45]
.LBB152_105:                            ;   in Loop: Header=BB152_3 Depth=1
	s_or_b32 exec_lo, exec_lo, s13
	s_barrier_signal -1
	s_barrier_wait -1
	s_and_saveexec_b32 s13, s92
; %bb.106:                              ;   in Loop: Header=BB152_3 Depth=1
	ds_store_b64 v5, v[42:43]
; %bb.107:                              ;   in Loop: Header=BB152_3 Depth=1
	s_or_b32 exec_lo, exec_lo, s13
	s_wait_dscnt 0x0
	s_barrier_signal -1
	s_barrier_wait -1
	s_barrier_signal -1
	s_barrier_wait -1
	s_and_saveexec_b32 s13, s1
; %bb.108:                              ;   in Loop: Header=BB152_3 Depth=1
	v_pk_add_f32 v[42:43], v[42:43], 0 neg_lo:[1,1] neg_hi:[1,1]
	ds_store_b64 v50, v[42:43] offset:2096
; %bb.109:                              ;   in Loop: Header=BB152_3 Depth=1
	s_or_b32 exec_lo, exec_lo, s13
	s_wait_dscnt 0x0
	s_barrier_signal -1
	s_barrier_wait -1
	s_barrier_signal -1
	s_barrier_wait -1
	s_and_saveexec_b32 s13, s93
	s_cbranch_execz .LBB152_111
; %bb.110:                              ;   in Loop: Header=BB152_3 Depth=1
	ds_load_b64 v[42:43], v64 offset:2096
	s_wait_dscnt 0x0
	ds_store_b64 v61, v[42:43] offset:3104
	ds_load_b64 v[42:43], v64 offset:2104
	s_wait_dscnt 0x0
	ds_store_b64 v61, v[42:43] offset:3616
.LBB152_111:                            ;   in Loop: Header=BB152_3 Depth=1
	s_or_b32 exec_lo, exec_lo, s13
	s_wait_dscnt 0x0
	s_barrier_signal -1
	s_barrier_wait -1
	s_and_saveexec_b32 s13, s11
	s_cbranch_execz .LBB152_113
; %bb.112:                              ;   in Loop: Header=BB152_3 Depth=1
	ds_load_b64 v[42:43], v3 offset:3128
	v_add_nc_u32_e64 v44, 48, 0
	ds_store_b64 v3, v[34:35] offset:3640
	s_wait_dscnt 0x1
	ds_store_2addr_stride64_b64 v44, v[34:35], v[42:43] offset0:6 offset1:7
.LBB152_113:                            ;   in Loop: Header=BB152_3 Depth=1
	s_or_b32 exec_lo, exec_lo, s13
	v_mov_b64_e32 v[42:43], 0
	s_wait_dscnt 0x0
	s_barrier_signal -1
	s_barrier_wait -1
	s_and_saveexec_b32 s13, s4
	s_cbranch_execz .LBB152_123
; %bb.114:                              ;   in Loop: Header=BB152_3 Depth=1
	ds_load_b64 v[42:43], v66 offset:64
	ds_load_b64 v[44:45], v62
	s_wait_dscnt 0x0
	v_dual_mul_f32 v46, v45, v43 :: v_dual_mul_f32 v43, v44, v43
	s_delay_alu instid0(VALU_DEP_1) | instskip(NEXT) | instid1(VALU_DEP_1)
	v_dual_fma_f32 v44, v44, v42, -v46 :: v_dual_fmac_f32 v43, v45, v42
	v_dual_add_f32 v42, 0, v44 :: v_dual_add_f32 v43, 0, v43
	s_and_saveexec_b32 s55, s18
	s_cbranch_execnz .LBB152_1064
; %bb.115:                              ;   in Loop: Header=BB152_3 Depth=1
	s_or_b32 exec_lo, exec_lo, s55
	s_and_saveexec_b32 s55, s19
	s_cbranch_execnz .LBB152_1065
.LBB152_116:                            ;   in Loop: Header=BB152_3 Depth=1
	s_or_b32 exec_lo, exec_lo, s55
	s_and_saveexec_b32 s55, s20
	s_cbranch_execnz .LBB152_1066
.LBB152_117:                            ;   in Loop: Header=BB152_3 Depth=1
	s_or_b32 exec_lo, exec_lo, s55
	s_and_saveexec_b32 s55, s21
	s_cbranch_execnz .LBB152_1067
.LBB152_118:                            ;   in Loop: Header=BB152_3 Depth=1
	s_or_b32 exec_lo, exec_lo, s55
	s_and_saveexec_b32 s55, s22
	s_cbranch_execnz .LBB152_1068
.LBB152_119:                            ;   in Loop: Header=BB152_3 Depth=1
	s_or_b32 exec_lo, exec_lo, s55
	s_and_saveexec_b32 s55, s3
	s_cbranch_execnz .LBB152_1069
.LBB152_120:                            ;   in Loop: Header=BB152_3 Depth=1
	s_or_b32 exec_lo, exec_lo, s55
	s_and_saveexec_b32 s55, s17
	s_cbranch_execz .LBB152_122
.LBB152_121:                            ;   in Loop: Header=BB152_3 Depth=1
	ds_load_b64 v[44:45], v68 offset:3648
	ds_load_b64 v[46:47], v3 offset:56
	s_wait_dscnt 0x0
	v_pk_mul_f32 v[48:49], v[46:47], v[44:45] op_sel:[1,1] op_sel_hi:[0,1]
	s_delay_alu instid0(VALU_DEP_1) | instskip(SKIP_1) | instid1(VALU_DEP_2)
	v_pk_fma_f32 v[100:101], v[46:47], v[44:45], v[48:49] op_sel_hi:[1,0,1]
	v_pk_fma_f32 v[44:45], v[46:47], v[44:45], v[48:49] neg_lo:[0,0,1] neg_hi:[0,0,1]
	v_mov_b32_e32 v45, v101
	s_delay_alu instid0(VALU_DEP_1)
	v_pk_add_f32 v[42:43], v[42:43], v[44:45]
.LBB152_122:                            ;   in Loop: Header=BB152_3 Depth=1
	s_or_b32 exec_lo, exec_lo, s55
	s_delay_alu instid0(VALU_DEP_1)
	v_pk_add_f32 v[42:43], v[42:43], 0 neg_lo:[1,1] neg_hi:[1,1]
.LBB152_123:                            ;   in Loop: Header=BB152_3 Depth=1
	s_or_b32 exec_lo, exec_lo, s13
	s_and_saveexec_b32 s13, s101
; %bb.124:                              ;   in Loop: Header=BB152_3 Depth=1
	ds_store_b64 v65, v[42:43]
; %bb.125:                              ;   in Loop: Header=BB152_3 Depth=1
	s_or_b32 exec_lo, exec_lo, s13
	s_wait_dscnt 0x0
	s_barrier_signal -1
	s_barrier_wait -1
	s_and_saveexec_b32 s13, s102
	s_cbranch_execz .LBB152_127
; %bb.126:                              ;   in Loop: Header=BB152_3 Depth=1
	ds_load_b64 v[44:45], v63 offset:4160
	ds_load_b64 v[46:47], v65
	s_wait_dscnt 0x0
	v_pk_mul_f32 v[48:49], v[46:47], v[44:45] op_sel:[1,1] op_sel_hi:[0,1]
	s_delay_alu instid0(VALU_DEP_1) | instskip(SKIP_1) | instid1(VALU_DEP_2)
	v_pk_fma_f32 v[100:101], v[46:47], v[44:45], v[48:49] op_sel_hi:[1,0,1]
	v_pk_fma_f32 v[44:45], v[46:47], v[44:45], v[48:49] neg_lo:[0,0,1] neg_hi:[0,0,1]
	v_mov_b32_e32 v45, v101
	s_delay_alu instid0(VALU_DEP_1)
	v_pk_add_f32 v[42:43], v[42:43], v[44:45]
.LBB152_127:                            ;   in Loop: Header=BB152_3 Depth=1
	s_or_b32 exec_lo, exec_lo, s13
	s_barrier_signal -1
	s_barrier_wait -1
	s_and_saveexec_b32 s13, s103
; %bb.128:                              ;   in Loop: Header=BB152_3 Depth=1
	ds_store_b64 v65, v[42:43]
; %bb.129:                              ;   in Loop: Header=BB152_3 Depth=1
	s_or_b32 exec_lo, exec_lo, s13
	s_wait_dscnt 0x0
	s_barrier_signal -1
	s_barrier_wait -1
	s_and_saveexec_b32 s13, s104
	s_cbranch_execz .LBB152_131
; %bb.130:                              ;   in Loop: Header=BB152_3 Depth=1
	ds_load_b64 v[44:45], v63 offset:4672
	ds_load_b64 v[46:47], v65
	s_wait_dscnt 0x0
	v_dual_mul_f32 v48, v47, v45 :: v_dual_mul_f32 v45, v46, v45
	s_delay_alu instid0(VALU_DEP_1) | instskip(NEXT) | instid1(VALU_DEP_1)
	v_dual_fma_f32 v46, v46, v44, -v48 :: v_dual_fmac_f32 v45, v47, v44
	v_dual_add_f32 v42, v42, v46 :: v_dual_add_f32 v43, v43, v45
.LBB152_131:                            ;   in Loop: Header=BB152_3 Depth=1
	s_or_b32 exec_lo, exec_lo, s13
	s_barrier_signal -1
	s_barrier_wait -1
	s_and_saveexec_b32 s13, vcc_hi
; %bb.132:                              ;   in Loop: Header=BB152_3 Depth=1
	ds_store_b64 v65, v[42:43]
; %bb.133:                              ;   in Loop: Header=BB152_3 Depth=1
	s_or_b32 exec_lo, exec_lo, s13
	s_wait_dscnt 0x0
	s_barrier_signal -1
	s_barrier_wait -1
	s_and_saveexec_b32 s13, s38
	s_cbranch_execz .LBB152_135
; %bb.134:                              ;   in Loop: Header=BB152_3 Depth=1
	ds_load_b64 v[44:45], v63 offset:5184
	ds_load_b64 v[46:47], v65
	s_wait_dscnt 0x0
	v_dual_mul_f32 v48, v47, v45 :: v_dual_mul_f32 v49, v46, v45
	s_delay_alu instid0(VALU_DEP_1) | instskip(NEXT) | instid1(VALU_DEP_1)
	v_dual_fma_f32 v48, v46, v44, -v48 :: v_dual_fmac_f32 v49, v47, v44
	v_pk_add_f32 v[42:43], v[42:43], v[48:49]
.LBB152_135:                            ;   in Loop: Header=BB152_3 Depth=1
	s_or_b32 exec_lo, exec_lo, s13
	s_barrier_signal -1
	s_barrier_wait -1
	s_and_saveexec_b32 s13, s39
; %bb.136:                              ;   in Loop: Header=BB152_3 Depth=1
	ds_store_b64 v65, v[42:43]
; %bb.137:                              ;   in Loop: Header=BB152_3 Depth=1
	s_or_b32 exec_lo, exec_lo, s13
	s_wait_dscnt 0x0
	s_barrier_signal -1
	s_barrier_wait -1
	s_and_saveexec_b32 s13, s41
	s_cbranch_execz .LBB152_139
; %bb.138:                              ;   in Loop: Header=BB152_3 Depth=1
	ds_load_b64 v[44:45], v63 offset:5696
	ds_load_b64 v[46:47], v65
	s_wait_dscnt 0x0
	v_pk_mul_f32 v[48:49], v[46:47], v[44:45] op_sel:[1,1] op_sel_hi:[0,1]
	s_delay_alu instid0(VALU_DEP_1) | instskip(SKIP_1) | instid1(VALU_DEP_2)
	v_pk_fma_f32 v[100:101], v[46:47], v[44:45], v[48:49] op_sel_hi:[1,0,1]
	v_pk_fma_f32 v[44:45], v[46:47], v[44:45], v[48:49] neg_lo:[0,0,1] neg_hi:[0,0,1]
	v_mov_b32_e32 v45, v101
	s_delay_alu instid0(VALU_DEP_1)
	v_pk_add_f32 v[42:43], v[42:43], v[44:45]
.LBB152_139:                            ;   in Loop: Header=BB152_3 Depth=1
	s_or_b32 exec_lo, exec_lo, s13
	s_barrier_signal -1
	s_barrier_wait -1
	s_and_saveexec_b32 s13, s42
; %bb.140:                              ;   in Loop: Header=BB152_3 Depth=1
	ds_store_b64 v65, v[42:43]
; %bb.141:                              ;   in Loop: Header=BB152_3 Depth=1
	s_or_b32 exec_lo, exec_lo, s13
	s_wait_dscnt 0x0
	s_barrier_signal -1
	s_barrier_wait -1
	s_and_saveexec_b32 s13, s43
	s_cbranch_execz .LBB152_143
; %bb.142:                              ;   in Loop: Header=BB152_3 Depth=1
	ds_load_b64 v[44:45], v63 offset:6208
	ds_load_b64 v[46:47], v65
	s_wait_dscnt 0x0
	v_pk_mul_f32 v[48:49], v[46:47], v[44:45] op_sel:[1,1] op_sel_hi:[0,1]
	s_delay_alu instid0(VALU_DEP_1) | instskip(SKIP_1) | instid1(VALU_DEP_2)
	v_pk_fma_f32 v[100:101], v[46:47], v[44:45], v[48:49] op_sel_hi:[1,0,1]
	v_pk_fma_f32 v[44:45], v[46:47], v[44:45], v[48:49] neg_lo:[0,0,1] neg_hi:[0,0,1]
	v_mov_b32_e32 v45, v101
	s_delay_alu instid0(VALU_DEP_1)
	v_pk_add_f32 v[42:43], v[42:43], v[44:45]
.LBB152_143:                            ;   in Loop: Header=BB152_3 Depth=1
	;; [unrolled: 25-line block ×4, first 2 shown]
	s_or_b32 exec_lo, exec_lo, s13
	s_barrier_signal -1
	s_barrier_wait -1
	s_and_saveexec_b32 s13, s47
; %bb.152:                              ;   in Loop: Header=BB152_3 Depth=1
	ds_store_b64 v65, v[42:43]
; %bb.153:                              ;   in Loop: Header=BB152_3 Depth=1
	s_or_b32 exec_lo, exec_lo, s13
	s_wait_dscnt 0x0
	s_barrier_signal -1
	s_barrier_wait -1
	s_barrier_signal -1
	s_barrier_wait -1
	s_and_saveexec_b32 s13, s4
; %bb.154:                              ;   in Loop: Header=BB152_3 Depth=1
	v_pk_add_f32 v[42:43], v[42:43], 0 neg_lo:[1,1] neg_hi:[1,1]
	ds_store_b64 v66, v[42:43] offset:64
; %bb.155:                              ;   in Loop: Header=BB152_3 Depth=1
	s_or_b32 exec_lo, exec_lo, s13
	s_wait_dscnt 0x0
	s_barrier_signal -1
	s_barrier_wait -1
	s_barrier_signal -1
	s_barrier_wait -1
	s_and_saveexec_b32 s13, s48
	s_cbranch_execz .LBB152_157
; %bb.156:                              ;   in Loop: Header=BB152_3 Depth=1
	ds_load_b64 v[42:43], v69 offset:64
	s_wait_dscnt 0x0
	ds_store_b64 v70, v[42:43] offset:4096
	ds_load_b64 v[42:43], v69 offset:72
	s_wait_dscnt 0x0
	ds_store_b64 v70, v[42:43] offset:4608
	;; [unrolled: 3-line block ×8, first 2 shown]
.LBB152_157:                            ;   in Loop: Header=BB152_3 Depth=1
	s_or_b32 exec_lo, exec_lo, s13
	s_wait_dscnt 0x0
	s_barrier_signal -1
	s_barrier_wait -1
	s_and_saveexec_b32 s13, s11
	s_cbranch_execz .LBB152_159
; %bb.158:                              ;   in Loop: Header=BB152_3 Depth=1
	ds_load_b64 v[42:43], v3 offset:4168
	v_add_nc_u32_e64 v44, 64, 0
	ds_store_b64 v3, v[34:35] offset:4680
	s_wait_dscnt 0x1
	ds_store_2addr_stride64_b64 v44, v[34:35], v[42:43] offset0:8 offset1:9
.LBB152_159:                            ;   in Loop: Header=BB152_3 Depth=1
	s_or_b32 exec_lo, exec_lo, s13
	v_mov_b64_e32 v[42:43], 0
	s_wait_dscnt 0x0
	s_barrier_signal -1
	s_barrier_wait -1
	s_and_saveexec_b32 s13, s1
	s_cbranch_execz .LBB152_163
; %bb.160:                              ;   in Loop: Header=BB152_3 Depth=1
	ds_load_b64 v[42:43], v50 offset:4176
	ds_load_b64 v[44:45], v51 offset:4160
	s_wait_dscnt 0x0
	v_pk_mul_f32 v[46:47], v[44:45], v[42:43] op_sel:[1,1] op_sel_hi:[0,1]
	s_delay_alu instid0(VALU_DEP_1) | instskip(SKIP_1) | instid1(VALU_DEP_2)
	v_pk_fma_f32 v[48:49], v[44:45], v[42:43], v[46:47] op_sel_hi:[1,0,1]
	v_pk_fma_f32 v[42:43], v[44:45], v[42:43], v[46:47] neg_lo:[0,0,1] neg_hi:[0,0,1]
	v_mov_b32_e32 v43, v49
	s_delay_alu instid0(VALU_DEP_1)
	v_pk_add_f32 v[42:43], v[42:43], 0 op_sel_hi:[1,0]
	s_and_saveexec_b32 s55, s15
	s_cbranch_execz .LBB152_162
; %bb.161:                              ;   in Loop: Header=BB152_3 Depth=1
	ds_load_b64 v[44:45], v70 offset:4688
	ds_load_b64 v[46:47], v3 offset:4168
	s_wait_dscnt 0x0
	v_pk_mul_f32 v[48:49], v[46:47], v[44:45] op_sel:[1,1] op_sel_hi:[0,1]
	s_delay_alu instid0(VALU_DEP_1) | instskip(SKIP_1) | instid1(VALU_DEP_2)
	v_pk_fma_f32 v[100:101], v[46:47], v[44:45], v[48:49] op_sel_hi:[1,0,1]
	v_pk_fma_f32 v[44:45], v[46:47], v[44:45], v[48:49] neg_lo:[0,0,1] neg_hi:[0,0,1]
	v_mov_b32_e32 v45, v101
	s_delay_alu instid0(VALU_DEP_1)
	v_pk_add_f32 v[42:43], v[42:43], v[44:45]
.LBB152_162:                            ;   in Loop: Header=BB152_3 Depth=1
	s_or_b32 exec_lo, exec_lo, s55
	s_delay_alu instid0(VALU_DEP_1)
	v_pk_add_f32 v[42:43], v[42:43], 0 neg_lo:[1,1] neg_hi:[1,1]
.LBB152_163:                            ;   in Loop: Header=BB152_3 Depth=1
	s_or_b32 exec_lo, exec_lo, s13
	s_and_saveexec_b32 s13, s91
; %bb.164:                              ;   in Loop: Header=BB152_3 Depth=1
	ds_store_b64 v5, v[42:43]
; %bb.165:                              ;   in Loop: Header=BB152_3 Depth=1
	s_or_b32 exec_lo, exec_lo, s13
	s_wait_dscnt 0x0
	s_barrier_signal -1
	s_barrier_wait -1
	s_and_saveexec_b32 s13, s92
	s_cbranch_execz .LBB152_167
; %bb.166:                              ;   in Loop: Header=BB152_3 Depth=1
	ds_load_b64 v[44:45], v3 offset:5208
	ds_load_b64 v[46:47], v5
	s_wait_dscnt 0x0
	v_pk_mul_f32 v[48:49], v[46:47], v[44:45] op_sel:[1,1] op_sel_hi:[0,1]
	s_delay_alu instid0(VALU_DEP_1) | instskip(SKIP_1) | instid1(VALU_DEP_2)
	v_pk_fma_f32 v[100:101], v[46:47], v[44:45], v[48:49] op_sel_hi:[1,0,1]
	v_pk_fma_f32 v[44:45], v[46:47], v[44:45], v[48:49] neg_lo:[0,0,1] neg_hi:[0,0,1]
	v_mov_b32_e32 v45, v101
	s_delay_alu instid0(VALU_DEP_1)
	v_pk_add_f32 v[42:43], v[42:43], v[44:45]
.LBB152_167:                            ;   in Loop: Header=BB152_3 Depth=1
	s_or_b32 exec_lo, exec_lo, s13
	s_barrier_signal -1
	s_barrier_wait -1
	s_and_saveexec_b32 s13, s92
; %bb.168:                              ;   in Loop: Header=BB152_3 Depth=1
	ds_store_b64 v5, v[42:43]
; %bb.169:                              ;   in Loop: Header=BB152_3 Depth=1
	s_or_b32 exec_lo, exec_lo, s13
	s_wait_dscnt 0x0
	s_barrier_signal -1
	s_barrier_wait -1
	s_barrier_signal -1
	s_barrier_wait -1
	s_and_saveexec_b32 s13, s1
; %bb.170:                              ;   in Loop: Header=BB152_3 Depth=1
	v_pk_add_f32 v[42:43], v[42:43], 0 neg_lo:[1,1] neg_hi:[1,1]
	ds_store_b64 v50, v[42:43] offset:4176
; %bb.171:                              ;   in Loop: Header=BB152_3 Depth=1
	s_or_b32 exec_lo, exec_lo, s13
	s_wait_dscnt 0x0
	s_barrier_signal -1
	s_barrier_wait -1
	s_barrier_signal -1
	s_barrier_wait -1
	s_and_saveexec_b32 s13, s93
	s_cbranch_execz .LBB152_173
; %bb.172:                              ;   in Loop: Header=BB152_3 Depth=1
	ds_load_b64 v[42:43], v72 offset:4176
	s_wait_dscnt 0x0
	ds_store_b64 v70, v[42:43] offset:5184
	ds_load_b64 v[42:43], v72 offset:4184
	s_wait_dscnt 0x0
	ds_store_b64 v70, v[42:43] offset:5696
.LBB152_173:                            ;   in Loop: Header=BB152_3 Depth=1
	s_or_b32 exec_lo, exec_lo, s13
	s_wait_dscnt 0x0
	s_barrier_signal -1
	s_barrier_wait -1
	s_and_saveexec_b32 s13, s11
	s_cbranch_execz .LBB152_175
; %bb.174:                              ;   in Loop: Header=BB152_3 Depth=1
	ds_load_b64 v[42:43], v3 offset:5208
	v_add_nc_u32_e64 v44, 0x50, 0
	ds_store_b64 v3, v[34:35] offset:5720
	s_wait_dscnt 0x1
	ds_store_2addr_stride64_b64 v44, v[34:35], v[42:43] offset0:10 offset1:11
.LBB152_175:                            ;   in Loop: Header=BB152_3 Depth=1
	s_or_b32 exec_lo, exec_lo, s13
	v_mov_b64_e32 v[42:43], 0
	s_wait_dscnt 0x0
	s_barrier_signal -1
	s_barrier_wait -1
	s_and_saveexec_b32 s13, s3
	s_cbranch_execz .LBB152_181
; %bb.176:                              ;   in Loop: Header=BB152_3 Depth=1
	ds_load_b64 v[42:43], v57 offset:4192
	ds_load_b64 v[44:45], v53 offset:4160
	s_wait_dscnt 0x0
	v_dual_mul_f32 v46, v45, v43 :: v_dual_mul_f32 v43, v44, v43
	s_delay_alu instid0(VALU_DEP_1) | instskip(NEXT) | instid1(VALU_DEP_1)
	v_dual_fma_f32 v44, v44, v42, -v46 :: v_dual_fmac_f32 v43, v45, v42
	v_dual_add_f32 v42, 0, v44 :: v_dual_add_f32 v43, 0, v43
	s_and_saveexec_b32 s55, s16
	s_cbranch_execnz .LBB152_1070
; %bb.177:                              ;   in Loop: Header=BB152_3 Depth=1
	s_or_b32 exec_lo, exec_lo, s55
	s_and_saveexec_b32 s55, s17
	s_cbranch_execnz .LBB152_1071
.LBB152_178:                            ;   in Loop: Header=BB152_3 Depth=1
	s_or_b32 exec_lo, exec_lo, s55
	s_and_saveexec_b32 s55, s1
	s_cbranch_execz .LBB152_180
.LBB152_179:                            ;   in Loop: Header=BB152_3 Depth=1
	ds_load_b64 v[44:45], v7 offset:5728
	ds_load_b64 v[46:47], v3 offset:4184
	s_wait_dscnt 0x0
	v_dual_mul_f32 v48, v47, v45 :: v_dual_mul_f32 v49, v46, v45
	s_delay_alu instid0(VALU_DEP_1) | instskip(NEXT) | instid1(VALU_DEP_1)
	v_dual_fma_f32 v48, v46, v44, -v48 :: v_dual_fmac_f32 v49, v47, v44
	v_pk_add_f32 v[42:43], v[42:43], v[48:49]
.LBB152_180:                            ;   in Loop: Header=BB152_3 Depth=1
	s_or_b32 exec_lo, exec_lo, s55
	s_delay_alu instid0(VALU_DEP_1)
	v_pk_add_f32 v[42:43], v[42:43], 0 neg_lo:[1,1] neg_hi:[1,1]
.LBB152_181:                            ;   in Loop: Header=BB152_3 Depth=1
	s_or_b32 exec_lo, exec_lo, s13
	s_and_saveexec_b32 s13, s94
; %bb.182:                              ;   in Loop: Header=BB152_3 Depth=1
	ds_store_b64 v56, v[42:43]
; %bb.183:                              ;   in Loop: Header=BB152_3 Depth=1
	s_or_b32 exec_lo, exec_lo, s13
	s_wait_dscnt 0x0
	s_barrier_signal -1
	s_barrier_wait -1
	s_and_saveexec_b32 s13, s95
	s_cbranch_execz .LBB152_185
; %bb.184:                              ;   in Loop: Header=BB152_3 Depth=1
	ds_load_b64 v[44:45], v54 offset:6240
	ds_load_b64 v[46:47], v56
	s_wait_dscnt 0x0
	v_pk_mul_f32 v[48:49], v[46:47], v[44:45] op_sel:[1,1] op_sel_hi:[0,1]
	s_delay_alu instid0(VALU_DEP_1) | instskip(SKIP_1) | instid1(VALU_DEP_2)
	v_pk_fma_f32 v[100:101], v[46:47], v[44:45], v[48:49] op_sel_hi:[1,0,1]
	v_pk_fma_f32 v[44:45], v[46:47], v[44:45], v[48:49] neg_lo:[0,0,1] neg_hi:[0,0,1]
	v_mov_b32_e32 v45, v101
	s_delay_alu instid0(VALU_DEP_1)
	v_pk_add_f32 v[42:43], v[42:43], v[44:45]
.LBB152_185:                            ;   in Loop: Header=BB152_3 Depth=1
	s_or_b32 exec_lo, exec_lo, s13
	s_barrier_signal -1
	s_barrier_wait -1
	s_and_saveexec_b32 s13, s96
; %bb.186:                              ;   in Loop: Header=BB152_3 Depth=1
	ds_store_b64 v56, v[42:43]
; %bb.187:                              ;   in Loop: Header=BB152_3 Depth=1
	s_or_b32 exec_lo, exec_lo, s13
	s_wait_dscnt 0x0
	s_barrier_signal -1
	s_barrier_wait -1
	s_and_saveexec_b32 s13, s97
	s_cbranch_execz .LBB152_189
; %bb.188:                              ;   in Loop: Header=BB152_3 Depth=1
	ds_load_b64 v[44:45], v54 offset:6752
	ds_load_b64 v[46:47], v56
	s_wait_dscnt 0x0
	v_pk_mul_f32 v[48:49], v[46:47], v[44:45] op_sel:[1,1] op_sel_hi:[0,1]
	s_delay_alu instid0(VALU_DEP_1) | instskip(SKIP_1) | instid1(VALU_DEP_2)
	v_pk_fma_f32 v[100:101], v[46:47], v[44:45], v[48:49] op_sel_hi:[1,0,1]
	v_pk_fma_f32 v[44:45], v[46:47], v[44:45], v[48:49] neg_lo:[0,0,1] neg_hi:[0,0,1]
	v_mov_b32_e32 v45, v101
	s_delay_alu instid0(VALU_DEP_1)
	v_pk_add_f32 v[42:43], v[42:43], v[44:45]
.LBB152_189:                            ;   in Loop: Header=BB152_3 Depth=1
	s_or_b32 exec_lo, exec_lo, s13
	s_barrier_signal -1
	s_barrier_wait -1
	s_and_saveexec_b32 s13, s98
; %bb.190:                              ;   in Loop: Header=BB152_3 Depth=1
	ds_store_b64 v56, v[42:43]
; %bb.191:                              ;   in Loop: Header=BB152_3 Depth=1
	s_or_b32 exec_lo, exec_lo, s13
	s_wait_dscnt 0x0
	s_barrier_signal -1
	s_barrier_wait -1
	s_and_saveexec_b32 s13, s99
	s_cbranch_execz .LBB152_193
; %bb.192:                              ;   in Loop: Header=BB152_3 Depth=1
	ds_load_b64 v[44:45], v3 offset:7288
	ds_load_b64 v[46:47], v56
	s_wait_dscnt 0x0
	v_pk_mul_f32 v[48:49], v[46:47], v[44:45] op_sel:[1,1] op_sel_hi:[0,1]
	s_delay_alu instid0(VALU_DEP_1) | instskip(SKIP_1) | instid1(VALU_DEP_2)
	v_pk_fma_f32 v[100:101], v[46:47], v[44:45], v[48:49] op_sel_hi:[1,0,1]
	v_pk_fma_f32 v[44:45], v[46:47], v[44:45], v[48:49] neg_lo:[0,0,1] neg_hi:[0,0,1]
	v_mov_b32_e32 v45, v101
	s_delay_alu instid0(VALU_DEP_1)
	v_pk_add_f32 v[42:43], v[42:43], v[44:45]
.LBB152_193:                            ;   in Loop: Header=BB152_3 Depth=1
	s_or_b32 exec_lo, exec_lo, s13
	s_barrier_signal -1
	s_barrier_wait -1
	s_and_saveexec_b32 s13, s99
; %bb.194:                              ;   in Loop: Header=BB152_3 Depth=1
	ds_store_b64 v56, v[42:43]
; %bb.195:                              ;   in Loop: Header=BB152_3 Depth=1
	s_or_b32 exec_lo, exec_lo, s13
	s_wait_dscnt 0x0
	s_barrier_signal -1
	s_barrier_wait -1
	s_barrier_signal -1
	s_barrier_wait -1
	s_and_saveexec_b32 s13, s3
; %bb.196:                              ;   in Loop: Header=BB152_3 Depth=1
	v_pk_add_f32 v[42:43], v[42:43], 0 neg_lo:[1,1] neg_hi:[1,1]
	ds_store_b64 v57, v[42:43] offset:4192
; %bb.197:                              ;   in Loop: Header=BB152_3 Depth=1
	s_or_b32 exec_lo, exec_lo, s13
	s_wait_dscnt 0x0
	s_barrier_signal -1
	s_barrier_wait -1
	s_barrier_signal -1
	s_barrier_wait -1
	s_and_saveexec_b32 s13, s100
	s_cbranch_execz .LBB152_199
; %bb.198:                              ;   in Loop: Header=BB152_3 Depth=1
	ds_load_b64 v[42:43], v80 offset:4192
	s_wait_dscnt 0x0
	ds_store_b64 v82, v[42:43] offset:6208
	ds_load_b64 v[42:43], v80 offset:4200
	s_wait_dscnt 0x0
	ds_store_b64 v82, v[42:43] offset:6720
	;; [unrolled: 3-line block ×4, first 2 shown]
.LBB152_199:                            ;   in Loop: Header=BB152_3 Depth=1
	s_or_b32 exec_lo, exec_lo, s13
	s_wait_dscnt 0x0
	s_barrier_signal -1
	s_barrier_wait -1
	s_and_saveexec_b32 s13, s11
	s_cbranch_execz .LBB152_201
; %bb.200:                              ;   in Loop: Header=BB152_3 Depth=1
	ds_load_b64 v[42:43], v3 offset:6248
	v_add_nc_u32_e64 v44, 0x60, 0
	ds_store_b64 v3, v[34:35] offset:6760
	s_wait_dscnt 0x1
	ds_store_2addr_stride64_b64 v44, v[34:35], v[42:43] offset0:12 offset1:13
.LBB152_201:                            ;   in Loop: Header=BB152_3 Depth=1
	s_or_b32 exec_lo, exec_lo, s13
	v_mov_b64_e32 v[42:43], 0
	s_wait_dscnt 0x0
	s_barrier_signal -1
	s_barrier_wait -1
	s_and_saveexec_b32 s13, s1
	s_cbranch_execz .LBB152_205
; %bb.202:                              ;   in Loop: Header=BB152_3 Depth=1
	ds_load_b64 v[42:43], v50 offset:6256
	ds_load_b64 v[44:45], v51 offset:6240
	s_wait_dscnt 0x0
	v_pk_mul_f32 v[46:47], v[44:45], v[42:43] op_sel:[1,1] op_sel_hi:[0,1]
	s_delay_alu instid0(VALU_DEP_1) | instskip(SKIP_1) | instid1(VALU_DEP_2)
	v_pk_fma_f32 v[48:49], v[44:45], v[42:43], v[46:47] op_sel_hi:[1,0,1]
	v_pk_fma_f32 v[42:43], v[44:45], v[42:43], v[46:47] neg_lo:[0,0,1] neg_hi:[0,0,1]
	v_mov_b32_e32 v43, v49
	s_delay_alu instid0(VALU_DEP_1)
	v_pk_add_f32 v[42:43], v[42:43], 0 op_sel_hi:[1,0]
	s_and_saveexec_b32 s55, s15
	s_cbranch_execz .LBB152_204
; %bb.203:                              ;   in Loop: Header=BB152_3 Depth=1
	ds_load_b64 v[44:45], v82 offset:6768
	ds_load_b64 v[46:47], v3 offset:6248
	s_wait_dscnt 0x0
	v_pk_mul_f32 v[48:49], v[46:47], v[44:45] op_sel:[1,1] op_sel_hi:[0,1]
	s_delay_alu instid0(VALU_DEP_1) | instskip(SKIP_1) | instid1(VALU_DEP_2)
	v_pk_fma_f32 v[100:101], v[46:47], v[44:45], v[48:49] op_sel_hi:[1,0,1]
	v_pk_fma_f32 v[44:45], v[46:47], v[44:45], v[48:49] neg_lo:[0,0,1] neg_hi:[0,0,1]
	v_mov_b32_e32 v45, v101
	s_delay_alu instid0(VALU_DEP_1)
	v_pk_add_f32 v[42:43], v[42:43], v[44:45]
.LBB152_204:                            ;   in Loop: Header=BB152_3 Depth=1
	s_or_b32 exec_lo, exec_lo, s55
	s_delay_alu instid0(VALU_DEP_1)
	v_pk_add_f32 v[42:43], v[42:43], 0 neg_lo:[1,1] neg_hi:[1,1]
.LBB152_205:                            ;   in Loop: Header=BB152_3 Depth=1
	s_or_b32 exec_lo, exec_lo, s13
	s_and_saveexec_b32 s13, s91
; %bb.206:                              ;   in Loop: Header=BB152_3 Depth=1
	ds_store_b64 v5, v[42:43]
; %bb.207:                              ;   in Loop: Header=BB152_3 Depth=1
	s_or_b32 exec_lo, exec_lo, s13
	s_wait_dscnt 0x0
	s_barrier_signal -1
	s_barrier_wait -1
	s_and_saveexec_b32 s13, s92
	s_cbranch_execz .LBB152_209
; %bb.208:                              ;   in Loop: Header=BB152_3 Depth=1
	ds_load_b64 v[44:45], v3 offset:7288
	ds_load_b64 v[46:47], v5
	s_wait_dscnt 0x0
	v_pk_mul_f32 v[48:49], v[46:47], v[44:45] op_sel:[1,1] op_sel_hi:[0,1]
	s_delay_alu instid0(VALU_DEP_1) | instskip(SKIP_1) | instid1(VALU_DEP_2)
	v_pk_fma_f32 v[100:101], v[46:47], v[44:45], v[48:49] op_sel_hi:[1,0,1]
	v_pk_fma_f32 v[44:45], v[46:47], v[44:45], v[48:49] neg_lo:[0,0,1] neg_hi:[0,0,1]
	v_mov_b32_e32 v45, v101
	s_delay_alu instid0(VALU_DEP_1)
	v_pk_add_f32 v[42:43], v[42:43], v[44:45]
.LBB152_209:                            ;   in Loop: Header=BB152_3 Depth=1
	s_or_b32 exec_lo, exec_lo, s13
	s_barrier_signal -1
	s_barrier_wait -1
	s_and_saveexec_b32 s13, s92
; %bb.210:                              ;   in Loop: Header=BB152_3 Depth=1
	ds_store_b64 v5, v[42:43]
; %bb.211:                              ;   in Loop: Header=BB152_3 Depth=1
	s_or_b32 exec_lo, exec_lo, s13
	s_wait_dscnt 0x0
	s_barrier_signal -1
	s_barrier_wait -1
	s_barrier_signal -1
	s_barrier_wait -1
	s_and_saveexec_b32 s13, s1
; %bb.212:                              ;   in Loop: Header=BB152_3 Depth=1
	v_pk_add_f32 v[42:43], v[42:43], 0 neg_lo:[1,1] neg_hi:[1,1]
	ds_store_b64 v50, v[42:43] offset:6256
; %bb.213:                              ;   in Loop: Header=BB152_3 Depth=1
	s_or_b32 exec_lo, exec_lo, s13
	s_wait_dscnt 0x0
	s_barrier_signal -1
	s_barrier_wait -1
	s_barrier_signal -1
	s_barrier_wait -1
	s_and_saveexec_b32 s13, s93
	s_cbranch_execz .LBB152_215
; %bb.214:                              ;   in Loop: Header=BB152_3 Depth=1
	ds_load_b64 v[42:43], v85 offset:6256
	s_wait_dscnt 0x0
	ds_store_b64 v82, v[42:43] offset:7264
	ds_load_b64 v[42:43], v85 offset:6264
	s_wait_dscnt 0x0
	ds_store_b64 v82, v[42:43] offset:7776
.LBB152_215:                            ;   in Loop: Header=BB152_3 Depth=1
	s_or_b32 exec_lo, exec_lo, s13
	s_wait_dscnt 0x0
	s_barrier_signal -1
	s_barrier_wait -1
	s_and_saveexec_b32 s13, s11
	s_cbranch_execz .LBB152_217
; %bb.216:                              ;   in Loop: Header=BB152_3 Depth=1
	ds_load_b64 v[42:43], v3 offset:7288
	v_add_nc_u32_e64 v44, 0x70, 0
	ds_store_b64 v3, v[34:35] offset:7800
	s_wait_dscnt 0x1
	ds_store_2addr_stride64_b64 v44, v[34:35], v[42:43] offset0:14 offset1:15
.LBB152_217:                            ;   in Loop: Header=BB152_3 Depth=1
	s_or_b32 exec_lo, exec_lo, s13
	v_mov_b64_e32 v[42:43], 0
	s_wait_dscnt 0x0
	s_barrier_signal -1
	s_barrier_wait -1
	s_and_saveexec_b32 s62, s5
	s_cbranch_execz .LBB152_245
; %bb.218:                              ;   in Loop: Header=BB152_3 Depth=1
	ds_load_b64 v[42:43], v75 offset:128
	ds_load_b64 v[44:45], v71
	s_wait_dscnt 0x0
	v_dual_mul_f32 v46, v45, v43 :: v_dual_mul_f32 v43, v44, v43
	s_delay_alu instid0(VALU_DEP_1) | instskip(NEXT) | instid1(VALU_DEP_1)
	v_dual_fma_f32 v44, v44, v42, -v46 :: v_dual_fmac_f32 v43, v45, v42
	v_dual_add_f32 v42, 0, v44 :: v_dual_add_f32 v43, 0, v43
	s_mov_b32 s13, exec_lo
	v_readlane_b32 s55, v108, 25
	s_and_b32 s55, s13, s55
	s_delay_alu instid0(SALU_CYCLE_1)
	s_mov_b32 exec_lo, s55
	s_cbranch_execz .LBB152_220
; %bb.219:                              ;   in Loop: Header=BB152_3 Depth=1
	ds_load_b64 v[44:45], v76 offset:640
	ds_load_b64 v[46:47], v71 offset:8
	s_wait_dscnt 0x0
	v_dual_mul_f32 v48, v47, v45 :: v_dual_mul_f32 v45, v46, v45
	s_delay_alu instid0(VALU_DEP_1) | instskip(NEXT) | instid1(VALU_DEP_1)
	v_dual_fma_f32 v46, v46, v44, -v48 :: v_dual_fmac_f32 v45, v47, v44
	v_dual_add_f32 v42, v42, v46 :: v_dual_add_f32 v43, v43, v45
.LBB152_220:                            ;   in Loop: Header=BB152_3 Depth=1
	s_or_b32 exec_lo, exec_lo, s13
	s_delay_alu instid0(SALU_CYCLE_1) | instskip(SKIP_2) | instid1(SALU_CYCLE_1)
	s_mov_b32 s13, exec_lo
	v_readlane_b32 s55, v108, 26
	s_and_b32 s55, s13, s55
	s_mov_b32 exec_lo, s55
	s_cbranch_execz .LBB152_222
; %bb.221:                              ;   in Loop: Header=BB152_3 Depth=1
	ds_load_b64 v[44:45], v76 offset:1152
	ds_load_b64 v[46:47], v71 offset:16
	s_wait_dscnt 0x0
	v_dual_mul_f32 v48, v47, v45 :: v_dual_mul_f32 v45, v46, v45
	s_delay_alu instid0(VALU_DEP_1) | instskip(NEXT) | instid1(VALU_DEP_1)
	v_dual_fma_f32 v46, v46, v44, -v48 :: v_dual_fmac_f32 v45, v47, v44
	v_dual_add_f32 v42, v42, v46 :: v_dual_add_f32 v43, v43, v45
.LBB152_222:                            ;   in Loop: Header=BB152_3 Depth=1
	s_or_b32 exec_lo, exec_lo, s13
	s_delay_alu instid0(SALU_CYCLE_1) | instskip(SKIP_2) | instid1(SALU_CYCLE_1)
	s_mov_b32 s13, exec_lo
	v_readlane_b32 s55, v108, 27
	s_and_b32 s55, s13, s55
	;; [unrolled: 16-line block ×10, first 2 shown]
	s_mov_b32 exec_lo, s55
	s_cbranch_execnz .LBB152_1072
; %bb.239:                              ;   in Loop: Header=BB152_3 Depth=1
	s_or_b32 exec_lo, exec_lo, s13
	s_and_saveexec_b32 s13, s4
	s_cbranch_execnz .LBB152_1073
.LBB152_240:                            ;   in Loop: Header=BB152_3 Depth=1
	s_or_b32 exec_lo, exec_lo, s13
	s_and_saveexec_b32 s13, s19
	s_cbranch_execnz .LBB152_1074
.LBB152_241:                            ;   in Loop: Header=BB152_3 Depth=1
	s_or_b32 exec_lo, exec_lo, s13
	s_and_saveexec_b32 s13, s21
	s_cbranch_execnz .LBB152_1075
.LBB152_242:                            ;   in Loop: Header=BB152_3 Depth=1
	s_or_b32 exec_lo, exec_lo, s13
	s_and_saveexec_b32 s13, s3
	s_cbranch_execz .LBB152_244
.LBB152_243:                            ;   in Loop: Header=BB152_3 Depth=1
	ds_load_b64 v[44:45], v52 offset:7808
	ds_load_b64 v[46:47], v3 offset:120
	s_wait_dscnt 0x0
	v_dual_mul_f32 v48, v47, v45 :: v_dual_mul_f32 v49, v46, v45
	s_delay_alu instid0(VALU_DEP_1) | instskip(NEXT) | instid1(VALU_DEP_1)
	v_dual_fma_f32 v48, v46, v44, -v48 :: v_dual_fmac_f32 v49, v47, v44
	v_pk_add_f32 v[42:43], v[42:43], v[48:49]
.LBB152_244:                            ;   in Loop: Header=BB152_3 Depth=1
	s_or_b32 exec_lo, exec_lo, s13
	s_delay_alu instid0(VALU_DEP_1)
	v_pk_add_f32 v[42:43], v[42:43], 0 neg_lo:[1,1] neg_hi:[1,1]
.LBB152_245:                            ;   in Loop: Header=BB152_3 Depth=1
	s_or_b32 exec_lo, exec_lo, s62
	s_delay_alu instid0(SALU_CYCLE_1) | instskip(SKIP_2) | instid1(SALU_CYCLE_1)
	s_mov_b32 s13, exec_lo
	v_readlane_b32 s55, v108, 2
	s_and_b32 s55, s13, s55
	s_mov_b32 exec_lo, s55
; %bb.246:                              ;   in Loop: Header=BB152_3 Depth=1
	ds_store_b64 v74, v[42:43]
; %bb.247:                              ;   in Loop: Header=BB152_3 Depth=1
	s_or_b32 exec_lo, exec_lo, s13
	s_wait_dscnt 0x0
	s_barrier_signal -1
	s_barrier_wait -1
	s_mov_b32 s13, exec_lo
	v_readlane_b32 s55, v108, 3
	s_and_b32 s55, s13, s55
	s_delay_alu instid0(SALU_CYCLE_1)
	s_mov_b32 exec_lo, s55
	s_cbranch_execz .LBB152_249
; %bb.248:                              ;   in Loop: Header=BB152_3 Depth=1
	ds_load_b64 v[44:45], v73 offset:8320
	ds_load_b64 v[46:47], v74
	s_wait_dscnt 0x0
	v_pk_mul_f32 v[48:49], v[46:47], v[44:45] op_sel:[1,1] op_sel_hi:[0,1]
	s_delay_alu instid0(VALU_DEP_1) | instskip(SKIP_1) | instid1(VALU_DEP_2)
	v_pk_fma_f32 v[100:101], v[46:47], v[44:45], v[48:49] op_sel_hi:[1,0,1]
	v_pk_fma_f32 v[44:45], v[46:47], v[44:45], v[48:49] neg_lo:[0,0,1] neg_hi:[0,0,1]
	v_mov_b32_e32 v45, v101
	s_delay_alu instid0(VALU_DEP_1)
	v_pk_add_f32 v[42:43], v[42:43], v[44:45]
.LBB152_249:                            ;   in Loop: Header=BB152_3 Depth=1
	s_or_b32 exec_lo, exec_lo, s13
	s_barrier_signal -1
	s_barrier_wait -1
	s_mov_b32 s13, exec_lo
	v_readlane_b32 s55, v108, 4
	s_and_b32 s55, s13, s55
	s_delay_alu instid0(SALU_CYCLE_1)
	s_mov_b32 exec_lo, s55
; %bb.250:                              ;   in Loop: Header=BB152_3 Depth=1
	ds_store_b64 v74, v[42:43]
; %bb.251:                              ;   in Loop: Header=BB152_3 Depth=1
	s_or_b32 exec_lo, exec_lo, s13
	s_wait_dscnt 0x0
	s_barrier_signal -1
	s_barrier_wait -1
	s_mov_b32 s13, exec_lo
	v_readlane_b32 s55, v108, 5
	s_and_b32 s55, s13, s55
	s_delay_alu instid0(SALU_CYCLE_1)
	s_mov_b32 exec_lo, s55
	s_cbranch_execz .LBB152_253
; %bb.252:                              ;   in Loop: Header=BB152_3 Depth=1
	ds_load_b64 v[44:45], v73 offset:8832
	ds_load_b64 v[46:47], v74
	s_wait_dscnt 0x0
	v_pk_mul_f32 v[48:49], v[46:47], v[44:45] op_sel:[1,1] op_sel_hi:[0,1]
	s_delay_alu instid0(VALU_DEP_1) | instskip(SKIP_1) | instid1(VALU_DEP_2)
	v_pk_fma_f32 v[100:101], v[46:47], v[44:45], v[48:49] op_sel_hi:[1,0,1]
	v_pk_fma_f32 v[44:45], v[46:47], v[44:45], v[48:49] neg_lo:[0,0,1] neg_hi:[0,0,1]
	v_mov_b32_e32 v45, v101
	s_delay_alu instid0(VALU_DEP_1)
	v_pk_add_f32 v[42:43], v[42:43], v[44:45]
.LBB152_253:                            ;   in Loop: Header=BB152_3 Depth=1
	s_or_b32 exec_lo, exec_lo, s13
	s_barrier_signal -1
	s_barrier_wait -1
	s_mov_b32 s13, exec_lo
	v_readlane_b32 s55, v108, 6
	s_and_b32 s55, s13, s55
	s_delay_alu instid0(SALU_CYCLE_1)
	;; [unrolled: 33-line block ×3, first 2 shown]
	s_mov_b32 exec_lo, s55
; %bb.258:                              ;   in Loop: Header=BB152_3 Depth=1
	ds_store_b64 v74, v[42:43]
; %bb.259:                              ;   in Loop: Header=BB152_3 Depth=1
	s_or_b32 exec_lo, exec_lo, s13
	s_wait_dscnt 0x0
	s_barrier_signal -1
	s_barrier_wait -1
	s_mov_b32 s13, exec_lo
	v_readlane_b32 s55, v108, 9
	s_and_b32 s55, s13, s55
	s_delay_alu instid0(SALU_CYCLE_1)
	s_mov_b32 exec_lo, s55
	s_cbranch_execz .LBB152_261
; %bb.260:                              ;   in Loop: Header=BB152_3 Depth=1
	ds_load_b64 v[44:45], v73 offset:9856
	ds_load_b64 v[46:47], v74
	s_wait_dscnt 0x0
	v_dual_mul_f32 v48, v47, v45 :: v_dual_mul_f32 v45, v46, v45
	s_delay_alu instid0(VALU_DEP_1) | instskip(NEXT) | instid1(VALU_DEP_1)
	v_dual_fma_f32 v46, v46, v44, -v48 :: v_dual_fmac_f32 v45, v47, v44
	v_dual_add_f32 v42, v42, v46 :: v_dual_add_f32 v43, v43, v45
.LBB152_261:                            ;   in Loop: Header=BB152_3 Depth=1
	s_or_b32 exec_lo, exec_lo, s13
	s_barrier_signal -1
	s_barrier_wait -1
	s_mov_b32 s13, exec_lo
	v_readlane_b32 s55, v108, 10
	s_and_b32 s55, s13, s55
	s_delay_alu instid0(SALU_CYCLE_1)
	s_mov_b32 exec_lo, s55
; %bb.262:                              ;   in Loop: Header=BB152_3 Depth=1
	ds_store_b64 v74, v[42:43]
; %bb.263:                              ;   in Loop: Header=BB152_3 Depth=1
	s_or_b32 exec_lo, exec_lo, s13
	s_wait_dscnt 0x0
	s_barrier_signal -1
	s_barrier_wait -1
	s_mov_b32 s13, exec_lo
	v_readlane_b32 s55, v108, 11
	s_and_b32 s55, s13, s55
	s_delay_alu instid0(SALU_CYCLE_1)
	s_mov_b32 exec_lo, s55
	s_cbranch_execz .LBB152_265
; %bb.264:                              ;   in Loop: Header=BB152_3 Depth=1
	ds_load_b64 v[44:45], v73 offset:10368
	ds_load_b64 v[46:47], v74
	s_wait_dscnt 0x0
	v_dual_mul_f32 v48, v47, v45 :: v_dual_mul_f32 v49, v46, v45
	s_delay_alu instid0(VALU_DEP_1) | instskip(NEXT) | instid1(VALU_DEP_1)
	v_dual_fma_f32 v48, v46, v44, -v48 :: v_dual_fmac_f32 v49, v47, v44
	v_pk_add_f32 v[42:43], v[42:43], v[48:49]
.LBB152_265:                            ;   in Loop: Header=BB152_3 Depth=1
	s_or_b32 exec_lo, exec_lo, s13
	s_barrier_signal -1
	s_barrier_wait -1
	s_and_saveexec_b32 s13, s59
; %bb.266:                              ;   in Loop: Header=BB152_3 Depth=1
	ds_store_b64 v74, v[42:43]
; %bb.267:                              ;   in Loop: Header=BB152_3 Depth=1
	s_or_b32 exec_lo, exec_lo, s13
	s_wait_dscnt 0x0
	s_barrier_signal -1
	s_barrier_wait -1
	s_and_saveexec_b32 s13, s60
	s_cbranch_execz .LBB152_269
; %bb.268:                              ;   in Loop: Header=BB152_3 Depth=1
	ds_load_b64 v[44:45], v73 offset:10880
	ds_load_b64 v[46:47], v74
	s_wait_dscnt 0x0
	v_pk_mul_f32 v[48:49], v[46:47], v[44:45] op_sel:[1,1] op_sel_hi:[0,1]
	s_delay_alu instid0(VALU_DEP_1) | instskip(SKIP_1) | instid1(VALU_DEP_2)
	v_pk_fma_f32 v[100:101], v[46:47], v[44:45], v[48:49] op_sel_hi:[1,0,1]
	v_pk_fma_f32 v[44:45], v[46:47], v[44:45], v[48:49] neg_lo:[0,0,1] neg_hi:[0,0,1]
	v_mov_b32_e32 v45, v101
	s_delay_alu instid0(VALU_DEP_1)
	v_pk_add_f32 v[42:43], v[42:43], v[44:45]
.LBB152_269:                            ;   in Loop: Header=BB152_3 Depth=1
	s_or_b32 exec_lo, exec_lo, s13
	s_barrier_signal -1
	s_barrier_wait -1
	s_and_saveexec_b32 s13, s61
; %bb.270:                              ;   in Loop: Header=BB152_3 Depth=1
	ds_store_b64 v74, v[42:43]
; %bb.271:                              ;   in Loop: Header=BB152_3 Depth=1
	s_or_b32 exec_lo, exec_lo, s13
	s_wait_dscnt 0x0
	s_barrier_signal -1
	s_barrier_wait -1
	s_and_saveexec_b32 s13, s23
	s_cbranch_execz .LBB152_273
; %bb.272:                              ;   in Loop: Header=BB152_3 Depth=1
	ds_load_b64 v[44:45], v73 offset:11392
	ds_load_b64 v[46:47], v74
	s_wait_dscnt 0x0
	v_pk_mul_f32 v[48:49], v[46:47], v[44:45] op_sel:[1,1] op_sel_hi:[0,1]
	s_delay_alu instid0(VALU_DEP_1) | instskip(SKIP_1) | instid1(VALU_DEP_2)
	v_pk_fma_f32 v[100:101], v[46:47], v[44:45], v[48:49] op_sel_hi:[1,0,1]
	v_pk_fma_f32 v[44:45], v[46:47], v[44:45], v[48:49] neg_lo:[0,0,1] neg_hi:[0,0,1]
	v_mov_b32_e32 v45, v101
	s_delay_alu instid0(VALU_DEP_1)
	v_pk_add_f32 v[42:43], v[42:43], v[44:45]
.LBB152_273:                            ;   in Loop: Header=BB152_3 Depth=1
	;; [unrolled: 25-line block ×4, first 2 shown]
	s_or_b32 exec_lo, exec_lo, s13
	s_barrier_signal -1
	s_barrier_wait -1
	s_and_saveexec_b32 s13, s34
; %bb.282:                              ;   in Loop: Header=BB152_3 Depth=1
	ds_store_b64 v74, v[42:43]
; %bb.283:                              ;   in Loop: Header=BB152_3 Depth=1
	s_or_b32 exec_lo, exec_lo, s13
	s_wait_dscnt 0x0
	s_barrier_signal -1
	s_barrier_wait -1
	s_and_saveexec_b32 s13, s40
	s_cbranch_execz .LBB152_285
; %bb.284:                              ;   in Loop: Header=BB152_3 Depth=1
	ds_load_b64 v[44:45], v73 offset:12928
	ds_load_b64 v[46:47], v74
	s_wait_dscnt 0x0
	v_dual_mul_f32 v48, v47, v45 :: v_dual_mul_f32 v45, v46, v45
	s_delay_alu instid0(VALU_DEP_1) | instskip(NEXT) | instid1(VALU_DEP_1)
	v_dual_fma_f32 v46, v46, v44, -v48 :: v_dual_fmac_f32 v45, v47, v44
	v_dual_add_f32 v42, v42, v46 :: v_dual_add_f32 v43, v43, v45
.LBB152_285:                            ;   in Loop: Header=BB152_3 Depth=1
	s_or_b32 exec_lo, exec_lo, s13
	s_barrier_signal -1
	s_barrier_wait -1
	s_and_saveexec_b32 s13, s24
; %bb.286:                              ;   in Loop: Header=BB152_3 Depth=1
	ds_store_b64 v74, v[42:43]
; %bb.287:                              ;   in Loop: Header=BB152_3 Depth=1
	s_or_b32 exec_lo, exec_lo, s13
	s_wait_dscnt 0x0
	s_barrier_signal -1
	s_barrier_wait -1
	s_and_saveexec_b32 s13, s26
	s_cbranch_execz .LBB152_289
; %bb.288:                              ;   in Loop: Header=BB152_3 Depth=1
	ds_load_b64 v[44:45], v73 offset:13440
	ds_load_b64 v[46:47], v74
	s_wait_dscnt 0x0
	v_dual_mul_f32 v48, v47, v45 :: v_dual_mul_f32 v49, v46, v45
	s_delay_alu instid0(VALU_DEP_1) | instskip(NEXT) | instid1(VALU_DEP_1)
	v_dual_fma_f32 v48, v46, v44, -v48 :: v_dual_fmac_f32 v49, v47, v44
	v_pk_add_f32 v[42:43], v[42:43], v[48:49]
.LBB152_289:                            ;   in Loop: Header=BB152_3 Depth=1
	s_or_b32 exec_lo, exec_lo, s13
	s_barrier_signal -1
	s_barrier_wait -1
	s_and_saveexec_b32 s13, s28
; %bb.290:                              ;   in Loop: Header=BB152_3 Depth=1
	ds_store_b64 v74, v[42:43]
; %bb.291:                              ;   in Loop: Header=BB152_3 Depth=1
	s_or_b32 exec_lo, exec_lo, s13
	s_wait_dscnt 0x0
	s_barrier_signal -1
	s_barrier_wait -1
	s_and_saveexec_b32 s13, s30
	s_cbranch_execz .LBB152_293
; %bb.292:                              ;   in Loop: Header=BB152_3 Depth=1
	ds_load_b64 v[44:45], v73 offset:13952
	ds_load_b64 v[46:47], v74
	s_wait_dscnt 0x0
	v_pk_mul_f32 v[48:49], v[46:47], v[44:45] op_sel:[1,1] op_sel_hi:[0,1]
	s_delay_alu instid0(VALU_DEP_1) | instskip(SKIP_1) | instid1(VALU_DEP_2)
	v_pk_fma_f32 v[100:101], v[46:47], v[44:45], v[48:49] op_sel_hi:[1,0,1]
	v_pk_fma_f32 v[44:45], v[46:47], v[44:45], v[48:49] neg_lo:[0,0,1] neg_hi:[0,0,1]
	v_mov_b32_e32 v45, v101
	s_delay_alu instid0(VALU_DEP_1)
	v_pk_add_f32 v[42:43], v[42:43], v[44:45]
.LBB152_293:                            ;   in Loop: Header=BB152_3 Depth=1
	s_or_b32 exec_lo, exec_lo, s13
	s_barrier_signal -1
	s_barrier_wait -1
	s_and_saveexec_b32 s13, s33
; %bb.294:                              ;   in Loop: Header=BB152_3 Depth=1
	ds_store_b64 v74, v[42:43]
; %bb.295:                              ;   in Loop: Header=BB152_3 Depth=1
	s_or_b32 exec_lo, exec_lo, s13
	s_wait_dscnt 0x0
	s_barrier_signal -1
	s_barrier_wait -1
	s_and_saveexec_b32 s13, s89
	s_cbranch_execz .LBB152_297
; %bb.296:                              ;   in Loop: Header=BB152_3 Depth=1
	ds_load_b64 v[44:45], v73 offset:14464
	ds_load_b64 v[46:47], v74
	s_wait_dscnt 0x0
	v_pk_mul_f32 v[48:49], v[46:47], v[44:45] op_sel:[1,1] op_sel_hi:[0,1]
	s_delay_alu instid0(VALU_DEP_1) | instskip(SKIP_1) | instid1(VALU_DEP_2)
	v_pk_fma_f32 v[100:101], v[46:47], v[44:45], v[48:49] op_sel_hi:[1,0,1]
	v_pk_fma_f32 v[44:45], v[46:47], v[44:45], v[48:49] neg_lo:[0,0,1] neg_hi:[0,0,1]
	v_mov_b32_e32 v45, v101
	s_delay_alu instid0(VALU_DEP_1)
	v_pk_add_f32 v[42:43], v[42:43], v[44:45]
.LBB152_297:                            ;   in Loop: Header=BB152_3 Depth=1
	;; [unrolled: 25-line block ×4, first 2 shown]
	s_or_b32 exec_lo, exec_lo, s13
	s_barrier_signal -1
	s_barrier_wait -1
	s_and_saveexec_b32 s13, s51
; %bb.306:                              ;   in Loop: Header=BB152_3 Depth=1
	ds_store_b64 v74, v[42:43]
; %bb.307:                              ;   in Loop: Header=BB152_3 Depth=1
	s_or_b32 exec_lo, exec_lo, s13
	s_wait_dscnt 0x0
	s_barrier_signal -1
	s_barrier_wait -1
	s_barrier_signal -1
	s_barrier_wait -1
	s_and_saveexec_b32 s13, s5
; %bb.308:                              ;   in Loop: Header=BB152_3 Depth=1
	v_pk_add_f32 v[42:43], v[42:43], 0 neg_lo:[1,1] neg_hi:[1,1]
	ds_store_b64 v75, v[42:43] offset:128
; %bb.309:                              ;   in Loop: Header=BB152_3 Depth=1
	s_or_b32 exec_lo, exec_lo, s13
	s_wait_dscnt 0x0
	s_barrier_signal -1
	s_barrier_wait -1
	s_barrier_signal -1
	s_barrier_wait -1
	s_and_saveexec_b32 s13, s52
	s_cbranch_execz .LBB152_311
; %bb.310:                              ;   in Loop: Header=BB152_3 Depth=1
	ds_load_b64 v[42:43], v55 offset:128
	s_wait_dscnt 0x0
	ds_store_b64 v59, v[42:43] offset:8192
	ds_load_b64 v[42:43], v55 offset:136
	s_wait_dscnt 0x0
	ds_store_b64 v59, v[42:43] offset:8704
	;; [unrolled: 3-line block ×16, first 2 shown]
.LBB152_311:                            ;   in Loop: Header=BB152_3 Depth=1
	s_or_b32 exec_lo, exec_lo, s13
	s_wait_dscnt 0x0
	s_barrier_signal -1
	s_barrier_wait -1
	s_and_saveexec_b32 s13, s11
	s_cbranch_execz .LBB152_313
; %bb.312:                              ;   in Loop: Header=BB152_3 Depth=1
	ds_load_b64 v[42:43], v3 offset:8328
	v_add_nc_u32_e64 v44, 0x80, 0
	ds_store_b64 v3, v[34:35] offset:8840
	s_wait_dscnt 0x1
	ds_store_2addr_stride64_b64 v44, v[34:35], v[42:43] offset0:16 offset1:17
.LBB152_313:                            ;   in Loop: Header=BB152_3 Depth=1
	s_or_b32 exec_lo, exec_lo, s13
	v_mov_b64_e32 v[42:43], 0
	s_wait_dscnt 0x0
	s_barrier_signal -1
	s_barrier_wait -1
	s_and_saveexec_b32 s13, s1
	s_cbranch_execz .LBB152_317
; %bb.314:                              ;   in Loop: Header=BB152_3 Depth=1
	ds_load_b64 v[42:43], v50 offset:8336
	ds_load_b64 v[44:45], v51 offset:8320
	s_wait_dscnt 0x0
	v_pk_mul_f32 v[46:47], v[44:45], v[42:43] op_sel:[1,1] op_sel_hi:[0,1]
	s_delay_alu instid0(VALU_DEP_1) | instskip(SKIP_1) | instid1(VALU_DEP_2)
	v_pk_fma_f32 v[48:49], v[44:45], v[42:43], v[46:47] op_sel_hi:[1,0,1]
	v_pk_fma_f32 v[42:43], v[44:45], v[42:43], v[46:47] neg_lo:[0,0,1] neg_hi:[0,0,1]
	v_mov_b32_e32 v43, v49
	s_delay_alu instid0(VALU_DEP_1)
	v_pk_add_f32 v[42:43], v[42:43], 0 op_sel_hi:[1,0]
	s_and_saveexec_b32 s55, s15
	s_cbranch_execz .LBB152_316
; %bb.315:                              ;   in Loop: Header=BB152_3 Depth=1
	ds_load_b64 v[44:45], v52 offset:8848
	ds_load_b64 v[46:47], v3 offset:8328
	s_wait_dscnt 0x0
	v_pk_mul_f32 v[48:49], v[46:47], v[44:45] op_sel:[1,1] op_sel_hi:[0,1]
	s_delay_alu instid0(VALU_DEP_1) | instskip(SKIP_1) | instid1(VALU_DEP_2)
	v_pk_fma_f32 v[100:101], v[46:47], v[44:45], v[48:49] op_sel_hi:[1,0,1]
	v_pk_fma_f32 v[44:45], v[46:47], v[44:45], v[48:49] neg_lo:[0,0,1] neg_hi:[0,0,1]
	v_mov_b32_e32 v45, v101
	s_delay_alu instid0(VALU_DEP_1)
	v_pk_add_f32 v[42:43], v[42:43], v[44:45]
.LBB152_316:                            ;   in Loop: Header=BB152_3 Depth=1
	s_or_b32 exec_lo, exec_lo, s55
	s_delay_alu instid0(VALU_DEP_1)
	v_pk_add_f32 v[42:43], v[42:43], 0 neg_lo:[1,1] neg_hi:[1,1]
.LBB152_317:                            ;   in Loop: Header=BB152_3 Depth=1
	s_or_b32 exec_lo, exec_lo, s13
	s_and_saveexec_b32 s13, s91
; %bb.318:                              ;   in Loop: Header=BB152_3 Depth=1
	ds_store_b64 v5, v[42:43]
; %bb.319:                              ;   in Loop: Header=BB152_3 Depth=1
	s_or_b32 exec_lo, exec_lo, s13
	s_wait_dscnt 0x0
	s_barrier_signal -1
	s_barrier_wait -1
	s_and_saveexec_b32 s13, s92
	s_cbranch_execz .LBB152_321
; %bb.320:                              ;   in Loop: Header=BB152_3 Depth=1
	ds_load_b64 v[44:45], v3 offset:9368
	ds_load_b64 v[46:47], v5
	s_wait_dscnt 0x0
	v_pk_mul_f32 v[48:49], v[46:47], v[44:45] op_sel:[1,1] op_sel_hi:[0,1]
	s_delay_alu instid0(VALU_DEP_1) | instskip(SKIP_1) | instid1(VALU_DEP_2)
	v_pk_fma_f32 v[100:101], v[46:47], v[44:45], v[48:49] op_sel_hi:[1,0,1]
	v_pk_fma_f32 v[44:45], v[46:47], v[44:45], v[48:49] neg_lo:[0,0,1] neg_hi:[0,0,1]
	v_mov_b32_e32 v45, v101
	s_delay_alu instid0(VALU_DEP_1)
	v_pk_add_f32 v[42:43], v[42:43], v[44:45]
.LBB152_321:                            ;   in Loop: Header=BB152_3 Depth=1
	s_or_b32 exec_lo, exec_lo, s13
	s_barrier_signal -1
	s_barrier_wait -1
	s_and_saveexec_b32 s13, s92
; %bb.322:                              ;   in Loop: Header=BB152_3 Depth=1
	ds_store_b64 v5, v[42:43]
; %bb.323:                              ;   in Loop: Header=BB152_3 Depth=1
	s_or_b32 exec_lo, exec_lo, s13
	s_wait_dscnt 0x0
	s_barrier_signal -1
	s_barrier_wait -1
	s_barrier_signal -1
	s_barrier_wait -1
	s_and_saveexec_b32 s13, s1
; %bb.324:                              ;   in Loop: Header=BB152_3 Depth=1
	v_pk_add_f32 v[42:43], v[42:43], 0 neg_lo:[1,1] neg_hi:[1,1]
	ds_store_b64 v50, v[42:43] offset:8336
; %bb.325:                              ;   in Loop: Header=BB152_3 Depth=1
	s_or_b32 exec_lo, exec_lo, s13
	s_wait_dscnt 0x0
	s_barrier_signal -1
	s_barrier_wait -1
	s_barrier_signal -1
	s_barrier_wait -1
	s_and_saveexec_b32 s13, s93
	s_cbranch_execz .LBB152_327
; %bb.326:                              ;   in Loop: Header=BB152_3 Depth=1
	ds_load_b64 v[42:43], v55 offset:8336
	s_wait_dscnt 0x0
	ds_store_b64 v52, v[42:43] offset:9344
	ds_load_b64 v[42:43], v55 offset:8344
	s_wait_dscnt 0x0
	ds_store_b64 v52, v[42:43] offset:9856
.LBB152_327:                            ;   in Loop: Header=BB152_3 Depth=1
	s_or_b32 exec_lo, exec_lo, s13
	s_wait_dscnt 0x0
	s_barrier_signal -1
	s_barrier_wait -1
	s_and_saveexec_b32 s13, s11
	s_cbranch_execz .LBB152_329
; %bb.328:                              ;   in Loop: Header=BB152_3 Depth=1
	ds_load_b64 v[42:43], v3 offset:9368
	v_add_nc_u32_e64 v44, 0x90, 0
	ds_store_b64 v3, v[34:35] offset:9880
	s_wait_dscnt 0x1
	ds_store_2addr_stride64_b64 v44, v[34:35], v[42:43] offset0:18 offset1:19
.LBB152_329:                            ;   in Loop: Header=BB152_3 Depth=1
	s_or_b32 exec_lo, exec_lo, s13
	v_mov_b64_e32 v[42:43], 0
	s_wait_dscnt 0x0
	s_barrier_signal -1
	s_barrier_wait -1
	s_and_saveexec_b32 s13, s3
	s_cbranch_execz .LBB152_335
; %bb.330:                              ;   in Loop: Header=BB152_3 Depth=1
	ds_load_b64 v[42:43], v57 offset:8352
	ds_load_b64 v[44:45], v53 offset:8320
	s_wait_dscnt 0x0
	v_dual_mul_f32 v46, v45, v43 :: v_dual_mul_f32 v43, v44, v43
	s_delay_alu instid0(VALU_DEP_1) | instskip(NEXT) | instid1(VALU_DEP_1)
	v_dual_fma_f32 v44, v44, v42, -v46 :: v_dual_fmac_f32 v43, v45, v42
	v_dual_add_f32 v42, 0, v44 :: v_dual_add_f32 v43, 0, v43
	s_and_saveexec_b32 s55, s16
	s_cbranch_execnz .LBB152_1076
; %bb.331:                              ;   in Loop: Header=BB152_3 Depth=1
	s_or_b32 exec_lo, exec_lo, s55
	s_and_saveexec_b32 s55, s17
	s_cbranch_execnz .LBB152_1077
.LBB152_332:                            ;   in Loop: Header=BB152_3 Depth=1
	s_or_b32 exec_lo, exec_lo, s55
	s_and_saveexec_b32 s55, s1
	s_cbranch_execz .LBB152_334
.LBB152_333:                            ;   in Loop: Header=BB152_3 Depth=1
	ds_load_b64 v[44:45], v59 offset:9888
	ds_load_b64 v[46:47], v3 offset:8344
	s_wait_dscnt 0x0
	v_dual_mul_f32 v48, v47, v45 :: v_dual_mul_f32 v49, v46, v45
	s_delay_alu instid0(VALU_DEP_1) | instskip(NEXT) | instid1(VALU_DEP_1)
	v_dual_fma_f32 v48, v46, v44, -v48 :: v_dual_fmac_f32 v49, v47, v44
	v_pk_add_f32 v[42:43], v[42:43], v[48:49]
.LBB152_334:                            ;   in Loop: Header=BB152_3 Depth=1
	s_or_b32 exec_lo, exec_lo, s55
	s_delay_alu instid0(VALU_DEP_1)
	v_pk_add_f32 v[42:43], v[42:43], 0 neg_lo:[1,1] neg_hi:[1,1]
.LBB152_335:                            ;   in Loop: Header=BB152_3 Depth=1
	s_or_b32 exec_lo, exec_lo, s13
	s_and_saveexec_b32 s13, s94
; %bb.336:                              ;   in Loop: Header=BB152_3 Depth=1
	ds_store_b64 v56, v[42:43]
; %bb.337:                              ;   in Loop: Header=BB152_3 Depth=1
	s_or_b32 exec_lo, exec_lo, s13
	s_wait_dscnt 0x0
	s_barrier_signal -1
	s_barrier_wait -1
	s_and_saveexec_b32 s13, s95
	s_cbranch_execz .LBB152_339
; %bb.338:                              ;   in Loop: Header=BB152_3 Depth=1
	ds_load_b64 v[44:45], v54 offset:10400
	ds_load_b64 v[46:47], v56
	s_wait_dscnt 0x0
	v_pk_mul_f32 v[48:49], v[46:47], v[44:45] op_sel:[1,1] op_sel_hi:[0,1]
	s_delay_alu instid0(VALU_DEP_1) | instskip(SKIP_1) | instid1(VALU_DEP_2)
	v_pk_fma_f32 v[100:101], v[46:47], v[44:45], v[48:49] op_sel_hi:[1,0,1]
	v_pk_fma_f32 v[44:45], v[46:47], v[44:45], v[48:49] neg_lo:[0,0,1] neg_hi:[0,0,1]
	v_mov_b32_e32 v45, v101
	s_delay_alu instid0(VALU_DEP_1)
	v_pk_add_f32 v[42:43], v[42:43], v[44:45]
.LBB152_339:                            ;   in Loop: Header=BB152_3 Depth=1
	s_or_b32 exec_lo, exec_lo, s13
	s_barrier_signal -1
	s_barrier_wait -1
	s_and_saveexec_b32 s13, s96
; %bb.340:                              ;   in Loop: Header=BB152_3 Depth=1
	ds_store_b64 v56, v[42:43]
; %bb.341:                              ;   in Loop: Header=BB152_3 Depth=1
	s_or_b32 exec_lo, exec_lo, s13
	s_wait_dscnt 0x0
	s_barrier_signal -1
	s_barrier_wait -1
	s_and_saveexec_b32 s13, s97
	s_cbranch_execz .LBB152_343
; %bb.342:                              ;   in Loop: Header=BB152_3 Depth=1
	ds_load_b64 v[44:45], v54 offset:10912
	ds_load_b64 v[46:47], v56
	s_wait_dscnt 0x0
	v_pk_mul_f32 v[48:49], v[46:47], v[44:45] op_sel:[1,1] op_sel_hi:[0,1]
	s_delay_alu instid0(VALU_DEP_1) | instskip(SKIP_1) | instid1(VALU_DEP_2)
	v_pk_fma_f32 v[100:101], v[46:47], v[44:45], v[48:49] op_sel_hi:[1,0,1]
	v_pk_fma_f32 v[44:45], v[46:47], v[44:45], v[48:49] neg_lo:[0,0,1] neg_hi:[0,0,1]
	v_mov_b32_e32 v45, v101
	s_delay_alu instid0(VALU_DEP_1)
	v_pk_add_f32 v[42:43], v[42:43], v[44:45]
.LBB152_343:                            ;   in Loop: Header=BB152_3 Depth=1
	s_or_b32 exec_lo, exec_lo, s13
	s_barrier_signal -1
	s_barrier_wait -1
	;; [unrolled: 25-line block ×3, first 2 shown]
	s_and_saveexec_b32 s13, s99
; %bb.348:                              ;   in Loop: Header=BB152_3 Depth=1
	ds_store_b64 v56, v[42:43]
; %bb.349:                              ;   in Loop: Header=BB152_3 Depth=1
	s_or_b32 exec_lo, exec_lo, s13
	s_wait_dscnt 0x0
	s_barrier_signal -1
	s_barrier_wait -1
	s_barrier_signal -1
	s_barrier_wait -1
	s_and_saveexec_b32 s13, s3
; %bb.350:                              ;   in Loop: Header=BB152_3 Depth=1
	v_pk_add_f32 v[42:43], v[42:43], 0 neg_lo:[1,1] neg_hi:[1,1]
	ds_store_b64 v57, v[42:43] offset:8352
; %bb.351:                              ;   in Loop: Header=BB152_3 Depth=1
	s_or_b32 exec_lo, exec_lo, s13
	s_wait_dscnt 0x0
	s_barrier_signal -1
	s_barrier_wait -1
	s_barrier_signal -1
	s_barrier_wait -1
	s_and_saveexec_b32 s13, s100
	s_cbranch_execz .LBB152_353
; %bb.352:                              ;   in Loop: Header=BB152_3 Depth=1
	ds_load_b64 v[42:43], v60 offset:8352
	s_wait_dscnt 0x0
	ds_store_b64 v61, v[42:43] offset:10368
	ds_load_b64 v[42:43], v60 offset:8360
	s_wait_dscnt 0x0
	ds_store_b64 v61, v[42:43] offset:10880
	;; [unrolled: 3-line block ×4, first 2 shown]
.LBB152_353:                            ;   in Loop: Header=BB152_3 Depth=1
	s_or_b32 exec_lo, exec_lo, s13
	s_wait_dscnt 0x0
	s_barrier_signal -1
	s_barrier_wait -1
	s_and_saveexec_b32 s13, s11
	s_cbranch_execz .LBB152_355
; %bb.354:                              ;   in Loop: Header=BB152_3 Depth=1
	ds_load_b64 v[42:43], v3 offset:10408
	v_add_nc_u32_e64 v44, 0xa0, 0
	ds_store_b64 v3, v[34:35] offset:10920
	s_wait_dscnt 0x1
	ds_store_2addr_stride64_b64 v44, v[34:35], v[42:43] offset0:20 offset1:21
.LBB152_355:                            ;   in Loop: Header=BB152_3 Depth=1
	s_or_b32 exec_lo, exec_lo, s13
	v_mov_b64_e32 v[42:43], 0
	s_wait_dscnt 0x0
	s_barrier_signal -1
	s_barrier_wait -1
	s_and_saveexec_b32 s13, s1
	s_cbranch_execz .LBB152_359
; %bb.356:                              ;   in Loop: Header=BB152_3 Depth=1
	ds_load_b64 v[42:43], v50 offset:10416
	ds_load_b64 v[44:45], v51 offset:10400
	s_wait_dscnt 0x0
	v_pk_mul_f32 v[46:47], v[44:45], v[42:43] op_sel:[1,1] op_sel_hi:[0,1]
	s_delay_alu instid0(VALU_DEP_1) | instskip(SKIP_1) | instid1(VALU_DEP_2)
	v_pk_fma_f32 v[48:49], v[44:45], v[42:43], v[46:47] op_sel_hi:[1,0,1]
	v_pk_fma_f32 v[42:43], v[44:45], v[42:43], v[46:47] neg_lo:[0,0,1] neg_hi:[0,0,1]
	v_mov_b32_e32 v43, v49
	s_delay_alu instid0(VALU_DEP_1)
	v_pk_add_f32 v[42:43], v[42:43], 0 op_sel_hi:[1,0]
	s_and_saveexec_b32 s55, s15
	s_cbranch_execz .LBB152_358
; %bb.357:                              ;   in Loop: Header=BB152_3 Depth=1
	ds_load_b64 v[44:45], v61 offset:10928
	ds_load_b64 v[46:47], v3 offset:10408
	s_wait_dscnt 0x0
	v_pk_mul_f32 v[48:49], v[46:47], v[44:45] op_sel:[1,1] op_sel_hi:[0,1]
	s_delay_alu instid0(VALU_DEP_1) | instskip(SKIP_1) | instid1(VALU_DEP_2)
	v_pk_fma_f32 v[100:101], v[46:47], v[44:45], v[48:49] op_sel_hi:[1,0,1]
	v_pk_fma_f32 v[44:45], v[46:47], v[44:45], v[48:49] neg_lo:[0,0,1] neg_hi:[0,0,1]
	v_mov_b32_e32 v45, v101
	s_delay_alu instid0(VALU_DEP_1)
	v_pk_add_f32 v[42:43], v[42:43], v[44:45]
.LBB152_358:                            ;   in Loop: Header=BB152_3 Depth=1
	s_or_b32 exec_lo, exec_lo, s55
	s_delay_alu instid0(VALU_DEP_1)
	v_pk_add_f32 v[42:43], v[42:43], 0 neg_lo:[1,1] neg_hi:[1,1]
.LBB152_359:                            ;   in Loop: Header=BB152_3 Depth=1
	s_or_b32 exec_lo, exec_lo, s13
	s_and_saveexec_b32 s13, s91
; %bb.360:                              ;   in Loop: Header=BB152_3 Depth=1
	ds_store_b64 v5, v[42:43]
; %bb.361:                              ;   in Loop: Header=BB152_3 Depth=1
	s_or_b32 exec_lo, exec_lo, s13
	s_wait_dscnt 0x0
	s_barrier_signal -1
	s_barrier_wait -1
	s_and_saveexec_b32 s13, s92
	s_cbranch_execz .LBB152_363
; %bb.362:                              ;   in Loop: Header=BB152_3 Depth=1
	ds_load_b64 v[44:45], v3 offset:11448
	ds_load_b64 v[46:47], v5
	s_wait_dscnt 0x0
	v_pk_mul_f32 v[48:49], v[46:47], v[44:45] op_sel:[1,1] op_sel_hi:[0,1]
	s_delay_alu instid0(VALU_DEP_1) | instskip(SKIP_1) | instid1(VALU_DEP_2)
	v_pk_fma_f32 v[100:101], v[46:47], v[44:45], v[48:49] op_sel_hi:[1,0,1]
	v_pk_fma_f32 v[44:45], v[46:47], v[44:45], v[48:49] neg_lo:[0,0,1] neg_hi:[0,0,1]
	v_mov_b32_e32 v45, v101
	s_delay_alu instid0(VALU_DEP_1)
	v_pk_add_f32 v[42:43], v[42:43], v[44:45]
.LBB152_363:                            ;   in Loop: Header=BB152_3 Depth=1
	s_or_b32 exec_lo, exec_lo, s13
	s_barrier_signal -1
	s_barrier_wait -1
	s_and_saveexec_b32 s13, s92
; %bb.364:                              ;   in Loop: Header=BB152_3 Depth=1
	ds_store_b64 v5, v[42:43]
; %bb.365:                              ;   in Loop: Header=BB152_3 Depth=1
	s_or_b32 exec_lo, exec_lo, s13
	s_wait_dscnt 0x0
	s_barrier_signal -1
	s_barrier_wait -1
	s_barrier_signal -1
	s_barrier_wait -1
	s_and_saveexec_b32 s13, s1
; %bb.366:                              ;   in Loop: Header=BB152_3 Depth=1
	v_pk_add_f32 v[42:43], v[42:43], 0 neg_lo:[1,1] neg_hi:[1,1]
	ds_store_b64 v50, v[42:43] offset:10416
; %bb.367:                              ;   in Loop: Header=BB152_3 Depth=1
	s_or_b32 exec_lo, exec_lo, s13
	s_wait_dscnt 0x0
	s_barrier_signal -1
	s_barrier_wait -1
	s_barrier_signal -1
	s_barrier_wait -1
	s_and_saveexec_b32 s13, s93
	s_cbranch_execz .LBB152_369
; %bb.368:                              ;   in Loop: Header=BB152_3 Depth=1
	ds_load_b64 v[42:43], v64 offset:10416
	s_wait_dscnt 0x0
	ds_store_b64 v61, v[42:43] offset:11424
	ds_load_b64 v[42:43], v64 offset:10424
	s_wait_dscnt 0x0
	ds_store_b64 v61, v[42:43] offset:11936
.LBB152_369:                            ;   in Loop: Header=BB152_3 Depth=1
	s_or_b32 exec_lo, exec_lo, s13
	s_wait_dscnt 0x0
	s_barrier_signal -1
	s_barrier_wait -1
	s_and_saveexec_b32 s13, s11
	s_cbranch_execz .LBB152_371
; %bb.370:                              ;   in Loop: Header=BB152_3 Depth=1
	ds_load_b64 v[42:43], v3 offset:11448
	v_add_nc_u32_e64 v44, 0xb0, 0
	ds_store_b64 v3, v[34:35] offset:11960
	s_wait_dscnt 0x1
	ds_store_2addr_stride64_b64 v44, v[34:35], v[42:43] offset0:22 offset1:23
.LBB152_371:                            ;   in Loop: Header=BB152_3 Depth=1
	s_or_b32 exec_lo, exec_lo, s13
	v_mov_b64_e32 v[42:43], 0
	s_wait_dscnt 0x0
	s_barrier_signal -1
	s_barrier_wait -1
	s_and_saveexec_b32 s13, s4
	s_cbranch_execz .LBB152_381
; %bb.372:                              ;   in Loop: Header=BB152_3 Depth=1
	ds_load_b64 v[42:43], v66 offset:8384
	ds_load_b64 v[44:45], v62 offset:8320
	s_wait_dscnt 0x0
	v_dual_mul_f32 v46, v45, v43 :: v_dual_mul_f32 v43, v44, v43
	s_delay_alu instid0(VALU_DEP_1) | instskip(NEXT) | instid1(VALU_DEP_1)
	v_dual_fma_f32 v44, v44, v42, -v46 :: v_dual_fmac_f32 v43, v45, v42
	v_dual_add_f32 v42, 0, v44 :: v_dual_add_f32 v43, 0, v43
	s_and_saveexec_b32 s55, s18
	s_cbranch_execnz .LBB152_1078
; %bb.373:                              ;   in Loop: Header=BB152_3 Depth=1
	s_or_b32 exec_lo, exec_lo, s55
	s_and_saveexec_b32 s55, s19
	s_cbranch_execnz .LBB152_1079
.LBB152_374:                            ;   in Loop: Header=BB152_3 Depth=1
	s_or_b32 exec_lo, exec_lo, s55
	s_and_saveexec_b32 s55, s20
	s_cbranch_execnz .LBB152_1080
.LBB152_375:                            ;   in Loop: Header=BB152_3 Depth=1
	s_or_b32 exec_lo, exec_lo, s55
	s_and_saveexec_b32 s55, s21
	s_cbranch_execnz .LBB152_1081
.LBB152_376:                            ;   in Loop: Header=BB152_3 Depth=1
	s_or_b32 exec_lo, exec_lo, s55
	s_and_saveexec_b32 s55, s22
	s_cbranch_execnz .LBB152_1082
.LBB152_377:                            ;   in Loop: Header=BB152_3 Depth=1
	s_or_b32 exec_lo, exec_lo, s55
	s_and_saveexec_b32 s55, s3
	s_cbranch_execnz .LBB152_1083
.LBB152_378:                            ;   in Loop: Header=BB152_3 Depth=1
	s_or_b32 exec_lo, exec_lo, s55
	s_and_saveexec_b32 s55, s17
	s_cbranch_execz .LBB152_380
.LBB152_379:                            ;   in Loop: Header=BB152_3 Depth=1
	ds_load_b64 v[44:45], v52 offset:11968
	ds_load_b64 v[46:47], v3 offset:8376
	s_wait_dscnt 0x0
	v_pk_mul_f32 v[48:49], v[46:47], v[44:45] op_sel:[1,1] op_sel_hi:[0,1]
	s_delay_alu instid0(VALU_DEP_1) | instskip(SKIP_1) | instid1(VALU_DEP_2)
	v_pk_fma_f32 v[100:101], v[46:47], v[44:45], v[48:49] op_sel_hi:[1,0,1]
	v_pk_fma_f32 v[44:45], v[46:47], v[44:45], v[48:49] neg_lo:[0,0,1] neg_hi:[0,0,1]
	v_mov_b32_e32 v45, v101
	s_delay_alu instid0(VALU_DEP_1)
	v_pk_add_f32 v[42:43], v[42:43], v[44:45]
.LBB152_380:                            ;   in Loop: Header=BB152_3 Depth=1
	s_or_b32 exec_lo, exec_lo, s55
	s_delay_alu instid0(VALU_DEP_1)
	v_pk_add_f32 v[42:43], v[42:43], 0 neg_lo:[1,1] neg_hi:[1,1]
.LBB152_381:                            ;   in Loop: Header=BB152_3 Depth=1
	s_or_b32 exec_lo, exec_lo, s13
	s_and_saveexec_b32 s13, s101
; %bb.382:                              ;   in Loop: Header=BB152_3 Depth=1
	ds_store_b64 v65, v[42:43]
; %bb.383:                              ;   in Loop: Header=BB152_3 Depth=1
	s_or_b32 exec_lo, exec_lo, s13
	s_wait_dscnt 0x0
	s_barrier_signal -1
	s_barrier_wait -1
	s_and_saveexec_b32 s13, s102
	s_cbranch_execz .LBB152_385
; %bb.384:                              ;   in Loop: Header=BB152_3 Depth=1
	ds_load_b64 v[44:45], v63 offset:12480
	ds_load_b64 v[46:47], v65
	s_wait_dscnt 0x0
	v_pk_mul_f32 v[48:49], v[46:47], v[44:45] op_sel:[1,1] op_sel_hi:[0,1]
	s_delay_alu instid0(VALU_DEP_1) | instskip(SKIP_1) | instid1(VALU_DEP_2)
	v_pk_fma_f32 v[100:101], v[46:47], v[44:45], v[48:49] op_sel_hi:[1,0,1]
	v_pk_fma_f32 v[44:45], v[46:47], v[44:45], v[48:49] neg_lo:[0,0,1] neg_hi:[0,0,1]
	v_mov_b32_e32 v45, v101
	s_delay_alu instid0(VALU_DEP_1)
	v_pk_add_f32 v[42:43], v[42:43], v[44:45]
.LBB152_385:                            ;   in Loop: Header=BB152_3 Depth=1
	s_or_b32 exec_lo, exec_lo, s13
	s_barrier_signal -1
	s_barrier_wait -1
	s_and_saveexec_b32 s13, s103
; %bb.386:                              ;   in Loop: Header=BB152_3 Depth=1
	ds_store_b64 v65, v[42:43]
; %bb.387:                              ;   in Loop: Header=BB152_3 Depth=1
	s_or_b32 exec_lo, exec_lo, s13
	s_wait_dscnt 0x0
	s_barrier_signal -1
	s_barrier_wait -1
	s_and_saveexec_b32 s13, s104
	s_cbranch_execz .LBB152_389
; %bb.388:                              ;   in Loop: Header=BB152_3 Depth=1
	ds_load_b64 v[44:45], v63 offset:12992
	ds_load_b64 v[46:47], v65
	s_wait_dscnt 0x0
	v_dual_mul_f32 v48, v47, v45 :: v_dual_mul_f32 v45, v46, v45
	s_delay_alu instid0(VALU_DEP_1) | instskip(NEXT) | instid1(VALU_DEP_1)
	v_dual_fma_f32 v46, v46, v44, -v48 :: v_dual_fmac_f32 v45, v47, v44
	v_dual_add_f32 v42, v42, v46 :: v_dual_add_f32 v43, v43, v45
.LBB152_389:                            ;   in Loop: Header=BB152_3 Depth=1
	s_or_b32 exec_lo, exec_lo, s13
	s_barrier_signal -1
	s_barrier_wait -1
	s_and_saveexec_b32 s13, vcc_hi
; %bb.390:                              ;   in Loop: Header=BB152_3 Depth=1
	ds_store_b64 v65, v[42:43]
; %bb.391:                              ;   in Loop: Header=BB152_3 Depth=1
	s_or_b32 exec_lo, exec_lo, s13
	s_wait_dscnt 0x0
	s_barrier_signal -1
	s_barrier_wait -1
	s_and_saveexec_b32 s13, s38
	s_cbranch_execz .LBB152_393
; %bb.392:                              ;   in Loop: Header=BB152_3 Depth=1
	ds_load_b64 v[44:45], v63 offset:13504
	ds_load_b64 v[46:47], v65
	s_wait_dscnt 0x0
	v_dual_mul_f32 v48, v47, v45 :: v_dual_mul_f32 v49, v46, v45
	s_delay_alu instid0(VALU_DEP_1) | instskip(NEXT) | instid1(VALU_DEP_1)
	v_dual_fma_f32 v48, v46, v44, -v48 :: v_dual_fmac_f32 v49, v47, v44
	v_pk_add_f32 v[42:43], v[42:43], v[48:49]
.LBB152_393:                            ;   in Loop: Header=BB152_3 Depth=1
	s_or_b32 exec_lo, exec_lo, s13
	s_barrier_signal -1
	s_barrier_wait -1
	s_and_saveexec_b32 s13, s39
; %bb.394:                              ;   in Loop: Header=BB152_3 Depth=1
	ds_store_b64 v65, v[42:43]
; %bb.395:                              ;   in Loop: Header=BB152_3 Depth=1
	s_or_b32 exec_lo, exec_lo, s13
	s_wait_dscnt 0x0
	s_barrier_signal -1
	s_barrier_wait -1
	s_and_saveexec_b32 s13, s41
	s_cbranch_execz .LBB152_397
; %bb.396:                              ;   in Loop: Header=BB152_3 Depth=1
	ds_load_b64 v[44:45], v63 offset:14016
	ds_load_b64 v[46:47], v65
	s_wait_dscnt 0x0
	v_pk_mul_f32 v[48:49], v[46:47], v[44:45] op_sel:[1,1] op_sel_hi:[0,1]
	s_delay_alu instid0(VALU_DEP_1) | instskip(SKIP_1) | instid1(VALU_DEP_2)
	v_pk_fma_f32 v[100:101], v[46:47], v[44:45], v[48:49] op_sel_hi:[1,0,1]
	v_pk_fma_f32 v[44:45], v[46:47], v[44:45], v[48:49] neg_lo:[0,0,1] neg_hi:[0,0,1]
	v_mov_b32_e32 v45, v101
	s_delay_alu instid0(VALU_DEP_1)
	v_pk_add_f32 v[42:43], v[42:43], v[44:45]
.LBB152_397:                            ;   in Loop: Header=BB152_3 Depth=1
	s_or_b32 exec_lo, exec_lo, s13
	s_barrier_signal -1
	s_barrier_wait -1
	s_and_saveexec_b32 s13, s42
; %bb.398:                              ;   in Loop: Header=BB152_3 Depth=1
	ds_store_b64 v65, v[42:43]
; %bb.399:                              ;   in Loop: Header=BB152_3 Depth=1
	s_or_b32 exec_lo, exec_lo, s13
	s_wait_dscnt 0x0
	s_barrier_signal -1
	s_barrier_wait -1
	s_and_saveexec_b32 s13, s43
	s_cbranch_execz .LBB152_401
; %bb.400:                              ;   in Loop: Header=BB152_3 Depth=1
	ds_load_b64 v[44:45], v63 offset:14528
	ds_load_b64 v[46:47], v65
	s_wait_dscnt 0x0
	v_pk_mul_f32 v[48:49], v[46:47], v[44:45] op_sel:[1,1] op_sel_hi:[0,1]
	s_delay_alu instid0(VALU_DEP_1) | instskip(SKIP_1) | instid1(VALU_DEP_2)
	v_pk_fma_f32 v[100:101], v[46:47], v[44:45], v[48:49] op_sel_hi:[1,0,1]
	v_pk_fma_f32 v[44:45], v[46:47], v[44:45], v[48:49] neg_lo:[0,0,1] neg_hi:[0,0,1]
	v_mov_b32_e32 v45, v101
	s_delay_alu instid0(VALU_DEP_1)
	v_pk_add_f32 v[42:43], v[42:43], v[44:45]
.LBB152_401:                            ;   in Loop: Header=BB152_3 Depth=1
	;; [unrolled: 25-line block ×4, first 2 shown]
	s_or_b32 exec_lo, exec_lo, s13
	s_barrier_signal -1
	s_barrier_wait -1
	s_and_saveexec_b32 s13, s47
; %bb.410:                              ;   in Loop: Header=BB152_3 Depth=1
	ds_store_b64 v65, v[42:43]
; %bb.411:                              ;   in Loop: Header=BB152_3 Depth=1
	s_or_b32 exec_lo, exec_lo, s13
	s_wait_dscnt 0x0
	s_barrier_signal -1
	s_barrier_wait -1
	s_barrier_signal -1
	s_barrier_wait -1
	s_and_saveexec_b32 s13, s4
; %bb.412:                              ;   in Loop: Header=BB152_3 Depth=1
	v_pk_add_f32 v[42:43], v[42:43], 0 neg_lo:[1,1] neg_hi:[1,1]
	ds_store_b64 v66, v[42:43] offset:8384
; %bb.413:                              ;   in Loop: Header=BB152_3 Depth=1
	s_or_b32 exec_lo, exec_lo, s13
	s_wait_dscnt 0x0
	s_barrier_signal -1
	s_barrier_wait -1
	s_barrier_signal -1
	s_barrier_wait -1
	s_and_saveexec_b32 s13, s48
	s_cbranch_execz .LBB152_415
; %bb.414:                              ;   in Loop: Header=BB152_3 Depth=1
	ds_load_b64 v[42:43], v55 offset:8384
	s_wait_dscnt 0x0
	ds_store_b64 v59, v[42:43] offset:12416
	ds_load_b64 v[42:43], v55 offset:8392
	s_wait_dscnt 0x0
	ds_store_b64 v59, v[42:43] offset:12928
	;; [unrolled: 3-line block ×8, first 2 shown]
.LBB152_415:                            ;   in Loop: Header=BB152_3 Depth=1
	s_or_b32 exec_lo, exec_lo, s13
	s_wait_dscnt 0x0
	s_barrier_signal -1
	s_barrier_wait -1
	s_and_saveexec_b32 s13, s11
	s_cbranch_execz .LBB152_417
; %bb.416:                              ;   in Loop: Header=BB152_3 Depth=1
	ds_load_b64 v[42:43], v3 offset:12488
	v_add_nc_u32_e64 v44, 0xc0, 0
	ds_store_b64 v3, v[34:35] offset:13000
	s_wait_dscnt 0x1
	ds_store_2addr_stride64_b64 v44, v[34:35], v[42:43] offset0:24 offset1:25
.LBB152_417:                            ;   in Loop: Header=BB152_3 Depth=1
	s_or_b32 exec_lo, exec_lo, s13
	v_mov_b64_e32 v[42:43], 0
	s_wait_dscnt 0x0
	s_barrier_signal -1
	s_barrier_wait -1
	s_and_saveexec_b32 s13, s1
	s_cbranch_execz .LBB152_421
; %bb.418:                              ;   in Loop: Header=BB152_3 Depth=1
	ds_load_b64 v[42:43], v50 offset:12496
	ds_load_b64 v[44:45], v51 offset:12480
	s_wait_dscnt 0x0
	v_pk_mul_f32 v[46:47], v[44:45], v[42:43] op_sel:[1,1] op_sel_hi:[0,1]
	s_delay_alu instid0(VALU_DEP_1) | instskip(SKIP_1) | instid1(VALU_DEP_2)
	v_pk_fma_f32 v[48:49], v[44:45], v[42:43], v[46:47] op_sel_hi:[1,0,1]
	v_pk_fma_f32 v[42:43], v[44:45], v[42:43], v[46:47] neg_lo:[0,0,1] neg_hi:[0,0,1]
	v_mov_b32_e32 v43, v49
	s_delay_alu instid0(VALU_DEP_1)
	v_pk_add_f32 v[42:43], v[42:43], 0 op_sel_hi:[1,0]
	s_and_saveexec_b32 s55, s15
	s_cbranch_execz .LBB152_420
; %bb.419:                              ;   in Loop: Header=BB152_3 Depth=1
	ds_load_b64 v[44:45], v59 offset:13008
	ds_load_b64 v[46:47], v3 offset:12488
	s_wait_dscnt 0x0
	v_pk_mul_f32 v[48:49], v[46:47], v[44:45] op_sel:[1,1] op_sel_hi:[0,1]
	s_delay_alu instid0(VALU_DEP_1) | instskip(SKIP_1) | instid1(VALU_DEP_2)
	v_pk_fma_f32 v[100:101], v[46:47], v[44:45], v[48:49] op_sel_hi:[1,0,1]
	v_pk_fma_f32 v[44:45], v[46:47], v[44:45], v[48:49] neg_lo:[0,0,1] neg_hi:[0,0,1]
	v_mov_b32_e32 v45, v101
	s_delay_alu instid0(VALU_DEP_1)
	v_pk_add_f32 v[42:43], v[42:43], v[44:45]
.LBB152_420:                            ;   in Loop: Header=BB152_3 Depth=1
	s_or_b32 exec_lo, exec_lo, s55
	s_delay_alu instid0(VALU_DEP_1)
	v_pk_add_f32 v[42:43], v[42:43], 0 neg_lo:[1,1] neg_hi:[1,1]
.LBB152_421:                            ;   in Loop: Header=BB152_3 Depth=1
	s_or_b32 exec_lo, exec_lo, s13
	s_and_saveexec_b32 s13, s91
; %bb.422:                              ;   in Loop: Header=BB152_3 Depth=1
	ds_store_b64 v5, v[42:43]
; %bb.423:                              ;   in Loop: Header=BB152_3 Depth=1
	s_or_b32 exec_lo, exec_lo, s13
	s_wait_dscnt 0x0
	s_barrier_signal -1
	s_barrier_wait -1
	s_and_saveexec_b32 s13, s92
	s_cbranch_execz .LBB152_425
; %bb.424:                              ;   in Loop: Header=BB152_3 Depth=1
	ds_load_b64 v[44:45], v3 offset:13528
	ds_load_b64 v[46:47], v5
	s_wait_dscnt 0x0
	v_pk_mul_f32 v[48:49], v[46:47], v[44:45] op_sel:[1,1] op_sel_hi:[0,1]
	s_delay_alu instid0(VALU_DEP_1) | instskip(SKIP_1) | instid1(VALU_DEP_2)
	v_pk_fma_f32 v[100:101], v[46:47], v[44:45], v[48:49] op_sel_hi:[1,0,1]
	v_pk_fma_f32 v[44:45], v[46:47], v[44:45], v[48:49] neg_lo:[0,0,1] neg_hi:[0,0,1]
	v_mov_b32_e32 v45, v101
	s_delay_alu instid0(VALU_DEP_1)
	v_pk_add_f32 v[42:43], v[42:43], v[44:45]
.LBB152_425:                            ;   in Loop: Header=BB152_3 Depth=1
	s_or_b32 exec_lo, exec_lo, s13
	s_barrier_signal -1
	s_barrier_wait -1
	s_and_saveexec_b32 s13, s92
; %bb.426:                              ;   in Loop: Header=BB152_3 Depth=1
	ds_store_b64 v5, v[42:43]
; %bb.427:                              ;   in Loop: Header=BB152_3 Depth=1
	s_or_b32 exec_lo, exec_lo, s13
	s_wait_dscnt 0x0
	s_barrier_signal -1
	s_barrier_wait -1
	s_barrier_signal -1
	s_barrier_wait -1
	s_and_saveexec_b32 s13, s1
; %bb.428:                              ;   in Loop: Header=BB152_3 Depth=1
	v_pk_add_f32 v[42:43], v[42:43], 0 neg_lo:[1,1] neg_hi:[1,1]
	ds_store_b64 v50, v[42:43] offset:12496
; %bb.429:                              ;   in Loop: Header=BB152_3 Depth=1
	s_or_b32 exec_lo, exec_lo, s13
	s_wait_dscnt 0x0
	s_barrier_signal -1
	s_barrier_wait -1
	s_barrier_signal -1
	s_barrier_wait -1
	s_and_saveexec_b32 s13, s93
	s_cbranch_execz .LBB152_431
; %bb.430:                              ;   in Loop: Header=BB152_3 Depth=1
	ds_load_b64 v[42:43], v60 offset:12496
	s_wait_dscnt 0x0
	ds_store_b64 v59, v[42:43] offset:13504
	ds_load_b64 v[42:43], v60 offset:12504
	s_wait_dscnt 0x0
	ds_store_b64 v59, v[42:43] offset:14016
.LBB152_431:                            ;   in Loop: Header=BB152_3 Depth=1
	s_or_b32 exec_lo, exec_lo, s13
	s_wait_dscnt 0x0
	s_barrier_signal -1
	s_barrier_wait -1
	s_and_saveexec_b32 s13, s11
	s_cbranch_execz .LBB152_433
; %bb.432:                              ;   in Loop: Header=BB152_3 Depth=1
	ds_load_b64 v[42:43], v3 offset:13528
	v_add_nc_u32_e64 v44, 0xd0, 0
	ds_store_b64 v3, v[34:35] offset:14040
	s_wait_dscnt 0x1
	ds_store_2addr_stride64_b64 v44, v[34:35], v[42:43] offset0:26 offset1:27
.LBB152_433:                            ;   in Loop: Header=BB152_3 Depth=1
	s_or_b32 exec_lo, exec_lo, s13
	v_mov_b64_e32 v[42:43], 0
	s_wait_dscnt 0x0
	s_barrier_signal -1
	s_barrier_wait -1
	s_and_saveexec_b32 s13, s3
	s_cbranch_execz .LBB152_439
; %bb.434:                              ;   in Loop: Header=BB152_3 Depth=1
	ds_load_b64 v[42:43], v57 offset:12512
	ds_load_b64 v[44:45], v53 offset:12480
	s_wait_dscnt 0x0
	v_dual_mul_f32 v46, v45, v43 :: v_dual_mul_f32 v43, v44, v43
	s_delay_alu instid0(VALU_DEP_1) | instskip(NEXT) | instid1(VALU_DEP_1)
	v_dual_fma_f32 v44, v44, v42, -v46 :: v_dual_fmac_f32 v43, v45, v42
	v_dual_add_f32 v42, 0, v44 :: v_dual_add_f32 v43, 0, v43
	s_and_saveexec_b32 s55, s16
	s_cbranch_execnz .LBB152_1084
; %bb.435:                              ;   in Loop: Header=BB152_3 Depth=1
	s_or_b32 exec_lo, exec_lo, s55
	s_and_saveexec_b32 s55, s17
	s_cbranch_execnz .LBB152_1085
.LBB152_436:                            ;   in Loop: Header=BB152_3 Depth=1
	s_or_b32 exec_lo, exec_lo, s55
	s_and_saveexec_b32 s55, s1
	s_cbranch_execz .LBB152_438
.LBB152_437:                            ;   in Loop: Header=BB152_3 Depth=1
	ds_load_b64 v[44:45], v61 offset:14048
	ds_load_b64 v[46:47], v3 offset:12504
	s_wait_dscnt 0x0
	v_dual_mul_f32 v48, v47, v45 :: v_dual_mul_f32 v49, v46, v45
	s_delay_alu instid0(VALU_DEP_1) | instskip(NEXT) | instid1(VALU_DEP_1)
	v_dual_fma_f32 v48, v46, v44, -v48 :: v_dual_fmac_f32 v49, v47, v44
	v_pk_add_f32 v[42:43], v[42:43], v[48:49]
.LBB152_438:                            ;   in Loop: Header=BB152_3 Depth=1
	s_or_b32 exec_lo, exec_lo, s55
	s_delay_alu instid0(VALU_DEP_1)
	v_pk_add_f32 v[42:43], v[42:43], 0 neg_lo:[1,1] neg_hi:[1,1]
.LBB152_439:                            ;   in Loop: Header=BB152_3 Depth=1
	s_or_b32 exec_lo, exec_lo, s13
	s_and_saveexec_b32 s13, s94
; %bb.440:                              ;   in Loop: Header=BB152_3 Depth=1
	ds_store_b64 v56, v[42:43]
; %bb.441:                              ;   in Loop: Header=BB152_3 Depth=1
	s_or_b32 exec_lo, exec_lo, s13
	s_wait_dscnt 0x0
	s_barrier_signal -1
	s_barrier_wait -1
	s_and_saveexec_b32 s13, s95
	s_cbranch_execz .LBB152_443
; %bb.442:                              ;   in Loop: Header=BB152_3 Depth=1
	ds_load_b64 v[44:45], v54 offset:14560
	ds_load_b64 v[46:47], v56
	s_wait_dscnt 0x0
	v_pk_mul_f32 v[48:49], v[46:47], v[44:45] op_sel:[1,1] op_sel_hi:[0,1]
	s_delay_alu instid0(VALU_DEP_1) | instskip(SKIP_1) | instid1(VALU_DEP_2)
	v_pk_fma_f32 v[100:101], v[46:47], v[44:45], v[48:49] op_sel_hi:[1,0,1]
	v_pk_fma_f32 v[44:45], v[46:47], v[44:45], v[48:49] neg_lo:[0,0,1] neg_hi:[0,0,1]
	v_mov_b32_e32 v45, v101
	s_delay_alu instid0(VALU_DEP_1)
	v_pk_add_f32 v[42:43], v[42:43], v[44:45]
.LBB152_443:                            ;   in Loop: Header=BB152_3 Depth=1
	s_or_b32 exec_lo, exec_lo, s13
	s_barrier_signal -1
	s_barrier_wait -1
	s_and_saveexec_b32 s13, s96
; %bb.444:                              ;   in Loop: Header=BB152_3 Depth=1
	ds_store_b64 v56, v[42:43]
; %bb.445:                              ;   in Loop: Header=BB152_3 Depth=1
	s_or_b32 exec_lo, exec_lo, s13
	s_wait_dscnt 0x0
	s_barrier_signal -1
	s_barrier_wait -1
	s_and_saveexec_b32 s13, s97
	s_cbranch_execz .LBB152_447
; %bb.446:                              ;   in Loop: Header=BB152_3 Depth=1
	ds_load_b64 v[44:45], v54 offset:15072
	ds_load_b64 v[46:47], v56
	s_wait_dscnt 0x0
	v_pk_mul_f32 v[48:49], v[46:47], v[44:45] op_sel:[1,1] op_sel_hi:[0,1]
	s_delay_alu instid0(VALU_DEP_1) | instskip(SKIP_1) | instid1(VALU_DEP_2)
	v_pk_fma_f32 v[100:101], v[46:47], v[44:45], v[48:49] op_sel_hi:[1,0,1]
	v_pk_fma_f32 v[44:45], v[46:47], v[44:45], v[48:49] neg_lo:[0,0,1] neg_hi:[0,0,1]
	v_mov_b32_e32 v45, v101
	s_delay_alu instid0(VALU_DEP_1)
	v_pk_add_f32 v[42:43], v[42:43], v[44:45]
.LBB152_447:                            ;   in Loop: Header=BB152_3 Depth=1
	s_or_b32 exec_lo, exec_lo, s13
	s_barrier_signal -1
	s_barrier_wait -1
	;; [unrolled: 25-line block ×3, first 2 shown]
	s_and_saveexec_b32 s13, s99
; %bb.452:                              ;   in Loop: Header=BB152_3 Depth=1
	ds_store_b64 v56, v[42:43]
; %bb.453:                              ;   in Loop: Header=BB152_3 Depth=1
	s_or_b32 exec_lo, exec_lo, s13
	s_wait_dscnt 0x0
	s_barrier_signal -1
	s_barrier_wait -1
	s_barrier_signal -1
	s_barrier_wait -1
	s_and_saveexec_b32 s13, s3
; %bb.454:                              ;   in Loop: Header=BB152_3 Depth=1
	v_pk_add_f32 v[42:43], v[42:43], 0 neg_lo:[1,1] neg_hi:[1,1]
	ds_store_b64 v57, v[42:43] offset:12512
; %bb.455:                              ;   in Loop: Header=BB152_3 Depth=1
	s_or_b32 exec_lo, exec_lo, s13
	s_wait_dscnt 0x0
	s_barrier_signal -1
	s_barrier_wait -1
	s_barrier_signal -1
	s_barrier_wait -1
	s_and_saveexec_b32 s13, s100
	s_cbranch_execz .LBB152_457
; %bb.456:                              ;   in Loop: Header=BB152_3 Depth=1
	ds_load_b64 v[42:43], v64 offset:12512
	s_wait_dscnt 0x0
	ds_store_b64 v68, v[42:43] offset:14528
	ds_load_b64 v[42:43], v64 offset:12520
	s_wait_dscnt 0x0
	ds_store_b64 v68, v[42:43] offset:15040
	;; [unrolled: 3-line block ×4, first 2 shown]
.LBB152_457:                            ;   in Loop: Header=BB152_3 Depth=1
	s_or_b32 exec_lo, exec_lo, s13
	s_wait_dscnt 0x0
	s_barrier_signal -1
	s_barrier_wait -1
	s_and_saveexec_b32 s13, s11
	s_cbranch_execz .LBB152_459
; %bb.458:                              ;   in Loop: Header=BB152_3 Depth=1
	ds_load_b64 v[42:43], v3 offset:14568
	v_add_nc_u32_e64 v44, 0xe0, 0
	ds_store_b64 v3, v[34:35] offset:15080
	s_wait_dscnt 0x1
	ds_store_2addr_stride64_b64 v44, v[34:35], v[42:43] offset0:28 offset1:29
.LBB152_459:                            ;   in Loop: Header=BB152_3 Depth=1
	s_or_b32 exec_lo, exec_lo, s13
	v_mov_b64_e32 v[42:43], 0
	s_wait_dscnt 0x0
	s_barrier_signal -1
	s_barrier_wait -1
	s_and_saveexec_b32 s13, s1
	s_cbranch_execz .LBB152_463
; %bb.460:                              ;   in Loop: Header=BB152_3 Depth=1
	ds_load_b64 v[42:43], v50 offset:14576
	ds_load_b64 v[44:45], v51 offset:14560
	s_wait_dscnt 0x0
	v_pk_mul_f32 v[46:47], v[44:45], v[42:43] op_sel:[1,1] op_sel_hi:[0,1]
	s_delay_alu instid0(VALU_DEP_1) | instskip(SKIP_1) | instid1(VALU_DEP_2)
	v_pk_fma_f32 v[48:49], v[44:45], v[42:43], v[46:47] op_sel_hi:[1,0,1]
	v_pk_fma_f32 v[42:43], v[44:45], v[42:43], v[46:47] neg_lo:[0,0,1] neg_hi:[0,0,1]
	v_mov_b32_e32 v43, v49
	s_delay_alu instid0(VALU_DEP_1)
	v_pk_add_f32 v[42:43], v[42:43], 0 op_sel_hi:[1,0]
	s_and_saveexec_b32 s55, s15
	s_cbranch_execz .LBB152_462
; %bb.461:                              ;   in Loop: Header=BB152_3 Depth=1
	ds_load_b64 v[44:45], v68 offset:15088
	ds_load_b64 v[46:47], v3 offset:14568
	s_wait_dscnt 0x0
	v_pk_mul_f32 v[48:49], v[46:47], v[44:45] op_sel:[1,1] op_sel_hi:[0,1]
	s_delay_alu instid0(VALU_DEP_1) | instskip(SKIP_1) | instid1(VALU_DEP_2)
	v_pk_fma_f32 v[100:101], v[46:47], v[44:45], v[48:49] op_sel_hi:[1,0,1]
	v_pk_fma_f32 v[44:45], v[46:47], v[44:45], v[48:49] neg_lo:[0,0,1] neg_hi:[0,0,1]
	v_mov_b32_e32 v45, v101
	s_delay_alu instid0(VALU_DEP_1)
	v_pk_add_f32 v[42:43], v[42:43], v[44:45]
.LBB152_462:                            ;   in Loop: Header=BB152_3 Depth=1
	s_or_b32 exec_lo, exec_lo, s55
	s_delay_alu instid0(VALU_DEP_1)
	v_pk_add_f32 v[42:43], v[42:43], 0 neg_lo:[1,1] neg_hi:[1,1]
.LBB152_463:                            ;   in Loop: Header=BB152_3 Depth=1
	s_or_b32 exec_lo, exec_lo, s13
	s_and_saveexec_b32 s13, s91
; %bb.464:                              ;   in Loop: Header=BB152_3 Depth=1
	ds_store_b64 v5, v[42:43]
; %bb.465:                              ;   in Loop: Header=BB152_3 Depth=1
	s_or_b32 exec_lo, exec_lo, s13
	s_wait_dscnt 0x0
	s_barrier_signal -1
	s_barrier_wait -1
	s_and_saveexec_b32 s13, s92
	s_cbranch_execz .LBB152_467
; %bb.466:                              ;   in Loop: Header=BB152_3 Depth=1
	ds_load_b64 v[44:45], v3 offset:15608
	ds_load_b64 v[46:47], v5
	s_wait_dscnt 0x0
	v_pk_mul_f32 v[48:49], v[46:47], v[44:45] op_sel:[1,1] op_sel_hi:[0,1]
	s_delay_alu instid0(VALU_DEP_1) | instskip(SKIP_1) | instid1(VALU_DEP_2)
	v_pk_fma_f32 v[100:101], v[46:47], v[44:45], v[48:49] op_sel_hi:[1,0,1]
	v_pk_fma_f32 v[44:45], v[46:47], v[44:45], v[48:49] neg_lo:[0,0,1] neg_hi:[0,0,1]
	v_mov_b32_e32 v45, v101
	s_delay_alu instid0(VALU_DEP_1)
	v_pk_add_f32 v[42:43], v[42:43], v[44:45]
.LBB152_467:                            ;   in Loop: Header=BB152_3 Depth=1
	s_or_b32 exec_lo, exec_lo, s13
	s_barrier_signal -1
	s_barrier_wait -1
	s_and_saveexec_b32 s13, s92
; %bb.468:                              ;   in Loop: Header=BB152_3 Depth=1
	ds_store_b64 v5, v[42:43]
; %bb.469:                              ;   in Loop: Header=BB152_3 Depth=1
	s_or_b32 exec_lo, exec_lo, s13
	s_wait_dscnt 0x0
	s_barrier_signal -1
	s_barrier_wait -1
	s_barrier_signal -1
	s_barrier_wait -1
	s_and_saveexec_b32 s13, s1
; %bb.470:                              ;   in Loop: Header=BB152_3 Depth=1
	v_pk_add_f32 v[42:43], v[42:43], 0 neg_lo:[1,1] neg_hi:[1,1]
	ds_store_b64 v50, v[42:43] offset:14576
; %bb.471:                              ;   in Loop: Header=BB152_3 Depth=1
	s_or_b32 exec_lo, exec_lo, s13
	s_wait_dscnt 0x0
	s_barrier_signal -1
	s_barrier_wait -1
	s_barrier_signal -1
	s_barrier_wait -1
	s_and_saveexec_b32 s13, s93
	s_cbranch_execz .LBB152_473
; %bb.472:                              ;   in Loop: Header=BB152_3 Depth=1
	ds_load_b64 v[42:43], v69 offset:14576
	s_wait_dscnt 0x0
	ds_store_b64 v68, v[42:43] offset:15584
	ds_load_b64 v[42:43], v69 offset:14584
	s_wait_dscnt 0x0
	ds_store_b64 v68, v[42:43] offset:16096
.LBB152_473:                            ;   in Loop: Header=BB152_3 Depth=1
	s_or_b32 exec_lo, exec_lo, s13
	s_wait_dscnt 0x0
	s_barrier_signal -1
	s_barrier_wait -1
	s_and_saveexec_b32 s13, s11
	s_cbranch_execz .LBB152_475
; %bb.474:                              ;   in Loop: Header=BB152_3 Depth=1
	ds_load_b64 v[42:43], v3 offset:15608
	v_add_nc_u32_e64 v44, 0xf0, 0
	ds_store_b64 v3, v[34:35] offset:16120
	s_wait_dscnt 0x1
	ds_store_2addr_stride64_b64 v44, v[34:35], v[42:43] offset0:30 offset1:31
.LBB152_475:                            ;   in Loop: Header=BB152_3 Depth=1
	s_or_b32 exec_lo, exec_lo, s13
	v_mov_b64_e32 v[42:43], 0
	s_wait_dscnt 0x0
	s_barrier_signal -1
	s_barrier_wait -1
	s_and_saveexec_b32 s62, s35
	s_cbranch_execz .LBB152_537
; %bb.476:                              ;   in Loop: Header=BB152_3 Depth=1
	v_add_nc_u32_e32 v45, v87, v79
	v_add_nc_u32_e32 v44, v79, v78
	ds_load_b64 v[42:43], v45 offset:256
	ds_load_b64 v[46:47], v44
	s_wait_dscnt 0x0
	v_pk_mul_f32 v[48:49], v[46:47], v[42:43] op_sel:[1,1] op_sel_hi:[0,1]
	s_delay_alu instid0(VALU_DEP_1) | instskip(SKIP_1) | instid1(VALU_DEP_2)
	v_pk_fma_f32 v[100:101], v[46:47], v[42:43], v[48:49] op_sel_hi:[1,0,1]
	v_pk_fma_f32 v[42:43], v[46:47], v[42:43], v[48:49] neg_lo:[0,0,1] neg_hi:[0,0,1]
	v_mov_b32_e32 v43, v101
	s_delay_alu instid0(VALU_DEP_1) | instskip(SKIP_3) | instid1(SALU_CYCLE_1)
	v_pk_add_f32 v[42:43], v[42:43], 0 op_sel_hi:[1,0]
	s_mov_b32 s13, exec_lo
	v_readlane_b32 s55, v99, 4
	s_and_b32 s55, s13, s55
	s_mov_b32 exec_lo, s55
	s_cbranch_execz .LBB152_478
; %bb.477:                              ;   in Loop: Header=BB152_3 Depth=1
	ds_load_b64 v[46:47], v45 offset:768
	ds_load_b64 v[48:49], v44 offset:8
	s_wait_dscnt 0x0
	v_pk_mul_f32 v[100:101], v[48:49], v[46:47] op_sel:[1,1] op_sel_hi:[0,1]
	s_delay_alu instid0(VALU_DEP_1) | instskip(SKIP_1) | instid1(VALU_DEP_2)
	v_pk_fma_f32 v[102:103], v[48:49], v[46:47], v[100:101] op_sel_hi:[1,0,1]
	v_pk_fma_f32 v[46:47], v[48:49], v[46:47], v[100:101] neg_lo:[0,0,1] neg_hi:[0,0,1]
	v_mov_b32_e32 v47, v103
	s_delay_alu instid0(VALU_DEP_1)
	v_pk_add_f32 v[42:43], v[42:43], v[46:47]
.LBB152_478:                            ;   in Loop: Header=BB152_3 Depth=1
	s_or_b32 exec_lo, exec_lo, s13
	s_delay_alu instid0(SALU_CYCLE_1) | instskip(SKIP_2) | instid1(SALU_CYCLE_1)
	s_mov_b32 s13, exec_lo
	v_readlane_b32 s55, v99, 5
	s_and_b32 s55, s13, s55
	s_mov_b32 exec_lo, s55
	s_cbranch_execz .LBB152_480
; %bb.479:                              ;   in Loop: Header=BB152_3 Depth=1
	ds_load_b64 v[46:47], v45 offset:1280
	ds_load_b64 v[48:49], v44 offset:16
	s_wait_dscnt 0x0
	v_pk_mul_f32 v[100:101], v[48:49], v[46:47] op_sel:[1,1] op_sel_hi:[0,1]
	s_delay_alu instid0(VALU_DEP_1) | instskip(SKIP_1) | instid1(VALU_DEP_2)
	v_pk_fma_f32 v[102:103], v[48:49], v[46:47], v[100:101] op_sel_hi:[1,0,1]
	v_pk_fma_f32 v[46:47], v[48:49], v[46:47], v[100:101] neg_lo:[0,0,1] neg_hi:[0,0,1]
	v_mov_b32_e32 v47, v103
	s_delay_alu instid0(VALU_DEP_1)
	v_pk_add_f32 v[42:43], v[42:43], v[46:47]
.LBB152_480:                            ;   in Loop: Header=BB152_3 Depth=1
	s_or_b32 exec_lo, exec_lo, s13
	s_delay_alu instid0(SALU_CYCLE_1) | instskip(SKIP_2) | instid1(SALU_CYCLE_1)
	s_mov_b32 s13, exec_lo
	v_readlane_b32 s55, v99, 7
	s_and_b32 s55, s13, s55
	s_mov_b32 exec_lo, s55
	s_cbranch_execz .LBB152_482
; %bb.481:                              ;   in Loop: Header=BB152_3 Depth=1
	ds_load_b64 v[46:47], v45 offset:1792
	ds_load_b64 v[48:49], v44 offset:24
	s_wait_dscnt 0x0
	v_pk_mul_f32 v[100:101], v[48:49], v[46:47] op_sel:[1,1] op_sel_hi:[0,1]
	s_delay_alu instid0(VALU_DEP_1) | instskip(SKIP_1) | instid1(VALU_DEP_2)
	v_pk_fma_f32 v[102:103], v[48:49], v[46:47], v[100:101] op_sel_hi:[1,0,1]
	v_pk_fma_f32 v[46:47], v[48:49], v[46:47], v[100:101] neg_lo:[0,0,1] neg_hi:[0,0,1]
	v_mov_b32_e32 v47, v103
	s_delay_alu instid0(VALU_DEP_1)
	v_pk_add_f32 v[42:43], v[42:43], v[46:47]
.LBB152_482:                            ;   in Loop: Header=BB152_3 Depth=1
	s_or_b32 exec_lo, exec_lo, s13
	s_delay_alu instid0(SALU_CYCLE_1) | instskip(SKIP_2) | instid1(SALU_CYCLE_1)
	s_mov_b32 s13, exec_lo
	v_readlane_b32 s55, v99, 8
	s_and_b32 s55, s13, s55
	s_mov_b32 exec_lo, s55
	s_cbranch_execz .LBB152_484
; %bb.483:                              ;   in Loop: Header=BB152_3 Depth=1
	ds_load_b64 v[46:47], v45 offset:2304
	ds_load_b64 v[48:49], v44 offset:32
	s_wait_dscnt 0x0
	v_pk_mul_f32 v[100:101], v[48:49], v[46:47] op_sel:[1,1] op_sel_hi:[0,1]
	s_delay_alu instid0(VALU_DEP_1) | instskip(SKIP_1) | instid1(VALU_DEP_2)
	v_pk_fma_f32 v[102:103], v[48:49], v[46:47], v[100:101] op_sel_hi:[1,0,1]
	v_pk_fma_f32 v[46:47], v[48:49], v[46:47], v[100:101] neg_lo:[0,0,1] neg_hi:[0,0,1]
	v_mov_b32_e32 v47, v103
	s_delay_alu instid0(VALU_DEP_1)
	v_pk_add_f32 v[42:43], v[42:43], v[46:47]
.LBB152_484:                            ;   in Loop: Header=BB152_3 Depth=1
	s_or_b32 exec_lo, exec_lo, s13
	s_delay_alu instid0(SALU_CYCLE_1) | instskip(SKIP_2) | instid1(SALU_CYCLE_1)
	s_mov_b32 s13, exec_lo
	v_readlane_b32 s55, v99, 9
	s_and_b32 s55, s13, s55
	s_mov_b32 exec_lo, s55
	s_cbranch_execz .LBB152_486
; %bb.485:                              ;   in Loop: Header=BB152_3 Depth=1
	ds_load_b64 v[46:47], v45 offset:2816
	ds_load_b64 v[48:49], v44 offset:40
	s_wait_dscnt 0x0
	v_pk_mul_f32 v[100:101], v[48:49], v[46:47] op_sel:[1,1] op_sel_hi:[0,1]
	s_delay_alu instid0(VALU_DEP_1) | instskip(SKIP_1) | instid1(VALU_DEP_2)
	v_pk_fma_f32 v[102:103], v[48:49], v[46:47], v[100:101] op_sel_hi:[1,0,1]
	v_pk_fma_f32 v[46:47], v[48:49], v[46:47], v[100:101] neg_lo:[0,0,1] neg_hi:[0,0,1]
	v_mov_b32_e32 v47, v103
	s_delay_alu instid0(VALU_DEP_1)
	v_pk_add_f32 v[42:43], v[42:43], v[46:47]
.LBB152_486:                            ;   in Loop: Header=BB152_3 Depth=1
	s_or_b32 exec_lo, exec_lo, s13
	s_delay_alu instid0(SALU_CYCLE_1) | instskip(SKIP_2) | instid1(SALU_CYCLE_1)
	s_mov_b32 s13, exec_lo
	v_readlane_b32 s55, v99, 10
	s_and_b32 s55, s13, s55
	s_mov_b32 exec_lo, s55
	s_cbranch_execz .LBB152_488
; %bb.487:                              ;   in Loop: Header=BB152_3 Depth=1
	ds_load_b64 v[46:47], v45 offset:3328
	ds_load_b64 v[48:49], v44 offset:48
	s_wait_dscnt 0x0
	v_pk_mul_f32 v[100:101], v[48:49], v[46:47] op_sel:[1,1] op_sel_hi:[0,1]
	s_delay_alu instid0(VALU_DEP_1) | instskip(SKIP_1) | instid1(VALU_DEP_2)
	v_pk_fma_f32 v[102:103], v[48:49], v[46:47], v[100:101] op_sel_hi:[1,0,1]
	v_pk_fma_f32 v[46:47], v[48:49], v[46:47], v[100:101] neg_lo:[0,0,1] neg_hi:[0,0,1]
	v_mov_b32_e32 v47, v103
	s_delay_alu instid0(VALU_DEP_1)
	v_pk_add_f32 v[42:43], v[42:43], v[46:47]
.LBB152_488:                            ;   in Loop: Header=BB152_3 Depth=1
	s_or_b32 exec_lo, exec_lo, s13
	s_delay_alu instid0(SALU_CYCLE_1) | instskip(SKIP_2) | instid1(SALU_CYCLE_1)
	s_mov_b32 s13, exec_lo
	v_readlane_b32 s55, v99, 11
	s_and_b32 s55, s13, s55
	s_mov_b32 exec_lo, s55
	s_cbranch_execz .LBB152_490
; %bb.489:                              ;   in Loop: Header=BB152_3 Depth=1
	ds_load_b64 v[46:47], v45 offset:3840
	ds_load_b64 v[48:49], v44 offset:56
	s_wait_dscnt 0x0
	v_pk_mul_f32 v[100:101], v[48:49], v[46:47] op_sel:[1,1] op_sel_hi:[0,1]
	s_delay_alu instid0(VALU_DEP_1) | instskip(SKIP_1) | instid1(VALU_DEP_2)
	v_pk_fma_f32 v[102:103], v[48:49], v[46:47], v[100:101] op_sel_hi:[1,0,1]
	v_pk_fma_f32 v[46:47], v[48:49], v[46:47], v[100:101] neg_lo:[0,0,1] neg_hi:[0,0,1]
	v_mov_b32_e32 v47, v103
	s_delay_alu instid0(VALU_DEP_1)
	v_pk_add_f32 v[42:43], v[42:43], v[46:47]
.LBB152_490:                            ;   in Loop: Header=BB152_3 Depth=1
	s_or_b32 exec_lo, exec_lo, s13
	s_delay_alu instid0(SALU_CYCLE_1) | instskip(SKIP_2) | instid1(SALU_CYCLE_1)
	s_mov_b32 s13, exec_lo
	v_readlane_b32 s55, v99, 12
	s_and_b32 s55, s13, s55
	s_mov_b32 exec_lo, s55
	s_cbranch_execz .LBB152_492
; %bb.491:                              ;   in Loop: Header=BB152_3 Depth=1
	ds_load_b64 v[46:47], v45 offset:4352
	ds_load_b64 v[48:49], v44 offset:64
	s_wait_dscnt 0x0
	v_pk_mul_f32 v[100:101], v[48:49], v[46:47] op_sel:[1,1] op_sel_hi:[0,1]
	s_delay_alu instid0(VALU_DEP_1) | instskip(SKIP_1) | instid1(VALU_DEP_2)
	v_pk_fma_f32 v[102:103], v[48:49], v[46:47], v[100:101] op_sel_hi:[1,0,1]
	v_pk_fma_f32 v[46:47], v[48:49], v[46:47], v[100:101] neg_lo:[0,0,1] neg_hi:[0,0,1]
	v_mov_b32_e32 v47, v103
	s_delay_alu instid0(VALU_DEP_1)
	v_pk_add_f32 v[42:43], v[42:43], v[46:47]
.LBB152_492:                            ;   in Loop: Header=BB152_3 Depth=1
	s_or_b32 exec_lo, exec_lo, s13
	s_delay_alu instid0(SALU_CYCLE_1) | instskip(SKIP_2) | instid1(SALU_CYCLE_1)
	s_mov_b32 s13, exec_lo
	v_readlane_b32 s55, v99, 13
	s_and_b32 s55, s13, s55
	s_mov_b32 exec_lo, s55
	s_cbranch_execz .LBB152_494
; %bb.493:                              ;   in Loop: Header=BB152_3 Depth=1
	ds_load_b64 v[46:47], v45 offset:4864
	ds_load_b64 v[48:49], v44 offset:72
	s_wait_dscnt 0x0
	v_pk_mul_f32 v[100:101], v[48:49], v[46:47] op_sel:[1,1] op_sel_hi:[0,1]
	s_delay_alu instid0(VALU_DEP_1) | instskip(SKIP_1) | instid1(VALU_DEP_2)
	v_pk_fma_f32 v[102:103], v[48:49], v[46:47], v[100:101] op_sel_hi:[1,0,1]
	v_pk_fma_f32 v[46:47], v[48:49], v[46:47], v[100:101] neg_lo:[0,0,1] neg_hi:[0,0,1]
	v_mov_b32_e32 v47, v103
	s_delay_alu instid0(VALU_DEP_1)
	v_pk_add_f32 v[42:43], v[42:43], v[46:47]
.LBB152_494:                            ;   in Loop: Header=BB152_3 Depth=1
	s_or_b32 exec_lo, exec_lo, s13
	s_delay_alu instid0(SALU_CYCLE_1) | instskip(SKIP_2) | instid1(SALU_CYCLE_1)
	s_mov_b32 s13, exec_lo
	v_readlane_b32 s55, v99, 14
	s_and_b32 s55, s13, s55
	s_mov_b32 exec_lo, s55
	s_cbranch_execz .LBB152_496
; %bb.495:                              ;   in Loop: Header=BB152_3 Depth=1
	ds_load_b64 v[46:47], v45 offset:5376
	ds_load_b64 v[48:49], v44 offset:80
	s_wait_dscnt 0x0
	v_pk_mul_f32 v[100:101], v[48:49], v[46:47] op_sel:[1,1] op_sel_hi:[0,1]
	s_delay_alu instid0(VALU_DEP_1) | instskip(SKIP_1) | instid1(VALU_DEP_2)
	v_pk_fma_f32 v[102:103], v[48:49], v[46:47], v[100:101] op_sel_hi:[1,0,1]
	v_pk_fma_f32 v[46:47], v[48:49], v[46:47], v[100:101] neg_lo:[0,0,1] neg_hi:[0,0,1]
	v_mov_b32_e32 v47, v103
	s_delay_alu instid0(VALU_DEP_1)
	v_pk_add_f32 v[42:43], v[42:43], v[46:47]
.LBB152_496:                            ;   in Loop: Header=BB152_3 Depth=1
	s_or_b32 exec_lo, exec_lo, s13
	s_delay_alu instid0(SALU_CYCLE_1) | instskip(SKIP_2) | instid1(SALU_CYCLE_1)
	s_mov_b32 s13, exec_lo
	v_readlane_b32 s55, v99, 15
	s_and_b32 s55, s13, s55
	s_mov_b32 exec_lo, s55
	s_cbranch_execz .LBB152_498
; %bb.497:                              ;   in Loop: Header=BB152_3 Depth=1
	ds_load_b64 v[46:47], v45 offset:5888
	ds_load_b64 v[48:49], v44 offset:88
	s_wait_dscnt 0x0
	v_pk_mul_f32 v[100:101], v[48:49], v[46:47] op_sel:[1,1] op_sel_hi:[0,1]
	s_delay_alu instid0(VALU_DEP_1) | instskip(SKIP_1) | instid1(VALU_DEP_2)
	v_pk_fma_f32 v[102:103], v[48:49], v[46:47], v[100:101] op_sel_hi:[1,0,1]
	v_pk_fma_f32 v[46:47], v[48:49], v[46:47], v[100:101] neg_lo:[0,0,1] neg_hi:[0,0,1]
	v_mov_b32_e32 v47, v103
	s_delay_alu instid0(VALU_DEP_1)
	v_pk_add_f32 v[42:43], v[42:43], v[46:47]
.LBB152_498:                            ;   in Loop: Header=BB152_3 Depth=1
	s_or_b32 exec_lo, exec_lo, s13
	s_delay_alu instid0(SALU_CYCLE_1) | instskip(SKIP_2) | instid1(SALU_CYCLE_1)
	s_mov_b32 s13, exec_lo
	v_readlane_b32 s55, v99, 16
	s_and_b32 s55, s13, s55
	s_mov_b32 exec_lo, s55
	s_cbranch_execz .LBB152_500
; %bb.499:                              ;   in Loop: Header=BB152_3 Depth=1
	ds_load_b64 v[46:47], v45 offset:6400
	ds_load_b64 v[48:49], v44 offset:96
	s_wait_dscnt 0x0
	v_pk_mul_f32 v[100:101], v[48:49], v[46:47] op_sel:[1,1] op_sel_hi:[0,1]
	s_delay_alu instid0(VALU_DEP_1) | instskip(SKIP_1) | instid1(VALU_DEP_2)
	v_pk_fma_f32 v[102:103], v[48:49], v[46:47], v[100:101] op_sel_hi:[1,0,1]
	v_pk_fma_f32 v[46:47], v[48:49], v[46:47], v[100:101] neg_lo:[0,0,1] neg_hi:[0,0,1]
	v_mov_b32_e32 v47, v103
	s_delay_alu instid0(VALU_DEP_1)
	v_pk_add_f32 v[42:43], v[42:43], v[46:47]
.LBB152_500:                            ;   in Loop: Header=BB152_3 Depth=1
	s_or_b32 exec_lo, exec_lo, s13
	s_delay_alu instid0(SALU_CYCLE_1) | instskip(SKIP_2) | instid1(SALU_CYCLE_1)
	s_mov_b32 s13, exec_lo
	v_readlane_b32 s55, v99, 17
	s_and_b32 s55, s13, s55
	s_mov_b32 exec_lo, s55
	s_cbranch_execz .LBB152_502
; %bb.501:                              ;   in Loop: Header=BB152_3 Depth=1
	ds_load_b64 v[46:47], v45 offset:6912
	ds_load_b64 v[48:49], v44 offset:104
	s_wait_dscnt 0x0
	v_pk_mul_f32 v[100:101], v[48:49], v[46:47] op_sel:[1,1] op_sel_hi:[0,1]
	s_delay_alu instid0(VALU_DEP_1) | instskip(SKIP_1) | instid1(VALU_DEP_2)
	v_pk_fma_f32 v[102:103], v[48:49], v[46:47], v[100:101] op_sel_hi:[1,0,1]
	v_pk_fma_f32 v[46:47], v[48:49], v[46:47], v[100:101] neg_lo:[0,0,1] neg_hi:[0,0,1]
	v_mov_b32_e32 v47, v103
	s_delay_alu instid0(VALU_DEP_1)
	v_pk_add_f32 v[42:43], v[42:43], v[46:47]
.LBB152_502:                            ;   in Loop: Header=BB152_3 Depth=1
	s_or_b32 exec_lo, exec_lo, s13
	s_delay_alu instid0(SALU_CYCLE_1) | instskip(SKIP_2) | instid1(SALU_CYCLE_1)
	s_mov_b32 s13, exec_lo
	v_readlane_b32 s55, v99, 18
	s_and_b32 s55, s13, s55
	s_mov_b32 exec_lo, s55
	s_cbranch_execz .LBB152_504
; %bb.503:                              ;   in Loop: Header=BB152_3 Depth=1
	ds_load_b64 v[46:47], v45 offset:7424
	ds_load_b64 v[48:49], v44 offset:112
	s_wait_dscnt 0x0
	v_pk_mul_f32 v[100:101], v[48:49], v[46:47] op_sel:[1,1] op_sel_hi:[0,1]
	s_delay_alu instid0(VALU_DEP_1) | instskip(SKIP_1) | instid1(VALU_DEP_2)
	v_pk_fma_f32 v[102:103], v[48:49], v[46:47], v[100:101] op_sel_hi:[1,0,1]
	v_pk_fma_f32 v[46:47], v[48:49], v[46:47], v[100:101] neg_lo:[0,0,1] neg_hi:[0,0,1]
	v_mov_b32_e32 v47, v103
	s_delay_alu instid0(VALU_DEP_1)
	v_pk_add_f32 v[42:43], v[42:43], v[46:47]
.LBB152_504:                            ;   in Loop: Header=BB152_3 Depth=1
	s_or_b32 exec_lo, exec_lo, s13
	s_delay_alu instid0(SALU_CYCLE_1) | instskip(SKIP_2) | instid1(SALU_CYCLE_1)
	s_mov_b32 s13, exec_lo
	v_readlane_b32 s55, v99, 19
	s_and_b32 s55, s13, s55
	s_mov_b32 exec_lo, s55
	s_cbranch_execz .LBB152_506
; %bb.505:                              ;   in Loop: Header=BB152_3 Depth=1
	ds_load_b64 v[46:47], v45 offset:7936
	ds_load_b64 v[48:49], v44 offset:120
	s_wait_dscnt 0x0
	v_pk_mul_f32 v[100:101], v[48:49], v[46:47] op_sel:[1,1] op_sel_hi:[0,1]
	s_delay_alu instid0(VALU_DEP_1) | instskip(SKIP_1) | instid1(VALU_DEP_2)
	v_pk_fma_f32 v[102:103], v[48:49], v[46:47], v[100:101] op_sel_hi:[1,0,1]
	v_pk_fma_f32 v[46:47], v[48:49], v[46:47], v[100:101] neg_lo:[0,0,1] neg_hi:[0,0,1]
	v_mov_b32_e32 v47, v103
	s_delay_alu instid0(VALU_DEP_1)
	v_pk_add_f32 v[42:43], v[42:43], v[46:47]
.LBB152_506:                            ;   in Loop: Header=BB152_3 Depth=1
	s_or_b32 exec_lo, exec_lo, s13
	s_delay_alu instid0(SALU_CYCLE_1) | instskip(SKIP_2) | instid1(SALU_CYCLE_1)
	s_mov_b32 s13, exec_lo
	v_readlane_b32 s55, v99, 20
	s_and_b32 s55, s13, s55
	s_mov_b32 exec_lo, s55
	s_cbranch_execz .LBB152_508
; %bb.507:                              ;   in Loop: Header=BB152_3 Depth=1
	ds_load_b64 v[46:47], v45 offset:8448
	ds_load_b64 v[48:49], v44 offset:128
	s_wait_dscnt 0x0
	v_pk_mul_f32 v[100:101], v[48:49], v[46:47] op_sel:[1,1] op_sel_hi:[0,1]
	s_delay_alu instid0(VALU_DEP_1) | instskip(SKIP_1) | instid1(VALU_DEP_2)
	v_pk_fma_f32 v[102:103], v[48:49], v[46:47], v[100:101] op_sel_hi:[1,0,1]
	v_pk_fma_f32 v[46:47], v[48:49], v[46:47], v[100:101] neg_lo:[0,0,1] neg_hi:[0,0,1]
	v_mov_b32_e32 v47, v103
	s_delay_alu instid0(VALU_DEP_1)
	v_pk_add_f32 v[42:43], v[42:43], v[46:47]
.LBB152_508:                            ;   in Loop: Header=BB152_3 Depth=1
	s_or_b32 exec_lo, exec_lo, s13
	s_delay_alu instid0(SALU_CYCLE_1) | instskip(SKIP_2) | instid1(SALU_CYCLE_1)
	s_mov_b32 s13, exec_lo
	v_readlane_b32 s55, v99, 21
	s_and_b32 s55, s13, s55
	s_mov_b32 exec_lo, s55
	s_cbranch_execz .LBB152_510
; %bb.509:                              ;   in Loop: Header=BB152_3 Depth=1
	ds_load_b64 v[46:47], v45 offset:8960
	ds_load_b64 v[48:49], v44 offset:136
	s_wait_dscnt 0x0
	v_pk_mul_f32 v[100:101], v[48:49], v[46:47] op_sel:[1,1] op_sel_hi:[0,1]
	s_delay_alu instid0(VALU_DEP_1) | instskip(SKIP_1) | instid1(VALU_DEP_2)
	v_pk_fma_f32 v[102:103], v[48:49], v[46:47], v[100:101] op_sel_hi:[1,0,1]
	v_pk_fma_f32 v[46:47], v[48:49], v[46:47], v[100:101] neg_lo:[0,0,1] neg_hi:[0,0,1]
	v_mov_b32_e32 v47, v103
	s_delay_alu instid0(VALU_DEP_1)
	v_pk_add_f32 v[42:43], v[42:43], v[46:47]
.LBB152_510:                            ;   in Loop: Header=BB152_3 Depth=1
	s_or_b32 exec_lo, exec_lo, s13
	s_delay_alu instid0(SALU_CYCLE_1) | instskip(SKIP_2) | instid1(SALU_CYCLE_1)
	s_mov_b32 s13, exec_lo
	v_readlane_b32 s55, v99, 22
	s_and_b32 s55, s13, s55
	s_mov_b32 exec_lo, s55
	s_cbranch_execz .LBB152_512
; %bb.511:                              ;   in Loop: Header=BB152_3 Depth=1
	ds_load_b64 v[46:47], v45 offset:9472
	ds_load_b64 v[48:49], v44 offset:144
	s_wait_dscnt 0x0
	v_pk_mul_f32 v[100:101], v[48:49], v[46:47] op_sel:[1,1] op_sel_hi:[0,1]
	s_delay_alu instid0(VALU_DEP_1) | instskip(SKIP_1) | instid1(VALU_DEP_2)
	v_pk_fma_f32 v[102:103], v[48:49], v[46:47], v[100:101] op_sel_hi:[1,0,1]
	v_pk_fma_f32 v[46:47], v[48:49], v[46:47], v[100:101] neg_lo:[0,0,1] neg_hi:[0,0,1]
	v_mov_b32_e32 v47, v103
	s_delay_alu instid0(VALU_DEP_1)
	v_pk_add_f32 v[42:43], v[42:43], v[46:47]
.LBB152_512:                            ;   in Loop: Header=BB152_3 Depth=1
	s_or_b32 exec_lo, exec_lo, s13
	s_delay_alu instid0(SALU_CYCLE_1) | instskip(SKIP_2) | instid1(SALU_CYCLE_1)
	s_mov_b32 s13, exec_lo
	v_readlane_b32 s55, v99, 23
	s_and_b32 s55, s13, s55
	s_mov_b32 exec_lo, s55
	s_cbranch_execz .LBB152_514
; %bb.513:                              ;   in Loop: Header=BB152_3 Depth=1
	ds_load_b64 v[46:47], v45 offset:9984
	ds_load_b64 v[48:49], v44 offset:152
	s_wait_dscnt 0x0
	v_pk_mul_f32 v[100:101], v[48:49], v[46:47] op_sel:[1,1] op_sel_hi:[0,1]
	s_delay_alu instid0(VALU_DEP_1) | instskip(SKIP_1) | instid1(VALU_DEP_2)
	v_pk_fma_f32 v[102:103], v[48:49], v[46:47], v[100:101] op_sel_hi:[1,0,1]
	v_pk_fma_f32 v[46:47], v[48:49], v[46:47], v[100:101] neg_lo:[0,0,1] neg_hi:[0,0,1]
	v_mov_b32_e32 v47, v103
	s_delay_alu instid0(VALU_DEP_1)
	v_pk_add_f32 v[42:43], v[42:43], v[46:47]
.LBB152_514:                            ;   in Loop: Header=BB152_3 Depth=1
	s_or_b32 exec_lo, exec_lo, s13
	s_delay_alu instid0(SALU_CYCLE_1) | instskip(SKIP_2) | instid1(SALU_CYCLE_1)
	s_mov_b32 s13, exec_lo
	v_readlane_b32 s55, v99, 24
	s_and_b32 s55, s13, s55
	s_mov_b32 exec_lo, s55
	s_cbranch_execz .LBB152_516
; %bb.515:                              ;   in Loop: Header=BB152_3 Depth=1
	ds_load_b64 v[46:47], v45 offset:10496
	ds_load_b64 v[48:49], v44 offset:160
	s_wait_dscnt 0x0
	v_pk_mul_f32 v[100:101], v[48:49], v[46:47] op_sel:[1,1] op_sel_hi:[0,1]
	s_delay_alu instid0(VALU_DEP_1) | instskip(SKIP_1) | instid1(VALU_DEP_2)
	v_pk_fma_f32 v[102:103], v[48:49], v[46:47], v[100:101] op_sel_hi:[1,0,1]
	v_pk_fma_f32 v[46:47], v[48:49], v[46:47], v[100:101] neg_lo:[0,0,1] neg_hi:[0,0,1]
	v_mov_b32_e32 v47, v103
	s_delay_alu instid0(VALU_DEP_1)
	v_pk_add_f32 v[42:43], v[42:43], v[46:47]
.LBB152_516:                            ;   in Loop: Header=BB152_3 Depth=1
	s_or_b32 exec_lo, exec_lo, s13
	s_delay_alu instid0(SALU_CYCLE_1) | instskip(SKIP_2) | instid1(SALU_CYCLE_1)
	s_mov_b32 s13, exec_lo
	v_readlane_b32 s55, v99, 25
	s_and_b32 s55, s13, s55
	s_mov_b32 exec_lo, s55
	s_cbranch_execz .LBB152_518
; %bb.517:                              ;   in Loop: Header=BB152_3 Depth=1
	ds_load_b64 v[46:47], v45 offset:11008
	ds_load_b64 v[48:49], v44 offset:168
	s_wait_dscnt 0x0
	v_pk_mul_f32 v[100:101], v[48:49], v[46:47] op_sel:[1,1] op_sel_hi:[0,1]
	s_delay_alu instid0(VALU_DEP_1) | instskip(SKIP_1) | instid1(VALU_DEP_2)
	v_pk_fma_f32 v[102:103], v[48:49], v[46:47], v[100:101] op_sel_hi:[1,0,1]
	v_pk_fma_f32 v[46:47], v[48:49], v[46:47], v[100:101] neg_lo:[0,0,1] neg_hi:[0,0,1]
	v_mov_b32_e32 v47, v103
	s_delay_alu instid0(VALU_DEP_1)
	v_pk_add_f32 v[42:43], v[42:43], v[46:47]
.LBB152_518:                            ;   in Loop: Header=BB152_3 Depth=1
	s_or_b32 exec_lo, exec_lo, s13
	s_delay_alu instid0(SALU_CYCLE_1) | instskip(SKIP_2) | instid1(SALU_CYCLE_1)
	s_mov_b32 s13, exec_lo
	v_readlane_b32 s55, v99, 26
	s_and_b32 s55, s13, s55
	s_mov_b32 exec_lo, s55
	s_cbranch_execz .LBB152_520
; %bb.519:                              ;   in Loop: Header=BB152_3 Depth=1
	ds_load_b64 v[46:47], v45 offset:11520
	ds_load_b64 v[48:49], v44 offset:176
	s_wait_dscnt 0x0
	v_pk_mul_f32 v[100:101], v[48:49], v[46:47] op_sel:[1,1] op_sel_hi:[0,1]
	s_delay_alu instid0(VALU_DEP_1) | instskip(SKIP_1) | instid1(VALU_DEP_2)
	v_pk_fma_f32 v[102:103], v[48:49], v[46:47], v[100:101] op_sel_hi:[1,0,1]
	v_pk_fma_f32 v[46:47], v[48:49], v[46:47], v[100:101] neg_lo:[0,0,1] neg_hi:[0,0,1]
	v_mov_b32_e32 v47, v103
	s_delay_alu instid0(VALU_DEP_1)
	v_pk_add_f32 v[42:43], v[42:43], v[46:47]
.LBB152_520:                            ;   in Loop: Header=BB152_3 Depth=1
	s_or_b32 exec_lo, exec_lo, s13
	s_delay_alu instid0(SALU_CYCLE_1) | instskip(SKIP_2) | instid1(SALU_CYCLE_1)
	s_mov_b32 s13, exec_lo
	v_readlane_b32 s55, v99, 27
	s_and_b32 s55, s13, s55
	s_mov_b32 exec_lo, s55
	s_cbranch_execz .LBB152_522
; %bb.521:                              ;   in Loop: Header=BB152_3 Depth=1
	ds_load_b64 v[46:47], v45 offset:12032
	ds_load_b64 v[48:49], v44 offset:184
	s_wait_dscnt 0x0
	v_pk_mul_f32 v[100:101], v[48:49], v[46:47] op_sel:[1,1] op_sel_hi:[0,1]
	s_delay_alu instid0(VALU_DEP_1) | instskip(SKIP_1) | instid1(VALU_DEP_2)
	v_pk_fma_f32 v[102:103], v[48:49], v[46:47], v[100:101] op_sel_hi:[1,0,1]
	v_pk_fma_f32 v[46:47], v[48:49], v[46:47], v[100:101] neg_lo:[0,0,1] neg_hi:[0,0,1]
	v_mov_b32_e32 v47, v103
	s_delay_alu instid0(VALU_DEP_1)
	v_pk_add_f32 v[42:43], v[42:43], v[46:47]
.LBB152_522:                            ;   in Loop: Header=BB152_3 Depth=1
	s_or_b32 exec_lo, exec_lo, s13
	s_and_saveexec_b32 s13, s5
	s_cbranch_execz .LBB152_524
; %bb.523:                              ;   in Loop: Header=BB152_3 Depth=1
	ds_load_b64 v[46:47], v45 offset:12544
	ds_load_b64 v[48:49], v44 offset:192
	s_wait_dscnt 0x0
	v_pk_mul_f32 v[100:101], v[48:49], v[46:47] op_sel:[1,1] op_sel_hi:[0,1]
	s_delay_alu instid0(VALU_DEP_1) | instskip(SKIP_1) | instid1(VALU_DEP_2)
	v_pk_fma_f32 v[102:103], v[48:49], v[46:47], v[100:101] op_sel_hi:[1,0,1]
	v_pk_fma_f32 v[46:47], v[48:49], v[46:47], v[100:101] neg_lo:[0,0,1] neg_hi:[0,0,1]
	v_mov_b32_e32 v47, v103
	s_delay_alu instid0(VALU_DEP_1)
	v_pk_add_f32 v[42:43], v[42:43], v[46:47]
.LBB152_524:                            ;   in Loop: Header=BB152_3 Depth=1
	s_or_b32 exec_lo, exec_lo, s13
	s_delay_alu instid0(SALU_CYCLE_1) | instskip(SKIP_2) | instid1(SALU_CYCLE_1)
	s_mov_b32 s13, exec_lo
	v_readlane_b32 s55, v108, 26
	s_and_b32 s55, s13, s55
	s_mov_b32 exec_lo, s55
	s_cbranch_execz .LBB152_526
; %bb.525:                              ;   in Loop: Header=BB152_3 Depth=1
	ds_load_b64 v[46:47], v45 offset:13056
	ds_load_b64 v[48:49], v44 offset:200
	s_wait_dscnt 0x0
	v_pk_mul_f32 v[100:101], v[48:49], v[46:47] op_sel:[1,1] op_sel_hi:[0,1]
	s_delay_alu instid0(VALU_DEP_1) | instskip(SKIP_1) | instid1(VALU_DEP_2)
	v_pk_fma_f32 v[102:103], v[48:49], v[46:47], v[100:101] op_sel_hi:[1,0,1]
	v_pk_fma_f32 v[46:47], v[48:49], v[46:47], v[100:101] neg_lo:[0,0,1] neg_hi:[0,0,1]
	v_mov_b32_e32 v47, v103
	s_delay_alu instid0(VALU_DEP_1)
	v_pk_add_f32 v[42:43], v[42:43], v[46:47]
.LBB152_526:                            ;   in Loop: Header=BB152_3 Depth=1
	s_or_b32 exec_lo, exec_lo, s13
	s_delay_alu instid0(SALU_CYCLE_1) | instskip(SKIP_2) | instid1(SALU_CYCLE_1)
	s_mov_b32 s13, exec_lo
	v_readlane_b32 s55, v108, 28
	s_and_b32 s55, s13, s55
	s_mov_b32 exec_lo, s55
	;; [unrolled: 19-line block ×5, first 2 shown]
	s_cbranch_execnz .LBB152_1086
; %bb.533:                              ;   in Loop: Header=BB152_3 Depth=1
	s_or_b32 exec_lo, exec_lo, s13
	s_and_saveexec_b32 s13, s4
	s_cbranch_execnz .LBB152_1087
.LBB152_534:                            ;   in Loop: Header=BB152_3 Depth=1
	s_or_b32 exec_lo, exec_lo, s13
	s_and_saveexec_b32 s13, s21
	s_cbranch_execz .LBB152_536
.LBB152_535:                            ;   in Loop: Header=BB152_3 Depth=1
	ds_load_b64 v[46:47], v87 offset:16128
	ds_load_b64 v[44:45], v44 offset:248
	s_wait_dscnt 0x0
	v_pk_mul_f32 v[48:49], v[44:45], v[46:47] op_sel:[1,1] op_sel_hi:[0,1]
	s_delay_alu instid0(VALU_DEP_1) | instskip(SKIP_1) | instid1(VALU_DEP_2)
	v_pk_fma_f32 v[100:101], v[44:45], v[46:47], v[48:49] op_sel_hi:[1,0,1]
	v_pk_fma_f32 v[44:45], v[44:45], v[46:47], v[48:49] neg_lo:[0,0,1] neg_hi:[0,0,1]
	v_mov_b32_e32 v45, v101
	s_delay_alu instid0(VALU_DEP_1)
	v_pk_add_f32 v[42:43], v[42:43], v[44:45]
.LBB152_536:                            ;   in Loop: Header=BB152_3 Depth=1
	s_or_b32 exec_lo, exec_lo, s13
	s_delay_alu instid0(VALU_DEP_1)
	v_pk_add_f32 v[42:43], v[42:43], 0 neg_lo:[1,1] neg_hi:[1,1]
.LBB152_537:                            ;   in Loop: Header=BB152_3 Depth=1
	s_or_b32 exec_lo, exec_lo, s62
	v_dual_mov_b32 v44, v77 :: v_dual_mov_b32 v45, v97
	s_mov_b32 s13, 0
	s_branch .LBB152_539
.LBB152_538:                            ;   in Loop: Header=BB152_539 Depth=2
	s_or_b32 exec_lo, exec_lo, s55
	v_add_nc_u32_e32 v45, 0x800, v45
	v_add_nc_u32_e32 v44, -4, v44
	s_add_co_i32 s13, s13, 4
	s_delay_alu instid0(SALU_CYCLE_1)
	s_cmp_eq_u32 s13, 32
	s_barrier_signal -1
	s_barrier_wait -1
	s_cbranch_scc1 .LBB152_555
.LBB152_539:                            ;   Parent Loop BB152_3 Depth=1
                                        ; =>  This Inner Loop Header: Depth=2
	s_delay_alu instid0(VALU_DEP_1) | instskip(SKIP_1) | instid1(SALU_CYCLE_1)
	v_cmp_eq_u32_e32 vcc_lo, 0, v44
	s_and_b32 s56, s14, vcc_lo
	s_and_saveexec_b32 s55, s56
; %bb.540:                              ;   in Loop: Header=BB152_539 Depth=2
	ds_store_b64 v88, v[42:43]
; %bb.541:                              ;   in Loop: Header=BB152_539 Depth=2
	s_or_b32 exec_lo, exec_lo, s55
	v_cmp_lt_u32_e32 vcc_lo, s13, v77
	s_wait_dscnt 0x0
	s_barrier_signal -1
	s_barrier_wait -1
	s_and_b32 s56, s14, vcc_lo
	s_delay_alu instid0(SALU_CYCLE_1)
	s_and_saveexec_b32 s55, s56
	s_cbranch_execz .LBB152_543
; %bb.542:                              ;   in Loop: Header=BB152_539 Depth=2
	ds_load_b64 v[46:47], v45
	ds_load_b64 v[48:49], v88
	s_wait_dscnt 0x0
	v_pk_mul_f32 v[100:101], v[48:49], v[46:47] op_sel:[1,1] op_sel_hi:[0,1]
	s_delay_alu instid0(VALU_DEP_1) | instskip(SKIP_1) | instid1(VALU_DEP_2)
	v_pk_fma_f32 v[102:103], v[48:49], v[46:47], v[100:101] op_sel_hi:[1,0,1]
	v_pk_fma_f32 v[46:47], v[48:49], v[46:47], v[100:101] neg_lo:[0,0,1] neg_hi:[0,0,1]
	v_mov_b32_e32 v47, v103
	s_delay_alu instid0(VALU_DEP_1)
	v_pk_add_f32 v[42:43], v[42:43], v[46:47]
.LBB152_543:                            ;   in Loop: Header=BB152_539 Depth=2
	s_or_b32 exec_lo, exec_lo, s55
	s_or_b32 s55, s13, 1
	s_delay_alu instid0(SALU_CYCLE_1) | instskip(SKIP_3) | instid1(SALU_CYCLE_1)
	v_cmp_eq_u32_e32 vcc_lo, s55, v77
	s_barrier_signal -1
	s_barrier_wait -1
	s_and_b32 s62, s14, vcc_lo
	s_and_saveexec_b32 s56, s62
; %bb.544:                              ;   in Loop: Header=BB152_539 Depth=2
	ds_store_b64 v88, v[42:43]
; %bb.545:                              ;   in Loop: Header=BB152_539 Depth=2
	s_or_b32 exec_lo, exec_lo, s56
	v_cmp_lt_u32_e32 vcc_lo, s55, v77
	s_wait_dscnt 0x0
	s_barrier_signal -1
	s_barrier_wait -1
	s_and_b32 s56, s14, vcc_lo
	s_delay_alu instid0(SALU_CYCLE_1)
	s_and_saveexec_b32 s55, s56
	s_cbranch_execz .LBB152_547
; %bb.546:                              ;   in Loop: Header=BB152_539 Depth=2
	ds_load_b64 v[46:47], v45 offset:512
	ds_load_b64 v[48:49], v88
	s_wait_dscnt 0x0
	v_pk_mul_f32 v[100:101], v[48:49], v[46:47] op_sel:[1,1] op_sel_hi:[0,1]
	s_delay_alu instid0(VALU_DEP_1) | instskip(SKIP_1) | instid1(VALU_DEP_2)
	v_pk_fma_f32 v[102:103], v[48:49], v[46:47], v[100:101] op_sel_hi:[1,0,1]
	v_pk_fma_f32 v[46:47], v[48:49], v[46:47], v[100:101] neg_lo:[0,0,1] neg_hi:[0,0,1]
	v_mov_b32_e32 v47, v103
	s_delay_alu instid0(VALU_DEP_1)
	v_pk_add_f32 v[42:43], v[42:43], v[46:47]
.LBB152_547:                            ;   in Loop: Header=BB152_539 Depth=2
	s_or_b32 exec_lo, exec_lo, s55
	s_or_b32 s55, s13, 2
	s_delay_alu instid0(SALU_CYCLE_1) | instskip(SKIP_3) | instid1(SALU_CYCLE_1)
	v_cmp_eq_u32_e32 vcc_lo, s55, v77
	s_barrier_signal -1
	s_barrier_wait -1
	s_and_b32 s62, s14, vcc_lo
	s_and_saveexec_b32 s56, s62
; %bb.548:                              ;   in Loop: Header=BB152_539 Depth=2
	ds_store_b64 v88, v[42:43]
; %bb.549:                              ;   in Loop: Header=BB152_539 Depth=2
	s_or_b32 exec_lo, exec_lo, s56
	v_cmp_lt_u32_e32 vcc_lo, s55, v77
	s_wait_dscnt 0x0
	s_barrier_signal -1
	s_barrier_wait -1
	s_and_b32 s56, s14, vcc_lo
	s_delay_alu instid0(SALU_CYCLE_1)
	s_and_saveexec_b32 s55, s56
	s_cbranch_execz .LBB152_551
; %bb.550:                              ;   in Loop: Header=BB152_539 Depth=2
	ds_load_b64 v[46:47], v45 offset:1024
	ds_load_b64 v[48:49], v88
	s_wait_dscnt 0x0
	v_pk_mul_f32 v[100:101], v[48:49], v[46:47] op_sel:[1,1] op_sel_hi:[0,1]
	s_delay_alu instid0(VALU_DEP_1) | instskip(SKIP_1) | instid1(VALU_DEP_2)
	v_pk_fma_f32 v[102:103], v[48:49], v[46:47], v[100:101] op_sel_hi:[1,0,1]
	v_pk_fma_f32 v[46:47], v[48:49], v[46:47], v[100:101] neg_lo:[0,0,1] neg_hi:[0,0,1]
	v_mov_b32_e32 v47, v103
	s_delay_alu instid0(VALU_DEP_1)
	v_pk_add_f32 v[42:43], v[42:43], v[46:47]
.LBB152_551:                            ;   in Loop: Header=BB152_539 Depth=2
	s_or_b32 exec_lo, exec_lo, s55
	s_or_b32 s55, s13, 3
	s_delay_alu instid0(SALU_CYCLE_1) | instskip(SKIP_3) | instid1(SALU_CYCLE_1)
	v_cmp_eq_u32_e32 vcc_lo, s55, v77
	s_barrier_signal -1
	s_barrier_wait -1
	s_and_b32 s62, s14, vcc_lo
	s_and_saveexec_b32 s56, s62
; %bb.552:                              ;   in Loop: Header=BB152_539 Depth=2
	ds_store_b64 v88, v[42:43]
; %bb.553:                              ;   in Loop: Header=BB152_539 Depth=2
	s_or_b32 exec_lo, exec_lo, s56
	v_cmp_lt_u32_e32 vcc_lo, s55, v77
	s_wait_dscnt 0x0
	s_barrier_signal -1
	s_barrier_wait -1
	s_and_b32 s56, s14, vcc_lo
	s_delay_alu instid0(SALU_CYCLE_1)
	s_and_saveexec_b32 s55, s56
	s_cbranch_execz .LBB152_538
; %bb.554:                              ;   in Loop: Header=BB152_539 Depth=2
	ds_load_b64 v[46:47], v45 offset:1536
	ds_load_b64 v[48:49], v88
	s_wait_dscnt 0x0
	v_pk_mul_f32 v[100:101], v[48:49], v[46:47] op_sel:[1,1] op_sel_hi:[0,1]
	s_delay_alu instid0(VALU_DEP_1) | instskip(SKIP_1) | instid1(VALU_DEP_2)
	v_pk_fma_f32 v[102:103], v[48:49], v[46:47], v[100:101] op_sel_hi:[1,0,1]
	v_pk_fma_f32 v[46:47], v[48:49], v[46:47], v[100:101] neg_lo:[0,0,1] neg_hi:[0,0,1]
	v_mov_b32_e32 v47, v103
	s_delay_alu instid0(VALU_DEP_1)
	v_pk_add_f32 v[42:43], v[42:43], v[46:47]
	s_branch .LBB152_538
.LBB152_555:                            ;   in Loop: Header=BB152_3 Depth=1
	s_and_saveexec_b32 s13, s35
; %bb.556:                              ;   in Loop: Header=BB152_3 Depth=1
	v_pk_add_f32 v[42:43], v[42:43], 0 neg_lo:[1,1] neg_hi:[1,1]
	ds_store_b64 v89, v[42:43] offset:256
; %bb.557:                              ;   in Loop: Header=BB152_3 Depth=1
	s_or_b32 exec_lo, exec_lo, s13
	s_wait_dscnt 0x0
	s_barrier_signal -1
	s_barrier_wait -1
	s_barrier_signal -1
	s_barrier_wait -1
	s_mov_b32 s13, exec_lo
	v_readlane_b32 s55, v108, 12
	s_and_b32 s55, s13, s55
	s_delay_alu instid0(SALU_CYCLE_1)
	s_mov_b32 exec_lo, s55
	s_cbranch_execz .LBB152_559
; %bb.558:                              ;   in Loop: Header=BB152_3 Depth=1
	ds_load_b64 v[42:43], v69 offset:256
	s_wait_dscnt 0x0
	ds_store_b64 v70, v[42:43] offset:16384
	ds_load_b64 v[42:43], v69 offset:264
	s_wait_dscnt 0x0
	ds_store_b64 v70, v[42:43] offset:16896
	;; [unrolled: 3-line block ×32, first 2 shown]
.LBB152_559:                            ;   in Loop: Header=BB152_3 Depth=1
	s_or_b32 exec_lo, exec_lo, s13
	s_wait_dscnt 0x0
	s_barrier_signal -1
	s_barrier_wait -1
	s_and_saveexec_b32 s13, s11
	s_cbranch_execz .LBB152_561
; %bb.560:                              ;   in Loop: Header=BB152_3 Depth=1
	ds_load_b64 v[42:43], v3 offset:16648
	v_add_nc_u32_e64 v44, 0x100, 0
	ds_store_b64 v3, v[34:35] offset:17160
	s_wait_dscnt 0x1
	ds_store_2addr_stride64_b64 v44, v[34:35], v[42:43] offset0:32 offset1:33
.LBB152_561:                            ;   in Loop: Header=BB152_3 Depth=1
	s_or_b32 exec_lo, exec_lo, s13
	v_mov_b64_e32 v[42:43], 0
	s_wait_dscnt 0x0
	s_barrier_signal -1
	s_barrier_wait -1
	s_and_saveexec_b32 s13, s1
	s_cbranch_execz .LBB152_565
; %bb.562:                              ;   in Loop: Header=BB152_3 Depth=1
	ds_load_b64 v[42:43], v50 offset:16656
	ds_load_b64 v[44:45], v51 offset:16640
	s_wait_dscnt 0x0
	v_pk_mul_f32 v[46:47], v[44:45], v[42:43] op_sel:[1,1] op_sel_hi:[0,1]
	s_delay_alu instid0(VALU_DEP_1) | instskip(SKIP_1) | instid1(VALU_DEP_2)
	v_pk_fma_f32 v[48:49], v[44:45], v[42:43], v[46:47] op_sel_hi:[1,0,1]
	v_pk_fma_f32 v[42:43], v[44:45], v[42:43], v[46:47] neg_lo:[0,0,1] neg_hi:[0,0,1]
	v_mov_b32_e32 v43, v49
	s_delay_alu instid0(VALU_DEP_1)
	v_pk_add_f32 v[42:43], v[42:43], 0 op_sel_hi:[1,0]
	s_and_saveexec_b32 s55, s15
	s_cbranch_execz .LBB152_564
; %bb.563:                              ;   in Loop: Header=BB152_3 Depth=1
	ds_load_b64 v[44:45], v52 offset:17168
	ds_load_b64 v[46:47], v3 offset:16648
	s_wait_dscnt 0x0
	v_pk_mul_f32 v[48:49], v[46:47], v[44:45] op_sel:[1,1] op_sel_hi:[0,1]
	s_delay_alu instid0(VALU_DEP_1) | instskip(SKIP_1) | instid1(VALU_DEP_2)
	v_pk_fma_f32 v[100:101], v[46:47], v[44:45], v[48:49] op_sel_hi:[1,0,1]
	v_pk_fma_f32 v[44:45], v[46:47], v[44:45], v[48:49] neg_lo:[0,0,1] neg_hi:[0,0,1]
	v_mov_b32_e32 v45, v101
	s_delay_alu instid0(VALU_DEP_1)
	v_pk_add_f32 v[42:43], v[42:43], v[44:45]
.LBB152_564:                            ;   in Loop: Header=BB152_3 Depth=1
	s_or_b32 exec_lo, exec_lo, s55
	s_delay_alu instid0(VALU_DEP_1)
	v_pk_add_f32 v[42:43], v[42:43], 0 neg_lo:[1,1] neg_hi:[1,1]
.LBB152_565:                            ;   in Loop: Header=BB152_3 Depth=1
	s_or_b32 exec_lo, exec_lo, s13
	s_and_saveexec_b32 s13, s91
; %bb.566:                              ;   in Loop: Header=BB152_3 Depth=1
	ds_store_b64 v5, v[42:43]
; %bb.567:                              ;   in Loop: Header=BB152_3 Depth=1
	s_or_b32 exec_lo, exec_lo, s13
	s_wait_dscnt 0x0
	s_barrier_signal -1
	s_barrier_wait -1
	s_and_saveexec_b32 s13, s92
	s_cbranch_execz .LBB152_569
; %bb.568:                              ;   in Loop: Header=BB152_3 Depth=1
	ds_load_b64 v[44:45], v3 offset:17688
	ds_load_b64 v[46:47], v5
	s_wait_dscnt 0x0
	v_pk_mul_f32 v[48:49], v[46:47], v[44:45] op_sel:[1,1] op_sel_hi:[0,1]
	s_delay_alu instid0(VALU_DEP_1) | instskip(SKIP_1) | instid1(VALU_DEP_2)
	v_pk_fma_f32 v[100:101], v[46:47], v[44:45], v[48:49] op_sel_hi:[1,0,1]
	v_pk_fma_f32 v[44:45], v[46:47], v[44:45], v[48:49] neg_lo:[0,0,1] neg_hi:[0,0,1]
	v_mov_b32_e32 v45, v101
	s_delay_alu instid0(VALU_DEP_1)
	v_pk_add_f32 v[42:43], v[42:43], v[44:45]
.LBB152_569:                            ;   in Loop: Header=BB152_3 Depth=1
	s_or_b32 exec_lo, exec_lo, s13
	s_barrier_signal -1
	s_barrier_wait -1
	s_and_saveexec_b32 s13, s92
; %bb.570:                              ;   in Loop: Header=BB152_3 Depth=1
	ds_store_b64 v5, v[42:43]
; %bb.571:                              ;   in Loop: Header=BB152_3 Depth=1
	s_or_b32 exec_lo, exec_lo, s13
	s_wait_dscnt 0x0
	s_barrier_signal -1
	s_barrier_wait -1
	s_barrier_signal -1
	s_barrier_wait -1
	s_and_saveexec_b32 s13, s1
; %bb.572:                              ;   in Loop: Header=BB152_3 Depth=1
	v_pk_add_f32 v[42:43], v[42:43], 0 neg_lo:[1,1] neg_hi:[1,1]
	ds_store_b64 v50, v[42:43] offset:16656
; %bb.573:                              ;   in Loop: Header=BB152_3 Depth=1
	s_or_b32 exec_lo, exec_lo, s13
	s_wait_dscnt 0x0
	s_barrier_signal -1
	s_barrier_wait -1
	s_barrier_signal -1
	s_barrier_wait -1
	s_and_saveexec_b32 s13, s93
	s_cbranch_execz .LBB152_575
; %bb.574:                              ;   in Loop: Header=BB152_3 Depth=1
	ds_load_b64 v[42:43], v55 offset:16656
	s_wait_dscnt 0x0
	ds_store_b64 v52, v[42:43] offset:17664
	ds_load_b64 v[42:43], v55 offset:16664
	s_wait_dscnt 0x0
	ds_store_b64 v52, v[42:43] offset:18176
.LBB152_575:                            ;   in Loop: Header=BB152_3 Depth=1
	s_or_b32 exec_lo, exec_lo, s13
	s_wait_dscnt 0x0
	s_barrier_signal -1
	s_barrier_wait -1
	s_and_saveexec_b32 s13, s11
	s_cbranch_execz .LBB152_577
; %bb.576:                              ;   in Loop: Header=BB152_3 Depth=1
	ds_load_b64 v[42:43], v3 offset:17688
	v_add_nc_u32_e64 v44, 0x110, 0
	ds_store_b64 v3, v[34:35] offset:18200
	s_wait_dscnt 0x1
	ds_store_2addr_stride64_b64 v44, v[34:35], v[42:43] offset0:34 offset1:35
.LBB152_577:                            ;   in Loop: Header=BB152_3 Depth=1
	s_or_b32 exec_lo, exec_lo, s13
	v_mov_b64_e32 v[42:43], 0
	s_wait_dscnt 0x0
	s_barrier_signal -1
	s_barrier_wait -1
	s_and_saveexec_b32 s13, s3
	s_cbranch_execz .LBB152_583
; %bb.578:                              ;   in Loop: Header=BB152_3 Depth=1
	ds_load_b64 v[42:43], v57 offset:16672
	ds_load_b64 v[44:45], v53 offset:16640
	s_wait_dscnt 0x0
	v_dual_mul_f32 v46, v45, v43 :: v_dual_mul_f32 v43, v44, v43
	s_delay_alu instid0(VALU_DEP_1) | instskip(NEXT) | instid1(VALU_DEP_1)
	v_dual_fma_f32 v44, v44, v42, -v46 :: v_dual_fmac_f32 v43, v45, v42
	v_dual_add_f32 v42, 0, v44 :: v_dual_add_f32 v43, 0, v43
	s_and_saveexec_b32 s55, s16
	s_cbranch_execnz .LBB152_1088
; %bb.579:                              ;   in Loop: Header=BB152_3 Depth=1
	s_or_b32 exec_lo, exec_lo, s55
	s_and_saveexec_b32 s55, s17
	s_cbranch_execnz .LBB152_1089
.LBB152_580:                            ;   in Loop: Header=BB152_3 Depth=1
	s_or_b32 exec_lo, exec_lo, s55
	s_and_saveexec_b32 s55, s1
	s_cbranch_execz .LBB152_582
.LBB152_581:                            ;   in Loop: Header=BB152_3 Depth=1
	ds_load_b64 v[44:45], v59 offset:18208
	ds_load_b64 v[46:47], v3 offset:16664
	s_wait_dscnt 0x0
	v_dual_mul_f32 v48, v47, v45 :: v_dual_mul_f32 v49, v46, v45
	s_delay_alu instid0(VALU_DEP_1) | instskip(NEXT) | instid1(VALU_DEP_1)
	v_dual_fma_f32 v48, v46, v44, -v48 :: v_dual_fmac_f32 v49, v47, v44
	v_pk_add_f32 v[42:43], v[42:43], v[48:49]
.LBB152_582:                            ;   in Loop: Header=BB152_3 Depth=1
	s_or_b32 exec_lo, exec_lo, s55
	s_delay_alu instid0(VALU_DEP_1)
	v_pk_add_f32 v[42:43], v[42:43], 0 neg_lo:[1,1] neg_hi:[1,1]
.LBB152_583:                            ;   in Loop: Header=BB152_3 Depth=1
	s_or_b32 exec_lo, exec_lo, s13
	s_and_saveexec_b32 s13, s94
; %bb.584:                              ;   in Loop: Header=BB152_3 Depth=1
	ds_store_b64 v56, v[42:43]
; %bb.585:                              ;   in Loop: Header=BB152_3 Depth=1
	s_or_b32 exec_lo, exec_lo, s13
	s_wait_dscnt 0x0
	s_barrier_signal -1
	s_barrier_wait -1
	s_and_saveexec_b32 s13, s95
	s_cbranch_execz .LBB152_587
; %bb.586:                              ;   in Loop: Header=BB152_3 Depth=1
	ds_load_b64 v[44:45], v54 offset:18720
	ds_load_b64 v[46:47], v56
	s_wait_dscnt 0x0
	v_pk_mul_f32 v[48:49], v[46:47], v[44:45] op_sel:[1,1] op_sel_hi:[0,1]
	s_delay_alu instid0(VALU_DEP_1) | instskip(SKIP_1) | instid1(VALU_DEP_2)
	v_pk_fma_f32 v[100:101], v[46:47], v[44:45], v[48:49] op_sel_hi:[1,0,1]
	v_pk_fma_f32 v[44:45], v[46:47], v[44:45], v[48:49] neg_lo:[0,0,1] neg_hi:[0,0,1]
	v_mov_b32_e32 v45, v101
	s_delay_alu instid0(VALU_DEP_1)
	v_pk_add_f32 v[42:43], v[42:43], v[44:45]
.LBB152_587:                            ;   in Loop: Header=BB152_3 Depth=1
	s_or_b32 exec_lo, exec_lo, s13
	s_barrier_signal -1
	s_barrier_wait -1
	s_and_saveexec_b32 s13, s96
; %bb.588:                              ;   in Loop: Header=BB152_3 Depth=1
	ds_store_b64 v56, v[42:43]
; %bb.589:                              ;   in Loop: Header=BB152_3 Depth=1
	s_or_b32 exec_lo, exec_lo, s13
	s_wait_dscnt 0x0
	s_barrier_signal -1
	s_barrier_wait -1
	s_and_saveexec_b32 s13, s97
	s_cbranch_execz .LBB152_591
; %bb.590:                              ;   in Loop: Header=BB152_3 Depth=1
	ds_load_b64 v[44:45], v54 offset:19232
	ds_load_b64 v[46:47], v56
	s_wait_dscnt 0x0
	v_pk_mul_f32 v[48:49], v[46:47], v[44:45] op_sel:[1,1] op_sel_hi:[0,1]
	s_delay_alu instid0(VALU_DEP_1) | instskip(SKIP_1) | instid1(VALU_DEP_2)
	v_pk_fma_f32 v[100:101], v[46:47], v[44:45], v[48:49] op_sel_hi:[1,0,1]
	v_pk_fma_f32 v[44:45], v[46:47], v[44:45], v[48:49] neg_lo:[0,0,1] neg_hi:[0,0,1]
	v_mov_b32_e32 v45, v101
	s_delay_alu instid0(VALU_DEP_1)
	v_pk_add_f32 v[42:43], v[42:43], v[44:45]
.LBB152_591:                            ;   in Loop: Header=BB152_3 Depth=1
	s_or_b32 exec_lo, exec_lo, s13
	s_barrier_signal -1
	s_barrier_wait -1
	;; [unrolled: 25-line block ×3, first 2 shown]
	s_and_saveexec_b32 s13, s99
; %bb.596:                              ;   in Loop: Header=BB152_3 Depth=1
	ds_store_b64 v56, v[42:43]
; %bb.597:                              ;   in Loop: Header=BB152_3 Depth=1
	s_or_b32 exec_lo, exec_lo, s13
	s_wait_dscnt 0x0
	s_barrier_signal -1
	s_barrier_wait -1
	s_barrier_signal -1
	s_barrier_wait -1
	s_and_saveexec_b32 s13, s3
; %bb.598:                              ;   in Loop: Header=BB152_3 Depth=1
	v_pk_add_f32 v[42:43], v[42:43], 0 neg_lo:[1,1] neg_hi:[1,1]
	ds_store_b64 v57, v[42:43] offset:16672
; %bb.599:                              ;   in Loop: Header=BB152_3 Depth=1
	s_or_b32 exec_lo, exec_lo, s13
	s_wait_dscnt 0x0
	s_barrier_signal -1
	s_barrier_wait -1
	s_barrier_signal -1
	s_barrier_wait -1
	s_and_saveexec_b32 s13, s100
	s_cbranch_execz .LBB152_601
; %bb.600:                              ;   in Loop: Header=BB152_3 Depth=1
	ds_load_b64 v[42:43], v60 offset:16672
	s_wait_dscnt 0x0
	ds_store_b64 v61, v[42:43] offset:18688
	ds_load_b64 v[42:43], v60 offset:16680
	s_wait_dscnt 0x0
	ds_store_b64 v61, v[42:43] offset:19200
	ds_load_b64 v[42:43], v60 offset:16688
	s_wait_dscnt 0x0
	ds_store_b64 v61, v[42:43] offset:19712
	ds_load_b64 v[42:43], v60 offset:16696
	s_wait_dscnt 0x0
	ds_store_b64 v61, v[42:43] offset:20224
.LBB152_601:                            ;   in Loop: Header=BB152_3 Depth=1
	s_or_b32 exec_lo, exec_lo, s13
	s_wait_dscnt 0x0
	s_barrier_signal -1
	s_barrier_wait -1
	s_and_saveexec_b32 s13, s11
	s_cbranch_execz .LBB152_603
; %bb.602:                              ;   in Loop: Header=BB152_3 Depth=1
	ds_load_b64 v[42:43], v3 offset:18728
	v_add_nc_u32_e64 v44, 0x120, 0
	ds_store_b64 v3, v[34:35] offset:19240
	s_wait_dscnt 0x1
	ds_store_2addr_stride64_b64 v44, v[34:35], v[42:43] offset0:36 offset1:37
.LBB152_603:                            ;   in Loop: Header=BB152_3 Depth=1
	s_or_b32 exec_lo, exec_lo, s13
	v_mov_b64_e32 v[42:43], 0
	s_wait_dscnt 0x0
	s_barrier_signal -1
	s_barrier_wait -1
	s_and_saveexec_b32 s13, s1
	s_cbranch_execz .LBB152_607
; %bb.604:                              ;   in Loop: Header=BB152_3 Depth=1
	ds_load_b64 v[42:43], v50 offset:18736
	ds_load_b64 v[44:45], v51 offset:18720
	s_wait_dscnt 0x0
	v_pk_mul_f32 v[46:47], v[44:45], v[42:43] op_sel:[1,1] op_sel_hi:[0,1]
	s_delay_alu instid0(VALU_DEP_1) | instskip(SKIP_1) | instid1(VALU_DEP_2)
	v_pk_fma_f32 v[48:49], v[44:45], v[42:43], v[46:47] op_sel_hi:[1,0,1]
	v_pk_fma_f32 v[42:43], v[44:45], v[42:43], v[46:47] neg_lo:[0,0,1] neg_hi:[0,0,1]
	v_mov_b32_e32 v43, v49
	s_delay_alu instid0(VALU_DEP_1)
	v_pk_add_f32 v[42:43], v[42:43], 0 op_sel_hi:[1,0]
	s_and_saveexec_b32 s55, s15
	s_cbranch_execz .LBB152_606
; %bb.605:                              ;   in Loop: Header=BB152_3 Depth=1
	ds_load_b64 v[44:45], v61 offset:19248
	ds_load_b64 v[46:47], v3 offset:18728
	s_wait_dscnt 0x0
	v_pk_mul_f32 v[48:49], v[46:47], v[44:45] op_sel:[1,1] op_sel_hi:[0,1]
	s_delay_alu instid0(VALU_DEP_1) | instskip(SKIP_1) | instid1(VALU_DEP_2)
	v_pk_fma_f32 v[100:101], v[46:47], v[44:45], v[48:49] op_sel_hi:[1,0,1]
	v_pk_fma_f32 v[44:45], v[46:47], v[44:45], v[48:49] neg_lo:[0,0,1] neg_hi:[0,0,1]
	v_mov_b32_e32 v45, v101
	s_delay_alu instid0(VALU_DEP_1)
	v_pk_add_f32 v[42:43], v[42:43], v[44:45]
.LBB152_606:                            ;   in Loop: Header=BB152_3 Depth=1
	s_or_b32 exec_lo, exec_lo, s55
	s_delay_alu instid0(VALU_DEP_1)
	v_pk_add_f32 v[42:43], v[42:43], 0 neg_lo:[1,1] neg_hi:[1,1]
.LBB152_607:                            ;   in Loop: Header=BB152_3 Depth=1
	s_or_b32 exec_lo, exec_lo, s13
	s_and_saveexec_b32 s13, s91
; %bb.608:                              ;   in Loop: Header=BB152_3 Depth=1
	ds_store_b64 v5, v[42:43]
; %bb.609:                              ;   in Loop: Header=BB152_3 Depth=1
	s_or_b32 exec_lo, exec_lo, s13
	s_wait_dscnt 0x0
	s_barrier_signal -1
	s_barrier_wait -1
	s_and_saveexec_b32 s13, s92
	s_cbranch_execz .LBB152_611
; %bb.610:                              ;   in Loop: Header=BB152_3 Depth=1
	ds_load_b64 v[44:45], v3 offset:19768
	ds_load_b64 v[46:47], v5
	s_wait_dscnt 0x0
	v_pk_mul_f32 v[48:49], v[46:47], v[44:45] op_sel:[1,1] op_sel_hi:[0,1]
	s_delay_alu instid0(VALU_DEP_1) | instskip(SKIP_1) | instid1(VALU_DEP_2)
	v_pk_fma_f32 v[100:101], v[46:47], v[44:45], v[48:49] op_sel_hi:[1,0,1]
	v_pk_fma_f32 v[44:45], v[46:47], v[44:45], v[48:49] neg_lo:[0,0,1] neg_hi:[0,0,1]
	v_mov_b32_e32 v45, v101
	s_delay_alu instid0(VALU_DEP_1)
	v_pk_add_f32 v[42:43], v[42:43], v[44:45]
.LBB152_611:                            ;   in Loop: Header=BB152_3 Depth=1
	s_or_b32 exec_lo, exec_lo, s13
	s_barrier_signal -1
	s_barrier_wait -1
	s_and_saveexec_b32 s13, s92
; %bb.612:                              ;   in Loop: Header=BB152_3 Depth=1
	ds_store_b64 v5, v[42:43]
; %bb.613:                              ;   in Loop: Header=BB152_3 Depth=1
	s_or_b32 exec_lo, exec_lo, s13
	s_wait_dscnt 0x0
	s_barrier_signal -1
	s_barrier_wait -1
	s_barrier_signal -1
	s_barrier_wait -1
	s_and_saveexec_b32 s13, s1
; %bb.614:                              ;   in Loop: Header=BB152_3 Depth=1
	v_pk_add_f32 v[42:43], v[42:43], 0 neg_lo:[1,1] neg_hi:[1,1]
	ds_store_b64 v50, v[42:43] offset:18736
; %bb.615:                              ;   in Loop: Header=BB152_3 Depth=1
	s_or_b32 exec_lo, exec_lo, s13
	s_wait_dscnt 0x0
	s_barrier_signal -1
	s_barrier_wait -1
	s_barrier_signal -1
	s_barrier_wait -1
	s_and_saveexec_b32 s13, s93
	s_cbranch_execz .LBB152_617
; %bb.616:                              ;   in Loop: Header=BB152_3 Depth=1
	ds_load_b64 v[42:43], v64 offset:18736
	s_wait_dscnt 0x0
	ds_store_b64 v61, v[42:43] offset:19744
	ds_load_b64 v[42:43], v64 offset:18744
	s_wait_dscnt 0x0
	ds_store_b64 v61, v[42:43] offset:20256
.LBB152_617:                            ;   in Loop: Header=BB152_3 Depth=1
	s_or_b32 exec_lo, exec_lo, s13
	s_wait_dscnt 0x0
	s_barrier_signal -1
	s_barrier_wait -1
	s_and_saveexec_b32 s13, s11
	s_cbranch_execz .LBB152_619
; %bb.618:                              ;   in Loop: Header=BB152_3 Depth=1
	ds_load_b64 v[42:43], v3 offset:19768
	v_add_nc_u32_e64 v44, 0x130, 0
	ds_store_b64 v3, v[34:35] offset:20280
	s_wait_dscnt 0x1
	ds_store_2addr_stride64_b64 v44, v[34:35], v[42:43] offset0:38 offset1:39
.LBB152_619:                            ;   in Loop: Header=BB152_3 Depth=1
	s_or_b32 exec_lo, exec_lo, s13
	v_mov_b64_e32 v[42:43], 0
	s_wait_dscnt 0x0
	s_barrier_signal -1
	s_barrier_wait -1
	s_and_saveexec_b32 s13, s4
	s_cbranch_execz .LBB152_629
; %bb.620:                              ;   in Loop: Header=BB152_3 Depth=1
	ds_load_b64 v[42:43], v66 offset:16704
	ds_load_b64 v[44:45], v62 offset:16640
	s_wait_dscnt 0x0
	v_dual_mul_f32 v46, v45, v43 :: v_dual_mul_f32 v43, v44, v43
	s_delay_alu instid0(VALU_DEP_1) | instskip(NEXT) | instid1(VALU_DEP_1)
	v_dual_fma_f32 v44, v44, v42, -v46 :: v_dual_fmac_f32 v43, v45, v42
	v_dual_add_f32 v42, 0, v44 :: v_dual_add_f32 v43, 0, v43
	s_and_saveexec_b32 s55, s18
	s_cbranch_execnz .LBB152_1090
; %bb.621:                              ;   in Loop: Header=BB152_3 Depth=1
	s_or_b32 exec_lo, exec_lo, s55
	s_and_saveexec_b32 s55, s19
	s_cbranch_execnz .LBB152_1091
.LBB152_622:                            ;   in Loop: Header=BB152_3 Depth=1
	s_or_b32 exec_lo, exec_lo, s55
	s_and_saveexec_b32 s55, s20
	s_cbranch_execnz .LBB152_1092
.LBB152_623:                            ;   in Loop: Header=BB152_3 Depth=1
	s_or_b32 exec_lo, exec_lo, s55
	s_and_saveexec_b32 s55, s21
	s_cbranch_execnz .LBB152_1093
.LBB152_624:                            ;   in Loop: Header=BB152_3 Depth=1
	s_or_b32 exec_lo, exec_lo, s55
	s_and_saveexec_b32 s55, s22
	s_cbranch_execnz .LBB152_1094
.LBB152_625:                            ;   in Loop: Header=BB152_3 Depth=1
	s_or_b32 exec_lo, exec_lo, s55
	s_and_saveexec_b32 s55, s3
	s_cbranch_execnz .LBB152_1095
.LBB152_626:                            ;   in Loop: Header=BB152_3 Depth=1
	s_or_b32 exec_lo, exec_lo, s55
	s_and_saveexec_b32 s55, s17
	s_cbranch_execz .LBB152_628
.LBB152_627:                            ;   in Loop: Header=BB152_3 Depth=1
	ds_load_b64 v[44:45], v52 offset:20288
	ds_load_b64 v[46:47], v3 offset:16696
	s_wait_dscnt 0x0
	v_pk_mul_f32 v[48:49], v[46:47], v[44:45] op_sel:[1,1] op_sel_hi:[0,1]
	s_delay_alu instid0(VALU_DEP_1) | instskip(SKIP_1) | instid1(VALU_DEP_2)
	v_pk_fma_f32 v[100:101], v[46:47], v[44:45], v[48:49] op_sel_hi:[1,0,1]
	v_pk_fma_f32 v[44:45], v[46:47], v[44:45], v[48:49] neg_lo:[0,0,1] neg_hi:[0,0,1]
	v_mov_b32_e32 v45, v101
	s_delay_alu instid0(VALU_DEP_1)
	v_pk_add_f32 v[42:43], v[42:43], v[44:45]
.LBB152_628:                            ;   in Loop: Header=BB152_3 Depth=1
	s_or_b32 exec_lo, exec_lo, s55
	s_delay_alu instid0(VALU_DEP_1)
	v_pk_add_f32 v[42:43], v[42:43], 0 neg_lo:[1,1] neg_hi:[1,1]
.LBB152_629:                            ;   in Loop: Header=BB152_3 Depth=1
	s_or_b32 exec_lo, exec_lo, s13
	s_and_saveexec_b32 s13, s101
; %bb.630:                              ;   in Loop: Header=BB152_3 Depth=1
	ds_store_b64 v65, v[42:43]
; %bb.631:                              ;   in Loop: Header=BB152_3 Depth=1
	s_or_b32 exec_lo, exec_lo, s13
	s_wait_dscnt 0x0
	s_barrier_signal -1
	s_barrier_wait -1
	s_and_saveexec_b32 s13, s102
	s_cbranch_execz .LBB152_633
; %bb.632:                              ;   in Loop: Header=BB152_3 Depth=1
	ds_load_b64 v[44:45], v63 offset:20800
	ds_load_b64 v[46:47], v65
	s_wait_dscnt 0x0
	v_pk_mul_f32 v[48:49], v[46:47], v[44:45] op_sel:[1,1] op_sel_hi:[0,1]
	s_delay_alu instid0(VALU_DEP_1) | instskip(SKIP_1) | instid1(VALU_DEP_2)
	v_pk_fma_f32 v[100:101], v[46:47], v[44:45], v[48:49] op_sel_hi:[1,0,1]
	v_pk_fma_f32 v[44:45], v[46:47], v[44:45], v[48:49] neg_lo:[0,0,1] neg_hi:[0,0,1]
	v_mov_b32_e32 v45, v101
	s_delay_alu instid0(VALU_DEP_1)
	v_pk_add_f32 v[42:43], v[42:43], v[44:45]
.LBB152_633:                            ;   in Loop: Header=BB152_3 Depth=1
	s_or_b32 exec_lo, exec_lo, s13
	s_barrier_signal -1
	s_barrier_wait -1
	s_and_saveexec_b32 s13, s103
; %bb.634:                              ;   in Loop: Header=BB152_3 Depth=1
	ds_store_b64 v65, v[42:43]
; %bb.635:                              ;   in Loop: Header=BB152_3 Depth=1
	s_or_b32 exec_lo, exec_lo, s13
	s_wait_dscnt 0x0
	s_barrier_signal -1
	s_barrier_wait -1
	s_and_saveexec_b32 s13, s104
	s_cbranch_execz .LBB152_637
; %bb.636:                              ;   in Loop: Header=BB152_3 Depth=1
	ds_load_b64 v[44:45], v63 offset:21312
	ds_load_b64 v[46:47], v65
	s_wait_dscnt 0x0
	v_dual_mul_f32 v48, v47, v45 :: v_dual_mul_f32 v45, v46, v45
	s_delay_alu instid0(VALU_DEP_1) | instskip(NEXT) | instid1(VALU_DEP_1)
	v_dual_fma_f32 v46, v46, v44, -v48 :: v_dual_fmac_f32 v45, v47, v44
	v_dual_add_f32 v42, v42, v46 :: v_dual_add_f32 v43, v43, v45
.LBB152_637:                            ;   in Loop: Header=BB152_3 Depth=1
	s_or_b32 exec_lo, exec_lo, s13
	s_barrier_signal -1
	s_barrier_wait -1
	s_and_saveexec_b32 s13, vcc_hi
; %bb.638:                              ;   in Loop: Header=BB152_3 Depth=1
	ds_store_b64 v65, v[42:43]
; %bb.639:                              ;   in Loop: Header=BB152_3 Depth=1
	s_or_b32 exec_lo, exec_lo, s13
	s_wait_dscnt 0x0
	s_barrier_signal -1
	s_barrier_wait -1
	s_and_saveexec_b32 s13, s38
	s_cbranch_execz .LBB152_641
; %bb.640:                              ;   in Loop: Header=BB152_3 Depth=1
	ds_load_b64 v[44:45], v63 offset:21824
	ds_load_b64 v[46:47], v65
	s_wait_dscnt 0x0
	v_dual_mul_f32 v48, v47, v45 :: v_dual_mul_f32 v49, v46, v45
	s_delay_alu instid0(VALU_DEP_1) | instskip(NEXT) | instid1(VALU_DEP_1)
	v_dual_fma_f32 v48, v46, v44, -v48 :: v_dual_fmac_f32 v49, v47, v44
	v_pk_add_f32 v[42:43], v[42:43], v[48:49]
.LBB152_641:                            ;   in Loop: Header=BB152_3 Depth=1
	s_or_b32 exec_lo, exec_lo, s13
	s_barrier_signal -1
	s_barrier_wait -1
	s_and_saveexec_b32 s13, s39
; %bb.642:                              ;   in Loop: Header=BB152_3 Depth=1
	ds_store_b64 v65, v[42:43]
; %bb.643:                              ;   in Loop: Header=BB152_3 Depth=1
	s_or_b32 exec_lo, exec_lo, s13
	s_wait_dscnt 0x0
	s_barrier_signal -1
	s_barrier_wait -1
	s_and_saveexec_b32 s13, s41
	s_cbranch_execz .LBB152_645
; %bb.644:                              ;   in Loop: Header=BB152_3 Depth=1
	ds_load_b64 v[44:45], v63 offset:22336
	ds_load_b64 v[46:47], v65
	s_wait_dscnt 0x0
	v_pk_mul_f32 v[48:49], v[46:47], v[44:45] op_sel:[1,1] op_sel_hi:[0,1]
	s_delay_alu instid0(VALU_DEP_1) | instskip(SKIP_1) | instid1(VALU_DEP_2)
	v_pk_fma_f32 v[100:101], v[46:47], v[44:45], v[48:49] op_sel_hi:[1,0,1]
	v_pk_fma_f32 v[44:45], v[46:47], v[44:45], v[48:49] neg_lo:[0,0,1] neg_hi:[0,0,1]
	v_mov_b32_e32 v45, v101
	s_delay_alu instid0(VALU_DEP_1)
	v_pk_add_f32 v[42:43], v[42:43], v[44:45]
.LBB152_645:                            ;   in Loop: Header=BB152_3 Depth=1
	s_or_b32 exec_lo, exec_lo, s13
	s_barrier_signal -1
	s_barrier_wait -1
	s_and_saveexec_b32 s13, s42
; %bb.646:                              ;   in Loop: Header=BB152_3 Depth=1
	ds_store_b64 v65, v[42:43]
; %bb.647:                              ;   in Loop: Header=BB152_3 Depth=1
	s_or_b32 exec_lo, exec_lo, s13
	s_wait_dscnt 0x0
	s_barrier_signal -1
	s_barrier_wait -1
	s_and_saveexec_b32 s13, s43
	s_cbranch_execz .LBB152_649
; %bb.648:                              ;   in Loop: Header=BB152_3 Depth=1
	ds_load_b64 v[44:45], v63 offset:22848
	ds_load_b64 v[46:47], v65
	s_wait_dscnt 0x0
	v_pk_mul_f32 v[48:49], v[46:47], v[44:45] op_sel:[1,1] op_sel_hi:[0,1]
	s_delay_alu instid0(VALU_DEP_1) | instskip(SKIP_1) | instid1(VALU_DEP_2)
	v_pk_fma_f32 v[100:101], v[46:47], v[44:45], v[48:49] op_sel_hi:[1,0,1]
	v_pk_fma_f32 v[44:45], v[46:47], v[44:45], v[48:49] neg_lo:[0,0,1] neg_hi:[0,0,1]
	v_mov_b32_e32 v45, v101
	s_delay_alu instid0(VALU_DEP_1)
	v_pk_add_f32 v[42:43], v[42:43], v[44:45]
.LBB152_649:                            ;   in Loop: Header=BB152_3 Depth=1
	;; [unrolled: 25-line block ×4, first 2 shown]
	s_or_b32 exec_lo, exec_lo, s13
	s_barrier_signal -1
	s_barrier_wait -1
	s_and_saveexec_b32 s13, s47
; %bb.658:                              ;   in Loop: Header=BB152_3 Depth=1
	ds_store_b64 v65, v[42:43]
; %bb.659:                              ;   in Loop: Header=BB152_3 Depth=1
	s_or_b32 exec_lo, exec_lo, s13
	s_wait_dscnt 0x0
	s_barrier_signal -1
	s_barrier_wait -1
	s_barrier_signal -1
	s_barrier_wait -1
	s_and_saveexec_b32 s13, s4
; %bb.660:                              ;   in Loop: Header=BB152_3 Depth=1
	v_pk_add_f32 v[42:43], v[42:43], 0 neg_lo:[1,1] neg_hi:[1,1]
	ds_store_b64 v66, v[42:43] offset:16704
; %bb.661:                              ;   in Loop: Header=BB152_3 Depth=1
	s_or_b32 exec_lo, exec_lo, s13
	s_wait_dscnt 0x0
	s_barrier_signal -1
	s_barrier_wait -1
	s_barrier_signal -1
	s_barrier_wait -1
	s_and_saveexec_b32 s13, s48
	s_cbranch_execz .LBB152_663
; %bb.662:                              ;   in Loop: Header=BB152_3 Depth=1
	ds_load_b64 v[42:43], v55 offset:16704
	s_wait_dscnt 0x0
	ds_store_b64 v59, v[42:43] offset:20736
	ds_load_b64 v[42:43], v55 offset:16712
	s_wait_dscnt 0x0
	ds_store_b64 v59, v[42:43] offset:21248
	ds_load_b64 v[42:43], v55 offset:16720
	s_wait_dscnt 0x0
	ds_store_b64 v59, v[42:43] offset:21760
	ds_load_b64 v[42:43], v55 offset:16728
	s_wait_dscnt 0x0
	ds_store_b64 v59, v[42:43] offset:22272
	ds_load_b64 v[42:43], v55 offset:16736
	s_wait_dscnt 0x0
	ds_store_b64 v59, v[42:43] offset:22784
	ds_load_b64 v[42:43], v55 offset:16744
	s_wait_dscnt 0x0
	ds_store_b64 v59, v[42:43] offset:23296
	ds_load_b64 v[42:43], v55 offset:16752
	s_wait_dscnt 0x0
	ds_store_b64 v59, v[42:43] offset:23808
	ds_load_b64 v[42:43], v55 offset:16760
	s_wait_dscnt 0x0
	ds_store_b64 v59, v[42:43] offset:24320
.LBB152_663:                            ;   in Loop: Header=BB152_3 Depth=1
	s_or_b32 exec_lo, exec_lo, s13
	s_wait_dscnt 0x0
	s_barrier_signal -1
	s_barrier_wait -1
	s_and_saveexec_b32 s13, s11
	s_cbranch_execz .LBB152_665
; %bb.664:                              ;   in Loop: Header=BB152_3 Depth=1
	ds_load_b64 v[42:43], v3 offset:20808
	v_add_nc_u32_e64 v44, 0x140, 0
	ds_store_b64 v3, v[34:35] offset:21320
	s_wait_dscnt 0x1
	ds_store_2addr_stride64_b64 v44, v[34:35], v[42:43] offset0:40 offset1:41
.LBB152_665:                            ;   in Loop: Header=BB152_3 Depth=1
	s_or_b32 exec_lo, exec_lo, s13
	v_mov_b64_e32 v[42:43], 0
	s_wait_dscnt 0x0
	s_barrier_signal -1
	s_barrier_wait -1
	s_and_saveexec_b32 s13, s1
	s_cbranch_execz .LBB152_669
; %bb.666:                              ;   in Loop: Header=BB152_3 Depth=1
	ds_load_b64 v[42:43], v50 offset:20816
	ds_load_b64 v[44:45], v51 offset:20800
	s_wait_dscnt 0x0
	v_pk_mul_f32 v[46:47], v[44:45], v[42:43] op_sel:[1,1] op_sel_hi:[0,1]
	s_delay_alu instid0(VALU_DEP_1) | instskip(SKIP_1) | instid1(VALU_DEP_2)
	v_pk_fma_f32 v[48:49], v[44:45], v[42:43], v[46:47] op_sel_hi:[1,0,1]
	v_pk_fma_f32 v[42:43], v[44:45], v[42:43], v[46:47] neg_lo:[0,0,1] neg_hi:[0,0,1]
	v_mov_b32_e32 v43, v49
	s_delay_alu instid0(VALU_DEP_1)
	v_pk_add_f32 v[42:43], v[42:43], 0 op_sel_hi:[1,0]
	s_and_saveexec_b32 s55, s15
	s_cbranch_execz .LBB152_668
; %bb.667:                              ;   in Loop: Header=BB152_3 Depth=1
	ds_load_b64 v[44:45], v59 offset:21328
	ds_load_b64 v[46:47], v3 offset:20808
	s_wait_dscnt 0x0
	v_pk_mul_f32 v[48:49], v[46:47], v[44:45] op_sel:[1,1] op_sel_hi:[0,1]
	s_delay_alu instid0(VALU_DEP_1) | instskip(SKIP_1) | instid1(VALU_DEP_2)
	v_pk_fma_f32 v[100:101], v[46:47], v[44:45], v[48:49] op_sel_hi:[1,0,1]
	v_pk_fma_f32 v[44:45], v[46:47], v[44:45], v[48:49] neg_lo:[0,0,1] neg_hi:[0,0,1]
	v_mov_b32_e32 v45, v101
	s_delay_alu instid0(VALU_DEP_1)
	v_pk_add_f32 v[42:43], v[42:43], v[44:45]
.LBB152_668:                            ;   in Loop: Header=BB152_3 Depth=1
	s_or_b32 exec_lo, exec_lo, s55
	s_delay_alu instid0(VALU_DEP_1)
	v_pk_add_f32 v[42:43], v[42:43], 0 neg_lo:[1,1] neg_hi:[1,1]
.LBB152_669:                            ;   in Loop: Header=BB152_3 Depth=1
	s_or_b32 exec_lo, exec_lo, s13
	s_and_saveexec_b32 s13, s91
; %bb.670:                              ;   in Loop: Header=BB152_3 Depth=1
	ds_store_b64 v5, v[42:43]
; %bb.671:                              ;   in Loop: Header=BB152_3 Depth=1
	s_or_b32 exec_lo, exec_lo, s13
	s_wait_dscnt 0x0
	s_barrier_signal -1
	s_barrier_wait -1
	s_and_saveexec_b32 s13, s92
	s_cbranch_execz .LBB152_673
; %bb.672:                              ;   in Loop: Header=BB152_3 Depth=1
	ds_load_b64 v[44:45], v3 offset:21848
	ds_load_b64 v[46:47], v5
	s_wait_dscnt 0x0
	v_pk_mul_f32 v[48:49], v[46:47], v[44:45] op_sel:[1,1] op_sel_hi:[0,1]
	s_delay_alu instid0(VALU_DEP_1) | instskip(SKIP_1) | instid1(VALU_DEP_2)
	v_pk_fma_f32 v[100:101], v[46:47], v[44:45], v[48:49] op_sel_hi:[1,0,1]
	v_pk_fma_f32 v[44:45], v[46:47], v[44:45], v[48:49] neg_lo:[0,0,1] neg_hi:[0,0,1]
	v_mov_b32_e32 v45, v101
	s_delay_alu instid0(VALU_DEP_1)
	v_pk_add_f32 v[42:43], v[42:43], v[44:45]
.LBB152_673:                            ;   in Loop: Header=BB152_3 Depth=1
	s_or_b32 exec_lo, exec_lo, s13
	s_barrier_signal -1
	s_barrier_wait -1
	s_and_saveexec_b32 s13, s92
; %bb.674:                              ;   in Loop: Header=BB152_3 Depth=1
	ds_store_b64 v5, v[42:43]
; %bb.675:                              ;   in Loop: Header=BB152_3 Depth=1
	s_or_b32 exec_lo, exec_lo, s13
	s_wait_dscnt 0x0
	s_barrier_signal -1
	s_barrier_wait -1
	s_barrier_signal -1
	s_barrier_wait -1
	s_and_saveexec_b32 s13, s1
; %bb.676:                              ;   in Loop: Header=BB152_3 Depth=1
	v_pk_add_f32 v[42:43], v[42:43], 0 neg_lo:[1,1] neg_hi:[1,1]
	ds_store_b64 v50, v[42:43] offset:20816
; %bb.677:                              ;   in Loop: Header=BB152_3 Depth=1
	s_or_b32 exec_lo, exec_lo, s13
	s_wait_dscnt 0x0
	s_barrier_signal -1
	s_barrier_wait -1
	s_barrier_signal -1
	s_barrier_wait -1
	s_and_saveexec_b32 s13, s93
	s_cbranch_execz .LBB152_679
; %bb.678:                              ;   in Loop: Header=BB152_3 Depth=1
	ds_load_b64 v[42:43], v60 offset:20816
	s_wait_dscnt 0x0
	ds_store_b64 v59, v[42:43] offset:21824
	ds_load_b64 v[42:43], v60 offset:20824
	s_wait_dscnt 0x0
	ds_store_b64 v59, v[42:43] offset:22336
.LBB152_679:                            ;   in Loop: Header=BB152_3 Depth=1
	s_or_b32 exec_lo, exec_lo, s13
	s_wait_dscnt 0x0
	s_barrier_signal -1
	s_barrier_wait -1
	s_and_saveexec_b32 s13, s11
	s_cbranch_execz .LBB152_681
; %bb.680:                              ;   in Loop: Header=BB152_3 Depth=1
	ds_load_b64 v[42:43], v3 offset:21848
	v_add_nc_u32_e64 v44, 0x150, 0
	ds_store_b64 v3, v[34:35] offset:22360
	s_wait_dscnt 0x1
	ds_store_2addr_stride64_b64 v44, v[34:35], v[42:43] offset0:42 offset1:43
.LBB152_681:                            ;   in Loop: Header=BB152_3 Depth=1
	s_or_b32 exec_lo, exec_lo, s13
	v_mov_b64_e32 v[42:43], 0
	s_wait_dscnt 0x0
	s_barrier_signal -1
	s_barrier_wait -1
	s_and_saveexec_b32 s13, s3
	s_cbranch_execz .LBB152_687
; %bb.682:                              ;   in Loop: Header=BB152_3 Depth=1
	ds_load_b64 v[42:43], v57 offset:20832
	ds_load_b64 v[44:45], v53 offset:20800
	s_wait_dscnt 0x0
	v_dual_mul_f32 v46, v45, v43 :: v_dual_mul_f32 v43, v44, v43
	s_delay_alu instid0(VALU_DEP_1) | instskip(NEXT) | instid1(VALU_DEP_1)
	v_dual_fma_f32 v44, v44, v42, -v46 :: v_dual_fmac_f32 v43, v45, v42
	v_dual_add_f32 v42, 0, v44 :: v_dual_add_f32 v43, 0, v43
	s_and_saveexec_b32 s55, s16
	s_cbranch_execnz .LBB152_1096
; %bb.683:                              ;   in Loop: Header=BB152_3 Depth=1
	s_or_b32 exec_lo, exec_lo, s55
	s_and_saveexec_b32 s55, s17
	s_cbranch_execnz .LBB152_1097
.LBB152_684:                            ;   in Loop: Header=BB152_3 Depth=1
	s_or_b32 exec_lo, exec_lo, s55
	s_and_saveexec_b32 s55, s1
	s_cbranch_execz .LBB152_686
.LBB152_685:                            ;   in Loop: Header=BB152_3 Depth=1
	ds_load_b64 v[44:45], v61 offset:22368
	ds_load_b64 v[46:47], v3 offset:20824
	s_wait_dscnt 0x0
	v_dual_mul_f32 v48, v47, v45 :: v_dual_mul_f32 v49, v46, v45
	s_delay_alu instid0(VALU_DEP_1) | instskip(NEXT) | instid1(VALU_DEP_1)
	v_dual_fma_f32 v48, v46, v44, -v48 :: v_dual_fmac_f32 v49, v47, v44
	v_pk_add_f32 v[42:43], v[42:43], v[48:49]
.LBB152_686:                            ;   in Loop: Header=BB152_3 Depth=1
	s_or_b32 exec_lo, exec_lo, s55
	s_delay_alu instid0(VALU_DEP_1)
	v_pk_add_f32 v[42:43], v[42:43], 0 neg_lo:[1,1] neg_hi:[1,1]
.LBB152_687:                            ;   in Loop: Header=BB152_3 Depth=1
	s_or_b32 exec_lo, exec_lo, s13
	s_and_saveexec_b32 s13, s94
; %bb.688:                              ;   in Loop: Header=BB152_3 Depth=1
	ds_store_b64 v56, v[42:43]
; %bb.689:                              ;   in Loop: Header=BB152_3 Depth=1
	s_or_b32 exec_lo, exec_lo, s13
	s_wait_dscnt 0x0
	s_barrier_signal -1
	s_barrier_wait -1
	s_and_saveexec_b32 s13, s95
	s_cbranch_execz .LBB152_691
; %bb.690:                              ;   in Loop: Header=BB152_3 Depth=1
	ds_load_b64 v[44:45], v54 offset:22880
	ds_load_b64 v[46:47], v56
	s_wait_dscnt 0x0
	v_pk_mul_f32 v[48:49], v[46:47], v[44:45] op_sel:[1,1] op_sel_hi:[0,1]
	s_delay_alu instid0(VALU_DEP_1) | instskip(SKIP_1) | instid1(VALU_DEP_2)
	v_pk_fma_f32 v[100:101], v[46:47], v[44:45], v[48:49] op_sel_hi:[1,0,1]
	v_pk_fma_f32 v[44:45], v[46:47], v[44:45], v[48:49] neg_lo:[0,0,1] neg_hi:[0,0,1]
	v_mov_b32_e32 v45, v101
	s_delay_alu instid0(VALU_DEP_1)
	v_pk_add_f32 v[42:43], v[42:43], v[44:45]
.LBB152_691:                            ;   in Loop: Header=BB152_3 Depth=1
	s_or_b32 exec_lo, exec_lo, s13
	s_barrier_signal -1
	s_barrier_wait -1
	s_and_saveexec_b32 s13, s96
; %bb.692:                              ;   in Loop: Header=BB152_3 Depth=1
	ds_store_b64 v56, v[42:43]
; %bb.693:                              ;   in Loop: Header=BB152_3 Depth=1
	s_or_b32 exec_lo, exec_lo, s13
	s_wait_dscnt 0x0
	s_barrier_signal -1
	s_barrier_wait -1
	s_and_saveexec_b32 s13, s97
	s_cbranch_execz .LBB152_695
; %bb.694:                              ;   in Loop: Header=BB152_3 Depth=1
	ds_load_b64 v[44:45], v54 offset:23392
	ds_load_b64 v[46:47], v56
	s_wait_dscnt 0x0
	v_pk_mul_f32 v[48:49], v[46:47], v[44:45] op_sel:[1,1] op_sel_hi:[0,1]
	s_delay_alu instid0(VALU_DEP_1) | instskip(SKIP_1) | instid1(VALU_DEP_2)
	v_pk_fma_f32 v[100:101], v[46:47], v[44:45], v[48:49] op_sel_hi:[1,0,1]
	v_pk_fma_f32 v[44:45], v[46:47], v[44:45], v[48:49] neg_lo:[0,0,1] neg_hi:[0,0,1]
	v_mov_b32_e32 v45, v101
	s_delay_alu instid0(VALU_DEP_1)
	v_pk_add_f32 v[42:43], v[42:43], v[44:45]
.LBB152_695:                            ;   in Loop: Header=BB152_3 Depth=1
	s_or_b32 exec_lo, exec_lo, s13
	s_barrier_signal -1
	s_barrier_wait -1
	;; [unrolled: 25-line block ×3, first 2 shown]
	s_and_saveexec_b32 s13, s99
; %bb.700:                              ;   in Loop: Header=BB152_3 Depth=1
	ds_store_b64 v56, v[42:43]
; %bb.701:                              ;   in Loop: Header=BB152_3 Depth=1
	s_or_b32 exec_lo, exec_lo, s13
	s_wait_dscnt 0x0
	s_barrier_signal -1
	s_barrier_wait -1
	s_barrier_signal -1
	s_barrier_wait -1
	s_and_saveexec_b32 s13, s3
; %bb.702:                              ;   in Loop: Header=BB152_3 Depth=1
	v_pk_add_f32 v[42:43], v[42:43], 0 neg_lo:[1,1] neg_hi:[1,1]
	ds_store_b64 v57, v[42:43] offset:20832
; %bb.703:                              ;   in Loop: Header=BB152_3 Depth=1
	s_or_b32 exec_lo, exec_lo, s13
	s_wait_dscnt 0x0
	s_barrier_signal -1
	s_barrier_wait -1
	s_barrier_signal -1
	s_barrier_wait -1
	s_and_saveexec_b32 s13, s100
	s_cbranch_execz .LBB152_705
; %bb.704:                              ;   in Loop: Header=BB152_3 Depth=1
	ds_load_b64 v[42:43], v64 offset:20832
	s_wait_dscnt 0x0
	ds_store_b64 v68, v[42:43] offset:22848
	ds_load_b64 v[42:43], v64 offset:20840
	s_wait_dscnt 0x0
	ds_store_b64 v68, v[42:43] offset:23360
	;; [unrolled: 3-line block ×4, first 2 shown]
.LBB152_705:                            ;   in Loop: Header=BB152_3 Depth=1
	s_or_b32 exec_lo, exec_lo, s13
	s_wait_dscnt 0x0
	s_barrier_signal -1
	s_barrier_wait -1
	s_and_saveexec_b32 s13, s11
	s_cbranch_execz .LBB152_707
; %bb.706:                              ;   in Loop: Header=BB152_3 Depth=1
	ds_load_b64 v[42:43], v3 offset:22888
	v_add_nc_u32_e64 v44, 0x160, 0
	ds_store_b64 v3, v[34:35] offset:23400
	s_wait_dscnt 0x1
	ds_store_2addr_stride64_b64 v44, v[34:35], v[42:43] offset0:44 offset1:45
.LBB152_707:                            ;   in Loop: Header=BB152_3 Depth=1
	s_or_b32 exec_lo, exec_lo, s13
	v_mov_b64_e32 v[42:43], 0
	s_wait_dscnt 0x0
	s_barrier_signal -1
	s_barrier_wait -1
	s_and_saveexec_b32 s13, s1
	s_cbranch_execz .LBB152_711
; %bb.708:                              ;   in Loop: Header=BB152_3 Depth=1
	ds_load_b64 v[42:43], v50 offset:22896
	ds_load_b64 v[44:45], v51 offset:22880
	s_wait_dscnt 0x0
	v_pk_mul_f32 v[46:47], v[44:45], v[42:43] op_sel:[1,1] op_sel_hi:[0,1]
	s_delay_alu instid0(VALU_DEP_1) | instskip(SKIP_1) | instid1(VALU_DEP_2)
	v_pk_fma_f32 v[48:49], v[44:45], v[42:43], v[46:47] op_sel_hi:[1,0,1]
	v_pk_fma_f32 v[42:43], v[44:45], v[42:43], v[46:47] neg_lo:[0,0,1] neg_hi:[0,0,1]
	v_mov_b32_e32 v43, v49
	s_delay_alu instid0(VALU_DEP_1)
	v_pk_add_f32 v[42:43], v[42:43], 0 op_sel_hi:[1,0]
	s_and_saveexec_b32 s55, s15
	s_cbranch_execz .LBB152_710
; %bb.709:                              ;   in Loop: Header=BB152_3 Depth=1
	ds_load_b64 v[44:45], v68 offset:23408
	ds_load_b64 v[46:47], v3 offset:22888
	s_wait_dscnt 0x0
	v_pk_mul_f32 v[48:49], v[46:47], v[44:45] op_sel:[1,1] op_sel_hi:[0,1]
	s_delay_alu instid0(VALU_DEP_1) | instskip(SKIP_1) | instid1(VALU_DEP_2)
	v_pk_fma_f32 v[100:101], v[46:47], v[44:45], v[48:49] op_sel_hi:[1,0,1]
	v_pk_fma_f32 v[44:45], v[46:47], v[44:45], v[48:49] neg_lo:[0,0,1] neg_hi:[0,0,1]
	v_mov_b32_e32 v45, v101
	s_delay_alu instid0(VALU_DEP_1)
	v_pk_add_f32 v[42:43], v[42:43], v[44:45]
.LBB152_710:                            ;   in Loop: Header=BB152_3 Depth=1
	s_or_b32 exec_lo, exec_lo, s55
	s_delay_alu instid0(VALU_DEP_1)
	v_pk_add_f32 v[42:43], v[42:43], 0 neg_lo:[1,1] neg_hi:[1,1]
.LBB152_711:                            ;   in Loop: Header=BB152_3 Depth=1
	s_or_b32 exec_lo, exec_lo, s13
	s_and_saveexec_b32 s13, s91
; %bb.712:                              ;   in Loop: Header=BB152_3 Depth=1
	ds_store_b64 v5, v[42:43]
; %bb.713:                              ;   in Loop: Header=BB152_3 Depth=1
	s_or_b32 exec_lo, exec_lo, s13
	s_wait_dscnt 0x0
	s_barrier_signal -1
	s_barrier_wait -1
	s_and_saveexec_b32 s13, s92
	s_cbranch_execz .LBB152_715
; %bb.714:                              ;   in Loop: Header=BB152_3 Depth=1
	ds_load_b64 v[44:45], v3 offset:23928
	ds_load_b64 v[46:47], v5
	s_wait_dscnt 0x0
	v_pk_mul_f32 v[48:49], v[46:47], v[44:45] op_sel:[1,1] op_sel_hi:[0,1]
	s_delay_alu instid0(VALU_DEP_1) | instskip(SKIP_1) | instid1(VALU_DEP_2)
	v_pk_fma_f32 v[100:101], v[46:47], v[44:45], v[48:49] op_sel_hi:[1,0,1]
	v_pk_fma_f32 v[44:45], v[46:47], v[44:45], v[48:49] neg_lo:[0,0,1] neg_hi:[0,0,1]
	v_mov_b32_e32 v45, v101
	s_delay_alu instid0(VALU_DEP_1)
	v_pk_add_f32 v[42:43], v[42:43], v[44:45]
.LBB152_715:                            ;   in Loop: Header=BB152_3 Depth=1
	s_or_b32 exec_lo, exec_lo, s13
	s_barrier_signal -1
	s_barrier_wait -1
	s_and_saveexec_b32 s13, s92
; %bb.716:                              ;   in Loop: Header=BB152_3 Depth=1
	ds_store_b64 v5, v[42:43]
; %bb.717:                              ;   in Loop: Header=BB152_3 Depth=1
	s_or_b32 exec_lo, exec_lo, s13
	s_wait_dscnt 0x0
	s_barrier_signal -1
	s_barrier_wait -1
	s_barrier_signal -1
	s_barrier_wait -1
	s_and_saveexec_b32 s13, s1
; %bb.718:                              ;   in Loop: Header=BB152_3 Depth=1
	v_pk_add_f32 v[42:43], v[42:43], 0 neg_lo:[1,1] neg_hi:[1,1]
	ds_store_b64 v50, v[42:43] offset:22896
; %bb.719:                              ;   in Loop: Header=BB152_3 Depth=1
	s_or_b32 exec_lo, exec_lo, s13
	s_wait_dscnt 0x0
	s_barrier_signal -1
	s_barrier_wait -1
	s_barrier_signal -1
	s_barrier_wait -1
	s_and_saveexec_b32 s13, s93
	s_cbranch_execz .LBB152_721
; %bb.720:                              ;   in Loop: Header=BB152_3 Depth=1
	ds_load_b64 v[42:43], v69 offset:22896
	s_wait_dscnt 0x0
	ds_store_b64 v68, v[42:43] offset:23904
	ds_load_b64 v[42:43], v69 offset:22904
	s_wait_dscnt 0x0
	ds_store_b64 v68, v[42:43] offset:24416
.LBB152_721:                            ;   in Loop: Header=BB152_3 Depth=1
	s_or_b32 exec_lo, exec_lo, s13
	s_wait_dscnt 0x0
	s_barrier_signal -1
	s_barrier_wait -1
	s_and_saveexec_b32 s13, s11
	s_cbranch_execz .LBB152_723
; %bb.722:                              ;   in Loop: Header=BB152_3 Depth=1
	ds_load_b64 v[42:43], v3 offset:23928
	v_add_nc_u32_e64 v44, 0x170, 0
	ds_store_b64 v3, v[34:35] offset:24440
	s_wait_dscnt 0x1
	ds_store_2addr_stride64_b64 v44, v[34:35], v[42:43] offset0:46 offset1:47
.LBB152_723:                            ;   in Loop: Header=BB152_3 Depth=1
	s_or_b32 exec_lo, exec_lo, s13
	v_mov_b64_e32 v[42:43], 0
	s_wait_dscnt 0x0
	s_barrier_signal -1
	s_barrier_wait -1
	s_and_saveexec_b32 s62, s5
	s_cbranch_execz .LBB152_751
; %bb.724:                              ;   in Loop: Header=BB152_3 Depth=1
	ds_load_b64 v[42:43], v75 offset:16768
	ds_load_b64 v[44:45], v71 offset:16640
	s_wait_dscnt 0x0
	v_dual_mul_f32 v46, v45, v43 :: v_dual_mul_f32 v43, v44, v43
	s_delay_alu instid0(VALU_DEP_1) | instskip(NEXT) | instid1(VALU_DEP_1)
	v_dual_fma_f32 v44, v44, v42, -v46 :: v_dual_fmac_f32 v43, v45, v42
	v_dual_add_f32 v42, 0, v44 :: v_dual_add_f32 v43, 0, v43
	s_mov_b32 s13, exec_lo
	v_readlane_b32 s55, v108, 25
	s_and_b32 s55, s13, s55
	s_delay_alu instid0(SALU_CYCLE_1)
	s_mov_b32 exec_lo, s55
	s_cbranch_execz .LBB152_726
; %bb.725:                              ;   in Loop: Header=BB152_3 Depth=1
	ds_load_b64 v[44:45], v76 offset:17280
	ds_load_b64 v[46:47], v71 offset:16648
	s_wait_dscnt 0x0
	v_dual_mul_f32 v48, v47, v45 :: v_dual_mul_f32 v45, v46, v45
	s_delay_alu instid0(VALU_DEP_1) | instskip(NEXT) | instid1(VALU_DEP_1)
	v_dual_fma_f32 v46, v46, v44, -v48 :: v_dual_fmac_f32 v45, v47, v44
	v_dual_add_f32 v42, v42, v46 :: v_dual_add_f32 v43, v43, v45
.LBB152_726:                            ;   in Loop: Header=BB152_3 Depth=1
	s_or_b32 exec_lo, exec_lo, s13
	s_delay_alu instid0(SALU_CYCLE_1) | instskip(SKIP_2) | instid1(SALU_CYCLE_1)
	s_mov_b32 s13, exec_lo
	v_readlane_b32 s55, v108, 26
	s_and_b32 s55, s13, s55
	s_mov_b32 exec_lo, s55
	s_cbranch_execz .LBB152_728
; %bb.727:                              ;   in Loop: Header=BB152_3 Depth=1
	ds_load_b64 v[44:45], v76 offset:17792
	ds_load_b64 v[46:47], v71 offset:16656
	s_wait_dscnt 0x0
	v_dual_mul_f32 v48, v47, v45 :: v_dual_mul_f32 v45, v46, v45
	s_delay_alu instid0(VALU_DEP_1) | instskip(NEXT) | instid1(VALU_DEP_1)
	v_dual_fma_f32 v46, v46, v44, -v48 :: v_dual_fmac_f32 v45, v47, v44
	v_dual_add_f32 v42, v42, v46 :: v_dual_add_f32 v43, v43, v45
.LBB152_728:                            ;   in Loop: Header=BB152_3 Depth=1
	s_or_b32 exec_lo, exec_lo, s13
	s_delay_alu instid0(SALU_CYCLE_1) | instskip(SKIP_2) | instid1(SALU_CYCLE_1)
	s_mov_b32 s13, exec_lo
	v_readlane_b32 s55, v108, 27
	s_and_b32 s55, s13, s55
	;; [unrolled: 16-line block ×10, first 2 shown]
	s_mov_b32 exec_lo, s55
	s_cbranch_execnz .LBB152_1098
; %bb.745:                              ;   in Loop: Header=BB152_3 Depth=1
	s_or_b32 exec_lo, exec_lo, s13
	s_and_saveexec_b32 s13, s4
	s_cbranch_execnz .LBB152_1099
.LBB152_746:                            ;   in Loop: Header=BB152_3 Depth=1
	s_or_b32 exec_lo, exec_lo, s13
	s_and_saveexec_b32 s13, s19
	s_cbranch_execnz .LBB152_1100
.LBB152_747:                            ;   in Loop: Header=BB152_3 Depth=1
	s_or_b32 exec_lo, exec_lo, s13
	s_and_saveexec_b32 s13, s21
	s_cbranch_execnz .LBB152_1101
.LBB152_748:                            ;   in Loop: Header=BB152_3 Depth=1
	s_or_b32 exec_lo, exec_lo, s13
	s_and_saveexec_b32 s13, s3
	s_cbranch_execz .LBB152_750
.LBB152_749:                            ;   in Loop: Header=BB152_3 Depth=1
	ds_load_b64 v[44:45], v52 offset:24448
	ds_load_b64 v[46:47], v3 offset:16760
	s_wait_dscnt 0x0
	v_dual_mul_f32 v48, v47, v45 :: v_dual_mul_f32 v49, v46, v45
	s_delay_alu instid0(VALU_DEP_1) | instskip(NEXT) | instid1(VALU_DEP_1)
	v_dual_fma_f32 v48, v46, v44, -v48 :: v_dual_fmac_f32 v49, v47, v44
	v_pk_add_f32 v[42:43], v[42:43], v[48:49]
.LBB152_750:                            ;   in Loop: Header=BB152_3 Depth=1
	s_or_b32 exec_lo, exec_lo, s13
	s_delay_alu instid0(VALU_DEP_1)
	v_pk_add_f32 v[42:43], v[42:43], 0 neg_lo:[1,1] neg_hi:[1,1]
.LBB152_751:                            ;   in Loop: Header=BB152_3 Depth=1
	s_or_b32 exec_lo, exec_lo, s62
	s_delay_alu instid0(SALU_CYCLE_1) | instskip(SKIP_2) | instid1(SALU_CYCLE_1)
	s_mov_b32 s13, exec_lo
	v_readlane_b32 s55, v108, 2
	s_and_b32 s55, s13, s55
	s_mov_b32 exec_lo, s55
; %bb.752:                              ;   in Loop: Header=BB152_3 Depth=1
	ds_store_b64 v74, v[42:43]
; %bb.753:                              ;   in Loop: Header=BB152_3 Depth=1
	s_or_b32 exec_lo, exec_lo, s13
	s_wait_dscnt 0x0
	s_barrier_signal -1
	s_barrier_wait -1
	s_mov_b32 s13, exec_lo
	v_readlane_b32 s55, v108, 3
	s_and_b32 s55, s13, s55
	s_delay_alu instid0(SALU_CYCLE_1)
	s_mov_b32 exec_lo, s55
	s_cbranch_execz .LBB152_755
; %bb.754:                              ;   in Loop: Header=BB152_3 Depth=1
	ds_load_b64 v[44:45], v73 offset:24960
	ds_load_b64 v[46:47], v74
	s_wait_dscnt 0x0
	v_pk_mul_f32 v[48:49], v[46:47], v[44:45] op_sel:[1,1] op_sel_hi:[0,1]
	s_delay_alu instid0(VALU_DEP_1) | instskip(SKIP_1) | instid1(VALU_DEP_2)
	v_pk_fma_f32 v[100:101], v[46:47], v[44:45], v[48:49] op_sel_hi:[1,0,1]
	v_pk_fma_f32 v[44:45], v[46:47], v[44:45], v[48:49] neg_lo:[0,0,1] neg_hi:[0,0,1]
	v_mov_b32_e32 v45, v101
	s_delay_alu instid0(VALU_DEP_1)
	v_pk_add_f32 v[42:43], v[42:43], v[44:45]
.LBB152_755:                            ;   in Loop: Header=BB152_3 Depth=1
	s_or_b32 exec_lo, exec_lo, s13
	s_barrier_signal -1
	s_barrier_wait -1
	s_mov_b32 s13, exec_lo
	v_readlane_b32 s55, v108, 4
	s_and_b32 s55, s13, s55
	s_delay_alu instid0(SALU_CYCLE_1)
	s_mov_b32 exec_lo, s55
; %bb.756:                              ;   in Loop: Header=BB152_3 Depth=1
	ds_store_b64 v74, v[42:43]
; %bb.757:                              ;   in Loop: Header=BB152_3 Depth=1
	s_or_b32 exec_lo, exec_lo, s13
	s_wait_dscnt 0x0
	s_barrier_signal -1
	s_barrier_wait -1
	s_mov_b32 s13, exec_lo
	v_readlane_b32 s55, v108, 5
	s_and_b32 s55, s13, s55
	s_delay_alu instid0(SALU_CYCLE_1)
	s_mov_b32 exec_lo, s55
	s_cbranch_execz .LBB152_759
; %bb.758:                              ;   in Loop: Header=BB152_3 Depth=1
	ds_load_b64 v[44:45], v73 offset:25472
	ds_load_b64 v[46:47], v74
	s_wait_dscnt 0x0
	v_pk_mul_f32 v[48:49], v[46:47], v[44:45] op_sel:[1,1] op_sel_hi:[0,1]
	s_delay_alu instid0(VALU_DEP_1) | instskip(SKIP_1) | instid1(VALU_DEP_2)
	v_pk_fma_f32 v[100:101], v[46:47], v[44:45], v[48:49] op_sel_hi:[1,0,1]
	v_pk_fma_f32 v[44:45], v[46:47], v[44:45], v[48:49] neg_lo:[0,0,1] neg_hi:[0,0,1]
	v_mov_b32_e32 v45, v101
	s_delay_alu instid0(VALU_DEP_1)
	v_pk_add_f32 v[42:43], v[42:43], v[44:45]
.LBB152_759:                            ;   in Loop: Header=BB152_3 Depth=1
	s_or_b32 exec_lo, exec_lo, s13
	s_barrier_signal -1
	s_barrier_wait -1
	s_mov_b32 s13, exec_lo
	v_readlane_b32 s55, v108, 6
	s_and_b32 s55, s13, s55
	s_delay_alu instid0(SALU_CYCLE_1)
	;; [unrolled: 33-line block ×3, first 2 shown]
	s_mov_b32 exec_lo, s55
; %bb.764:                              ;   in Loop: Header=BB152_3 Depth=1
	ds_store_b64 v74, v[42:43]
; %bb.765:                              ;   in Loop: Header=BB152_3 Depth=1
	s_or_b32 exec_lo, exec_lo, s13
	s_wait_dscnt 0x0
	s_barrier_signal -1
	s_barrier_wait -1
	s_mov_b32 s13, exec_lo
	v_readlane_b32 s55, v108, 9
	s_and_b32 s55, s13, s55
	s_delay_alu instid0(SALU_CYCLE_1)
	s_mov_b32 exec_lo, s55
	s_cbranch_execz .LBB152_767
; %bb.766:                              ;   in Loop: Header=BB152_3 Depth=1
	ds_load_b64 v[44:45], v73 offset:26496
	ds_load_b64 v[46:47], v74
	s_wait_dscnt 0x0
	v_dual_mul_f32 v48, v47, v45 :: v_dual_mul_f32 v45, v46, v45
	s_delay_alu instid0(VALU_DEP_1) | instskip(NEXT) | instid1(VALU_DEP_1)
	v_dual_fma_f32 v46, v46, v44, -v48 :: v_dual_fmac_f32 v45, v47, v44
	v_dual_add_f32 v42, v42, v46 :: v_dual_add_f32 v43, v43, v45
.LBB152_767:                            ;   in Loop: Header=BB152_3 Depth=1
	s_or_b32 exec_lo, exec_lo, s13
	s_barrier_signal -1
	s_barrier_wait -1
	s_mov_b32 s13, exec_lo
	v_readlane_b32 s55, v108, 10
	s_and_b32 s55, s13, s55
	s_delay_alu instid0(SALU_CYCLE_1)
	s_mov_b32 exec_lo, s55
; %bb.768:                              ;   in Loop: Header=BB152_3 Depth=1
	ds_store_b64 v74, v[42:43]
; %bb.769:                              ;   in Loop: Header=BB152_3 Depth=1
	s_or_b32 exec_lo, exec_lo, s13
	s_wait_dscnt 0x0
	s_barrier_signal -1
	s_barrier_wait -1
	s_mov_b32 s13, exec_lo
	v_readlane_b32 s55, v108, 11
	s_and_b32 s55, s13, s55
	s_delay_alu instid0(SALU_CYCLE_1)
	s_mov_b32 exec_lo, s55
	s_cbranch_execz .LBB152_771
; %bb.770:                              ;   in Loop: Header=BB152_3 Depth=1
	ds_load_b64 v[44:45], v73 offset:27008
	ds_load_b64 v[46:47], v74
	s_wait_dscnt 0x0
	v_dual_mul_f32 v48, v47, v45 :: v_dual_mul_f32 v49, v46, v45
	s_delay_alu instid0(VALU_DEP_1) | instskip(NEXT) | instid1(VALU_DEP_1)
	v_dual_fma_f32 v48, v46, v44, -v48 :: v_dual_fmac_f32 v49, v47, v44
	v_pk_add_f32 v[42:43], v[42:43], v[48:49]
.LBB152_771:                            ;   in Loop: Header=BB152_3 Depth=1
	s_or_b32 exec_lo, exec_lo, s13
	s_barrier_signal -1
	s_barrier_wait -1
	s_and_saveexec_b32 s13, s59
; %bb.772:                              ;   in Loop: Header=BB152_3 Depth=1
	ds_store_b64 v74, v[42:43]
; %bb.773:                              ;   in Loop: Header=BB152_3 Depth=1
	s_or_b32 exec_lo, exec_lo, s13
	s_wait_dscnt 0x0
	s_barrier_signal -1
	s_barrier_wait -1
	s_and_saveexec_b32 s13, s60
	s_cbranch_execz .LBB152_775
; %bb.774:                              ;   in Loop: Header=BB152_3 Depth=1
	ds_load_b64 v[44:45], v73 offset:27520
	ds_load_b64 v[46:47], v74
	s_wait_dscnt 0x0
	v_pk_mul_f32 v[48:49], v[46:47], v[44:45] op_sel:[1,1] op_sel_hi:[0,1]
	s_delay_alu instid0(VALU_DEP_1) | instskip(SKIP_1) | instid1(VALU_DEP_2)
	v_pk_fma_f32 v[100:101], v[46:47], v[44:45], v[48:49] op_sel_hi:[1,0,1]
	v_pk_fma_f32 v[44:45], v[46:47], v[44:45], v[48:49] neg_lo:[0,0,1] neg_hi:[0,0,1]
	v_mov_b32_e32 v45, v101
	s_delay_alu instid0(VALU_DEP_1)
	v_pk_add_f32 v[42:43], v[42:43], v[44:45]
.LBB152_775:                            ;   in Loop: Header=BB152_3 Depth=1
	s_or_b32 exec_lo, exec_lo, s13
	s_barrier_signal -1
	s_barrier_wait -1
	s_and_saveexec_b32 s13, s61
; %bb.776:                              ;   in Loop: Header=BB152_3 Depth=1
	ds_store_b64 v74, v[42:43]
; %bb.777:                              ;   in Loop: Header=BB152_3 Depth=1
	s_or_b32 exec_lo, exec_lo, s13
	s_wait_dscnt 0x0
	s_barrier_signal -1
	s_barrier_wait -1
	s_and_saveexec_b32 s13, s23
	s_cbranch_execz .LBB152_779
; %bb.778:                              ;   in Loop: Header=BB152_3 Depth=1
	ds_load_b64 v[44:45], v73 offset:28032
	ds_load_b64 v[46:47], v74
	s_wait_dscnt 0x0
	v_pk_mul_f32 v[48:49], v[46:47], v[44:45] op_sel:[1,1] op_sel_hi:[0,1]
	s_delay_alu instid0(VALU_DEP_1) | instskip(SKIP_1) | instid1(VALU_DEP_2)
	v_pk_fma_f32 v[100:101], v[46:47], v[44:45], v[48:49] op_sel_hi:[1,0,1]
	v_pk_fma_f32 v[44:45], v[46:47], v[44:45], v[48:49] neg_lo:[0,0,1] neg_hi:[0,0,1]
	v_mov_b32_e32 v45, v101
	s_delay_alu instid0(VALU_DEP_1)
	v_pk_add_f32 v[42:43], v[42:43], v[44:45]
.LBB152_779:                            ;   in Loop: Header=BB152_3 Depth=1
	;; [unrolled: 25-line block ×4, first 2 shown]
	s_or_b32 exec_lo, exec_lo, s13
	s_barrier_signal -1
	s_barrier_wait -1
	s_and_saveexec_b32 s13, s34
; %bb.788:                              ;   in Loop: Header=BB152_3 Depth=1
	ds_store_b64 v74, v[42:43]
; %bb.789:                              ;   in Loop: Header=BB152_3 Depth=1
	s_or_b32 exec_lo, exec_lo, s13
	s_wait_dscnt 0x0
	s_barrier_signal -1
	s_barrier_wait -1
	s_and_saveexec_b32 s13, s40
	s_cbranch_execz .LBB152_791
; %bb.790:                              ;   in Loop: Header=BB152_3 Depth=1
	ds_load_b64 v[44:45], v73 offset:29568
	ds_load_b64 v[46:47], v74
	s_wait_dscnt 0x0
	v_dual_mul_f32 v48, v47, v45 :: v_dual_mul_f32 v45, v46, v45
	s_delay_alu instid0(VALU_DEP_1) | instskip(NEXT) | instid1(VALU_DEP_1)
	v_dual_fma_f32 v46, v46, v44, -v48 :: v_dual_fmac_f32 v45, v47, v44
	v_dual_add_f32 v42, v42, v46 :: v_dual_add_f32 v43, v43, v45
.LBB152_791:                            ;   in Loop: Header=BB152_3 Depth=1
	s_or_b32 exec_lo, exec_lo, s13
	s_barrier_signal -1
	s_barrier_wait -1
	s_and_saveexec_b32 s13, s24
; %bb.792:                              ;   in Loop: Header=BB152_3 Depth=1
	ds_store_b64 v74, v[42:43]
; %bb.793:                              ;   in Loop: Header=BB152_3 Depth=1
	s_or_b32 exec_lo, exec_lo, s13
	s_wait_dscnt 0x0
	s_barrier_signal -1
	s_barrier_wait -1
	s_and_saveexec_b32 s13, s26
	s_cbranch_execz .LBB152_795
; %bb.794:                              ;   in Loop: Header=BB152_3 Depth=1
	ds_load_b64 v[44:45], v73 offset:30080
	ds_load_b64 v[46:47], v74
	s_wait_dscnt 0x0
	v_dual_mul_f32 v48, v47, v45 :: v_dual_mul_f32 v49, v46, v45
	s_delay_alu instid0(VALU_DEP_1) | instskip(NEXT) | instid1(VALU_DEP_1)
	v_dual_fma_f32 v48, v46, v44, -v48 :: v_dual_fmac_f32 v49, v47, v44
	v_pk_add_f32 v[42:43], v[42:43], v[48:49]
.LBB152_795:                            ;   in Loop: Header=BB152_3 Depth=1
	s_or_b32 exec_lo, exec_lo, s13
	s_barrier_signal -1
	s_barrier_wait -1
	s_and_saveexec_b32 s13, s28
; %bb.796:                              ;   in Loop: Header=BB152_3 Depth=1
	ds_store_b64 v74, v[42:43]
; %bb.797:                              ;   in Loop: Header=BB152_3 Depth=1
	s_or_b32 exec_lo, exec_lo, s13
	s_wait_dscnt 0x0
	s_barrier_signal -1
	s_barrier_wait -1
	s_and_saveexec_b32 s13, s30
	s_cbranch_execz .LBB152_799
; %bb.798:                              ;   in Loop: Header=BB152_3 Depth=1
	ds_load_b64 v[44:45], v73 offset:30592
	ds_load_b64 v[46:47], v74
	s_wait_dscnt 0x0
	v_pk_mul_f32 v[48:49], v[46:47], v[44:45] op_sel:[1,1] op_sel_hi:[0,1]
	s_delay_alu instid0(VALU_DEP_1) | instskip(SKIP_1) | instid1(VALU_DEP_2)
	v_pk_fma_f32 v[100:101], v[46:47], v[44:45], v[48:49] op_sel_hi:[1,0,1]
	v_pk_fma_f32 v[44:45], v[46:47], v[44:45], v[48:49] neg_lo:[0,0,1] neg_hi:[0,0,1]
	v_mov_b32_e32 v45, v101
	s_delay_alu instid0(VALU_DEP_1)
	v_pk_add_f32 v[42:43], v[42:43], v[44:45]
.LBB152_799:                            ;   in Loop: Header=BB152_3 Depth=1
	s_or_b32 exec_lo, exec_lo, s13
	s_barrier_signal -1
	s_barrier_wait -1
	s_and_saveexec_b32 s13, s33
; %bb.800:                              ;   in Loop: Header=BB152_3 Depth=1
	ds_store_b64 v74, v[42:43]
; %bb.801:                              ;   in Loop: Header=BB152_3 Depth=1
	s_or_b32 exec_lo, exec_lo, s13
	s_wait_dscnt 0x0
	s_barrier_signal -1
	s_barrier_wait -1
	s_and_saveexec_b32 s13, s89
	s_cbranch_execz .LBB152_803
; %bb.802:                              ;   in Loop: Header=BB152_3 Depth=1
	ds_load_b64 v[44:45], v73 offset:31104
	ds_load_b64 v[46:47], v74
	s_wait_dscnt 0x0
	v_pk_mul_f32 v[48:49], v[46:47], v[44:45] op_sel:[1,1] op_sel_hi:[0,1]
	s_delay_alu instid0(VALU_DEP_1) | instskip(SKIP_1) | instid1(VALU_DEP_2)
	v_pk_fma_f32 v[100:101], v[46:47], v[44:45], v[48:49] op_sel_hi:[1,0,1]
	v_pk_fma_f32 v[44:45], v[46:47], v[44:45], v[48:49] neg_lo:[0,0,1] neg_hi:[0,0,1]
	v_mov_b32_e32 v45, v101
	s_delay_alu instid0(VALU_DEP_1)
	v_pk_add_f32 v[42:43], v[42:43], v[44:45]
.LBB152_803:                            ;   in Loop: Header=BB152_3 Depth=1
	;; [unrolled: 25-line block ×4, first 2 shown]
	s_or_b32 exec_lo, exec_lo, s13
	s_barrier_signal -1
	s_barrier_wait -1
	s_and_saveexec_b32 s13, s51
; %bb.812:                              ;   in Loop: Header=BB152_3 Depth=1
	ds_store_b64 v74, v[42:43]
; %bb.813:                              ;   in Loop: Header=BB152_3 Depth=1
	s_or_b32 exec_lo, exec_lo, s13
	s_wait_dscnt 0x0
	s_barrier_signal -1
	s_barrier_wait -1
	s_barrier_signal -1
	s_barrier_wait -1
	s_and_saveexec_b32 s13, s5
; %bb.814:                              ;   in Loop: Header=BB152_3 Depth=1
	v_pk_add_f32 v[42:43], v[42:43], 0 neg_lo:[1,1] neg_hi:[1,1]
	ds_store_b64 v75, v[42:43] offset:16768
; %bb.815:                              ;   in Loop: Header=BB152_3 Depth=1
	s_or_b32 exec_lo, exec_lo, s13
	s_wait_dscnt 0x0
	s_barrier_signal -1
	s_barrier_wait -1
	s_barrier_signal -1
	s_barrier_wait -1
	s_and_saveexec_b32 s13, s52
	s_cbranch_execz .LBB152_817
; %bb.816:                              ;   in Loop: Header=BB152_3 Depth=1
	ds_load_b64 v[42:43], v55 offset:16768
	s_wait_dscnt 0x0
	ds_store_b64 v59, v[42:43] offset:24832
	ds_load_b64 v[42:43], v55 offset:16776
	s_wait_dscnt 0x0
	ds_store_b64 v59, v[42:43] offset:25344
	;; [unrolled: 3-line block ×16, first 2 shown]
.LBB152_817:                            ;   in Loop: Header=BB152_3 Depth=1
	s_or_b32 exec_lo, exec_lo, s13
	s_wait_dscnt 0x0
	s_barrier_signal -1
	s_barrier_wait -1
	s_and_saveexec_b32 s13, s11
	s_cbranch_execz .LBB152_819
; %bb.818:                              ;   in Loop: Header=BB152_3 Depth=1
	ds_load_b64 v[42:43], v3 offset:24968
	v_add_nc_u32_e64 v44, 0x180, 0
	ds_store_b64 v3, v[34:35] offset:25480
	s_wait_dscnt 0x1
	ds_store_2addr_stride64_b64 v44, v[34:35], v[42:43] offset0:48 offset1:49
.LBB152_819:                            ;   in Loop: Header=BB152_3 Depth=1
	s_or_b32 exec_lo, exec_lo, s13
	v_mov_b64_e32 v[42:43], 0
	s_wait_dscnt 0x0
	s_barrier_signal -1
	s_barrier_wait -1
	s_and_saveexec_b32 s13, s1
	s_cbranch_execz .LBB152_823
; %bb.820:                              ;   in Loop: Header=BB152_3 Depth=1
	ds_load_b64 v[42:43], v50 offset:24976
	ds_load_b64 v[44:45], v51 offset:24960
	s_wait_dscnt 0x0
	v_pk_mul_f32 v[46:47], v[44:45], v[42:43] op_sel:[1,1] op_sel_hi:[0,1]
	s_delay_alu instid0(VALU_DEP_1) | instskip(SKIP_1) | instid1(VALU_DEP_2)
	v_pk_fma_f32 v[48:49], v[44:45], v[42:43], v[46:47] op_sel_hi:[1,0,1]
	v_pk_fma_f32 v[42:43], v[44:45], v[42:43], v[46:47] neg_lo:[0,0,1] neg_hi:[0,0,1]
	v_mov_b32_e32 v43, v49
	s_delay_alu instid0(VALU_DEP_1)
	v_pk_add_f32 v[42:43], v[42:43], 0 op_sel_hi:[1,0]
	s_and_saveexec_b32 s55, s15
	s_cbranch_execz .LBB152_822
; %bb.821:                              ;   in Loop: Header=BB152_3 Depth=1
	ds_load_b64 v[44:45], v52 offset:25488
	ds_load_b64 v[46:47], v3 offset:24968
	s_wait_dscnt 0x0
	v_pk_mul_f32 v[48:49], v[46:47], v[44:45] op_sel:[1,1] op_sel_hi:[0,1]
	s_delay_alu instid0(VALU_DEP_1) | instskip(SKIP_1) | instid1(VALU_DEP_2)
	v_pk_fma_f32 v[100:101], v[46:47], v[44:45], v[48:49] op_sel_hi:[1,0,1]
	v_pk_fma_f32 v[44:45], v[46:47], v[44:45], v[48:49] neg_lo:[0,0,1] neg_hi:[0,0,1]
	v_mov_b32_e32 v45, v101
	s_delay_alu instid0(VALU_DEP_1)
	v_pk_add_f32 v[42:43], v[42:43], v[44:45]
.LBB152_822:                            ;   in Loop: Header=BB152_3 Depth=1
	s_or_b32 exec_lo, exec_lo, s55
	s_delay_alu instid0(VALU_DEP_1)
	v_pk_add_f32 v[42:43], v[42:43], 0 neg_lo:[1,1] neg_hi:[1,1]
.LBB152_823:                            ;   in Loop: Header=BB152_3 Depth=1
	s_or_b32 exec_lo, exec_lo, s13
	s_and_saveexec_b32 s13, s91
; %bb.824:                              ;   in Loop: Header=BB152_3 Depth=1
	ds_store_b64 v5, v[42:43]
; %bb.825:                              ;   in Loop: Header=BB152_3 Depth=1
	s_or_b32 exec_lo, exec_lo, s13
	s_wait_dscnt 0x0
	s_barrier_signal -1
	s_barrier_wait -1
	s_and_saveexec_b32 s13, s92
	s_cbranch_execz .LBB152_827
; %bb.826:                              ;   in Loop: Header=BB152_3 Depth=1
	ds_load_b64 v[44:45], v3 offset:26008
	ds_load_b64 v[46:47], v5
	s_wait_dscnt 0x0
	v_pk_mul_f32 v[48:49], v[46:47], v[44:45] op_sel:[1,1] op_sel_hi:[0,1]
	s_delay_alu instid0(VALU_DEP_1) | instskip(SKIP_1) | instid1(VALU_DEP_2)
	v_pk_fma_f32 v[100:101], v[46:47], v[44:45], v[48:49] op_sel_hi:[1,0,1]
	v_pk_fma_f32 v[44:45], v[46:47], v[44:45], v[48:49] neg_lo:[0,0,1] neg_hi:[0,0,1]
	v_mov_b32_e32 v45, v101
	s_delay_alu instid0(VALU_DEP_1)
	v_pk_add_f32 v[42:43], v[42:43], v[44:45]
.LBB152_827:                            ;   in Loop: Header=BB152_3 Depth=1
	s_or_b32 exec_lo, exec_lo, s13
	s_barrier_signal -1
	s_barrier_wait -1
	s_and_saveexec_b32 s13, s92
; %bb.828:                              ;   in Loop: Header=BB152_3 Depth=1
	ds_store_b64 v5, v[42:43]
; %bb.829:                              ;   in Loop: Header=BB152_3 Depth=1
	s_or_b32 exec_lo, exec_lo, s13
	s_wait_dscnt 0x0
	s_barrier_signal -1
	s_barrier_wait -1
	s_barrier_signal -1
	s_barrier_wait -1
	s_and_saveexec_b32 s13, s1
; %bb.830:                              ;   in Loop: Header=BB152_3 Depth=1
	v_pk_add_f32 v[42:43], v[42:43], 0 neg_lo:[1,1] neg_hi:[1,1]
	ds_store_b64 v50, v[42:43] offset:24976
; %bb.831:                              ;   in Loop: Header=BB152_3 Depth=1
	s_or_b32 exec_lo, exec_lo, s13
	s_wait_dscnt 0x0
	s_barrier_signal -1
	s_barrier_wait -1
	s_barrier_signal -1
	s_barrier_wait -1
	s_and_saveexec_b32 s13, s93
	s_cbranch_execz .LBB152_833
; %bb.832:                              ;   in Loop: Header=BB152_3 Depth=1
	ds_load_b64 v[42:43], v55 offset:24976
	s_wait_dscnt 0x0
	ds_store_b64 v52, v[42:43] offset:25984
	ds_load_b64 v[42:43], v55 offset:24984
	s_wait_dscnt 0x0
	ds_store_b64 v52, v[42:43] offset:26496
.LBB152_833:                            ;   in Loop: Header=BB152_3 Depth=1
	s_or_b32 exec_lo, exec_lo, s13
	s_wait_dscnt 0x0
	s_barrier_signal -1
	s_barrier_wait -1
	s_and_saveexec_b32 s13, s11
	s_cbranch_execz .LBB152_835
; %bb.834:                              ;   in Loop: Header=BB152_3 Depth=1
	ds_load_b64 v[42:43], v3 offset:26008
	v_add_nc_u32_e64 v44, 0x190, 0
	ds_store_b64 v3, v[34:35] offset:26520
	s_wait_dscnt 0x1
	ds_store_2addr_stride64_b64 v44, v[34:35], v[42:43] offset0:50 offset1:51
.LBB152_835:                            ;   in Loop: Header=BB152_3 Depth=1
	s_or_b32 exec_lo, exec_lo, s13
	v_mov_b64_e32 v[42:43], 0
	s_wait_dscnt 0x0
	s_barrier_signal -1
	s_barrier_wait -1
	s_and_saveexec_b32 s13, s3
	s_cbranch_execz .LBB152_841
; %bb.836:                              ;   in Loop: Header=BB152_3 Depth=1
	ds_load_b64 v[42:43], v57 offset:24992
	ds_load_b64 v[44:45], v53 offset:24960
	s_wait_dscnt 0x0
	v_dual_mul_f32 v46, v45, v43 :: v_dual_mul_f32 v43, v44, v43
	s_delay_alu instid0(VALU_DEP_1) | instskip(NEXT) | instid1(VALU_DEP_1)
	v_dual_fma_f32 v44, v44, v42, -v46 :: v_dual_fmac_f32 v43, v45, v42
	v_dual_add_f32 v42, 0, v44 :: v_dual_add_f32 v43, 0, v43
	s_and_saveexec_b32 s55, s16
	s_cbranch_execnz .LBB152_1102
; %bb.837:                              ;   in Loop: Header=BB152_3 Depth=1
	s_or_b32 exec_lo, exec_lo, s55
	s_and_saveexec_b32 s55, s17
	s_cbranch_execnz .LBB152_1103
.LBB152_838:                            ;   in Loop: Header=BB152_3 Depth=1
	s_or_b32 exec_lo, exec_lo, s55
	s_and_saveexec_b32 s55, s1
	s_cbranch_execz .LBB152_840
.LBB152_839:                            ;   in Loop: Header=BB152_3 Depth=1
	ds_load_b64 v[44:45], v59 offset:26528
	ds_load_b64 v[46:47], v3 offset:24984
	s_wait_dscnt 0x0
	v_dual_mul_f32 v48, v47, v45 :: v_dual_mul_f32 v49, v46, v45
	s_delay_alu instid0(VALU_DEP_1) | instskip(NEXT) | instid1(VALU_DEP_1)
	v_dual_fma_f32 v48, v46, v44, -v48 :: v_dual_fmac_f32 v49, v47, v44
	v_pk_add_f32 v[42:43], v[42:43], v[48:49]
.LBB152_840:                            ;   in Loop: Header=BB152_3 Depth=1
	s_or_b32 exec_lo, exec_lo, s55
	s_delay_alu instid0(VALU_DEP_1)
	v_pk_add_f32 v[42:43], v[42:43], 0 neg_lo:[1,1] neg_hi:[1,1]
.LBB152_841:                            ;   in Loop: Header=BB152_3 Depth=1
	s_or_b32 exec_lo, exec_lo, s13
	s_and_saveexec_b32 s13, s94
; %bb.842:                              ;   in Loop: Header=BB152_3 Depth=1
	ds_store_b64 v56, v[42:43]
; %bb.843:                              ;   in Loop: Header=BB152_3 Depth=1
	s_or_b32 exec_lo, exec_lo, s13
	s_wait_dscnt 0x0
	s_barrier_signal -1
	s_barrier_wait -1
	s_and_saveexec_b32 s13, s95
	s_cbranch_execz .LBB152_845
; %bb.844:                              ;   in Loop: Header=BB152_3 Depth=1
	ds_load_b64 v[44:45], v54 offset:27040
	ds_load_b64 v[46:47], v56
	s_wait_dscnt 0x0
	v_pk_mul_f32 v[48:49], v[46:47], v[44:45] op_sel:[1,1] op_sel_hi:[0,1]
	s_delay_alu instid0(VALU_DEP_1) | instskip(SKIP_1) | instid1(VALU_DEP_2)
	v_pk_fma_f32 v[100:101], v[46:47], v[44:45], v[48:49] op_sel_hi:[1,0,1]
	v_pk_fma_f32 v[44:45], v[46:47], v[44:45], v[48:49] neg_lo:[0,0,1] neg_hi:[0,0,1]
	v_mov_b32_e32 v45, v101
	s_delay_alu instid0(VALU_DEP_1)
	v_pk_add_f32 v[42:43], v[42:43], v[44:45]
.LBB152_845:                            ;   in Loop: Header=BB152_3 Depth=1
	s_or_b32 exec_lo, exec_lo, s13
	s_barrier_signal -1
	s_barrier_wait -1
	s_and_saveexec_b32 s13, s96
; %bb.846:                              ;   in Loop: Header=BB152_3 Depth=1
	ds_store_b64 v56, v[42:43]
; %bb.847:                              ;   in Loop: Header=BB152_3 Depth=1
	s_or_b32 exec_lo, exec_lo, s13
	s_wait_dscnt 0x0
	s_barrier_signal -1
	s_barrier_wait -1
	s_and_saveexec_b32 s13, s97
	s_cbranch_execz .LBB152_849
; %bb.848:                              ;   in Loop: Header=BB152_3 Depth=1
	ds_load_b64 v[44:45], v54 offset:27552
	ds_load_b64 v[46:47], v56
	s_wait_dscnt 0x0
	v_pk_mul_f32 v[48:49], v[46:47], v[44:45] op_sel:[1,1] op_sel_hi:[0,1]
	s_delay_alu instid0(VALU_DEP_1) | instskip(SKIP_1) | instid1(VALU_DEP_2)
	v_pk_fma_f32 v[100:101], v[46:47], v[44:45], v[48:49] op_sel_hi:[1,0,1]
	v_pk_fma_f32 v[44:45], v[46:47], v[44:45], v[48:49] neg_lo:[0,0,1] neg_hi:[0,0,1]
	v_mov_b32_e32 v45, v101
	s_delay_alu instid0(VALU_DEP_1)
	v_pk_add_f32 v[42:43], v[42:43], v[44:45]
.LBB152_849:                            ;   in Loop: Header=BB152_3 Depth=1
	s_or_b32 exec_lo, exec_lo, s13
	s_barrier_signal -1
	s_barrier_wait -1
	;; [unrolled: 25-line block ×3, first 2 shown]
	s_and_saveexec_b32 s13, s99
; %bb.854:                              ;   in Loop: Header=BB152_3 Depth=1
	ds_store_b64 v56, v[42:43]
; %bb.855:                              ;   in Loop: Header=BB152_3 Depth=1
	s_or_b32 exec_lo, exec_lo, s13
	s_wait_dscnt 0x0
	s_barrier_signal -1
	s_barrier_wait -1
	s_barrier_signal -1
	s_barrier_wait -1
	s_and_saveexec_b32 s13, s3
; %bb.856:                              ;   in Loop: Header=BB152_3 Depth=1
	v_pk_add_f32 v[42:43], v[42:43], 0 neg_lo:[1,1] neg_hi:[1,1]
	ds_store_b64 v57, v[42:43] offset:24992
; %bb.857:                              ;   in Loop: Header=BB152_3 Depth=1
	s_or_b32 exec_lo, exec_lo, s13
	s_wait_dscnt 0x0
	s_barrier_signal -1
	s_barrier_wait -1
	s_barrier_signal -1
	s_barrier_wait -1
	s_and_saveexec_b32 s13, s100
	s_cbranch_execz .LBB152_859
; %bb.858:                              ;   in Loop: Header=BB152_3 Depth=1
	ds_load_b64 v[42:43], v60 offset:24992
	s_wait_dscnt 0x0
	ds_store_b64 v61, v[42:43] offset:27008
	ds_load_b64 v[42:43], v60 offset:25000
	s_wait_dscnt 0x0
	ds_store_b64 v61, v[42:43] offset:27520
	;; [unrolled: 3-line block ×4, first 2 shown]
.LBB152_859:                            ;   in Loop: Header=BB152_3 Depth=1
	s_or_b32 exec_lo, exec_lo, s13
	s_wait_dscnt 0x0
	s_barrier_signal -1
	s_barrier_wait -1
	s_and_saveexec_b32 s13, s11
	s_cbranch_execz .LBB152_861
; %bb.860:                              ;   in Loop: Header=BB152_3 Depth=1
	ds_load_b64 v[42:43], v3 offset:27048
	v_add_nc_u32_e64 v44, 0x1a0, 0
	ds_store_b64 v3, v[34:35] offset:27560
	s_wait_dscnt 0x1
	ds_store_2addr_stride64_b64 v44, v[34:35], v[42:43] offset0:52 offset1:53
.LBB152_861:                            ;   in Loop: Header=BB152_3 Depth=1
	s_or_b32 exec_lo, exec_lo, s13
	v_mov_b64_e32 v[42:43], 0
	s_wait_dscnt 0x0
	s_barrier_signal -1
	s_barrier_wait -1
	s_and_saveexec_b32 s13, s1
	s_cbranch_execz .LBB152_865
; %bb.862:                              ;   in Loop: Header=BB152_3 Depth=1
	ds_load_b64 v[42:43], v50 offset:27056
	ds_load_b64 v[44:45], v51 offset:27040
	s_wait_dscnt 0x0
	v_pk_mul_f32 v[46:47], v[44:45], v[42:43] op_sel:[1,1] op_sel_hi:[0,1]
	s_delay_alu instid0(VALU_DEP_1) | instskip(SKIP_1) | instid1(VALU_DEP_2)
	v_pk_fma_f32 v[48:49], v[44:45], v[42:43], v[46:47] op_sel_hi:[1,0,1]
	v_pk_fma_f32 v[42:43], v[44:45], v[42:43], v[46:47] neg_lo:[0,0,1] neg_hi:[0,0,1]
	v_mov_b32_e32 v43, v49
	s_delay_alu instid0(VALU_DEP_1)
	v_pk_add_f32 v[42:43], v[42:43], 0 op_sel_hi:[1,0]
	s_and_saveexec_b32 s55, s15
	s_cbranch_execz .LBB152_864
; %bb.863:                              ;   in Loop: Header=BB152_3 Depth=1
	ds_load_b64 v[44:45], v61 offset:27568
	ds_load_b64 v[46:47], v3 offset:27048
	s_wait_dscnt 0x0
	v_pk_mul_f32 v[48:49], v[46:47], v[44:45] op_sel:[1,1] op_sel_hi:[0,1]
	s_delay_alu instid0(VALU_DEP_1) | instskip(SKIP_1) | instid1(VALU_DEP_2)
	v_pk_fma_f32 v[100:101], v[46:47], v[44:45], v[48:49] op_sel_hi:[1,0,1]
	v_pk_fma_f32 v[44:45], v[46:47], v[44:45], v[48:49] neg_lo:[0,0,1] neg_hi:[0,0,1]
	v_mov_b32_e32 v45, v101
	s_delay_alu instid0(VALU_DEP_1)
	v_pk_add_f32 v[42:43], v[42:43], v[44:45]
.LBB152_864:                            ;   in Loop: Header=BB152_3 Depth=1
	s_or_b32 exec_lo, exec_lo, s55
	s_delay_alu instid0(VALU_DEP_1)
	v_pk_add_f32 v[42:43], v[42:43], 0 neg_lo:[1,1] neg_hi:[1,1]
.LBB152_865:                            ;   in Loop: Header=BB152_3 Depth=1
	s_or_b32 exec_lo, exec_lo, s13
	s_and_saveexec_b32 s13, s91
; %bb.866:                              ;   in Loop: Header=BB152_3 Depth=1
	ds_store_b64 v5, v[42:43]
; %bb.867:                              ;   in Loop: Header=BB152_3 Depth=1
	s_or_b32 exec_lo, exec_lo, s13
	s_wait_dscnt 0x0
	s_barrier_signal -1
	s_barrier_wait -1
	s_and_saveexec_b32 s13, s92
	s_cbranch_execz .LBB152_869
; %bb.868:                              ;   in Loop: Header=BB152_3 Depth=1
	ds_load_b64 v[44:45], v3 offset:28088
	ds_load_b64 v[46:47], v5
	s_wait_dscnt 0x0
	v_pk_mul_f32 v[48:49], v[46:47], v[44:45] op_sel:[1,1] op_sel_hi:[0,1]
	s_delay_alu instid0(VALU_DEP_1) | instskip(SKIP_1) | instid1(VALU_DEP_2)
	v_pk_fma_f32 v[100:101], v[46:47], v[44:45], v[48:49] op_sel_hi:[1,0,1]
	v_pk_fma_f32 v[44:45], v[46:47], v[44:45], v[48:49] neg_lo:[0,0,1] neg_hi:[0,0,1]
	v_mov_b32_e32 v45, v101
	s_delay_alu instid0(VALU_DEP_1)
	v_pk_add_f32 v[42:43], v[42:43], v[44:45]
.LBB152_869:                            ;   in Loop: Header=BB152_3 Depth=1
	s_or_b32 exec_lo, exec_lo, s13
	s_barrier_signal -1
	s_barrier_wait -1
	s_and_saveexec_b32 s13, s92
; %bb.870:                              ;   in Loop: Header=BB152_3 Depth=1
	ds_store_b64 v5, v[42:43]
; %bb.871:                              ;   in Loop: Header=BB152_3 Depth=1
	s_or_b32 exec_lo, exec_lo, s13
	s_wait_dscnt 0x0
	s_barrier_signal -1
	s_barrier_wait -1
	s_barrier_signal -1
	s_barrier_wait -1
	s_and_saveexec_b32 s13, s1
; %bb.872:                              ;   in Loop: Header=BB152_3 Depth=1
	v_pk_add_f32 v[42:43], v[42:43], 0 neg_lo:[1,1] neg_hi:[1,1]
	ds_store_b64 v50, v[42:43] offset:27056
; %bb.873:                              ;   in Loop: Header=BB152_3 Depth=1
	s_or_b32 exec_lo, exec_lo, s13
	s_wait_dscnt 0x0
	s_barrier_signal -1
	s_barrier_wait -1
	s_barrier_signal -1
	s_barrier_wait -1
	s_and_saveexec_b32 s13, s93
	s_cbranch_execz .LBB152_875
; %bb.874:                              ;   in Loop: Header=BB152_3 Depth=1
	ds_load_b64 v[42:43], v64 offset:27056
	s_wait_dscnt 0x0
	ds_store_b64 v61, v[42:43] offset:28064
	ds_load_b64 v[42:43], v64 offset:27064
	s_wait_dscnt 0x0
	ds_store_b64 v61, v[42:43] offset:28576
.LBB152_875:                            ;   in Loop: Header=BB152_3 Depth=1
	s_or_b32 exec_lo, exec_lo, s13
	s_wait_dscnt 0x0
	s_barrier_signal -1
	s_barrier_wait -1
	s_and_saveexec_b32 s13, s11
	s_cbranch_execz .LBB152_877
; %bb.876:                              ;   in Loop: Header=BB152_3 Depth=1
	ds_load_b64 v[42:43], v3 offset:28088
	v_add_nc_u32_e64 v44, 0x1b0, 0
	ds_store_b64 v3, v[34:35] offset:28600
	s_wait_dscnt 0x1
	ds_store_2addr_stride64_b64 v44, v[34:35], v[42:43] offset0:54 offset1:55
.LBB152_877:                            ;   in Loop: Header=BB152_3 Depth=1
	s_or_b32 exec_lo, exec_lo, s13
	v_mov_b64_e32 v[42:43], 0
	s_wait_dscnt 0x0
	s_barrier_signal -1
	s_barrier_wait -1
	s_and_saveexec_b32 s13, s4
	s_cbranch_execz .LBB152_887
; %bb.878:                              ;   in Loop: Header=BB152_3 Depth=1
	ds_load_b64 v[42:43], v66 offset:25024
	ds_load_b64 v[44:45], v62 offset:24960
	s_wait_dscnt 0x0
	v_dual_mul_f32 v46, v45, v43 :: v_dual_mul_f32 v43, v44, v43
	s_delay_alu instid0(VALU_DEP_1) | instskip(NEXT) | instid1(VALU_DEP_1)
	v_dual_fma_f32 v44, v44, v42, -v46 :: v_dual_fmac_f32 v43, v45, v42
	v_dual_add_f32 v42, 0, v44 :: v_dual_add_f32 v43, 0, v43
	s_and_saveexec_b32 s55, s18
	s_cbranch_execnz .LBB152_1104
; %bb.879:                              ;   in Loop: Header=BB152_3 Depth=1
	s_or_b32 exec_lo, exec_lo, s55
	s_and_saveexec_b32 s55, s19
	s_cbranch_execnz .LBB152_1105
.LBB152_880:                            ;   in Loop: Header=BB152_3 Depth=1
	s_or_b32 exec_lo, exec_lo, s55
	s_and_saveexec_b32 s55, s20
	s_cbranch_execnz .LBB152_1106
.LBB152_881:                            ;   in Loop: Header=BB152_3 Depth=1
	s_or_b32 exec_lo, exec_lo, s55
	s_and_saveexec_b32 s55, s21
	s_cbranch_execnz .LBB152_1107
.LBB152_882:                            ;   in Loop: Header=BB152_3 Depth=1
	s_or_b32 exec_lo, exec_lo, s55
	s_and_saveexec_b32 s55, s22
	s_cbranch_execnz .LBB152_1108
.LBB152_883:                            ;   in Loop: Header=BB152_3 Depth=1
	s_or_b32 exec_lo, exec_lo, s55
	s_and_saveexec_b32 s55, s3
	s_cbranch_execnz .LBB152_1109
.LBB152_884:                            ;   in Loop: Header=BB152_3 Depth=1
	s_or_b32 exec_lo, exec_lo, s55
	s_and_saveexec_b32 s55, s17
	s_cbranch_execz .LBB152_886
.LBB152_885:                            ;   in Loop: Header=BB152_3 Depth=1
	ds_load_b64 v[44:45], v52 offset:28608
	ds_load_b64 v[46:47], v3 offset:25016
	s_wait_dscnt 0x0
	v_pk_mul_f32 v[48:49], v[46:47], v[44:45] op_sel:[1,1] op_sel_hi:[0,1]
	s_delay_alu instid0(VALU_DEP_1) | instskip(SKIP_1) | instid1(VALU_DEP_2)
	v_pk_fma_f32 v[100:101], v[46:47], v[44:45], v[48:49] op_sel_hi:[1,0,1]
	v_pk_fma_f32 v[44:45], v[46:47], v[44:45], v[48:49] neg_lo:[0,0,1] neg_hi:[0,0,1]
	v_mov_b32_e32 v45, v101
	s_delay_alu instid0(VALU_DEP_1)
	v_pk_add_f32 v[42:43], v[42:43], v[44:45]
.LBB152_886:                            ;   in Loop: Header=BB152_3 Depth=1
	s_or_b32 exec_lo, exec_lo, s55
	s_delay_alu instid0(VALU_DEP_1)
	v_pk_add_f32 v[42:43], v[42:43], 0 neg_lo:[1,1] neg_hi:[1,1]
.LBB152_887:                            ;   in Loop: Header=BB152_3 Depth=1
	s_or_b32 exec_lo, exec_lo, s13
	s_and_saveexec_b32 s13, s101
; %bb.888:                              ;   in Loop: Header=BB152_3 Depth=1
	ds_store_b64 v65, v[42:43]
; %bb.889:                              ;   in Loop: Header=BB152_3 Depth=1
	s_or_b32 exec_lo, exec_lo, s13
	s_wait_dscnt 0x0
	s_barrier_signal -1
	s_barrier_wait -1
	s_and_saveexec_b32 s13, s102
	s_cbranch_execz .LBB152_891
; %bb.890:                              ;   in Loop: Header=BB152_3 Depth=1
	ds_load_b64 v[44:45], v63 offset:29120
	ds_load_b64 v[46:47], v65
	s_wait_dscnt 0x0
	v_pk_mul_f32 v[48:49], v[46:47], v[44:45] op_sel:[1,1] op_sel_hi:[0,1]
	s_delay_alu instid0(VALU_DEP_1) | instskip(SKIP_1) | instid1(VALU_DEP_2)
	v_pk_fma_f32 v[100:101], v[46:47], v[44:45], v[48:49] op_sel_hi:[1,0,1]
	v_pk_fma_f32 v[44:45], v[46:47], v[44:45], v[48:49] neg_lo:[0,0,1] neg_hi:[0,0,1]
	v_mov_b32_e32 v45, v101
	s_delay_alu instid0(VALU_DEP_1)
	v_pk_add_f32 v[42:43], v[42:43], v[44:45]
.LBB152_891:                            ;   in Loop: Header=BB152_3 Depth=1
	s_or_b32 exec_lo, exec_lo, s13
	s_barrier_signal -1
	s_barrier_wait -1
	s_and_saveexec_b32 s13, s103
; %bb.892:                              ;   in Loop: Header=BB152_3 Depth=1
	ds_store_b64 v65, v[42:43]
; %bb.893:                              ;   in Loop: Header=BB152_3 Depth=1
	s_or_b32 exec_lo, exec_lo, s13
	s_wait_dscnt 0x0
	s_barrier_signal -1
	s_barrier_wait -1
	s_and_saveexec_b32 s13, s104
	s_cbranch_execz .LBB152_895
; %bb.894:                              ;   in Loop: Header=BB152_3 Depth=1
	ds_load_b64 v[44:45], v63 offset:29632
	ds_load_b64 v[46:47], v65
	s_wait_dscnt 0x0
	v_dual_mul_f32 v48, v47, v45 :: v_dual_mul_f32 v45, v46, v45
	s_delay_alu instid0(VALU_DEP_1) | instskip(NEXT) | instid1(VALU_DEP_1)
	v_dual_fma_f32 v46, v46, v44, -v48 :: v_dual_fmac_f32 v45, v47, v44
	v_dual_add_f32 v42, v42, v46 :: v_dual_add_f32 v43, v43, v45
.LBB152_895:                            ;   in Loop: Header=BB152_3 Depth=1
	s_or_b32 exec_lo, exec_lo, s13
	s_barrier_signal -1
	s_barrier_wait -1
	s_and_saveexec_b32 s13, vcc_hi
; %bb.896:                              ;   in Loop: Header=BB152_3 Depth=1
	ds_store_b64 v65, v[42:43]
; %bb.897:                              ;   in Loop: Header=BB152_3 Depth=1
	s_or_b32 exec_lo, exec_lo, s13
	s_wait_dscnt 0x0
	s_barrier_signal -1
	s_barrier_wait -1
	s_and_saveexec_b32 s13, s38
	s_cbranch_execz .LBB152_899
; %bb.898:                              ;   in Loop: Header=BB152_3 Depth=1
	ds_load_b64 v[44:45], v63 offset:30144
	ds_load_b64 v[46:47], v65
	s_wait_dscnt 0x0
	v_dual_mul_f32 v48, v47, v45 :: v_dual_mul_f32 v49, v46, v45
	s_delay_alu instid0(VALU_DEP_1) | instskip(NEXT) | instid1(VALU_DEP_1)
	v_dual_fma_f32 v48, v46, v44, -v48 :: v_dual_fmac_f32 v49, v47, v44
	v_pk_add_f32 v[42:43], v[42:43], v[48:49]
.LBB152_899:                            ;   in Loop: Header=BB152_3 Depth=1
	s_or_b32 exec_lo, exec_lo, s13
	s_barrier_signal -1
	s_barrier_wait -1
	s_and_saveexec_b32 s13, s39
; %bb.900:                              ;   in Loop: Header=BB152_3 Depth=1
	ds_store_b64 v65, v[42:43]
; %bb.901:                              ;   in Loop: Header=BB152_3 Depth=1
	s_or_b32 exec_lo, exec_lo, s13
	s_wait_dscnt 0x0
	s_barrier_signal -1
	s_barrier_wait -1
	s_and_saveexec_b32 s13, s41
	s_cbranch_execz .LBB152_903
; %bb.902:                              ;   in Loop: Header=BB152_3 Depth=1
	ds_load_b64 v[44:45], v63 offset:30656
	ds_load_b64 v[46:47], v65
	s_wait_dscnt 0x0
	v_pk_mul_f32 v[48:49], v[46:47], v[44:45] op_sel:[1,1] op_sel_hi:[0,1]
	s_delay_alu instid0(VALU_DEP_1) | instskip(SKIP_1) | instid1(VALU_DEP_2)
	v_pk_fma_f32 v[100:101], v[46:47], v[44:45], v[48:49] op_sel_hi:[1,0,1]
	v_pk_fma_f32 v[44:45], v[46:47], v[44:45], v[48:49] neg_lo:[0,0,1] neg_hi:[0,0,1]
	v_mov_b32_e32 v45, v101
	s_delay_alu instid0(VALU_DEP_1)
	v_pk_add_f32 v[42:43], v[42:43], v[44:45]
.LBB152_903:                            ;   in Loop: Header=BB152_3 Depth=1
	s_or_b32 exec_lo, exec_lo, s13
	s_barrier_signal -1
	s_barrier_wait -1
	s_and_saveexec_b32 s13, s42
; %bb.904:                              ;   in Loop: Header=BB152_3 Depth=1
	ds_store_b64 v65, v[42:43]
; %bb.905:                              ;   in Loop: Header=BB152_3 Depth=1
	s_or_b32 exec_lo, exec_lo, s13
	s_wait_dscnt 0x0
	s_barrier_signal -1
	s_barrier_wait -1
	s_and_saveexec_b32 s13, s43
	s_cbranch_execz .LBB152_907
; %bb.906:                              ;   in Loop: Header=BB152_3 Depth=1
	ds_load_b64 v[44:45], v63 offset:31168
	ds_load_b64 v[46:47], v65
	s_wait_dscnt 0x0
	v_pk_mul_f32 v[48:49], v[46:47], v[44:45] op_sel:[1,1] op_sel_hi:[0,1]
	s_delay_alu instid0(VALU_DEP_1) | instskip(SKIP_1) | instid1(VALU_DEP_2)
	v_pk_fma_f32 v[100:101], v[46:47], v[44:45], v[48:49] op_sel_hi:[1,0,1]
	v_pk_fma_f32 v[44:45], v[46:47], v[44:45], v[48:49] neg_lo:[0,0,1] neg_hi:[0,0,1]
	v_mov_b32_e32 v45, v101
	s_delay_alu instid0(VALU_DEP_1)
	v_pk_add_f32 v[42:43], v[42:43], v[44:45]
.LBB152_907:                            ;   in Loop: Header=BB152_3 Depth=1
	;; [unrolled: 25-line block ×4, first 2 shown]
	s_or_b32 exec_lo, exec_lo, s13
	s_barrier_signal -1
	s_barrier_wait -1
	s_and_saveexec_b32 s13, s47
; %bb.916:                              ;   in Loop: Header=BB152_3 Depth=1
	ds_store_b64 v65, v[42:43]
; %bb.917:                              ;   in Loop: Header=BB152_3 Depth=1
	s_or_b32 exec_lo, exec_lo, s13
	s_wait_dscnt 0x0
	s_barrier_signal -1
	s_barrier_wait -1
	s_barrier_signal -1
	s_barrier_wait -1
	s_and_saveexec_b32 s13, s4
; %bb.918:                              ;   in Loop: Header=BB152_3 Depth=1
	v_pk_add_f32 v[42:43], v[42:43], 0 neg_lo:[1,1] neg_hi:[1,1]
	ds_store_b64 v66, v[42:43] offset:25024
; %bb.919:                              ;   in Loop: Header=BB152_3 Depth=1
	s_or_b32 exec_lo, exec_lo, s13
	s_wait_dscnt 0x0
	s_barrier_signal -1
	s_barrier_wait -1
	s_barrier_signal -1
	s_barrier_wait -1
	s_and_saveexec_b32 s13, s48
	s_cbranch_execz .LBB152_921
; %bb.920:                              ;   in Loop: Header=BB152_3 Depth=1
	ds_load_b64 v[42:43], v55 offset:25024
	s_wait_dscnt 0x0
	ds_store_b64 v59, v[42:43] offset:29056
	ds_load_b64 v[42:43], v55 offset:25032
	s_wait_dscnt 0x0
	ds_store_b64 v59, v[42:43] offset:29568
	;; [unrolled: 3-line block ×8, first 2 shown]
.LBB152_921:                            ;   in Loop: Header=BB152_3 Depth=1
	s_or_b32 exec_lo, exec_lo, s13
	s_wait_dscnt 0x0
	s_barrier_signal -1
	s_barrier_wait -1
	s_and_saveexec_b32 s13, s11
	s_cbranch_execz .LBB152_923
; %bb.922:                              ;   in Loop: Header=BB152_3 Depth=1
	ds_load_b64 v[42:43], v3 offset:29128
	v_add_nc_u32_e64 v44, 0x1c0, 0
	ds_store_b64 v3, v[34:35] offset:29640
	s_wait_dscnt 0x1
	ds_store_2addr_stride64_b64 v44, v[34:35], v[42:43] offset0:56 offset1:57
.LBB152_923:                            ;   in Loop: Header=BB152_3 Depth=1
	s_or_b32 exec_lo, exec_lo, s13
	v_mov_b64_e32 v[42:43], 0
	s_wait_dscnt 0x0
	s_barrier_signal -1
	s_barrier_wait -1
	s_and_saveexec_b32 s13, s1
	s_cbranch_execz .LBB152_927
; %bb.924:                              ;   in Loop: Header=BB152_3 Depth=1
	ds_load_b64 v[42:43], v50 offset:29136
	ds_load_b64 v[44:45], v51 offset:29120
	s_wait_dscnt 0x0
	v_pk_mul_f32 v[46:47], v[44:45], v[42:43] op_sel:[1,1] op_sel_hi:[0,1]
	s_delay_alu instid0(VALU_DEP_1) | instskip(SKIP_1) | instid1(VALU_DEP_2)
	v_pk_fma_f32 v[48:49], v[44:45], v[42:43], v[46:47] op_sel_hi:[1,0,1]
	v_pk_fma_f32 v[42:43], v[44:45], v[42:43], v[46:47] neg_lo:[0,0,1] neg_hi:[0,0,1]
	v_mov_b32_e32 v43, v49
	s_delay_alu instid0(VALU_DEP_1)
	v_pk_add_f32 v[42:43], v[42:43], 0 op_sel_hi:[1,0]
	s_and_saveexec_b32 s55, s15
	s_cbranch_execz .LBB152_926
; %bb.925:                              ;   in Loop: Header=BB152_3 Depth=1
	ds_load_b64 v[44:45], v59 offset:29648
	ds_load_b64 v[46:47], v3 offset:29128
	s_wait_dscnt 0x0
	v_pk_mul_f32 v[48:49], v[46:47], v[44:45] op_sel:[1,1] op_sel_hi:[0,1]
	s_delay_alu instid0(VALU_DEP_1) | instskip(SKIP_1) | instid1(VALU_DEP_2)
	v_pk_fma_f32 v[100:101], v[46:47], v[44:45], v[48:49] op_sel_hi:[1,0,1]
	v_pk_fma_f32 v[44:45], v[46:47], v[44:45], v[48:49] neg_lo:[0,0,1] neg_hi:[0,0,1]
	v_mov_b32_e32 v45, v101
	s_delay_alu instid0(VALU_DEP_1)
	v_pk_add_f32 v[42:43], v[42:43], v[44:45]
.LBB152_926:                            ;   in Loop: Header=BB152_3 Depth=1
	s_or_b32 exec_lo, exec_lo, s55
	s_delay_alu instid0(VALU_DEP_1)
	v_pk_add_f32 v[42:43], v[42:43], 0 neg_lo:[1,1] neg_hi:[1,1]
.LBB152_927:                            ;   in Loop: Header=BB152_3 Depth=1
	s_or_b32 exec_lo, exec_lo, s13
	s_and_saveexec_b32 s13, s91
; %bb.928:                              ;   in Loop: Header=BB152_3 Depth=1
	ds_store_b64 v5, v[42:43]
; %bb.929:                              ;   in Loop: Header=BB152_3 Depth=1
	s_or_b32 exec_lo, exec_lo, s13
	s_wait_dscnt 0x0
	s_barrier_signal -1
	s_barrier_wait -1
	s_and_saveexec_b32 s13, s92
	s_cbranch_execz .LBB152_931
; %bb.930:                              ;   in Loop: Header=BB152_3 Depth=1
	ds_load_b64 v[44:45], v3 offset:30168
	ds_load_b64 v[46:47], v5
	s_wait_dscnt 0x0
	v_pk_mul_f32 v[48:49], v[46:47], v[44:45] op_sel:[1,1] op_sel_hi:[0,1]
	s_delay_alu instid0(VALU_DEP_1) | instskip(SKIP_1) | instid1(VALU_DEP_2)
	v_pk_fma_f32 v[100:101], v[46:47], v[44:45], v[48:49] op_sel_hi:[1,0,1]
	v_pk_fma_f32 v[44:45], v[46:47], v[44:45], v[48:49] neg_lo:[0,0,1] neg_hi:[0,0,1]
	v_mov_b32_e32 v45, v101
	s_delay_alu instid0(VALU_DEP_1)
	v_pk_add_f32 v[42:43], v[42:43], v[44:45]
.LBB152_931:                            ;   in Loop: Header=BB152_3 Depth=1
	s_or_b32 exec_lo, exec_lo, s13
	s_barrier_signal -1
	s_barrier_wait -1
	s_and_saveexec_b32 s13, s92
; %bb.932:                              ;   in Loop: Header=BB152_3 Depth=1
	ds_store_b64 v5, v[42:43]
; %bb.933:                              ;   in Loop: Header=BB152_3 Depth=1
	s_or_b32 exec_lo, exec_lo, s13
	s_wait_dscnt 0x0
	s_barrier_signal -1
	s_barrier_wait -1
	s_barrier_signal -1
	s_barrier_wait -1
	s_and_saveexec_b32 s13, s1
; %bb.934:                              ;   in Loop: Header=BB152_3 Depth=1
	v_pk_add_f32 v[42:43], v[42:43], 0 neg_lo:[1,1] neg_hi:[1,1]
	ds_store_b64 v50, v[42:43] offset:29136
; %bb.935:                              ;   in Loop: Header=BB152_3 Depth=1
	s_or_b32 exec_lo, exec_lo, s13
	s_wait_dscnt 0x0
	s_barrier_signal -1
	s_barrier_wait -1
	s_barrier_signal -1
	s_barrier_wait -1
	s_and_saveexec_b32 s13, s93
	s_cbranch_execz .LBB152_937
; %bb.936:                              ;   in Loop: Header=BB152_3 Depth=1
	ds_load_b64 v[42:43], v60 offset:29136
	s_wait_dscnt 0x0
	ds_store_b64 v59, v[42:43] offset:30144
	ds_load_b64 v[42:43], v60 offset:29144
	s_wait_dscnt 0x0
	ds_store_b64 v59, v[42:43] offset:30656
.LBB152_937:                            ;   in Loop: Header=BB152_3 Depth=1
	s_or_b32 exec_lo, exec_lo, s13
	s_wait_dscnt 0x0
	s_barrier_signal -1
	s_barrier_wait -1
	s_and_saveexec_b32 s13, s11
	s_cbranch_execz .LBB152_939
; %bb.938:                              ;   in Loop: Header=BB152_3 Depth=1
	ds_load_b64 v[42:43], v3 offset:30168
	v_add_nc_u32_e64 v44, 0x1d0, 0
	ds_store_b64 v3, v[34:35] offset:30680
	s_wait_dscnt 0x1
	ds_store_2addr_stride64_b64 v44, v[34:35], v[42:43] offset0:58 offset1:59
.LBB152_939:                            ;   in Loop: Header=BB152_3 Depth=1
	s_or_b32 exec_lo, exec_lo, s13
	v_mov_b64_e32 v[42:43], 0
	s_wait_dscnt 0x0
	s_barrier_signal -1
	s_barrier_wait -1
	s_and_saveexec_b32 s13, s3
	s_cbranch_execz .LBB152_945
; %bb.940:                              ;   in Loop: Header=BB152_3 Depth=1
	ds_load_b64 v[42:43], v57 offset:29152
	ds_load_b64 v[44:45], v53 offset:29120
	s_wait_dscnt 0x0
	v_dual_mul_f32 v46, v45, v43 :: v_dual_mul_f32 v43, v44, v43
	s_delay_alu instid0(VALU_DEP_1) | instskip(NEXT) | instid1(VALU_DEP_1)
	v_dual_fma_f32 v44, v44, v42, -v46 :: v_dual_fmac_f32 v43, v45, v42
	v_dual_add_f32 v42, 0, v44 :: v_dual_add_f32 v43, 0, v43
	s_and_saveexec_b32 s55, s16
	s_cbranch_execnz .LBB152_1110
; %bb.941:                              ;   in Loop: Header=BB152_3 Depth=1
	s_or_b32 exec_lo, exec_lo, s55
	s_and_saveexec_b32 s55, s17
	s_cbranch_execnz .LBB152_1111
.LBB152_942:                            ;   in Loop: Header=BB152_3 Depth=1
	s_or_b32 exec_lo, exec_lo, s55
	s_and_saveexec_b32 s55, s1
	s_cbranch_execz .LBB152_944
.LBB152_943:                            ;   in Loop: Header=BB152_3 Depth=1
	ds_load_b64 v[44:45], v61 offset:30688
	ds_load_b64 v[46:47], v3 offset:29144
	s_wait_dscnt 0x0
	v_dual_mul_f32 v48, v47, v45 :: v_dual_mul_f32 v49, v46, v45
	s_delay_alu instid0(VALU_DEP_1) | instskip(NEXT) | instid1(VALU_DEP_1)
	v_dual_fma_f32 v48, v46, v44, -v48 :: v_dual_fmac_f32 v49, v47, v44
	v_pk_add_f32 v[42:43], v[42:43], v[48:49]
.LBB152_944:                            ;   in Loop: Header=BB152_3 Depth=1
	s_or_b32 exec_lo, exec_lo, s55
	s_delay_alu instid0(VALU_DEP_1)
	v_pk_add_f32 v[42:43], v[42:43], 0 neg_lo:[1,1] neg_hi:[1,1]
.LBB152_945:                            ;   in Loop: Header=BB152_3 Depth=1
	s_or_b32 exec_lo, exec_lo, s13
	s_and_saveexec_b32 s13, s94
; %bb.946:                              ;   in Loop: Header=BB152_3 Depth=1
	ds_store_b64 v56, v[42:43]
; %bb.947:                              ;   in Loop: Header=BB152_3 Depth=1
	s_or_b32 exec_lo, exec_lo, s13
	s_wait_dscnt 0x0
	s_barrier_signal -1
	s_barrier_wait -1
	s_and_saveexec_b32 s13, s95
	s_cbranch_execz .LBB152_949
; %bb.948:                              ;   in Loop: Header=BB152_3 Depth=1
	ds_load_b64 v[44:45], v54 offset:31200
	ds_load_b64 v[46:47], v56
	s_wait_dscnt 0x0
	v_pk_mul_f32 v[48:49], v[46:47], v[44:45] op_sel:[1,1] op_sel_hi:[0,1]
	s_delay_alu instid0(VALU_DEP_1) | instskip(SKIP_1) | instid1(VALU_DEP_2)
	v_pk_fma_f32 v[100:101], v[46:47], v[44:45], v[48:49] op_sel_hi:[1,0,1]
	v_pk_fma_f32 v[44:45], v[46:47], v[44:45], v[48:49] neg_lo:[0,0,1] neg_hi:[0,0,1]
	v_mov_b32_e32 v45, v101
	s_delay_alu instid0(VALU_DEP_1)
	v_pk_add_f32 v[42:43], v[42:43], v[44:45]
.LBB152_949:                            ;   in Loop: Header=BB152_3 Depth=1
	s_or_b32 exec_lo, exec_lo, s13
	s_barrier_signal -1
	s_barrier_wait -1
	s_and_saveexec_b32 s13, s96
; %bb.950:                              ;   in Loop: Header=BB152_3 Depth=1
	ds_store_b64 v56, v[42:43]
; %bb.951:                              ;   in Loop: Header=BB152_3 Depth=1
	s_or_b32 exec_lo, exec_lo, s13
	s_wait_dscnt 0x0
	s_barrier_signal -1
	s_barrier_wait -1
	s_and_saveexec_b32 s13, s97
	s_cbranch_execz .LBB152_953
; %bb.952:                              ;   in Loop: Header=BB152_3 Depth=1
	ds_load_b64 v[44:45], v54 offset:31712
	ds_load_b64 v[46:47], v56
	s_wait_dscnt 0x0
	v_pk_mul_f32 v[48:49], v[46:47], v[44:45] op_sel:[1,1] op_sel_hi:[0,1]
	s_delay_alu instid0(VALU_DEP_1) | instskip(SKIP_1) | instid1(VALU_DEP_2)
	v_pk_fma_f32 v[100:101], v[46:47], v[44:45], v[48:49] op_sel_hi:[1,0,1]
	v_pk_fma_f32 v[44:45], v[46:47], v[44:45], v[48:49] neg_lo:[0,0,1] neg_hi:[0,0,1]
	v_mov_b32_e32 v45, v101
	s_delay_alu instid0(VALU_DEP_1)
	v_pk_add_f32 v[42:43], v[42:43], v[44:45]
.LBB152_953:                            ;   in Loop: Header=BB152_3 Depth=1
	s_or_b32 exec_lo, exec_lo, s13
	s_barrier_signal -1
	s_barrier_wait -1
	;; [unrolled: 25-line block ×3, first 2 shown]
	s_and_saveexec_b32 s13, s99
; %bb.958:                              ;   in Loop: Header=BB152_3 Depth=1
	ds_store_b64 v56, v[42:43]
; %bb.959:                              ;   in Loop: Header=BB152_3 Depth=1
	s_or_b32 exec_lo, exec_lo, s13
	s_wait_dscnt 0x0
	s_barrier_signal -1
	s_barrier_wait -1
	s_barrier_signal -1
	s_barrier_wait -1
	s_and_saveexec_b32 s13, s3
; %bb.960:                              ;   in Loop: Header=BB152_3 Depth=1
	v_pk_add_f32 v[42:43], v[42:43], 0 neg_lo:[1,1] neg_hi:[1,1]
	ds_store_b64 v57, v[42:43] offset:29152
; %bb.961:                              ;   in Loop: Header=BB152_3 Depth=1
	s_or_b32 exec_lo, exec_lo, s13
	s_wait_dscnt 0x0
	s_barrier_signal -1
	s_barrier_wait -1
	s_barrier_signal -1
	s_barrier_wait -1
	s_and_saveexec_b32 s13, s100
	s_cbranch_execz .LBB152_963
; %bb.962:                              ;   in Loop: Header=BB152_3 Depth=1
	ds_load_b64 v[42:43], v64 offset:29152
	s_wait_dscnt 0x0
	ds_store_b64 v68, v[42:43] offset:31168
	ds_load_b64 v[42:43], v64 offset:29160
	s_wait_dscnt 0x0
	ds_store_b64 v68, v[42:43] offset:31680
	;; [unrolled: 3-line block ×4, first 2 shown]
.LBB152_963:                            ;   in Loop: Header=BB152_3 Depth=1
	s_or_b32 exec_lo, exec_lo, s13
	s_wait_dscnt 0x0
	s_barrier_signal -1
	s_barrier_wait -1
	s_and_saveexec_b32 s13, s11
	s_cbranch_execz .LBB152_965
; %bb.964:                              ;   in Loop: Header=BB152_3 Depth=1
	ds_load_b64 v[42:43], v3 offset:31208
	v_add_nc_u32_e64 v44, 0x1e0, 0
	ds_store_b64 v3, v[34:35] offset:31720
	s_wait_dscnt 0x1
	ds_store_2addr_stride64_b64 v44, v[34:35], v[42:43] offset0:60 offset1:61
.LBB152_965:                            ;   in Loop: Header=BB152_3 Depth=1
	s_or_b32 exec_lo, exec_lo, s13
	v_mov_b64_e32 v[42:43], 0
	s_wait_dscnt 0x0
	s_barrier_signal -1
	s_barrier_wait -1
	s_and_saveexec_b32 s13, s1
	s_cbranch_execz .LBB152_969
; %bb.966:                              ;   in Loop: Header=BB152_3 Depth=1
	ds_load_b64 v[42:43], v50 offset:31216
	ds_load_b64 v[44:45], v51 offset:31200
	s_wait_dscnt 0x0
	v_pk_mul_f32 v[46:47], v[44:45], v[42:43] op_sel:[1,1] op_sel_hi:[0,1]
	s_delay_alu instid0(VALU_DEP_1) | instskip(SKIP_1) | instid1(VALU_DEP_2)
	v_pk_fma_f32 v[48:49], v[44:45], v[42:43], v[46:47] op_sel_hi:[1,0,1]
	v_pk_fma_f32 v[42:43], v[44:45], v[42:43], v[46:47] neg_lo:[0,0,1] neg_hi:[0,0,1]
	v_mov_b32_e32 v43, v49
	s_delay_alu instid0(VALU_DEP_1)
	v_pk_add_f32 v[42:43], v[42:43], 0 op_sel_hi:[1,0]
	s_and_saveexec_b32 s55, s15
	s_cbranch_execz .LBB152_968
; %bb.967:                              ;   in Loop: Header=BB152_3 Depth=1
	ds_load_b64 v[44:45], v68 offset:31728
	ds_load_b64 v[46:47], v3 offset:31208
	s_wait_dscnt 0x0
	v_pk_mul_f32 v[48:49], v[46:47], v[44:45] op_sel:[1,1] op_sel_hi:[0,1]
	s_delay_alu instid0(VALU_DEP_1) | instskip(SKIP_1) | instid1(VALU_DEP_2)
	v_pk_fma_f32 v[100:101], v[46:47], v[44:45], v[48:49] op_sel_hi:[1,0,1]
	v_pk_fma_f32 v[44:45], v[46:47], v[44:45], v[48:49] neg_lo:[0,0,1] neg_hi:[0,0,1]
	v_mov_b32_e32 v45, v101
	s_delay_alu instid0(VALU_DEP_1)
	v_pk_add_f32 v[42:43], v[42:43], v[44:45]
.LBB152_968:                            ;   in Loop: Header=BB152_3 Depth=1
	s_or_b32 exec_lo, exec_lo, s55
	s_delay_alu instid0(VALU_DEP_1)
	v_pk_add_f32 v[42:43], v[42:43], 0 neg_lo:[1,1] neg_hi:[1,1]
.LBB152_969:                            ;   in Loop: Header=BB152_3 Depth=1
	s_or_b32 exec_lo, exec_lo, s13
	s_and_saveexec_b32 s13, s91
; %bb.970:                              ;   in Loop: Header=BB152_3 Depth=1
	ds_store_b64 v5, v[42:43]
; %bb.971:                              ;   in Loop: Header=BB152_3 Depth=1
	s_or_b32 exec_lo, exec_lo, s13
	s_wait_dscnt 0x0
	s_barrier_signal -1
	s_barrier_wait -1
	s_and_saveexec_b32 s13, s92
	s_cbranch_execz .LBB152_973
; %bb.972:                              ;   in Loop: Header=BB152_3 Depth=1
	ds_load_b64 v[44:45], v3 offset:32248
	ds_load_b64 v[46:47], v5
	s_wait_dscnt 0x0
	v_pk_mul_f32 v[48:49], v[46:47], v[44:45] op_sel:[1,1] op_sel_hi:[0,1]
	s_delay_alu instid0(VALU_DEP_1) | instskip(SKIP_1) | instid1(VALU_DEP_2)
	v_pk_fma_f32 v[100:101], v[46:47], v[44:45], v[48:49] op_sel_hi:[1,0,1]
	v_pk_fma_f32 v[44:45], v[46:47], v[44:45], v[48:49] neg_lo:[0,0,1] neg_hi:[0,0,1]
	v_mov_b32_e32 v45, v101
	s_delay_alu instid0(VALU_DEP_1)
	v_pk_add_f32 v[42:43], v[42:43], v[44:45]
.LBB152_973:                            ;   in Loop: Header=BB152_3 Depth=1
	s_or_b32 exec_lo, exec_lo, s13
	s_barrier_signal -1
	s_barrier_wait -1
	s_and_saveexec_b32 s13, s92
; %bb.974:                              ;   in Loop: Header=BB152_3 Depth=1
	ds_store_b64 v5, v[42:43]
; %bb.975:                              ;   in Loop: Header=BB152_3 Depth=1
	s_or_b32 exec_lo, exec_lo, s13
	s_wait_dscnt 0x0
	s_barrier_signal -1
	s_barrier_wait -1
	s_barrier_signal -1
	s_barrier_wait -1
	s_and_saveexec_b32 s13, s1
; %bb.976:                              ;   in Loop: Header=BB152_3 Depth=1
	v_pk_add_f32 v[42:43], v[42:43], 0 neg_lo:[1,1] neg_hi:[1,1]
	ds_store_b64 v50, v[42:43] offset:31216
; %bb.977:                              ;   in Loop: Header=BB152_3 Depth=1
	s_or_b32 exec_lo, exec_lo, s13
	s_wait_dscnt 0x0
	s_barrier_signal -1
	s_barrier_wait -1
	s_barrier_signal -1
	s_barrier_wait -1
	s_and_saveexec_b32 s13, s93
	s_cbranch_execz .LBB152_979
; %bb.978:                              ;   in Loop: Header=BB152_3 Depth=1
	ds_load_b64 v[42:43], v69 offset:31216
	s_wait_dscnt 0x0
	ds_store_b64 v68, v[42:43] offset:32224
	ds_load_b64 v[42:43], v69 offset:31224
	s_wait_dscnt 0x0
	ds_store_b64 v68, v[42:43] offset:32736
.LBB152_979:                            ;   in Loop: Header=BB152_3 Depth=1
	s_or_b32 exec_lo, exec_lo, s13
	s_wait_dscnt 0x0
	s_barrier_signal -1
	s_barrier_wait -1
	s_and_saveexec_b32 s13, s11
	s_cbranch_execz .LBB152_981
; %bb.980:                              ;   in Loop: Header=BB152_3 Depth=1
	ds_load_b64 v[42:43], v3 offset:32248
	v_add_nc_u32_e64 v44, 0x1f0, 0
	ds_store_b64 v3, v[34:35] offset:32760
	s_wait_dscnt 0x1
	ds_store_2addr_stride64_b64 v44, v[34:35], v[42:43] offset0:62 offset1:63
.LBB152_981:                            ;   in Loop: Header=BB152_3 Depth=1
	s_or_b32 exec_lo, exec_lo, s13
.LBB152_982:                            ;   in Loop: Header=BB152_3 Depth=1
	v_add_nc_u64_e32 v[40:41], s[68:69], v[40:41]
	v_mov_b64_e32 v[42:43], 0
	s_wait_dscnt 0x0
	s_barrier_signal -1
	s_barrier_wait -1
	s_and_saveexec_b32 s13, s54
	s_cbranch_execz .LBB152_984
; %bb.983:                              ;   in Loop: Header=BB152_3 Depth=1
	v_lshl_add_u64 v[42:43], v[20:21], 3, v[40:41]
	flat_load_b64 v[42:43], v[42:43]
	s_wait_loadcnt_dscnt 0x0
	v_pk_mul_f32 v[44:45], v[38:39], v[42:43] op_sel:[1,0] neg_lo:[1,0]
	s_delay_alu instid0(VALU_DEP_1)
	v_pk_fma_f32 v[42:43], v[38:39], v[42:43], v[44:45] op_sel:[0,0,1] op_sel_hi:[0,1,0] neg_lo:[1,0,0] neg_hi:[1,0,0]
.LBB152_984:                            ;   in Loop: Header=BB152_3 Depth=1
	s_or_b32 exec_lo, exec_lo, s13
	s_delay_alu instid0(SALU_CYCLE_1)
	s_and_not1_b32 vcc_lo, exec_lo, s12
	s_cbranch_vccnz .LBB152_1003
; %bb.985:                              ;   in Loop: Header=BB152_3 Depth=1
	v_mov_b32_e32 v46, -1
	s_lshl_b64 s[84:85], s[76:77], 2
	s_mov_b32 s13, 0
	s_add_nc_u64 s[84:85], s[80:81], s[84:85]
	s_branch .LBB152_987
.LBB152_986:                            ;   in Loop: Header=BB152_987 Depth=2
	s_or_b32 exec_lo, exec_lo, s55
	s_add_co_i32 s13, s13, 1
	s_delay_alu instid0(SALU_CYCLE_1)
	s_cmp_eq_u32 s13, s86
	s_cbranch_scc1 .LBB152_1003
.LBB152_987:                            ;   Parent Loop BB152_3 Depth=1
                                        ; =>  This Loop Header: Depth=2
                                        ;       Child Loop BB152_989 Depth 3
	v_cmp_gt_i32_e32 vcc_lo, s13, v46
	s_and_b32 s56, s36, vcc_lo
	s_delay_alu instid0(SALU_CYCLE_1)
	s_and_saveexec_b32 s55, s56
	s_cbranch_execz .LBB152_990
; %bb.988:                              ;   in Loop: Header=BB152_987 Depth=2
	global_load_b32 v46, v3, s[84:85]
	s_wait_loadcnt 0x0
	v_cmp_le_i32_e32 vcc_lo, s13, v46
	s_cbranch_vccnz .LBB152_990
.LBB152_989:                            ;   Parent Loop BB152_3 Depth=1
                                        ;     Parent Loop BB152_987 Depth=2
                                        ; =>    This Inner Loop Header: Depth=3
	global_wb scope:SCOPE_DEV
	s_wait_storecnt 0x0
	global_inv scope:SCOPE_DEV
	global_load_b32 v46, v3, s[84:85]
	s_wait_loadcnt 0x0
	v_cmp_gt_i32_e32 vcc_lo, s13, v46
	s_cbranch_vccnz .LBB152_989
.LBB152_990:                            ;   in Loop: Header=BB152_987 Depth=2
	s_or_b32 exec_lo, exec_lo, s55
	s_sub_co_i32 s55, s87, s13
	global_wb scope:SCOPE_DEV
	s_wait_storecnt 0x0
	global_inv scope:SCOPE_DEV
	s_lshl_b32 s62, s55, 6
	s_wait_loadcnt 0x0
	s_barrier_signal -1
	s_barrier_wait -1
	s_and_saveexec_b32 s56, s37
	s_cbranch_execz .LBB152_995
; %bb.991:                              ;   in Loop: Header=BB152_987 Depth=2
	s_ashr_i32 vcc_lo, s62, 31
	s_delay_alu instid0(SALU_CYCLE_1) | instskip(NEXT) | instid1(VALU_DEP_1)
	v_dual_mov_b32 v39, vcc_lo :: v_dual_bitop2_b32 v38, s62, v8 bitop3:0x54
	v_cmp_le_i64_e32 vcc_lo, s[78:79], v[38:39]
	s_and_saveexec_b32 s57, vcc_lo
	s_delay_alu instid0(SALU_CYCLE_1)
	s_xor_b32 vcc_lo, exec_lo, s57
; %bb.992:                              ;   in Loop: Header=BB152_987 Depth=2
	ds_store_b64 v91, v[32:33]
                                        ; implicit-def: $vgpr38_vgpr39
; %bb.993:                              ;   in Loop: Header=BB152_987 Depth=2
	s_and_not1_saveexec_b32 s57, vcc_lo
	s_cbranch_execz .LBB152_995
; %bb.994:                              ;   in Loop: Header=BB152_987 Depth=2
	v_mul_u64_e32 v[38:39], s[70:71], v[38:39]
	s_delay_alu instid0(VALU_DEP_1)
	v_lshl_add_u64 v[38:39], v[38:39], 3, v[40:41]
	flat_load_b64 v[38:39], v[38:39]
	s_wait_loadcnt_dscnt 0x0
	ds_store_b64 v91, v[38:39]
.LBB152_995:                            ;   in Loop: Header=BB152_987 Depth=2
	s_or_b32 exec_lo, exec_lo, s56
	v_add_nc_u32_e32 v38, s62, v6
	s_cmp_eq_u32 s55, s10
	s_wait_dscnt 0x0
	s_cselect_b32 vcc_lo, -1, 0
	s_barrier_signal -1
	v_ashrrev_i32_e32 v39, 31, v38
	v_cmp_gt_i32_e64 s62, s78, v38
	s_barrier_wait -1
	s_delay_alu instid0(VALU_DEP_2) | instskip(SKIP_1) | instid1(SALU_CYCLE_1)
	v_lshl_add_u64 v[44:45], v[38:39], 3, v[36:37]
	s_and_b32 s56, s62, s0
	s_and_saveexec_b32 s55, s56
	s_cbranch_execz .LBB152_997
; %bb.996:                              ;   in Loop: Header=BB152_987 Depth=2
	s_delay_alu instid0(VALU_DEP_1) | instskip(SKIP_4) | instid1(VALU_DEP_1)
	v_dual_cndmask_b32 v49, v45, v25 :: v_dual_cndmask_b32 v48, v44, v24
	ds_load_b64 v[100:101], v86
	flat_load_b64 v[48:49], v[48:49]
	s_wait_loadcnt_dscnt 0x0
	v_dual_mul_f32 v39, v101, v49 :: v_dual_mul_f32 v47, v100, v49
	v_fmac_f32_e32 v47, v101, v48
	s_delay_alu instid0(VALU_DEP_1) | instskip(NEXT) | instid1(VALU_DEP_1)
	v_dual_fma_f32 v39, v100, v48, -v39 :: v_dual_add_f32 v43, v43, v47
	v_add_f32_e32 v42, v42, v39
.LBB152_997:                            ;   in Loop: Header=BB152_987 Depth=2
	s_or_b32 exec_lo, exec_lo, s55
	v_add_nc_u32_e32 v39, 16, v38
	s_delay_alu instid0(VALU_DEP_1) | instskip(SKIP_1) | instid1(SALU_CYCLE_1)
	v_cmp_gt_i32_e64 s62, s78, v39
	s_and_b32 s56, s62, s0
	s_and_saveexec_b32 s55, s56
	s_cbranch_execz .LBB152_999
; %bb.998:                              ;   in Loop: Header=BB152_987 Depth=2
	v_add_nc_u64_e32 v[48:49], 0x80, v[44:45]
	ds_load_b64 v[100:101], v86 offset:128
	v_dual_cndmask_b32 v49, v49, v27 :: v_dual_cndmask_b32 v48, v48, v26
	flat_load_b64 v[48:49], v[48:49]
	s_wait_loadcnt_dscnt 0x0
	v_dual_mul_f32 v39, v101, v49 :: v_dual_mul_f32 v47, v100, v49
	s_delay_alu instid0(VALU_DEP_1) | instskip(NEXT) | instid1(VALU_DEP_1)
	v_fmac_f32_e32 v47, v101, v48
	v_dual_fma_f32 v39, v100, v48, -v39 :: v_dual_add_f32 v43, v43, v47
	s_delay_alu instid0(VALU_DEP_1)
	v_add_f32_e32 v42, v42, v39
.LBB152_999:                            ;   in Loop: Header=BB152_987 Depth=2
	s_or_b32 exec_lo, exec_lo, s55
	v_add_nc_u32_e32 v39, 32, v38
	s_delay_alu instid0(VALU_DEP_1) | instskip(SKIP_1) | instid1(SALU_CYCLE_1)
	v_cmp_gt_i32_e64 s62, s78, v39
	s_and_b32 s56, s62, s0
	s_and_saveexec_b32 s55, s56
	s_cbranch_execz .LBB152_1001
; %bb.1000:                             ;   in Loop: Header=BB152_987 Depth=2
	v_add_nc_u64_e32 v[48:49], 0x100, v[44:45]
	ds_load_b64 v[100:101], v86 offset:256
	v_dual_cndmask_b32 v49, v49, v29 :: v_dual_cndmask_b32 v48, v48, v28
	flat_load_b64 v[48:49], v[48:49]
	s_wait_loadcnt_dscnt 0x0
	v_dual_mul_f32 v39, v101, v49 :: v_dual_mul_f32 v103, v100, v49
	s_delay_alu instid0(VALU_DEP_1) | instskip(NEXT) | instid1(VALU_DEP_2)
	v_fma_f32 v102, v100, v48, -v39
	v_fmac_f32_e32 v103, v101, v48
	s_delay_alu instid0(VALU_DEP_1)
	v_pk_add_f32 v[42:43], v[42:43], v[102:103]
.LBB152_1001:                           ;   in Loop: Header=BB152_987 Depth=2
	s_or_b32 exec_lo, exec_lo, s55
	v_add_nc_u32_e32 v38, 48, v38
	s_delay_alu instid0(VALU_DEP_1) | instskip(SKIP_1) | instid1(SALU_CYCLE_1)
	v_cmp_gt_i32_e64 s62, s78, v38
	s_and_b32 s56, s62, s0
	s_and_saveexec_b32 s55, s56
	s_cbranch_execz .LBB152_986
; %bb.1002:                             ;   in Loop: Header=BB152_987 Depth=2
	v_add_nc_u64_e32 v[38:39], 0x180, v[44:45]
	ds_load_b64 v[44:45], v86 offset:384
	v_dual_cndmask_b32 v39, v39, v31 :: v_dual_cndmask_b32 v38, v38, v30
	flat_load_b64 v[38:39], v[38:39]
	s_wait_loadcnt_dscnt 0x0
	v_pk_mul_f32 v[48:49], v[44:45], v[38:39] op_sel:[1,1] op_sel_hi:[0,1]
	s_delay_alu instid0(VALU_DEP_1) | instskip(SKIP_1) | instid1(VALU_DEP_2)
	v_pk_fma_f32 v[100:101], v[44:45], v[38:39], v[48:49] op_sel_hi:[1,0,1]
	v_pk_fma_f32 v[38:39], v[44:45], v[38:39], v[48:49] neg_lo:[0,0,1] neg_hi:[0,0,1]
	v_mov_b32_e32 v39, v101
	s_delay_alu instid0(VALU_DEP_1)
	v_pk_add_f32 v[42:43], v[42:43], v[38:39]
	s_branch .LBB152_986
.LBB152_1003:                           ;   in Loop: Header=BB152_3 Depth=1
	ds_store_b64 v92, v[42:43]
	s_wait_dscnt 0x0
	s_barrier_signal -1
	s_barrier_wait -1
	s_and_saveexec_b32 s13, s2
	s_cbranch_execz .LBB152_1005
; %bb.1004:                             ;   in Loop: Header=BB152_3 Depth=1
	ds_load_2addr_stride64_b64 v[36:39], v93 offset0:1 offset1:2
	ds_load_2addr_stride64_b64 v[44:47], v93 offset0:3 offset1:4
	;; [unrolled: 1-line block ×3, first 2 shown]
	s_wait_dscnt 0x2
	v_pk_add_f32 v[36:37], v[42:43], v[36:37]
	s_delay_alu instid0(VALU_DEP_1) | instskip(SKIP_3) | instid1(VALU_DEP_1)
	v_pk_add_f32 v[42:43], v[36:37], v[38:39]
	ds_load_2addr_stride64_b64 v[36:39], v93 offset0:7 offset1:8
	s_wait_dscnt 0x2
	v_pk_add_f32 v[42:43], v[42:43], v[44:45]
	v_pk_add_f32 v[46:47], v[42:43], v[46:47]
	ds_load_2addr_stride64_b64 v[42:45], v93 offset0:9 offset1:10
	s_wait_dscnt 0x2
	v_pk_add_f32 v[46:47], v[46:47], v[100:101]
	s_delay_alu instid0(VALU_DEP_1) | instskip(SKIP_3) | instid1(VALU_DEP_1)
	v_pk_add_f32 v[100:101], v[46:47], v[102:103]
	ds_load_2addr_stride64_b64 v[46:49], v93 offset0:11 offset1:12
	s_wait_dscnt 0x2
	v_pk_add_f32 v[36:37], v[100:101], v[36:37]
	v_pk_add_f32 v[100:101], v[36:37], v[38:39]
	ds_load_2addr_stride64_b64 v[36:39], v93 offset0:13 offset1:14
	s_wait_dscnt 0x2
	v_pk_add_f32 v[42:43], v[100:101], v[42:43]
	s_delay_alu instid0(VALU_DEP_1) | instskip(SKIP_3) | instid1(VALU_DEP_1)
	v_pk_add_f32 v[42:43], v[42:43], v[44:45]
	ds_load_b64 v[44:45], v93 offset:7680
	s_wait_dscnt 0x2
	v_pk_add_f32 v[42:43], v[42:43], v[46:47]
	v_pk_add_f32 v[42:43], v[42:43], v[48:49]
	s_wait_dscnt 0x1
	s_delay_alu instid0(VALU_DEP_1) | instskip(NEXT) | instid1(VALU_DEP_1)
	v_pk_add_f32 v[36:37], v[42:43], v[36:37]
	v_pk_add_f32 v[36:37], v[36:37], v[38:39]
	s_wait_dscnt 0x0
	s_delay_alu instid0(VALU_DEP_1) | instskip(NEXT) | instid1(VALU_DEP_1)
	v_pk_add_f32 v[36:37], v[36:37], v[44:45]
	v_cndmask_b32_e64 v43, -v37, 0, s53
	s_delay_alu instid0(VALU_DEP_2)
	v_cndmask_b32_e64 v42, -v36, 0, s53
.LBB152_1005:                           ;   in Loop: Header=BB152_3 Depth=1
	s_or_b32 exec_lo, exec_lo, s13
	s_delay_alu instid0(SALU_CYCLE_1)
	s_and_not1_b32 vcc_lo, exec_lo, s90
	s_cbranch_vccnz .LBB152_1015
; %bb.1006:                             ;   in Loop: Header=BB152_3 Depth=1
	s_and_saveexec_b32 s13, s2
; %bb.1007:                             ;   in Loop: Header=BB152_3 Depth=1
	ds_store_b64 v95, v[42:43]
; %bb.1008:                             ;   in Loop: Header=BB152_3 Depth=1
	s_or_b32 exec_lo, exec_lo, s13
	v_mov_b64_e32 v[36:37], 0
	s_wait_dscnt 0x0
	s_barrier_signal -1
	s_barrier_wait -1
	s_and_saveexec_b32 s13, s6
	s_cbranch_execnz .LBB152_1055
; %bb.1009:                             ;   in Loop: Header=BB152_3 Depth=1
	s_or_b32 exec_lo, exec_lo, s13
	s_and_saveexec_b32 s13, s7
	s_cbranch_execnz .LBB152_1056
.LBB152_1010:                           ;   in Loop: Header=BB152_3 Depth=1
	s_or_b32 exec_lo, exec_lo, s13
	s_and_saveexec_b32 s13, s8
	s_cbranch_execnz .LBB152_1057
.LBB152_1011:                           ;   in Loop: Header=BB152_3 Depth=1
	s_or_b32 exec_lo, exec_lo, s13
	s_and_saveexec_b32 s13, s9
	s_cbranch_execz .LBB152_1013
.LBB152_1012:                           ;   in Loop: Header=BB152_3 Depth=1
	ds_load_b64 v[38:39], v94 offset:24576
	ds_load_b64 v[44:45], v86 offset:384
	s_wait_dscnt 0x0
	v_pk_mul_f32 v[46:47], v[44:45], v[38:39] op_sel:[1,1] op_sel_hi:[0,1]
	s_delay_alu instid0(VALU_DEP_1) | instskip(SKIP_1) | instid1(VALU_DEP_2)
	v_pk_fma_f32 v[48:49], v[44:45], v[38:39], v[46:47] op_sel_hi:[1,0,1]
	v_pk_fma_f32 v[38:39], v[44:45], v[38:39], v[46:47] neg_lo:[0,0,1] neg_hi:[0,0,1]
	v_mov_b32_e32 v39, v49
	s_delay_alu instid0(VALU_DEP_1)
	v_pk_add_f32 v[36:37], v[36:37], v[38:39]
.LBB152_1013:                           ;   in Loop: Header=BB152_3 Depth=1
	s_or_b32 exec_lo, exec_lo, s13
	s_mov_b32 s13, 0
	s_mov_b32 s62, 0
	ds_store_b64 v92, v[36:37]
	s_wait_dscnt 0x0
	s_barrier_signal -1
	s_barrier_wait -1
                                        ; implicit-def: $vgpr38_vgpr39
	s_and_saveexec_b32 s55, s2
	s_cbranch_execz .LBB152_1058
; %bb.1014:                             ;   in Loop: Header=BB152_3 Depth=1
	ds_load_2addr_stride64_b64 v[44:47], v93 offset0:1 offset1:2
	ds_load_2addr_stride64_b64 v[100:103], v93 offset0:3 offset1:4
	;; [unrolled: 1-line block ×3, first 2 shown]
	s_mov_b32 s62, exec_lo
	s_wait_dscnt 0x2
	v_pk_add_f32 v[36:37], v[36:37], v[44:45]
	s_delay_alu instid0(VALU_DEP_1) | instskip(SKIP_3) | instid1(VALU_DEP_1)
	v_pk_add_f32 v[44:45], v[36:37], v[46:47]
	ds_load_2addr_stride64_b64 v[36:39], v93 offset0:7 offset1:8
	s_wait_dscnt 0x2
	v_pk_add_f32 v[44:45], v[44:45], v[100:101]
	v_pk_add_f32 v[48:49], v[44:45], v[102:103]
	ds_load_2addr_stride64_b64 v[44:47], v93 offset0:9 offset1:10
	ds_load_2addr_stride64_b64 v[100:103], v93 offset0:11 offset1:12
	s_wait_dscnt 0x3
	v_pk_add_f32 v[48:49], v[48:49], v[104:105]
	s_delay_alu instid0(VALU_DEP_1) | instskip(SKIP_1) | instid1(VALU_DEP_1)
	v_pk_add_f32 v[48:49], v[48:49], v[106:107]
	s_wait_dscnt 0x2
	v_pk_add_f32 v[36:37], v[48:49], v[36:37]
	s_delay_alu instid0(VALU_DEP_1) | instskip(SKIP_1) | instid1(VALU_DEP_1)
	v_pk_add_f32 v[36:37], v[36:37], v[38:39]
	s_wait_dscnt 0x1
	v_pk_add_f32 v[44:45], v[36:37], v[44:45]
	ds_load_2addr_stride64_b64 v[36:39], v93 offset0:13 offset1:14
	v_pk_add_f32 v[44:45], v[44:45], v[46:47]
	ds_load_b64 v[46:47], v93 offset:7680
	s_wait_dscnt 0x2
	v_pk_add_f32 v[44:45], v[44:45], v[100:101]
	s_delay_alu instid0(VALU_DEP_1) | instskip(SKIP_1) | instid1(VALU_DEP_1)
	v_pk_add_f32 v[44:45], v[44:45], v[102:103]
	s_wait_dscnt 0x1
	v_pk_add_f32 v[36:37], v[44:45], v[36:37]
	s_delay_alu instid0(VALU_DEP_1) | instskip(SKIP_1) | instid1(VALU_DEP_1)
	v_pk_add_f32 v[36:37], v[36:37], v[38:39]
	s_wait_dscnt 0x0
	v_pk_add_f32 v[38:39], v[36:37], v[46:47]
	s_or_b32 exec_lo, exec_lo, s55
	s_delay_alu instid0(SALU_CYCLE_1)
	s_and_b32 vcc_lo, exec_lo, s13
	s_cbranch_vccnz .LBB152_1016
	s_branch .LBB152_1059
.LBB152_1015:                           ;   in Loop: Header=BB152_3 Depth=1
	s_mov_b32 s62, 0
                                        ; implicit-def: $vgpr38_vgpr39
	s_cbranch_execz .LBB152_1059
.LBB152_1016:                           ;   in Loop: Header=BB152_3 Depth=1
	v_dual_mov_b32 v36, v98 :: v_dual_mov_b32 v37, v96
	s_mov_b32 s13, 63
	s_branch .LBB152_1018
.LBB152_1017:                           ;   in Loop: Header=BB152_1018 Depth=2
	s_or_b32 exec_lo, exec_lo, s56
	v_add_nc_u32_e32 v37, 0xfffff800, v37
	v_add_nc_u32_e32 v36, 4, v36
	s_add_co_i32 s13, s13, -4
	s_cmp_lg_u32 s55, 0
	s_barrier_signal -1
	s_barrier_wait -1
	s_cbranch_scc0 .LBB152_1034
.LBB152_1018:                           ;   Parent Loop BB152_3 Depth=1
                                        ; =>  This Inner Loop Header: Depth=2
	s_delay_alu instid0(VALU_DEP_1) | instskip(SKIP_1) | instid1(SALU_CYCLE_1)
	v_cmp_eq_u32_e32 vcc_lo, 0, v36
	s_and_b32 s56, s2, vcc_lo
	s_and_saveexec_b32 s55, s56
; %bb.1019:                             ;   in Loop: Header=BB152_1018 Depth=2
	ds_store_b64 v3, v[42:43] offset:41472
; %bb.1020:                             ;   in Loop: Header=BB152_1018 Depth=2
	s_or_b32 exec_lo, exec_lo, s55
	v_cmp_gt_u32_e32 vcc_lo, s13, v4
	s_wait_dscnt 0x0
	s_barrier_signal -1
	s_barrier_wait -1
	s_and_b32 s56, s2, vcc_lo
	s_delay_alu instid0(SALU_CYCLE_1)
	s_and_saveexec_b32 s55, s56
	s_cbranch_execz .LBB152_1022
; %bb.1021:                             ;   in Loop: Header=BB152_1018 Depth=2
	ds_load_b64 v[38:39], v37 offset:1536
	ds_load_b64 v[44:45], v3 offset:41472
	s_wait_dscnt 0x0
	v_pk_mul_f32 v[46:47], v[44:45], v[38:39] op_sel:[1,1] op_sel_hi:[0,1]
	s_delay_alu instid0(VALU_DEP_1) | instskip(SKIP_1) | instid1(VALU_DEP_2)
	v_pk_fma_f32 v[48:49], v[44:45], v[38:39], v[46:47] op_sel_hi:[1,0,1]
	v_pk_fma_f32 v[38:39], v[44:45], v[38:39], v[46:47] neg_lo:[0,0,1] neg_hi:[0,0,1]
	v_mov_b32_e32 v39, v49
	s_delay_alu instid0(VALU_DEP_1)
	v_pk_add_f32 v[42:43], v[42:43], v[38:39]
.LBB152_1022:                           ;   in Loop: Header=BB152_1018 Depth=2
	s_or_b32 exec_lo, exec_lo, s55
	s_add_co_i32 s55, s13, -1
	s_delay_alu instid0(SALU_CYCLE_1) | instskip(SKIP_3) | instid1(SALU_CYCLE_1)
	v_cmp_eq_u32_e32 vcc_lo, s55, v4
	s_barrier_signal -1
	s_barrier_wait -1
	s_and_b32 s57, s2, vcc_lo
	s_and_saveexec_b32 s56, s57
; %bb.1023:                             ;   in Loop: Header=BB152_1018 Depth=2
	ds_store_b64 v3, v[42:43] offset:41472
; %bb.1024:                             ;   in Loop: Header=BB152_1018 Depth=2
	s_or_b32 exec_lo, exec_lo, s56
	v_cmp_gt_u32_e32 vcc_lo, s55, v4
	s_wait_dscnt 0x0
	s_barrier_signal -1
	s_barrier_wait -1
	s_and_b32 s56, s2, vcc_lo
	s_delay_alu instid0(SALU_CYCLE_1)
	s_and_saveexec_b32 s55, s56
	s_cbranch_execz .LBB152_1026
; %bb.1025:                             ;   in Loop: Header=BB152_1018 Depth=2
	ds_load_b64 v[38:39], v37 offset:1024
	ds_load_b64 v[44:45], v3 offset:41472
	s_wait_dscnt 0x0
	v_pk_mul_f32 v[46:47], v[44:45], v[38:39] op_sel:[1,1] op_sel_hi:[0,1]
	s_delay_alu instid0(VALU_DEP_1) | instskip(SKIP_1) | instid1(VALU_DEP_2)
	v_pk_fma_f32 v[48:49], v[44:45], v[38:39], v[46:47] op_sel_hi:[1,0,1]
	v_pk_fma_f32 v[38:39], v[44:45], v[38:39], v[46:47] neg_lo:[0,0,1] neg_hi:[0,0,1]
	v_mov_b32_e32 v39, v49
	s_delay_alu instid0(VALU_DEP_1)
	v_pk_add_f32 v[42:43], v[42:43], v[38:39]
.LBB152_1026:                           ;   in Loop: Header=BB152_1018 Depth=2
	s_or_b32 exec_lo, exec_lo, s55
	s_add_co_i32 s55, s13, -2
	s_delay_alu instid0(SALU_CYCLE_1) | instskip(SKIP_3) | instid1(SALU_CYCLE_1)
	v_cmp_eq_u32_e32 vcc_lo, s55, v4
	s_barrier_signal -1
	s_barrier_wait -1
	;; [unrolled: 32-line block ×3, first 2 shown]
	s_and_b32 s57, s2, vcc_lo
	s_and_saveexec_b32 s56, s57
; %bb.1031:                             ;   in Loop: Header=BB152_1018 Depth=2
	ds_store_b64 v3, v[42:43] offset:41472
; %bb.1032:                             ;   in Loop: Header=BB152_1018 Depth=2
	s_or_b32 exec_lo, exec_lo, s56
	v_cmp_gt_u32_e32 vcc_lo, s55, v4
	s_wait_dscnt 0x0
	s_barrier_signal -1
	s_barrier_wait -1
	s_and_b32 s57, s2, vcc_lo
	s_delay_alu instid0(SALU_CYCLE_1)
	s_and_saveexec_b32 s56, s57
	s_cbranch_execz .LBB152_1017
; %bb.1033:                             ;   in Loop: Header=BB152_1018 Depth=2
	ds_load_b64 v[38:39], v37
	ds_load_b64 v[44:45], v3 offset:41472
	s_wait_dscnt 0x0
	v_pk_mul_f32 v[46:47], v[44:45], v[38:39] op_sel:[1,1] op_sel_hi:[0,1]
	s_delay_alu instid0(VALU_DEP_1) | instskip(SKIP_1) | instid1(VALU_DEP_2)
	v_pk_fma_f32 v[48:49], v[44:45], v[38:39], v[46:47] op_sel_hi:[1,0,1]
	v_pk_fma_f32 v[38:39], v[44:45], v[38:39], v[46:47] neg_lo:[0,0,1] neg_hi:[0,0,1]
	v_mov_b32_e32 v39, v49
	s_delay_alu instid0(VALU_DEP_1)
	v_pk_add_f32 v[42:43], v[42:43], v[38:39]
	s_branch .LBB152_1017
.LBB152_1034:                           ;   in Loop: Header=BB152_3 Depth=1
	s_and_b32 vcc_lo, exec_lo, s88
	s_mov_b32 s13, -1
	s_cbranch_vccnz .LBB152_1060
; %bb.1035:                             ;   in Loop: Header=BB152_3 Depth=1
	s_and_not1_b32 vcc_lo, exec_lo, s13
	s_cbranch_vccz .LBB152_1061
.LBB152_1036:                           ;   in Loop: Header=BB152_3 Depth=1
	s_and_saveexec_b32 s13, s62
	s_cbranch_execz .LBB152_1038
.LBB152_1037:                           ;   in Loop: Header=BB152_3 Depth=1
	v_lshl_add_u64 v[36:37], v[22:23], 3, v[40:41]
	flat_store_b64 v[36:37], v[42:43]
.LBB152_1038:                           ;   in Loop: Header=BB152_3 Depth=1
	s_wait_xcnt 0x0
	s_or_b32 exec_lo, exec_lo, s13
	global_wb scope:SCOPE_DEV
	s_wait_storecnt_dscnt 0x0
	global_inv scope:SCOPE_DEV
	s_wait_loadcnt 0x0
	s_barrier_signal -1
	s_barrier_wait -1
	s_and_saveexec_b32 s13, s36
	s_cbranch_execz .LBB152_2
; %bb.1039:                             ;   in Loop: Header=BB152_3 Depth=1
	s_lshl_b64 s[84:85], s[76:77], 2
	s_delay_alu instid0(SALU_CYCLE_1)
	s_add_nc_u64 s[84:85], s[80:81], s[84:85]
	global_load_b32 v36, v3, s[84:85]
	s_wait_loadcnt 0x0
	v_add_nc_u32_e32 v36, 1, v36
	global_store_b32 v3, v36, s[84:85]
	s_branch .LBB152_2
.LBB152_1040:                           ;   in Loop: Header=BB152_3 Depth=1
	s_mov_b32 s55, exec_lo
	v_readlane_b32 s56, v108, 22
	s_and_b32 s56, s55, s56
	s_delay_alu instid0(SALU_CYCLE_1)
	s_mov_b32 exec_lo, s56
; %bb.1041:                             ;   in Loop: Header=BB152_3 Depth=1
	ds_store_b64 v9, v[32:33]
; %bb.1042:                             ;   in Loop: Header=BB152_3 Depth=1
	s_or_b32 exec_lo, exec_lo, s55
	s_and_not1_saveexec_b32 s13, s13
	s_cbranch_execz .LBB152_18
.LBB152_1043:                           ;   in Loop: Header=BB152_3 Depth=1
	v_lshl_add_u64 v[44:45], v[14:15], 3, v[42:43]
	flat_load_b64 v[44:45], v[44:45]
	s_wait_loadcnt_dscnt 0x0
	v_pk_add_f32 v[44:45], v[44:45], 0 neg_lo:[1,1] neg_hi:[1,1]
	ds_store_b64 v9, v[44:45]
	s_or_b32 exec_lo, exec_lo, s13
	s_and_saveexec_b32 s13, s7
	s_delay_alu instid0(SALU_CYCLE_1)
	s_xor_b32 s13, exec_lo, s13
	s_cbranch_execz .LBB152_19
.LBB152_1044:                           ;   in Loop: Header=BB152_3 Depth=1
	s_mov_b32 s55, exec_lo
	v_readlane_b32 s56, v108, 23
	s_and_b32 s56, s55, s56
	s_delay_alu instid0(SALU_CYCLE_1)
	s_mov_b32 exec_lo, s56
; %bb.1045:                             ;   in Loop: Header=BB152_3 Depth=1
	ds_store_b64 v81, v[32:33]
; %bb.1046:                             ;   in Loop: Header=BB152_3 Depth=1
	s_or_b32 exec_lo, exec_lo, s55
	s_and_not1_saveexec_b32 s13, s13
	s_cbranch_execz .LBB152_20
.LBB152_1047:                           ;   in Loop: Header=BB152_3 Depth=1
	v_lshl_add_u64 v[44:45], v[16:17], 3, v[42:43]
	flat_load_b64 v[44:45], v[44:45]
	s_wait_loadcnt_dscnt 0x0
	v_pk_add_f32 v[44:45], v[44:45], 0 neg_lo:[1,1] neg_hi:[1,1]
	ds_store_b64 v81, v[44:45]
	s_or_b32 exec_lo, exec_lo, s13
	s_and_saveexec_b32 s13, s8
	s_delay_alu instid0(SALU_CYCLE_1)
	s_xor_b32 s13, exec_lo, s13
	s_cbranch_execz .LBB152_21
.LBB152_1048:                           ;   in Loop: Header=BB152_3 Depth=1
	s_mov_b32 s55, exec_lo
	v_readlane_b32 s56, v108, 24
	s_and_b32 s56, s55, s56
	s_delay_alu instid0(SALU_CYCLE_1)
	s_mov_b32 exec_lo, s56
; %bb.1049:                             ;   in Loop: Header=BB152_3 Depth=1
	ds_store_b64 v83, v[32:33]
; %bb.1050:                             ;   in Loop: Header=BB152_3 Depth=1
	s_or_b32 exec_lo, exec_lo, s55
	s_and_not1_saveexec_b32 s13, s13
	s_cbranch_execz .LBB152_22
.LBB152_1051:                           ;   in Loop: Header=BB152_3 Depth=1
	v_lshl_add_u64 v[44:45], v[0:1], 3, v[42:43]
	flat_load_b64 v[44:45], v[44:45]
	s_wait_loadcnt_dscnt 0x0
	v_pk_add_f32 v[44:45], v[44:45], 0 neg_lo:[1,1] neg_hi:[1,1]
	ds_store_b64 v83, v[44:45]
	s_or_b32 exec_lo, exec_lo, s13
	s_and_saveexec_b32 s13, s9
	s_delay_alu instid0(SALU_CYCLE_1)
	s_xor_b32 s13, exec_lo, s13
	s_cbranch_execz .LBB152_23
.LBB152_1052:                           ;   in Loop: Header=BB152_3 Depth=1
	s_mov_b32 s55, exec_lo
	v_readlane_b32 s56, v99, 6
	s_and_b32 s56, s55, s56
	s_delay_alu instid0(SALU_CYCLE_1)
	s_mov_b32 exec_lo, s56
; %bb.1053:                             ;   in Loop: Header=BB152_3 Depth=1
	ds_store_b64 v84, v[32:33]
; %bb.1054:                             ;   in Loop: Header=BB152_3 Depth=1
	s_or_b32 exec_lo, exec_lo, s55
	s_and_not1_saveexec_b32 s13, s13
	s_cbranch_execnz .LBB152_24
	s_branch .LBB152_25
.LBB152_1055:                           ;   in Loop: Header=BB152_3 Depth=1
	ds_load_b64 v[36:37], v94
	ds_load_b64 v[38:39], v86
	s_wait_dscnt 0x0
	v_dual_mul_f32 v44, v39, v37 :: v_dual_mul_f32 v37, v38, v37
	s_delay_alu instid0(VALU_DEP_1) | instskip(NEXT) | instid1(VALU_DEP_1)
	v_dual_fma_f32 v38, v38, v36, -v44 :: v_dual_fmac_f32 v37, v39, v36
	v_dual_add_f32 v36, 0, v38 :: v_dual_add_f32 v37, 0, v37
	s_or_b32 exec_lo, exec_lo, s13
	s_and_saveexec_b32 s13, s7
	s_cbranch_execz .LBB152_1010
.LBB152_1056:                           ;   in Loop: Header=BB152_3 Depth=1
	ds_load_b64 v[38:39], v94 offset:8192
	ds_load_b64 v[44:45], v86 offset:128
	s_wait_dscnt 0x0
	v_dual_mul_f32 v46, v45, v39 :: v_dual_mul_f32 v47, v44, v39
	s_delay_alu instid0(VALU_DEP_1) | instskip(NEXT) | instid1(VALU_DEP_1)
	v_dual_fma_f32 v46, v44, v38, -v46 :: v_dual_fmac_f32 v47, v45, v38
	v_pk_add_f32 v[36:37], v[36:37], v[46:47]
	s_or_b32 exec_lo, exec_lo, s13
	s_and_saveexec_b32 s13, s8
	s_cbranch_execz .LBB152_1011
.LBB152_1057:                           ;   in Loop: Header=BB152_3 Depth=1
	ds_load_b64 v[38:39], v94 offset:16384
	ds_load_b64 v[44:45], v86 offset:256
	s_wait_dscnt 0x0
	v_pk_mul_f32 v[46:47], v[44:45], v[38:39] op_sel:[1,1] op_sel_hi:[0,1]
	s_delay_alu instid0(VALU_DEP_1) | instskip(SKIP_1) | instid1(VALU_DEP_2)
	v_pk_fma_f32 v[48:49], v[44:45], v[38:39], v[46:47] op_sel_hi:[1,0,1]
	v_pk_fma_f32 v[38:39], v[44:45], v[38:39], v[46:47] neg_lo:[0,0,1] neg_hi:[0,0,1]
	v_mov_b32_e32 v39, v49
	s_delay_alu instid0(VALU_DEP_1)
	v_pk_add_f32 v[36:37], v[36:37], v[38:39]
	s_or_b32 exec_lo, exec_lo, s13
	s_and_saveexec_b32 s13, s9
	s_cbranch_execnz .LBB152_1012
	s_branch .LBB152_1013
.LBB152_1058:                           ;   in Loop: Header=BB152_3 Depth=1
	s_or_b32 exec_lo, exec_lo, s55
	s_delay_alu instid0(SALU_CYCLE_1)
	s_and_b32 vcc_lo, exec_lo, s13
	s_cbranch_vccnz .LBB152_1016
.LBB152_1059:                           ;   in Loop: Header=BB152_3 Depth=1
	v_mov_b64_e32 v[42:43], v[38:39]
	s_and_saveexec_b32 s13, s62
	s_cbranch_execnz .LBB152_1037
	s_branch .LBB152_1038
.LBB152_1060:                           ;   in Loop: Header=BB152_3 Depth=1
	s_and_not1_b32 s55, s62, exec_lo
	s_and_b32 s56, s2, exec_lo
	s_delay_alu instid0(SALU_CYCLE_1)
	s_or_b32 s62, s55, s56
	s_cbranch_execnz .LBB152_1036
.LBB152_1061:                           ;   in Loop: Header=BB152_3 Depth=1
	v_readlane_b32 s55, v108, 13
	s_and_not1_b32 s13, s62, exec_lo
	s_and_b32 s55, s55, exec_lo
	s_delay_alu instid0(SALU_CYCLE_1) | instskip(NEXT) | instid1(SALU_CYCLE_1)
	s_or_b32 s62, s13, s55
	s_and_saveexec_b32 s13, s62
	s_cbranch_execnz .LBB152_1037
	s_branch .LBB152_1038
.LBB152_1062:                           ;   in Loop: Header=BB152_3 Depth=1
	ds_load_b64 v[44:45], v58 offset:544
	ds_load_b64 v[46:47], v53 offset:8
	s_wait_dscnt 0x0
	v_dual_mul_f32 v48, v47, v45 :: v_dual_mul_f32 v45, v46, v45
	s_delay_alu instid0(VALU_DEP_1) | instskip(NEXT) | instid1(VALU_DEP_1)
	v_dual_fma_f32 v46, v46, v44, -v48 :: v_dual_fmac_f32 v45, v47, v44
	v_dual_add_f32 v42, v42, v46 :: v_dual_add_f32 v43, v43, v45
	s_or_b32 exec_lo, exec_lo, s55
	s_and_saveexec_b32 s55, s17
	s_cbranch_execz .LBB152_74
.LBB152_1063:                           ;   in Loop: Header=BB152_3 Depth=1
	ds_load_b64 v[44:45], v57 offset:1056
	ds_load_b64 v[46:47], v53 offset:16
	s_wait_dscnt 0x0
	v_dual_mul_f32 v48, v47, v45 :: v_dual_mul_f32 v45, v46, v45
	s_delay_alu instid0(VALU_DEP_1) | instskip(NEXT) | instid1(VALU_DEP_1)
	v_dual_fma_f32 v46, v46, v44, -v48 :: v_dual_fmac_f32 v45, v47, v44
	v_dual_add_f32 v42, v42, v46 :: v_dual_add_f32 v43, v43, v45
	s_or_b32 exec_lo, exec_lo, s55
	s_and_saveexec_b32 s55, s1
	s_cbranch_execnz .LBB152_75
	s_branch .LBB152_76
.LBB152_1064:                           ;   in Loop: Header=BB152_3 Depth=1
	ds_load_b64 v[44:45], v67 offset:576
	ds_load_b64 v[46:47], v62 offset:8
	s_wait_dscnt 0x0
	v_dual_mul_f32 v48, v47, v45 :: v_dual_mul_f32 v45, v46, v45
	s_delay_alu instid0(VALU_DEP_1) | instskip(NEXT) | instid1(VALU_DEP_1)
	v_dual_fma_f32 v46, v46, v44, -v48 :: v_dual_fmac_f32 v45, v47, v44
	v_dual_add_f32 v42, v42, v46 :: v_dual_add_f32 v43, v43, v45
	s_or_b32 exec_lo, exec_lo, s55
	s_and_saveexec_b32 s55, s19
	s_cbranch_execz .LBB152_116
.LBB152_1065:                           ;   in Loop: Header=BB152_3 Depth=1
	ds_load_b64 v[44:45], v67 offset:1088
	ds_load_b64 v[46:47], v62 offset:16
	s_wait_dscnt 0x0
	v_dual_mul_f32 v48, v47, v45 :: v_dual_mul_f32 v45, v46, v45
	s_delay_alu instid0(VALU_DEP_1) | instskip(NEXT) | instid1(VALU_DEP_1)
	v_dual_fma_f32 v46, v46, v44, -v48 :: v_dual_fmac_f32 v45, v47, v44
	v_dual_add_f32 v42, v42, v46 :: v_dual_add_f32 v43, v43, v45
	s_or_b32 exec_lo, exec_lo, s55
	s_and_saveexec_b32 s55, s20
	s_cbranch_execz .LBB152_117
.LBB152_1066:                           ;   in Loop: Header=BB152_3 Depth=1
	ds_load_b64 v[44:45], v67 offset:1600
	ds_load_b64 v[46:47], v62 offset:24
	s_wait_dscnt 0x0
	v_dual_mul_f32 v48, v47, v45 :: v_dual_mul_f32 v45, v46, v45
	s_delay_alu instid0(VALU_DEP_1) | instskip(NEXT) | instid1(VALU_DEP_1)
	v_dual_fma_f32 v46, v46, v44, -v48 :: v_dual_fmac_f32 v45, v47, v44
	v_dual_add_f32 v42, v42, v46 :: v_dual_add_f32 v43, v43, v45
	s_or_b32 exec_lo, exec_lo, s55
	s_and_saveexec_b32 s55, s21
	s_cbranch_execz .LBB152_118
.LBB152_1067:                           ;   in Loop: Header=BB152_3 Depth=1
	ds_load_b64 v[44:45], v66 offset:2112
	ds_load_b64 v[46:47], v62 offset:32
	s_wait_dscnt 0x0
	v_dual_mul_f32 v48, v47, v45 :: v_dual_mul_f32 v45, v46, v45
	s_delay_alu instid0(VALU_DEP_1) | instskip(NEXT) | instid1(VALU_DEP_1)
	v_dual_fma_f32 v46, v46, v44, -v48 :: v_dual_fmac_f32 v45, v47, v44
	v_dual_add_f32 v42, v42, v46 :: v_dual_add_f32 v43, v43, v45
	s_or_b32 exec_lo, exec_lo, s55
	s_and_saveexec_b32 s55, s22
	s_cbranch_execz .LBB152_119
.LBB152_1068:                           ;   in Loop: Header=BB152_3 Depth=1
	ds_load_b64 v[44:45], v67 offset:2624
	ds_load_b64 v[46:47], v62 offset:40
	s_wait_dscnt 0x0
	v_dual_mul_f32 v48, v47, v45 :: v_dual_mul_f32 v49, v46, v45
	s_delay_alu instid0(VALU_DEP_1) | instskip(NEXT) | instid1(VALU_DEP_1)
	v_dual_fma_f32 v48, v46, v44, -v48 :: v_dual_fmac_f32 v49, v47, v44
	v_pk_add_f32 v[42:43], v[42:43], v[48:49]
	s_or_b32 exec_lo, exec_lo, s55
	s_and_saveexec_b32 s55, s3
	s_cbranch_execz .LBB152_120
.LBB152_1069:                           ;   in Loop: Header=BB152_3 Depth=1
	ds_load_b64 v[44:45], v66 offset:3136
	ds_load_b64 v[46:47], v62 offset:48
	s_wait_dscnt 0x0
	v_pk_mul_f32 v[48:49], v[46:47], v[44:45] op_sel:[1,1] op_sel_hi:[0,1]
	s_delay_alu instid0(VALU_DEP_1) | instskip(SKIP_1) | instid1(VALU_DEP_2)
	v_pk_fma_f32 v[100:101], v[46:47], v[44:45], v[48:49] op_sel_hi:[1,0,1]
	v_pk_fma_f32 v[44:45], v[46:47], v[44:45], v[48:49] neg_lo:[0,0,1] neg_hi:[0,0,1]
	v_mov_b32_e32 v45, v101
	s_delay_alu instid0(VALU_DEP_1)
	v_pk_add_f32 v[42:43], v[42:43], v[44:45]
	s_or_b32 exec_lo, exec_lo, s55
	s_and_saveexec_b32 s55, s17
	s_cbranch_execnz .LBB152_121
	s_branch .LBB152_122
.LBB152_1070:                           ;   in Loop: Header=BB152_3 Depth=1
	ds_load_b64 v[44:45], v58 offset:4704
	ds_load_b64 v[46:47], v53 offset:4168
	s_wait_dscnt 0x0
	v_dual_mul_f32 v48, v47, v45 :: v_dual_mul_f32 v45, v46, v45
	s_delay_alu instid0(VALU_DEP_1) | instskip(NEXT) | instid1(VALU_DEP_1)
	v_dual_fma_f32 v46, v46, v44, -v48 :: v_dual_fmac_f32 v45, v47, v44
	v_dual_add_f32 v42, v42, v46 :: v_dual_add_f32 v43, v43, v45
	s_or_b32 exec_lo, exec_lo, s55
	s_and_saveexec_b32 s55, s17
	s_cbranch_execz .LBB152_178
.LBB152_1071:                           ;   in Loop: Header=BB152_3 Depth=1
	ds_load_b64 v[44:45], v57 offset:5216
	ds_load_b64 v[46:47], v53 offset:4176
	s_wait_dscnt 0x0
	v_dual_mul_f32 v48, v47, v45 :: v_dual_mul_f32 v45, v46, v45
	s_delay_alu instid0(VALU_DEP_1) | instskip(NEXT) | instid1(VALU_DEP_1)
	v_dual_fma_f32 v46, v46, v44, -v48 :: v_dual_fmac_f32 v45, v47, v44
	v_dual_add_f32 v42, v42, v46 :: v_dual_add_f32 v43, v43, v45
	s_or_b32 exec_lo, exec_lo, s55
	s_and_saveexec_b32 s55, s1
	s_cbranch_execnz .LBB152_179
	s_branch .LBB152_180
.LBB152_1072:                           ;   in Loop: Header=BB152_3 Depth=1
	ds_load_b64 v[44:45], v76 offset:5760
	ds_load_b64 v[46:47], v71 offset:88
	s_wait_dscnt 0x0
	v_dual_mul_f32 v48, v47, v45 :: v_dual_mul_f32 v45, v46, v45
	s_delay_alu instid0(VALU_DEP_1) | instskip(NEXT) | instid1(VALU_DEP_1)
	v_dual_fma_f32 v46, v46, v44, -v48 :: v_dual_fmac_f32 v45, v47, v44
	v_dual_add_f32 v42, v42, v46 :: v_dual_add_f32 v43, v43, v45
	s_or_b32 exec_lo, exec_lo, s13
	s_and_saveexec_b32 s13, s4
	s_cbranch_execz .LBB152_240
.LBB152_1073:                           ;   in Loop: Header=BB152_3 Depth=1
	ds_load_b64 v[44:45], v75 offset:6272
	ds_load_b64 v[46:47], v71 offset:96
	s_wait_dscnt 0x0
	v_dual_mul_f32 v48, v47, v45 :: v_dual_mul_f32 v45, v46, v45
	s_delay_alu instid0(VALU_DEP_1) | instskip(NEXT) | instid1(VALU_DEP_1)
	v_dual_fma_f32 v46, v46, v44, -v48 :: v_dual_fmac_f32 v45, v47, v44
	v_dual_add_f32 v42, v42, v46 :: v_dual_add_f32 v43, v43, v45
	s_or_b32 exec_lo, exec_lo, s13
	s_and_saveexec_b32 s13, s19
	s_cbranch_execz .LBB152_241
.LBB152_1074:                           ;   in Loop: Header=BB152_3 Depth=1
	ds_load_b64 v[44:45], v76 offset:6784
	ds_load_b64 v[46:47], v71 offset:104
	s_wait_dscnt 0x0
	v_dual_mul_f32 v48, v47, v45 :: v_dual_mul_f32 v45, v46, v45
	s_delay_alu instid0(VALU_DEP_1) | instskip(NEXT) | instid1(VALU_DEP_1)
	v_dual_fma_f32 v46, v46, v44, -v48 :: v_dual_fmac_f32 v45, v47, v44
	v_dual_add_f32 v42, v42, v46 :: v_dual_add_f32 v43, v43, v45
	s_or_b32 exec_lo, exec_lo, s13
	s_and_saveexec_b32 s13, s21
	s_cbranch_execz .LBB152_242
.LBB152_1075:                           ;   in Loop: Header=BB152_3 Depth=1
	ds_load_b64 v[44:45], v75 offset:7296
	ds_load_b64 v[46:47], v71 offset:112
	s_wait_dscnt 0x0
	v_dual_mul_f32 v48, v47, v45 :: v_dual_mul_f32 v45, v46, v45
	s_delay_alu instid0(VALU_DEP_1) | instskip(NEXT) | instid1(VALU_DEP_1)
	v_dual_fma_f32 v46, v46, v44, -v48 :: v_dual_fmac_f32 v45, v47, v44
	v_dual_add_f32 v42, v42, v46 :: v_dual_add_f32 v43, v43, v45
	s_or_b32 exec_lo, exec_lo, s13
	s_and_saveexec_b32 s13, s3
	s_cbranch_execnz .LBB152_243
	s_branch .LBB152_244
.LBB152_1076:                           ;   in Loop: Header=BB152_3 Depth=1
	ds_load_b64 v[44:45], v58 offset:8864
	ds_load_b64 v[46:47], v53 offset:8328
	s_wait_dscnt 0x0
	v_dual_mul_f32 v48, v47, v45 :: v_dual_mul_f32 v45, v46, v45
	s_delay_alu instid0(VALU_DEP_1) | instskip(NEXT) | instid1(VALU_DEP_1)
	v_dual_fma_f32 v46, v46, v44, -v48 :: v_dual_fmac_f32 v45, v47, v44
	v_dual_add_f32 v42, v42, v46 :: v_dual_add_f32 v43, v43, v45
	s_or_b32 exec_lo, exec_lo, s55
	s_and_saveexec_b32 s55, s17
	s_cbranch_execz .LBB152_332
.LBB152_1077:                           ;   in Loop: Header=BB152_3 Depth=1
	ds_load_b64 v[44:45], v57 offset:9376
	ds_load_b64 v[46:47], v53 offset:8336
	s_wait_dscnt 0x0
	v_dual_mul_f32 v48, v47, v45 :: v_dual_mul_f32 v45, v46, v45
	s_delay_alu instid0(VALU_DEP_1) | instskip(NEXT) | instid1(VALU_DEP_1)
	v_dual_fma_f32 v46, v46, v44, -v48 :: v_dual_fmac_f32 v45, v47, v44
	v_dual_add_f32 v42, v42, v46 :: v_dual_add_f32 v43, v43, v45
	s_or_b32 exec_lo, exec_lo, s55
	s_and_saveexec_b32 s55, s1
	s_cbranch_execnz .LBB152_333
	s_branch .LBB152_334
.LBB152_1078:                           ;   in Loop: Header=BB152_3 Depth=1
	ds_load_b64 v[44:45], v67 offset:8896
	ds_load_b64 v[46:47], v62 offset:8328
	s_wait_dscnt 0x0
	v_dual_mul_f32 v48, v47, v45 :: v_dual_mul_f32 v45, v46, v45
	s_delay_alu instid0(VALU_DEP_1) | instskip(NEXT) | instid1(VALU_DEP_1)
	v_dual_fma_f32 v46, v46, v44, -v48 :: v_dual_fmac_f32 v45, v47, v44
	v_dual_add_f32 v42, v42, v46 :: v_dual_add_f32 v43, v43, v45
	s_or_b32 exec_lo, exec_lo, s55
	s_and_saveexec_b32 s55, s19
	s_cbranch_execz .LBB152_374
.LBB152_1079:                           ;   in Loop: Header=BB152_3 Depth=1
	ds_load_b64 v[44:45], v67 offset:9408
	ds_load_b64 v[46:47], v62 offset:8336
	s_wait_dscnt 0x0
	v_dual_mul_f32 v48, v47, v45 :: v_dual_mul_f32 v45, v46, v45
	s_delay_alu instid0(VALU_DEP_1) | instskip(NEXT) | instid1(VALU_DEP_1)
	v_dual_fma_f32 v46, v46, v44, -v48 :: v_dual_fmac_f32 v45, v47, v44
	v_dual_add_f32 v42, v42, v46 :: v_dual_add_f32 v43, v43, v45
	s_or_b32 exec_lo, exec_lo, s55
	s_and_saveexec_b32 s55, s20
	s_cbranch_execz .LBB152_375
.LBB152_1080:                           ;   in Loop: Header=BB152_3 Depth=1
	ds_load_b64 v[44:45], v67 offset:9920
	ds_load_b64 v[46:47], v62 offset:8344
	s_wait_dscnt 0x0
	v_dual_mul_f32 v48, v47, v45 :: v_dual_mul_f32 v45, v46, v45
	s_delay_alu instid0(VALU_DEP_1) | instskip(NEXT) | instid1(VALU_DEP_1)
	v_dual_fma_f32 v46, v46, v44, -v48 :: v_dual_fmac_f32 v45, v47, v44
	v_dual_add_f32 v42, v42, v46 :: v_dual_add_f32 v43, v43, v45
	s_or_b32 exec_lo, exec_lo, s55
	s_and_saveexec_b32 s55, s21
	s_cbranch_execz .LBB152_376
.LBB152_1081:                           ;   in Loop: Header=BB152_3 Depth=1
	ds_load_b64 v[44:45], v66 offset:10432
	ds_load_b64 v[46:47], v62 offset:8352
	s_wait_dscnt 0x0
	v_dual_mul_f32 v48, v47, v45 :: v_dual_mul_f32 v45, v46, v45
	s_delay_alu instid0(VALU_DEP_1) | instskip(NEXT) | instid1(VALU_DEP_1)
	v_dual_fma_f32 v46, v46, v44, -v48 :: v_dual_fmac_f32 v45, v47, v44
	v_dual_add_f32 v42, v42, v46 :: v_dual_add_f32 v43, v43, v45
	s_or_b32 exec_lo, exec_lo, s55
	s_and_saveexec_b32 s55, s22
	s_cbranch_execz .LBB152_377
.LBB152_1082:                           ;   in Loop: Header=BB152_3 Depth=1
	ds_load_b64 v[44:45], v67 offset:10944
	ds_load_b64 v[46:47], v62 offset:8360
	s_wait_dscnt 0x0
	v_dual_mul_f32 v48, v47, v45 :: v_dual_mul_f32 v49, v46, v45
	s_delay_alu instid0(VALU_DEP_1) | instskip(NEXT) | instid1(VALU_DEP_1)
	v_dual_fma_f32 v48, v46, v44, -v48 :: v_dual_fmac_f32 v49, v47, v44
	v_pk_add_f32 v[42:43], v[42:43], v[48:49]
	s_or_b32 exec_lo, exec_lo, s55
	s_and_saveexec_b32 s55, s3
	s_cbranch_execz .LBB152_378
.LBB152_1083:                           ;   in Loop: Header=BB152_3 Depth=1
	ds_load_b64 v[44:45], v66 offset:11456
	ds_load_b64 v[46:47], v62 offset:8368
	s_wait_dscnt 0x0
	v_pk_mul_f32 v[48:49], v[46:47], v[44:45] op_sel:[1,1] op_sel_hi:[0,1]
	s_delay_alu instid0(VALU_DEP_1) | instskip(SKIP_1) | instid1(VALU_DEP_2)
	v_pk_fma_f32 v[100:101], v[46:47], v[44:45], v[48:49] op_sel_hi:[1,0,1]
	v_pk_fma_f32 v[44:45], v[46:47], v[44:45], v[48:49] neg_lo:[0,0,1] neg_hi:[0,0,1]
	v_mov_b32_e32 v45, v101
	s_delay_alu instid0(VALU_DEP_1)
	v_pk_add_f32 v[42:43], v[42:43], v[44:45]
	s_or_b32 exec_lo, exec_lo, s55
	s_and_saveexec_b32 s55, s17
	s_cbranch_execnz .LBB152_379
	s_branch .LBB152_380
.LBB152_1084:                           ;   in Loop: Header=BB152_3 Depth=1
	ds_load_b64 v[44:45], v58 offset:13024
	ds_load_b64 v[46:47], v53 offset:12488
	s_wait_dscnt 0x0
	v_dual_mul_f32 v48, v47, v45 :: v_dual_mul_f32 v45, v46, v45
	s_delay_alu instid0(VALU_DEP_1) | instskip(NEXT) | instid1(VALU_DEP_1)
	v_dual_fma_f32 v46, v46, v44, -v48 :: v_dual_fmac_f32 v45, v47, v44
	v_dual_add_f32 v42, v42, v46 :: v_dual_add_f32 v43, v43, v45
	s_or_b32 exec_lo, exec_lo, s55
	s_and_saveexec_b32 s55, s17
	s_cbranch_execz .LBB152_436
.LBB152_1085:                           ;   in Loop: Header=BB152_3 Depth=1
	ds_load_b64 v[44:45], v57 offset:13536
	ds_load_b64 v[46:47], v53 offset:12496
	s_wait_dscnt 0x0
	v_dual_mul_f32 v48, v47, v45 :: v_dual_mul_f32 v45, v46, v45
	s_delay_alu instid0(VALU_DEP_1) | instskip(NEXT) | instid1(VALU_DEP_1)
	v_dual_fma_f32 v46, v46, v44, -v48 :: v_dual_fmac_f32 v45, v47, v44
	v_dual_add_f32 v42, v42, v46 :: v_dual_add_f32 v43, v43, v45
	s_or_b32 exec_lo, exec_lo, s55
	s_and_saveexec_b32 s55, s1
	s_cbranch_execnz .LBB152_437
	s_branch .LBB152_438
.LBB152_1086:                           ;   in Loop: Header=BB152_3 Depth=1
	ds_load_b64 v[46:47], v45 offset:15104
	ds_load_b64 v[48:49], v44 offset:232
	s_wait_dscnt 0x0
	v_pk_mul_f32 v[100:101], v[48:49], v[46:47] op_sel:[1,1] op_sel_hi:[0,1]
	s_delay_alu instid0(VALU_DEP_1) | instskip(SKIP_1) | instid1(VALU_DEP_2)
	v_pk_fma_f32 v[102:103], v[48:49], v[46:47], v[100:101] op_sel_hi:[1,0,1]
	v_pk_fma_f32 v[46:47], v[48:49], v[46:47], v[100:101] neg_lo:[0,0,1] neg_hi:[0,0,1]
	v_mov_b32_e32 v47, v103
	s_delay_alu instid0(VALU_DEP_1)
	v_pk_add_f32 v[42:43], v[42:43], v[46:47]
	s_or_b32 exec_lo, exec_lo, s13
	s_and_saveexec_b32 s13, s4
	s_cbranch_execz .LBB152_534
.LBB152_1087:                           ;   in Loop: Header=BB152_3 Depth=1
	ds_load_b64 v[46:47], v45 offset:15616
	ds_load_b64 v[48:49], v44 offset:240
	s_wait_dscnt 0x0
	v_pk_mul_f32 v[100:101], v[48:49], v[46:47] op_sel:[1,1] op_sel_hi:[0,1]
	s_delay_alu instid0(VALU_DEP_1) | instskip(SKIP_1) | instid1(VALU_DEP_2)
	v_pk_fma_f32 v[102:103], v[48:49], v[46:47], v[100:101] op_sel_hi:[1,0,1]
	v_pk_fma_f32 v[46:47], v[48:49], v[46:47], v[100:101] neg_lo:[0,0,1] neg_hi:[0,0,1]
	v_mov_b32_e32 v47, v103
	s_delay_alu instid0(VALU_DEP_1)
	v_pk_add_f32 v[42:43], v[42:43], v[46:47]
	s_or_b32 exec_lo, exec_lo, s13
	s_and_saveexec_b32 s13, s21
	s_cbranch_execnz .LBB152_535
	s_branch .LBB152_536
.LBB152_1088:                           ;   in Loop: Header=BB152_3 Depth=1
	ds_load_b64 v[44:45], v58 offset:17184
	ds_load_b64 v[46:47], v53 offset:16648
	s_wait_dscnt 0x0
	v_dual_mul_f32 v48, v47, v45 :: v_dual_mul_f32 v45, v46, v45
	s_delay_alu instid0(VALU_DEP_1) | instskip(NEXT) | instid1(VALU_DEP_1)
	v_dual_fma_f32 v46, v46, v44, -v48 :: v_dual_fmac_f32 v45, v47, v44
	v_dual_add_f32 v42, v42, v46 :: v_dual_add_f32 v43, v43, v45
	s_or_b32 exec_lo, exec_lo, s55
	s_and_saveexec_b32 s55, s17
	s_cbranch_execz .LBB152_580
.LBB152_1089:                           ;   in Loop: Header=BB152_3 Depth=1
	ds_load_b64 v[44:45], v57 offset:17696
	ds_load_b64 v[46:47], v53 offset:16656
	s_wait_dscnt 0x0
	v_dual_mul_f32 v48, v47, v45 :: v_dual_mul_f32 v45, v46, v45
	s_delay_alu instid0(VALU_DEP_1) | instskip(NEXT) | instid1(VALU_DEP_1)
	v_dual_fma_f32 v46, v46, v44, -v48 :: v_dual_fmac_f32 v45, v47, v44
	v_dual_add_f32 v42, v42, v46 :: v_dual_add_f32 v43, v43, v45
	s_or_b32 exec_lo, exec_lo, s55
	s_and_saveexec_b32 s55, s1
	s_cbranch_execnz .LBB152_581
	s_branch .LBB152_582
.LBB152_1090:                           ;   in Loop: Header=BB152_3 Depth=1
	ds_load_b64 v[44:45], v67 offset:17216
	ds_load_b64 v[46:47], v62 offset:16648
	s_wait_dscnt 0x0
	v_dual_mul_f32 v48, v47, v45 :: v_dual_mul_f32 v45, v46, v45
	s_delay_alu instid0(VALU_DEP_1) | instskip(NEXT) | instid1(VALU_DEP_1)
	v_dual_fma_f32 v46, v46, v44, -v48 :: v_dual_fmac_f32 v45, v47, v44
	v_dual_add_f32 v42, v42, v46 :: v_dual_add_f32 v43, v43, v45
	s_or_b32 exec_lo, exec_lo, s55
	s_and_saveexec_b32 s55, s19
	s_cbranch_execz .LBB152_622
.LBB152_1091:                           ;   in Loop: Header=BB152_3 Depth=1
	ds_load_b64 v[44:45], v67 offset:17728
	ds_load_b64 v[46:47], v62 offset:16656
	s_wait_dscnt 0x0
	v_dual_mul_f32 v48, v47, v45 :: v_dual_mul_f32 v45, v46, v45
	s_delay_alu instid0(VALU_DEP_1) | instskip(NEXT) | instid1(VALU_DEP_1)
	v_dual_fma_f32 v46, v46, v44, -v48 :: v_dual_fmac_f32 v45, v47, v44
	v_dual_add_f32 v42, v42, v46 :: v_dual_add_f32 v43, v43, v45
	s_or_b32 exec_lo, exec_lo, s55
	s_and_saveexec_b32 s55, s20
	s_cbranch_execz .LBB152_623
.LBB152_1092:                           ;   in Loop: Header=BB152_3 Depth=1
	ds_load_b64 v[44:45], v67 offset:18240
	ds_load_b64 v[46:47], v62 offset:16664
	s_wait_dscnt 0x0
	v_dual_mul_f32 v48, v47, v45 :: v_dual_mul_f32 v45, v46, v45
	s_delay_alu instid0(VALU_DEP_1) | instskip(NEXT) | instid1(VALU_DEP_1)
	v_dual_fma_f32 v46, v46, v44, -v48 :: v_dual_fmac_f32 v45, v47, v44
	v_dual_add_f32 v42, v42, v46 :: v_dual_add_f32 v43, v43, v45
	s_or_b32 exec_lo, exec_lo, s55
	s_and_saveexec_b32 s55, s21
	s_cbranch_execz .LBB152_624
.LBB152_1093:                           ;   in Loop: Header=BB152_3 Depth=1
	ds_load_b64 v[44:45], v66 offset:18752
	ds_load_b64 v[46:47], v62 offset:16672
	s_wait_dscnt 0x0
	v_dual_mul_f32 v48, v47, v45 :: v_dual_mul_f32 v45, v46, v45
	s_delay_alu instid0(VALU_DEP_1) | instskip(NEXT) | instid1(VALU_DEP_1)
	v_dual_fma_f32 v46, v46, v44, -v48 :: v_dual_fmac_f32 v45, v47, v44
	v_dual_add_f32 v42, v42, v46 :: v_dual_add_f32 v43, v43, v45
	s_or_b32 exec_lo, exec_lo, s55
	s_and_saveexec_b32 s55, s22
	s_cbranch_execz .LBB152_625
.LBB152_1094:                           ;   in Loop: Header=BB152_3 Depth=1
	ds_load_b64 v[44:45], v67 offset:19264
	ds_load_b64 v[46:47], v62 offset:16680
	s_wait_dscnt 0x0
	v_dual_mul_f32 v48, v47, v45 :: v_dual_mul_f32 v49, v46, v45
	s_delay_alu instid0(VALU_DEP_1) | instskip(NEXT) | instid1(VALU_DEP_1)
	v_dual_fma_f32 v48, v46, v44, -v48 :: v_dual_fmac_f32 v49, v47, v44
	v_pk_add_f32 v[42:43], v[42:43], v[48:49]
	s_or_b32 exec_lo, exec_lo, s55
	s_and_saveexec_b32 s55, s3
	s_cbranch_execz .LBB152_626
.LBB152_1095:                           ;   in Loop: Header=BB152_3 Depth=1
	ds_load_b64 v[44:45], v66 offset:19776
	ds_load_b64 v[46:47], v62 offset:16688
	s_wait_dscnt 0x0
	v_pk_mul_f32 v[48:49], v[46:47], v[44:45] op_sel:[1,1] op_sel_hi:[0,1]
	s_delay_alu instid0(VALU_DEP_1) | instskip(SKIP_1) | instid1(VALU_DEP_2)
	v_pk_fma_f32 v[100:101], v[46:47], v[44:45], v[48:49] op_sel_hi:[1,0,1]
	v_pk_fma_f32 v[44:45], v[46:47], v[44:45], v[48:49] neg_lo:[0,0,1] neg_hi:[0,0,1]
	v_mov_b32_e32 v45, v101
	s_delay_alu instid0(VALU_DEP_1)
	v_pk_add_f32 v[42:43], v[42:43], v[44:45]
	s_or_b32 exec_lo, exec_lo, s55
	s_and_saveexec_b32 s55, s17
	s_cbranch_execnz .LBB152_627
	s_branch .LBB152_628
.LBB152_1096:                           ;   in Loop: Header=BB152_3 Depth=1
	ds_load_b64 v[44:45], v58 offset:21344
	ds_load_b64 v[46:47], v53 offset:20808
	s_wait_dscnt 0x0
	v_dual_mul_f32 v48, v47, v45 :: v_dual_mul_f32 v45, v46, v45
	s_delay_alu instid0(VALU_DEP_1) | instskip(NEXT) | instid1(VALU_DEP_1)
	v_dual_fma_f32 v46, v46, v44, -v48 :: v_dual_fmac_f32 v45, v47, v44
	v_dual_add_f32 v42, v42, v46 :: v_dual_add_f32 v43, v43, v45
	s_or_b32 exec_lo, exec_lo, s55
	s_and_saveexec_b32 s55, s17
	s_cbranch_execz .LBB152_684
.LBB152_1097:                           ;   in Loop: Header=BB152_3 Depth=1
	ds_load_b64 v[44:45], v57 offset:21856
	ds_load_b64 v[46:47], v53 offset:20816
	s_wait_dscnt 0x0
	v_dual_mul_f32 v48, v47, v45 :: v_dual_mul_f32 v45, v46, v45
	s_delay_alu instid0(VALU_DEP_1) | instskip(NEXT) | instid1(VALU_DEP_1)
	v_dual_fma_f32 v46, v46, v44, -v48 :: v_dual_fmac_f32 v45, v47, v44
	v_dual_add_f32 v42, v42, v46 :: v_dual_add_f32 v43, v43, v45
	s_or_b32 exec_lo, exec_lo, s55
	s_and_saveexec_b32 s55, s1
	s_cbranch_execnz .LBB152_685
	s_branch .LBB152_686
.LBB152_1098:                           ;   in Loop: Header=BB152_3 Depth=1
	ds_load_b64 v[44:45], v76 offset:22400
	ds_load_b64 v[46:47], v71 offset:16728
	s_wait_dscnt 0x0
	v_dual_mul_f32 v48, v47, v45 :: v_dual_mul_f32 v45, v46, v45
	s_delay_alu instid0(VALU_DEP_1) | instskip(NEXT) | instid1(VALU_DEP_1)
	v_dual_fma_f32 v46, v46, v44, -v48 :: v_dual_fmac_f32 v45, v47, v44
	v_dual_add_f32 v42, v42, v46 :: v_dual_add_f32 v43, v43, v45
	s_or_b32 exec_lo, exec_lo, s13
	s_and_saveexec_b32 s13, s4
	s_cbranch_execz .LBB152_746
.LBB152_1099:                           ;   in Loop: Header=BB152_3 Depth=1
	ds_load_b64 v[44:45], v75 offset:22912
	ds_load_b64 v[46:47], v71 offset:16736
	s_wait_dscnt 0x0
	v_dual_mul_f32 v48, v47, v45 :: v_dual_mul_f32 v45, v46, v45
	s_delay_alu instid0(VALU_DEP_1) | instskip(NEXT) | instid1(VALU_DEP_1)
	v_dual_fma_f32 v46, v46, v44, -v48 :: v_dual_fmac_f32 v45, v47, v44
	v_dual_add_f32 v42, v42, v46 :: v_dual_add_f32 v43, v43, v45
	s_or_b32 exec_lo, exec_lo, s13
	s_and_saveexec_b32 s13, s19
	s_cbranch_execz .LBB152_747
.LBB152_1100:                           ;   in Loop: Header=BB152_3 Depth=1
	ds_load_b64 v[44:45], v76 offset:23424
	ds_load_b64 v[46:47], v71 offset:16744
	s_wait_dscnt 0x0
	v_dual_mul_f32 v48, v47, v45 :: v_dual_mul_f32 v45, v46, v45
	s_delay_alu instid0(VALU_DEP_1) | instskip(NEXT) | instid1(VALU_DEP_1)
	v_dual_fma_f32 v46, v46, v44, -v48 :: v_dual_fmac_f32 v45, v47, v44
	v_dual_add_f32 v42, v42, v46 :: v_dual_add_f32 v43, v43, v45
	s_or_b32 exec_lo, exec_lo, s13
	s_and_saveexec_b32 s13, s21
	s_cbranch_execz .LBB152_748
.LBB152_1101:                           ;   in Loop: Header=BB152_3 Depth=1
	ds_load_b64 v[44:45], v75 offset:23936
	ds_load_b64 v[46:47], v71 offset:16752
	s_wait_dscnt 0x0
	v_dual_mul_f32 v48, v47, v45 :: v_dual_mul_f32 v45, v46, v45
	s_delay_alu instid0(VALU_DEP_1) | instskip(NEXT) | instid1(VALU_DEP_1)
	v_dual_fma_f32 v46, v46, v44, -v48 :: v_dual_fmac_f32 v45, v47, v44
	v_dual_add_f32 v42, v42, v46 :: v_dual_add_f32 v43, v43, v45
	s_or_b32 exec_lo, exec_lo, s13
	s_and_saveexec_b32 s13, s3
	s_cbranch_execnz .LBB152_749
	s_branch .LBB152_750
.LBB152_1102:                           ;   in Loop: Header=BB152_3 Depth=1
	ds_load_b64 v[44:45], v58 offset:25504
	ds_load_b64 v[46:47], v53 offset:24968
	s_wait_dscnt 0x0
	v_dual_mul_f32 v48, v47, v45 :: v_dual_mul_f32 v45, v46, v45
	s_delay_alu instid0(VALU_DEP_1) | instskip(NEXT) | instid1(VALU_DEP_1)
	v_dual_fma_f32 v46, v46, v44, -v48 :: v_dual_fmac_f32 v45, v47, v44
	v_dual_add_f32 v42, v42, v46 :: v_dual_add_f32 v43, v43, v45
	s_or_b32 exec_lo, exec_lo, s55
	s_and_saveexec_b32 s55, s17
	s_cbranch_execz .LBB152_838
.LBB152_1103:                           ;   in Loop: Header=BB152_3 Depth=1
	ds_load_b64 v[44:45], v57 offset:26016
	ds_load_b64 v[46:47], v53 offset:24976
	s_wait_dscnt 0x0
	v_dual_mul_f32 v48, v47, v45 :: v_dual_mul_f32 v45, v46, v45
	s_delay_alu instid0(VALU_DEP_1) | instskip(NEXT) | instid1(VALU_DEP_1)
	v_dual_fma_f32 v46, v46, v44, -v48 :: v_dual_fmac_f32 v45, v47, v44
	v_dual_add_f32 v42, v42, v46 :: v_dual_add_f32 v43, v43, v45
	s_or_b32 exec_lo, exec_lo, s55
	s_and_saveexec_b32 s55, s1
	s_cbranch_execnz .LBB152_839
	s_branch .LBB152_840
.LBB152_1104:                           ;   in Loop: Header=BB152_3 Depth=1
	ds_load_b64 v[44:45], v67 offset:25536
	ds_load_b64 v[46:47], v62 offset:24968
	s_wait_dscnt 0x0
	v_dual_mul_f32 v48, v47, v45 :: v_dual_mul_f32 v45, v46, v45
	s_delay_alu instid0(VALU_DEP_1) | instskip(NEXT) | instid1(VALU_DEP_1)
	v_dual_fma_f32 v46, v46, v44, -v48 :: v_dual_fmac_f32 v45, v47, v44
	v_dual_add_f32 v42, v42, v46 :: v_dual_add_f32 v43, v43, v45
	s_or_b32 exec_lo, exec_lo, s55
	s_and_saveexec_b32 s55, s19
	s_cbranch_execz .LBB152_880
.LBB152_1105:                           ;   in Loop: Header=BB152_3 Depth=1
	ds_load_b64 v[44:45], v67 offset:26048
	ds_load_b64 v[46:47], v62 offset:24976
	s_wait_dscnt 0x0
	v_dual_mul_f32 v48, v47, v45 :: v_dual_mul_f32 v45, v46, v45
	s_delay_alu instid0(VALU_DEP_1) | instskip(NEXT) | instid1(VALU_DEP_1)
	v_dual_fma_f32 v46, v46, v44, -v48 :: v_dual_fmac_f32 v45, v47, v44
	v_dual_add_f32 v42, v42, v46 :: v_dual_add_f32 v43, v43, v45
	s_or_b32 exec_lo, exec_lo, s55
	s_and_saveexec_b32 s55, s20
	s_cbranch_execz .LBB152_881
.LBB152_1106:                           ;   in Loop: Header=BB152_3 Depth=1
	ds_load_b64 v[44:45], v67 offset:26560
	ds_load_b64 v[46:47], v62 offset:24984
	s_wait_dscnt 0x0
	v_dual_mul_f32 v48, v47, v45 :: v_dual_mul_f32 v45, v46, v45
	s_delay_alu instid0(VALU_DEP_1) | instskip(NEXT) | instid1(VALU_DEP_1)
	v_dual_fma_f32 v46, v46, v44, -v48 :: v_dual_fmac_f32 v45, v47, v44
	v_dual_add_f32 v42, v42, v46 :: v_dual_add_f32 v43, v43, v45
	s_or_b32 exec_lo, exec_lo, s55
	s_and_saveexec_b32 s55, s21
	s_cbranch_execz .LBB152_882
.LBB152_1107:                           ;   in Loop: Header=BB152_3 Depth=1
	ds_load_b64 v[44:45], v66 offset:27072
	ds_load_b64 v[46:47], v62 offset:24992
	s_wait_dscnt 0x0
	v_dual_mul_f32 v48, v47, v45 :: v_dual_mul_f32 v45, v46, v45
	s_delay_alu instid0(VALU_DEP_1) | instskip(NEXT) | instid1(VALU_DEP_1)
	v_dual_fma_f32 v46, v46, v44, -v48 :: v_dual_fmac_f32 v45, v47, v44
	v_dual_add_f32 v42, v42, v46 :: v_dual_add_f32 v43, v43, v45
	s_or_b32 exec_lo, exec_lo, s55
	s_and_saveexec_b32 s55, s22
	s_cbranch_execz .LBB152_883
.LBB152_1108:                           ;   in Loop: Header=BB152_3 Depth=1
	ds_load_b64 v[44:45], v67 offset:27584
	ds_load_b64 v[46:47], v62 offset:25000
	s_wait_dscnt 0x0
	v_dual_mul_f32 v48, v47, v45 :: v_dual_mul_f32 v49, v46, v45
	s_delay_alu instid0(VALU_DEP_1) | instskip(NEXT) | instid1(VALU_DEP_1)
	v_dual_fma_f32 v48, v46, v44, -v48 :: v_dual_fmac_f32 v49, v47, v44
	v_pk_add_f32 v[42:43], v[42:43], v[48:49]
	s_or_b32 exec_lo, exec_lo, s55
	s_and_saveexec_b32 s55, s3
	s_cbranch_execz .LBB152_884
.LBB152_1109:                           ;   in Loop: Header=BB152_3 Depth=1
	ds_load_b64 v[44:45], v66 offset:28096
	ds_load_b64 v[46:47], v62 offset:25008
	s_wait_dscnt 0x0
	v_pk_mul_f32 v[48:49], v[46:47], v[44:45] op_sel:[1,1] op_sel_hi:[0,1]
	s_delay_alu instid0(VALU_DEP_1) | instskip(SKIP_1) | instid1(VALU_DEP_2)
	v_pk_fma_f32 v[100:101], v[46:47], v[44:45], v[48:49] op_sel_hi:[1,0,1]
	v_pk_fma_f32 v[44:45], v[46:47], v[44:45], v[48:49] neg_lo:[0,0,1] neg_hi:[0,0,1]
	v_mov_b32_e32 v45, v101
	s_delay_alu instid0(VALU_DEP_1)
	v_pk_add_f32 v[42:43], v[42:43], v[44:45]
	s_or_b32 exec_lo, exec_lo, s55
	s_and_saveexec_b32 s55, s17
	s_cbranch_execnz .LBB152_885
	s_branch .LBB152_886
.LBB152_1110:                           ;   in Loop: Header=BB152_3 Depth=1
	ds_load_b64 v[44:45], v58 offset:29664
	ds_load_b64 v[46:47], v53 offset:29128
	s_wait_dscnt 0x0
	v_dual_mul_f32 v48, v47, v45 :: v_dual_mul_f32 v45, v46, v45
	s_delay_alu instid0(VALU_DEP_1) | instskip(NEXT) | instid1(VALU_DEP_1)
	v_dual_fma_f32 v46, v46, v44, -v48 :: v_dual_fmac_f32 v45, v47, v44
	v_dual_add_f32 v42, v42, v46 :: v_dual_add_f32 v43, v43, v45
	s_or_b32 exec_lo, exec_lo, s55
	s_and_saveexec_b32 s55, s17
	s_cbranch_execz .LBB152_942
.LBB152_1111:                           ;   in Loop: Header=BB152_3 Depth=1
	ds_load_b64 v[44:45], v57 offset:30176
	ds_load_b64 v[46:47], v53 offset:29136
	s_wait_dscnt 0x0
	v_dual_mul_f32 v48, v47, v45 :: v_dual_mul_f32 v45, v46, v45
	s_delay_alu instid0(VALU_DEP_1) | instskip(NEXT) | instid1(VALU_DEP_1)
	v_dual_fma_f32 v46, v46, v44, -v48 :: v_dual_fmac_f32 v45, v47, v44
	v_dual_add_f32 v42, v42, v46 :: v_dual_add_f32 v43, v43, v45
	s_or_b32 exec_lo, exec_lo, s55
	s_and_saveexec_b32 s55, s1
	s_cbranch_execnz .LBB152_943
	s_branch .LBB152_944
.LBB152_1112:
	s_endpgm
	.section	.rodata,"a",@progbits
	.p2align	6, 0x0
	.amdhsa_kernel _ZL19rocblas_trsv_deviceILi64ELi16ELb1ELb1ELb0ELb1E19rocblas_complex_numIfEPKS1_PKS3_PKPS1_EviT7_lllT6_T8_lllPii
		.amdhsa_group_segment_fixed_size 41480
		.amdhsa_private_segment_fixed_size 48
		.amdhsa_kernarg_size 352
		.amdhsa_user_sgpr_count 2
		.amdhsa_user_sgpr_dispatch_ptr 0
		.amdhsa_user_sgpr_queue_ptr 0
		.amdhsa_user_sgpr_kernarg_segment_ptr 1
		.amdhsa_user_sgpr_dispatch_id 0
		.amdhsa_user_sgpr_kernarg_preload_length 0
		.amdhsa_user_sgpr_kernarg_preload_offset 0
		.amdhsa_user_sgpr_private_segment_size 0
		.amdhsa_wavefront_size32 1
		.amdhsa_uses_dynamic_stack 0
		.amdhsa_enable_private_segment 1
		.amdhsa_system_sgpr_workgroup_id_x 1
		.amdhsa_system_sgpr_workgroup_id_y 0
		.amdhsa_system_sgpr_workgroup_id_z 1
		.amdhsa_system_sgpr_workgroup_info 0
		.amdhsa_system_vgpr_workitem_id 1
		.amdhsa_next_free_vgpr 109
		.amdhsa_next_free_sgpr 105
		.amdhsa_named_barrier_count 0
		.amdhsa_reserve_vcc 1
		.amdhsa_float_round_mode_32 0
		.amdhsa_float_round_mode_16_64 0
		.amdhsa_float_denorm_mode_32 3
		.amdhsa_float_denorm_mode_16_64 3
		.amdhsa_fp16_overflow 0
		.amdhsa_memory_ordered 1
		.amdhsa_forward_progress 1
		.amdhsa_inst_pref_size 255
		.amdhsa_round_robin_scheduling 0
		.amdhsa_exception_fp_ieee_invalid_op 0
		.amdhsa_exception_fp_denorm_src 0
		.amdhsa_exception_fp_ieee_div_zero 0
		.amdhsa_exception_fp_ieee_overflow 0
		.amdhsa_exception_fp_ieee_underflow 0
		.amdhsa_exception_fp_ieee_inexact 0
		.amdhsa_exception_int_div_zero 0
	.end_amdhsa_kernel
	.section	.text._ZL19rocblas_trsv_deviceILi64ELi16ELb1ELb1ELb0ELb1E19rocblas_complex_numIfEPKS1_PKS3_PKPS1_EviT7_lllT6_T8_lllPii,"axG",@progbits,_ZL19rocblas_trsv_deviceILi64ELi16ELb1ELb1ELb0ELb1E19rocblas_complex_numIfEPKS1_PKS3_PKPS1_EviT7_lllT6_T8_lllPii,comdat
.Lfunc_end152:
	.size	_ZL19rocblas_trsv_deviceILi64ELi16ELb1ELb1ELb0ELb1E19rocblas_complex_numIfEPKS1_PKS3_PKPS1_EviT7_lllT6_T8_lllPii, .Lfunc_end152-_ZL19rocblas_trsv_deviceILi64ELi16ELb1ELb1ELb0ELb1E19rocblas_complex_numIfEPKS1_PKS3_PKPS1_EviT7_lllT6_T8_lllPii
                                        ; -- End function
	.set _ZL19rocblas_trsv_deviceILi64ELi16ELb1ELb1ELb0ELb1E19rocblas_complex_numIfEPKS1_PKS3_PKPS1_EviT7_lllT6_T8_lllPii.num_vgpr, 109
	.set _ZL19rocblas_trsv_deviceILi64ELi16ELb1ELb1ELb0ELb1E19rocblas_complex_numIfEPKS1_PKS3_PKPS1_EviT7_lllT6_T8_lllPii.num_agpr, 0
	.set _ZL19rocblas_trsv_deviceILi64ELi16ELb1ELb1ELb0ELb1E19rocblas_complex_numIfEPKS1_PKS3_PKPS1_EviT7_lllT6_T8_lllPii.numbered_sgpr, 105
	.set _ZL19rocblas_trsv_deviceILi64ELi16ELb1ELb1ELb0ELb1E19rocblas_complex_numIfEPKS1_PKS3_PKPS1_EviT7_lllT6_T8_lllPii.num_named_barrier, 0
	.set _ZL19rocblas_trsv_deviceILi64ELi16ELb1ELb1ELb0ELb1E19rocblas_complex_numIfEPKS1_PKS3_PKPS1_EviT7_lllT6_T8_lllPii.private_seg_size, 48
	.set _ZL19rocblas_trsv_deviceILi64ELi16ELb1ELb1ELb0ELb1E19rocblas_complex_numIfEPKS1_PKS3_PKPS1_EviT7_lllT6_T8_lllPii.uses_vcc, 1
	.set _ZL19rocblas_trsv_deviceILi64ELi16ELb1ELb1ELb0ELb1E19rocblas_complex_numIfEPKS1_PKS3_PKPS1_EviT7_lllT6_T8_lllPii.uses_flat_scratch, 0
	.set _ZL19rocblas_trsv_deviceILi64ELi16ELb1ELb1ELb0ELb1E19rocblas_complex_numIfEPKS1_PKS3_PKPS1_EviT7_lllT6_T8_lllPii.has_dyn_sized_stack, 0
	.set _ZL19rocblas_trsv_deviceILi64ELi16ELb1ELb1ELb0ELb1E19rocblas_complex_numIfEPKS1_PKS3_PKPS1_EviT7_lllT6_T8_lllPii.has_recursion, 0
	.set _ZL19rocblas_trsv_deviceILi64ELi16ELb1ELb1ELb0ELb1E19rocblas_complex_numIfEPKS1_PKS3_PKPS1_EviT7_lllT6_T8_lllPii.has_indirect_call, 0
	.section	.AMDGPU.csdata,"",@progbits
; Kernel info:
; codeLenInByte = 40904
; TotalNumSgprs: 107
; NumVgprs: 109
; ScratchSize: 48
; MemoryBound: 0
; FloatMode: 240
; IeeeMode: 1
; LDSByteSize: 41480 bytes/workgroup (compile time only)
; SGPRBlocks: 0
; VGPRBlocks: 6
; NumSGPRsForWavesPerEU: 107
; NumVGPRsForWavesPerEU: 109
; NamedBarCnt: 0
; Occupancy: 9
; WaveLimiterHint : 1
; COMPUTE_PGM_RSRC2:SCRATCH_EN: 1
; COMPUTE_PGM_RSRC2:USER_SGPR: 2
; COMPUTE_PGM_RSRC2:TRAP_HANDLER: 0
; COMPUTE_PGM_RSRC2:TGID_X_EN: 1
; COMPUTE_PGM_RSRC2:TGID_Y_EN: 0
; COMPUTE_PGM_RSRC2:TGID_Z_EN: 1
; COMPUTE_PGM_RSRC2:TIDIG_COMP_CNT: 1
	.section	.text._ZL19rocblas_trsv_deviceILi64ELi16ELb1ELb1ELb1ELb1E19rocblas_complex_numIfEPKS1_PKS3_PKPS1_EviT7_lllT6_T8_lllPii,"axG",@progbits,_ZL19rocblas_trsv_deviceILi64ELi16ELb1ELb1ELb1ELb1E19rocblas_complex_numIfEPKS1_PKS3_PKPS1_EviT7_lllT6_T8_lllPii,comdat
	.globl	_ZL19rocblas_trsv_deviceILi64ELi16ELb1ELb1ELb1ELb1E19rocblas_complex_numIfEPKS1_PKS3_PKPS1_EviT7_lllT6_T8_lllPii ; -- Begin function _ZL19rocblas_trsv_deviceILi64ELi16ELb1ELb1ELb1ELb1E19rocblas_complex_numIfEPKS1_PKS3_PKPS1_EviT7_lllT6_T8_lllPii
	.p2align	8
	.type	_ZL19rocblas_trsv_deviceILi64ELi16ELb1ELb1ELb1ELb1E19rocblas_complex_numIfEPKS1_PKS3_PKPS1_EviT7_lllT6_T8_lllPii,@function
_ZL19rocblas_trsv_deviceILi64ELi16ELb1ELb1ELb1ELb1E19rocblas_complex_numIfEPKS1_PKS3_PKPS1_EviT7_lllT6_T8_lllPii: ; @_ZL19rocblas_trsv_deviceILi64ELi16ELb1ELb1ELb1ELb1E19rocblas_complex_numIfEPKS1_PKS3_PKPS1_EviT7_lllT6_T8_lllPii
; %bb.0:
	s_load_b32 s61, s[0:1], 0x58
	s_bfe_u32 s2, ttmp6, 0x40014
	s_lshr_b32 s3, ttmp7, 16
	s_add_co_i32 s2, s2, 1
	s_bfe_u32 s5, ttmp6, 0x40008
	s_mul_i32 s4, s3, s2
	s_getreg_b32 s2, hwreg(HW_REG_IB_STS2, 6, 4)
	s_add_co_i32 s5, s5, s4
	s_cmp_eq_u32 s2, 0
	s_mov_b32 s63, 0
	s_cselect_b32 s62, s3, s5
	s_wait_kmcnt 0x0
	s_cmp_ge_u32 s62, s61
	s_cbranch_scc1 .LBB153_1126
; %bb.1:
	s_clause 0x2
	s_load_b32 s3, s[0:1], 0x6c
	s_load_b32 s85, s[0:1], 0x60
	;; [unrolled: 1-line block ×3, first 2 shown]
	s_bfe_u32 s5, ttmp6, 0x4000c
	s_and_b32 s4, ttmp6, 15
	s_add_co_i32 s5, s5, 1
	s_clause 0x1
	s_load_b64 s[12:13], s[0:1], 0x18
	s_load_b256 s[64:71], s[0:1], 0x28
	s_mul_i32 s5, ttmp9, s5
	s_clause 0x1
	s_load_b64 s[78:79], s[0:1], 0x50
	s_load_b128 s[72:75], s[0:1], 0x8
	s_add_co_i32 s4, s4, s5
	s_cmp_eq_u32 s2, 0
	v_and_b32_e32 v4, 0x3ff, v0
	s_cselect_b32 s84, ttmp9, s4
	v_bfe_u32 v6, v0, 10, 10
	v_mov_b32_e32 v3, 0
                                        ; implicit-def: $vgpr107 : SGPR spill to VGPR lane
                                        ; implicit-def: $vgpr106 : SGPR spill to VGPR lane
	v_and_b32_e32 v77, 31, v0
	v_dual_lshlrev_b32 v1, 6, v4 :: v_dual_lshlrev_b32 v51, 3, v4
	s_delay_alu instid0(VALU_DEP_3)
	v_dual_mov_b32 v9, v3 :: v_dual_add_nc_u32 v2, 16, v6
	s_wait_kmcnt 0x0
	s_and_b32 s0, s3, 0xffff
	s_add_co_i32 s1, s76, -1
	s_ashr_i32 s77, s76, 31
	s_ashr_i32 s2, s1, 31
	s_lshr_b32 s3, s77, 26
	s_lshr_b32 s2, s2, 26
	s_add_co_i32 s3, s76, s3
	s_add_co_i32 s85, s85, -1
	s_add_co_i32 s1, s1, s2
	s_and_not1_b32 s3, s3, 63
	s_sub_co_i32 s18, s85, s84
	s_ashr_i32 s1, s1, 6
	s_sub_co_i32 s11, s76, s3
	s_cmp_eq_u32 s1, s18
	v_lshl_add_u32 v29, v6, 6, v4
	s_cselect_b32 s1, -1, 0
	s_cmp_lg_u32 s11, 0
	v_lshl_add_u32 v14, v2, 6, v4
	s_cselect_b32 s2, -1, 0
	v_cmp_gt_u32_e64 s4, 2, v4
	s_and_b32 s19, s2, s1
	s_add_nc_u64 s[2:3], s[12:13], 1
	s_xor_b32 s86, s19, -1
	s_cmp_lg_u32 s84, 0
	v_dual_add_nc_u32 v34, 32, v6 :: v_dual_add_nc_u32 v36, 48, v6
	s_cselect_b32 s1, -1, 0
	s_lshl_b32 s16, s18, 6
	s_cmp_lt_i32 s84, 5
	v_dual_add_nc_u32 v24, s16, v6 :: v_dual_add_nc_u32 v20, s16, v4
	v_add_nc_u32_e32 v5, v6, v1
	v_add_nc_u32_e32 v7, v2, v1
	s_cselect_b32 vcc_lo, -1, 0
	s_delay_alu instid0(VALU_DEP_3) | instskip(NEXT) | instid1(VALU_DEP_3)
	v_add_nc_u32_e32 v10, 64, v24
	v_dual_cndmask_b32 v30, v29, v5 :: v_dual_ashrrev_i32 v21, 31, v20
	s_or_b32 vcc_lo, vcc_lo, s19
	s_delay_alu instid0(SALU_CYCLE_1) | instskip(NEXT) | instid1(VALU_DEP_3)
	v_dual_cndmask_b32 v32, v14, v7, vcc_lo :: v_dual_bitop2_b32 v5, 1, v0 bitop3:0x40
	v_dual_ashrrev_i32 v11, 31, v10 :: v_dual_lshrrev_b32 v7, 10, v0
	v_lshrrev_b32_e32 v14, 1, v29
	s_ashr_i32 s17, s16, 31
	v_writelane_b32 v107, s1, 0
	s_mul_u64 s[14:15], s[2:3], s[16:17]
	v_cmp_eq_u32_e64 s3, 1, v5
	v_lshlrev_b32_e32 v15, 3, v5
	v_bitop3_b32 v31, v0, v7, 0x3ff bitop3:0xa8
	v_cmp_gt_u32_e64 s1, 4, v29
	v_lshrrev_b32_e32 v7, 2, v29
	s_xor_b32 s2, s3, -1
	v_lshl_add_u32 v5, v14, 3, 0x8000
	v_lshl_or_b32 v49, v14, 9, v15
	v_mul_u32_u24_e32 v50, 0x208, v14
	s_and_b32 s89, s2, s1
	v_cmp_eq_u32_e64 s2, 0, v6
	v_dual_lshlrev_b32 v15, 3, v7 :: v_dual_bitop2_b32 v14, 3, v0 bitop3:0x40
	v_mul_u32_u24_e32 v52, 0x208, v7
	s_and_b32 s90, s3, s1
	s_and_b32 s91, s2, s4
	s_delay_alu instid0(VALU_DEP_2)
	v_lshlrev_b32_e32 v53, 3, v14
	v_cmp_gt_u32_e64 s3, 16, v29
	v_sub_nc_u32_e32 v16, v52, v15
	v_cmp_eq_u32_e64 s4, 0, v14
	v_cmp_ne_u32_e64 s5, 0, v14
	v_lshl_or_b32 v56, v7, 9, v53
	v_cmp_eq_u32_e64 s7, 1, v14
	v_cmp_lt_u32_e64 s8, 1, v14
	v_cmp_eq_u32_e64 s9, 2, v14
	s_and_b32 s92, s4, s3
	s_and_b32 s93, s5, s3
	v_cmp_eq_u32_e64 s4, 3, v14
	v_lshrrev_b32_e32 v7, 3, v29
	v_dual_add_nc_u32 v57, v16, v53 :: v_dual_bitop2_b32 v14, 7, v0 bitop3:0x40
	v_cmp_gt_u32_e64 s5, 4, v4
	s_and_b32 s94, s7, s3
	s_and_b32 s97, s4, s3
	v_cmp_gt_u32_e64 s4, 64, v29
	v_cmp_ne_u32_e64 s7, 0, v14
	s_and_b32 s98, s2, s5
	v_cmp_eq_u32_e64 s5, 0, v14
	s_and_b32 s95, s8, s3
	v_cmp_eq_u32_e64 s8, 1, v14
	s_and_b32 s100, s7, s4
	v_cmp_lt_u32_e64 s7, 2, v14
	s_and_b32 s99, s5, s4
	v_cmp_eq_u32_e64 s5, 2, v14
	s_and_b32 s96, s9, s3
	v_cmp_lt_u32_e64 s9, 1, v14
	s_and_b32 s104, s7, s4
	v_cmp_lt_u32_e64 s7, 4, v14
	s_and_b32 s103, s5, s4
	v_cmp_lt_u32_e64 s5, 3, v14
	s_and_b32 s101, s8, s4
	v_cmp_eq_u32_e64 s8, 3, v14
	s_and_b32 s40, s7, s4
	v_cmp_eq_u32_e64 s7, 6, v14
	;; [unrolled: 2-line block ×3, first 2 shown]
	v_mul_u32_u24_e32 v60, 0x208, v7
	v_lshlrev_b32_e32 v62, 3, v14
	s_and_b32 s102, s9, s4
	v_cmp_eq_u32_e64 s9, 4, v14
	s_and_b32 vcc_hi, s8, s4
	v_cmp_lt_u32_e64 s8, 5, v14
	s_and_b32 s41, s5, s4
	v_cmp_eq_u32_e64 s5, 7, v14
	s_and_b32 s43, s7, s4
	v_cmp_gt_u32_e64 s7, 8, v4
	v_and_b32_e32 v14, 15, v0
	s_and_b32 s42, s8, s4
	s_and_b32 s44, s5, s4
	v_cmp_gt_u32_e64 s5, 0x100, v29
	s_and_b32 s45, s2, s7
	v_cmp_eq_u32_e64 s7, 0, v14
	v_cmp_ne_u32_e64 s8, 0, v14
	s_and_b32 s38, s9, s4
	v_cmp_eq_u32_e64 s9, 1, v14
	v_cmp_lt_u32_e64 s10, 3, v14
	s_and_b32 s7, s7, s5
	s_and_b32 s8, s8, s5
	v_writelane_b32 v107, s7, 1
	v_cmp_lt_u32_e64 s7, 1, v14
	v_dual_lshlrev_b32 v73, 3, v14 :: v_dual_add_nc_u32 v0, v34, v1
	v_add_nc_u32_e32 v1, v36, v1
	v_writelane_b32 v107, s8, 2
	s_and_b32 s8, s9, s5
	s_and_b32 s7, s7, s5
	v_cmp_lt_u32_e64 s9, 2, v14
	v_mad_u32_u24 v8, v6, s0, v4
	v_writelane_b32 v107, s8, 3
	v_cmp_eq_u32_e64 s8, 2, v14
	v_cmp_gt_i32_e64 s6, s11, v4
	v_dual_mov_b32 v35, v3 :: v_dual_lshrrev_b32 v28, 5, v29
	v_writelane_b32 v107, s7, 4
	s_and_b32 s8, s8, s5
	v_cmp_eq_u32_e64 s7, 3, v14
	v_mov_b32_e32 v37, v3
	s_xor_b32 s88, vcc_lo, -1
	v_writelane_b32 v107, s8, 5
	s_and_b32 s8, s9, s5
	s_and_b32 s7, s7, s5
	v_cmp_eq_u32_e64 s9, 5, v14
	v_cmp_gt_i32_e64 s0, s76, v20
	v_writelane_b32 v107, s8, 6
	v_cmp_eq_u32_e64 s8, 4, v14
	v_mul_u64_e32 v[12:13], s[12:13], v[20:21]
	v_add_nc_u32_e32 v27, 0x60, v24
	v_add_nc_u64_e32 v[22:23], s[16:17], v[8:9]
	v_writelane_b32 v107, s7, 7
	s_and_b32 s7, s10, s5
	s_and_b32 s8, s8, s5
	v_cmp_eq_u32_e64 s10, 6, v14
	v_dual_lshlrev_b32 v82, 3, v77 :: v_dual_bitop2_b32 v39, v34, v4 bitop3:0x54
	v_writelane_b32 v107, s7, 8
	v_cmp_lt_u32_e64 s7, 4, v14
	s_and_b32 s58, s10, s5
	v_cmp_lt_u32_e64 s10, 8, v14
	v_cmp_gt_u32_e64 s34, 0xf0, v29
	v_writelane_b32 v107, s8, 9
	s_and_b32 s7, s7, s5
	v_cmp_lt_u32_e64 s8, 5, v14
	s_and_b32 s26, s10, s5
	v_cmp_eq_u32_e64 s10, 11, v14
	v_writelane_b32 v107, s7, 10
	s_and_b32 s7, s9, s5
	s_and_b32 s57, s8, s5
	v_cmp_eq_u32_e64 s8, 7, v14
	v_cmp_lt_u32_e64 s9, 7, v14
	v_writelane_b32 v107, s7, 11
	v_cmp_lt_u32_e64 s7, 6, v14
	s_and_b32 s23, s10, s5
	s_and_b32 s60, s8, s5
	v_cmp_eq_u32_e64 s8, 9, v14
	s_and_b32 s22, s9, s5
	s_and_b32 s59, s7, s5
	v_cmp_eq_u32_e64 s7, 8, v14
	v_cmp_eq_u32_e64 s9, 10, v14
	s_and_b32 s28, s8, s5
	v_cmp_lt_u32_e64 s8, 10, v14
	v_cmp_lt_u32_e64 s10, 13, v14
	s_and_b32 s24, s7, s5
	v_cmp_lt_u32_e64 s7, 9, v14
	s_and_b32 s33, s9, s5
	s_and_b32 s39, s8, s5
	v_cmp_eq_u32_e64 s8, 12, v14
	v_cmp_lt_u32_e64 s9, 12, v14
	s_and_b32 s30, s7, s5
	v_cmp_lt_u32_e64 s7, 11, v14
	s_and_b32 s87, s10, s5
	s_and_b32 s27, s8, s5
	v_cmp_eq_u32_e64 s8, 14, v14
	v_cmp_gt_u32_e64 s10, 32, v4
	s_and_b32 s25, s7, s5
	v_cmp_eq_u32_e64 s7, 13, v14
	s_and_b32 s29, s9, s5
	s_and_b32 s46, s8, s5
	v_cmp_le_i32_e64 s8, s11, v4
	v_cmp_gt_u32_e64 s9, 16, v4
	s_and_b32 s31, s7, s5
	v_cmp_eq_u32_e64 s7, 15, v14
	v_lshl_add_u32 v14, v36, 6, v4
	v_add_nc_u32_e32 v55, 0x8000, v15
	v_and_b32_e32 v15, -8, v29
	s_and_b32 s49, s8, s19
	s_and_b32 s47, s7, s5
	;; [unrolled: 1-line block ×4, first 2 shown]
	v_sub_nc_u32_e32 v16, v60, v15
	v_lshl_or_b32 v65, v7, 9, v62
	v_lshrrev_b32_e32 v7, 4, v29
	v_writelane_b32 v107, s7, 12
	s_xor_b32 s7, s49, -1
	v_add_nc_u32_e32 v66, v16, v62
	v_add_nc_u32_e32 v64, 0x8000, v15
	v_lshlrev_b32_e32 v15, 3, v7
	v_mul_u32_u24_e32 v71, 0x208, v7
	s_and_b32 s50, s2, s7
	v_cmp_le_i32_e64 s7, s11, v6
	v_cmp_le_i32_e64 s9, s11, v2
	v_add_nc_u32_e32 v74, 0x8000, v15
	v_sub_nc_u32_e32 v15, v71, v15
	v_lshl_or_b32 v75, v7, 9, v73
	v_lshl_add_u32 v7, v34, 6, v4
	v_cmp_le_i32_e64 s10, s11, v34
	v_cmp_le_i32_e64 s11, s11, v36
	v_add_nc_u32_e32 v76, v15, v73
	v_add_nc_u32_e32 v15, 0x50, v24
	v_cndmask_b32_e32 v33, v7, v0, vcc_lo
	v_mov_b32_e32 v7, v3
	s_cmp_gt_i32 s84, 0
	v_cndmask_b32_e32 v38, v14, v1, vcc_lo
	v_cmp_gt_i32_e32 vcc_lo, s76, v15
	v_mul_u64_e32 v[14:15], s[12:13], v[2:3]
	v_mul_u64_e32 v[0:1], s[12:13], v[6:7]
	;; [unrolled: 1-line block ×3, first 2 shown]
	v_add_nc_u32_e32 v24, 0x70, v24
	v_mul_u64_e32 v[18:19], s[12:13], v[36:37]
	s_cselect_b32 s12, -1, 0
	s_or_b32 s13, s7, s8
	s_or_b32 s9, s9, s8
	;; [unrolled: 1-line block ×4, first 2 shown]
	v_cmp_gt_i32_e64 s8, s76, v10
	s_and_b32 s6, s2, s6
	v_cmp_gt_i32_e64 s7, s76, v27
	v_writelane_b32 v107, s6, 13
	v_dual_lshlrev_b32 v88, 3, v33 :: v_dual_bitop2_b32 v41, v2, v4 bitop3:0x54
	s_and_b32 s6, s8, s0
	s_lshl_b64 s[80:81], s[14:15], 3
	v_writelane_b32 v107, s6, 14
	s_and_b32 s6, vcc_lo, s0
	v_cmp_gt_i32_e32 vcc_lo, s76, v24
	v_cmp_gt_u32_e64 s14, 64, v31
	v_cmp_gt_u32_e64 s51, 0x3e0, v29
	v_writelane_b32 v107, s6, 15
	s_and_b32 s6, s7, s0
	v_cmp_le_u32_e64 s7, v4, v2
	v_dual_lshlrev_b32 v86, 3, v30 :: v_dual_bitop2_b32 v40, v36, v4 bitop3:0x54
	v_writelane_b32 v107, s6, 16
	s_and_b32 s6, vcc_lo, s0
	v_mad_u32_u24 v54, 0x1f8, v4, v51
	v_mul_u64_e32 v[20:21], s[70:71], v[20:21]
	v_mul_u64_e32 v[22:23], s[70:71], v[22:23]
	v_writelane_b32 v107, s6, 17
	v_cmp_le_u32_e64 s6, v4, v6
	v_mad_i32_i24 v58, 0xfffffe08, v4, v54
	v_mul_u32_u24_e32 v25, 0x1f8, v4
	v_mul_i32_i24_e32 v26, 0xfffffe08, v4
	v_dual_lshlrev_b32 v9, 9, v28 :: v_dual_lshlrev_b32 v37, 3, v6
	s_or_b32 s8, s13, s6
	v_mad_u32_u24 v59, 0x1f8, v4, v58
	v_writelane_b32 v107, s8, 18
	s_or_b32 s8, s9, s7
	v_lshlrev_b32_e32 v7, 3, v28
	v_add_lshl_u32 v35, v25, v26, 2
	v_mad_i32_i24 v61, 0xfffffe08, v4, v59
	v_writelane_b32 v107, s8, 19
	v_cmp_le_u32_e64 s8, v4, v34
	v_or_b32_e32 v81, 0xa000, v37
	v_mov_b64_e32 v[24:25], 0
	v_mad_u32_u24 v63, 0x1f8, v4, v61
	v_mov_b64_e32 v[26:27], 0x3f800000
	s_or_b32 s9, s10, s8
	v_cmp_lt_u32_e32 vcc_lo, 0x3ff, v29
	v_writelane_b32 v107, s9, 20
	v_cmp_le_u32_e64 s9, v4, v36
	v_mad_i32_i24 v67, 0xfffffe08, v4, v63
	s_add_co_i32 s11, s18, 1
	v_add_nc_u32_e32 v83, 0x8000, v7
	v_dual_lshlrev_b32 v87, 3, v32 :: v_dual_bitop2_b32 v84, v9, v82 bitop3:0x54
	s_or_b32 s10, s16, s9
	v_mad_u32_u24 v68, 0x1f8, v4, v67
	v_writelane_b32 v107, s10, 21
	v_lshl_add_u32 v85, v8, 3, 0xa000
	v_lshl_add_u32 v90, v29, 3, 0x8000
	v_add_nc_u32_e32 v92, 0x8000, v51
	v_mad_i32_i24 v69, 0xfffffe08, v4, v68
	v_writelane_b32 v107, s14, 22
	v_cmp_gt_u32_e64 s14, 64, v41
	v_dual_add_nc_u32 v94, v81, v51 :: v_dual_lshlrev_b32 v2, 3, v4
	s_delay_alu instid0(VALU_DEP_4) | instskip(SKIP_1) | instid1(VALU_DEP_4)
	v_mad_u32_u24 v70, 0x1f8, v4, v69
	v_add3_u32 v95, v51, v35, 0x7800
	v_writelane_b32 v107, s14, 23
	v_cmp_gt_u32_e64 s14, 64, v39
	v_or_b32_e32 v96, 0x4100, v82
	v_mad_i32_i24 v72, 0xfffffe08, v4, v70
	v_subrev_nc_u32_e32 v97, 63, v4
	v_cmp_eq_u32_e64 s10, 0, v31
	v_writelane_b32 v107, s14, 24
	v_cmp_gt_u32_e64 s14, 2, v29
	v_mad_u32_u24 v78, 0x1f8, v4, v72
	v_lshl_add_u32 v93, v6, 9, v72
	v_cmp_gt_u32_e64 s15, 12, v29
	v_writelane_b32 v107, s34, 25
	v_cmp_gt_u32_e64 s34, 0xe0, v29
	v_mad_i32_i24 v79, 0xfffffe08, v4, v78
	v_cmp_gt_u32_e64 s16, 8, v29
	v_cmp_gt_u32_e64 s17, 56, v29
	;; [unrolled: 1-line block ×3, first 2 shown]
	v_writelane_b32 v107, s34, 26
	v_cmp_gt_u32_e64 s34, 0xd0, v29
	v_mad_u32_u24 v80, 0x1f8, v4, v79
	v_lshlrev_b32_e32 v89, 3, v38
	v_cmp_gt_u32_e64 s19, 40, v29
	v_cmp_gt_u32_e64 s20, 32, v29
	v_writelane_b32 v107, s34, 27
	v_cmp_gt_u32_e64 s34, 0xc0, v29
	v_add_nc_u32_e32 v91, v80, v37
	v_cmp_gt_u32_e64 s21, 24, v29
	v_cmp_eq_u32_e64 s35, 0, v8
	v_cmp_gt_u32_e64 s36, 64, v8
	v_writelane_b32 v107, s34, 28
	v_cmp_gt_u32_e64 s34, 0xb0, v29
	s_xor_b32 s13, vcc_lo, -1
	s_lshl_b64 s[74:75], s[74:75], 3
	s_lshl_b64 s[68:69], s[68:69], 3
                                        ; implicit-def: $vgpr28
                                        ; implicit-def: $vgpr30
                                        ; implicit-def: $vgpr32
                                        ; implicit-def: $vgpr34
	v_writelane_b32 v107, s34, 29
	v_cmp_gt_u32_e64 s34, 0xa0, v29
	s_delay_alu instid0(VALU_DEP_1) | instskip(SKIP_1) | instid1(VALU_DEP_1)
	v_writelane_b32 v107, s34, 30
	v_cmp_gt_u32_e64 s34, 0x90, v29
	v_writelane_b32 v107, s34, 31
	v_cmp_gt_u32_e64 s34, 0x80, v29
	s_delay_alu instid0(VALU_DEP_1) | instskip(SKIP_1) | instid1(VALU_DEP_1)
	v_writelane_b32 v106, s34, 0
	v_cmp_gt_u32_e64 s34, 0x70, v29
	;; [unrolled: 5-line block ×3, first 2 shown]
	v_writelane_b32 v106, s34, 3
	v_cmp_gt_u32_e64 s34, 0x400, v29
	v_writelane_b32 v106, s51, 4
	v_cmp_gt_u32_e64 s51, 0x3c0, v29
	s_delay_alu instid0(VALU_DEP_1) | instskip(SKIP_1) | instid1(VALU_DEP_1)
	v_writelane_b32 v106, s51, 5
	v_cmp_gt_u32_e64 s51, 64, v40
	v_writelane_b32 v106, s51, 6
	v_cmp_gt_u32_e64 s51, 0x3a0, v29
	s_delay_alu instid0(VALU_DEP_1) | instskip(SKIP_1) | instid1(VALU_DEP_1)
	;; [unrolled: 5-line block ×11, first 2 shown]
	v_writelane_b32 v106, s51, 25
	v_cmp_gt_u32_e64 s51, 0x140, v29
	v_writelane_b32 v106, s51, 26
	v_cmp_gt_u32_e64 s51, 0x120, v29
	s_delay_alu instid0(VALU_DEP_1)
	v_writelane_b32 v106, s51, 27
	s_branch .LBB153_3
.LBB153_2:                              ;   in Loop: Header=BB153_3 Depth=1
	s_wait_xcnt 0x0
	s_or_b32 exec_lo, exec_lo, s51
	s_add_co_i32 s62, s62, 0x10000
	global_wb scope:SCOPE_DEV
	s_wait_storecnt 0x0
	global_inv scope:SCOPE_DEV
	s_cmp_lt_u32 s62, s61
	s_cbranch_scc0 .LBB153_1126
.LBB153_3:                              ; =>This Loop Header: Depth=1
                                        ;     Child Loop BB153_537 Depth 2
                                        ;     Child Loop BB153_986 Depth 2
                                        ;       Child Loop BB153_988 Depth 3
                                        ;     Child Loop BB153_1032 Depth 2
	v_mov_b32_e32 v38, s62
	v_readlane_b32 s51, v107, 0
	s_clause 0x1
	global_load_b64 v[36:37], v38, s[72:73] scale_offset
	global_load_b64 v[40:41], v38, s[66:67] scale_offset
	global_load_b64 v[38:39], v3, s[64:65]
	s_and_not1_b32 vcc_lo, exec_lo, s51
	s_wait_loadcnt 0x2
	v_add_nc_u64_e32 v[42:43], s[74:75], v[36:37]
	s_delay_alu instid0(VALU_DEP_1)
	v_lshl_add_u64 v[36:37], v[12:13], 3, v[42:43]
	s_cbranch_vccnz .LBB153_13
; %bb.4:                                ;   in Loop: Header=BB153_3 Depth=1
	s_delay_alu instid0(VALU_DEP_1)
	v_lshl_add_u64 v[44:45], v[10:11], 3, v[36:37]
	v_dual_mov_b32 v30, 0 :: v_dual_mov_b32 v28, 0
	v_mov_b32_e32 v29, 0
	s_wait_loadcnt 0x0
	s_barrier_signal -1
	s_barrier_wait -1
	s_wait_xcnt 0x0
	s_mov_b32 s51, exec_lo
	v_readlane_b32 s52, v107, 14
	s_and_b32 s52, s51, s52
	s_delay_alu instid0(SALU_CYCLE_1)
	s_mov_b32 exec_lo, s52
	s_cbranch_execz .LBB153_6
; %bb.5:                                ;   in Loop: Header=BB153_3 Depth=1
	flat_load_b64 v[28:29], v[44:45]
.LBB153_6:                              ;   in Loop: Header=BB153_3 Depth=1
	s_wait_xcnt 0x0
	s_or_b32 exec_lo, exec_lo, s51
	v_mov_b32_e32 v31, 0
	s_wait_loadcnt_dscnt 0x0
	s_barrier_signal -1
	s_barrier_wait -1
	s_mov_b32 s51, exec_lo
	v_readlane_b32 s52, v107, 15
	s_and_b32 s52, s51, s52
	s_delay_alu instid0(SALU_CYCLE_1)
	s_mov_b32 exec_lo, s52
	s_cbranch_execz .LBB153_8
; %bb.7:                                ;   in Loop: Header=BB153_3 Depth=1
	flat_load_b64 v[30:31], v[44:45] offset:128
.LBB153_8:                              ;   in Loop: Header=BB153_3 Depth=1
	s_wait_xcnt 0x0
	s_or_b32 exec_lo, exec_lo, s51
	v_dual_mov_b32 v35, 0 :: v_dual_mov_b32 v32, 0
	v_mov_b32_e32 v33, 0
	s_wait_loadcnt_dscnt 0x0
	s_barrier_signal -1
	s_barrier_wait -1
	s_mov_b32 s51, exec_lo
	v_readlane_b32 s52, v107, 16
	s_and_b32 s52, s51, s52
	s_delay_alu instid0(SALU_CYCLE_1)
	s_mov_b32 exec_lo, s52
	s_cbranch_execz .LBB153_10
; %bb.9:                                ;   in Loop: Header=BB153_3 Depth=1
	flat_load_b64 v[32:33], v[44:45] offset:256
.LBB153_10:                             ;   in Loop: Header=BB153_3 Depth=1
	s_wait_xcnt 0x0
	s_or_b32 exec_lo, exec_lo, s51
	v_mov_b32_e32 v34, 0
	s_wait_loadcnt_dscnt 0x0
	s_barrier_signal -1
	s_barrier_wait -1
	s_mov_b32 s51, exec_lo
	v_readlane_b32 s52, v107, 17
	s_and_b32 s52, s51, s52
	s_delay_alu instid0(SALU_CYCLE_1)
	s_mov_b32 exec_lo, s52
	s_cbranch_execz .LBB153_12
; %bb.11:                               ;   in Loop: Header=BB153_3 Depth=1
	flat_load_b64 v[34:35], v[44:45] offset:384
.LBB153_12:                             ;   in Loop: Header=BB153_3 Depth=1
	s_wait_xcnt 0x0
	s_or_b32 exec_lo, exec_lo, s51
.LBB153_13:                             ;   in Loop: Header=BB153_3 Depth=1
	v_add_nc_u64_e32 v[42:43], s[80:81], v[42:43]
	s_and_not1_b32 vcc_lo, exec_lo, s86
	s_mov_b32 s51, -1
	s_delay_alu instid0(VALU_DEP_1)
	v_add_nc_u64_e32 v[42:43], v[42:43], v[2:3]
	s_cbranch_vccnz .LBB153_24
; %bb.14:                               ;   in Loop: Header=BB153_3 Depth=1
	s_wait_xcnt 0x0
	s_and_saveexec_b32 s51, s6
	s_delay_alu instid0(SALU_CYCLE_1)
	s_xor_b32 s51, exec_lo, s51
	s_cbranch_execnz .LBB153_1054
; %bb.15:                               ;   in Loop: Header=BB153_3 Depth=1
	s_and_not1_saveexec_b32 s51, s51
	s_cbranch_execnz .LBB153_1057
.LBB153_16:                             ;   in Loop: Header=BB153_3 Depth=1
	s_or_b32 exec_lo, exec_lo, s51
	s_and_saveexec_b32 s51, s7
	s_delay_alu instid0(SALU_CYCLE_1)
	s_xor_b32 s51, exec_lo, s51
	s_cbranch_execnz .LBB153_1058
.LBB153_17:                             ;   in Loop: Header=BB153_3 Depth=1
	s_and_not1_saveexec_b32 s51, s51
	s_cbranch_execnz .LBB153_1061
.LBB153_18:                             ;   in Loop: Header=BB153_3 Depth=1
	s_or_b32 exec_lo, exec_lo, s51
	s_and_saveexec_b32 s51, s8
	s_delay_alu instid0(SALU_CYCLE_1)
	s_xor_b32 s51, exec_lo, s51
	s_cbranch_execnz .LBB153_1062
.LBB153_19:                             ;   in Loop: Header=BB153_3 Depth=1
	s_and_not1_saveexec_b32 s51, s51
	s_cbranch_execnz .LBB153_1065
.LBB153_20:                             ;   in Loop: Header=BB153_3 Depth=1
	s_or_b32 exec_lo, exec_lo, s51
	s_and_saveexec_b32 s51, s9
	s_delay_alu instid0(SALU_CYCLE_1)
	s_xor_b32 s51, exec_lo, s51
	s_cbranch_execnz .LBB153_1066
.LBB153_21:                             ;   in Loop: Header=BB153_3 Depth=1
	s_and_not1_saveexec_b32 s51, s51
	s_cbranch_execz .LBB153_23
.LBB153_22:                             ;   in Loop: Header=BB153_3 Depth=1
	v_lshl_add_u64 v[44:45], v[18:19], 3, v[42:43]
	flat_load_b64 v[44:45], v[44:45]
	s_wait_loadcnt_dscnt 0x0
	v_xor_b32_e32 v44, 0x80000000, v44
	ds_store_b64 v89, v[44:45]
.LBB153_23:                             ;   in Loop: Header=BB153_3 Depth=1
	s_or_b32 exec_lo, exec_lo, s51
	s_mov_b32 s51, 0
.LBB153_24:                             ;   in Loop: Header=BB153_3 Depth=1
	s_delay_alu instid0(SALU_CYCLE_1)
	s_and_b32 vcc_lo, exec_lo, s51
	s_cbranch_vccz .LBB153_50
; %bb.25:                               ;   in Loop: Header=BB153_3 Depth=1
	s_wait_xcnt 0x0
	s_mov_b32 s51, exec_lo
	v_readlane_b32 s52, v107, 18
	s_and_b32 s52, s51, s52
	s_delay_alu instid0(SALU_CYCLE_1)
	s_xor_b32 s51, s52, s51
	s_mov_b32 exec_lo, s52
	s_cbranch_execz .LBB153_29
; %bb.26:                               ;   in Loop: Header=BB153_3 Depth=1
	s_mov_b32 s52, exec_lo
	v_readlane_b32 s53, v107, 22
	s_and_b32 s53, s52, s53
	s_delay_alu instid0(SALU_CYCLE_1)
	s_mov_b32 exec_lo, s53
; %bb.27:                               ;   in Loop: Header=BB153_3 Depth=1
	ds_store_b64 v91, v[24:25]
; %bb.28:                               ;   in Loop: Header=BB153_3 Depth=1
	s_or_b32 exec_lo, exec_lo, s52
.LBB153_29:                             ;   in Loop: Header=BB153_3 Depth=1
	s_and_not1_saveexec_b32 s51, s51
	s_cbranch_execz .LBB153_31
; %bb.30:                               ;   in Loop: Header=BB153_3 Depth=1
	v_lshl_add_u64 v[44:45], v[0:1], 3, v[42:43]
	flat_load_b64 v[44:45], v[44:45]
	s_wait_loadcnt_dscnt 0x0
	v_xor_b32_e32 v44, 0x80000000, v44
	ds_store_b64 v91, v[44:45]
.LBB153_31:                             ;   in Loop: Header=BB153_3 Depth=1
	s_or_b32 exec_lo, exec_lo, s51
	s_delay_alu instid0(SALU_CYCLE_1) | instskip(SKIP_2) | instid1(SALU_CYCLE_1)
	s_mov_b32 s51, exec_lo
	v_readlane_b32 s52, v107, 19
	s_and_b32 s52, s51, s52
	s_xor_b32 s51, s52, s51
	s_mov_b32 exec_lo, s52
	s_cbranch_execz .LBB153_35
; %bb.32:                               ;   in Loop: Header=BB153_3 Depth=1
	s_mov_b32 s52, exec_lo
	v_readlane_b32 s53, v107, 23
	s_and_b32 s53, s52, s53
	s_delay_alu instid0(SALU_CYCLE_1)
	s_mov_b32 exec_lo, s53
; %bb.33:                               ;   in Loop: Header=BB153_3 Depth=1
	ds_store_b64 v87, v[24:25]
; %bb.34:                               ;   in Loop: Header=BB153_3 Depth=1
	s_or_b32 exec_lo, exec_lo, s52
.LBB153_35:                             ;   in Loop: Header=BB153_3 Depth=1
	s_and_not1_saveexec_b32 s51, s51
	s_cbranch_execz .LBB153_37
; %bb.36:                               ;   in Loop: Header=BB153_3 Depth=1
	v_lshl_add_u64 v[44:45], v[14:15], 3, v[42:43]
	flat_load_b64 v[44:45], v[44:45]
	s_wait_loadcnt_dscnt 0x0
	v_xor_b32_e32 v44, 0x80000000, v44
	ds_store_b64 v87, v[44:45]
.LBB153_37:                             ;   in Loop: Header=BB153_3 Depth=1
	s_or_b32 exec_lo, exec_lo, s51
	s_delay_alu instid0(SALU_CYCLE_1) | instskip(SKIP_2) | instid1(SALU_CYCLE_1)
	s_mov_b32 s51, exec_lo
	v_readlane_b32 s52, v107, 20
	s_and_b32 s52, s51, s52
	;; [unrolled: 28-line block ×3, first 2 shown]
	s_xor_b32 s51, s52, s51
	s_mov_b32 exec_lo, s52
	s_cbranch_execz .LBB153_47
; %bb.44:                               ;   in Loop: Header=BB153_3 Depth=1
	s_mov_b32 s52, exec_lo
	v_readlane_b32 s53, v106, 6
	s_and_b32 s53, s52, s53
	s_delay_alu instid0(SALU_CYCLE_1)
	s_mov_b32 exec_lo, s53
; %bb.45:                               ;   in Loop: Header=BB153_3 Depth=1
	ds_store_b64 v89, v[24:25]
; %bb.46:                               ;   in Loop: Header=BB153_3 Depth=1
	s_or_b32 exec_lo, exec_lo, s52
                                        ; implicit-def: $vgpr42_vgpr43
.LBB153_47:                             ;   in Loop: Header=BB153_3 Depth=1
	s_and_not1_saveexec_b32 s51, s51
	s_cbranch_execz .LBB153_49
; %bb.48:                               ;   in Loop: Header=BB153_3 Depth=1
	v_lshl_add_u64 v[42:43], v[18:19], 3, v[42:43]
	flat_load_b64 v[42:43], v[42:43]
	s_wait_loadcnt_dscnt 0x0
	v_xor_b32_e32 v42, 0x80000000, v42
	ds_store_b64 v89, v[42:43]
.LBB153_49:                             ;   in Loop: Header=BB153_3 Depth=1
	s_or_b32 exec_lo, exec_lo, s51
.LBB153_50:                             ;   in Loop: Header=BB153_3 Depth=1
	s_delay_alu instid0(SALU_CYCLE_1)
	s_and_not1_b32 vcc_lo, exec_lo, s88
	s_wait_loadcnt_dscnt 0x0
	s_barrier_signal -1
	s_barrier_wait -1
	s_cbranch_vccnz .LBB153_980
; %bb.51:                               ;   in Loop: Header=BB153_3 Depth=1
	s_and_saveexec_b32 s51, s10
	s_cbranch_execz .LBB153_53
; %bb.52:                               ;   in Loop: Header=BB153_3 Depth=1
	ds_load_b64 v[42:43], v3 offset:8
	ds_store_b64 v3, v[26:27] offset:520
	s_wait_dscnt 0x1
	ds_store_2addr_stride64_b64 v3, v[26:27], v[42:43] offset1:1
.LBB153_53:                             ;   in Loop: Header=BB153_3 Depth=1
	s_or_b32 exec_lo, exec_lo, s51
	v_mov_b64_e32 v[42:43], 0
	s_wait_dscnt 0x0
	s_barrier_signal -1
	s_barrier_wait -1
	s_and_saveexec_b32 s51, s1
	s_cbranch_execz .LBB153_57
; %bb.54:                               ;   in Loop: Header=BB153_3 Depth=1
	ds_load_b64 v[42:43], v49 offset:16
	ds_load_b64 v[44:45], v50
	s_wait_dscnt 0x0
	v_pk_mul_f32 v[46:47], v[44:45], v[42:43] op_sel:[1,1] op_sel_hi:[0,1]
	s_delay_alu instid0(VALU_DEP_1) | instskip(SKIP_1) | instid1(VALU_DEP_2)
	v_pk_fma_f32 v[98:99], v[44:45], v[42:43], v[46:47] op_sel_hi:[1,0,1]
	v_pk_fma_f32 v[42:43], v[44:45], v[42:43], v[46:47] neg_lo:[0,0,1] neg_hi:[0,0,1]
	v_mov_b32_e32 v43, v99
	s_delay_alu instid0(VALU_DEP_1)
	v_pk_add_f32 v[42:43], v[42:43], 0 op_sel_hi:[1,0]
	s_and_saveexec_b32 s52, s14
	s_cbranch_execz .LBB153_56
; %bb.55:                               ;   in Loop: Header=BB153_3 Depth=1
	ds_load_b64 v[44:45], v51 offset:528
	ds_load_b64 v[46:47], v3 offset:8
	s_wait_dscnt 0x0
	v_pk_mul_f32 v[98:99], v[46:47], v[44:45] op_sel:[1,1] op_sel_hi:[0,1]
	s_delay_alu instid0(VALU_DEP_1) | instskip(SKIP_1) | instid1(VALU_DEP_2)
	v_pk_fma_f32 v[100:101], v[46:47], v[44:45], v[98:99] op_sel_hi:[1,0,1]
	v_pk_fma_f32 v[44:45], v[46:47], v[44:45], v[98:99] neg_lo:[0,0,1] neg_hi:[0,0,1]
	v_mov_b32_e32 v45, v101
	s_delay_alu instid0(VALU_DEP_1)
	v_pk_add_f32 v[42:43], v[42:43], v[44:45]
.LBB153_56:                             ;   in Loop: Header=BB153_3 Depth=1
	s_or_b32 exec_lo, exec_lo, s52
	s_delay_alu instid0(VALU_DEP_1)
	v_pk_add_f32 v[42:43], v[42:43], 0 neg_lo:[1,1] neg_hi:[1,1]
.LBB153_57:                             ;   in Loop: Header=BB153_3 Depth=1
	s_or_b32 exec_lo, exec_lo, s51
	s_and_saveexec_b32 s51, s89
; %bb.58:                               ;   in Loop: Header=BB153_3 Depth=1
	ds_store_b64 v5, v[42:43]
; %bb.59:                               ;   in Loop: Header=BB153_3 Depth=1
	s_or_b32 exec_lo, exec_lo, s51
	s_wait_dscnt 0x0
	s_barrier_signal -1
	s_barrier_wait -1
	s_and_saveexec_b32 s51, s90
	s_cbranch_execz .LBB153_61
; %bb.60:                               ;   in Loop: Header=BB153_3 Depth=1
	ds_load_b64 v[44:45], v3 offset:1048
	ds_load_b64 v[46:47], v5
	s_wait_dscnt 0x0
	v_pk_mul_f32 v[98:99], v[46:47], v[44:45] op_sel:[1,1] op_sel_hi:[0,1]
	s_delay_alu instid0(VALU_DEP_1) | instskip(SKIP_1) | instid1(VALU_DEP_2)
	v_pk_fma_f32 v[100:101], v[46:47], v[44:45], v[98:99] op_sel_hi:[1,0,1]
	v_pk_fma_f32 v[44:45], v[46:47], v[44:45], v[98:99] neg_lo:[0,0,1] neg_hi:[0,0,1]
	v_mov_b32_e32 v45, v101
	s_delay_alu instid0(VALU_DEP_1)
	v_pk_add_f32 v[42:43], v[42:43], v[44:45]
.LBB153_61:                             ;   in Loop: Header=BB153_3 Depth=1
	s_or_b32 exec_lo, exec_lo, s51
	s_barrier_signal -1
	s_barrier_wait -1
	s_and_saveexec_b32 s51, s90
; %bb.62:                               ;   in Loop: Header=BB153_3 Depth=1
	ds_store_b64 v5, v[42:43]
; %bb.63:                               ;   in Loop: Header=BB153_3 Depth=1
	s_or_b32 exec_lo, exec_lo, s51
	s_wait_dscnt 0x0
	s_barrier_signal -1
	s_barrier_wait -1
	s_barrier_signal -1
	s_barrier_wait -1
	s_and_saveexec_b32 s51, s1
; %bb.64:                               ;   in Loop: Header=BB153_3 Depth=1
	v_pk_add_f32 v[42:43], v[42:43], 0 neg_lo:[1,1] neg_hi:[1,1]
	ds_store_b64 v49, v[42:43] offset:16
; %bb.65:                               ;   in Loop: Header=BB153_3 Depth=1
	s_or_b32 exec_lo, exec_lo, s51
	s_wait_dscnt 0x0
	s_barrier_signal -1
	s_barrier_wait -1
	s_barrier_signal -1
	s_barrier_wait -1
	s_and_saveexec_b32 s51, s91
	s_cbranch_execz .LBB153_67
; %bb.66:                               ;   in Loop: Header=BB153_3 Depth=1
	ds_load_b64 v[42:43], v54 offset:16
	s_wait_dscnt 0x0
	ds_store_b64 v51, v[42:43] offset:1024
	ds_load_b64 v[42:43], v54 offset:24
	s_wait_dscnt 0x0
	ds_store_b64 v51, v[42:43] offset:1536
.LBB153_67:                             ;   in Loop: Header=BB153_3 Depth=1
	s_or_b32 exec_lo, exec_lo, s51
	s_wait_dscnt 0x0
	s_barrier_signal -1
	s_barrier_wait -1
	s_and_saveexec_b32 s51, s10
	s_cbranch_execz .LBB153_69
; %bb.68:                               ;   in Loop: Header=BB153_3 Depth=1
	ds_load_b64 v[42:43], v3 offset:1048
	ds_store_b64 v3, v[26:27] offset:1560
	s_wait_dscnt 0x1
	ds_store_2addr_b64 v3, v[26:27], v[42:43] offset0:130 offset1:194
.LBB153_69:                             ;   in Loop: Header=BB153_3 Depth=1
	s_or_b32 exec_lo, exec_lo, s51
	v_mov_b64_e32 v[42:43], 0
	s_wait_dscnt 0x0
	s_barrier_signal -1
	s_barrier_wait -1
	s_and_saveexec_b32 s51, s3
	s_cbranch_execz .LBB153_75
; %bb.70:                               ;   in Loop: Header=BB153_3 Depth=1
	ds_load_b64 v[42:43], v56 offset:32
	ds_load_b64 v[44:45], v52
	s_wait_dscnt 0x0
	v_dual_mul_f32 v46, v45, v43 :: v_dual_mul_f32 v43, v44, v43
	s_delay_alu instid0(VALU_DEP_1) | instskip(NEXT) | instid1(VALU_DEP_1)
	v_dual_fma_f32 v44, v44, v42, -v46 :: v_dual_fmac_f32 v43, v45, v42
	v_dual_add_f32 v42, 0, v44 :: v_dual_add_f32 v43, 0, v43
	s_and_saveexec_b32 s52, s15
	s_cbranch_execnz .LBB153_1076
; %bb.71:                               ;   in Loop: Header=BB153_3 Depth=1
	s_or_b32 exec_lo, exec_lo, s52
	s_and_saveexec_b32 s52, s16
	s_cbranch_execnz .LBB153_1077
.LBB153_72:                             ;   in Loop: Header=BB153_3 Depth=1
	s_or_b32 exec_lo, exec_lo, s52
	s_and_saveexec_b32 s52, s1
	s_cbranch_execz .LBB153_74
.LBB153_73:                             ;   in Loop: Header=BB153_3 Depth=1
	ds_load_b64 v[44:45], v58 offset:1568
	ds_load_b64 v[46:47], v3 offset:24
	s_wait_dscnt 0x0
	v_dual_mul_f32 v48, v47, v45 :: v_dual_mul_f32 v99, v46, v45
	s_delay_alu instid0(VALU_DEP_1) | instskip(NEXT) | instid1(VALU_DEP_1)
	v_dual_fma_f32 v98, v46, v44, -v48 :: v_dual_fmac_f32 v99, v47, v44
	v_pk_add_f32 v[42:43], v[42:43], v[98:99]
.LBB153_74:                             ;   in Loop: Header=BB153_3 Depth=1
	s_or_b32 exec_lo, exec_lo, s52
	s_delay_alu instid0(VALU_DEP_1)
	v_pk_add_f32 v[42:43], v[42:43], 0 neg_lo:[1,1] neg_hi:[1,1]
.LBB153_75:                             ;   in Loop: Header=BB153_3 Depth=1
	s_or_b32 exec_lo, exec_lo, s51
	s_and_saveexec_b32 s51, s92
; %bb.76:                               ;   in Loop: Header=BB153_3 Depth=1
	ds_store_b64 v55, v[42:43]
; %bb.77:                               ;   in Loop: Header=BB153_3 Depth=1
	s_or_b32 exec_lo, exec_lo, s51
	s_wait_dscnt 0x0
	s_barrier_signal -1
	s_barrier_wait -1
	s_and_saveexec_b32 s51, s93
	s_cbranch_execz .LBB153_79
; %bb.78:                               ;   in Loop: Header=BB153_3 Depth=1
	ds_load_b64 v[44:45], v53 offset:2080
	ds_load_b64 v[46:47], v55
	s_wait_dscnt 0x0
	v_pk_mul_f32 v[98:99], v[46:47], v[44:45] op_sel:[1,1] op_sel_hi:[0,1]
	s_delay_alu instid0(VALU_DEP_1) | instskip(SKIP_1) | instid1(VALU_DEP_2)
	v_pk_fma_f32 v[100:101], v[46:47], v[44:45], v[98:99] op_sel_hi:[1,0,1]
	v_pk_fma_f32 v[44:45], v[46:47], v[44:45], v[98:99] neg_lo:[0,0,1] neg_hi:[0,0,1]
	v_mov_b32_e32 v45, v101
	s_delay_alu instid0(VALU_DEP_1)
	v_pk_add_f32 v[42:43], v[42:43], v[44:45]
.LBB153_79:                             ;   in Loop: Header=BB153_3 Depth=1
	s_or_b32 exec_lo, exec_lo, s51
	s_barrier_signal -1
	s_barrier_wait -1
	s_and_saveexec_b32 s51, s94
; %bb.80:                               ;   in Loop: Header=BB153_3 Depth=1
	ds_store_b64 v55, v[42:43]
; %bb.81:                               ;   in Loop: Header=BB153_3 Depth=1
	s_or_b32 exec_lo, exec_lo, s51
	s_wait_dscnt 0x0
	s_barrier_signal -1
	s_barrier_wait -1
	s_and_saveexec_b32 s51, s95
	s_cbranch_execz .LBB153_83
; %bb.82:                               ;   in Loop: Header=BB153_3 Depth=1
	ds_load_b64 v[44:45], v53 offset:2592
	ds_load_b64 v[46:47], v55
	s_wait_dscnt 0x0
	v_pk_mul_f32 v[98:99], v[46:47], v[44:45] op_sel:[1,1] op_sel_hi:[0,1]
	s_delay_alu instid0(VALU_DEP_1) | instskip(SKIP_1) | instid1(VALU_DEP_2)
	v_pk_fma_f32 v[100:101], v[46:47], v[44:45], v[98:99] op_sel_hi:[1,0,1]
	v_pk_fma_f32 v[44:45], v[46:47], v[44:45], v[98:99] neg_lo:[0,0,1] neg_hi:[0,0,1]
	v_mov_b32_e32 v45, v101
	s_delay_alu instid0(VALU_DEP_1)
	v_pk_add_f32 v[42:43], v[42:43], v[44:45]
.LBB153_83:                             ;   in Loop: Header=BB153_3 Depth=1
	s_or_b32 exec_lo, exec_lo, s51
	s_barrier_signal -1
	s_barrier_wait -1
	;; [unrolled: 25-line block ×3, first 2 shown]
	s_and_saveexec_b32 s51, s97
; %bb.88:                               ;   in Loop: Header=BB153_3 Depth=1
	ds_store_b64 v55, v[42:43]
; %bb.89:                               ;   in Loop: Header=BB153_3 Depth=1
	s_or_b32 exec_lo, exec_lo, s51
	s_wait_dscnt 0x0
	s_barrier_signal -1
	s_barrier_wait -1
	s_barrier_signal -1
	s_barrier_wait -1
	s_and_saveexec_b32 s51, s3
; %bb.90:                               ;   in Loop: Header=BB153_3 Depth=1
	v_pk_add_f32 v[42:43], v[42:43], 0 neg_lo:[1,1] neg_hi:[1,1]
	ds_store_b64 v56, v[42:43] offset:32
; %bb.91:                               ;   in Loop: Header=BB153_3 Depth=1
	s_or_b32 exec_lo, exec_lo, s51
	s_wait_dscnt 0x0
	s_barrier_signal -1
	s_barrier_wait -1
	s_barrier_signal -1
	s_barrier_wait -1
	s_and_saveexec_b32 s51, s98
	s_cbranch_execz .LBB153_93
; %bb.92:                               ;   in Loop: Header=BB153_3 Depth=1
	ds_load_b64 v[42:43], v59 offset:32
	s_wait_dscnt 0x0
	ds_store_b64 v61, v[42:43] offset:2048
	ds_load_b64 v[42:43], v59 offset:40
	s_wait_dscnt 0x0
	ds_store_b64 v61, v[42:43] offset:2560
	;; [unrolled: 3-line block ×4, first 2 shown]
.LBB153_93:                             ;   in Loop: Header=BB153_3 Depth=1
	s_or_b32 exec_lo, exec_lo, s51
	s_wait_dscnt 0x0
	s_barrier_signal -1
	s_barrier_wait -1
	s_and_saveexec_b32 s51, s10
	s_cbranch_execz .LBB153_95
; %bb.94:                               ;   in Loop: Header=BB153_3 Depth=1
	ds_load_b64 v[42:43], v3 offset:2088
	v_add_nc_u32_e64 v44, 32, 0
	ds_store_b64 v3, v[26:27] offset:2600
	s_wait_dscnt 0x1
	ds_store_2addr_stride64_b64 v44, v[26:27], v[42:43] offset0:4 offset1:5
.LBB153_95:                             ;   in Loop: Header=BB153_3 Depth=1
	s_or_b32 exec_lo, exec_lo, s51
	v_mov_b64_e32 v[42:43], 0
	s_wait_dscnt 0x0
	s_barrier_signal -1
	s_barrier_wait -1
	s_and_saveexec_b32 s51, s1
	s_cbranch_execz .LBB153_99
; %bb.96:                               ;   in Loop: Header=BB153_3 Depth=1
	ds_load_b64 v[42:43], v49 offset:2096
	ds_load_b64 v[44:45], v50 offset:2080
	s_wait_dscnt 0x0
	v_pk_mul_f32 v[46:47], v[44:45], v[42:43] op_sel:[1,1] op_sel_hi:[0,1]
	s_delay_alu instid0(VALU_DEP_1) | instskip(SKIP_1) | instid1(VALU_DEP_2)
	v_pk_fma_f32 v[98:99], v[44:45], v[42:43], v[46:47] op_sel_hi:[1,0,1]
	v_pk_fma_f32 v[42:43], v[44:45], v[42:43], v[46:47] neg_lo:[0,0,1] neg_hi:[0,0,1]
	v_mov_b32_e32 v43, v99
	s_delay_alu instid0(VALU_DEP_1)
	v_pk_add_f32 v[42:43], v[42:43], 0 op_sel_hi:[1,0]
	s_and_saveexec_b32 s52, s14
	s_cbranch_execz .LBB153_98
; %bb.97:                               ;   in Loop: Header=BB153_3 Depth=1
	ds_load_b64 v[44:45], v61 offset:2608
	ds_load_b64 v[46:47], v3 offset:2088
	s_wait_dscnt 0x0
	v_pk_mul_f32 v[98:99], v[46:47], v[44:45] op_sel:[1,1] op_sel_hi:[0,1]
	s_delay_alu instid0(VALU_DEP_1) | instskip(SKIP_1) | instid1(VALU_DEP_2)
	v_pk_fma_f32 v[100:101], v[46:47], v[44:45], v[98:99] op_sel_hi:[1,0,1]
	v_pk_fma_f32 v[44:45], v[46:47], v[44:45], v[98:99] neg_lo:[0,0,1] neg_hi:[0,0,1]
	v_mov_b32_e32 v45, v101
	s_delay_alu instid0(VALU_DEP_1)
	v_pk_add_f32 v[42:43], v[42:43], v[44:45]
.LBB153_98:                             ;   in Loop: Header=BB153_3 Depth=1
	s_or_b32 exec_lo, exec_lo, s52
	s_delay_alu instid0(VALU_DEP_1)
	v_pk_add_f32 v[42:43], v[42:43], 0 neg_lo:[1,1] neg_hi:[1,1]
.LBB153_99:                             ;   in Loop: Header=BB153_3 Depth=1
	s_or_b32 exec_lo, exec_lo, s51
	s_and_saveexec_b32 s51, s89
; %bb.100:                              ;   in Loop: Header=BB153_3 Depth=1
	ds_store_b64 v5, v[42:43]
; %bb.101:                              ;   in Loop: Header=BB153_3 Depth=1
	s_or_b32 exec_lo, exec_lo, s51
	s_wait_dscnt 0x0
	s_barrier_signal -1
	s_barrier_wait -1
	s_and_saveexec_b32 s51, s90
	s_cbranch_execz .LBB153_103
; %bb.102:                              ;   in Loop: Header=BB153_3 Depth=1
	ds_load_b64 v[44:45], v3 offset:3128
	ds_load_b64 v[46:47], v5
	s_wait_dscnt 0x0
	v_pk_mul_f32 v[98:99], v[46:47], v[44:45] op_sel:[1,1] op_sel_hi:[0,1]
	s_delay_alu instid0(VALU_DEP_1) | instskip(SKIP_1) | instid1(VALU_DEP_2)
	v_pk_fma_f32 v[100:101], v[46:47], v[44:45], v[98:99] op_sel_hi:[1,0,1]
	v_pk_fma_f32 v[44:45], v[46:47], v[44:45], v[98:99] neg_lo:[0,0,1] neg_hi:[0,0,1]
	v_mov_b32_e32 v45, v101
	s_delay_alu instid0(VALU_DEP_1)
	v_pk_add_f32 v[42:43], v[42:43], v[44:45]
.LBB153_103:                            ;   in Loop: Header=BB153_3 Depth=1
	s_or_b32 exec_lo, exec_lo, s51
	s_barrier_signal -1
	s_barrier_wait -1
	s_and_saveexec_b32 s51, s90
; %bb.104:                              ;   in Loop: Header=BB153_3 Depth=1
	ds_store_b64 v5, v[42:43]
; %bb.105:                              ;   in Loop: Header=BB153_3 Depth=1
	s_or_b32 exec_lo, exec_lo, s51
	s_wait_dscnt 0x0
	s_barrier_signal -1
	s_barrier_wait -1
	s_barrier_signal -1
	s_barrier_wait -1
	s_and_saveexec_b32 s51, s1
; %bb.106:                              ;   in Loop: Header=BB153_3 Depth=1
	v_pk_add_f32 v[42:43], v[42:43], 0 neg_lo:[1,1] neg_hi:[1,1]
	ds_store_b64 v49, v[42:43] offset:2096
; %bb.107:                              ;   in Loop: Header=BB153_3 Depth=1
	s_or_b32 exec_lo, exec_lo, s51
	s_wait_dscnt 0x0
	s_barrier_signal -1
	s_barrier_wait -1
	s_barrier_signal -1
	s_barrier_wait -1
	s_and_saveexec_b32 s51, s91
	s_cbranch_execz .LBB153_109
; %bb.108:                              ;   in Loop: Header=BB153_3 Depth=1
	ds_load_b64 v[42:43], v63 offset:2096
	s_wait_dscnt 0x0
	ds_store_b64 v61, v[42:43] offset:3104
	ds_load_b64 v[42:43], v63 offset:2104
	s_wait_dscnt 0x0
	ds_store_b64 v61, v[42:43] offset:3616
.LBB153_109:                            ;   in Loop: Header=BB153_3 Depth=1
	s_or_b32 exec_lo, exec_lo, s51
	s_wait_dscnt 0x0
	s_barrier_signal -1
	s_barrier_wait -1
	s_and_saveexec_b32 s51, s10
	s_cbranch_execz .LBB153_111
; %bb.110:                              ;   in Loop: Header=BB153_3 Depth=1
	ds_load_b64 v[42:43], v3 offset:3128
	v_add_nc_u32_e64 v44, 48, 0
	ds_store_b64 v3, v[26:27] offset:3640
	s_wait_dscnt 0x1
	ds_store_2addr_stride64_b64 v44, v[26:27], v[42:43] offset0:6 offset1:7
.LBB153_111:                            ;   in Loop: Header=BB153_3 Depth=1
	s_or_b32 exec_lo, exec_lo, s51
	v_mov_b64_e32 v[42:43], 0
	s_wait_dscnt 0x0
	s_barrier_signal -1
	s_barrier_wait -1
	s_and_saveexec_b32 s51, s4
	s_cbranch_execz .LBB153_121
; %bb.112:                              ;   in Loop: Header=BB153_3 Depth=1
	ds_load_b64 v[42:43], v65 offset:64
	ds_load_b64 v[44:45], v60
	s_wait_dscnt 0x0
	v_dual_mul_f32 v46, v45, v43 :: v_dual_mul_f32 v43, v44, v43
	s_delay_alu instid0(VALU_DEP_1) | instskip(NEXT) | instid1(VALU_DEP_1)
	v_dual_fma_f32 v44, v44, v42, -v46 :: v_dual_fmac_f32 v43, v45, v42
	v_dual_add_f32 v42, 0, v44 :: v_dual_add_f32 v43, 0, v43
	s_and_saveexec_b32 s52, s17
	s_cbranch_execnz .LBB153_1078
; %bb.113:                              ;   in Loop: Header=BB153_3 Depth=1
	s_or_b32 exec_lo, exec_lo, s52
	s_and_saveexec_b32 s52, s18
	s_cbranch_execnz .LBB153_1079
.LBB153_114:                            ;   in Loop: Header=BB153_3 Depth=1
	s_or_b32 exec_lo, exec_lo, s52
	s_and_saveexec_b32 s52, s19
	s_cbranch_execnz .LBB153_1080
.LBB153_115:                            ;   in Loop: Header=BB153_3 Depth=1
	s_or_b32 exec_lo, exec_lo, s52
	s_and_saveexec_b32 s52, s20
	s_cbranch_execnz .LBB153_1081
.LBB153_116:                            ;   in Loop: Header=BB153_3 Depth=1
	s_or_b32 exec_lo, exec_lo, s52
	s_and_saveexec_b32 s52, s21
	s_cbranch_execnz .LBB153_1082
.LBB153_117:                            ;   in Loop: Header=BB153_3 Depth=1
	s_or_b32 exec_lo, exec_lo, s52
	s_and_saveexec_b32 s52, s3
	s_cbranch_execnz .LBB153_1083
.LBB153_118:                            ;   in Loop: Header=BB153_3 Depth=1
	s_or_b32 exec_lo, exec_lo, s52
	s_and_saveexec_b32 s52, s16
	s_cbranch_execz .LBB153_120
.LBB153_119:                            ;   in Loop: Header=BB153_3 Depth=1
	ds_load_b64 v[44:45], v67 offset:3648
	ds_load_b64 v[46:47], v3 offset:56
	s_wait_dscnt 0x0
	v_pk_mul_f32 v[98:99], v[46:47], v[44:45] op_sel:[1,1] op_sel_hi:[0,1]
	s_delay_alu instid0(VALU_DEP_1) | instskip(SKIP_1) | instid1(VALU_DEP_2)
	v_pk_fma_f32 v[100:101], v[46:47], v[44:45], v[98:99] op_sel_hi:[1,0,1]
	v_pk_fma_f32 v[44:45], v[46:47], v[44:45], v[98:99] neg_lo:[0,0,1] neg_hi:[0,0,1]
	v_mov_b32_e32 v45, v101
	s_delay_alu instid0(VALU_DEP_1)
	v_pk_add_f32 v[42:43], v[42:43], v[44:45]
.LBB153_120:                            ;   in Loop: Header=BB153_3 Depth=1
	s_or_b32 exec_lo, exec_lo, s52
	s_delay_alu instid0(VALU_DEP_1)
	v_pk_add_f32 v[42:43], v[42:43], 0 neg_lo:[1,1] neg_hi:[1,1]
.LBB153_121:                            ;   in Loop: Header=BB153_3 Depth=1
	s_or_b32 exec_lo, exec_lo, s51
	s_and_saveexec_b32 s51, s99
; %bb.122:                              ;   in Loop: Header=BB153_3 Depth=1
	ds_store_b64 v64, v[42:43]
; %bb.123:                              ;   in Loop: Header=BB153_3 Depth=1
	s_or_b32 exec_lo, exec_lo, s51
	s_wait_dscnt 0x0
	s_barrier_signal -1
	s_barrier_wait -1
	s_and_saveexec_b32 s51, s100
	s_cbranch_execz .LBB153_125
; %bb.124:                              ;   in Loop: Header=BB153_3 Depth=1
	ds_load_b64 v[44:45], v62 offset:4160
	ds_load_b64 v[46:47], v64
	s_wait_dscnt 0x0
	v_pk_mul_f32 v[98:99], v[46:47], v[44:45] op_sel:[1,1] op_sel_hi:[0,1]
	s_delay_alu instid0(VALU_DEP_1) | instskip(SKIP_1) | instid1(VALU_DEP_2)
	v_pk_fma_f32 v[100:101], v[46:47], v[44:45], v[98:99] op_sel_hi:[1,0,1]
	v_pk_fma_f32 v[44:45], v[46:47], v[44:45], v[98:99] neg_lo:[0,0,1] neg_hi:[0,0,1]
	v_mov_b32_e32 v45, v101
	s_delay_alu instid0(VALU_DEP_1)
	v_pk_add_f32 v[42:43], v[42:43], v[44:45]
.LBB153_125:                            ;   in Loop: Header=BB153_3 Depth=1
	s_or_b32 exec_lo, exec_lo, s51
	s_barrier_signal -1
	s_barrier_wait -1
	s_and_saveexec_b32 s51, s101
; %bb.126:                              ;   in Loop: Header=BB153_3 Depth=1
	ds_store_b64 v64, v[42:43]
; %bb.127:                              ;   in Loop: Header=BB153_3 Depth=1
	s_or_b32 exec_lo, exec_lo, s51
	s_wait_dscnt 0x0
	s_barrier_signal -1
	s_barrier_wait -1
	s_and_saveexec_b32 s51, s102
	s_cbranch_execz .LBB153_129
; %bb.128:                              ;   in Loop: Header=BB153_3 Depth=1
	ds_load_b64 v[44:45], v62 offset:4672
	ds_load_b64 v[46:47], v64
	s_wait_dscnt 0x0
	v_dual_mul_f32 v48, v47, v45 :: v_dual_mul_f32 v45, v46, v45
	s_delay_alu instid0(VALU_DEP_1) | instskip(NEXT) | instid1(VALU_DEP_1)
	v_dual_fma_f32 v46, v46, v44, -v48 :: v_dual_fmac_f32 v45, v47, v44
	v_dual_add_f32 v42, v42, v46 :: v_dual_add_f32 v43, v43, v45
.LBB153_129:                            ;   in Loop: Header=BB153_3 Depth=1
	s_or_b32 exec_lo, exec_lo, s51
	s_barrier_signal -1
	s_barrier_wait -1
	s_and_saveexec_b32 s51, s103
; %bb.130:                              ;   in Loop: Header=BB153_3 Depth=1
	ds_store_b64 v64, v[42:43]
; %bb.131:                              ;   in Loop: Header=BB153_3 Depth=1
	s_or_b32 exec_lo, exec_lo, s51
	s_wait_dscnt 0x0
	s_barrier_signal -1
	s_barrier_wait -1
	s_and_saveexec_b32 s51, s104
	s_cbranch_execz .LBB153_133
; %bb.132:                              ;   in Loop: Header=BB153_3 Depth=1
	ds_load_b64 v[44:45], v62 offset:5184
	ds_load_b64 v[46:47], v64
	s_wait_dscnt 0x0
	v_dual_mul_f32 v48, v47, v45 :: v_dual_mul_f32 v99, v46, v45
	s_delay_alu instid0(VALU_DEP_1) | instskip(NEXT) | instid1(VALU_DEP_1)
	v_dual_fma_f32 v98, v46, v44, -v48 :: v_dual_fmac_f32 v99, v47, v44
	v_pk_add_f32 v[42:43], v[42:43], v[98:99]
.LBB153_133:                            ;   in Loop: Header=BB153_3 Depth=1
	s_or_b32 exec_lo, exec_lo, s51
	s_barrier_signal -1
	s_barrier_wait -1
	s_and_saveexec_b32 s51, vcc_hi
; %bb.134:                              ;   in Loop: Header=BB153_3 Depth=1
	ds_store_b64 v64, v[42:43]
; %bb.135:                              ;   in Loop: Header=BB153_3 Depth=1
	s_or_b32 exec_lo, exec_lo, s51
	s_wait_dscnt 0x0
	s_barrier_signal -1
	s_barrier_wait -1
	s_and_saveexec_b32 s51, s37
	s_cbranch_execz .LBB153_137
; %bb.136:                              ;   in Loop: Header=BB153_3 Depth=1
	ds_load_b64 v[44:45], v62 offset:5696
	ds_load_b64 v[46:47], v64
	s_wait_dscnt 0x0
	v_pk_mul_f32 v[98:99], v[46:47], v[44:45] op_sel:[1,1] op_sel_hi:[0,1]
	s_delay_alu instid0(VALU_DEP_1) | instskip(SKIP_1) | instid1(VALU_DEP_2)
	v_pk_fma_f32 v[100:101], v[46:47], v[44:45], v[98:99] op_sel_hi:[1,0,1]
	v_pk_fma_f32 v[44:45], v[46:47], v[44:45], v[98:99] neg_lo:[0,0,1] neg_hi:[0,0,1]
	v_mov_b32_e32 v45, v101
	s_delay_alu instid0(VALU_DEP_1)
	v_pk_add_f32 v[42:43], v[42:43], v[44:45]
.LBB153_137:                            ;   in Loop: Header=BB153_3 Depth=1
	s_or_b32 exec_lo, exec_lo, s51
	s_barrier_signal -1
	s_barrier_wait -1
	s_and_saveexec_b32 s51, s38
; %bb.138:                              ;   in Loop: Header=BB153_3 Depth=1
	ds_store_b64 v64, v[42:43]
; %bb.139:                              ;   in Loop: Header=BB153_3 Depth=1
	s_or_b32 exec_lo, exec_lo, s51
	s_wait_dscnt 0x0
	s_barrier_signal -1
	s_barrier_wait -1
	s_and_saveexec_b32 s51, s40
	s_cbranch_execz .LBB153_141
; %bb.140:                              ;   in Loop: Header=BB153_3 Depth=1
	ds_load_b64 v[44:45], v62 offset:6208
	ds_load_b64 v[46:47], v64
	s_wait_dscnt 0x0
	v_pk_mul_f32 v[98:99], v[46:47], v[44:45] op_sel:[1,1] op_sel_hi:[0,1]
	s_delay_alu instid0(VALU_DEP_1) | instskip(SKIP_1) | instid1(VALU_DEP_2)
	v_pk_fma_f32 v[100:101], v[46:47], v[44:45], v[98:99] op_sel_hi:[1,0,1]
	v_pk_fma_f32 v[44:45], v[46:47], v[44:45], v[98:99] neg_lo:[0,0,1] neg_hi:[0,0,1]
	v_mov_b32_e32 v45, v101
	s_delay_alu instid0(VALU_DEP_1)
	v_pk_add_f32 v[42:43], v[42:43], v[44:45]
.LBB153_141:                            ;   in Loop: Header=BB153_3 Depth=1
	s_or_b32 exec_lo, exec_lo, s51
	s_barrier_signal -1
	s_barrier_wait -1
	s_and_saveexec_b32 s51, s41
	;; [unrolled: 25-line block ×4, first 2 shown]
; %bb.150:                              ;   in Loop: Header=BB153_3 Depth=1
	ds_store_b64 v64, v[42:43]
; %bb.151:                              ;   in Loop: Header=BB153_3 Depth=1
	s_or_b32 exec_lo, exec_lo, s51
	s_wait_dscnt 0x0
	s_barrier_signal -1
	s_barrier_wait -1
	s_barrier_signal -1
	s_barrier_wait -1
	s_and_saveexec_b32 s51, s4
; %bb.152:                              ;   in Loop: Header=BB153_3 Depth=1
	v_pk_add_f32 v[42:43], v[42:43], 0 neg_lo:[1,1] neg_hi:[1,1]
	ds_store_b64 v65, v[42:43] offset:64
; %bb.153:                              ;   in Loop: Header=BB153_3 Depth=1
	s_or_b32 exec_lo, exec_lo, s51
	s_wait_dscnt 0x0
	s_barrier_signal -1
	s_barrier_wait -1
	s_barrier_signal -1
	s_barrier_wait -1
	s_and_saveexec_b32 s51, s45
	s_cbranch_execz .LBB153_155
; %bb.154:                              ;   in Loop: Header=BB153_3 Depth=1
	ds_load_b64 v[42:43], v68 offset:64
	s_wait_dscnt 0x0
	ds_store_b64 v69, v[42:43] offset:4096
	ds_load_b64 v[42:43], v68 offset:72
	s_wait_dscnt 0x0
	ds_store_b64 v69, v[42:43] offset:4608
	;; [unrolled: 3-line block ×8, first 2 shown]
.LBB153_155:                            ;   in Loop: Header=BB153_3 Depth=1
	s_or_b32 exec_lo, exec_lo, s51
	s_wait_dscnt 0x0
	s_barrier_signal -1
	s_barrier_wait -1
	s_and_saveexec_b32 s51, s10
	s_cbranch_execz .LBB153_157
; %bb.156:                              ;   in Loop: Header=BB153_3 Depth=1
	ds_load_b64 v[42:43], v3 offset:4168
	v_add_nc_u32_e64 v44, 64, 0
	ds_store_b64 v3, v[26:27] offset:4680
	s_wait_dscnt 0x1
	ds_store_2addr_stride64_b64 v44, v[26:27], v[42:43] offset0:8 offset1:9
.LBB153_157:                            ;   in Loop: Header=BB153_3 Depth=1
	s_or_b32 exec_lo, exec_lo, s51
	v_mov_b64_e32 v[42:43], 0
	s_wait_dscnt 0x0
	s_barrier_signal -1
	s_barrier_wait -1
	s_and_saveexec_b32 s51, s1
	s_cbranch_execz .LBB153_161
; %bb.158:                              ;   in Loop: Header=BB153_3 Depth=1
	ds_load_b64 v[42:43], v49 offset:4176
	ds_load_b64 v[44:45], v50 offset:4160
	s_wait_dscnt 0x0
	v_pk_mul_f32 v[46:47], v[44:45], v[42:43] op_sel:[1,1] op_sel_hi:[0,1]
	s_delay_alu instid0(VALU_DEP_1) | instskip(SKIP_1) | instid1(VALU_DEP_2)
	v_pk_fma_f32 v[98:99], v[44:45], v[42:43], v[46:47] op_sel_hi:[1,0,1]
	v_pk_fma_f32 v[42:43], v[44:45], v[42:43], v[46:47] neg_lo:[0,0,1] neg_hi:[0,0,1]
	v_mov_b32_e32 v43, v99
	s_delay_alu instid0(VALU_DEP_1)
	v_pk_add_f32 v[42:43], v[42:43], 0 op_sel_hi:[1,0]
	s_and_saveexec_b32 s52, s14
	s_cbranch_execz .LBB153_160
; %bb.159:                              ;   in Loop: Header=BB153_3 Depth=1
	ds_load_b64 v[44:45], v69 offset:4688
	ds_load_b64 v[46:47], v3 offset:4168
	s_wait_dscnt 0x0
	v_pk_mul_f32 v[98:99], v[46:47], v[44:45] op_sel:[1,1] op_sel_hi:[0,1]
	s_delay_alu instid0(VALU_DEP_1) | instskip(SKIP_1) | instid1(VALU_DEP_2)
	v_pk_fma_f32 v[100:101], v[46:47], v[44:45], v[98:99] op_sel_hi:[1,0,1]
	v_pk_fma_f32 v[44:45], v[46:47], v[44:45], v[98:99] neg_lo:[0,0,1] neg_hi:[0,0,1]
	v_mov_b32_e32 v45, v101
	s_delay_alu instid0(VALU_DEP_1)
	v_pk_add_f32 v[42:43], v[42:43], v[44:45]
.LBB153_160:                            ;   in Loop: Header=BB153_3 Depth=1
	s_or_b32 exec_lo, exec_lo, s52
	s_delay_alu instid0(VALU_DEP_1)
	v_pk_add_f32 v[42:43], v[42:43], 0 neg_lo:[1,1] neg_hi:[1,1]
.LBB153_161:                            ;   in Loop: Header=BB153_3 Depth=1
	s_or_b32 exec_lo, exec_lo, s51
	s_and_saveexec_b32 s51, s89
; %bb.162:                              ;   in Loop: Header=BB153_3 Depth=1
	ds_store_b64 v5, v[42:43]
; %bb.163:                              ;   in Loop: Header=BB153_3 Depth=1
	s_or_b32 exec_lo, exec_lo, s51
	s_wait_dscnt 0x0
	s_barrier_signal -1
	s_barrier_wait -1
	s_and_saveexec_b32 s51, s90
	s_cbranch_execz .LBB153_165
; %bb.164:                              ;   in Loop: Header=BB153_3 Depth=1
	ds_load_b64 v[44:45], v3 offset:5208
	ds_load_b64 v[46:47], v5
	s_wait_dscnt 0x0
	v_pk_mul_f32 v[98:99], v[46:47], v[44:45] op_sel:[1,1] op_sel_hi:[0,1]
	s_delay_alu instid0(VALU_DEP_1) | instskip(SKIP_1) | instid1(VALU_DEP_2)
	v_pk_fma_f32 v[100:101], v[46:47], v[44:45], v[98:99] op_sel_hi:[1,0,1]
	v_pk_fma_f32 v[44:45], v[46:47], v[44:45], v[98:99] neg_lo:[0,0,1] neg_hi:[0,0,1]
	v_mov_b32_e32 v45, v101
	s_delay_alu instid0(VALU_DEP_1)
	v_pk_add_f32 v[42:43], v[42:43], v[44:45]
.LBB153_165:                            ;   in Loop: Header=BB153_3 Depth=1
	s_or_b32 exec_lo, exec_lo, s51
	s_barrier_signal -1
	s_barrier_wait -1
	s_and_saveexec_b32 s51, s90
; %bb.166:                              ;   in Loop: Header=BB153_3 Depth=1
	ds_store_b64 v5, v[42:43]
; %bb.167:                              ;   in Loop: Header=BB153_3 Depth=1
	s_or_b32 exec_lo, exec_lo, s51
	s_wait_dscnt 0x0
	s_barrier_signal -1
	s_barrier_wait -1
	s_barrier_signal -1
	s_barrier_wait -1
	s_and_saveexec_b32 s51, s1
; %bb.168:                              ;   in Loop: Header=BB153_3 Depth=1
	v_pk_add_f32 v[42:43], v[42:43], 0 neg_lo:[1,1] neg_hi:[1,1]
	ds_store_b64 v49, v[42:43] offset:4176
; %bb.169:                              ;   in Loop: Header=BB153_3 Depth=1
	s_or_b32 exec_lo, exec_lo, s51
	s_wait_dscnt 0x0
	s_barrier_signal -1
	s_barrier_wait -1
	s_barrier_signal -1
	s_barrier_wait -1
	s_and_saveexec_b32 s51, s91
	s_cbranch_execz .LBB153_171
; %bb.170:                              ;   in Loop: Header=BB153_3 Depth=1
	ds_load_b64 v[42:43], v70 offset:4176
	s_wait_dscnt 0x0
	ds_store_b64 v69, v[42:43] offset:5184
	ds_load_b64 v[42:43], v70 offset:4184
	s_wait_dscnt 0x0
	ds_store_b64 v69, v[42:43] offset:5696
.LBB153_171:                            ;   in Loop: Header=BB153_3 Depth=1
	s_or_b32 exec_lo, exec_lo, s51
	s_wait_dscnt 0x0
	s_barrier_signal -1
	s_barrier_wait -1
	s_and_saveexec_b32 s51, s10
	s_cbranch_execz .LBB153_173
; %bb.172:                              ;   in Loop: Header=BB153_3 Depth=1
	ds_load_b64 v[42:43], v3 offset:5208
	v_add_nc_u32_e64 v44, 0x50, 0
	ds_store_b64 v3, v[26:27] offset:5720
	s_wait_dscnt 0x1
	ds_store_2addr_stride64_b64 v44, v[26:27], v[42:43] offset0:10 offset1:11
.LBB153_173:                            ;   in Loop: Header=BB153_3 Depth=1
	s_or_b32 exec_lo, exec_lo, s51
	v_mov_b64_e32 v[42:43], 0
	s_wait_dscnt 0x0
	s_barrier_signal -1
	s_barrier_wait -1
	s_and_saveexec_b32 s51, s3
	s_cbranch_execz .LBB153_179
; %bb.174:                              ;   in Loop: Header=BB153_3 Depth=1
	ds_load_b64 v[42:43], v56 offset:4192
	ds_load_b64 v[44:45], v52 offset:4160
	s_wait_dscnt 0x0
	v_dual_mul_f32 v46, v45, v43 :: v_dual_mul_f32 v43, v44, v43
	s_delay_alu instid0(VALU_DEP_1) | instskip(NEXT) | instid1(VALU_DEP_1)
	v_dual_fma_f32 v44, v44, v42, -v46 :: v_dual_fmac_f32 v43, v45, v42
	v_dual_add_f32 v42, 0, v44 :: v_dual_add_f32 v43, 0, v43
	s_and_saveexec_b32 s52, s15
	s_cbranch_execnz .LBB153_1084
; %bb.175:                              ;   in Loop: Header=BB153_3 Depth=1
	s_or_b32 exec_lo, exec_lo, s52
	s_and_saveexec_b32 s52, s16
	s_cbranch_execnz .LBB153_1085
.LBB153_176:                            ;   in Loop: Header=BB153_3 Depth=1
	s_or_b32 exec_lo, exec_lo, s52
	s_and_saveexec_b32 s52, s1
	s_cbranch_execz .LBB153_178
.LBB153_177:                            ;   in Loop: Header=BB153_3 Depth=1
	ds_load_b64 v[44:45], v72 offset:5728
	ds_load_b64 v[46:47], v3 offset:4184
	s_wait_dscnt 0x0
	v_dual_mul_f32 v48, v47, v45 :: v_dual_mul_f32 v99, v46, v45
	s_delay_alu instid0(VALU_DEP_1) | instskip(NEXT) | instid1(VALU_DEP_1)
	v_dual_fma_f32 v98, v46, v44, -v48 :: v_dual_fmac_f32 v99, v47, v44
	v_pk_add_f32 v[42:43], v[42:43], v[98:99]
.LBB153_178:                            ;   in Loop: Header=BB153_3 Depth=1
	s_or_b32 exec_lo, exec_lo, s52
	s_delay_alu instid0(VALU_DEP_1)
	v_pk_add_f32 v[42:43], v[42:43], 0 neg_lo:[1,1] neg_hi:[1,1]
.LBB153_179:                            ;   in Loop: Header=BB153_3 Depth=1
	s_or_b32 exec_lo, exec_lo, s51
	s_and_saveexec_b32 s51, s92
; %bb.180:                              ;   in Loop: Header=BB153_3 Depth=1
	ds_store_b64 v55, v[42:43]
; %bb.181:                              ;   in Loop: Header=BB153_3 Depth=1
	s_or_b32 exec_lo, exec_lo, s51
	s_wait_dscnt 0x0
	s_barrier_signal -1
	s_barrier_wait -1
	s_and_saveexec_b32 s51, s93
	s_cbranch_execz .LBB153_183
; %bb.182:                              ;   in Loop: Header=BB153_3 Depth=1
	ds_load_b64 v[44:45], v53 offset:6240
	ds_load_b64 v[46:47], v55
	s_wait_dscnt 0x0
	v_pk_mul_f32 v[98:99], v[46:47], v[44:45] op_sel:[1,1] op_sel_hi:[0,1]
	s_delay_alu instid0(VALU_DEP_1) | instskip(SKIP_1) | instid1(VALU_DEP_2)
	v_pk_fma_f32 v[100:101], v[46:47], v[44:45], v[98:99] op_sel_hi:[1,0,1]
	v_pk_fma_f32 v[44:45], v[46:47], v[44:45], v[98:99] neg_lo:[0,0,1] neg_hi:[0,0,1]
	v_mov_b32_e32 v45, v101
	s_delay_alu instid0(VALU_DEP_1)
	v_pk_add_f32 v[42:43], v[42:43], v[44:45]
.LBB153_183:                            ;   in Loop: Header=BB153_3 Depth=1
	s_or_b32 exec_lo, exec_lo, s51
	s_barrier_signal -1
	s_barrier_wait -1
	s_and_saveexec_b32 s51, s94
; %bb.184:                              ;   in Loop: Header=BB153_3 Depth=1
	ds_store_b64 v55, v[42:43]
; %bb.185:                              ;   in Loop: Header=BB153_3 Depth=1
	s_or_b32 exec_lo, exec_lo, s51
	s_wait_dscnt 0x0
	s_barrier_signal -1
	s_barrier_wait -1
	s_and_saveexec_b32 s51, s95
	s_cbranch_execz .LBB153_187
; %bb.186:                              ;   in Loop: Header=BB153_3 Depth=1
	ds_load_b64 v[44:45], v53 offset:6752
	ds_load_b64 v[46:47], v55
	s_wait_dscnt 0x0
	v_pk_mul_f32 v[98:99], v[46:47], v[44:45] op_sel:[1,1] op_sel_hi:[0,1]
	s_delay_alu instid0(VALU_DEP_1) | instskip(SKIP_1) | instid1(VALU_DEP_2)
	v_pk_fma_f32 v[100:101], v[46:47], v[44:45], v[98:99] op_sel_hi:[1,0,1]
	v_pk_fma_f32 v[44:45], v[46:47], v[44:45], v[98:99] neg_lo:[0,0,1] neg_hi:[0,0,1]
	v_mov_b32_e32 v45, v101
	s_delay_alu instid0(VALU_DEP_1)
	v_pk_add_f32 v[42:43], v[42:43], v[44:45]
.LBB153_187:                            ;   in Loop: Header=BB153_3 Depth=1
	s_or_b32 exec_lo, exec_lo, s51
	s_barrier_signal -1
	s_barrier_wait -1
	;; [unrolled: 25-line block ×3, first 2 shown]
	s_and_saveexec_b32 s51, s97
; %bb.192:                              ;   in Loop: Header=BB153_3 Depth=1
	ds_store_b64 v55, v[42:43]
; %bb.193:                              ;   in Loop: Header=BB153_3 Depth=1
	s_or_b32 exec_lo, exec_lo, s51
	s_wait_dscnt 0x0
	s_barrier_signal -1
	s_barrier_wait -1
	s_barrier_signal -1
	s_barrier_wait -1
	s_and_saveexec_b32 s51, s3
; %bb.194:                              ;   in Loop: Header=BB153_3 Depth=1
	v_pk_add_f32 v[42:43], v[42:43], 0 neg_lo:[1,1] neg_hi:[1,1]
	ds_store_b64 v56, v[42:43] offset:4192
; %bb.195:                              ;   in Loop: Header=BB153_3 Depth=1
	s_or_b32 exec_lo, exec_lo, s51
	s_wait_dscnt 0x0
	s_barrier_signal -1
	s_barrier_wait -1
	s_barrier_signal -1
	s_barrier_wait -1
	s_and_saveexec_b32 s51, s98
	s_cbranch_execz .LBB153_197
; %bb.196:                              ;   in Loop: Header=BB153_3 Depth=1
	ds_load_b64 v[42:43], v78 offset:4192
	s_wait_dscnt 0x0
	ds_store_b64 v79, v[42:43] offset:6208
	ds_load_b64 v[42:43], v78 offset:4200
	s_wait_dscnt 0x0
	ds_store_b64 v79, v[42:43] offset:6720
	ds_load_b64 v[42:43], v78 offset:4208
	s_wait_dscnt 0x0
	ds_store_b64 v79, v[42:43] offset:7232
	ds_load_b64 v[42:43], v78 offset:4216
	s_wait_dscnt 0x0
	ds_store_b64 v79, v[42:43] offset:7744
.LBB153_197:                            ;   in Loop: Header=BB153_3 Depth=1
	s_or_b32 exec_lo, exec_lo, s51
	s_wait_dscnt 0x0
	s_barrier_signal -1
	s_barrier_wait -1
	s_and_saveexec_b32 s51, s10
	s_cbranch_execz .LBB153_199
; %bb.198:                              ;   in Loop: Header=BB153_3 Depth=1
	ds_load_b64 v[42:43], v3 offset:6248
	v_add_nc_u32_e64 v44, 0x60, 0
	ds_store_b64 v3, v[26:27] offset:6760
	s_wait_dscnt 0x1
	ds_store_2addr_stride64_b64 v44, v[26:27], v[42:43] offset0:12 offset1:13
.LBB153_199:                            ;   in Loop: Header=BB153_3 Depth=1
	s_or_b32 exec_lo, exec_lo, s51
	v_mov_b64_e32 v[42:43], 0
	s_wait_dscnt 0x0
	s_barrier_signal -1
	s_barrier_wait -1
	s_and_saveexec_b32 s51, s1
	s_cbranch_execz .LBB153_203
; %bb.200:                              ;   in Loop: Header=BB153_3 Depth=1
	ds_load_b64 v[42:43], v49 offset:6256
	ds_load_b64 v[44:45], v50 offset:6240
	s_wait_dscnt 0x0
	v_pk_mul_f32 v[46:47], v[44:45], v[42:43] op_sel:[1,1] op_sel_hi:[0,1]
	s_delay_alu instid0(VALU_DEP_1) | instskip(SKIP_1) | instid1(VALU_DEP_2)
	v_pk_fma_f32 v[98:99], v[44:45], v[42:43], v[46:47] op_sel_hi:[1,0,1]
	v_pk_fma_f32 v[42:43], v[44:45], v[42:43], v[46:47] neg_lo:[0,0,1] neg_hi:[0,0,1]
	v_mov_b32_e32 v43, v99
	s_delay_alu instid0(VALU_DEP_1)
	v_pk_add_f32 v[42:43], v[42:43], 0 op_sel_hi:[1,0]
	s_and_saveexec_b32 s52, s14
	s_cbranch_execz .LBB153_202
; %bb.201:                              ;   in Loop: Header=BB153_3 Depth=1
	ds_load_b64 v[44:45], v79 offset:6768
	ds_load_b64 v[46:47], v3 offset:6248
	s_wait_dscnt 0x0
	v_pk_mul_f32 v[98:99], v[46:47], v[44:45] op_sel:[1,1] op_sel_hi:[0,1]
	s_delay_alu instid0(VALU_DEP_1) | instskip(SKIP_1) | instid1(VALU_DEP_2)
	v_pk_fma_f32 v[100:101], v[46:47], v[44:45], v[98:99] op_sel_hi:[1,0,1]
	v_pk_fma_f32 v[44:45], v[46:47], v[44:45], v[98:99] neg_lo:[0,0,1] neg_hi:[0,0,1]
	v_mov_b32_e32 v45, v101
	s_delay_alu instid0(VALU_DEP_1)
	v_pk_add_f32 v[42:43], v[42:43], v[44:45]
.LBB153_202:                            ;   in Loop: Header=BB153_3 Depth=1
	s_or_b32 exec_lo, exec_lo, s52
	s_delay_alu instid0(VALU_DEP_1)
	v_pk_add_f32 v[42:43], v[42:43], 0 neg_lo:[1,1] neg_hi:[1,1]
.LBB153_203:                            ;   in Loop: Header=BB153_3 Depth=1
	s_or_b32 exec_lo, exec_lo, s51
	s_and_saveexec_b32 s51, s89
; %bb.204:                              ;   in Loop: Header=BB153_3 Depth=1
	ds_store_b64 v5, v[42:43]
; %bb.205:                              ;   in Loop: Header=BB153_3 Depth=1
	s_or_b32 exec_lo, exec_lo, s51
	s_wait_dscnt 0x0
	s_barrier_signal -1
	s_barrier_wait -1
	s_and_saveexec_b32 s51, s90
	s_cbranch_execz .LBB153_207
; %bb.206:                              ;   in Loop: Header=BB153_3 Depth=1
	ds_load_b64 v[44:45], v3 offset:7288
	ds_load_b64 v[46:47], v5
	s_wait_dscnt 0x0
	v_pk_mul_f32 v[98:99], v[46:47], v[44:45] op_sel:[1,1] op_sel_hi:[0,1]
	s_delay_alu instid0(VALU_DEP_1) | instskip(SKIP_1) | instid1(VALU_DEP_2)
	v_pk_fma_f32 v[100:101], v[46:47], v[44:45], v[98:99] op_sel_hi:[1,0,1]
	v_pk_fma_f32 v[44:45], v[46:47], v[44:45], v[98:99] neg_lo:[0,0,1] neg_hi:[0,0,1]
	v_mov_b32_e32 v45, v101
	s_delay_alu instid0(VALU_DEP_1)
	v_pk_add_f32 v[42:43], v[42:43], v[44:45]
.LBB153_207:                            ;   in Loop: Header=BB153_3 Depth=1
	s_or_b32 exec_lo, exec_lo, s51
	s_barrier_signal -1
	s_barrier_wait -1
	s_and_saveexec_b32 s51, s90
; %bb.208:                              ;   in Loop: Header=BB153_3 Depth=1
	ds_store_b64 v5, v[42:43]
; %bb.209:                              ;   in Loop: Header=BB153_3 Depth=1
	s_or_b32 exec_lo, exec_lo, s51
	s_wait_dscnt 0x0
	s_barrier_signal -1
	s_barrier_wait -1
	s_barrier_signal -1
	s_barrier_wait -1
	s_and_saveexec_b32 s51, s1
; %bb.210:                              ;   in Loop: Header=BB153_3 Depth=1
	v_pk_add_f32 v[42:43], v[42:43], 0 neg_lo:[1,1] neg_hi:[1,1]
	ds_store_b64 v49, v[42:43] offset:6256
; %bb.211:                              ;   in Loop: Header=BB153_3 Depth=1
	s_or_b32 exec_lo, exec_lo, s51
	s_wait_dscnt 0x0
	s_barrier_signal -1
	s_barrier_wait -1
	s_barrier_signal -1
	s_barrier_wait -1
	s_and_saveexec_b32 s51, s91
	s_cbranch_execz .LBB153_213
; %bb.212:                              ;   in Loop: Header=BB153_3 Depth=1
	ds_load_b64 v[42:43], v80 offset:6256
	s_wait_dscnt 0x0
	ds_store_b64 v79, v[42:43] offset:7264
	ds_load_b64 v[42:43], v80 offset:6264
	s_wait_dscnt 0x0
	ds_store_b64 v79, v[42:43] offset:7776
.LBB153_213:                            ;   in Loop: Header=BB153_3 Depth=1
	s_or_b32 exec_lo, exec_lo, s51
	s_wait_dscnt 0x0
	s_barrier_signal -1
	s_barrier_wait -1
	s_and_saveexec_b32 s51, s10
	s_cbranch_execz .LBB153_215
; %bb.214:                              ;   in Loop: Header=BB153_3 Depth=1
	ds_load_b64 v[42:43], v3 offset:7288
	v_add_nc_u32_e64 v44, 0x70, 0
	ds_store_b64 v3, v[26:27] offset:7800
	s_wait_dscnt 0x1
	ds_store_2addr_stride64_b64 v44, v[26:27], v[42:43] offset0:14 offset1:15
.LBB153_215:                            ;   in Loop: Header=BB153_3 Depth=1
	s_or_b32 exec_lo, exec_lo, s51
	v_mov_b64_e32 v[42:43], 0
	s_wait_dscnt 0x0
	s_barrier_signal -1
	s_barrier_wait -1
	s_and_saveexec_b32 s82, s5
	s_cbranch_execz .LBB153_243
; %bb.216:                              ;   in Loop: Header=BB153_3 Depth=1
	ds_load_b64 v[42:43], v75 offset:128
	ds_load_b64 v[44:45], v71
	s_wait_dscnt 0x0
	v_dual_mul_f32 v46, v45, v43 :: v_dual_mul_f32 v43, v44, v43
	s_delay_alu instid0(VALU_DEP_1) | instskip(NEXT) | instid1(VALU_DEP_1)
	v_dual_fma_f32 v44, v44, v42, -v46 :: v_dual_fmac_f32 v43, v45, v42
	v_dual_add_f32 v42, 0, v44 :: v_dual_add_f32 v43, 0, v43
	s_mov_b32 s51, exec_lo
	v_readlane_b32 s52, v107, 25
	s_and_b32 s52, s51, s52
	s_delay_alu instid0(SALU_CYCLE_1)
	s_mov_b32 exec_lo, s52
	s_cbranch_execz .LBB153_218
; %bb.217:                              ;   in Loop: Header=BB153_3 Depth=1
	ds_load_b64 v[44:45], v76 offset:640
	ds_load_b64 v[46:47], v71 offset:8
	s_wait_dscnt 0x0
	v_dual_mul_f32 v48, v47, v45 :: v_dual_mul_f32 v45, v46, v45
	s_delay_alu instid0(VALU_DEP_1) | instskip(NEXT) | instid1(VALU_DEP_1)
	v_dual_fma_f32 v46, v46, v44, -v48 :: v_dual_fmac_f32 v45, v47, v44
	v_dual_add_f32 v42, v42, v46 :: v_dual_add_f32 v43, v43, v45
.LBB153_218:                            ;   in Loop: Header=BB153_3 Depth=1
	s_or_b32 exec_lo, exec_lo, s51
	s_delay_alu instid0(SALU_CYCLE_1) | instskip(SKIP_2) | instid1(SALU_CYCLE_1)
	s_mov_b32 s51, exec_lo
	v_readlane_b32 s52, v107, 26
	s_and_b32 s52, s51, s52
	s_mov_b32 exec_lo, s52
	s_cbranch_execz .LBB153_220
; %bb.219:                              ;   in Loop: Header=BB153_3 Depth=1
	ds_load_b64 v[44:45], v76 offset:1152
	ds_load_b64 v[46:47], v71 offset:16
	s_wait_dscnt 0x0
	v_dual_mul_f32 v48, v47, v45 :: v_dual_mul_f32 v45, v46, v45
	s_delay_alu instid0(VALU_DEP_1) | instskip(NEXT) | instid1(VALU_DEP_1)
	v_dual_fma_f32 v46, v46, v44, -v48 :: v_dual_fmac_f32 v45, v47, v44
	v_dual_add_f32 v42, v42, v46 :: v_dual_add_f32 v43, v43, v45
.LBB153_220:                            ;   in Loop: Header=BB153_3 Depth=1
	s_or_b32 exec_lo, exec_lo, s51
	s_delay_alu instid0(SALU_CYCLE_1) | instskip(SKIP_2) | instid1(SALU_CYCLE_1)
	s_mov_b32 s51, exec_lo
	v_readlane_b32 s52, v107, 27
	s_and_b32 s52, s51, s52
	;; [unrolled: 16-line block ×10, first 2 shown]
	s_mov_b32 exec_lo, s52
	s_cbranch_execnz .LBB153_1086
; %bb.237:                              ;   in Loop: Header=BB153_3 Depth=1
	s_or_b32 exec_lo, exec_lo, s51
	s_and_saveexec_b32 s51, s4
	s_cbranch_execnz .LBB153_1087
.LBB153_238:                            ;   in Loop: Header=BB153_3 Depth=1
	s_or_b32 exec_lo, exec_lo, s51
	s_and_saveexec_b32 s51, s18
	s_cbranch_execnz .LBB153_1088
.LBB153_239:                            ;   in Loop: Header=BB153_3 Depth=1
	s_or_b32 exec_lo, exec_lo, s51
	s_and_saveexec_b32 s51, s20
	s_cbranch_execnz .LBB153_1089
.LBB153_240:                            ;   in Loop: Header=BB153_3 Depth=1
	s_or_b32 exec_lo, exec_lo, s51
	s_and_saveexec_b32 s51, s3
	s_cbranch_execz .LBB153_242
.LBB153_241:                            ;   in Loop: Header=BB153_3 Depth=1
	ds_load_b64 v[44:45], v51 offset:7808
	ds_load_b64 v[46:47], v3 offset:120
	s_wait_dscnt 0x0
	v_dual_mul_f32 v48, v47, v45 :: v_dual_mul_f32 v99, v46, v45
	s_delay_alu instid0(VALU_DEP_1) | instskip(NEXT) | instid1(VALU_DEP_1)
	v_dual_fma_f32 v98, v46, v44, -v48 :: v_dual_fmac_f32 v99, v47, v44
	v_pk_add_f32 v[42:43], v[42:43], v[98:99]
.LBB153_242:                            ;   in Loop: Header=BB153_3 Depth=1
	s_or_b32 exec_lo, exec_lo, s51
	s_delay_alu instid0(VALU_DEP_1)
	v_pk_add_f32 v[42:43], v[42:43], 0 neg_lo:[1,1] neg_hi:[1,1]
.LBB153_243:                            ;   in Loop: Header=BB153_3 Depth=1
	s_or_b32 exec_lo, exec_lo, s82
	s_delay_alu instid0(SALU_CYCLE_1) | instskip(SKIP_2) | instid1(SALU_CYCLE_1)
	s_mov_b32 s51, exec_lo
	v_readlane_b32 s52, v107, 1
	s_and_b32 s52, s51, s52
	s_mov_b32 exec_lo, s52
; %bb.244:                              ;   in Loop: Header=BB153_3 Depth=1
	ds_store_b64 v74, v[42:43]
; %bb.245:                              ;   in Loop: Header=BB153_3 Depth=1
	s_or_b32 exec_lo, exec_lo, s51
	s_wait_dscnt 0x0
	s_barrier_signal -1
	s_barrier_wait -1
	s_mov_b32 s51, exec_lo
	v_readlane_b32 s52, v107, 2
	s_and_b32 s52, s51, s52
	s_delay_alu instid0(SALU_CYCLE_1)
	s_mov_b32 exec_lo, s52
	s_cbranch_execz .LBB153_247
; %bb.246:                              ;   in Loop: Header=BB153_3 Depth=1
	ds_load_b64 v[44:45], v73 offset:8320
	ds_load_b64 v[46:47], v74
	s_wait_dscnt 0x0
	v_pk_mul_f32 v[98:99], v[46:47], v[44:45] op_sel:[1,1] op_sel_hi:[0,1]
	s_delay_alu instid0(VALU_DEP_1) | instskip(SKIP_1) | instid1(VALU_DEP_2)
	v_pk_fma_f32 v[100:101], v[46:47], v[44:45], v[98:99] op_sel_hi:[1,0,1]
	v_pk_fma_f32 v[44:45], v[46:47], v[44:45], v[98:99] neg_lo:[0,0,1] neg_hi:[0,0,1]
	v_mov_b32_e32 v45, v101
	s_delay_alu instid0(VALU_DEP_1)
	v_pk_add_f32 v[42:43], v[42:43], v[44:45]
.LBB153_247:                            ;   in Loop: Header=BB153_3 Depth=1
	s_or_b32 exec_lo, exec_lo, s51
	s_barrier_signal -1
	s_barrier_wait -1
	s_mov_b32 s51, exec_lo
	v_readlane_b32 s52, v107, 3
	s_and_b32 s52, s51, s52
	s_delay_alu instid0(SALU_CYCLE_1)
	s_mov_b32 exec_lo, s52
; %bb.248:                              ;   in Loop: Header=BB153_3 Depth=1
	ds_store_b64 v74, v[42:43]
; %bb.249:                              ;   in Loop: Header=BB153_3 Depth=1
	s_or_b32 exec_lo, exec_lo, s51
	s_wait_dscnt 0x0
	s_barrier_signal -1
	s_barrier_wait -1
	s_mov_b32 s51, exec_lo
	v_readlane_b32 s52, v107, 4
	s_and_b32 s52, s51, s52
	s_delay_alu instid0(SALU_CYCLE_1)
	s_mov_b32 exec_lo, s52
	s_cbranch_execz .LBB153_251
; %bb.250:                              ;   in Loop: Header=BB153_3 Depth=1
	ds_load_b64 v[44:45], v73 offset:8832
	ds_load_b64 v[46:47], v74
	s_wait_dscnt 0x0
	v_pk_mul_f32 v[98:99], v[46:47], v[44:45] op_sel:[1,1] op_sel_hi:[0,1]
	s_delay_alu instid0(VALU_DEP_1) | instskip(SKIP_1) | instid1(VALU_DEP_2)
	v_pk_fma_f32 v[100:101], v[46:47], v[44:45], v[98:99] op_sel_hi:[1,0,1]
	v_pk_fma_f32 v[44:45], v[46:47], v[44:45], v[98:99] neg_lo:[0,0,1] neg_hi:[0,0,1]
	v_mov_b32_e32 v45, v101
	s_delay_alu instid0(VALU_DEP_1)
	v_pk_add_f32 v[42:43], v[42:43], v[44:45]
.LBB153_251:                            ;   in Loop: Header=BB153_3 Depth=1
	s_or_b32 exec_lo, exec_lo, s51
	s_barrier_signal -1
	s_barrier_wait -1
	s_mov_b32 s51, exec_lo
	v_readlane_b32 s52, v107, 5
	s_and_b32 s52, s51, s52
	s_delay_alu instid0(SALU_CYCLE_1)
	;; [unrolled: 33-line block ×3, first 2 shown]
	s_mov_b32 exec_lo, s52
; %bb.256:                              ;   in Loop: Header=BB153_3 Depth=1
	ds_store_b64 v74, v[42:43]
; %bb.257:                              ;   in Loop: Header=BB153_3 Depth=1
	s_or_b32 exec_lo, exec_lo, s51
	s_wait_dscnt 0x0
	s_barrier_signal -1
	s_barrier_wait -1
	s_mov_b32 s51, exec_lo
	v_readlane_b32 s52, v107, 8
	s_and_b32 s52, s51, s52
	s_delay_alu instid0(SALU_CYCLE_1)
	s_mov_b32 exec_lo, s52
	s_cbranch_execz .LBB153_259
; %bb.258:                              ;   in Loop: Header=BB153_3 Depth=1
	ds_load_b64 v[44:45], v73 offset:9856
	ds_load_b64 v[46:47], v74
	s_wait_dscnt 0x0
	v_dual_mul_f32 v48, v47, v45 :: v_dual_mul_f32 v45, v46, v45
	s_delay_alu instid0(VALU_DEP_1) | instskip(NEXT) | instid1(VALU_DEP_1)
	v_dual_fma_f32 v46, v46, v44, -v48 :: v_dual_fmac_f32 v45, v47, v44
	v_dual_add_f32 v42, v42, v46 :: v_dual_add_f32 v43, v43, v45
.LBB153_259:                            ;   in Loop: Header=BB153_3 Depth=1
	s_or_b32 exec_lo, exec_lo, s51
	s_barrier_signal -1
	s_barrier_wait -1
	s_mov_b32 s51, exec_lo
	v_readlane_b32 s52, v107, 9
	s_and_b32 s52, s51, s52
	s_delay_alu instid0(SALU_CYCLE_1)
	s_mov_b32 exec_lo, s52
; %bb.260:                              ;   in Loop: Header=BB153_3 Depth=1
	ds_store_b64 v74, v[42:43]
; %bb.261:                              ;   in Loop: Header=BB153_3 Depth=1
	s_or_b32 exec_lo, exec_lo, s51
	s_wait_dscnt 0x0
	s_barrier_signal -1
	s_barrier_wait -1
	s_mov_b32 s51, exec_lo
	v_readlane_b32 s52, v107, 10
	s_and_b32 s52, s51, s52
	s_delay_alu instid0(SALU_CYCLE_1)
	s_mov_b32 exec_lo, s52
	s_cbranch_execz .LBB153_263
; %bb.262:                              ;   in Loop: Header=BB153_3 Depth=1
	ds_load_b64 v[44:45], v73 offset:10368
	ds_load_b64 v[46:47], v74
	s_wait_dscnt 0x0
	v_dual_mul_f32 v48, v47, v45 :: v_dual_mul_f32 v99, v46, v45
	s_delay_alu instid0(VALU_DEP_1) | instskip(NEXT) | instid1(VALU_DEP_1)
	v_dual_fma_f32 v98, v46, v44, -v48 :: v_dual_fmac_f32 v99, v47, v44
	v_pk_add_f32 v[42:43], v[42:43], v[98:99]
.LBB153_263:                            ;   in Loop: Header=BB153_3 Depth=1
	s_or_b32 exec_lo, exec_lo, s51
	s_barrier_signal -1
	s_barrier_wait -1
	s_mov_b32 s51, exec_lo
	v_readlane_b32 s52, v107, 11
	s_and_b32 s52, s51, s52
	s_delay_alu instid0(SALU_CYCLE_1)
	s_mov_b32 exec_lo, s52
; %bb.264:                              ;   in Loop: Header=BB153_3 Depth=1
	ds_store_b64 v74, v[42:43]
; %bb.265:                              ;   in Loop: Header=BB153_3 Depth=1
	s_or_b32 exec_lo, exec_lo, s51
	s_wait_dscnt 0x0
	s_barrier_signal -1
	s_barrier_wait -1
	s_and_saveexec_b32 s51, s57
	s_cbranch_execz .LBB153_267
; %bb.266:                              ;   in Loop: Header=BB153_3 Depth=1
	ds_load_b64 v[44:45], v73 offset:10880
	ds_load_b64 v[46:47], v74
	s_wait_dscnt 0x0
	v_pk_mul_f32 v[98:99], v[46:47], v[44:45] op_sel:[1,1] op_sel_hi:[0,1]
	s_delay_alu instid0(VALU_DEP_1) | instskip(SKIP_1) | instid1(VALU_DEP_2)
	v_pk_fma_f32 v[100:101], v[46:47], v[44:45], v[98:99] op_sel_hi:[1,0,1]
	v_pk_fma_f32 v[44:45], v[46:47], v[44:45], v[98:99] neg_lo:[0,0,1] neg_hi:[0,0,1]
	v_mov_b32_e32 v45, v101
	s_delay_alu instid0(VALU_DEP_1)
	v_pk_add_f32 v[42:43], v[42:43], v[44:45]
.LBB153_267:                            ;   in Loop: Header=BB153_3 Depth=1
	s_or_b32 exec_lo, exec_lo, s51
	s_barrier_signal -1
	s_barrier_wait -1
	s_and_saveexec_b32 s51, s58
; %bb.268:                              ;   in Loop: Header=BB153_3 Depth=1
	ds_store_b64 v74, v[42:43]
; %bb.269:                              ;   in Loop: Header=BB153_3 Depth=1
	s_or_b32 exec_lo, exec_lo, s51
	s_wait_dscnt 0x0
	s_barrier_signal -1
	s_barrier_wait -1
	s_and_saveexec_b32 s51, s59
	s_cbranch_execz .LBB153_271
; %bb.270:                              ;   in Loop: Header=BB153_3 Depth=1
	ds_load_b64 v[44:45], v73 offset:11392
	ds_load_b64 v[46:47], v74
	s_wait_dscnt 0x0
	v_pk_mul_f32 v[98:99], v[46:47], v[44:45] op_sel:[1,1] op_sel_hi:[0,1]
	s_delay_alu instid0(VALU_DEP_1) | instskip(SKIP_1) | instid1(VALU_DEP_2)
	v_pk_fma_f32 v[100:101], v[46:47], v[44:45], v[98:99] op_sel_hi:[1,0,1]
	v_pk_fma_f32 v[44:45], v[46:47], v[44:45], v[98:99] neg_lo:[0,0,1] neg_hi:[0,0,1]
	v_mov_b32_e32 v45, v101
	s_delay_alu instid0(VALU_DEP_1)
	v_pk_add_f32 v[42:43], v[42:43], v[44:45]
.LBB153_271:                            ;   in Loop: Header=BB153_3 Depth=1
	s_or_b32 exec_lo, exec_lo, s51
	s_barrier_signal -1
	s_barrier_wait -1
	s_and_saveexec_b32 s51, s60
	;; [unrolled: 25-line block ×4, first 2 shown]
; %bb.280:                              ;   in Loop: Header=BB153_3 Depth=1
	ds_store_b64 v74, v[42:43]
; %bb.281:                              ;   in Loop: Header=BB153_3 Depth=1
	s_or_b32 exec_lo, exec_lo, s51
	s_wait_dscnt 0x0
	s_barrier_signal -1
	s_barrier_wait -1
	s_and_saveexec_b32 s51, s30
	s_cbranch_execz .LBB153_283
; %bb.282:                              ;   in Loop: Header=BB153_3 Depth=1
	ds_load_b64 v[44:45], v73 offset:12928
	ds_load_b64 v[46:47], v74
	s_wait_dscnt 0x0
	v_dual_mul_f32 v48, v47, v45 :: v_dual_mul_f32 v45, v46, v45
	s_delay_alu instid0(VALU_DEP_1) | instskip(NEXT) | instid1(VALU_DEP_1)
	v_dual_fma_f32 v46, v46, v44, -v48 :: v_dual_fmac_f32 v45, v47, v44
	v_dual_add_f32 v42, v42, v46 :: v_dual_add_f32 v43, v43, v45
.LBB153_283:                            ;   in Loop: Header=BB153_3 Depth=1
	s_or_b32 exec_lo, exec_lo, s51
	s_barrier_signal -1
	s_barrier_wait -1
	s_and_saveexec_b32 s51, s33
; %bb.284:                              ;   in Loop: Header=BB153_3 Depth=1
	ds_store_b64 v74, v[42:43]
; %bb.285:                              ;   in Loop: Header=BB153_3 Depth=1
	s_or_b32 exec_lo, exec_lo, s51
	s_wait_dscnt 0x0
	s_barrier_signal -1
	s_barrier_wait -1
	s_and_saveexec_b32 s51, s39
	s_cbranch_execz .LBB153_287
; %bb.286:                              ;   in Loop: Header=BB153_3 Depth=1
	ds_load_b64 v[44:45], v73 offset:13440
	ds_load_b64 v[46:47], v74
	s_wait_dscnt 0x0
	v_dual_mul_f32 v48, v47, v45 :: v_dual_mul_f32 v99, v46, v45
	s_delay_alu instid0(VALU_DEP_1) | instskip(NEXT) | instid1(VALU_DEP_1)
	v_dual_fma_f32 v98, v46, v44, -v48 :: v_dual_fmac_f32 v99, v47, v44
	v_pk_add_f32 v[42:43], v[42:43], v[98:99]
.LBB153_287:                            ;   in Loop: Header=BB153_3 Depth=1
	s_or_b32 exec_lo, exec_lo, s51
	s_barrier_signal -1
	s_barrier_wait -1
	s_and_saveexec_b32 s51, s23
; %bb.288:                              ;   in Loop: Header=BB153_3 Depth=1
	ds_store_b64 v74, v[42:43]
; %bb.289:                              ;   in Loop: Header=BB153_3 Depth=1
	s_or_b32 exec_lo, exec_lo, s51
	s_wait_dscnt 0x0
	s_barrier_signal -1
	s_barrier_wait -1
	s_and_saveexec_b32 s51, s25
	s_cbranch_execz .LBB153_291
; %bb.290:                              ;   in Loop: Header=BB153_3 Depth=1
	ds_load_b64 v[44:45], v73 offset:13952
	ds_load_b64 v[46:47], v74
	s_wait_dscnt 0x0
	v_pk_mul_f32 v[98:99], v[46:47], v[44:45] op_sel:[1,1] op_sel_hi:[0,1]
	s_delay_alu instid0(VALU_DEP_1) | instskip(SKIP_1) | instid1(VALU_DEP_2)
	v_pk_fma_f32 v[100:101], v[46:47], v[44:45], v[98:99] op_sel_hi:[1,0,1]
	v_pk_fma_f32 v[44:45], v[46:47], v[44:45], v[98:99] neg_lo:[0,0,1] neg_hi:[0,0,1]
	v_mov_b32_e32 v45, v101
	s_delay_alu instid0(VALU_DEP_1)
	v_pk_add_f32 v[42:43], v[42:43], v[44:45]
.LBB153_291:                            ;   in Loop: Header=BB153_3 Depth=1
	s_or_b32 exec_lo, exec_lo, s51
	s_barrier_signal -1
	s_barrier_wait -1
	s_and_saveexec_b32 s51, s27
; %bb.292:                              ;   in Loop: Header=BB153_3 Depth=1
	ds_store_b64 v74, v[42:43]
; %bb.293:                              ;   in Loop: Header=BB153_3 Depth=1
	s_or_b32 exec_lo, exec_lo, s51
	s_wait_dscnt 0x0
	s_barrier_signal -1
	s_barrier_wait -1
	s_and_saveexec_b32 s51, s29
	s_cbranch_execz .LBB153_295
; %bb.294:                              ;   in Loop: Header=BB153_3 Depth=1
	ds_load_b64 v[44:45], v73 offset:14464
	ds_load_b64 v[46:47], v74
	s_wait_dscnt 0x0
	v_pk_mul_f32 v[98:99], v[46:47], v[44:45] op_sel:[1,1] op_sel_hi:[0,1]
	s_delay_alu instid0(VALU_DEP_1) | instskip(SKIP_1) | instid1(VALU_DEP_2)
	v_pk_fma_f32 v[100:101], v[46:47], v[44:45], v[98:99] op_sel_hi:[1,0,1]
	v_pk_fma_f32 v[44:45], v[46:47], v[44:45], v[98:99] neg_lo:[0,0,1] neg_hi:[0,0,1]
	v_mov_b32_e32 v45, v101
	s_delay_alu instid0(VALU_DEP_1)
	v_pk_add_f32 v[42:43], v[42:43], v[44:45]
.LBB153_295:                            ;   in Loop: Header=BB153_3 Depth=1
	;; [unrolled: 25-line block ×4, first 2 shown]
	s_or_b32 exec_lo, exec_lo, s51
	s_barrier_signal -1
	s_barrier_wait -1
	s_and_saveexec_b32 s51, s47
; %bb.304:                              ;   in Loop: Header=BB153_3 Depth=1
	ds_store_b64 v74, v[42:43]
; %bb.305:                              ;   in Loop: Header=BB153_3 Depth=1
	s_or_b32 exec_lo, exec_lo, s51
	s_wait_dscnt 0x0
	s_barrier_signal -1
	s_barrier_wait -1
	s_barrier_signal -1
	s_barrier_wait -1
	s_and_saveexec_b32 s51, s5
; %bb.306:                              ;   in Loop: Header=BB153_3 Depth=1
	v_pk_add_f32 v[42:43], v[42:43], 0 neg_lo:[1,1] neg_hi:[1,1]
	ds_store_b64 v75, v[42:43] offset:128
; %bb.307:                              ;   in Loop: Header=BB153_3 Depth=1
	s_or_b32 exec_lo, exec_lo, s51
	s_wait_dscnt 0x0
	s_barrier_signal -1
	s_barrier_wait -1
	s_barrier_signal -1
	s_barrier_wait -1
	s_and_saveexec_b32 s51, s48
	s_cbranch_execz .LBB153_309
; %bb.308:                              ;   in Loop: Header=BB153_3 Depth=1
	ds_load_b64 v[42:43], v54 offset:128
	s_wait_dscnt 0x0
	ds_store_b64 v58, v[42:43] offset:8192
	ds_load_b64 v[42:43], v54 offset:136
	s_wait_dscnt 0x0
	ds_store_b64 v58, v[42:43] offset:8704
	;; [unrolled: 3-line block ×16, first 2 shown]
.LBB153_309:                            ;   in Loop: Header=BB153_3 Depth=1
	s_or_b32 exec_lo, exec_lo, s51
	s_wait_dscnt 0x0
	s_barrier_signal -1
	s_barrier_wait -1
	s_and_saveexec_b32 s51, s10
	s_cbranch_execz .LBB153_311
; %bb.310:                              ;   in Loop: Header=BB153_3 Depth=1
	ds_load_b64 v[42:43], v3 offset:8328
	v_add_nc_u32_e64 v44, 0x80, 0
	ds_store_b64 v3, v[26:27] offset:8840
	s_wait_dscnt 0x1
	ds_store_2addr_stride64_b64 v44, v[26:27], v[42:43] offset0:16 offset1:17
.LBB153_311:                            ;   in Loop: Header=BB153_3 Depth=1
	s_or_b32 exec_lo, exec_lo, s51
	v_mov_b64_e32 v[42:43], 0
	s_wait_dscnt 0x0
	s_barrier_signal -1
	s_barrier_wait -1
	s_and_saveexec_b32 s51, s1
	s_cbranch_execz .LBB153_315
; %bb.312:                              ;   in Loop: Header=BB153_3 Depth=1
	ds_load_b64 v[42:43], v49 offset:8336
	ds_load_b64 v[44:45], v50 offset:8320
	s_wait_dscnt 0x0
	v_pk_mul_f32 v[46:47], v[44:45], v[42:43] op_sel:[1,1] op_sel_hi:[0,1]
	s_delay_alu instid0(VALU_DEP_1) | instskip(SKIP_1) | instid1(VALU_DEP_2)
	v_pk_fma_f32 v[98:99], v[44:45], v[42:43], v[46:47] op_sel_hi:[1,0,1]
	v_pk_fma_f32 v[42:43], v[44:45], v[42:43], v[46:47] neg_lo:[0,0,1] neg_hi:[0,0,1]
	v_mov_b32_e32 v43, v99
	s_delay_alu instid0(VALU_DEP_1)
	v_pk_add_f32 v[42:43], v[42:43], 0 op_sel_hi:[1,0]
	s_and_saveexec_b32 s52, s14
	s_cbranch_execz .LBB153_314
; %bb.313:                              ;   in Loop: Header=BB153_3 Depth=1
	ds_load_b64 v[44:45], v51 offset:8848
	ds_load_b64 v[46:47], v3 offset:8328
	s_wait_dscnt 0x0
	v_pk_mul_f32 v[98:99], v[46:47], v[44:45] op_sel:[1,1] op_sel_hi:[0,1]
	s_delay_alu instid0(VALU_DEP_1) | instskip(SKIP_1) | instid1(VALU_DEP_2)
	v_pk_fma_f32 v[100:101], v[46:47], v[44:45], v[98:99] op_sel_hi:[1,0,1]
	v_pk_fma_f32 v[44:45], v[46:47], v[44:45], v[98:99] neg_lo:[0,0,1] neg_hi:[0,0,1]
	v_mov_b32_e32 v45, v101
	s_delay_alu instid0(VALU_DEP_1)
	v_pk_add_f32 v[42:43], v[42:43], v[44:45]
.LBB153_314:                            ;   in Loop: Header=BB153_3 Depth=1
	s_or_b32 exec_lo, exec_lo, s52
	s_delay_alu instid0(VALU_DEP_1)
	v_pk_add_f32 v[42:43], v[42:43], 0 neg_lo:[1,1] neg_hi:[1,1]
.LBB153_315:                            ;   in Loop: Header=BB153_3 Depth=1
	s_or_b32 exec_lo, exec_lo, s51
	s_and_saveexec_b32 s51, s89
; %bb.316:                              ;   in Loop: Header=BB153_3 Depth=1
	ds_store_b64 v5, v[42:43]
; %bb.317:                              ;   in Loop: Header=BB153_3 Depth=1
	s_or_b32 exec_lo, exec_lo, s51
	s_wait_dscnt 0x0
	s_barrier_signal -1
	s_barrier_wait -1
	s_and_saveexec_b32 s51, s90
	s_cbranch_execz .LBB153_319
; %bb.318:                              ;   in Loop: Header=BB153_3 Depth=1
	ds_load_b64 v[44:45], v3 offset:9368
	ds_load_b64 v[46:47], v5
	s_wait_dscnt 0x0
	v_pk_mul_f32 v[98:99], v[46:47], v[44:45] op_sel:[1,1] op_sel_hi:[0,1]
	s_delay_alu instid0(VALU_DEP_1) | instskip(SKIP_1) | instid1(VALU_DEP_2)
	v_pk_fma_f32 v[100:101], v[46:47], v[44:45], v[98:99] op_sel_hi:[1,0,1]
	v_pk_fma_f32 v[44:45], v[46:47], v[44:45], v[98:99] neg_lo:[0,0,1] neg_hi:[0,0,1]
	v_mov_b32_e32 v45, v101
	s_delay_alu instid0(VALU_DEP_1)
	v_pk_add_f32 v[42:43], v[42:43], v[44:45]
.LBB153_319:                            ;   in Loop: Header=BB153_3 Depth=1
	s_or_b32 exec_lo, exec_lo, s51
	s_barrier_signal -1
	s_barrier_wait -1
	s_and_saveexec_b32 s51, s90
; %bb.320:                              ;   in Loop: Header=BB153_3 Depth=1
	ds_store_b64 v5, v[42:43]
; %bb.321:                              ;   in Loop: Header=BB153_3 Depth=1
	s_or_b32 exec_lo, exec_lo, s51
	s_wait_dscnt 0x0
	s_barrier_signal -1
	s_barrier_wait -1
	s_barrier_signal -1
	s_barrier_wait -1
	s_and_saveexec_b32 s51, s1
; %bb.322:                              ;   in Loop: Header=BB153_3 Depth=1
	v_pk_add_f32 v[42:43], v[42:43], 0 neg_lo:[1,1] neg_hi:[1,1]
	ds_store_b64 v49, v[42:43] offset:8336
; %bb.323:                              ;   in Loop: Header=BB153_3 Depth=1
	s_or_b32 exec_lo, exec_lo, s51
	s_wait_dscnt 0x0
	s_barrier_signal -1
	s_barrier_wait -1
	s_barrier_signal -1
	s_barrier_wait -1
	s_and_saveexec_b32 s51, s91
	s_cbranch_execz .LBB153_325
; %bb.324:                              ;   in Loop: Header=BB153_3 Depth=1
	ds_load_b64 v[42:43], v54 offset:8336
	s_wait_dscnt 0x0
	ds_store_b64 v51, v[42:43] offset:9344
	ds_load_b64 v[42:43], v54 offset:8344
	s_wait_dscnt 0x0
	ds_store_b64 v51, v[42:43] offset:9856
.LBB153_325:                            ;   in Loop: Header=BB153_3 Depth=1
	s_or_b32 exec_lo, exec_lo, s51
	s_wait_dscnt 0x0
	s_barrier_signal -1
	s_barrier_wait -1
	s_and_saveexec_b32 s51, s10
	s_cbranch_execz .LBB153_327
; %bb.326:                              ;   in Loop: Header=BB153_3 Depth=1
	ds_load_b64 v[42:43], v3 offset:9368
	v_add_nc_u32_e64 v44, 0x90, 0
	ds_store_b64 v3, v[26:27] offset:9880
	s_wait_dscnt 0x1
	ds_store_2addr_stride64_b64 v44, v[26:27], v[42:43] offset0:18 offset1:19
.LBB153_327:                            ;   in Loop: Header=BB153_3 Depth=1
	s_or_b32 exec_lo, exec_lo, s51
	v_mov_b64_e32 v[42:43], 0
	s_wait_dscnt 0x0
	s_barrier_signal -1
	s_barrier_wait -1
	s_and_saveexec_b32 s51, s3
	s_cbranch_execz .LBB153_333
; %bb.328:                              ;   in Loop: Header=BB153_3 Depth=1
	ds_load_b64 v[42:43], v56 offset:8352
	ds_load_b64 v[44:45], v52 offset:8320
	s_wait_dscnt 0x0
	v_dual_mul_f32 v46, v45, v43 :: v_dual_mul_f32 v43, v44, v43
	s_delay_alu instid0(VALU_DEP_1) | instskip(NEXT) | instid1(VALU_DEP_1)
	v_dual_fma_f32 v44, v44, v42, -v46 :: v_dual_fmac_f32 v43, v45, v42
	v_dual_add_f32 v42, 0, v44 :: v_dual_add_f32 v43, 0, v43
	s_and_saveexec_b32 s52, s15
	s_cbranch_execnz .LBB153_1090
; %bb.329:                              ;   in Loop: Header=BB153_3 Depth=1
	s_or_b32 exec_lo, exec_lo, s52
	s_and_saveexec_b32 s52, s16
	s_cbranch_execnz .LBB153_1091
.LBB153_330:                            ;   in Loop: Header=BB153_3 Depth=1
	s_or_b32 exec_lo, exec_lo, s52
	s_and_saveexec_b32 s52, s1
	s_cbranch_execz .LBB153_332
.LBB153_331:                            ;   in Loop: Header=BB153_3 Depth=1
	ds_load_b64 v[44:45], v58 offset:9888
	ds_load_b64 v[46:47], v3 offset:8344
	s_wait_dscnt 0x0
	v_dual_mul_f32 v48, v47, v45 :: v_dual_mul_f32 v99, v46, v45
	s_delay_alu instid0(VALU_DEP_1) | instskip(NEXT) | instid1(VALU_DEP_1)
	v_dual_fma_f32 v98, v46, v44, -v48 :: v_dual_fmac_f32 v99, v47, v44
	v_pk_add_f32 v[42:43], v[42:43], v[98:99]
.LBB153_332:                            ;   in Loop: Header=BB153_3 Depth=1
	s_or_b32 exec_lo, exec_lo, s52
	s_delay_alu instid0(VALU_DEP_1)
	v_pk_add_f32 v[42:43], v[42:43], 0 neg_lo:[1,1] neg_hi:[1,1]
.LBB153_333:                            ;   in Loop: Header=BB153_3 Depth=1
	s_or_b32 exec_lo, exec_lo, s51
	s_and_saveexec_b32 s51, s92
; %bb.334:                              ;   in Loop: Header=BB153_3 Depth=1
	ds_store_b64 v55, v[42:43]
; %bb.335:                              ;   in Loop: Header=BB153_3 Depth=1
	s_or_b32 exec_lo, exec_lo, s51
	s_wait_dscnt 0x0
	s_barrier_signal -1
	s_barrier_wait -1
	s_and_saveexec_b32 s51, s93
	s_cbranch_execz .LBB153_337
; %bb.336:                              ;   in Loop: Header=BB153_3 Depth=1
	ds_load_b64 v[44:45], v53 offset:10400
	ds_load_b64 v[46:47], v55
	s_wait_dscnt 0x0
	v_pk_mul_f32 v[98:99], v[46:47], v[44:45] op_sel:[1,1] op_sel_hi:[0,1]
	s_delay_alu instid0(VALU_DEP_1) | instskip(SKIP_1) | instid1(VALU_DEP_2)
	v_pk_fma_f32 v[100:101], v[46:47], v[44:45], v[98:99] op_sel_hi:[1,0,1]
	v_pk_fma_f32 v[44:45], v[46:47], v[44:45], v[98:99] neg_lo:[0,0,1] neg_hi:[0,0,1]
	v_mov_b32_e32 v45, v101
	s_delay_alu instid0(VALU_DEP_1)
	v_pk_add_f32 v[42:43], v[42:43], v[44:45]
.LBB153_337:                            ;   in Loop: Header=BB153_3 Depth=1
	s_or_b32 exec_lo, exec_lo, s51
	s_barrier_signal -1
	s_barrier_wait -1
	s_and_saveexec_b32 s51, s94
; %bb.338:                              ;   in Loop: Header=BB153_3 Depth=1
	ds_store_b64 v55, v[42:43]
; %bb.339:                              ;   in Loop: Header=BB153_3 Depth=1
	s_or_b32 exec_lo, exec_lo, s51
	s_wait_dscnt 0x0
	s_barrier_signal -1
	s_barrier_wait -1
	s_and_saveexec_b32 s51, s95
	s_cbranch_execz .LBB153_341
; %bb.340:                              ;   in Loop: Header=BB153_3 Depth=1
	ds_load_b64 v[44:45], v53 offset:10912
	ds_load_b64 v[46:47], v55
	s_wait_dscnt 0x0
	v_pk_mul_f32 v[98:99], v[46:47], v[44:45] op_sel:[1,1] op_sel_hi:[0,1]
	s_delay_alu instid0(VALU_DEP_1) | instskip(SKIP_1) | instid1(VALU_DEP_2)
	v_pk_fma_f32 v[100:101], v[46:47], v[44:45], v[98:99] op_sel_hi:[1,0,1]
	v_pk_fma_f32 v[44:45], v[46:47], v[44:45], v[98:99] neg_lo:[0,0,1] neg_hi:[0,0,1]
	v_mov_b32_e32 v45, v101
	s_delay_alu instid0(VALU_DEP_1)
	v_pk_add_f32 v[42:43], v[42:43], v[44:45]
.LBB153_341:                            ;   in Loop: Header=BB153_3 Depth=1
	s_or_b32 exec_lo, exec_lo, s51
	s_barrier_signal -1
	s_barrier_wait -1
	;; [unrolled: 25-line block ×3, first 2 shown]
	s_and_saveexec_b32 s51, s97
; %bb.346:                              ;   in Loop: Header=BB153_3 Depth=1
	ds_store_b64 v55, v[42:43]
; %bb.347:                              ;   in Loop: Header=BB153_3 Depth=1
	s_or_b32 exec_lo, exec_lo, s51
	s_wait_dscnt 0x0
	s_barrier_signal -1
	s_barrier_wait -1
	s_barrier_signal -1
	s_barrier_wait -1
	s_and_saveexec_b32 s51, s3
; %bb.348:                              ;   in Loop: Header=BB153_3 Depth=1
	v_pk_add_f32 v[42:43], v[42:43], 0 neg_lo:[1,1] neg_hi:[1,1]
	ds_store_b64 v56, v[42:43] offset:8352
; %bb.349:                              ;   in Loop: Header=BB153_3 Depth=1
	s_or_b32 exec_lo, exec_lo, s51
	s_wait_dscnt 0x0
	s_barrier_signal -1
	s_barrier_wait -1
	s_barrier_signal -1
	s_barrier_wait -1
	s_and_saveexec_b32 s51, s98
	s_cbranch_execz .LBB153_351
; %bb.350:                              ;   in Loop: Header=BB153_3 Depth=1
	ds_load_b64 v[42:43], v59 offset:8352
	s_wait_dscnt 0x0
	ds_store_b64 v61, v[42:43] offset:10368
	ds_load_b64 v[42:43], v59 offset:8360
	s_wait_dscnt 0x0
	ds_store_b64 v61, v[42:43] offset:10880
	;; [unrolled: 3-line block ×4, first 2 shown]
.LBB153_351:                            ;   in Loop: Header=BB153_3 Depth=1
	s_or_b32 exec_lo, exec_lo, s51
	s_wait_dscnt 0x0
	s_barrier_signal -1
	s_barrier_wait -1
	s_and_saveexec_b32 s51, s10
	s_cbranch_execz .LBB153_353
; %bb.352:                              ;   in Loop: Header=BB153_3 Depth=1
	ds_load_b64 v[42:43], v3 offset:10408
	v_add_nc_u32_e64 v44, 0xa0, 0
	ds_store_b64 v3, v[26:27] offset:10920
	s_wait_dscnt 0x1
	ds_store_2addr_stride64_b64 v44, v[26:27], v[42:43] offset0:20 offset1:21
.LBB153_353:                            ;   in Loop: Header=BB153_3 Depth=1
	s_or_b32 exec_lo, exec_lo, s51
	v_mov_b64_e32 v[42:43], 0
	s_wait_dscnt 0x0
	s_barrier_signal -1
	s_barrier_wait -1
	s_and_saveexec_b32 s51, s1
	s_cbranch_execz .LBB153_357
; %bb.354:                              ;   in Loop: Header=BB153_3 Depth=1
	ds_load_b64 v[42:43], v49 offset:10416
	ds_load_b64 v[44:45], v50 offset:10400
	s_wait_dscnt 0x0
	v_pk_mul_f32 v[46:47], v[44:45], v[42:43] op_sel:[1,1] op_sel_hi:[0,1]
	s_delay_alu instid0(VALU_DEP_1) | instskip(SKIP_1) | instid1(VALU_DEP_2)
	v_pk_fma_f32 v[98:99], v[44:45], v[42:43], v[46:47] op_sel_hi:[1,0,1]
	v_pk_fma_f32 v[42:43], v[44:45], v[42:43], v[46:47] neg_lo:[0,0,1] neg_hi:[0,0,1]
	v_mov_b32_e32 v43, v99
	s_delay_alu instid0(VALU_DEP_1)
	v_pk_add_f32 v[42:43], v[42:43], 0 op_sel_hi:[1,0]
	s_and_saveexec_b32 s52, s14
	s_cbranch_execz .LBB153_356
; %bb.355:                              ;   in Loop: Header=BB153_3 Depth=1
	ds_load_b64 v[44:45], v61 offset:10928
	ds_load_b64 v[46:47], v3 offset:10408
	s_wait_dscnt 0x0
	v_pk_mul_f32 v[98:99], v[46:47], v[44:45] op_sel:[1,1] op_sel_hi:[0,1]
	s_delay_alu instid0(VALU_DEP_1) | instskip(SKIP_1) | instid1(VALU_DEP_2)
	v_pk_fma_f32 v[100:101], v[46:47], v[44:45], v[98:99] op_sel_hi:[1,0,1]
	v_pk_fma_f32 v[44:45], v[46:47], v[44:45], v[98:99] neg_lo:[0,0,1] neg_hi:[0,0,1]
	v_mov_b32_e32 v45, v101
	s_delay_alu instid0(VALU_DEP_1)
	v_pk_add_f32 v[42:43], v[42:43], v[44:45]
.LBB153_356:                            ;   in Loop: Header=BB153_3 Depth=1
	s_or_b32 exec_lo, exec_lo, s52
	s_delay_alu instid0(VALU_DEP_1)
	v_pk_add_f32 v[42:43], v[42:43], 0 neg_lo:[1,1] neg_hi:[1,1]
.LBB153_357:                            ;   in Loop: Header=BB153_3 Depth=1
	s_or_b32 exec_lo, exec_lo, s51
	s_and_saveexec_b32 s51, s89
; %bb.358:                              ;   in Loop: Header=BB153_3 Depth=1
	ds_store_b64 v5, v[42:43]
; %bb.359:                              ;   in Loop: Header=BB153_3 Depth=1
	s_or_b32 exec_lo, exec_lo, s51
	s_wait_dscnt 0x0
	s_barrier_signal -1
	s_barrier_wait -1
	s_and_saveexec_b32 s51, s90
	s_cbranch_execz .LBB153_361
; %bb.360:                              ;   in Loop: Header=BB153_3 Depth=1
	ds_load_b64 v[44:45], v3 offset:11448
	ds_load_b64 v[46:47], v5
	s_wait_dscnt 0x0
	v_pk_mul_f32 v[98:99], v[46:47], v[44:45] op_sel:[1,1] op_sel_hi:[0,1]
	s_delay_alu instid0(VALU_DEP_1) | instskip(SKIP_1) | instid1(VALU_DEP_2)
	v_pk_fma_f32 v[100:101], v[46:47], v[44:45], v[98:99] op_sel_hi:[1,0,1]
	v_pk_fma_f32 v[44:45], v[46:47], v[44:45], v[98:99] neg_lo:[0,0,1] neg_hi:[0,0,1]
	v_mov_b32_e32 v45, v101
	s_delay_alu instid0(VALU_DEP_1)
	v_pk_add_f32 v[42:43], v[42:43], v[44:45]
.LBB153_361:                            ;   in Loop: Header=BB153_3 Depth=1
	s_or_b32 exec_lo, exec_lo, s51
	s_barrier_signal -1
	s_barrier_wait -1
	s_and_saveexec_b32 s51, s90
; %bb.362:                              ;   in Loop: Header=BB153_3 Depth=1
	ds_store_b64 v5, v[42:43]
; %bb.363:                              ;   in Loop: Header=BB153_3 Depth=1
	s_or_b32 exec_lo, exec_lo, s51
	s_wait_dscnt 0x0
	s_barrier_signal -1
	s_barrier_wait -1
	s_barrier_signal -1
	s_barrier_wait -1
	s_and_saveexec_b32 s51, s1
; %bb.364:                              ;   in Loop: Header=BB153_3 Depth=1
	v_pk_add_f32 v[42:43], v[42:43], 0 neg_lo:[1,1] neg_hi:[1,1]
	ds_store_b64 v49, v[42:43] offset:10416
; %bb.365:                              ;   in Loop: Header=BB153_3 Depth=1
	s_or_b32 exec_lo, exec_lo, s51
	s_wait_dscnt 0x0
	s_barrier_signal -1
	s_barrier_wait -1
	s_barrier_signal -1
	s_barrier_wait -1
	s_and_saveexec_b32 s51, s91
	s_cbranch_execz .LBB153_367
; %bb.366:                              ;   in Loop: Header=BB153_3 Depth=1
	ds_load_b64 v[42:43], v63 offset:10416
	s_wait_dscnt 0x0
	ds_store_b64 v61, v[42:43] offset:11424
	ds_load_b64 v[42:43], v63 offset:10424
	s_wait_dscnt 0x0
	ds_store_b64 v61, v[42:43] offset:11936
.LBB153_367:                            ;   in Loop: Header=BB153_3 Depth=1
	s_or_b32 exec_lo, exec_lo, s51
	s_wait_dscnt 0x0
	s_barrier_signal -1
	s_barrier_wait -1
	s_and_saveexec_b32 s51, s10
	s_cbranch_execz .LBB153_369
; %bb.368:                              ;   in Loop: Header=BB153_3 Depth=1
	ds_load_b64 v[42:43], v3 offset:11448
	v_add_nc_u32_e64 v44, 0xb0, 0
	ds_store_b64 v3, v[26:27] offset:11960
	s_wait_dscnt 0x1
	ds_store_2addr_stride64_b64 v44, v[26:27], v[42:43] offset0:22 offset1:23
.LBB153_369:                            ;   in Loop: Header=BB153_3 Depth=1
	s_or_b32 exec_lo, exec_lo, s51
	v_mov_b64_e32 v[42:43], 0
	s_wait_dscnt 0x0
	s_barrier_signal -1
	s_barrier_wait -1
	s_and_saveexec_b32 s51, s4
	s_cbranch_execz .LBB153_379
; %bb.370:                              ;   in Loop: Header=BB153_3 Depth=1
	ds_load_b64 v[42:43], v65 offset:8384
	ds_load_b64 v[44:45], v60 offset:8320
	s_wait_dscnt 0x0
	v_dual_mul_f32 v46, v45, v43 :: v_dual_mul_f32 v43, v44, v43
	s_delay_alu instid0(VALU_DEP_1) | instskip(NEXT) | instid1(VALU_DEP_1)
	v_dual_fma_f32 v44, v44, v42, -v46 :: v_dual_fmac_f32 v43, v45, v42
	v_dual_add_f32 v42, 0, v44 :: v_dual_add_f32 v43, 0, v43
	s_and_saveexec_b32 s52, s17
	s_cbranch_execnz .LBB153_1092
; %bb.371:                              ;   in Loop: Header=BB153_3 Depth=1
	s_or_b32 exec_lo, exec_lo, s52
	s_and_saveexec_b32 s52, s18
	s_cbranch_execnz .LBB153_1093
.LBB153_372:                            ;   in Loop: Header=BB153_3 Depth=1
	s_or_b32 exec_lo, exec_lo, s52
	s_and_saveexec_b32 s52, s19
	s_cbranch_execnz .LBB153_1094
.LBB153_373:                            ;   in Loop: Header=BB153_3 Depth=1
	s_or_b32 exec_lo, exec_lo, s52
	s_and_saveexec_b32 s52, s20
	s_cbranch_execnz .LBB153_1095
.LBB153_374:                            ;   in Loop: Header=BB153_3 Depth=1
	s_or_b32 exec_lo, exec_lo, s52
	s_and_saveexec_b32 s52, s21
	s_cbranch_execnz .LBB153_1096
.LBB153_375:                            ;   in Loop: Header=BB153_3 Depth=1
	s_or_b32 exec_lo, exec_lo, s52
	s_and_saveexec_b32 s52, s3
	s_cbranch_execnz .LBB153_1097
.LBB153_376:                            ;   in Loop: Header=BB153_3 Depth=1
	s_or_b32 exec_lo, exec_lo, s52
	s_and_saveexec_b32 s52, s16
	s_cbranch_execz .LBB153_378
.LBB153_377:                            ;   in Loop: Header=BB153_3 Depth=1
	ds_load_b64 v[44:45], v51 offset:11968
	ds_load_b64 v[46:47], v3 offset:8376
	s_wait_dscnt 0x0
	v_pk_mul_f32 v[98:99], v[46:47], v[44:45] op_sel:[1,1] op_sel_hi:[0,1]
	s_delay_alu instid0(VALU_DEP_1) | instskip(SKIP_1) | instid1(VALU_DEP_2)
	v_pk_fma_f32 v[100:101], v[46:47], v[44:45], v[98:99] op_sel_hi:[1,0,1]
	v_pk_fma_f32 v[44:45], v[46:47], v[44:45], v[98:99] neg_lo:[0,0,1] neg_hi:[0,0,1]
	v_mov_b32_e32 v45, v101
	s_delay_alu instid0(VALU_DEP_1)
	v_pk_add_f32 v[42:43], v[42:43], v[44:45]
.LBB153_378:                            ;   in Loop: Header=BB153_3 Depth=1
	s_or_b32 exec_lo, exec_lo, s52
	s_delay_alu instid0(VALU_DEP_1)
	v_pk_add_f32 v[42:43], v[42:43], 0 neg_lo:[1,1] neg_hi:[1,1]
.LBB153_379:                            ;   in Loop: Header=BB153_3 Depth=1
	s_or_b32 exec_lo, exec_lo, s51
	s_and_saveexec_b32 s51, s99
; %bb.380:                              ;   in Loop: Header=BB153_3 Depth=1
	ds_store_b64 v64, v[42:43]
; %bb.381:                              ;   in Loop: Header=BB153_3 Depth=1
	s_or_b32 exec_lo, exec_lo, s51
	s_wait_dscnt 0x0
	s_barrier_signal -1
	s_barrier_wait -1
	s_and_saveexec_b32 s51, s100
	s_cbranch_execz .LBB153_383
; %bb.382:                              ;   in Loop: Header=BB153_3 Depth=1
	ds_load_b64 v[44:45], v62 offset:12480
	ds_load_b64 v[46:47], v64
	s_wait_dscnt 0x0
	v_pk_mul_f32 v[98:99], v[46:47], v[44:45] op_sel:[1,1] op_sel_hi:[0,1]
	s_delay_alu instid0(VALU_DEP_1) | instskip(SKIP_1) | instid1(VALU_DEP_2)
	v_pk_fma_f32 v[100:101], v[46:47], v[44:45], v[98:99] op_sel_hi:[1,0,1]
	v_pk_fma_f32 v[44:45], v[46:47], v[44:45], v[98:99] neg_lo:[0,0,1] neg_hi:[0,0,1]
	v_mov_b32_e32 v45, v101
	s_delay_alu instid0(VALU_DEP_1)
	v_pk_add_f32 v[42:43], v[42:43], v[44:45]
.LBB153_383:                            ;   in Loop: Header=BB153_3 Depth=1
	s_or_b32 exec_lo, exec_lo, s51
	s_barrier_signal -1
	s_barrier_wait -1
	s_and_saveexec_b32 s51, s101
; %bb.384:                              ;   in Loop: Header=BB153_3 Depth=1
	ds_store_b64 v64, v[42:43]
; %bb.385:                              ;   in Loop: Header=BB153_3 Depth=1
	s_or_b32 exec_lo, exec_lo, s51
	s_wait_dscnt 0x0
	s_barrier_signal -1
	s_barrier_wait -1
	s_and_saveexec_b32 s51, s102
	s_cbranch_execz .LBB153_387
; %bb.386:                              ;   in Loop: Header=BB153_3 Depth=1
	ds_load_b64 v[44:45], v62 offset:12992
	ds_load_b64 v[46:47], v64
	s_wait_dscnt 0x0
	v_dual_mul_f32 v48, v47, v45 :: v_dual_mul_f32 v45, v46, v45
	s_delay_alu instid0(VALU_DEP_1) | instskip(NEXT) | instid1(VALU_DEP_1)
	v_dual_fma_f32 v46, v46, v44, -v48 :: v_dual_fmac_f32 v45, v47, v44
	v_dual_add_f32 v42, v42, v46 :: v_dual_add_f32 v43, v43, v45
.LBB153_387:                            ;   in Loop: Header=BB153_3 Depth=1
	s_or_b32 exec_lo, exec_lo, s51
	s_barrier_signal -1
	s_barrier_wait -1
	s_and_saveexec_b32 s51, s103
; %bb.388:                              ;   in Loop: Header=BB153_3 Depth=1
	ds_store_b64 v64, v[42:43]
; %bb.389:                              ;   in Loop: Header=BB153_3 Depth=1
	s_or_b32 exec_lo, exec_lo, s51
	s_wait_dscnt 0x0
	s_barrier_signal -1
	s_barrier_wait -1
	s_and_saveexec_b32 s51, s104
	s_cbranch_execz .LBB153_391
; %bb.390:                              ;   in Loop: Header=BB153_3 Depth=1
	ds_load_b64 v[44:45], v62 offset:13504
	ds_load_b64 v[46:47], v64
	s_wait_dscnt 0x0
	v_dual_mul_f32 v48, v47, v45 :: v_dual_mul_f32 v99, v46, v45
	s_delay_alu instid0(VALU_DEP_1) | instskip(NEXT) | instid1(VALU_DEP_1)
	v_dual_fma_f32 v98, v46, v44, -v48 :: v_dual_fmac_f32 v99, v47, v44
	v_pk_add_f32 v[42:43], v[42:43], v[98:99]
.LBB153_391:                            ;   in Loop: Header=BB153_3 Depth=1
	s_or_b32 exec_lo, exec_lo, s51
	s_barrier_signal -1
	s_barrier_wait -1
	s_and_saveexec_b32 s51, vcc_hi
; %bb.392:                              ;   in Loop: Header=BB153_3 Depth=1
	ds_store_b64 v64, v[42:43]
; %bb.393:                              ;   in Loop: Header=BB153_3 Depth=1
	s_or_b32 exec_lo, exec_lo, s51
	s_wait_dscnt 0x0
	s_barrier_signal -1
	s_barrier_wait -1
	s_and_saveexec_b32 s51, s37
	s_cbranch_execz .LBB153_395
; %bb.394:                              ;   in Loop: Header=BB153_3 Depth=1
	ds_load_b64 v[44:45], v62 offset:14016
	ds_load_b64 v[46:47], v64
	s_wait_dscnt 0x0
	v_pk_mul_f32 v[98:99], v[46:47], v[44:45] op_sel:[1,1] op_sel_hi:[0,1]
	s_delay_alu instid0(VALU_DEP_1) | instskip(SKIP_1) | instid1(VALU_DEP_2)
	v_pk_fma_f32 v[100:101], v[46:47], v[44:45], v[98:99] op_sel_hi:[1,0,1]
	v_pk_fma_f32 v[44:45], v[46:47], v[44:45], v[98:99] neg_lo:[0,0,1] neg_hi:[0,0,1]
	v_mov_b32_e32 v45, v101
	s_delay_alu instid0(VALU_DEP_1)
	v_pk_add_f32 v[42:43], v[42:43], v[44:45]
.LBB153_395:                            ;   in Loop: Header=BB153_3 Depth=1
	s_or_b32 exec_lo, exec_lo, s51
	s_barrier_signal -1
	s_barrier_wait -1
	s_and_saveexec_b32 s51, s38
; %bb.396:                              ;   in Loop: Header=BB153_3 Depth=1
	ds_store_b64 v64, v[42:43]
; %bb.397:                              ;   in Loop: Header=BB153_3 Depth=1
	s_or_b32 exec_lo, exec_lo, s51
	s_wait_dscnt 0x0
	s_barrier_signal -1
	s_barrier_wait -1
	s_and_saveexec_b32 s51, s40
	s_cbranch_execz .LBB153_399
; %bb.398:                              ;   in Loop: Header=BB153_3 Depth=1
	ds_load_b64 v[44:45], v62 offset:14528
	ds_load_b64 v[46:47], v64
	s_wait_dscnt 0x0
	v_pk_mul_f32 v[98:99], v[46:47], v[44:45] op_sel:[1,1] op_sel_hi:[0,1]
	s_delay_alu instid0(VALU_DEP_1) | instskip(SKIP_1) | instid1(VALU_DEP_2)
	v_pk_fma_f32 v[100:101], v[46:47], v[44:45], v[98:99] op_sel_hi:[1,0,1]
	v_pk_fma_f32 v[44:45], v[46:47], v[44:45], v[98:99] neg_lo:[0,0,1] neg_hi:[0,0,1]
	v_mov_b32_e32 v45, v101
	s_delay_alu instid0(VALU_DEP_1)
	v_pk_add_f32 v[42:43], v[42:43], v[44:45]
.LBB153_399:                            ;   in Loop: Header=BB153_3 Depth=1
	s_or_b32 exec_lo, exec_lo, s51
	s_barrier_signal -1
	s_barrier_wait -1
	s_and_saveexec_b32 s51, s41
	;; [unrolled: 25-line block ×4, first 2 shown]
; %bb.408:                              ;   in Loop: Header=BB153_3 Depth=1
	ds_store_b64 v64, v[42:43]
; %bb.409:                              ;   in Loop: Header=BB153_3 Depth=1
	s_or_b32 exec_lo, exec_lo, s51
	s_wait_dscnt 0x0
	s_barrier_signal -1
	s_barrier_wait -1
	s_barrier_signal -1
	s_barrier_wait -1
	s_and_saveexec_b32 s51, s4
; %bb.410:                              ;   in Loop: Header=BB153_3 Depth=1
	v_pk_add_f32 v[42:43], v[42:43], 0 neg_lo:[1,1] neg_hi:[1,1]
	ds_store_b64 v65, v[42:43] offset:8384
; %bb.411:                              ;   in Loop: Header=BB153_3 Depth=1
	s_or_b32 exec_lo, exec_lo, s51
	s_wait_dscnt 0x0
	s_barrier_signal -1
	s_barrier_wait -1
	s_barrier_signal -1
	s_barrier_wait -1
	s_and_saveexec_b32 s51, s45
	s_cbranch_execz .LBB153_413
; %bb.412:                              ;   in Loop: Header=BB153_3 Depth=1
	ds_load_b64 v[42:43], v54 offset:8384
	s_wait_dscnt 0x0
	ds_store_b64 v58, v[42:43] offset:12416
	ds_load_b64 v[42:43], v54 offset:8392
	s_wait_dscnt 0x0
	ds_store_b64 v58, v[42:43] offset:12928
	;; [unrolled: 3-line block ×8, first 2 shown]
.LBB153_413:                            ;   in Loop: Header=BB153_3 Depth=1
	s_or_b32 exec_lo, exec_lo, s51
	s_wait_dscnt 0x0
	s_barrier_signal -1
	s_barrier_wait -1
	s_and_saveexec_b32 s51, s10
	s_cbranch_execz .LBB153_415
; %bb.414:                              ;   in Loop: Header=BB153_3 Depth=1
	ds_load_b64 v[42:43], v3 offset:12488
	v_add_nc_u32_e64 v44, 0xc0, 0
	ds_store_b64 v3, v[26:27] offset:13000
	s_wait_dscnt 0x1
	ds_store_2addr_stride64_b64 v44, v[26:27], v[42:43] offset0:24 offset1:25
.LBB153_415:                            ;   in Loop: Header=BB153_3 Depth=1
	s_or_b32 exec_lo, exec_lo, s51
	v_mov_b64_e32 v[42:43], 0
	s_wait_dscnt 0x0
	s_barrier_signal -1
	s_barrier_wait -1
	s_and_saveexec_b32 s51, s1
	s_cbranch_execz .LBB153_419
; %bb.416:                              ;   in Loop: Header=BB153_3 Depth=1
	ds_load_b64 v[42:43], v49 offset:12496
	ds_load_b64 v[44:45], v50 offset:12480
	s_wait_dscnt 0x0
	v_pk_mul_f32 v[46:47], v[44:45], v[42:43] op_sel:[1,1] op_sel_hi:[0,1]
	s_delay_alu instid0(VALU_DEP_1) | instskip(SKIP_1) | instid1(VALU_DEP_2)
	v_pk_fma_f32 v[98:99], v[44:45], v[42:43], v[46:47] op_sel_hi:[1,0,1]
	v_pk_fma_f32 v[42:43], v[44:45], v[42:43], v[46:47] neg_lo:[0,0,1] neg_hi:[0,0,1]
	v_mov_b32_e32 v43, v99
	s_delay_alu instid0(VALU_DEP_1)
	v_pk_add_f32 v[42:43], v[42:43], 0 op_sel_hi:[1,0]
	s_and_saveexec_b32 s52, s14
	s_cbranch_execz .LBB153_418
; %bb.417:                              ;   in Loop: Header=BB153_3 Depth=1
	ds_load_b64 v[44:45], v58 offset:13008
	ds_load_b64 v[46:47], v3 offset:12488
	s_wait_dscnt 0x0
	v_pk_mul_f32 v[98:99], v[46:47], v[44:45] op_sel:[1,1] op_sel_hi:[0,1]
	s_delay_alu instid0(VALU_DEP_1) | instskip(SKIP_1) | instid1(VALU_DEP_2)
	v_pk_fma_f32 v[100:101], v[46:47], v[44:45], v[98:99] op_sel_hi:[1,0,1]
	v_pk_fma_f32 v[44:45], v[46:47], v[44:45], v[98:99] neg_lo:[0,0,1] neg_hi:[0,0,1]
	v_mov_b32_e32 v45, v101
	s_delay_alu instid0(VALU_DEP_1)
	v_pk_add_f32 v[42:43], v[42:43], v[44:45]
.LBB153_418:                            ;   in Loop: Header=BB153_3 Depth=1
	s_or_b32 exec_lo, exec_lo, s52
	s_delay_alu instid0(VALU_DEP_1)
	v_pk_add_f32 v[42:43], v[42:43], 0 neg_lo:[1,1] neg_hi:[1,1]
.LBB153_419:                            ;   in Loop: Header=BB153_3 Depth=1
	s_or_b32 exec_lo, exec_lo, s51
	s_and_saveexec_b32 s51, s89
; %bb.420:                              ;   in Loop: Header=BB153_3 Depth=1
	ds_store_b64 v5, v[42:43]
; %bb.421:                              ;   in Loop: Header=BB153_3 Depth=1
	s_or_b32 exec_lo, exec_lo, s51
	s_wait_dscnt 0x0
	s_barrier_signal -1
	s_barrier_wait -1
	s_and_saveexec_b32 s51, s90
	s_cbranch_execz .LBB153_423
; %bb.422:                              ;   in Loop: Header=BB153_3 Depth=1
	ds_load_b64 v[44:45], v3 offset:13528
	ds_load_b64 v[46:47], v5
	s_wait_dscnt 0x0
	v_pk_mul_f32 v[98:99], v[46:47], v[44:45] op_sel:[1,1] op_sel_hi:[0,1]
	s_delay_alu instid0(VALU_DEP_1) | instskip(SKIP_1) | instid1(VALU_DEP_2)
	v_pk_fma_f32 v[100:101], v[46:47], v[44:45], v[98:99] op_sel_hi:[1,0,1]
	v_pk_fma_f32 v[44:45], v[46:47], v[44:45], v[98:99] neg_lo:[0,0,1] neg_hi:[0,0,1]
	v_mov_b32_e32 v45, v101
	s_delay_alu instid0(VALU_DEP_1)
	v_pk_add_f32 v[42:43], v[42:43], v[44:45]
.LBB153_423:                            ;   in Loop: Header=BB153_3 Depth=1
	s_or_b32 exec_lo, exec_lo, s51
	s_barrier_signal -1
	s_barrier_wait -1
	s_and_saveexec_b32 s51, s90
; %bb.424:                              ;   in Loop: Header=BB153_3 Depth=1
	ds_store_b64 v5, v[42:43]
; %bb.425:                              ;   in Loop: Header=BB153_3 Depth=1
	s_or_b32 exec_lo, exec_lo, s51
	s_wait_dscnt 0x0
	s_barrier_signal -1
	s_barrier_wait -1
	s_barrier_signal -1
	s_barrier_wait -1
	s_and_saveexec_b32 s51, s1
; %bb.426:                              ;   in Loop: Header=BB153_3 Depth=1
	v_pk_add_f32 v[42:43], v[42:43], 0 neg_lo:[1,1] neg_hi:[1,1]
	ds_store_b64 v49, v[42:43] offset:12496
; %bb.427:                              ;   in Loop: Header=BB153_3 Depth=1
	s_or_b32 exec_lo, exec_lo, s51
	s_wait_dscnt 0x0
	s_barrier_signal -1
	s_barrier_wait -1
	s_barrier_signal -1
	s_barrier_wait -1
	s_and_saveexec_b32 s51, s91
	s_cbranch_execz .LBB153_429
; %bb.428:                              ;   in Loop: Header=BB153_3 Depth=1
	ds_load_b64 v[42:43], v59 offset:12496
	s_wait_dscnt 0x0
	ds_store_b64 v58, v[42:43] offset:13504
	ds_load_b64 v[42:43], v59 offset:12504
	s_wait_dscnt 0x0
	ds_store_b64 v58, v[42:43] offset:14016
.LBB153_429:                            ;   in Loop: Header=BB153_3 Depth=1
	s_or_b32 exec_lo, exec_lo, s51
	s_wait_dscnt 0x0
	s_barrier_signal -1
	s_barrier_wait -1
	s_and_saveexec_b32 s51, s10
	s_cbranch_execz .LBB153_431
; %bb.430:                              ;   in Loop: Header=BB153_3 Depth=1
	ds_load_b64 v[42:43], v3 offset:13528
	v_add_nc_u32_e64 v44, 0xd0, 0
	ds_store_b64 v3, v[26:27] offset:14040
	s_wait_dscnt 0x1
	ds_store_2addr_stride64_b64 v44, v[26:27], v[42:43] offset0:26 offset1:27
.LBB153_431:                            ;   in Loop: Header=BB153_3 Depth=1
	s_or_b32 exec_lo, exec_lo, s51
	v_mov_b64_e32 v[42:43], 0
	s_wait_dscnt 0x0
	s_barrier_signal -1
	s_barrier_wait -1
	s_and_saveexec_b32 s51, s3
	s_cbranch_execz .LBB153_437
; %bb.432:                              ;   in Loop: Header=BB153_3 Depth=1
	ds_load_b64 v[42:43], v56 offset:12512
	ds_load_b64 v[44:45], v52 offset:12480
	s_wait_dscnt 0x0
	v_dual_mul_f32 v46, v45, v43 :: v_dual_mul_f32 v43, v44, v43
	s_delay_alu instid0(VALU_DEP_1) | instskip(NEXT) | instid1(VALU_DEP_1)
	v_dual_fma_f32 v44, v44, v42, -v46 :: v_dual_fmac_f32 v43, v45, v42
	v_dual_add_f32 v42, 0, v44 :: v_dual_add_f32 v43, 0, v43
	s_and_saveexec_b32 s52, s15
	s_cbranch_execnz .LBB153_1098
; %bb.433:                              ;   in Loop: Header=BB153_3 Depth=1
	s_or_b32 exec_lo, exec_lo, s52
	s_and_saveexec_b32 s52, s16
	s_cbranch_execnz .LBB153_1099
.LBB153_434:                            ;   in Loop: Header=BB153_3 Depth=1
	s_or_b32 exec_lo, exec_lo, s52
	s_and_saveexec_b32 s52, s1
	s_cbranch_execz .LBB153_436
.LBB153_435:                            ;   in Loop: Header=BB153_3 Depth=1
	ds_load_b64 v[44:45], v61 offset:14048
	ds_load_b64 v[46:47], v3 offset:12504
	s_wait_dscnt 0x0
	v_dual_mul_f32 v48, v47, v45 :: v_dual_mul_f32 v99, v46, v45
	s_delay_alu instid0(VALU_DEP_1) | instskip(NEXT) | instid1(VALU_DEP_1)
	v_dual_fma_f32 v98, v46, v44, -v48 :: v_dual_fmac_f32 v99, v47, v44
	v_pk_add_f32 v[42:43], v[42:43], v[98:99]
.LBB153_436:                            ;   in Loop: Header=BB153_3 Depth=1
	s_or_b32 exec_lo, exec_lo, s52
	s_delay_alu instid0(VALU_DEP_1)
	v_pk_add_f32 v[42:43], v[42:43], 0 neg_lo:[1,1] neg_hi:[1,1]
.LBB153_437:                            ;   in Loop: Header=BB153_3 Depth=1
	s_or_b32 exec_lo, exec_lo, s51
	s_and_saveexec_b32 s51, s92
; %bb.438:                              ;   in Loop: Header=BB153_3 Depth=1
	ds_store_b64 v55, v[42:43]
; %bb.439:                              ;   in Loop: Header=BB153_3 Depth=1
	s_or_b32 exec_lo, exec_lo, s51
	s_wait_dscnt 0x0
	s_barrier_signal -1
	s_barrier_wait -1
	s_and_saveexec_b32 s51, s93
	s_cbranch_execz .LBB153_441
; %bb.440:                              ;   in Loop: Header=BB153_3 Depth=1
	ds_load_b64 v[44:45], v53 offset:14560
	ds_load_b64 v[46:47], v55
	s_wait_dscnt 0x0
	v_pk_mul_f32 v[98:99], v[46:47], v[44:45] op_sel:[1,1] op_sel_hi:[0,1]
	s_delay_alu instid0(VALU_DEP_1) | instskip(SKIP_1) | instid1(VALU_DEP_2)
	v_pk_fma_f32 v[100:101], v[46:47], v[44:45], v[98:99] op_sel_hi:[1,0,1]
	v_pk_fma_f32 v[44:45], v[46:47], v[44:45], v[98:99] neg_lo:[0,0,1] neg_hi:[0,0,1]
	v_mov_b32_e32 v45, v101
	s_delay_alu instid0(VALU_DEP_1)
	v_pk_add_f32 v[42:43], v[42:43], v[44:45]
.LBB153_441:                            ;   in Loop: Header=BB153_3 Depth=1
	s_or_b32 exec_lo, exec_lo, s51
	s_barrier_signal -1
	s_barrier_wait -1
	s_and_saveexec_b32 s51, s94
; %bb.442:                              ;   in Loop: Header=BB153_3 Depth=1
	ds_store_b64 v55, v[42:43]
; %bb.443:                              ;   in Loop: Header=BB153_3 Depth=1
	s_or_b32 exec_lo, exec_lo, s51
	s_wait_dscnt 0x0
	s_barrier_signal -1
	s_barrier_wait -1
	s_and_saveexec_b32 s51, s95
	s_cbranch_execz .LBB153_445
; %bb.444:                              ;   in Loop: Header=BB153_3 Depth=1
	ds_load_b64 v[44:45], v53 offset:15072
	ds_load_b64 v[46:47], v55
	s_wait_dscnt 0x0
	v_pk_mul_f32 v[98:99], v[46:47], v[44:45] op_sel:[1,1] op_sel_hi:[0,1]
	s_delay_alu instid0(VALU_DEP_1) | instskip(SKIP_1) | instid1(VALU_DEP_2)
	v_pk_fma_f32 v[100:101], v[46:47], v[44:45], v[98:99] op_sel_hi:[1,0,1]
	v_pk_fma_f32 v[44:45], v[46:47], v[44:45], v[98:99] neg_lo:[0,0,1] neg_hi:[0,0,1]
	v_mov_b32_e32 v45, v101
	s_delay_alu instid0(VALU_DEP_1)
	v_pk_add_f32 v[42:43], v[42:43], v[44:45]
.LBB153_445:                            ;   in Loop: Header=BB153_3 Depth=1
	s_or_b32 exec_lo, exec_lo, s51
	s_barrier_signal -1
	s_barrier_wait -1
	s_and_saveexec_b32 s51, s96
; %bb.446:                              ;   in Loop: Header=BB153_3 Depth=1
	ds_store_b64 v55, v[42:43]
; %bb.447:                              ;   in Loop: Header=BB153_3 Depth=1
	s_or_b32 exec_lo, exec_lo, s51
	s_wait_dscnt 0x0
	s_barrier_signal -1
	s_barrier_wait -1
	s_and_saveexec_b32 s51, s97
	s_cbranch_execz .LBB153_449
; %bb.448:                              ;   in Loop: Header=BB153_3 Depth=1
	ds_load_b64 v[44:45], v3 offset:15608
	ds_load_b64 v[46:47], v55
	s_wait_dscnt 0x0
	v_pk_mul_f32 v[98:99], v[46:47], v[44:45] op_sel:[1,1] op_sel_hi:[0,1]
	s_delay_alu instid0(VALU_DEP_1) | instskip(SKIP_1) | instid1(VALU_DEP_2)
	v_pk_fma_f32 v[100:101], v[46:47], v[44:45], v[98:99] op_sel_hi:[1,0,1]
	v_pk_fma_f32 v[44:45], v[46:47], v[44:45], v[98:99] neg_lo:[0,0,1] neg_hi:[0,0,1]
	v_mov_b32_e32 v45, v101
	s_delay_alu instid0(VALU_DEP_1)
	v_pk_add_f32 v[42:43], v[42:43], v[44:45]
.LBB153_449:                            ;   in Loop: Header=BB153_3 Depth=1
	s_or_b32 exec_lo, exec_lo, s51
	s_barrier_signal -1
	s_barrier_wait -1
	s_and_saveexec_b32 s51, s97
; %bb.450:                              ;   in Loop: Header=BB153_3 Depth=1
	ds_store_b64 v55, v[42:43]
; %bb.451:                              ;   in Loop: Header=BB153_3 Depth=1
	s_or_b32 exec_lo, exec_lo, s51
	s_wait_dscnt 0x0
	s_barrier_signal -1
	s_barrier_wait -1
	s_barrier_signal -1
	s_barrier_wait -1
	s_and_saveexec_b32 s51, s3
; %bb.452:                              ;   in Loop: Header=BB153_3 Depth=1
	v_pk_add_f32 v[42:43], v[42:43], 0 neg_lo:[1,1] neg_hi:[1,1]
	ds_store_b64 v56, v[42:43] offset:12512
; %bb.453:                              ;   in Loop: Header=BB153_3 Depth=1
	s_or_b32 exec_lo, exec_lo, s51
	s_wait_dscnt 0x0
	s_barrier_signal -1
	s_barrier_wait -1
	s_barrier_signal -1
	s_barrier_wait -1
	s_and_saveexec_b32 s51, s98
	s_cbranch_execz .LBB153_455
; %bb.454:                              ;   in Loop: Header=BB153_3 Depth=1
	ds_load_b64 v[42:43], v63 offset:12512
	s_wait_dscnt 0x0
	ds_store_b64 v67, v[42:43] offset:14528
	ds_load_b64 v[42:43], v63 offset:12520
	s_wait_dscnt 0x0
	ds_store_b64 v67, v[42:43] offset:15040
	;; [unrolled: 3-line block ×4, first 2 shown]
.LBB153_455:                            ;   in Loop: Header=BB153_3 Depth=1
	s_or_b32 exec_lo, exec_lo, s51
	s_wait_dscnt 0x0
	s_barrier_signal -1
	s_barrier_wait -1
	s_and_saveexec_b32 s51, s10
	s_cbranch_execz .LBB153_457
; %bb.456:                              ;   in Loop: Header=BB153_3 Depth=1
	ds_load_b64 v[42:43], v3 offset:14568
	v_add_nc_u32_e64 v44, 0xe0, 0
	ds_store_b64 v3, v[26:27] offset:15080
	s_wait_dscnt 0x1
	ds_store_2addr_stride64_b64 v44, v[26:27], v[42:43] offset0:28 offset1:29
.LBB153_457:                            ;   in Loop: Header=BB153_3 Depth=1
	s_or_b32 exec_lo, exec_lo, s51
	v_mov_b64_e32 v[42:43], 0
	s_wait_dscnt 0x0
	s_barrier_signal -1
	s_barrier_wait -1
	s_and_saveexec_b32 s51, s1
	s_cbranch_execz .LBB153_461
; %bb.458:                              ;   in Loop: Header=BB153_3 Depth=1
	ds_load_b64 v[42:43], v49 offset:14576
	ds_load_b64 v[44:45], v50 offset:14560
	s_wait_dscnt 0x0
	v_pk_mul_f32 v[46:47], v[44:45], v[42:43] op_sel:[1,1] op_sel_hi:[0,1]
	s_delay_alu instid0(VALU_DEP_1) | instskip(SKIP_1) | instid1(VALU_DEP_2)
	v_pk_fma_f32 v[98:99], v[44:45], v[42:43], v[46:47] op_sel_hi:[1,0,1]
	v_pk_fma_f32 v[42:43], v[44:45], v[42:43], v[46:47] neg_lo:[0,0,1] neg_hi:[0,0,1]
	v_mov_b32_e32 v43, v99
	s_delay_alu instid0(VALU_DEP_1)
	v_pk_add_f32 v[42:43], v[42:43], 0 op_sel_hi:[1,0]
	s_and_saveexec_b32 s52, s14
	s_cbranch_execz .LBB153_460
; %bb.459:                              ;   in Loop: Header=BB153_3 Depth=1
	ds_load_b64 v[44:45], v67 offset:15088
	ds_load_b64 v[46:47], v3 offset:14568
	s_wait_dscnt 0x0
	v_pk_mul_f32 v[98:99], v[46:47], v[44:45] op_sel:[1,1] op_sel_hi:[0,1]
	s_delay_alu instid0(VALU_DEP_1) | instskip(SKIP_1) | instid1(VALU_DEP_2)
	v_pk_fma_f32 v[100:101], v[46:47], v[44:45], v[98:99] op_sel_hi:[1,0,1]
	v_pk_fma_f32 v[44:45], v[46:47], v[44:45], v[98:99] neg_lo:[0,0,1] neg_hi:[0,0,1]
	v_mov_b32_e32 v45, v101
	s_delay_alu instid0(VALU_DEP_1)
	v_pk_add_f32 v[42:43], v[42:43], v[44:45]
.LBB153_460:                            ;   in Loop: Header=BB153_3 Depth=1
	s_or_b32 exec_lo, exec_lo, s52
	s_delay_alu instid0(VALU_DEP_1)
	v_pk_add_f32 v[42:43], v[42:43], 0 neg_lo:[1,1] neg_hi:[1,1]
.LBB153_461:                            ;   in Loop: Header=BB153_3 Depth=1
	s_or_b32 exec_lo, exec_lo, s51
	s_and_saveexec_b32 s51, s89
; %bb.462:                              ;   in Loop: Header=BB153_3 Depth=1
	ds_store_b64 v5, v[42:43]
; %bb.463:                              ;   in Loop: Header=BB153_3 Depth=1
	s_or_b32 exec_lo, exec_lo, s51
	s_wait_dscnt 0x0
	s_barrier_signal -1
	s_barrier_wait -1
	s_and_saveexec_b32 s51, s90
	s_cbranch_execz .LBB153_465
; %bb.464:                              ;   in Loop: Header=BB153_3 Depth=1
	ds_load_b64 v[44:45], v3 offset:15608
	ds_load_b64 v[46:47], v5
	s_wait_dscnt 0x0
	v_pk_mul_f32 v[98:99], v[46:47], v[44:45] op_sel:[1,1] op_sel_hi:[0,1]
	s_delay_alu instid0(VALU_DEP_1) | instskip(SKIP_1) | instid1(VALU_DEP_2)
	v_pk_fma_f32 v[100:101], v[46:47], v[44:45], v[98:99] op_sel_hi:[1,0,1]
	v_pk_fma_f32 v[44:45], v[46:47], v[44:45], v[98:99] neg_lo:[0,0,1] neg_hi:[0,0,1]
	v_mov_b32_e32 v45, v101
	s_delay_alu instid0(VALU_DEP_1)
	v_pk_add_f32 v[42:43], v[42:43], v[44:45]
.LBB153_465:                            ;   in Loop: Header=BB153_3 Depth=1
	s_or_b32 exec_lo, exec_lo, s51
	s_barrier_signal -1
	s_barrier_wait -1
	s_and_saveexec_b32 s51, s90
; %bb.466:                              ;   in Loop: Header=BB153_3 Depth=1
	ds_store_b64 v5, v[42:43]
; %bb.467:                              ;   in Loop: Header=BB153_3 Depth=1
	s_or_b32 exec_lo, exec_lo, s51
	s_wait_dscnt 0x0
	s_barrier_signal -1
	s_barrier_wait -1
	s_barrier_signal -1
	s_barrier_wait -1
	s_and_saveexec_b32 s51, s1
; %bb.468:                              ;   in Loop: Header=BB153_3 Depth=1
	v_pk_add_f32 v[42:43], v[42:43], 0 neg_lo:[1,1] neg_hi:[1,1]
	ds_store_b64 v49, v[42:43] offset:14576
; %bb.469:                              ;   in Loop: Header=BB153_3 Depth=1
	s_or_b32 exec_lo, exec_lo, s51
	s_wait_dscnt 0x0
	s_barrier_signal -1
	s_barrier_wait -1
	s_barrier_signal -1
	s_barrier_wait -1
	s_and_saveexec_b32 s51, s91
	s_cbranch_execz .LBB153_471
; %bb.470:                              ;   in Loop: Header=BB153_3 Depth=1
	ds_load_b64 v[42:43], v68 offset:14576
	s_wait_dscnt 0x0
	ds_store_b64 v67, v[42:43] offset:15584
	ds_load_b64 v[42:43], v68 offset:14584
	s_wait_dscnt 0x0
	ds_store_b64 v67, v[42:43] offset:16096
.LBB153_471:                            ;   in Loop: Header=BB153_3 Depth=1
	s_or_b32 exec_lo, exec_lo, s51
	s_wait_dscnt 0x0
	s_barrier_signal -1
	s_barrier_wait -1
	s_and_saveexec_b32 s51, s10
	s_cbranch_execz .LBB153_473
; %bb.472:                              ;   in Loop: Header=BB153_3 Depth=1
	ds_load_b64 v[42:43], v3 offset:15608
	v_add_nc_u32_e64 v44, 0xf0, 0
	ds_store_b64 v3, v[26:27] offset:16120
	s_wait_dscnt 0x1
	ds_store_2addr_stride64_b64 v44, v[26:27], v[42:43] offset0:30 offset1:31
.LBB153_473:                            ;   in Loop: Header=BB153_3 Depth=1
	s_or_b32 exec_lo, exec_lo, s51
	v_mov_b64_e32 v[42:43], 0
	s_wait_dscnt 0x0
	s_barrier_signal -1
	s_barrier_wait -1
	s_and_saveexec_b32 s82, s34
	s_cbranch_execz .LBB153_535
; %bb.474:                              ;   in Loop: Header=BB153_3 Depth=1
	v_dual_add_nc_u32 v45, v82, v9 :: v_dual_add_nc_u32 v44, v9, v7
	ds_load_b64 v[42:43], v45 offset:256
	ds_load_b64 v[46:47], v44
	s_wait_dscnt 0x0
	v_pk_mul_f32 v[98:99], v[46:47], v[42:43] op_sel:[1,1] op_sel_hi:[0,1]
	s_delay_alu instid0(VALU_DEP_1) | instskip(SKIP_1) | instid1(VALU_DEP_2)
	v_pk_fma_f32 v[100:101], v[46:47], v[42:43], v[98:99] op_sel_hi:[1,0,1]
	v_pk_fma_f32 v[42:43], v[46:47], v[42:43], v[98:99] neg_lo:[0,0,1] neg_hi:[0,0,1]
	v_mov_b32_e32 v43, v101
	s_delay_alu instid0(VALU_DEP_1) | instskip(SKIP_3) | instid1(SALU_CYCLE_1)
	v_pk_add_f32 v[42:43], v[42:43], 0 op_sel_hi:[1,0]
	s_mov_b32 s51, exec_lo
	v_readlane_b32 s52, v106, 4
	s_and_b32 s52, s51, s52
	s_mov_b32 exec_lo, s52
	s_cbranch_execz .LBB153_476
; %bb.475:                              ;   in Loop: Header=BB153_3 Depth=1
	ds_load_b64 v[46:47], v45 offset:768
	ds_load_b64 v[98:99], v44 offset:8
	s_wait_dscnt 0x0
	v_pk_mul_f32 v[100:101], v[98:99], v[46:47] op_sel:[1,1] op_sel_hi:[0,1]
	s_delay_alu instid0(VALU_DEP_1) | instskip(SKIP_1) | instid1(VALU_DEP_2)
	v_pk_fma_f32 v[102:103], v[98:99], v[46:47], v[100:101] op_sel_hi:[1,0,1]
	v_pk_fma_f32 v[46:47], v[98:99], v[46:47], v[100:101] neg_lo:[0,0,1] neg_hi:[0,0,1]
	v_mov_b32_e32 v47, v103
	s_delay_alu instid0(VALU_DEP_1)
	v_pk_add_f32 v[42:43], v[42:43], v[46:47]
.LBB153_476:                            ;   in Loop: Header=BB153_3 Depth=1
	s_or_b32 exec_lo, exec_lo, s51
	s_delay_alu instid0(SALU_CYCLE_1) | instskip(SKIP_2) | instid1(SALU_CYCLE_1)
	s_mov_b32 s51, exec_lo
	v_readlane_b32 s52, v106, 5
	s_and_b32 s52, s51, s52
	s_mov_b32 exec_lo, s52
	s_cbranch_execz .LBB153_478
; %bb.477:                              ;   in Loop: Header=BB153_3 Depth=1
	ds_load_b64 v[46:47], v45 offset:1280
	ds_load_b64 v[98:99], v44 offset:16
	s_wait_dscnt 0x0
	v_pk_mul_f32 v[100:101], v[98:99], v[46:47] op_sel:[1,1] op_sel_hi:[0,1]
	s_delay_alu instid0(VALU_DEP_1) | instskip(SKIP_1) | instid1(VALU_DEP_2)
	v_pk_fma_f32 v[102:103], v[98:99], v[46:47], v[100:101] op_sel_hi:[1,0,1]
	v_pk_fma_f32 v[46:47], v[98:99], v[46:47], v[100:101] neg_lo:[0,0,1] neg_hi:[0,0,1]
	v_mov_b32_e32 v47, v103
	s_delay_alu instid0(VALU_DEP_1)
	v_pk_add_f32 v[42:43], v[42:43], v[46:47]
.LBB153_478:                            ;   in Loop: Header=BB153_3 Depth=1
	s_or_b32 exec_lo, exec_lo, s51
	s_delay_alu instid0(SALU_CYCLE_1) | instskip(SKIP_2) | instid1(SALU_CYCLE_1)
	;; [unrolled: 19-line block ×22, first 2 shown]
	s_mov_b32 s51, exec_lo
	v_readlane_b32 s52, v106, 27
	s_and_b32 s52, s51, s52
	s_mov_b32 exec_lo, s52
	s_cbranch_execz .LBB153_520
; %bb.519:                              ;   in Loop: Header=BB153_3 Depth=1
	ds_load_b64 v[46:47], v45 offset:12032
	ds_load_b64 v[98:99], v44 offset:184
	s_wait_dscnt 0x0
	v_pk_mul_f32 v[100:101], v[98:99], v[46:47] op_sel:[1,1] op_sel_hi:[0,1]
	s_delay_alu instid0(VALU_DEP_1) | instskip(SKIP_1) | instid1(VALU_DEP_2)
	v_pk_fma_f32 v[102:103], v[98:99], v[46:47], v[100:101] op_sel_hi:[1,0,1]
	v_pk_fma_f32 v[46:47], v[98:99], v[46:47], v[100:101] neg_lo:[0,0,1] neg_hi:[0,0,1]
	v_mov_b32_e32 v47, v103
	s_delay_alu instid0(VALU_DEP_1)
	v_pk_add_f32 v[42:43], v[42:43], v[46:47]
.LBB153_520:                            ;   in Loop: Header=BB153_3 Depth=1
	s_or_b32 exec_lo, exec_lo, s51
	s_and_saveexec_b32 s51, s5
	s_cbranch_execz .LBB153_522
; %bb.521:                              ;   in Loop: Header=BB153_3 Depth=1
	ds_load_b64 v[46:47], v45 offset:12544
	ds_load_b64 v[98:99], v44 offset:192
	s_wait_dscnt 0x0
	v_pk_mul_f32 v[100:101], v[98:99], v[46:47] op_sel:[1,1] op_sel_hi:[0,1]
	s_delay_alu instid0(VALU_DEP_1) | instskip(SKIP_1) | instid1(VALU_DEP_2)
	v_pk_fma_f32 v[102:103], v[98:99], v[46:47], v[100:101] op_sel_hi:[1,0,1]
	v_pk_fma_f32 v[46:47], v[98:99], v[46:47], v[100:101] neg_lo:[0,0,1] neg_hi:[0,0,1]
	v_mov_b32_e32 v47, v103
	s_delay_alu instid0(VALU_DEP_1)
	v_pk_add_f32 v[42:43], v[42:43], v[46:47]
.LBB153_522:                            ;   in Loop: Header=BB153_3 Depth=1
	s_or_b32 exec_lo, exec_lo, s51
	s_delay_alu instid0(SALU_CYCLE_1) | instskip(SKIP_2) | instid1(SALU_CYCLE_1)
	s_mov_b32 s51, exec_lo
	v_readlane_b32 s52, v107, 26
	s_and_b32 s52, s51, s52
	s_mov_b32 exec_lo, s52
	s_cbranch_execz .LBB153_524
; %bb.523:                              ;   in Loop: Header=BB153_3 Depth=1
	ds_load_b64 v[46:47], v45 offset:13056
	ds_load_b64 v[98:99], v44 offset:200
	s_wait_dscnt 0x0
	v_pk_mul_f32 v[100:101], v[98:99], v[46:47] op_sel:[1,1] op_sel_hi:[0,1]
	s_delay_alu instid0(VALU_DEP_1) | instskip(SKIP_1) | instid1(VALU_DEP_2)
	v_pk_fma_f32 v[102:103], v[98:99], v[46:47], v[100:101] op_sel_hi:[1,0,1]
	v_pk_fma_f32 v[46:47], v[98:99], v[46:47], v[100:101] neg_lo:[0,0,1] neg_hi:[0,0,1]
	v_mov_b32_e32 v47, v103
	s_delay_alu instid0(VALU_DEP_1)
	v_pk_add_f32 v[42:43], v[42:43], v[46:47]
.LBB153_524:                            ;   in Loop: Header=BB153_3 Depth=1
	s_or_b32 exec_lo, exec_lo, s51
	s_delay_alu instid0(SALU_CYCLE_1) | instskip(SKIP_2) | instid1(SALU_CYCLE_1)
	s_mov_b32 s51, exec_lo
	v_readlane_b32 s52, v107, 28
	s_and_b32 s52, s51, s52
	s_mov_b32 exec_lo, s52
	;; [unrolled: 19-line block ×5, first 2 shown]
	s_cbranch_execnz .LBB153_1100
; %bb.531:                              ;   in Loop: Header=BB153_3 Depth=1
	s_or_b32 exec_lo, exec_lo, s51
	s_and_saveexec_b32 s51, s4
	s_cbranch_execnz .LBB153_1101
.LBB153_532:                            ;   in Loop: Header=BB153_3 Depth=1
	s_or_b32 exec_lo, exec_lo, s51
	s_and_saveexec_b32 s51, s20
	s_cbranch_execz .LBB153_534
.LBB153_533:                            ;   in Loop: Header=BB153_3 Depth=1
	ds_load_b64 v[46:47], v82 offset:16128
	ds_load_b64 v[44:45], v44 offset:248
	s_wait_dscnt 0x0
	v_pk_mul_f32 v[98:99], v[44:45], v[46:47] op_sel:[1,1] op_sel_hi:[0,1]
	s_delay_alu instid0(VALU_DEP_1) | instskip(SKIP_1) | instid1(VALU_DEP_2)
	v_pk_fma_f32 v[100:101], v[44:45], v[46:47], v[98:99] op_sel_hi:[1,0,1]
	v_pk_fma_f32 v[44:45], v[44:45], v[46:47], v[98:99] neg_lo:[0,0,1] neg_hi:[0,0,1]
	v_mov_b32_e32 v45, v101
	s_delay_alu instid0(VALU_DEP_1)
	v_pk_add_f32 v[42:43], v[42:43], v[44:45]
.LBB153_534:                            ;   in Loop: Header=BB153_3 Depth=1
	s_or_b32 exec_lo, exec_lo, s51
	s_delay_alu instid0(VALU_DEP_1)
	v_pk_add_f32 v[42:43], v[42:43], 0 neg_lo:[1,1] neg_hi:[1,1]
.LBB153_535:                            ;   in Loop: Header=BB153_3 Depth=1
	s_or_b32 exec_lo, exec_lo, s82
	v_dual_mov_b32 v44, v77 :: v_dual_mov_b32 v45, v96
	s_mov_b32 s51, 0
	s_branch .LBB153_537
.LBB153_536:                            ;   in Loop: Header=BB153_537 Depth=2
	s_or_b32 exec_lo, exec_lo, s52
	v_add_nc_u32_e32 v45, 0x800, v45
	v_add_nc_u32_e32 v44, -4, v44
	s_add_co_i32 s51, s51, 4
	s_delay_alu instid0(SALU_CYCLE_1)
	s_cmp_eq_u32 s51, 32
	s_barrier_signal -1
	s_barrier_wait -1
	s_cbranch_scc1 .LBB153_553
.LBB153_537:                            ;   Parent Loop BB153_3 Depth=1
                                        ; =>  This Inner Loop Header: Depth=2
	s_delay_alu instid0(VALU_DEP_1) | instskip(SKIP_1) | instid1(SALU_CYCLE_1)
	v_cmp_eq_u32_e32 vcc_lo, 0, v44
	s_and_b32 s53, s13, vcc_lo
	s_and_saveexec_b32 s52, s53
; %bb.538:                              ;   in Loop: Header=BB153_537 Depth=2
	ds_store_b64 v83, v[42:43]
; %bb.539:                              ;   in Loop: Header=BB153_537 Depth=2
	s_or_b32 exec_lo, exec_lo, s52
	v_cmp_lt_u32_e32 vcc_lo, s51, v77
	s_wait_dscnt 0x0
	s_barrier_signal -1
	s_barrier_wait -1
	s_and_b32 s53, s13, vcc_lo
	s_delay_alu instid0(SALU_CYCLE_1)
	s_and_saveexec_b32 s52, s53
	s_cbranch_execz .LBB153_541
; %bb.540:                              ;   in Loop: Header=BB153_537 Depth=2
	ds_load_b64 v[46:47], v45
	ds_load_b64 v[98:99], v83
	s_wait_dscnt 0x0
	v_pk_mul_f32 v[100:101], v[98:99], v[46:47] op_sel:[1,1] op_sel_hi:[0,1]
	s_delay_alu instid0(VALU_DEP_1) | instskip(SKIP_1) | instid1(VALU_DEP_2)
	v_pk_fma_f32 v[102:103], v[98:99], v[46:47], v[100:101] op_sel_hi:[1,0,1]
	v_pk_fma_f32 v[46:47], v[98:99], v[46:47], v[100:101] neg_lo:[0,0,1] neg_hi:[0,0,1]
	v_mov_b32_e32 v47, v103
	s_delay_alu instid0(VALU_DEP_1)
	v_pk_add_f32 v[42:43], v[42:43], v[46:47]
.LBB153_541:                            ;   in Loop: Header=BB153_537 Depth=2
	s_or_b32 exec_lo, exec_lo, s52
	s_or_b32 s52, s51, 1
	s_delay_alu instid0(SALU_CYCLE_1) | instskip(SKIP_3) | instid1(SALU_CYCLE_1)
	v_cmp_eq_u32_e32 vcc_lo, s52, v77
	s_barrier_signal -1
	s_barrier_wait -1
	s_and_b32 s54, s13, vcc_lo
	s_and_saveexec_b32 s53, s54
; %bb.542:                              ;   in Loop: Header=BB153_537 Depth=2
	ds_store_b64 v83, v[42:43]
; %bb.543:                              ;   in Loop: Header=BB153_537 Depth=2
	s_or_b32 exec_lo, exec_lo, s53
	v_cmp_lt_u32_e32 vcc_lo, s52, v77
	s_wait_dscnt 0x0
	s_barrier_signal -1
	s_barrier_wait -1
	s_and_b32 s53, s13, vcc_lo
	s_delay_alu instid0(SALU_CYCLE_1)
	s_and_saveexec_b32 s52, s53
	s_cbranch_execz .LBB153_545
; %bb.544:                              ;   in Loop: Header=BB153_537 Depth=2
	ds_load_b64 v[46:47], v45 offset:512
	ds_load_b64 v[98:99], v83
	s_wait_dscnt 0x0
	v_pk_mul_f32 v[100:101], v[98:99], v[46:47] op_sel:[1,1] op_sel_hi:[0,1]
	s_delay_alu instid0(VALU_DEP_1) | instskip(SKIP_1) | instid1(VALU_DEP_2)
	v_pk_fma_f32 v[102:103], v[98:99], v[46:47], v[100:101] op_sel_hi:[1,0,1]
	v_pk_fma_f32 v[46:47], v[98:99], v[46:47], v[100:101] neg_lo:[0,0,1] neg_hi:[0,0,1]
	v_mov_b32_e32 v47, v103
	s_delay_alu instid0(VALU_DEP_1)
	v_pk_add_f32 v[42:43], v[42:43], v[46:47]
.LBB153_545:                            ;   in Loop: Header=BB153_537 Depth=2
	s_or_b32 exec_lo, exec_lo, s52
	s_or_b32 s52, s51, 2
	s_delay_alu instid0(SALU_CYCLE_1) | instskip(SKIP_3) | instid1(SALU_CYCLE_1)
	v_cmp_eq_u32_e32 vcc_lo, s52, v77
	s_barrier_signal -1
	s_barrier_wait -1
	s_and_b32 s54, s13, vcc_lo
	s_and_saveexec_b32 s53, s54
; %bb.546:                              ;   in Loop: Header=BB153_537 Depth=2
	ds_store_b64 v83, v[42:43]
; %bb.547:                              ;   in Loop: Header=BB153_537 Depth=2
	s_or_b32 exec_lo, exec_lo, s53
	v_cmp_lt_u32_e32 vcc_lo, s52, v77
	s_wait_dscnt 0x0
	s_barrier_signal -1
	s_barrier_wait -1
	s_and_b32 s53, s13, vcc_lo
	s_delay_alu instid0(SALU_CYCLE_1)
	s_and_saveexec_b32 s52, s53
	s_cbranch_execz .LBB153_549
; %bb.548:                              ;   in Loop: Header=BB153_537 Depth=2
	ds_load_b64 v[46:47], v45 offset:1024
	ds_load_b64 v[98:99], v83
	s_wait_dscnt 0x0
	v_pk_mul_f32 v[100:101], v[98:99], v[46:47] op_sel:[1,1] op_sel_hi:[0,1]
	s_delay_alu instid0(VALU_DEP_1) | instskip(SKIP_1) | instid1(VALU_DEP_2)
	v_pk_fma_f32 v[102:103], v[98:99], v[46:47], v[100:101] op_sel_hi:[1,0,1]
	v_pk_fma_f32 v[46:47], v[98:99], v[46:47], v[100:101] neg_lo:[0,0,1] neg_hi:[0,0,1]
	v_mov_b32_e32 v47, v103
	s_delay_alu instid0(VALU_DEP_1)
	v_pk_add_f32 v[42:43], v[42:43], v[46:47]
.LBB153_549:                            ;   in Loop: Header=BB153_537 Depth=2
	s_or_b32 exec_lo, exec_lo, s52
	s_or_b32 s52, s51, 3
	s_delay_alu instid0(SALU_CYCLE_1) | instskip(SKIP_3) | instid1(SALU_CYCLE_1)
	v_cmp_eq_u32_e32 vcc_lo, s52, v77
	s_barrier_signal -1
	s_barrier_wait -1
	s_and_b32 s54, s13, vcc_lo
	s_and_saveexec_b32 s53, s54
; %bb.550:                              ;   in Loop: Header=BB153_537 Depth=2
	ds_store_b64 v83, v[42:43]
; %bb.551:                              ;   in Loop: Header=BB153_537 Depth=2
	s_or_b32 exec_lo, exec_lo, s53
	v_cmp_lt_u32_e32 vcc_lo, s52, v77
	s_wait_dscnt 0x0
	s_barrier_signal -1
	s_barrier_wait -1
	s_and_b32 s53, s13, vcc_lo
	s_delay_alu instid0(SALU_CYCLE_1)
	s_and_saveexec_b32 s52, s53
	s_cbranch_execz .LBB153_536
; %bb.552:                              ;   in Loop: Header=BB153_537 Depth=2
	ds_load_b64 v[46:47], v45 offset:1536
	ds_load_b64 v[98:99], v83
	s_wait_dscnt 0x0
	v_pk_mul_f32 v[100:101], v[98:99], v[46:47] op_sel:[1,1] op_sel_hi:[0,1]
	s_delay_alu instid0(VALU_DEP_1) | instskip(SKIP_1) | instid1(VALU_DEP_2)
	v_pk_fma_f32 v[102:103], v[98:99], v[46:47], v[100:101] op_sel_hi:[1,0,1]
	v_pk_fma_f32 v[46:47], v[98:99], v[46:47], v[100:101] neg_lo:[0,0,1] neg_hi:[0,0,1]
	v_mov_b32_e32 v47, v103
	s_delay_alu instid0(VALU_DEP_1)
	v_pk_add_f32 v[42:43], v[42:43], v[46:47]
	s_branch .LBB153_536
.LBB153_553:                            ;   in Loop: Header=BB153_3 Depth=1
	s_and_saveexec_b32 s51, s34
; %bb.554:                              ;   in Loop: Header=BB153_3 Depth=1
	v_pk_add_f32 v[42:43], v[42:43], 0 neg_lo:[1,1] neg_hi:[1,1]
	ds_store_b64 v84, v[42:43] offset:256
; %bb.555:                              ;   in Loop: Header=BB153_3 Depth=1
	s_or_b32 exec_lo, exec_lo, s51
	s_wait_dscnt 0x0
	s_barrier_signal -1
	s_barrier_wait -1
	s_barrier_signal -1
	s_barrier_wait -1
	s_mov_b32 s51, exec_lo
	v_readlane_b32 s52, v107, 12
	s_and_b32 s52, s51, s52
	s_delay_alu instid0(SALU_CYCLE_1)
	s_mov_b32 exec_lo, s52
	s_cbranch_execz .LBB153_557
; %bb.556:                              ;   in Loop: Header=BB153_3 Depth=1
	ds_load_b64 v[42:43], v68 offset:256
	s_wait_dscnt 0x0
	ds_store_b64 v69, v[42:43] offset:16384
	ds_load_b64 v[42:43], v68 offset:264
	s_wait_dscnt 0x0
	ds_store_b64 v69, v[42:43] offset:16896
	;; [unrolled: 3-line block ×32, first 2 shown]
.LBB153_557:                            ;   in Loop: Header=BB153_3 Depth=1
	s_or_b32 exec_lo, exec_lo, s51
	s_wait_dscnt 0x0
	s_barrier_signal -1
	s_barrier_wait -1
	s_and_saveexec_b32 s51, s10
	s_cbranch_execz .LBB153_559
; %bb.558:                              ;   in Loop: Header=BB153_3 Depth=1
	ds_load_b64 v[42:43], v3 offset:16648
	v_add_nc_u32_e64 v44, 0x100, 0
	ds_store_b64 v3, v[26:27] offset:17160
	s_wait_dscnt 0x1
	ds_store_2addr_stride64_b64 v44, v[26:27], v[42:43] offset0:32 offset1:33
.LBB153_559:                            ;   in Loop: Header=BB153_3 Depth=1
	s_or_b32 exec_lo, exec_lo, s51
	v_mov_b64_e32 v[42:43], 0
	s_wait_dscnt 0x0
	s_barrier_signal -1
	s_barrier_wait -1
	s_and_saveexec_b32 s51, s1
	s_cbranch_execz .LBB153_563
; %bb.560:                              ;   in Loop: Header=BB153_3 Depth=1
	ds_load_b64 v[42:43], v49 offset:16656
	ds_load_b64 v[44:45], v50 offset:16640
	s_wait_dscnt 0x0
	v_pk_mul_f32 v[46:47], v[44:45], v[42:43] op_sel:[1,1] op_sel_hi:[0,1]
	s_delay_alu instid0(VALU_DEP_1) | instskip(SKIP_1) | instid1(VALU_DEP_2)
	v_pk_fma_f32 v[98:99], v[44:45], v[42:43], v[46:47] op_sel_hi:[1,0,1]
	v_pk_fma_f32 v[42:43], v[44:45], v[42:43], v[46:47] neg_lo:[0,0,1] neg_hi:[0,0,1]
	v_mov_b32_e32 v43, v99
	s_delay_alu instid0(VALU_DEP_1)
	v_pk_add_f32 v[42:43], v[42:43], 0 op_sel_hi:[1,0]
	s_and_saveexec_b32 s52, s14
	s_cbranch_execz .LBB153_562
; %bb.561:                              ;   in Loop: Header=BB153_3 Depth=1
	ds_load_b64 v[44:45], v51 offset:17168
	ds_load_b64 v[46:47], v3 offset:16648
	s_wait_dscnt 0x0
	v_pk_mul_f32 v[98:99], v[46:47], v[44:45] op_sel:[1,1] op_sel_hi:[0,1]
	s_delay_alu instid0(VALU_DEP_1) | instskip(SKIP_1) | instid1(VALU_DEP_2)
	v_pk_fma_f32 v[100:101], v[46:47], v[44:45], v[98:99] op_sel_hi:[1,0,1]
	v_pk_fma_f32 v[44:45], v[46:47], v[44:45], v[98:99] neg_lo:[0,0,1] neg_hi:[0,0,1]
	v_mov_b32_e32 v45, v101
	s_delay_alu instid0(VALU_DEP_1)
	v_pk_add_f32 v[42:43], v[42:43], v[44:45]
.LBB153_562:                            ;   in Loop: Header=BB153_3 Depth=1
	s_or_b32 exec_lo, exec_lo, s52
	s_delay_alu instid0(VALU_DEP_1)
	v_pk_add_f32 v[42:43], v[42:43], 0 neg_lo:[1,1] neg_hi:[1,1]
.LBB153_563:                            ;   in Loop: Header=BB153_3 Depth=1
	s_or_b32 exec_lo, exec_lo, s51
	s_and_saveexec_b32 s51, s89
; %bb.564:                              ;   in Loop: Header=BB153_3 Depth=1
	ds_store_b64 v5, v[42:43]
; %bb.565:                              ;   in Loop: Header=BB153_3 Depth=1
	s_or_b32 exec_lo, exec_lo, s51
	s_wait_dscnt 0x0
	s_barrier_signal -1
	s_barrier_wait -1
	s_and_saveexec_b32 s51, s90
	s_cbranch_execz .LBB153_567
; %bb.566:                              ;   in Loop: Header=BB153_3 Depth=1
	ds_load_b64 v[44:45], v3 offset:17688
	ds_load_b64 v[46:47], v5
	s_wait_dscnt 0x0
	v_pk_mul_f32 v[98:99], v[46:47], v[44:45] op_sel:[1,1] op_sel_hi:[0,1]
	s_delay_alu instid0(VALU_DEP_1) | instskip(SKIP_1) | instid1(VALU_DEP_2)
	v_pk_fma_f32 v[100:101], v[46:47], v[44:45], v[98:99] op_sel_hi:[1,0,1]
	v_pk_fma_f32 v[44:45], v[46:47], v[44:45], v[98:99] neg_lo:[0,0,1] neg_hi:[0,0,1]
	v_mov_b32_e32 v45, v101
	s_delay_alu instid0(VALU_DEP_1)
	v_pk_add_f32 v[42:43], v[42:43], v[44:45]
.LBB153_567:                            ;   in Loop: Header=BB153_3 Depth=1
	s_or_b32 exec_lo, exec_lo, s51
	s_barrier_signal -1
	s_barrier_wait -1
	s_and_saveexec_b32 s51, s90
; %bb.568:                              ;   in Loop: Header=BB153_3 Depth=1
	ds_store_b64 v5, v[42:43]
; %bb.569:                              ;   in Loop: Header=BB153_3 Depth=1
	s_or_b32 exec_lo, exec_lo, s51
	s_wait_dscnt 0x0
	s_barrier_signal -1
	s_barrier_wait -1
	s_barrier_signal -1
	s_barrier_wait -1
	s_and_saveexec_b32 s51, s1
; %bb.570:                              ;   in Loop: Header=BB153_3 Depth=1
	v_pk_add_f32 v[42:43], v[42:43], 0 neg_lo:[1,1] neg_hi:[1,1]
	ds_store_b64 v49, v[42:43] offset:16656
; %bb.571:                              ;   in Loop: Header=BB153_3 Depth=1
	s_or_b32 exec_lo, exec_lo, s51
	s_wait_dscnt 0x0
	s_barrier_signal -1
	s_barrier_wait -1
	s_barrier_signal -1
	s_barrier_wait -1
	s_and_saveexec_b32 s51, s91
	s_cbranch_execz .LBB153_573
; %bb.572:                              ;   in Loop: Header=BB153_3 Depth=1
	ds_load_b64 v[42:43], v54 offset:16656
	s_wait_dscnt 0x0
	ds_store_b64 v51, v[42:43] offset:17664
	ds_load_b64 v[42:43], v54 offset:16664
	s_wait_dscnt 0x0
	ds_store_b64 v51, v[42:43] offset:18176
.LBB153_573:                            ;   in Loop: Header=BB153_3 Depth=1
	s_or_b32 exec_lo, exec_lo, s51
	s_wait_dscnt 0x0
	s_barrier_signal -1
	s_barrier_wait -1
	s_and_saveexec_b32 s51, s10
	s_cbranch_execz .LBB153_575
; %bb.574:                              ;   in Loop: Header=BB153_3 Depth=1
	ds_load_b64 v[42:43], v3 offset:17688
	v_add_nc_u32_e64 v44, 0x110, 0
	ds_store_b64 v3, v[26:27] offset:18200
	s_wait_dscnt 0x1
	ds_store_2addr_stride64_b64 v44, v[26:27], v[42:43] offset0:34 offset1:35
.LBB153_575:                            ;   in Loop: Header=BB153_3 Depth=1
	s_or_b32 exec_lo, exec_lo, s51
	v_mov_b64_e32 v[42:43], 0
	s_wait_dscnt 0x0
	s_barrier_signal -1
	s_barrier_wait -1
	s_and_saveexec_b32 s51, s3
	s_cbranch_execz .LBB153_581
; %bb.576:                              ;   in Loop: Header=BB153_3 Depth=1
	ds_load_b64 v[42:43], v56 offset:16672
	ds_load_b64 v[44:45], v52 offset:16640
	s_wait_dscnt 0x0
	v_dual_mul_f32 v46, v45, v43 :: v_dual_mul_f32 v43, v44, v43
	s_delay_alu instid0(VALU_DEP_1) | instskip(NEXT) | instid1(VALU_DEP_1)
	v_dual_fma_f32 v44, v44, v42, -v46 :: v_dual_fmac_f32 v43, v45, v42
	v_dual_add_f32 v42, 0, v44 :: v_dual_add_f32 v43, 0, v43
	s_and_saveexec_b32 s52, s15
	s_cbranch_execnz .LBB153_1102
; %bb.577:                              ;   in Loop: Header=BB153_3 Depth=1
	s_or_b32 exec_lo, exec_lo, s52
	s_and_saveexec_b32 s52, s16
	s_cbranch_execnz .LBB153_1103
.LBB153_578:                            ;   in Loop: Header=BB153_3 Depth=1
	s_or_b32 exec_lo, exec_lo, s52
	s_and_saveexec_b32 s52, s1
	s_cbranch_execz .LBB153_580
.LBB153_579:                            ;   in Loop: Header=BB153_3 Depth=1
	ds_load_b64 v[44:45], v58 offset:18208
	ds_load_b64 v[46:47], v3 offset:16664
	s_wait_dscnt 0x0
	v_dual_mul_f32 v48, v47, v45 :: v_dual_mul_f32 v99, v46, v45
	s_delay_alu instid0(VALU_DEP_1) | instskip(NEXT) | instid1(VALU_DEP_1)
	v_dual_fma_f32 v98, v46, v44, -v48 :: v_dual_fmac_f32 v99, v47, v44
	v_pk_add_f32 v[42:43], v[42:43], v[98:99]
.LBB153_580:                            ;   in Loop: Header=BB153_3 Depth=1
	s_or_b32 exec_lo, exec_lo, s52
	s_delay_alu instid0(VALU_DEP_1)
	v_pk_add_f32 v[42:43], v[42:43], 0 neg_lo:[1,1] neg_hi:[1,1]
.LBB153_581:                            ;   in Loop: Header=BB153_3 Depth=1
	s_or_b32 exec_lo, exec_lo, s51
	s_and_saveexec_b32 s51, s92
; %bb.582:                              ;   in Loop: Header=BB153_3 Depth=1
	ds_store_b64 v55, v[42:43]
; %bb.583:                              ;   in Loop: Header=BB153_3 Depth=1
	s_or_b32 exec_lo, exec_lo, s51
	s_wait_dscnt 0x0
	s_barrier_signal -1
	s_barrier_wait -1
	s_and_saveexec_b32 s51, s93
	s_cbranch_execz .LBB153_585
; %bb.584:                              ;   in Loop: Header=BB153_3 Depth=1
	ds_load_b64 v[44:45], v53 offset:18720
	ds_load_b64 v[46:47], v55
	s_wait_dscnt 0x0
	v_pk_mul_f32 v[98:99], v[46:47], v[44:45] op_sel:[1,1] op_sel_hi:[0,1]
	s_delay_alu instid0(VALU_DEP_1) | instskip(SKIP_1) | instid1(VALU_DEP_2)
	v_pk_fma_f32 v[100:101], v[46:47], v[44:45], v[98:99] op_sel_hi:[1,0,1]
	v_pk_fma_f32 v[44:45], v[46:47], v[44:45], v[98:99] neg_lo:[0,0,1] neg_hi:[0,0,1]
	v_mov_b32_e32 v45, v101
	s_delay_alu instid0(VALU_DEP_1)
	v_pk_add_f32 v[42:43], v[42:43], v[44:45]
.LBB153_585:                            ;   in Loop: Header=BB153_3 Depth=1
	s_or_b32 exec_lo, exec_lo, s51
	s_barrier_signal -1
	s_barrier_wait -1
	s_and_saveexec_b32 s51, s94
; %bb.586:                              ;   in Loop: Header=BB153_3 Depth=1
	ds_store_b64 v55, v[42:43]
; %bb.587:                              ;   in Loop: Header=BB153_3 Depth=1
	s_or_b32 exec_lo, exec_lo, s51
	s_wait_dscnt 0x0
	s_barrier_signal -1
	s_barrier_wait -1
	s_and_saveexec_b32 s51, s95
	s_cbranch_execz .LBB153_589
; %bb.588:                              ;   in Loop: Header=BB153_3 Depth=1
	ds_load_b64 v[44:45], v53 offset:19232
	ds_load_b64 v[46:47], v55
	s_wait_dscnt 0x0
	v_pk_mul_f32 v[98:99], v[46:47], v[44:45] op_sel:[1,1] op_sel_hi:[0,1]
	s_delay_alu instid0(VALU_DEP_1) | instskip(SKIP_1) | instid1(VALU_DEP_2)
	v_pk_fma_f32 v[100:101], v[46:47], v[44:45], v[98:99] op_sel_hi:[1,0,1]
	v_pk_fma_f32 v[44:45], v[46:47], v[44:45], v[98:99] neg_lo:[0,0,1] neg_hi:[0,0,1]
	v_mov_b32_e32 v45, v101
	s_delay_alu instid0(VALU_DEP_1)
	v_pk_add_f32 v[42:43], v[42:43], v[44:45]
.LBB153_589:                            ;   in Loop: Header=BB153_3 Depth=1
	s_or_b32 exec_lo, exec_lo, s51
	s_barrier_signal -1
	s_barrier_wait -1
	;; [unrolled: 25-line block ×3, first 2 shown]
	s_and_saveexec_b32 s51, s97
; %bb.594:                              ;   in Loop: Header=BB153_3 Depth=1
	ds_store_b64 v55, v[42:43]
; %bb.595:                              ;   in Loop: Header=BB153_3 Depth=1
	s_or_b32 exec_lo, exec_lo, s51
	s_wait_dscnt 0x0
	s_barrier_signal -1
	s_barrier_wait -1
	s_barrier_signal -1
	s_barrier_wait -1
	s_and_saveexec_b32 s51, s3
; %bb.596:                              ;   in Loop: Header=BB153_3 Depth=1
	v_pk_add_f32 v[42:43], v[42:43], 0 neg_lo:[1,1] neg_hi:[1,1]
	ds_store_b64 v56, v[42:43] offset:16672
; %bb.597:                              ;   in Loop: Header=BB153_3 Depth=1
	s_or_b32 exec_lo, exec_lo, s51
	s_wait_dscnt 0x0
	s_barrier_signal -1
	s_barrier_wait -1
	s_barrier_signal -1
	s_barrier_wait -1
	s_and_saveexec_b32 s51, s98
	s_cbranch_execz .LBB153_599
; %bb.598:                              ;   in Loop: Header=BB153_3 Depth=1
	ds_load_b64 v[42:43], v59 offset:16672
	s_wait_dscnt 0x0
	ds_store_b64 v61, v[42:43] offset:18688
	ds_load_b64 v[42:43], v59 offset:16680
	s_wait_dscnt 0x0
	ds_store_b64 v61, v[42:43] offset:19200
	ds_load_b64 v[42:43], v59 offset:16688
	s_wait_dscnt 0x0
	ds_store_b64 v61, v[42:43] offset:19712
	ds_load_b64 v[42:43], v59 offset:16696
	s_wait_dscnt 0x0
	ds_store_b64 v61, v[42:43] offset:20224
.LBB153_599:                            ;   in Loop: Header=BB153_3 Depth=1
	s_or_b32 exec_lo, exec_lo, s51
	s_wait_dscnt 0x0
	s_barrier_signal -1
	s_barrier_wait -1
	s_and_saveexec_b32 s51, s10
	s_cbranch_execz .LBB153_601
; %bb.600:                              ;   in Loop: Header=BB153_3 Depth=1
	ds_load_b64 v[42:43], v3 offset:18728
	v_add_nc_u32_e64 v44, 0x120, 0
	ds_store_b64 v3, v[26:27] offset:19240
	s_wait_dscnt 0x1
	ds_store_2addr_stride64_b64 v44, v[26:27], v[42:43] offset0:36 offset1:37
.LBB153_601:                            ;   in Loop: Header=BB153_3 Depth=1
	s_or_b32 exec_lo, exec_lo, s51
	v_mov_b64_e32 v[42:43], 0
	s_wait_dscnt 0x0
	s_barrier_signal -1
	s_barrier_wait -1
	s_and_saveexec_b32 s51, s1
	s_cbranch_execz .LBB153_605
; %bb.602:                              ;   in Loop: Header=BB153_3 Depth=1
	ds_load_b64 v[42:43], v49 offset:18736
	ds_load_b64 v[44:45], v50 offset:18720
	s_wait_dscnt 0x0
	v_pk_mul_f32 v[46:47], v[44:45], v[42:43] op_sel:[1,1] op_sel_hi:[0,1]
	s_delay_alu instid0(VALU_DEP_1) | instskip(SKIP_1) | instid1(VALU_DEP_2)
	v_pk_fma_f32 v[98:99], v[44:45], v[42:43], v[46:47] op_sel_hi:[1,0,1]
	v_pk_fma_f32 v[42:43], v[44:45], v[42:43], v[46:47] neg_lo:[0,0,1] neg_hi:[0,0,1]
	v_mov_b32_e32 v43, v99
	s_delay_alu instid0(VALU_DEP_1)
	v_pk_add_f32 v[42:43], v[42:43], 0 op_sel_hi:[1,0]
	s_and_saveexec_b32 s52, s14
	s_cbranch_execz .LBB153_604
; %bb.603:                              ;   in Loop: Header=BB153_3 Depth=1
	ds_load_b64 v[44:45], v61 offset:19248
	ds_load_b64 v[46:47], v3 offset:18728
	s_wait_dscnt 0x0
	v_pk_mul_f32 v[98:99], v[46:47], v[44:45] op_sel:[1,1] op_sel_hi:[0,1]
	s_delay_alu instid0(VALU_DEP_1) | instskip(SKIP_1) | instid1(VALU_DEP_2)
	v_pk_fma_f32 v[100:101], v[46:47], v[44:45], v[98:99] op_sel_hi:[1,0,1]
	v_pk_fma_f32 v[44:45], v[46:47], v[44:45], v[98:99] neg_lo:[0,0,1] neg_hi:[0,0,1]
	v_mov_b32_e32 v45, v101
	s_delay_alu instid0(VALU_DEP_1)
	v_pk_add_f32 v[42:43], v[42:43], v[44:45]
.LBB153_604:                            ;   in Loop: Header=BB153_3 Depth=1
	s_or_b32 exec_lo, exec_lo, s52
	s_delay_alu instid0(VALU_DEP_1)
	v_pk_add_f32 v[42:43], v[42:43], 0 neg_lo:[1,1] neg_hi:[1,1]
.LBB153_605:                            ;   in Loop: Header=BB153_3 Depth=1
	s_or_b32 exec_lo, exec_lo, s51
	s_and_saveexec_b32 s51, s89
; %bb.606:                              ;   in Loop: Header=BB153_3 Depth=1
	ds_store_b64 v5, v[42:43]
; %bb.607:                              ;   in Loop: Header=BB153_3 Depth=1
	s_or_b32 exec_lo, exec_lo, s51
	s_wait_dscnt 0x0
	s_barrier_signal -1
	s_barrier_wait -1
	s_and_saveexec_b32 s51, s90
	s_cbranch_execz .LBB153_609
; %bb.608:                              ;   in Loop: Header=BB153_3 Depth=1
	ds_load_b64 v[44:45], v3 offset:19768
	ds_load_b64 v[46:47], v5
	s_wait_dscnt 0x0
	v_pk_mul_f32 v[98:99], v[46:47], v[44:45] op_sel:[1,1] op_sel_hi:[0,1]
	s_delay_alu instid0(VALU_DEP_1) | instskip(SKIP_1) | instid1(VALU_DEP_2)
	v_pk_fma_f32 v[100:101], v[46:47], v[44:45], v[98:99] op_sel_hi:[1,0,1]
	v_pk_fma_f32 v[44:45], v[46:47], v[44:45], v[98:99] neg_lo:[0,0,1] neg_hi:[0,0,1]
	v_mov_b32_e32 v45, v101
	s_delay_alu instid0(VALU_DEP_1)
	v_pk_add_f32 v[42:43], v[42:43], v[44:45]
.LBB153_609:                            ;   in Loop: Header=BB153_3 Depth=1
	s_or_b32 exec_lo, exec_lo, s51
	s_barrier_signal -1
	s_barrier_wait -1
	s_and_saveexec_b32 s51, s90
; %bb.610:                              ;   in Loop: Header=BB153_3 Depth=1
	ds_store_b64 v5, v[42:43]
; %bb.611:                              ;   in Loop: Header=BB153_3 Depth=1
	s_or_b32 exec_lo, exec_lo, s51
	s_wait_dscnt 0x0
	s_barrier_signal -1
	s_barrier_wait -1
	s_barrier_signal -1
	s_barrier_wait -1
	s_and_saveexec_b32 s51, s1
; %bb.612:                              ;   in Loop: Header=BB153_3 Depth=1
	v_pk_add_f32 v[42:43], v[42:43], 0 neg_lo:[1,1] neg_hi:[1,1]
	ds_store_b64 v49, v[42:43] offset:18736
; %bb.613:                              ;   in Loop: Header=BB153_3 Depth=1
	s_or_b32 exec_lo, exec_lo, s51
	s_wait_dscnt 0x0
	s_barrier_signal -1
	s_barrier_wait -1
	s_barrier_signal -1
	s_barrier_wait -1
	s_and_saveexec_b32 s51, s91
	s_cbranch_execz .LBB153_615
; %bb.614:                              ;   in Loop: Header=BB153_3 Depth=1
	ds_load_b64 v[42:43], v63 offset:18736
	s_wait_dscnt 0x0
	ds_store_b64 v61, v[42:43] offset:19744
	ds_load_b64 v[42:43], v63 offset:18744
	s_wait_dscnt 0x0
	ds_store_b64 v61, v[42:43] offset:20256
.LBB153_615:                            ;   in Loop: Header=BB153_3 Depth=1
	s_or_b32 exec_lo, exec_lo, s51
	s_wait_dscnt 0x0
	s_barrier_signal -1
	s_barrier_wait -1
	s_and_saveexec_b32 s51, s10
	s_cbranch_execz .LBB153_617
; %bb.616:                              ;   in Loop: Header=BB153_3 Depth=1
	ds_load_b64 v[42:43], v3 offset:19768
	v_add_nc_u32_e64 v44, 0x130, 0
	ds_store_b64 v3, v[26:27] offset:20280
	s_wait_dscnt 0x1
	ds_store_2addr_stride64_b64 v44, v[26:27], v[42:43] offset0:38 offset1:39
.LBB153_617:                            ;   in Loop: Header=BB153_3 Depth=1
	s_or_b32 exec_lo, exec_lo, s51
	v_mov_b64_e32 v[42:43], 0
	s_wait_dscnt 0x0
	s_barrier_signal -1
	s_barrier_wait -1
	s_and_saveexec_b32 s51, s4
	s_cbranch_execz .LBB153_627
; %bb.618:                              ;   in Loop: Header=BB153_3 Depth=1
	ds_load_b64 v[42:43], v65 offset:16704
	ds_load_b64 v[44:45], v60 offset:16640
	s_wait_dscnt 0x0
	v_dual_mul_f32 v46, v45, v43 :: v_dual_mul_f32 v43, v44, v43
	s_delay_alu instid0(VALU_DEP_1) | instskip(NEXT) | instid1(VALU_DEP_1)
	v_dual_fma_f32 v44, v44, v42, -v46 :: v_dual_fmac_f32 v43, v45, v42
	v_dual_add_f32 v42, 0, v44 :: v_dual_add_f32 v43, 0, v43
	s_and_saveexec_b32 s52, s17
	s_cbranch_execnz .LBB153_1104
; %bb.619:                              ;   in Loop: Header=BB153_3 Depth=1
	s_or_b32 exec_lo, exec_lo, s52
	s_and_saveexec_b32 s52, s18
	s_cbranch_execnz .LBB153_1105
.LBB153_620:                            ;   in Loop: Header=BB153_3 Depth=1
	s_or_b32 exec_lo, exec_lo, s52
	s_and_saveexec_b32 s52, s19
	s_cbranch_execnz .LBB153_1106
.LBB153_621:                            ;   in Loop: Header=BB153_3 Depth=1
	s_or_b32 exec_lo, exec_lo, s52
	s_and_saveexec_b32 s52, s20
	s_cbranch_execnz .LBB153_1107
.LBB153_622:                            ;   in Loop: Header=BB153_3 Depth=1
	s_or_b32 exec_lo, exec_lo, s52
	s_and_saveexec_b32 s52, s21
	s_cbranch_execnz .LBB153_1108
.LBB153_623:                            ;   in Loop: Header=BB153_3 Depth=1
	s_or_b32 exec_lo, exec_lo, s52
	s_and_saveexec_b32 s52, s3
	s_cbranch_execnz .LBB153_1109
.LBB153_624:                            ;   in Loop: Header=BB153_3 Depth=1
	s_or_b32 exec_lo, exec_lo, s52
	s_and_saveexec_b32 s52, s16
	s_cbranch_execz .LBB153_626
.LBB153_625:                            ;   in Loop: Header=BB153_3 Depth=1
	ds_load_b64 v[44:45], v51 offset:20288
	ds_load_b64 v[46:47], v3 offset:16696
	s_wait_dscnt 0x0
	v_pk_mul_f32 v[98:99], v[46:47], v[44:45] op_sel:[1,1] op_sel_hi:[0,1]
	s_delay_alu instid0(VALU_DEP_1) | instskip(SKIP_1) | instid1(VALU_DEP_2)
	v_pk_fma_f32 v[100:101], v[46:47], v[44:45], v[98:99] op_sel_hi:[1,0,1]
	v_pk_fma_f32 v[44:45], v[46:47], v[44:45], v[98:99] neg_lo:[0,0,1] neg_hi:[0,0,1]
	v_mov_b32_e32 v45, v101
	s_delay_alu instid0(VALU_DEP_1)
	v_pk_add_f32 v[42:43], v[42:43], v[44:45]
.LBB153_626:                            ;   in Loop: Header=BB153_3 Depth=1
	s_or_b32 exec_lo, exec_lo, s52
	s_delay_alu instid0(VALU_DEP_1)
	v_pk_add_f32 v[42:43], v[42:43], 0 neg_lo:[1,1] neg_hi:[1,1]
.LBB153_627:                            ;   in Loop: Header=BB153_3 Depth=1
	s_or_b32 exec_lo, exec_lo, s51
	s_and_saveexec_b32 s51, s99
; %bb.628:                              ;   in Loop: Header=BB153_3 Depth=1
	ds_store_b64 v64, v[42:43]
; %bb.629:                              ;   in Loop: Header=BB153_3 Depth=1
	s_or_b32 exec_lo, exec_lo, s51
	s_wait_dscnt 0x0
	s_barrier_signal -1
	s_barrier_wait -1
	s_and_saveexec_b32 s51, s100
	s_cbranch_execz .LBB153_631
; %bb.630:                              ;   in Loop: Header=BB153_3 Depth=1
	ds_load_b64 v[44:45], v62 offset:20800
	ds_load_b64 v[46:47], v64
	s_wait_dscnt 0x0
	v_pk_mul_f32 v[98:99], v[46:47], v[44:45] op_sel:[1,1] op_sel_hi:[0,1]
	s_delay_alu instid0(VALU_DEP_1) | instskip(SKIP_1) | instid1(VALU_DEP_2)
	v_pk_fma_f32 v[100:101], v[46:47], v[44:45], v[98:99] op_sel_hi:[1,0,1]
	v_pk_fma_f32 v[44:45], v[46:47], v[44:45], v[98:99] neg_lo:[0,0,1] neg_hi:[0,0,1]
	v_mov_b32_e32 v45, v101
	s_delay_alu instid0(VALU_DEP_1)
	v_pk_add_f32 v[42:43], v[42:43], v[44:45]
.LBB153_631:                            ;   in Loop: Header=BB153_3 Depth=1
	s_or_b32 exec_lo, exec_lo, s51
	s_barrier_signal -1
	s_barrier_wait -1
	s_and_saveexec_b32 s51, s101
; %bb.632:                              ;   in Loop: Header=BB153_3 Depth=1
	ds_store_b64 v64, v[42:43]
; %bb.633:                              ;   in Loop: Header=BB153_3 Depth=1
	s_or_b32 exec_lo, exec_lo, s51
	s_wait_dscnt 0x0
	s_barrier_signal -1
	s_barrier_wait -1
	s_and_saveexec_b32 s51, s102
	s_cbranch_execz .LBB153_635
; %bb.634:                              ;   in Loop: Header=BB153_3 Depth=1
	ds_load_b64 v[44:45], v62 offset:21312
	ds_load_b64 v[46:47], v64
	s_wait_dscnt 0x0
	v_dual_mul_f32 v48, v47, v45 :: v_dual_mul_f32 v45, v46, v45
	s_delay_alu instid0(VALU_DEP_1) | instskip(NEXT) | instid1(VALU_DEP_1)
	v_dual_fma_f32 v46, v46, v44, -v48 :: v_dual_fmac_f32 v45, v47, v44
	v_dual_add_f32 v42, v42, v46 :: v_dual_add_f32 v43, v43, v45
.LBB153_635:                            ;   in Loop: Header=BB153_3 Depth=1
	s_or_b32 exec_lo, exec_lo, s51
	s_barrier_signal -1
	s_barrier_wait -1
	s_and_saveexec_b32 s51, s103
; %bb.636:                              ;   in Loop: Header=BB153_3 Depth=1
	ds_store_b64 v64, v[42:43]
; %bb.637:                              ;   in Loop: Header=BB153_3 Depth=1
	s_or_b32 exec_lo, exec_lo, s51
	s_wait_dscnt 0x0
	s_barrier_signal -1
	s_barrier_wait -1
	s_and_saveexec_b32 s51, s104
	s_cbranch_execz .LBB153_639
; %bb.638:                              ;   in Loop: Header=BB153_3 Depth=1
	ds_load_b64 v[44:45], v62 offset:21824
	ds_load_b64 v[46:47], v64
	s_wait_dscnt 0x0
	v_dual_mul_f32 v48, v47, v45 :: v_dual_mul_f32 v99, v46, v45
	s_delay_alu instid0(VALU_DEP_1) | instskip(NEXT) | instid1(VALU_DEP_1)
	v_dual_fma_f32 v98, v46, v44, -v48 :: v_dual_fmac_f32 v99, v47, v44
	v_pk_add_f32 v[42:43], v[42:43], v[98:99]
.LBB153_639:                            ;   in Loop: Header=BB153_3 Depth=1
	s_or_b32 exec_lo, exec_lo, s51
	s_barrier_signal -1
	s_barrier_wait -1
	s_and_saveexec_b32 s51, vcc_hi
; %bb.640:                              ;   in Loop: Header=BB153_3 Depth=1
	ds_store_b64 v64, v[42:43]
; %bb.641:                              ;   in Loop: Header=BB153_3 Depth=1
	s_or_b32 exec_lo, exec_lo, s51
	s_wait_dscnt 0x0
	s_barrier_signal -1
	s_barrier_wait -1
	s_and_saveexec_b32 s51, s37
	s_cbranch_execz .LBB153_643
; %bb.642:                              ;   in Loop: Header=BB153_3 Depth=1
	ds_load_b64 v[44:45], v62 offset:22336
	ds_load_b64 v[46:47], v64
	s_wait_dscnt 0x0
	v_pk_mul_f32 v[98:99], v[46:47], v[44:45] op_sel:[1,1] op_sel_hi:[0,1]
	s_delay_alu instid0(VALU_DEP_1) | instskip(SKIP_1) | instid1(VALU_DEP_2)
	v_pk_fma_f32 v[100:101], v[46:47], v[44:45], v[98:99] op_sel_hi:[1,0,1]
	v_pk_fma_f32 v[44:45], v[46:47], v[44:45], v[98:99] neg_lo:[0,0,1] neg_hi:[0,0,1]
	v_mov_b32_e32 v45, v101
	s_delay_alu instid0(VALU_DEP_1)
	v_pk_add_f32 v[42:43], v[42:43], v[44:45]
.LBB153_643:                            ;   in Loop: Header=BB153_3 Depth=1
	s_or_b32 exec_lo, exec_lo, s51
	s_barrier_signal -1
	s_barrier_wait -1
	s_and_saveexec_b32 s51, s38
; %bb.644:                              ;   in Loop: Header=BB153_3 Depth=1
	ds_store_b64 v64, v[42:43]
; %bb.645:                              ;   in Loop: Header=BB153_3 Depth=1
	s_or_b32 exec_lo, exec_lo, s51
	s_wait_dscnt 0x0
	s_barrier_signal -1
	s_barrier_wait -1
	s_and_saveexec_b32 s51, s40
	s_cbranch_execz .LBB153_647
; %bb.646:                              ;   in Loop: Header=BB153_3 Depth=1
	ds_load_b64 v[44:45], v62 offset:22848
	ds_load_b64 v[46:47], v64
	s_wait_dscnt 0x0
	v_pk_mul_f32 v[98:99], v[46:47], v[44:45] op_sel:[1,1] op_sel_hi:[0,1]
	s_delay_alu instid0(VALU_DEP_1) | instskip(SKIP_1) | instid1(VALU_DEP_2)
	v_pk_fma_f32 v[100:101], v[46:47], v[44:45], v[98:99] op_sel_hi:[1,0,1]
	v_pk_fma_f32 v[44:45], v[46:47], v[44:45], v[98:99] neg_lo:[0,0,1] neg_hi:[0,0,1]
	v_mov_b32_e32 v45, v101
	s_delay_alu instid0(VALU_DEP_1)
	v_pk_add_f32 v[42:43], v[42:43], v[44:45]
.LBB153_647:                            ;   in Loop: Header=BB153_3 Depth=1
	s_or_b32 exec_lo, exec_lo, s51
	s_barrier_signal -1
	s_barrier_wait -1
	s_and_saveexec_b32 s51, s41
	;; [unrolled: 25-line block ×4, first 2 shown]
; %bb.656:                              ;   in Loop: Header=BB153_3 Depth=1
	ds_store_b64 v64, v[42:43]
; %bb.657:                              ;   in Loop: Header=BB153_3 Depth=1
	s_or_b32 exec_lo, exec_lo, s51
	s_wait_dscnt 0x0
	s_barrier_signal -1
	s_barrier_wait -1
	s_barrier_signal -1
	s_barrier_wait -1
	s_and_saveexec_b32 s51, s4
; %bb.658:                              ;   in Loop: Header=BB153_3 Depth=1
	v_pk_add_f32 v[42:43], v[42:43], 0 neg_lo:[1,1] neg_hi:[1,1]
	ds_store_b64 v65, v[42:43] offset:16704
; %bb.659:                              ;   in Loop: Header=BB153_3 Depth=1
	s_or_b32 exec_lo, exec_lo, s51
	s_wait_dscnt 0x0
	s_barrier_signal -1
	s_barrier_wait -1
	s_barrier_signal -1
	s_barrier_wait -1
	s_and_saveexec_b32 s51, s45
	s_cbranch_execz .LBB153_661
; %bb.660:                              ;   in Loop: Header=BB153_3 Depth=1
	ds_load_b64 v[42:43], v54 offset:16704
	s_wait_dscnt 0x0
	ds_store_b64 v58, v[42:43] offset:20736
	ds_load_b64 v[42:43], v54 offset:16712
	s_wait_dscnt 0x0
	ds_store_b64 v58, v[42:43] offset:21248
	;; [unrolled: 3-line block ×8, first 2 shown]
.LBB153_661:                            ;   in Loop: Header=BB153_3 Depth=1
	s_or_b32 exec_lo, exec_lo, s51
	s_wait_dscnt 0x0
	s_barrier_signal -1
	s_barrier_wait -1
	s_and_saveexec_b32 s51, s10
	s_cbranch_execz .LBB153_663
; %bb.662:                              ;   in Loop: Header=BB153_3 Depth=1
	ds_load_b64 v[42:43], v3 offset:20808
	v_add_nc_u32_e64 v44, 0x140, 0
	ds_store_b64 v3, v[26:27] offset:21320
	s_wait_dscnt 0x1
	ds_store_2addr_stride64_b64 v44, v[26:27], v[42:43] offset0:40 offset1:41
.LBB153_663:                            ;   in Loop: Header=BB153_3 Depth=1
	s_or_b32 exec_lo, exec_lo, s51
	v_mov_b64_e32 v[42:43], 0
	s_wait_dscnt 0x0
	s_barrier_signal -1
	s_barrier_wait -1
	s_and_saveexec_b32 s51, s1
	s_cbranch_execz .LBB153_667
; %bb.664:                              ;   in Loop: Header=BB153_3 Depth=1
	ds_load_b64 v[42:43], v49 offset:20816
	ds_load_b64 v[44:45], v50 offset:20800
	s_wait_dscnt 0x0
	v_pk_mul_f32 v[46:47], v[44:45], v[42:43] op_sel:[1,1] op_sel_hi:[0,1]
	s_delay_alu instid0(VALU_DEP_1) | instskip(SKIP_1) | instid1(VALU_DEP_2)
	v_pk_fma_f32 v[98:99], v[44:45], v[42:43], v[46:47] op_sel_hi:[1,0,1]
	v_pk_fma_f32 v[42:43], v[44:45], v[42:43], v[46:47] neg_lo:[0,0,1] neg_hi:[0,0,1]
	v_mov_b32_e32 v43, v99
	s_delay_alu instid0(VALU_DEP_1)
	v_pk_add_f32 v[42:43], v[42:43], 0 op_sel_hi:[1,0]
	s_and_saveexec_b32 s52, s14
	s_cbranch_execz .LBB153_666
; %bb.665:                              ;   in Loop: Header=BB153_3 Depth=1
	ds_load_b64 v[44:45], v58 offset:21328
	ds_load_b64 v[46:47], v3 offset:20808
	s_wait_dscnt 0x0
	v_pk_mul_f32 v[98:99], v[46:47], v[44:45] op_sel:[1,1] op_sel_hi:[0,1]
	s_delay_alu instid0(VALU_DEP_1) | instskip(SKIP_1) | instid1(VALU_DEP_2)
	v_pk_fma_f32 v[100:101], v[46:47], v[44:45], v[98:99] op_sel_hi:[1,0,1]
	v_pk_fma_f32 v[44:45], v[46:47], v[44:45], v[98:99] neg_lo:[0,0,1] neg_hi:[0,0,1]
	v_mov_b32_e32 v45, v101
	s_delay_alu instid0(VALU_DEP_1)
	v_pk_add_f32 v[42:43], v[42:43], v[44:45]
.LBB153_666:                            ;   in Loop: Header=BB153_3 Depth=1
	s_or_b32 exec_lo, exec_lo, s52
	s_delay_alu instid0(VALU_DEP_1)
	v_pk_add_f32 v[42:43], v[42:43], 0 neg_lo:[1,1] neg_hi:[1,1]
.LBB153_667:                            ;   in Loop: Header=BB153_3 Depth=1
	s_or_b32 exec_lo, exec_lo, s51
	s_and_saveexec_b32 s51, s89
; %bb.668:                              ;   in Loop: Header=BB153_3 Depth=1
	ds_store_b64 v5, v[42:43]
; %bb.669:                              ;   in Loop: Header=BB153_3 Depth=1
	s_or_b32 exec_lo, exec_lo, s51
	s_wait_dscnt 0x0
	s_barrier_signal -1
	s_barrier_wait -1
	s_and_saveexec_b32 s51, s90
	s_cbranch_execz .LBB153_671
; %bb.670:                              ;   in Loop: Header=BB153_3 Depth=1
	ds_load_b64 v[44:45], v3 offset:21848
	ds_load_b64 v[46:47], v5
	s_wait_dscnt 0x0
	v_pk_mul_f32 v[98:99], v[46:47], v[44:45] op_sel:[1,1] op_sel_hi:[0,1]
	s_delay_alu instid0(VALU_DEP_1) | instskip(SKIP_1) | instid1(VALU_DEP_2)
	v_pk_fma_f32 v[100:101], v[46:47], v[44:45], v[98:99] op_sel_hi:[1,0,1]
	v_pk_fma_f32 v[44:45], v[46:47], v[44:45], v[98:99] neg_lo:[0,0,1] neg_hi:[0,0,1]
	v_mov_b32_e32 v45, v101
	s_delay_alu instid0(VALU_DEP_1)
	v_pk_add_f32 v[42:43], v[42:43], v[44:45]
.LBB153_671:                            ;   in Loop: Header=BB153_3 Depth=1
	s_or_b32 exec_lo, exec_lo, s51
	s_barrier_signal -1
	s_barrier_wait -1
	s_and_saveexec_b32 s51, s90
; %bb.672:                              ;   in Loop: Header=BB153_3 Depth=1
	ds_store_b64 v5, v[42:43]
; %bb.673:                              ;   in Loop: Header=BB153_3 Depth=1
	s_or_b32 exec_lo, exec_lo, s51
	s_wait_dscnt 0x0
	s_barrier_signal -1
	s_barrier_wait -1
	s_barrier_signal -1
	s_barrier_wait -1
	s_and_saveexec_b32 s51, s1
; %bb.674:                              ;   in Loop: Header=BB153_3 Depth=1
	v_pk_add_f32 v[42:43], v[42:43], 0 neg_lo:[1,1] neg_hi:[1,1]
	ds_store_b64 v49, v[42:43] offset:20816
; %bb.675:                              ;   in Loop: Header=BB153_3 Depth=1
	s_or_b32 exec_lo, exec_lo, s51
	s_wait_dscnt 0x0
	s_barrier_signal -1
	s_barrier_wait -1
	s_barrier_signal -1
	s_barrier_wait -1
	s_and_saveexec_b32 s51, s91
	s_cbranch_execz .LBB153_677
; %bb.676:                              ;   in Loop: Header=BB153_3 Depth=1
	ds_load_b64 v[42:43], v59 offset:20816
	s_wait_dscnt 0x0
	ds_store_b64 v58, v[42:43] offset:21824
	ds_load_b64 v[42:43], v59 offset:20824
	s_wait_dscnt 0x0
	ds_store_b64 v58, v[42:43] offset:22336
.LBB153_677:                            ;   in Loop: Header=BB153_3 Depth=1
	s_or_b32 exec_lo, exec_lo, s51
	s_wait_dscnt 0x0
	s_barrier_signal -1
	s_barrier_wait -1
	s_and_saveexec_b32 s51, s10
	s_cbranch_execz .LBB153_679
; %bb.678:                              ;   in Loop: Header=BB153_3 Depth=1
	ds_load_b64 v[42:43], v3 offset:21848
	v_add_nc_u32_e64 v44, 0x150, 0
	ds_store_b64 v3, v[26:27] offset:22360
	s_wait_dscnt 0x1
	ds_store_2addr_stride64_b64 v44, v[26:27], v[42:43] offset0:42 offset1:43
.LBB153_679:                            ;   in Loop: Header=BB153_3 Depth=1
	s_or_b32 exec_lo, exec_lo, s51
	v_mov_b64_e32 v[42:43], 0
	s_wait_dscnt 0x0
	s_barrier_signal -1
	s_barrier_wait -1
	s_and_saveexec_b32 s51, s3
	s_cbranch_execz .LBB153_685
; %bb.680:                              ;   in Loop: Header=BB153_3 Depth=1
	ds_load_b64 v[42:43], v56 offset:20832
	ds_load_b64 v[44:45], v52 offset:20800
	s_wait_dscnt 0x0
	v_dual_mul_f32 v46, v45, v43 :: v_dual_mul_f32 v43, v44, v43
	s_delay_alu instid0(VALU_DEP_1) | instskip(NEXT) | instid1(VALU_DEP_1)
	v_dual_fma_f32 v44, v44, v42, -v46 :: v_dual_fmac_f32 v43, v45, v42
	v_dual_add_f32 v42, 0, v44 :: v_dual_add_f32 v43, 0, v43
	s_and_saveexec_b32 s52, s15
	s_cbranch_execnz .LBB153_1110
; %bb.681:                              ;   in Loop: Header=BB153_3 Depth=1
	s_or_b32 exec_lo, exec_lo, s52
	s_and_saveexec_b32 s52, s16
	s_cbranch_execnz .LBB153_1111
.LBB153_682:                            ;   in Loop: Header=BB153_3 Depth=1
	s_or_b32 exec_lo, exec_lo, s52
	s_and_saveexec_b32 s52, s1
	s_cbranch_execz .LBB153_684
.LBB153_683:                            ;   in Loop: Header=BB153_3 Depth=1
	ds_load_b64 v[44:45], v61 offset:22368
	ds_load_b64 v[46:47], v3 offset:20824
	s_wait_dscnt 0x0
	v_dual_mul_f32 v48, v47, v45 :: v_dual_mul_f32 v99, v46, v45
	s_delay_alu instid0(VALU_DEP_1) | instskip(NEXT) | instid1(VALU_DEP_1)
	v_dual_fma_f32 v98, v46, v44, -v48 :: v_dual_fmac_f32 v99, v47, v44
	v_pk_add_f32 v[42:43], v[42:43], v[98:99]
.LBB153_684:                            ;   in Loop: Header=BB153_3 Depth=1
	s_or_b32 exec_lo, exec_lo, s52
	s_delay_alu instid0(VALU_DEP_1)
	v_pk_add_f32 v[42:43], v[42:43], 0 neg_lo:[1,1] neg_hi:[1,1]
.LBB153_685:                            ;   in Loop: Header=BB153_3 Depth=1
	s_or_b32 exec_lo, exec_lo, s51
	s_and_saveexec_b32 s51, s92
; %bb.686:                              ;   in Loop: Header=BB153_3 Depth=1
	ds_store_b64 v55, v[42:43]
; %bb.687:                              ;   in Loop: Header=BB153_3 Depth=1
	s_or_b32 exec_lo, exec_lo, s51
	s_wait_dscnt 0x0
	s_barrier_signal -1
	s_barrier_wait -1
	s_and_saveexec_b32 s51, s93
	s_cbranch_execz .LBB153_689
; %bb.688:                              ;   in Loop: Header=BB153_3 Depth=1
	ds_load_b64 v[44:45], v53 offset:22880
	ds_load_b64 v[46:47], v55
	s_wait_dscnt 0x0
	v_pk_mul_f32 v[98:99], v[46:47], v[44:45] op_sel:[1,1] op_sel_hi:[0,1]
	s_delay_alu instid0(VALU_DEP_1) | instskip(SKIP_1) | instid1(VALU_DEP_2)
	v_pk_fma_f32 v[100:101], v[46:47], v[44:45], v[98:99] op_sel_hi:[1,0,1]
	v_pk_fma_f32 v[44:45], v[46:47], v[44:45], v[98:99] neg_lo:[0,0,1] neg_hi:[0,0,1]
	v_mov_b32_e32 v45, v101
	s_delay_alu instid0(VALU_DEP_1)
	v_pk_add_f32 v[42:43], v[42:43], v[44:45]
.LBB153_689:                            ;   in Loop: Header=BB153_3 Depth=1
	s_or_b32 exec_lo, exec_lo, s51
	s_barrier_signal -1
	s_barrier_wait -1
	s_and_saveexec_b32 s51, s94
; %bb.690:                              ;   in Loop: Header=BB153_3 Depth=1
	ds_store_b64 v55, v[42:43]
; %bb.691:                              ;   in Loop: Header=BB153_3 Depth=1
	s_or_b32 exec_lo, exec_lo, s51
	s_wait_dscnt 0x0
	s_barrier_signal -1
	s_barrier_wait -1
	s_and_saveexec_b32 s51, s95
	s_cbranch_execz .LBB153_693
; %bb.692:                              ;   in Loop: Header=BB153_3 Depth=1
	ds_load_b64 v[44:45], v53 offset:23392
	ds_load_b64 v[46:47], v55
	s_wait_dscnt 0x0
	v_pk_mul_f32 v[98:99], v[46:47], v[44:45] op_sel:[1,1] op_sel_hi:[0,1]
	s_delay_alu instid0(VALU_DEP_1) | instskip(SKIP_1) | instid1(VALU_DEP_2)
	v_pk_fma_f32 v[100:101], v[46:47], v[44:45], v[98:99] op_sel_hi:[1,0,1]
	v_pk_fma_f32 v[44:45], v[46:47], v[44:45], v[98:99] neg_lo:[0,0,1] neg_hi:[0,0,1]
	v_mov_b32_e32 v45, v101
	s_delay_alu instid0(VALU_DEP_1)
	v_pk_add_f32 v[42:43], v[42:43], v[44:45]
.LBB153_693:                            ;   in Loop: Header=BB153_3 Depth=1
	s_or_b32 exec_lo, exec_lo, s51
	s_barrier_signal -1
	s_barrier_wait -1
	;; [unrolled: 25-line block ×3, first 2 shown]
	s_and_saveexec_b32 s51, s97
; %bb.698:                              ;   in Loop: Header=BB153_3 Depth=1
	ds_store_b64 v55, v[42:43]
; %bb.699:                              ;   in Loop: Header=BB153_3 Depth=1
	s_or_b32 exec_lo, exec_lo, s51
	s_wait_dscnt 0x0
	s_barrier_signal -1
	s_barrier_wait -1
	s_barrier_signal -1
	s_barrier_wait -1
	s_and_saveexec_b32 s51, s3
; %bb.700:                              ;   in Loop: Header=BB153_3 Depth=1
	v_pk_add_f32 v[42:43], v[42:43], 0 neg_lo:[1,1] neg_hi:[1,1]
	ds_store_b64 v56, v[42:43] offset:20832
; %bb.701:                              ;   in Loop: Header=BB153_3 Depth=1
	s_or_b32 exec_lo, exec_lo, s51
	s_wait_dscnt 0x0
	s_barrier_signal -1
	s_barrier_wait -1
	s_barrier_signal -1
	s_barrier_wait -1
	s_and_saveexec_b32 s51, s98
	s_cbranch_execz .LBB153_703
; %bb.702:                              ;   in Loop: Header=BB153_3 Depth=1
	ds_load_b64 v[42:43], v63 offset:20832
	s_wait_dscnt 0x0
	ds_store_b64 v67, v[42:43] offset:22848
	ds_load_b64 v[42:43], v63 offset:20840
	s_wait_dscnt 0x0
	ds_store_b64 v67, v[42:43] offset:23360
	;; [unrolled: 3-line block ×4, first 2 shown]
.LBB153_703:                            ;   in Loop: Header=BB153_3 Depth=1
	s_or_b32 exec_lo, exec_lo, s51
	s_wait_dscnt 0x0
	s_barrier_signal -1
	s_barrier_wait -1
	s_and_saveexec_b32 s51, s10
	s_cbranch_execz .LBB153_705
; %bb.704:                              ;   in Loop: Header=BB153_3 Depth=1
	ds_load_b64 v[42:43], v3 offset:22888
	v_add_nc_u32_e64 v44, 0x160, 0
	ds_store_b64 v3, v[26:27] offset:23400
	s_wait_dscnt 0x1
	ds_store_2addr_stride64_b64 v44, v[26:27], v[42:43] offset0:44 offset1:45
.LBB153_705:                            ;   in Loop: Header=BB153_3 Depth=1
	s_or_b32 exec_lo, exec_lo, s51
	v_mov_b64_e32 v[42:43], 0
	s_wait_dscnt 0x0
	s_barrier_signal -1
	s_barrier_wait -1
	s_and_saveexec_b32 s51, s1
	s_cbranch_execz .LBB153_709
; %bb.706:                              ;   in Loop: Header=BB153_3 Depth=1
	ds_load_b64 v[42:43], v49 offset:22896
	ds_load_b64 v[44:45], v50 offset:22880
	s_wait_dscnt 0x0
	v_pk_mul_f32 v[46:47], v[44:45], v[42:43] op_sel:[1,1] op_sel_hi:[0,1]
	s_delay_alu instid0(VALU_DEP_1) | instskip(SKIP_1) | instid1(VALU_DEP_2)
	v_pk_fma_f32 v[98:99], v[44:45], v[42:43], v[46:47] op_sel_hi:[1,0,1]
	v_pk_fma_f32 v[42:43], v[44:45], v[42:43], v[46:47] neg_lo:[0,0,1] neg_hi:[0,0,1]
	v_mov_b32_e32 v43, v99
	s_delay_alu instid0(VALU_DEP_1)
	v_pk_add_f32 v[42:43], v[42:43], 0 op_sel_hi:[1,0]
	s_and_saveexec_b32 s52, s14
	s_cbranch_execz .LBB153_708
; %bb.707:                              ;   in Loop: Header=BB153_3 Depth=1
	ds_load_b64 v[44:45], v67 offset:23408
	ds_load_b64 v[46:47], v3 offset:22888
	s_wait_dscnt 0x0
	v_pk_mul_f32 v[98:99], v[46:47], v[44:45] op_sel:[1,1] op_sel_hi:[0,1]
	s_delay_alu instid0(VALU_DEP_1) | instskip(SKIP_1) | instid1(VALU_DEP_2)
	v_pk_fma_f32 v[100:101], v[46:47], v[44:45], v[98:99] op_sel_hi:[1,0,1]
	v_pk_fma_f32 v[44:45], v[46:47], v[44:45], v[98:99] neg_lo:[0,0,1] neg_hi:[0,0,1]
	v_mov_b32_e32 v45, v101
	s_delay_alu instid0(VALU_DEP_1)
	v_pk_add_f32 v[42:43], v[42:43], v[44:45]
.LBB153_708:                            ;   in Loop: Header=BB153_3 Depth=1
	s_or_b32 exec_lo, exec_lo, s52
	s_delay_alu instid0(VALU_DEP_1)
	v_pk_add_f32 v[42:43], v[42:43], 0 neg_lo:[1,1] neg_hi:[1,1]
.LBB153_709:                            ;   in Loop: Header=BB153_3 Depth=1
	s_or_b32 exec_lo, exec_lo, s51
	s_and_saveexec_b32 s51, s89
; %bb.710:                              ;   in Loop: Header=BB153_3 Depth=1
	ds_store_b64 v5, v[42:43]
; %bb.711:                              ;   in Loop: Header=BB153_3 Depth=1
	s_or_b32 exec_lo, exec_lo, s51
	s_wait_dscnt 0x0
	s_barrier_signal -1
	s_barrier_wait -1
	s_and_saveexec_b32 s51, s90
	s_cbranch_execz .LBB153_713
; %bb.712:                              ;   in Loop: Header=BB153_3 Depth=1
	ds_load_b64 v[44:45], v3 offset:23928
	ds_load_b64 v[46:47], v5
	s_wait_dscnt 0x0
	v_pk_mul_f32 v[98:99], v[46:47], v[44:45] op_sel:[1,1] op_sel_hi:[0,1]
	s_delay_alu instid0(VALU_DEP_1) | instskip(SKIP_1) | instid1(VALU_DEP_2)
	v_pk_fma_f32 v[100:101], v[46:47], v[44:45], v[98:99] op_sel_hi:[1,0,1]
	v_pk_fma_f32 v[44:45], v[46:47], v[44:45], v[98:99] neg_lo:[0,0,1] neg_hi:[0,0,1]
	v_mov_b32_e32 v45, v101
	s_delay_alu instid0(VALU_DEP_1)
	v_pk_add_f32 v[42:43], v[42:43], v[44:45]
.LBB153_713:                            ;   in Loop: Header=BB153_3 Depth=1
	s_or_b32 exec_lo, exec_lo, s51
	s_barrier_signal -1
	s_barrier_wait -1
	s_and_saveexec_b32 s51, s90
; %bb.714:                              ;   in Loop: Header=BB153_3 Depth=1
	ds_store_b64 v5, v[42:43]
; %bb.715:                              ;   in Loop: Header=BB153_3 Depth=1
	s_or_b32 exec_lo, exec_lo, s51
	s_wait_dscnt 0x0
	s_barrier_signal -1
	s_barrier_wait -1
	s_barrier_signal -1
	s_barrier_wait -1
	s_and_saveexec_b32 s51, s1
; %bb.716:                              ;   in Loop: Header=BB153_3 Depth=1
	v_pk_add_f32 v[42:43], v[42:43], 0 neg_lo:[1,1] neg_hi:[1,1]
	ds_store_b64 v49, v[42:43] offset:22896
; %bb.717:                              ;   in Loop: Header=BB153_3 Depth=1
	s_or_b32 exec_lo, exec_lo, s51
	s_wait_dscnt 0x0
	s_barrier_signal -1
	s_barrier_wait -1
	s_barrier_signal -1
	s_barrier_wait -1
	s_and_saveexec_b32 s51, s91
	s_cbranch_execz .LBB153_719
; %bb.718:                              ;   in Loop: Header=BB153_3 Depth=1
	ds_load_b64 v[42:43], v68 offset:22896
	s_wait_dscnt 0x0
	ds_store_b64 v67, v[42:43] offset:23904
	ds_load_b64 v[42:43], v68 offset:22904
	s_wait_dscnt 0x0
	ds_store_b64 v67, v[42:43] offset:24416
.LBB153_719:                            ;   in Loop: Header=BB153_3 Depth=1
	s_or_b32 exec_lo, exec_lo, s51
	s_wait_dscnt 0x0
	s_barrier_signal -1
	s_barrier_wait -1
	s_and_saveexec_b32 s51, s10
	s_cbranch_execz .LBB153_721
; %bb.720:                              ;   in Loop: Header=BB153_3 Depth=1
	ds_load_b64 v[42:43], v3 offset:23928
	v_add_nc_u32_e64 v44, 0x170, 0
	ds_store_b64 v3, v[26:27] offset:24440
	s_wait_dscnt 0x1
	ds_store_2addr_stride64_b64 v44, v[26:27], v[42:43] offset0:46 offset1:47
.LBB153_721:                            ;   in Loop: Header=BB153_3 Depth=1
	s_or_b32 exec_lo, exec_lo, s51
	v_mov_b64_e32 v[42:43], 0
	s_wait_dscnt 0x0
	s_barrier_signal -1
	s_barrier_wait -1
	s_and_saveexec_b32 s82, s5
	s_cbranch_execz .LBB153_749
; %bb.722:                              ;   in Loop: Header=BB153_3 Depth=1
	ds_load_b64 v[42:43], v75 offset:16768
	ds_load_b64 v[44:45], v71 offset:16640
	s_wait_dscnt 0x0
	v_dual_mul_f32 v46, v45, v43 :: v_dual_mul_f32 v43, v44, v43
	s_delay_alu instid0(VALU_DEP_1) | instskip(NEXT) | instid1(VALU_DEP_1)
	v_dual_fma_f32 v44, v44, v42, -v46 :: v_dual_fmac_f32 v43, v45, v42
	v_dual_add_f32 v42, 0, v44 :: v_dual_add_f32 v43, 0, v43
	s_mov_b32 s51, exec_lo
	v_readlane_b32 s52, v107, 25
	s_and_b32 s52, s51, s52
	s_delay_alu instid0(SALU_CYCLE_1)
	s_mov_b32 exec_lo, s52
	s_cbranch_execz .LBB153_724
; %bb.723:                              ;   in Loop: Header=BB153_3 Depth=1
	ds_load_b64 v[44:45], v76 offset:17280
	ds_load_b64 v[46:47], v71 offset:16648
	s_wait_dscnt 0x0
	v_dual_mul_f32 v48, v47, v45 :: v_dual_mul_f32 v45, v46, v45
	s_delay_alu instid0(VALU_DEP_1) | instskip(NEXT) | instid1(VALU_DEP_1)
	v_dual_fma_f32 v46, v46, v44, -v48 :: v_dual_fmac_f32 v45, v47, v44
	v_dual_add_f32 v42, v42, v46 :: v_dual_add_f32 v43, v43, v45
.LBB153_724:                            ;   in Loop: Header=BB153_3 Depth=1
	s_or_b32 exec_lo, exec_lo, s51
	s_delay_alu instid0(SALU_CYCLE_1) | instskip(SKIP_2) | instid1(SALU_CYCLE_1)
	s_mov_b32 s51, exec_lo
	v_readlane_b32 s52, v107, 26
	s_and_b32 s52, s51, s52
	s_mov_b32 exec_lo, s52
	s_cbranch_execz .LBB153_726
; %bb.725:                              ;   in Loop: Header=BB153_3 Depth=1
	ds_load_b64 v[44:45], v76 offset:17792
	ds_load_b64 v[46:47], v71 offset:16656
	s_wait_dscnt 0x0
	v_dual_mul_f32 v48, v47, v45 :: v_dual_mul_f32 v45, v46, v45
	s_delay_alu instid0(VALU_DEP_1) | instskip(NEXT) | instid1(VALU_DEP_1)
	v_dual_fma_f32 v46, v46, v44, -v48 :: v_dual_fmac_f32 v45, v47, v44
	v_dual_add_f32 v42, v42, v46 :: v_dual_add_f32 v43, v43, v45
.LBB153_726:                            ;   in Loop: Header=BB153_3 Depth=1
	s_or_b32 exec_lo, exec_lo, s51
	s_delay_alu instid0(SALU_CYCLE_1) | instskip(SKIP_2) | instid1(SALU_CYCLE_1)
	s_mov_b32 s51, exec_lo
	v_readlane_b32 s52, v107, 27
	s_and_b32 s52, s51, s52
	;; [unrolled: 16-line block ×10, first 2 shown]
	s_mov_b32 exec_lo, s52
	s_cbranch_execnz .LBB153_1112
; %bb.743:                              ;   in Loop: Header=BB153_3 Depth=1
	s_or_b32 exec_lo, exec_lo, s51
	s_and_saveexec_b32 s51, s4
	s_cbranch_execnz .LBB153_1113
.LBB153_744:                            ;   in Loop: Header=BB153_3 Depth=1
	s_or_b32 exec_lo, exec_lo, s51
	s_and_saveexec_b32 s51, s18
	s_cbranch_execnz .LBB153_1114
.LBB153_745:                            ;   in Loop: Header=BB153_3 Depth=1
	s_or_b32 exec_lo, exec_lo, s51
	s_and_saveexec_b32 s51, s20
	s_cbranch_execnz .LBB153_1115
.LBB153_746:                            ;   in Loop: Header=BB153_3 Depth=1
	s_or_b32 exec_lo, exec_lo, s51
	s_and_saveexec_b32 s51, s3
	s_cbranch_execz .LBB153_748
.LBB153_747:                            ;   in Loop: Header=BB153_3 Depth=1
	ds_load_b64 v[44:45], v51 offset:24448
	ds_load_b64 v[46:47], v3 offset:16760
	s_wait_dscnt 0x0
	v_dual_mul_f32 v48, v47, v45 :: v_dual_mul_f32 v99, v46, v45
	s_delay_alu instid0(VALU_DEP_1) | instskip(NEXT) | instid1(VALU_DEP_1)
	v_dual_fma_f32 v98, v46, v44, -v48 :: v_dual_fmac_f32 v99, v47, v44
	v_pk_add_f32 v[42:43], v[42:43], v[98:99]
.LBB153_748:                            ;   in Loop: Header=BB153_3 Depth=1
	s_or_b32 exec_lo, exec_lo, s51
	s_delay_alu instid0(VALU_DEP_1)
	v_pk_add_f32 v[42:43], v[42:43], 0 neg_lo:[1,1] neg_hi:[1,1]
.LBB153_749:                            ;   in Loop: Header=BB153_3 Depth=1
	s_or_b32 exec_lo, exec_lo, s82
	s_delay_alu instid0(SALU_CYCLE_1) | instskip(SKIP_2) | instid1(SALU_CYCLE_1)
	s_mov_b32 s51, exec_lo
	v_readlane_b32 s52, v107, 1
	s_and_b32 s52, s51, s52
	s_mov_b32 exec_lo, s52
; %bb.750:                              ;   in Loop: Header=BB153_3 Depth=1
	ds_store_b64 v74, v[42:43]
; %bb.751:                              ;   in Loop: Header=BB153_3 Depth=1
	s_or_b32 exec_lo, exec_lo, s51
	s_wait_dscnt 0x0
	s_barrier_signal -1
	s_barrier_wait -1
	s_mov_b32 s51, exec_lo
	v_readlane_b32 s52, v107, 2
	s_and_b32 s52, s51, s52
	s_delay_alu instid0(SALU_CYCLE_1)
	s_mov_b32 exec_lo, s52
	s_cbranch_execz .LBB153_753
; %bb.752:                              ;   in Loop: Header=BB153_3 Depth=1
	ds_load_b64 v[44:45], v73 offset:24960
	ds_load_b64 v[46:47], v74
	s_wait_dscnt 0x0
	v_pk_mul_f32 v[98:99], v[46:47], v[44:45] op_sel:[1,1] op_sel_hi:[0,1]
	s_delay_alu instid0(VALU_DEP_1) | instskip(SKIP_1) | instid1(VALU_DEP_2)
	v_pk_fma_f32 v[100:101], v[46:47], v[44:45], v[98:99] op_sel_hi:[1,0,1]
	v_pk_fma_f32 v[44:45], v[46:47], v[44:45], v[98:99] neg_lo:[0,0,1] neg_hi:[0,0,1]
	v_mov_b32_e32 v45, v101
	s_delay_alu instid0(VALU_DEP_1)
	v_pk_add_f32 v[42:43], v[42:43], v[44:45]
.LBB153_753:                            ;   in Loop: Header=BB153_3 Depth=1
	s_or_b32 exec_lo, exec_lo, s51
	s_barrier_signal -1
	s_barrier_wait -1
	s_mov_b32 s51, exec_lo
	v_readlane_b32 s52, v107, 3
	s_and_b32 s52, s51, s52
	s_delay_alu instid0(SALU_CYCLE_1)
	s_mov_b32 exec_lo, s52
; %bb.754:                              ;   in Loop: Header=BB153_3 Depth=1
	ds_store_b64 v74, v[42:43]
; %bb.755:                              ;   in Loop: Header=BB153_3 Depth=1
	s_or_b32 exec_lo, exec_lo, s51
	s_wait_dscnt 0x0
	s_barrier_signal -1
	s_barrier_wait -1
	s_mov_b32 s51, exec_lo
	v_readlane_b32 s52, v107, 4
	s_and_b32 s52, s51, s52
	s_delay_alu instid0(SALU_CYCLE_1)
	s_mov_b32 exec_lo, s52
	s_cbranch_execz .LBB153_757
; %bb.756:                              ;   in Loop: Header=BB153_3 Depth=1
	ds_load_b64 v[44:45], v73 offset:25472
	ds_load_b64 v[46:47], v74
	s_wait_dscnt 0x0
	v_pk_mul_f32 v[98:99], v[46:47], v[44:45] op_sel:[1,1] op_sel_hi:[0,1]
	s_delay_alu instid0(VALU_DEP_1) | instskip(SKIP_1) | instid1(VALU_DEP_2)
	v_pk_fma_f32 v[100:101], v[46:47], v[44:45], v[98:99] op_sel_hi:[1,0,1]
	v_pk_fma_f32 v[44:45], v[46:47], v[44:45], v[98:99] neg_lo:[0,0,1] neg_hi:[0,0,1]
	v_mov_b32_e32 v45, v101
	s_delay_alu instid0(VALU_DEP_1)
	v_pk_add_f32 v[42:43], v[42:43], v[44:45]
.LBB153_757:                            ;   in Loop: Header=BB153_3 Depth=1
	s_or_b32 exec_lo, exec_lo, s51
	s_barrier_signal -1
	s_barrier_wait -1
	s_mov_b32 s51, exec_lo
	v_readlane_b32 s52, v107, 5
	s_and_b32 s52, s51, s52
	s_delay_alu instid0(SALU_CYCLE_1)
	s_mov_b32 exec_lo, s52
; %bb.758:                              ;   in Loop: Header=BB153_3 Depth=1
	ds_store_b64 v74, v[42:43]
; %bb.759:                              ;   in Loop: Header=BB153_3 Depth=1
	s_or_b32 exec_lo, exec_lo, s51
	s_wait_dscnt 0x0
	s_barrier_signal -1
	s_barrier_wait -1
	s_mov_b32 s51, exec_lo
	v_readlane_b32 s52, v107, 6
	s_and_b32 s52, s51, s52
	s_delay_alu instid0(SALU_CYCLE_1)
	s_mov_b32 exec_lo, s52
	s_cbranch_execz .LBB153_761
; %bb.760:                              ;   in Loop: Header=BB153_3 Depth=1
	ds_load_b64 v[44:45], v73 offset:25984
	ds_load_b64 v[46:47], v74
	s_wait_dscnt 0x0
	v_pk_mul_f32 v[98:99], v[46:47], v[44:45] op_sel:[1,1] op_sel_hi:[0,1]
	s_delay_alu instid0(VALU_DEP_1) | instskip(SKIP_1) | instid1(VALU_DEP_2)
	v_pk_fma_f32 v[100:101], v[46:47], v[44:45], v[98:99] op_sel_hi:[1,0,1]
	v_pk_fma_f32 v[44:45], v[46:47], v[44:45], v[98:99] neg_lo:[0,0,1] neg_hi:[0,0,1]
	v_mov_b32_e32 v45, v101
	s_delay_alu instid0(VALU_DEP_1)
	v_pk_add_f32 v[42:43], v[42:43], v[44:45]
.LBB153_761:                            ;   in Loop: Header=BB153_3 Depth=1
	s_or_b32 exec_lo, exec_lo, s51
	s_barrier_signal -1
	s_barrier_wait -1
	s_mov_b32 s51, exec_lo
	v_readlane_b32 s52, v107, 7
	s_and_b32 s52, s51, s52
	s_delay_alu instid0(SALU_CYCLE_1)
	s_mov_b32 exec_lo, s52
; %bb.762:                              ;   in Loop: Header=BB153_3 Depth=1
	ds_store_b64 v74, v[42:43]
; %bb.763:                              ;   in Loop: Header=BB153_3 Depth=1
	s_or_b32 exec_lo, exec_lo, s51
	s_wait_dscnt 0x0
	s_barrier_signal -1
	s_barrier_wait -1
	s_mov_b32 s51, exec_lo
	v_readlane_b32 s52, v107, 8
	s_and_b32 s52, s51, s52
	s_delay_alu instid0(SALU_CYCLE_1)
	s_mov_b32 exec_lo, s52
	s_cbranch_execz .LBB153_765
; %bb.764:                              ;   in Loop: Header=BB153_3 Depth=1
	ds_load_b64 v[44:45], v73 offset:26496
	ds_load_b64 v[46:47], v74
	s_wait_dscnt 0x0
	v_dual_mul_f32 v48, v47, v45 :: v_dual_mul_f32 v45, v46, v45
	s_delay_alu instid0(VALU_DEP_1) | instskip(NEXT) | instid1(VALU_DEP_1)
	v_dual_fma_f32 v46, v46, v44, -v48 :: v_dual_fmac_f32 v45, v47, v44
	v_dual_add_f32 v42, v42, v46 :: v_dual_add_f32 v43, v43, v45
.LBB153_765:                            ;   in Loop: Header=BB153_3 Depth=1
	s_or_b32 exec_lo, exec_lo, s51
	s_barrier_signal -1
	s_barrier_wait -1
	s_mov_b32 s51, exec_lo
	v_readlane_b32 s52, v107, 9
	s_and_b32 s52, s51, s52
	s_delay_alu instid0(SALU_CYCLE_1)
	s_mov_b32 exec_lo, s52
; %bb.766:                              ;   in Loop: Header=BB153_3 Depth=1
	ds_store_b64 v74, v[42:43]
; %bb.767:                              ;   in Loop: Header=BB153_3 Depth=1
	s_or_b32 exec_lo, exec_lo, s51
	s_wait_dscnt 0x0
	s_barrier_signal -1
	s_barrier_wait -1
	s_mov_b32 s51, exec_lo
	v_readlane_b32 s52, v107, 10
	s_and_b32 s52, s51, s52
	s_delay_alu instid0(SALU_CYCLE_1)
	s_mov_b32 exec_lo, s52
	s_cbranch_execz .LBB153_769
; %bb.768:                              ;   in Loop: Header=BB153_3 Depth=1
	ds_load_b64 v[44:45], v73 offset:27008
	ds_load_b64 v[46:47], v74
	s_wait_dscnt 0x0
	v_dual_mul_f32 v48, v47, v45 :: v_dual_mul_f32 v99, v46, v45
	s_delay_alu instid0(VALU_DEP_1) | instskip(NEXT) | instid1(VALU_DEP_1)
	v_dual_fma_f32 v98, v46, v44, -v48 :: v_dual_fmac_f32 v99, v47, v44
	v_pk_add_f32 v[42:43], v[42:43], v[98:99]
.LBB153_769:                            ;   in Loop: Header=BB153_3 Depth=1
	s_or_b32 exec_lo, exec_lo, s51
	s_barrier_signal -1
	s_barrier_wait -1
	s_mov_b32 s51, exec_lo
	v_readlane_b32 s52, v107, 11
	s_and_b32 s52, s51, s52
	s_delay_alu instid0(SALU_CYCLE_1)
	s_mov_b32 exec_lo, s52
; %bb.770:                              ;   in Loop: Header=BB153_3 Depth=1
	ds_store_b64 v74, v[42:43]
; %bb.771:                              ;   in Loop: Header=BB153_3 Depth=1
	s_or_b32 exec_lo, exec_lo, s51
	s_wait_dscnt 0x0
	s_barrier_signal -1
	s_barrier_wait -1
	s_and_saveexec_b32 s51, s57
	s_cbranch_execz .LBB153_773
; %bb.772:                              ;   in Loop: Header=BB153_3 Depth=1
	ds_load_b64 v[44:45], v73 offset:27520
	ds_load_b64 v[46:47], v74
	s_wait_dscnt 0x0
	v_pk_mul_f32 v[98:99], v[46:47], v[44:45] op_sel:[1,1] op_sel_hi:[0,1]
	s_delay_alu instid0(VALU_DEP_1) | instskip(SKIP_1) | instid1(VALU_DEP_2)
	v_pk_fma_f32 v[100:101], v[46:47], v[44:45], v[98:99] op_sel_hi:[1,0,1]
	v_pk_fma_f32 v[44:45], v[46:47], v[44:45], v[98:99] neg_lo:[0,0,1] neg_hi:[0,0,1]
	v_mov_b32_e32 v45, v101
	s_delay_alu instid0(VALU_DEP_1)
	v_pk_add_f32 v[42:43], v[42:43], v[44:45]
.LBB153_773:                            ;   in Loop: Header=BB153_3 Depth=1
	s_or_b32 exec_lo, exec_lo, s51
	s_barrier_signal -1
	s_barrier_wait -1
	s_and_saveexec_b32 s51, s58
; %bb.774:                              ;   in Loop: Header=BB153_3 Depth=1
	ds_store_b64 v74, v[42:43]
; %bb.775:                              ;   in Loop: Header=BB153_3 Depth=1
	s_or_b32 exec_lo, exec_lo, s51
	s_wait_dscnt 0x0
	s_barrier_signal -1
	s_barrier_wait -1
	s_and_saveexec_b32 s51, s59
	s_cbranch_execz .LBB153_777
; %bb.776:                              ;   in Loop: Header=BB153_3 Depth=1
	ds_load_b64 v[44:45], v73 offset:28032
	ds_load_b64 v[46:47], v74
	s_wait_dscnt 0x0
	v_pk_mul_f32 v[98:99], v[46:47], v[44:45] op_sel:[1,1] op_sel_hi:[0,1]
	s_delay_alu instid0(VALU_DEP_1) | instskip(SKIP_1) | instid1(VALU_DEP_2)
	v_pk_fma_f32 v[100:101], v[46:47], v[44:45], v[98:99] op_sel_hi:[1,0,1]
	v_pk_fma_f32 v[44:45], v[46:47], v[44:45], v[98:99] neg_lo:[0,0,1] neg_hi:[0,0,1]
	v_mov_b32_e32 v45, v101
	s_delay_alu instid0(VALU_DEP_1)
	v_pk_add_f32 v[42:43], v[42:43], v[44:45]
.LBB153_777:                            ;   in Loop: Header=BB153_3 Depth=1
	s_or_b32 exec_lo, exec_lo, s51
	s_barrier_signal -1
	s_barrier_wait -1
	s_and_saveexec_b32 s51, s60
	;; [unrolled: 25-line block ×4, first 2 shown]
; %bb.786:                              ;   in Loop: Header=BB153_3 Depth=1
	ds_store_b64 v74, v[42:43]
; %bb.787:                              ;   in Loop: Header=BB153_3 Depth=1
	s_or_b32 exec_lo, exec_lo, s51
	s_wait_dscnt 0x0
	s_barrier_signal -1
	s_barrier_wait -1
	s_and_saveexec_b32 s51, s30
	s_cbranch_execz .LBB153_789
; %bb.788:                              ;   in Loop: Header=BB153_3 Depth=1
	ds_load_b64 v[44:45], v73 offset:29568
	ds_load_b64 v[46:47], v74
	s_wait_dscnt 0x0
	v_dual_mul_f32 v48, v47, v45 :: v_dual_mul_f32 v45, v46, v45
	s_delay_alu instid0(VALU_DEP_1) | instskip(NEXT) | instid1(VALU_DEP_1)
	v_dual_fma_f32 v46, v46, v44, -v48 :: v_dual_fmac_f32 v45, v47, v44
	v_dual_add_f32 v42, v42, v46 :: v_dual_add_f32 v43, v43, v45
.LBB153_789:                            ;   in Loop: Header=BB153_3 Depth=1
	s_or_b32 exec_lo, exec_lo, s51
	s_barrier_signal -1
	s_barrier_wait -1
	s_and_saveexec_b32 s51, s33
; %bb.790:                              ;   in Loop: Header=BB153_3 Depth=1
	ds_store_b64 v74, v[42:43]
; %bb.791:                              ;   in Loop: Header=BB153_3 Depth=1
	s_or_b32 exec_lo, exec_lo, s51
	s_wait_dscnt 0x0
	s_barrier_signal -1
	s_barrier_wait -1
	s_and_saveexec_b32 s51, s39
	s_cbranch_execz .LBB153_793
; %bb.792:                              ;   in Loop: Header=BB153_3 Depth=1
	ds_load_b64 v[44:45], v73 offset:30080
	ds_load_b64 v[46:47], v74
	s_wait_dscnt 0x0
	v_dual_mul_f32 v48, v47, v45 :: v_dual_mul_f32 v99, v46, v45
	s_delay_alu instid0(VALU_DEP_1) | instskip(NEXT) | instid1(VALU_DEP_1)
	v_dual_fma_f32 v98, v46, v44, -v48 :: v_dual_fmac_f32 v99, v47, v44
	v_pk_add_f32 v[42:43], v[42:43], v[98:99]
.LBB153_793:                            ;   in Loop: Header=BB153_3 Depth=1
	s_or_b32 exec_lo, exec_lo, s51
	s_barrier_signal -1
	s_barrier_wait -1
	s_and_saveexec_b32 s51, s23
; %bb.794:                              ;   in Loop: Header=BB153_3 Depth=1
	ds_store_b64 v74, v[42:43]
; %bb.795:                              ;   in Loop: Header=BB153_3 Depth=1
	s_or_b32 exec_lo, exec_lo, s51
	s_wait_dscnt 0x0
	s_barrier_signal -1
	s_barrier_wait -1
	s_and_saveexec_b32 s51, s25
	s_cbranch_execz .LBB153_797
; %bb.796:                              ;   in Loop: Header=BB153_3 Depth=1
	ds_load_b64 v[44:45], v73 offset:30592
	ds_load_b64 v[46:47], v74
	s_wait_dscnt 0x0
	v_pk_mul_f32 v[98:99], v[46:47], v[44:45] op_sel:[1,1] op_sel_hi:[0,1]
	s_delay_alu instid0(VALU_DEP_1) | instskip(SKIP_1) | instid1(VALU_DEP_2)
	v_pk_fma_f32 v[100:101], v[46:47], v[44:45], v[98:99] op_sel_hi:[1,0,1]
	v_pk_fma_f32 v[44:45], v[46:47], v[44:45], v[98:99] neg_lo:[0,0,1] neg_hi:[0,0,1]
	v_mov_b32_e32 v45, v101
	s_delay_alu instid0(VALU_DEP_1)
	v_pk_add_f32 v[42:43], v[42:43], v[44:45]
.LBB153_797:                            ;   in Loop: Header=BB153_3 Depth=1
	s_or_b32 exec_lo, exec_lo, s51
	s_barrier_signal -1
	s_barrier_wait -1
	s_and_saveexec_b32 s51, s27
; %bb.798:                              ;   in Loop: Header=BB153_3 Depth=1
	ds_store_b64 v74, v[42:43]
; %bb.799:                              ;   in Loop: Header=BB153_3 Depth=1
	s_or_b32 exec_lo, exec_lo, s51
	s_wait_dscnt 0x0
	s_barrier_signal -1
	s_barrier_wait -1
	s_and_saveexec_b32 s51, s29
	s_cbranch_execz .LBB153_801
; %bb.800:                              ;   in Loop: Header=BB153_3 Depth=1
	ds_load_b64 v[44:45], v73 offset:31104
	ds_load_b64 v[46:47], v74
	s_wait_dscnt 0x0
	v_pk_mul_f32 v[98:99], v[46:47], v[44:45] op_sel:[1,1] op_sel_hi:[0,1]
	s_delay_alu instid0(VALU_DEP_1) | instskip(SKIP_1) | instid1(VALU_DEP_2)
	v_pk_fma_f32 v[100:101], v[46:47], v[44:45], v[98:99] op_sel_hi:[1,0,1]
	v_pk_fma_f32 v[44:45], v[46:47], v[44:45], v[98:99] neg_lo:[0,0,1] neg_hi:[0,0,1]
	v_mov_b32_e32 v45, v101
	s_delay_alu instid0(VALU_DEP_1)
	v_pk_add_f32 v[42:43], v[42:43], v[44:45]
.LBB153_801:                            ;   in Loop: Header=BB153_3 Depth=1
	;; [unrolled: 25-line block ×4, first 2 shown]
	s_or_b32 exec_lo, exec_lo, s51
	s_barrier_signal -1
	s_barrier_wait -1
	s_and_saveexec_b32 s51, s47
; %bb.810:                              ;   in Loop: Header=BB153_3 Depth=1
	ds_store_b64 v74, v[42:43]
; %bb.811:                              ;   in Loop: Header=BB153_3 Depth=1
	s_or_b32 exec_lo, exec_lo, s51
	s_wait_dscnt 0x0
	s_barrier_signal -1
	s_barrier_wait -1
	s_barrier_signal -1
	s_barrier_wait -1
	s_and_saveexec_b32 s51, s5
; %bb.812:                              ;   in Loop: Header=BB153_3 Depth=1
	v_pk_add_f32 v[42:43], v[42:43], 0 neg_lo:[1,1] neg_hi:[1,1]
	ds_store_b64 v75, v[42:43] offset:16768
; %bb.813:                              ;   in Loop: Header=BB153_3 Depth=1
	s_or_b32 exec_lo, exec_lo, s51
	s_wait_dscnt 0x0
	s_barrier_signal -1
	s_barrier_wait -1
	s_barrier_signal -1
	s_barrier_wait -1
	s_and_saveexec_b32 s51, s48
	s_cbranch_execz .LBB153_815
; %bb.814:                              ;   in Loop: Header=BB153_3 Depth=1
	ds_load_b64 v[42:43], v54 offset:16768
	s_wait_dscnt 0x0
	ds_store_b64 v58, v[42:43] offset:24832
	ds_load_b64 v[42:43], v54 offset:16776
	s_wait_dscnt 0x0
	ds_store_b64 v58, v[42:43] offset:25344
	;; [unrolled: 3-line block ×16, first 2 shown]
.LBB153_815:                            ;   in Loop: Header=BB153_3 Depth=1
	s_or_b32 exec_lo, exec_lo, s51
	s_wait_dscnt 0x0
	s_barrier_signal -1
	s_barrier_wait -1
	s_and_saveexec_b32 s51, s10
	s_cbranch_execz .LBB153_817
; %bb.816:                              ;   in Loop: Header=BB153_3 Depth=1
	ds_load_b64 v[42:43], v3 offset:24968
	v_add_nc_u32_e64 v44, 0x180, 0
	ds_store_b64 v3, v[26:27] offset:25480
	s_wait_dscnt 0x1
	ds_store_2addr_stride64_b64 v44, v[26:27], v[42:43] offset0:48 offset1:49
.LBB153_817:                            ;   in Loop: Header=BB153_3 Depth=1
	s_or_b32 exec_lo, exec_lo, s51
	v_mov_b64_e32 v[42:43], 0
	s_wait_dscnt 0x0
	s_barrier_signal -1
	s_barrier_wait -1
	s_and_saveexec_b32 s51, s1
	s_cbranch_execz .LBB153_821
; %bb.818:                              ;   in Loop: Header=BB153_3 Depth=1
	ds_load_b64 v[42:43], v49 offset:24976
	ds_load_b64 v[44:45], v50 offset:24960
	s_wait_dscnt 0x0
	v_pk_mul_f32 v[46:47], v[44:45], v[42:43] op_sel:[1,1] op_sel_hi:[0,1]
	s_delay_alu instid0(VALU_DEP_1) | instskip(SKIP_1) | instid1(VALU_DEP_2)
	v_pk_fma_f32 v[98:99], v[44:45], v[42:43], v[46:47] op_sel_hi:[1,0,1]
	v_pk_fma_f32 v[42:43], v[44:45], v[42:43], v[46:47] neg_lo:[0,0,1] neg_hi:[0,0,1]
	v_mov_b32_e32 v43, v99
	s_delay_alu instid0(VALU_DEP_1)
	v_pk_add_f32 v[42:43], v[42:43], 0 op_sel_hi:[1,0]
	s_and_saveexec_b32 s52, s14
	s_cbranch_execz .LBB153_820
; %bb.819:                              ;   in Loop: Header=BB153_3 Depth=1
	ds_load_b64 v[44:45], v51 offset:25488
	ds_load_b64 v[46:47], v3 offset:24968
	s_wait_dscnt 0x0
	v_pk_mul_f32 v[98:99], v[46:47], v[44:45] op_sel:[1,1] op_sel_hi:[0,1]
	s_delay_alu instid0(VALU_DEP_1) | instskip(SKIP_1) | instid1(VALU_DEP_2)
	v_pk_fma_f32 v[100:101], v[46:47], v[44:45], v[98:99] op_sel_hi:[1,0,1]
	v_pk_fma_f32 v[44:45], v[46:47], v[44:45], v[98:99] neg_lo:[0,0,1] neg_hi:[0,0,1]
	v_mov_b32_e32 v45, v101
	s_delay_alu instid0(VALU_DEP_1)
	v_pk_add_f32 v[42:43], v[42:43], v[44:45]
.LBB153_820:                            ;   in Loop: Header=BB153_3 Depth=1
	s_or_b32 exec_lo, exec_lo, s52
	s_delay_alu instid0(VALU_DEP_1)
	v_pk_add_f32 v[42:43], v[42:43], 0 neg_lo:[1,1] neg_hi:[1,1]
.LBB153_821:                            ;   in Loop: Header=BB153_3 Depth=1
	s_or_b32 exec_lo, exec_lo, s51
	s_and_saveexec_b32 s51, s89
; %bb.822:                              ;   in Loop: Header=BB153_3 Depth=1
	ds_store_b64 v5, v[42:43]
; %bb.823:                              ;   in Loop: Header=BB153_3 Depth=1
	s_or_b32 exec_lo, exec_lo, s51
	s_wait_dscnt 0x0
	s_barrier_signal -1
	s_barrier_wait -1
	s_and_saveexec_b32 s51, s90
	s_cbranch_execz .LBB153_825
; %bb.824:                              ;   in Loop: Header=BB153_3 Depth=1
	ds_load_b64 v[44:45], v3 offset:26008
	ds_load_b64 v[46:47], v5
	s_wait_dscnt 0x0
	v_pk_mul_f32 v[98:99], v[46:47], v[44:45] op_sel:[1,1] op_sel_hi:[0,1]
	s_delay_alu instid0(VALU_DEP_1) | instskip(SKIP_1) | instid1(VALU_DEP_2)
	v_pk_fma_f32 v[100:101], v[46:47], v[44:45], v[98:99] op_sel_hi:[1,0,1]
	v_pk_fma_f32 v[44:45], v[46:47], v[44:45], v[98:99] neg_lo:[0,0,1] neg_hi:[0,0,1]
	v_mov_b32_e32 v45, v101
	s_delay_alu instid0(VALU_DEP_1)
	v_pk_add_f32 v[42:43], v[42:43], v[44:45]
.LBB153_825:                            ;   in Loop: Header=BB153_3 Depth=1
	s_or_b32 exec_lo, exec_lo, s51
	s_barrier_signal -1
	s_barrier_wait -1
	s_and_saveexec_b32 s51, s90
; %bb.826:                              ;   in Loop: Header=BB153_3 Depth=1
	ds_store_b64 v5, v[42:43]
; %bb.827:                              ;   in Loop: Header=BB153_3 Depth=1
	s_or_b32 exec_lo, exec_lo, s51
	s_wait_dscnt 0x0
	s_barrier_signal -1
	s_barrier_wait -1
	s_barrier_signal -1
	s_barrier_wait -1
	s_and_saveexec_b32 s51, s1
; %bb.828:                              ;   in Loop: Header=BB153_3 Depth=1
	v_pk_add_f32 v[42:43], v[42:43], 0 neg_lo:[1,1] neg_hi:[1,1]
	ds_store_b64 v49, v[42:43] offset:24976
; %bb.829:                              ;   in Loop: Header=BB153_3 Depth=1
	s_or_b32 exec_lo, exec_lo, s51
	s_wait_dscnt 0x0
	s_barrier_signal -1
	s_barrier_wait -1
	s_barrier_signal -1
	s_barrier_wait -1
	s_and_saveexec_b32 s51, s91
	s_cbranch_execz .LBB153_831
; %bb.830:                              ;   in Loop: Header=BB153_3 Depth=1
	ds_load_b64 v[42:43], v54 offset:24976
	s_wait_dscnt 0x0
	ds_store_b64 v51, v[42:43] offset:25984
	ds_load_b64 v[42:43], v54 offset:24984
	s_wait_dscnt 0x0
	ds_store_b64 v51, v[42:43] offset:26496
.LBB153_831:                            ;   in Loop: Header=BB153_3 Depth=1
	s_or_b32 exec_lo, exec_lo, s51
	s_wait_dscnt 0x0
	s_barrier_signal -1
	s_barrier_wait -1
	s_and_saveexec_b32 s51, s10
	s_cbranch_execz .LBB153_833
; %bb.832:                              ;   in Loop: Header=BB153_3 Depth=1
	ds_load_b64 v[42:43], v3 offset:26008
	v_add_nc_u32_e64 v44, 0x190, 0
	ds_store_b64 v3, v[26:27] offset:26520
	s_wait_dscnt 0x1
	ds_store_2addr_stride64_b64 v44, v[26:27], v[42:43] offset0:50 offset1:51
.LBB153_833:                            ;   in Loop: Header=BB153_3 Depth=1
	s_or_b32 exec_lo, exec_lo, s51
	v_mov_b64_e32 v[42:43], 0
	s_wait_dscnt 0x0
	s_barrier_signal -1
	s_barrier_wait -1
	s_and_saveexec_b32 s51, s3
	s_cbranch_execz .LBB153_839
; %bb.834:                              ;   in Loop: Header=BB153_3 Depth=1
	ds_load_b64 v[42:43], v56 offset:24992
	ds_load_b64 v[44:45], v52 offset:24960
	s_wait_dscnt 0x0
	v_dual_mul_f32 v46, v45, v43 :: v_dual_mul_f32 v43, v44, v43
	s_delay_alu instid0(VALU_DEP_1) | instskip(NEXT) | instid1(VALU_DEP_1)
	v_dual_fma_f32 v44, v44, v42, -v46 :: v_dual_fmac_f32 v43, v45, v42
	v_dual_add_f32 v42, 0, v44 :: v_dual_add_f32 v43, 0, v43
	s_and_saveexec_b32 s52, s15
	s_cbranch_execnz .LBB153_1116
; %bb.835:                              ;   in Loop: Header=BB153_3 Depth=1
	s_or_b32 exec_lo, exec_lo, s52
	s_and_saveexec_b32 s52, s16
	s_cbranch_execnz .LBB153_1117
.LBB153_836:                            ;   in Loop: Header=BB153_3 Depth=1
	s_or_b32 exec_lo, exec_lo, s52
	s_and_saveexec_b32 s52, s1
	s_cbranch_execz .LBB153_838
.LBB153_837:                            ;   in Loop: Header=BB153_3 Depth=1
	ds_load_b64 v[44:45], v58 offset:26528
	ds_load_b64 v[46:47], v3 offset:24984
	s_wait_dscnt 0x0
	v_dual_mul_f32 v48, v47, v45 :: v_dual_mul_f32 v99, v46, v45
	s_delay_alu instid0(VALU_DEP_1) | instskip(NEXT) | instid1(VALU_DEP_1)
	v_dual_fma_f32 v98, v46, v44, -v48 :: v_dual_fmac_f32 v99, v47, v44
	v_pk_add_f32 v[42:43], v[42:43], v[98:99]
.LBB153_838:                            ;   in Loop: Header=BB153_3 Depth=1
	s_or_b32 exec_lo, exec_lo, s52
	s_delay_alu instid0(VALU_DEP_1)
	v_pk_add_f32 v[42:43], v[42:43], 0 neg_lo:[1,1] neg_hi:[1,1]
.LBB153_839:                            ;   in Loop: Header=BB153_3 Depth=1
	s_or_b32 exec_lo, exec_lo, s51
	s_and_saveexec_b32 s51, s92
; %bb.840:                              ;   in Loop: Header=BB153_3 Depth=1
	ds_store_b64 v55, v[42:43]
; %bb.841:                              ;   in Loop: Header=BB153_3 Depth=1
	s_or_b32 exec_lo, exec_lo, s51
	s_wait_dscnt 0x0
	s_barrier_signal -1
	s_barrier_wait -1
	s_and_saveexec_b32 s51, s93
	s_cbranch_execz .LBB153_843
; %bb.842:                              ;   in Loop: Header=BB153_3 Depth=1
	ds_load_b64 v[44:45], v53 offset:27040
	ds_load_b64 v[46:47], v55
	s_wait_dscnt 0x0
	v_pk_mul_f32 v[98:99], v[46:47], v[44:45] op_sel:[1,1] op_sel_hi:[0,1]
	s_delay_alu instid0(VALU_DEP_1) | instskip(SKIP_1) | instid1(VALU_DEP_2)
	v_pk_fma_f32 v[100:101], v[46:47], v[44:45], v[98:99] op_sel_hi:[1,0,1]
	v_pk_fma_f32 v[44:45], v[46:47], v[44:45], v[98:99] neg_lo:[0,0,1] neg_hi:[0,0,1]
	v_mov_b32_e32 v45, v101
	s_delay_alu instid0(VALU_DEP_1)
	v_pk_add_f32 v[42:43], v[42:43], v[44:45]
.LBB153_843:                            ;   in Loop: Header=BB153_3 Depth=1
	s_or_b32 exec_lo, exec_lo, s51
	s_barrier_signal -1
	s_barrier_wait -1
	s_and_saveexec_b32 s51, s94
; %bb.844:                              ;   in Loop: Header=BB153_3 Depth=1
	ds_store_b64 v55, v[42:43]
; %bb.845:                              ;   in Loop: Header=BB153_3 Depth=1
	s_or_b32 exec_lo, exec_lo, s51
	s_wait_dscnt 0x0
	s_barrier_signal -1
	s_barrier_wait -1
	s_and_saveexec_b32 s51, s95
	s_cbranch_execz .LBB153_847
; %bb.846:                              ;   in Loop: Header=BB153_3 Depth=1
	ds_load_b64 v[44:45], v53 offset:27552
	ds_load_b64 v[46:47], v55
	s_wait_dscnt 0x0
	v_pk_mul_f32 v[98:99], v[46:47], v[44:45] op_sel:[1,1] op_sel_hi:[0,1]
	s_delay_alu instid0(VALU_DEP_1) | instskip(SKIP_1) | instid1(VALU_DEP_2)
	v_pk_fma_f32 v[100:101], v[46:47], v[44:45], v[98:99] op_sel_hi:[1,0,1]
	v_pk_fma_f32 v[44:45], v[46:47], v[44:45], v[98:99] neg_lo:[0,0,1] neg_hi:[0,0,1]
	v_mov_b32_e32 v45, v101
	s_delay_alu instid0(VALU_DEP_1)
	v_pk_add_f32 v[42:43], v[42:43], v[44:45]
.LBB153_847:                            ;   in Loop: Header=BB153_3 Depth=1
	s_or_b32 exec_lo, exec_lo, s51
	s_barrier_signal -1
	s_barrier_wait -1
	;; [unrolled: 25-line block ×3, first 2 shown]
	s_and_saveexec_b32 s51, s97
; %bb.852:                              ;   in Loop: Header=BB153_3 Depth=1
	ds_store_b64 v55, v[42:43]
; %bb.853:                              ;   in Loop: Header=BB153_3 Depth=1
	s_or_b32 exec_lo, exec_lo, s51
	s_wait_dscnt 0x0
	s_barrier_signal -1
	s_barrier_wait -1
	s_barrier_signal -1
	s_barrier_wait -1
	s_and_saveexec_b32 s51, s3
; %bb.854:                              ;   in Loop: Header=BB153_3 Depth=1
	v_pk_add_f32 v[42:43], v[42:43], 0 neg_lo:[1,1] neg_hi:[1,1]
	ds_store_b64 v56, v[42:43] offset:24992
; %bb.855:                              ;   in Loop: Header=BB153_3 Depth=1
	s_or_b32 exec_lo, exec_lo, s51
	s_wait_dscnt 0x0
	s_barrier_signal -1
	s_barrier_wait -1
	s_barrier_signal -1
	s_barrier_wait -1
	s_and_saveexec_b32 s51, s98
	s_cbranch_execz .LBB153_857
; %bb.856:                              ;   in Loop: Header=BB153_3 Depth=1
	ds_load_b64 v[42:43], v59 offset:24992
	s_wait_dscnt 0x0
	ds_store_b64 v61, v[42:43] offset:27008
	ds_load_b64 v[42:43], v59 offset:25000
	s_wait_dscnt 0x0
	ds_store_b64 v61, v[42:43] offset:27520
	;; [unrolled: 3-line block ×4, first 2 shown]
.LBB153_857:                            ;   in Loop: Header=BB153_3 Depth=1
	s_or_b32 exec_lo, exec_lo, s51
	s_wait_dscnt 0x0
	s_barrier_signal -1
	s_barrier_wait -1
	s_and_saveexec_b32 s51, s10
	s_cbranch_execz .LBB153_859
; %bb.858:                              ;   in Loop: Header=BB153_3 Depth=1
	ds_load_b64 v[42:43], v3 offset:27048
	v_add_nc_u32_e64 v44, 0x1a0, 0
	ds_store_b64 v3, v[26:27] offset:27560
	s_wait_dscnt 0x1
	ds_store_2addr_stride64_b64 v44, v[26:27], v[42:43] offset0:52 offset1:53
.LBB153_859:                            ;   in Loop: Header=BB153_3 Depth=1
	s_or_b32 exec_lo, exec_lo, s51
	v_mov_b64_e32 v[42:43], 0
	s_wait_dscnt 0x0
	s_barrier_signal -1
	s_barrier_wait -1
	s_and_saveexec_b32 s51, s1
	s_cbranch_execz .LBB153_863
; %bb.860:                              ;   in Loop: Header=BB153_3 Depth=1
	ds_load_b64 v[42:43], v49 offset:27056
	ds_load_b64 v[44:45], v50 offset:27040
	s_wait_dscnt 0x0
	v_pk_mul_f32 v[46:47], v[44:45], v[42:43] op_sel:[1,1] op_sel_hi:[0,1]
	s_delay_alu instid0(VALU_DEP_1) | instskip(SKIP_1) | instid1(VALU_DEP_2)
	v_pk_fma_f32 v[98:99], v[44:45], v[42:43], v[46:47] op_sel_hi:[1,0,1]
	v_pk_fma_f32 v[42:43], v[44:45], v[42:43], v[46:47] neg_lo:[0,0,1] neg_hi:[0,0,1]
	v_mov_b32_e32 v43, v99
	s_delay_alu instid0(VALU_DEP_1)
	v_pk_add_f32 v[42:43], v[42:43], 0 op_sel_hi:[1,0]
	s_and_saveexec_b32 s52, s14
	s_cbranch_execz .LBB153_862
; %bb.861:                              ;   in Loop: Header=BB153_3 Depth=1
	ds_load_b64 v[44:45], v61 offset:27568
	ds_load_b64 v[46:47], v3 offset:27048
	s_wait_dscnt 0x0
	v_pk_mul_f32 v[98:99], v[46:47], v[44:45] op_sel:[1,1] op_sel_hi:[0,1]
	s_delay_alu instid0(VALU_DEP_1) | instskip(SKIP_1) | instid1(VALU_DEP_2)
	v_pk_fma_f32 v[100:101], v[46:47], v[44:45], v[98:99] op_sel_hi:[1,0,1]
	v_pk_fma_f32 v[44:45], v[46:47], v[44:45], v[98:99] neg_lo:[0,0,1] neg_hi:[0,0,1]
	v_mov_b32_e32 v45, v101
	s_delay_alu instid0(VALU_DEP_1)
	v_pk_add_f32 v[42:43], v[42:43], v[44:45]
.LBB153_862:                            ;   in Loop: Header=BB153_3 Depth=1
	s_or_b32 exec_lo, exec_lo, s52
	s_delay_alu instid0(VALU_DEP_1)
	v_pk_add_f32 v[42:43], v[42:43], 0 neg_lo:[1,1] neg_hi:[1,1]
.LBB153_863:                            ;   in Loop: Header=BB153_3 Depth=1
	s_or_b32 exec_lo, exec_lo, s51
	s_and_saveexec_b32 s51, s89
; %bb.864:                              ;   in Loop: Header=BB153_3 Depth=1
	ds_store_b64 v5, v[42:43]
; %bb.865:                              ;   in Loop: Header=BB153_3 Depth=1
	s_or_b32 exec_lo, exec_lo, s51
	s_wait_dscnt 0x0
	s_barrier_signal -1
	s_barrier_wait -1
	s_and_saveexec_b32 s51, s90
	s_cbranch_execz .LBB153_867
; %bb.866:                              ;   in Loop: Header=BB153_3 Depth=1
	ds_load_b64 v[44:45], v3 offset:28088
	ds_load_b64 v[46:47], v5
	s_wait_dscnt 0x0
	v_pk_mul_f32 v[98:99], v[46:47], v[44:45] op_sel:[1,1] op_sel_hi:[0,1]
	s_delay_alu instid0(VALU_DEP_1) | instskip(SKIP_1) | instid1(VALU_DEP_2)
	v_pk_fma_f32 v[100:101], v[46:47], v[44:45], v[98:99] op_sel_hi:[1,0,1]
	v_pk_fma_f32 v[44:45], v[46:47], v[44:45], v[98:99] neg_lo:[0,0,1] neg_hi:[0,0,1]
	v_mov_b32_e32 v45, v101
	s_delay_alu instid0(VALU_DEP_1)
	v_pk_add_f32 v[42:43], v[42:43], v[44:45]
.LBB153_867:                            ;   in Loop: Header=BB153_3 Depth=1
	s_or_b32 exec_lo, exec_lo, s51
	s_barrier_signal -1
	s_barrier_wait -1
	s_and_saveexec_b32 s51, s90
; %bb.868:                              ;   in Loop: Header=BB153_3 Depth=1
	ds_store_b64 v5, v[42:43]
; %bb.869:                              ;   in Loop: Header=BB153_3 Depth=1
	s_or_b32 exec_lo, exec_lo, s51
	s_wait_dscnt 0x0
	s_barrier_signal -1
	s_barrier_wait -1
	s_barrier_signal -1
	s_barrier_wait -1
	s_and_saveexec_b32 s51, s1
; %bb.870:                              ;   in Loop: Header=BB153_3 Depth=1
	v_pk_add_f32 v[42:43], v[42:43], 0 neg_lo:[1,1] neg_hi:[1,1]
	ds_store_b64 v49, v[42:43] offset:27056
; %bb.871:                              ;   in Loop: Header=BB153_3 Depth=1
	s_or_b32 exec_lo, exec_lo, s51
	s_wait_dscnt 0x0
	s_barrier_signal -1
	s_barrier_wait -1
	s_barrier_signal -1
	s_barrier_wait -1
	s_and_saveexec_b32 s51, s91
	s_cbranch_execz .LBB153_873
; %bb.872:                              ;   in Loop: Header=BB153_3 Depth=1
	ds_load_b64 v[42:43], v63 offset:27056
	s_wait_dscnt 0x0
	ds_store_b64 v61, v[42:43] offset:28064
	ds_load_b64 v[42:43], v63 offset:27064
	s_wait_dscnt 0x0
	ds_store_b64 v61, v[42:43] offset:28576
.LBB153_873:                            ;   in Loop: Header=BB153_3 Depth=1
	s_or_b32 exec_lo, exec_lo, s51
	s_wait_dscnt 0x0
	s_barrier_signal -1
	s_barrier_wait -1
	s_and_saveexec_b32 s51, s10
	s_cbranch_execz .LBB153_875
; %bb.874:                              ;   in Loop: Header=BB153_3 Depth=1
	ds_load_b64 v[42:43], v3 offset:28088
	v_add_nc_u32_e64 v44, 0x1b0, 0
	ds_store_b64 v3, v[26:27] offset:28600
	s_wait_dscnt 0x1
	ds_store_2addr_stride64_b64 v44, v[26:27], v[42:43] offset0:54 offset1:55
.LBB153_875:                            ;   in Loop: Header=BB153_3 Depth=1
	s_or_b32 exec_lo, exec_lo, s51
	v_mov_b64_e32 v[42:43], 0
	s_wait_dscnt 0x0
	s_barrier_signal -1
	s_barrier_wait -1
	s_and_saveexec_b32 s51, s4
	s_cbranch_execz .LBB153_885
; %bb.876:                              ;   in Loop: Header=BB153_3 Depth=1
	ds_load_b64 v[42:43], v65 offset:25024
	ds_load_b64 v[44:45], v60 offset:24960
	s_wait_dscnt 0x0
	v_dual_mul_f32 v46, v45, v43 :: v_dual_mul_f32 v43, v44, v43
	s_delay_alu instid0(VALU_DEP_1) | instskip(NEXT) | instid1(VALU_DEP_1)
	v_dual_fma_f32 v44, v44, v42, -v46 :: v_dual_fmac_f32 v43, v45, v42
	v_dual_add_f32 v42, 0, v44 :: v_dual_add_f32 v43, 0, v43
	s_and_saveexec_b32 s52, s17
	s_cbranch_execnz .LBB153_1118
; %bb.877:                              ;   in Loop: Header=BB153_3 Depth=1
	s_or_b32 exec_lo, exec_lo, s52
	s_and_saveexec_b32 s52, s18
	s_cbranch_execnz .LBB153_1119
.LBB153_878:                            ;   in Loop: Header=BB153_3 Depth=1
	s_or_b32 exec_lo, exec_lo, s52
	s_and_saveexec_b32 s52, s19
	s_cbranch_execnz .LBB153_1120
.LBB153_879:                            ;   in Loop: Header=BB153_3 Depth=1
	s_or_b32 exec_lo, exec_lo, s52
	s_and_saveexec_b32 s52, s20
	s_cbranch_execnz .LBB153_1121
.LBB153_880:                            ;   in Loop: Header=BB153_3 Depth=1
	s_or_b32 exec_lo, exec_lo, s52
	s_and_saveexec_b32 s52, s21
	s_cbranch_execnz .LBB153_1122
.LBB153_881:                            ;   in Loop: Header=BB153_3 Depth=1
	s_or_b32 exec_lo, exec_lo, s52
	s_and_saveexec_b32 s52, s3
	s_cbranch_execnz .LBB153_1123
.LBB153_882:                            ;   in Loop: Header=BB153_3 Depth=1
	s_or_b32 exec_lo, exec_lo, s52
	s_and_saveexec_b32 s52, s16
	s_cbranch_execz .LBB153_884
.LBB153_883:                            ;   in Loop: Header=BB153_3 Depth=1
	ds_load_b64 v[44:45], v51 offset:28608
	ds_load_b64 v[46:47], v3 offset:25016
	s_wait_dscnt 0x0
	v_pk_mul_f32 v[98:99], v[46:47], v[44:45] op_sel:[1,1] op_sel_hi:[0,1]
	s_delay_alu instid0(VALU_DEP_1) | instskip(SKIP_1) | instid1(VALU_DEP_2)
	v_pk_fma_f32 v[100:101], v[46:47], v[44:45], v[98:99] op_sel_hi:[1,0,1]
	v_pk_fma_f32 v[44:45], v[46:47], v[44:45], v[98:99] neg_lo:[0,0,1] neg_hi:[0,0,1]
	v_mov_b32_e32 v45, v101
	s_delay_alu instid0(VALU_DEP_1)
	v_pk_add_f32 v[42:43], v[42:43], v[44:45]
.LBB153_884:                            ;   in Loop: Header=BB153_3 Depth=1
	s_or_b32 exec_lo, exec_lo, s52
	s_delay_alu instid0(VALU_DEP_1)
	v_pk_add_f32 v[42:43], v[42:43], 0 neg_lo:[1,1] neg_hi:[1,1]
.LBB153_885:                            ;   in Loop: Header=BB153_3 Depth=1
	s_or_b32 exec_lo, exec_lo, s51
	s_and_saveexec_b32 s51, s99
; %bb.886:                              ;   in Loop: Header=BB153_3 Depth=1
	ds_store_b64 v64, v[42:43]
; %bb.887:                              ;   in Loop: Header=BB153_3 Depth=1
	s_or_b32 exec_lo, exec_lo, s51
	s_wait_dscnt 0x0
	s_barrier_signal -1
	s_barrier_wait -1
	s_and_saveexec_b32 s51, s100
	s_cbranch_execz .LBB153_889
; %bb.888:                              ;   in Loop: Header=BB153_3 Depth=1
	ds_load_b64 v[44:45], v62 offset:29120
	ds_load_b64 v[46:47], v64
	s_wait_dscnt 0x0
	v_pk_mul_f32 v[98:99], v[46:47], v[44:45] op_sel:[1,1] op_sel_hi:[0,1]
	s_delay_alu instid0(VALU_DEP_1) | instskip(SKIP_1) | instid1(VALU_DEP_2)
	v_pk_fma_f32 v[100:101], v[46:47], v[44:45], v[98:99] op_sel_hi:[1,0,1]
	v_pk_fma_f32 v[44:45], v[46:47], v[44:45], v[98:99] neg_lo:[0,0,1] neg_hi:[0,0,1]
	v_mov_b32_e32 v45, v101
	s_delay_alu instid0(VALU_DEP_1)
	v_pk_add_f32 v[42:43], v[42:43], v[44:45]
.LBB153_889:                            ;   in Loop: Header=BB153_3 Depth=1
	s_or_b32 exec_lo, exec_lo, s51
	s_barrier_signal -1
	s_barrier_wait -1
	s_and_saveexec_b32 s51, s101
; %bb.890:                              ;   in Loop: Header=BB153_3 Depth=1
	ds_store_b64 v64, v[42:43]
; %bb.891:                              ;   in Loop: Header=BB153_3 Depth=1
	s_or_b32 exec_lo, exec_lo, s51
	s_wait_dscnt 0x0
	s_barrier_signal -1
	s_barrier_wait -1
	s_and_saveexec_b32 s51, s102
	s_cbranch_execz .LBB153_893
; %bb.892:                              ;   in Loop: Header=BB153_3 Depth=1
	ds_load_b64 v[44:45], v62 offset:29632
	ds_load_b64 v[46:47], v64
	s_wait_dscnt 0x0
	v_dual_mul_f32 v48, v47, v45 :: v_dual_mul_f32 v45, v46, v45
	s_delay_alu instid0(VALU_DEP_1) | instskip(NEXT) | instid1(VALU_DEP_1)
	v_dual_fma_f32 v46, v46, v44, -v48 :: v_dual_fmac_f32 v45, v47, v44
	v_dual_add_f32 v42, v42, v46 :: v_dual_add_f32 v43, v43, v45
.LBB153_893:                            ;   in Loop: Header=BB153_3 Depth=1
	s_or_b32 exec_lo, exec_lo, s51
	s_barrier_signal -1
	s_barrier_wait -1
	s_and_saveexec_b32 s51, s103
; %bb.894:                              ;   in Loop: Header=BB153_3 Depth=1
	ds_store_b64 v64, v[42:43]
; %bb.895:                              ;   in Loop: Header=BB153_3 Depth=1
	s_or_b32 exec_lo, exec_lo, s51
	s_wait_dscnt 0x0
	s_barrier_signal -1
	s_barrier_wait -1
	s_and_saveexec_b32 s51, s104
	s_cbranch_execz .LBB153_897
; %bb.896:                              ;   in Loop: Header=BB153_3 Depth=1
	ds_load_b64 v[44:45], v62 offset:30144
	ds_load_b64 v[46:47], v64
	s_wait_dscnt 0x0
	v_dual_mul_f32 v48, v47, v45 :: v_dual_mul_f32 v99, v46, v45
	s_delay_alu instid0(VALU_DEP_1) | instskip(NEXT) | instid1(VALU_DEP_1)
	v_dual_fma_f32 v98, v46, v44, -v48 :: v_dual_fmac_f32 v99, v47, v44
	v_pk_add_f32 v[42:43], v[42:43], v[98:99]
.LBB153_897:                            ;   in Loop: Header=BB153_3 Depth=1
	s_or_b32 exec_lo, exec_lo, s51
	s_barrier_signal -1
	s_barrier_wait -1
	s_and_saveexec_b32 s51, vcc_hi
; %bb.898:                              ;   in Loop: Header=BB153_3 Depth=1
	ds_store_b64 v64, v[42:43]
; %bb.899:                              ;   in Loop: Header=BB153_3 Depth=1
	s_or_b32 exec_lo, exec_lo, s51
	s_wait_dscnt 0x0
	s_barrier_signal -1
	s_barrier_wait -1
	s_and_saveexec_b32 s51, s37
	s_cbranch_execz .LBB153_901
; %bb.900:                              ;   in Loop: Header=BB153_3 Depth=1
	ds_load_b64 v[44:45], v62 offset:30656
	ds_load_b64 v[46:47], v64
	s_wait_dscnt 0x0
	v_pk_mul_f32 v[98:99], v[46:47], v[44:45] op_sel:[1,1] op_sel_hi:[0,1]
	s_delay_alu instid0(VALU_DEP_1) | instskip(SKIP_1) | instid1(VALU_DEP_2)
	v_pk_fma_f32 v[100:101], v[46:47], v[44:45], v[98:99] op_sel_hi:[1,0,1]
	v_pk_fma_f32 v[44:45], v[46:47], v[44:45], v[98:99] neg_lo:[0,0,1] neg_hi:[0,0,1]
	v_mov_b32_e32 v45, v101
	s_delay_alu instid0(VALU_DEP_1)
	v_pk_add_f32 v[42:43], v[42:43], v[44:45]
.LBB153_901:                            ;   in Loop: Header=BB153_3 Depth=1
	s_or_b32 exec_lo, exec_lo, s51
	s_barrier_signal -1
	s_barrier_wait -1
	s_and_saveexec_b32 s51, s38
; %bb.902:                              ;   in Loop: Header=BB153_3 Depth=1
	ds_store_b64 v64, v[42:43]
; %bb.903:                              ;   in Loop: Header=BB153_3 Depth=1
	s_or_b32 exec_lo, exec_lo, s51
	s_wait_dscnt 0x0
	s_barrier_signal -1
	s_barrier_wait -1
	s_and_saveexec_b32 s51, s40
	s_cbranch_execz .LBB153_905
; %bb.904:                              ;   in Loop: Header=BB153_3 Depth=1
	ds_load_b64 v[44:45], v62 offset:31168
	ds_load_b64 v[46:47], v64
	s_wait_dscnt 0x0
	v_pk_mul_f32 v[98:99], v[46:47], v[44:45] op_sel:[1,1] op_sel_hi:[0,1]
	s_delay_alu instid0(VALU_DEP_1) | instskip(SKIP_1) | instid1(VALU_DEP_2)
	v_pk_fma_f32 v[100:101], v[46:47], v[44:45], v[98:99] op_sel_hi:[1,0,1]
	v_pk_fma_f32 v[44:45], v[46:47], v[44:45], v[98:99] neg_lo:[0,0,1] neg_hi:[0,0,1]
	v_mov_b32_e32 v45, v101
	s_delay_alu instid0(VALU_DEP_1)
	v_pk_add_f32 v[42:43], v[42:43], v[44:45]
.LBB153_905:                            ;   in Loop: Header=BB153_3 Depth=1
	s_or_b32 exec_lo, exec_lo, s51
	s_barrier_signal -1
	s_barrier_wait -1
	s_and_saveexec_b32 s51, s41
	;; [unrolled: 25-line block ×4, first 2 shown]
; %bb.914:                              ;   in Loop: Header=BB153_3 Depth=1
	ds_store_b64 v64, v[42:43]
; %bb.915:                              ;   in Loop: Header=BB153_3 Depth=1
	s_or_b32 exec_lo, exec_lo, s51
	s_wait_dscnt 0x0
	s_barrier_signal -1
	s_barrier_wait -1
	s_barrier_signal -1
	s_barrier_wait -1
	s_and_saveexec_b32 s51, s4
; %bb.916:                              ;   in Loop: Header=BB153_3 Depth=1
	v_pk_add_f32 v[42:43], v[42:43], 0 neg_lo:[1,1] neg_hi:[1,1]
	ds_store_b64 v65, v[42:43] offset:25024
; %bb.917:                              ;   in Loop: Header=BB153_3 Depth=1
	s_or_b32 exec_lo, exec_lo, s51
	s_wait_dscnt 0x0
	s_barrier_signal -1
	s_barrier_wait -1
	s_barrier_signal -1
	s_barrier_wait -1
	s_and_saveexec_b32 s51, s45
	s_cbranch_execz .LBB153_919
; %bb.918:                              ;   in Loop: Header=BB153_3 Depth=1
	ds_load_b64 v[42:43], v54 offset:25024
	s_wait_dscnt 0x0
	ds_store_b64 v58, v[42:43] offset:29056
	ds_load_b64 v[42:43], v54 offset:25032
	s_wait_dscnt 0x0
	ds_store_b64 v58, v[42:43] offset:29568
	;; [unrolled: 3-line block ×8, first 2 shown]
.LBB153_919:                            ;   in Loop: Header=BB153_3 Depth=1
	s_or_b32 exec_lo, exec_lo, s51
	s_wait_dscnt 0x0
	s_barrier_signal -1
	s_barrier_wait -1
	s_and_saveexec_b32 s51, s10
	s_cbranch_execz .LBB153_921
; %bb.920:                              ;   in Loop: Header=BB153_3 Depth=1
	ds_load_b64 v[42:43], v3 offset:29128
	v_add_nc_u32_e64 v44, 0x1c0, 0
	ds_store_b64 v3, v[26:27] offset:29640
	s_wait_dscnt 0x1
	ds_store_2addr_stride64_b64 v44, v[26:27], v[42:43] offset0:56 offset1:57
.LBB153_921:                            ;   in Loop: Header=BB153_3 Depth=1
	s_or_b32 exec_lo, exec_lo, s51
	v_mov_b64_e32 v[42:43], 0
	s_wait_dscnt 0x0
	s_barrier_signal -1
	s_barrier_wait -1
	s_and_saveexec_b32 s51, s1
	s_cbranch_execz .LBB153_925
; %bb.922:                              ;   in Loop: Header=BB153_3 Depth=1
	ds_load_b64 v[42:43], v49 offset:29136
	ds_load_b64 v[44:45], v50 offset:29120
	s_wait_dscnt 0x0
	v_pk_mul_f32 v[46:47], v[44:45], v[42:43] op_sel:[1,1] op_sel_hi:[0,1]
	s_delay_alu instid0(VALU_DEP_1) | instskip(SKIP_1) | instid1(VALU_DEP_2)
	v_pk_fma_f32 v[98:99], v[44:45], v[42:43], v[46:47] op_sel_hi:[1,0,1]
	v_pk_fma_f32 v[42:43], v[44:45], v[42:43], v[46:47] neg_lo:[0,0,1] neg_hi:[0,0,1]
	v_mov_b32_e32 v43, v99
	s_delay_alu instid0(VALU_DEP_1)
	v_pk_add_f32 v[42:43], v[42:43], 0 op_sel_hi:[1,0]
	s_and_saveexec_b32 s52, s14
	s_cbranch_execz .LBB153_924
; %bb.923:                              ;   in Loop: Header=BB153_3 Depth=1
	ds_load_b64 v[44:45], v58 offset:29648
	ds_load_b64 v[46:47], v3 offset:29128
	s_wait_dscnt 0x0
	v_pk_mul_f32 v[98:99], v[46:47], v[44:45] op_sel:[1,1] op_sel_hi:[0,1]
	s_delay_alu instid0(VALU_DEP_1) | instskip(SKIP_1) | instid1(VALU_DEP_2)
	v_pk_fma_f32 v[100:101], v[46:47], v[44:45], v[98:99] op_sel_hi:[1,0,1]
	v_pk_fma_f32 v[44:45], v[46:47], v[44:45], v[98:99] neg_lo:[0,0,1] neg_hi:[0,0,1]
	v_mov_b32_e32 v45, v101
	s_delay_alu instid0(VALU_DEP_1)
	v_pk_add_f32 v[42:43], v[42:43], v[44:45]
.LBB153_924:                            ;   in Loop: Header=BB153_3 Depth=1
	s_or_b32 exec_lo, exec_lo, s52
	s_delay_alu instid0(VALU_DEP_1)
	v_pk_add_f32 v[42:43], v[42:43], 0 neg_lo:[1,1] neg_hi:[1,1]
.LBB153_925:                            ;   in Loop: Header=BB153_3 Depth=1
	s_or_b32 exec_lo, exec_lo, s51
	s_and_saveexec_b32 s51, s89
; %bb.926:                              ;   in Loop: Header=BB153_3 Depth=1
	ds_store_b64 v5, v[42:43]
; %bb.927:                              ;   in Loop: Header=BB153_3 Depth=1
	s_or_b32 exec_lo, exec_lo, s51
	s_wait_dscnt 0x0
	s_barrier_signal -1
	s_barrier_wait -1
	s_and_saveexec_b32 s51, s90
	s_cbranch_execz .LBB153_929
; %bb.928:                              ;   in Loop: Header=BB153_3 Depth=1
	ds_load_b64 v[44:45], v3 offset:30168
	ds_load_b64 v[46:47], v5
	s_wait_dscnt 0x0
	v_pk_mul_f32 v[98:99], v[46:47], v[44:45] op_sel:[1,1] op_sel_hi:[0,1]
	s_delay_alu instid0(VALU_DEP_1) | instskip(SKIP_1) | instid1(VALU_DEP_2)
	v_pk_fma_f32 v[100:101], v[46:47], v[44:45], v[98:99] op_sel_hi:[1,0,1]
	v_pk_fma_f32 v[44:45], v[46:47], v[44:45], v[98:99] neg_lo:[0,0,1] neg_hi:[0,0,1]
	v_mov_b32_e32 v45, v101
	s_delay_alu instid0(VALU_DEP_1)
	v_pk_add_f32 v[42:43], v[42:43], v[44:45]
.LBB153_929:                            ;   in Loop: Header=BB153_3 Depth=1
	s_or_b32 exec_lo, exec_lo, s51
	s_barrier_signal -1
	s_barrier_wait -1
	s_and_saveexec_b32 s51, s90
; %bb.930:                              ;   in Loop: Header=BB153_3 Depth=1
	ds_store_b64 v5, v[42:43]
; %bb.931:                              ;   in Loop: Header=BB153_3 Depth=1
	s_or_b32 exec_lo, exec_lo, s51
	s_wait_dscnt 0x0
	s_barrier_signal -1
	s_barrier_wait -1
	s_barrier_signal -1
	s_barrier_wait -1
	s_and_saveexec_b32 s51, s1
; %bb.932:                              ;   in Loop: Header=BB153_3 Depth=1
	v_pk_add_f32 v[42:43], v[42:43], 0 neg_lo:[1,1] neg_hi:[1,1]
	ds_store_b64 v49, v[42:43] offset:29136
; %bb.933:                              ;   in Loop: Header=BB153_3 Depth=1
	s_or_b32 exec_lo, exec_lo, s51
	s_wait_dscnt 0x0
	s_barrier_signal -1
	s_barrier_wait -1
	s_barrier_signal -1
	s_barrier_wait -1
	s_and_saveexec_b32 s51, s91
	s_cbranch_execz .LBB153_935
; %bb.934:                              ;   in Loop: Header=BB153_3 Depth=1
	ds_load_b64 v[42:43], v59 offset:29136
	s_wait_dscnt 0x0
	ds_store_b64 v58, v[42:43] offset:30144
	ds_load_b64 v[42:43], v59 offset:29144
	s_wait_dscnt 0x0
	ds_store_b64 v58, v[42:43] offset:30656
.LBB153_935:                            ;   in Loop: Header=BB153_3 Depth=1
	s_or_b32 exec_lo, exec_lo, s51
	s_wait_dscnt 0x0
	s_barrier_signal -1
	s_barrier_wait -1
	s_and_saveexec_b32 s51, s10
	s_cbranch_execz .LBB153_937
; %bb.936:                              ;   in Loop: Header=BB153_3 Depth=1
	ds_load_b64 v[42:43], v3 offset:30168
	v_add_nc_u32_e64 v44, 0x1d0, 0
	ds_store_b64 v3, v[26:27] offset:30680
	s_wait_dscnt 0x1
	ds_store_2addr_stride64_b64 v44, v[26:27], v[42:43] offset0:58 offset1:59
.LBB153_937:                            ;   in Loop: Header=BB153_3 Depth=1
	s_or_b32 exec_lo, exec_lo, s51
	v_mov_b64_e32 v[42:43], 0
	s_wait_dscnt 0x0
	s_barrier_signal -1
	s_barrier_wait -1
	s_and_saveexec_b32 s51, s3
	s_cbranch_execz .LBB153_943
; %bb.938:                              ;   in Loop: Header=BB153_3 Depth=1
	ds_load_b64 v[42:43], v56 offset:29152
	ds_load_b64 v[44:45], v52 offset:29120
	s_wait_dscnt 0x0
	v_dual_mul_f32 v46, v45, v43 :: v_dual_mul_f32 v43, v44, v43
	s_delay_alu instid0(VALU_DEP_1) | instskip(NEXT) | instid1(VALU_DEP_1)
	v_dual_fma_f32 v44, v44, v42, -v46 :: v_dual_fmac_f32 v43, v45, v42
	v_dual_add_f32 v42, 0, v44 :: v_dual_add_f32 v43, 0, v43
	s_and_saveexec_b32 s52, s15
	s_cbranch_execnz .LBB153_1124
; %bb.939:                              ;   in Loop: Header=BB153_3 Depth=1
	s_or_b32 exec_lo, exec_lo, s52
	s_and_saveexec_b32 s52, s16
	s_cbranch_execnz .LBB153_1125
.LBB153_940:                            ;   in Loop: Header=BB153_3 Depth=1
	s_or_b32 exec_lo, exec_lo, s52
	s_and_saveexec_b32 s52, s1
	s_cbranch_execz .LBB153_942
.LBB153_941:                            ;   in Loop: Header=BB153_3 Depth=1
	ds_load_b64 v[44:45], v61 offset:30688
	ds_load_b64 v[46:47], v3 offset:29144
	s_wait_dscnt 0x0
	v_dual_mul_f32 v48, v47, v45 :: v_dual_mul_f32 v99, v46, v45
	s_delay_alu instid0(VALU_DEP_1) | instskip(NEXT) | instid1(VALU_DEP_1)
	v_dual_fma_f32 v98, v46, v44, -v48 :: v_dual_fmac_f32 v99, v47, v44
	v_pk_add_f32 v[42:43], v[42:43], v[98:99]
.LBB153_942:                            ;   in Loop: Header=BB153_3 Depth=1
	s_or_b32 exec_lo, exec_lo, s52
	s_delay_alu instid0(VALU_DEP_1)
	v_pk_add_f32 v[42:43], v[42:43], 0 neg_lo:[1,1] neg_hi:[1,1]
.LBB153_943:                            ;   in Loop: Header=BB153_3 Depth=1
	s_or_b32 exec_lo, exec_lo, s51
	s_and_saveexec_b32 s51, s92
; %bb.944:                              ;   in Loop: Header=BB153_3 Depth=1
	ds_store_b64 v55, v[42:43]
; %bb.945:                              ;   in Loop: Header=BB153_3 Depth=1
	s_or_b32 exec_lo, exec_lo, s51
	s_wait_dscnt 0x0
	s_barrier_signal -1
	s_barrier_wait -1
	s_and_saveexec_b32 s51, s93
	s_cbranch_execz .LBB153_947
; %bb.946:                              ;   in Loop: Header=BB153_3 Depth=1
	ds_load_b64 v[44:45], v53 offset:31200
	ds_load_b64 v[46:47], v55
	s_wait_dscnt 0x0
	v_pk_mul_f32 v[98:99], v[46:47], v[44:45] op_sel:[1,1] op_sel_hi:[0,1]
	s_delay_alu instid0(VALU_DEP_1) | instskip(SKIP_1) | instid1(VALU_DEP_2)
	v_pk_fma_f32 v[100:101], v[46:47], v[44:45], v[98:99] op_sel_hi:[1,0,1]
	v_pk_fma_f32 v[44:45], v[46:47], v[44:45], v[98:99] neg_lo:[0,0,1] neg_hi:[0,0,1]
	v_mov_b32_e32 v45, v101
	s_delay_alu instid0(VALU_DEP_1)
	v_pk_add_f32 v[42:43], v[42:43], v[44:45]
.LBB153_947:                            ;   in Loop: Header=BB153_3 Depth=1
	s_or_b32 exec_lo, exec_lo, s51
	s_barrier_signal -1
	s_barrier_wait -1
	s_and_saveexec_b32 s51, s94
; %bb.948:                              ;   in Loop: Header=BB153_3 Depth=1
	ds_store_b64 v55, v[42:43]
; %bb.949:                              ;   in Loop: Header=BB153_3 Depth=1
	s_or_b32 exec_lo, exec_lo, s51
	s_wait_dscnt 0x0
	s_barrier_signal -1
	s_barrier_wait -1
	s_and_saveexec_b32 s51, s95
	s_cbranch_execz .LBB153_951
; %bb.950:                              ;   in Loop: Header=BB153_3 Depth=1
	ds_load_b64 v[44:45], v53 offset:31712
	ds_load_b64 v[46:47], v55
	s_wait_dscnt 0x0
	v_pk_mul_f32 v[98:99], v[46:47], v[44:45] op_sel:[1,1] op_sel_hi:[0,1]
	s_delay_alu instid0(VALU_DEP_1) | instskip(SKIP_1) | instid1(VALU_DEP_2)
	v_pk_fma_f32 v[100:101], v[46:47], v[44:45], v[98:99] op_sel_hi:[1,0,1]
	v_pk_fma_f32 v[44:45], v[46:47], v[44:45], v[98:99] neg_lo:[0,0,1] neg_hi:[0,0,1]
	v_mov_b32_e32 v45, v101
	s_delay_alu instid0(VALU_DEP_1)
	v_pk_add_f32 v[42:43], v[42:43], v[44:45]
.LBB153_951:                            ;   in Loop: Header=BB153_3 Depth=1
	s_or_b32 exec_lo, exec_lo, s51
	s_barrier_signal -1
	s_barrier_wait -1
	;; [unrolled: 25-line block ×3, first 2 shown]
	s_and_saveexec_b32 s51, s97
; %bb.956:                              ;   in Loop: Header=BB153_3 Depth=1
	ds_store_b64 v55, v[42:43]
; %bb.957:                              ;   in Loop: Header=BB153_3 Depth=1
	s_or_b32 exec_lo, exec_lo, s51
	s_wait_dscnt 0x0
	s_barrier_signal -1
	s_barrier_wait -1
	s_barrier_signal -1
	s_barrier_wait -1
	s_and_saveexec_b32 s51, s3
; %bb.958:                              ;   in Loop: Header=BB153_3 Depth=1
	v_pk_add_f32 v[42:43], v[42:43], 0 neg_lo:[1,1] neg_hi:[1,1]
	ds_store_b64 v56, v[42:43] offset:29152
; %bb.959:                              ;   in Loop: Header=BB153_3 Depth=1
	s_or_b32 exec_lo, exec_lo, s51
	s_wait_dscnt 0x0
	s_barrier_signal -1
	s_barrier_wait -1
	s_barrier_signal -1
	s_barrier_wait -1
	s_and_saveexec_b32 s51, s98
	s_cbranch_execz .LBB153_961
; %bb.960:                              ;   in Loop: Header=BB153_3 Depth=1
	ds_load_b64 v[42:43], v63 offset:29152
	s_wait_dscnt 0x0
	ds_store_b64 v67, v[42:43] offset:31168
	ds_load_b64 v[42:43], v63 offset:29160
	s_wait_dscnt 0x0
	ds_store_b64 v67, v[42:43] offset:31680
	;; [unrolled: 3-line block ×4, first 2 shown]
.LBB153_961:                            ;   in Loop: Header=BB153_3 Depth=1
	s_or_b32 exec_lo, exec_lo, s51
	s_wait_dscnt 0x0
	s_barrier_signal -1
	s_barrier_wait -1
	s_and_saveexec_b32 s51, s10
	s_cbranch_execz .LBB153_963
; %bb.962:                              ;   in Loop: Header=BB153_3 Depth=1
	ds_load_b64 v[42:43], v3 offset:31208
	v_add_nc_u32_e64 v44, 0x1e0, 0
	ds_store_b64 v3, v[26:27] offset:31720
	s_wait_dscnt 0x1
	ds_store_2addr_stride64_b64 v44, v[26:27], v[42:43] offset0:60 offset1:61
.LBB153_963:                            ;   in Loop: Header=BB153_3 Depth=1
	s_or_b32 exec_lo, exec_lo, s51
	v_mov_b64_e32 v[42:43], 0
	s_wait_dscnt 0x0
	s_barrier_signal -1
	s_barrier_wait -1
	s_and_saveexec_b32 s51, s1
	s_cbranch_execz .LBB153_967
; %bb.964:                              ;   in Loop: Header=BB153_3 Depth=1
	ds_load_b64 v[42:43], v49 offset:31216
	ds_load_b64 v[44:45], v50 offset:31200
	s_wait_dscnt 0x0
	v_pk_mul_f32 v[46:47], v[44:45], v[42:43] op_sel:[1,1] op_sel_hi:[0,1]
	s_delay_alu instid0(VALU_DEP_1) | instskip(SKIP_1) | instid1(VALU_DEP_2)
	v_pk_fma_f32 v[98:99], v[44:45], v[42:43], v[46:47] op_sel_hi:[1,0,1]
	v_pk_fma_f32 v[42:43], v[44:45], v[42:43], v[46:47] neg_lo:[0,0,1] neg_hi:[0,0,1]
	v_mov_b32_e32 v43, v99
	s_delay_alu instid0(VALU_DEP_1)
	v_pk_add_f32 v[42:43], v[42:43], 0 op_sel_hi:[1,0]
	s_and_saveexec_b32 s52, s14
	s_cbranch_execz .LBB153_966
; %bb.965:                              ;   in Loop: Header=BB153_3 Depth=1
	ds_load_b64 v[44:45], v67 offset:31728
	ds_load_b64 v[46:47], v3 offset:31208
	s_wait_dscnt 0x0
	v_pk_mul_f32 v[98:99], v[46:47], v[44:45] op_sel:[1,1] op_sel_hi:[0,1]
	s_delay_alu instid0(VALU_DEP_1) | instskip(SKIP_1) | instid1(VALU_DEP_2)
	v_pk_fma_f32 v[100:101], v[46:47], v[44:45], v[98:99] op_sel_hi:[1,0,1]
	v_pk_fma_f32 v[44:45], v[46:47], v[44:45], v[98:99] neg_lo:[0,0,1] neg_hi:[0,0,1]
	v_mov_b32_e32 v45, v101
	s_delay_alu instid0(VALU_DEP_1)
	v_pk_add_f32 v[42:43], v[42:43], v[44:45]
.LBB153_966:                            ;   in Loop: Header=BB153_3 Depth=1
	s_or_b32 exec_lo, exec_lo, s52
	s_delay_alu instid0(VALU_DEP_1)
	v_pk_add_f32 v[42:43], v[42:43], 0 neg_lo:[1,1] neg_hi:[1,1]
.LBB153_967:                            ;   in Loop: Header=BB153_3 Depth=1
	s_or_b32 exec_lo, exec_lo, s51
	s_and_saveexec_b32 s51, s89
; %bb.968:                              ;   in Loop: Header=BB153_3 Depth=1
	ds_store_b64 v5, v[42:43]
; %bb.969:                              ;   in Loop: Header=BB153_3 Depth=1
	s_or_b32 exec_lo, exec_lo, s51
	s_wait_dscnt 0x0
	s_barrier_signal -1
	s_barrier_wait -1
	s_and_saveexec_b32 s51, s90
	s_cbranch_execz .LBB153_971
; %bb.970:                              ;   in Loop: Header=BB153_3 Depth=1
	ds_load_b64 v[44:45], v3 offset:32248
	ds_load_b64 v[46:47], v5
	s_wait_dscnt 0x0
	v_pk_mul_f32 v[98:99], v[46:47], v[44:45] op_sel:[1,1] op_sel_hi:[0,1]
	s_delay_alu instid0(VALU_DEP_1) | instskip(SKIP_1) | instid1(VALU_DEP_2)
	v_pk_fma_f32 v[100:101], v[46:47], v[44:45], v[98:99] op_sel_hi:[1,0,1]
	v_pk_fma_f32 v[44:45], v[46:47], v[44:45], v[98:99] neg_lo:[0,0,1] neg_hi:[0,0,1]
	v_mov_b32_e32 v45, v101
	s_delay_alu instid0(VALU_DEP_1)
	v_pk_add_f32 v[42:43], v[42:43], v[44:45]
.LBB153_971:                            ;   in Loop: Header=BB153_3 Depth=1
	s_or_b32 exec_lo, exec_lo, s51
	s_barrier_signal -1
	s_barrier_wait -1
	s_and_saveexec_b32 s51, s90
; %bb.972:                              ;   in Loop: Header=BB153_3 Depth=1
	ds_store_b64 v5, v[42:43]
; %bb.973:                              ;   in Loop: Header=BB153_3 Depth=1
	s_or_b32 exec_lo, exec_lo, s51
	s_wait_dscnt 0x0
	s_barrier_signal -1
	s_barrier_wait -1
	s_barrier_signal -1
	s_barrier_wait -1
	s_and_saveexec_b32 s51, s1
; %bb.974:                              ;   in Loop: Header=BB153_3 Depth=1
	v_pk_add_f32 v[42:43], v[42:43], 0 neg_lo:[1,1] neg_hi:[1,1]
	ds_store_b64 v49, v[42:43] offset:31216
; %bb.975:                              ;   in Loop: Header=BB153_3 Depth=1
	s_or_b32 exec_lo, exec_lo, s51
	s_wait_dscnt 0x0
	s_barrier_signal -1
	s_barrier_wait -1
	s_barrier_signal -1
	s_barrier_wait -1
	s_and_saveexec_b32 s51, s91
	s_cbranch_execz .LBB153_977
; %bb.976:                              ;   in Loop: Header=BB153_3 Depth=1
	ds_load_b64 v[42:43], v68 offset:31216
	s_wait_dscnt 0x0
	ds_store_b64 v67, v[42:43] offset:32224
	ds_load_b64 v[42:43], v68 offset:31224
	s_wait_dscnt 0x0
	ds_store_b64 v67, v[42:43] offset:32736
.LBB153_977:                            ;   in Loop: Header=BB153_3 Depth=1
	s_or_b32 exec_lo, exec_lo, s51
	s_wait_dscnt 0x0
	s_barrier_signal -1
	s_barrier_wait -1
	s_and_saveexec_b32 s51, s10
	s_cbranch_execz .LBB153_979
; %bb.978:                              ;   in Loop: Header=BB153_3 Depth=1
	ds_load_b64 v[42:43], v3 offset:32248
	v_add_nc_u32_e64 v44, 0x1f0, 0
	ds_store_b64 v3, v[26:27] offset:32760
	s_wait_dscnt 0x1
	ds_store_2addr_stride64_b64 v44, v[26:27], v[42:43] offset0:62 offset1:63
.LBB153_979:                            ;   in Loop: Header=BB153_3 Depth=1
	s_or_b32 exec_lo, exec_lo, s51
.LBB153_980:                            ;   in Loop: Header=BB153_3 Depth=1
	v_add_nc_u64_e32 v[40:41], s[68:69], v[40:41]
	v_mov_b64_e32 v[42:43], 0
	s_wait_dscnt 0x0
	s_barrier_signal -1
	s_barrier_wait -1
	s_and_saveexec_b32 s51, s50
	s_cbranch_execz .LBB153_982
; %bb.981:                              ;   in Loop: Header=BB153_3 Depth=1
	v_lshl_add_u64 v[42:43], v[20:21], 3, v[40:41]
	flat_load_b64 v[42:43], v[42:43]
	s_wait_loadcnt_dscnt 0x0
	v_pk_mul_f32 v[44:45], v[38:39], v[42:43] op_sel:[1,0] neg_lo:[1,0]
	s_delay_alu instid0(VALU_DEP_1)
	v_pk_fma_f32 v[42:43], v[38:39], v[42:43], v[44:45] op_sel:[0,0,1] op_sel_hi:[0,1,0] neg_lo:[1,0,0] neg_hi:[1,0,0]
.LBB153_982:                            ;   in Loop: Header=BB153_3 Depth=1
	s_or_b32 exec_lo, exec_lo, s51
	s_delay_alu instid0(SALU_CYCLE_1)
	s_and_not1_b32 vcc_lo, exec_lo, s12
	s_cbranch_vccnz .LBB153_1017
; %bb.983:                              ;   in Loop: Header=BB153_3 Depth=1
	v_mov_b32_e32 v98, -1
	s_lshl_b64 s[52:53], s[62:63], 2
	s_mov_b32 s51, 0
	s_add_nc_u64 s[82:83], s[78:79], s[52:53]
	s_branch .LBB153_986
.LBB153_984:                            ;   in Loop: Header=BB153_986 Depth=2
	s_wait_xcnt 0x0
	ds_load_b64 v[38:39], v81 offset:384
	s_wait_loadcnt_dscnt 0x0
	v_pk_mul_f32 v[46:47], v[46:47], v[38:39] op_sel:[0,1] op_sel_hi:[0,0]
	s_delay_alu instid0(VALU_DEP_1) | instskip(SKIP_1) | instid1(VALU_DEP_2)
	v_pk_fma_f32 v[100:101], v[44:45], v[38:39], v[46:47] op_sel_hi:[0,1,1] neg_lo:[0,0,1] neg_hi:[0,0,1]
	v_pk_fma_f32 v[38:39], v[44:45], v[38:39], v[46:47]
	v_mov_b32_e32 v39, v101
	s_delay_alu instid0(VALU_DEP_1)
	v_pk_add_f32 v[42:43], v[42:43], v[38:39]
.LBB153_985:                            ;   in Loop: Header=BB153_986 Depth=2
	s_or_b32 exec_lo, exec_lo, s52
	s_add_co_i32 s51, s51, 1
	s_delay_alu instid0(SALU_CYCLE_1)
	s_cmp_eq_u32 s51, s84
	s_cbranch_scc1 .LBB153_1017
.LBB153_986:                            ;   Parent Loop BB153_3 Depth=1
                                        ; =>  This Loop Header: Depth=2
                                        ;       Child Loop BB153_988 Depth 3
	v_cmp_gt_i32_e32 vcc_lo, s51, v98
	s_and_b32 s53, s35, vcc_lo
	s_delay_alu instid0(SALU_CYCLE_1)
	s_and_saveexec_b32 s52, s53
	s_cbranch_execz .LBB153_989
; %bb.987:                              ;   in Loop: Header=BB153_986 Depth=2
	global_load_b32 v98, v3, s[82:83]
	s_wait_loadcnt 0x0
	v_cmp_le_i32_e32 vcc_lo, s51, v98
	s_cbranch_vccnz .LBB153_989
.LBB153_988:                            ;   Parent Loop BB153_3 Depth=1
                                        ;     Parent Loop BB153_986 Depth=2
                                        ; =>    This Inner Loop Header: Depth=3
	global_wb scope:SCOPE_DEV
	s_wait_storecnt 0x0
	global_inv scope:SCOPE_DEV
	global_load_b32 v98, v3, s[82:83]
	s_wait_loadcnt 0x0
	v_cmp_gt_i32_e32 vcc_lo, s51, v98
	s_cbranch_vccnz .LBB153_988
.LBB153_989:                            ;   in Loop: Header=BB153_986 Depth=2
	s_or_b32 exec_lo, exec_lo, s52
	s_sub_co_i32 s52, s85, s51
	global_wb scope:SCOPE_DEV
	s_wait_storecnt 0x0
	global_inv scope:SCOPE_DEV
	s_lshl_b32 s53, s52, 6
	s_wait_loadcnt 0x0
	s_barrier_signal -1
	s_barrier_wait -1
	s_and_saveexec_b32 s54, s36
	s_cbranch_execz .LBB153_994
; %bb.990:                              ;   in Loop: Header=BB153_986 Depth=2
	s_ashr_i32 vcc_lo, s53, 31
	s_delay_alu instid0(SALU_CYCLE_1) | instskip(NEXT) | instid1(VALU_DEP_1)
	v_dual_mov_b32 v39, vcc_lo :: v_dual_bitop2_b32 v38, s53, v8 bitop3:0x54
	v_cmp_le_i64_e32 vcc_lo, s[76:77], v[38:39]
	s_and_saveexec_b32 s55, vcc_lo
	s_delay_alu instid0(SALU_CYCLE_1)
	s_xor_b32 vcc_lo, exec_lo, s55
; %bb.991:                              ;   in Loop: Header=BB153_986 Depth=2
	ds_store_b64 v85, v[24:25]
                                        ; implicit-def: $vgpr38_vgpr39
; %bb.992:                              ;   in Loop: Header=BB153_986 Depth=2
	s_and_not1_saveexec_b32 s55, vcc_lo
	s_cbranch_execz .LBB153_994
; %bb.993:                              ;   in Loop: Header=BB153_986 Depth=2
	v_mul_u64_e32 v[38:39], s[70:71], v[38:39]
	s_delay_alu instid0(VALU_DEP_1)
	v_lshl_add_u64 v[38:39], v[38:39], 3, v[40:41]
	flat_load_b64 v[38:39], v[38:39]
	s_wait_loadcnt_dscnt 0x0
	ds_store_b64 v85, v[38:39]
.LBB153_994:                            ;   in Loop: Header=BB153_986 Depth=2
	s_or_b32 exec_lo, exec_lo, s54
	v_add_nc_u32_e32 v44, s53, v6
	s_cmp_lg_u32 s52, s11
	s_wait_dscnt 0x0
	s_cselect_b32 s53, -1, 0
	s_barrier_signal -1
	v_ashrrev_i32_e32 v45, 31, v44
	v_cmp_gt_i32_e32 vcc_lo, s76, v44
	s_barrier_wait -1
	s_delay_alu instid0(VALU_DEP_2) | instskip(SKIP_2) | instid1(SALU_CYCLE_1)
	v_lshl_add_u64 v[38:39], v[44:45], 3, v[36:37]
	v_cndmask_b32_e64 v45, 0, 1, s53
	s_and_b32 s54, vcc_lo, s0
	s_and_saveexec_b32 s52, s54
	s_cbranch_execz .LBB153_1000
; %bb.995:                              ;   in Loop: Header=BB153_986 Depth=2
	v_mov_b32_e32 v46, v28
	s_and_not1_b32 vcc_lo, exec_lo, s53
	s_cbranch_vccnz .LBB153_997
; %bb.996:                              ;   in Loop: Header=BB153_986 Depth=2
	flat_load_b32 v46, v[38:39]
.LBB153_997:                            ;   in Loop: Header=BB153_986 Depth=2
	v_cmp_ne_u32_e32 vcc_lo, 1, v45
	v_mov_b32_e32 v48, v29
	s_cbranch_vccnz .LBB153_999
; %bb.998:                              ;   in Loop: Header=BB153_986 Depth=2
	flat_load_b32 v48, v[38:39] offset:4
.LBB153_999:                            ;   in Loop: Header=BB153_986 Depth=2
	ds_load_b64 v[100:101], v81
	s_wait_loadcnt_dscnt 0x0
	v_pk_mul_f32 v[102:103], v[48:49], v[100:101] op_sel:[0,1] op_sel_hi:[0,0]
	s_delay_alu instid0(VALU_DEP_1) | instskip(SKIP_1) | instid1(VALU_DEP_2)
	v_pk_fma_f32 v[104:105], v[46:47], v[100:101], v[102:103] op_sel_hi:[0,1,1] neg_lo:[0,0,1] neg_hi:[0,0,1]
	v_pk_fma_f32 v[46:47], v[46:47], v[100:101], v[102:103]
	v_mov_b32_e32 v47, v105
	s_delay_alu instid0(VALU_DEP_1)
	v_pk_add_f32 v[42:43], v[42:43], v[46:47]
.LBB153_1000:                           ;   in Loop: Header=BB153_986 Depth=2
	s_or_b32 exec_lo, exec_lo, s52
	v_add_nc_u32_e32 v46, 16, v44
	s_delay_alu instid0(VALU_DEP_1) | instskip(SKIP_1) | instid1(SALU_CYCLE_1)
	v_cmp_gt_i32_e32 vcc_lo, s76, v46
	s_and_b32 s53, vcc_lo, s0
	s_and_saveexec_b32 s52, s53
	s_cbranch_execz .LBB153_1006
; %bb.1001:                             ;   in Loop: Header=BB153_986 Depth=2
	v_cmp_ne_u32_e32 vcc_lo, 1, v45
	v_mov_b32_e32 v46, v30
	s_cbranch_vccnz .LBB153_1003
; %bb.1002:                             ;   in Loop: Header=BB153_986 Depth=2
	flat_load_b32 v46, v[38:39] offset:128
.LBB153_1003:                           ;   in Loop: Header=BB153_986 Depth=2
	v_cmp_ne_u32_e32 vcc_lo, 1, v45
	v_mov_b32_e32 v47, v31
	s_cbranch_vccnz .LBB153_1005
; %bb.1004:                             ;   in Loop: Header=BB153_986 Depth=2
	flat_load_b32 v47, v[38:39] offset:132
.LBB153_1005:                           ;   in Loop: Header=BB153_986 Depth=2
	ds_load_b64 v[100:101], v81 offset:128
	s_wait_loadcnt_dscnt 0x1
	v_dual_mov_b32 v102, v47 :: v_dual_mov_b32 v103, v46
	s_wait_dscnt 0x0
	v_dual_mul_f32 v48, v47, v100 :: v_dual_mul_f32 v104, v47, v101
	s_delay_alu instid0(VALU_DEP_1) | instskip(NEXT) | instid1(VALU_DEP_2)
	v_pk_fma_f32 v[102:103], v[102:103], v[100:101], v[48:49] op_sel_hi:[1,1,0] neg_lo:[0,0,1] neg_hi:[0,0,1]
	v_pk_fma_f32 v[46:47], v[46:47], v[100:101], v[104:105] op_sel_hi:[1,1,0]
	s_delay_alu instid0(VALU_DEP_2) | instskip(NEXT) | instid1(VALU_DEP_1)
	v_mov_b32_e32 v47, v103
	v_pk_add_f32 v[42:43], v[42:43], v[46:47]
.LBB153_1006:                           ;   in Loop: Header=BB153_986 Depth=2
	s_or_b32 exec_lo, exec_lo, s52
	v_add_nc_u32_e32 v46, 32, v44
	s_delay_alu instid0(VALU_DEP_1) | instskip(SKIP_1) | instid1(SALU_CYCLE_1)
	v_cmp_gt_i32_e32 vcc_lo, s76, v46
	s_and_b32 s53, vcc_lo, s0
	s_and_saveexec_b32 s52, s53
	s_cbranch_execz .LBB153_1012
; %bb.1007:                             ;   in Loop: Header=BB153_986 Depth=2
	v_cmp_ne_u32_e32 vcc_lo, 1, v45
	v_mov_b32_e32 v46, v32
	s_cbranch_vccnz .LBB153_1009
; %bb.1008:                             ;   in Loop: Header=BB153_986 Depth=2
	flat_load_b32 v46, v[38:39] offset:256
.LBB153_1009:                           ;   in Loop: Header=BB153_986 Depth=2
	v_cmp_ne_u32_e32 vcc_lo, 1, v45
	v_mov_b32_e32 v48, v33
	s_cbranch_vccnz .LBB153_1011
; %bb.1010:                             ;   in Loop: Header=BB153_986 Depth=2
	flat_load_b32 v48, v[38:39] offset:260
.LBB153_1011:                           ;   in Loop: Header=BB153_986 Depth=2
	ds_load_b64 v[100:101], v81 offset:256
	s_wait_loadcnt_dscnt 0x0
	v_pk_mul_f32 v[102:103], v[48:49], v[100:101] op_sel:[0,1] op_sel_hi:[0,0]
	s_delay_alu instid0(VALU_DEP_1) | instskip(SKIP_1) | instid1(VALU_DEP_2)
	v_pk_fma_f32 v[104:105], v[46:47], v[100:101], v[102:103] op_sel_hi:[0,1,1] neg_lo:[0,0,1] neg_hi:[0,0,1]
	v_pk_fma_f32 v[46:47], v[46:47], v[100:101], v[102:103]
	v_mov_b32_e32 v47, v105
	s_delay_alu instid0(VALU_DEP_1)
	v_pk_add_f32 v[42:43], v[42:43], v[46:47]
.LBB153_1012:                           ;   in Loop: Header=BB153_986 Depth=2
	s_or_b32 exec_lo, exec_lo, s52
	v_add_nc_u32_e32 v44, 48, v44
	s_delay_alu instid0(VALU_DEP_1) | instskip(SKIP_1) | instid1(SALU_CYCLE_1)
	v_cmp_gt_i32_e32 vcc_lo, s76, v44
	s_and_b32 s53, vcc_lo, s0
	s_and_saveexec_b32 s52, s53
	s_cbranch_execz .LBB153_985
; %bb.1013:                             ;   in Loop: Header=BB153_986 Depth=2
	v_cmp_ne_u32_e32 vcc_lo, 1, v45
	v_mov_b32_e32 v44, v34
	s_cbranch_vccnz .LBB153_1015
; %bb.1014:                             ;   in Loop: Header=BB153_986 Depth=2
	flat_load_b32 v44, v[38:39] offset:384
.LBB153_1015:                           ;   in Loop: Header=BB153_986 Depth=2
	v_cmp_ne_u32_e32 vcc_lo, 1, v45
	v_mov_b32_e32 v46, v35
	s_cbranch_vccnz .LBB153_984
; %bb.1016:                             ;   in Loop: Header=BB153_986 Depth=2
	flat_load_b32 v46, v[38:39] offset:388
	s_branch .LBB153_984
.LBB153_1017:                           ;   in Loop: Header=BB153_3 Depth=1
	ds_store_b64 v90, v[42:43]
	s_wait_dscnt 0x0
	s_barrier_signal -1
	s_barrier_wait -1
	s_and_saveexec_b32 s51, s2
	s_cbranch_execz .LBB153_1019
; %bb.1018:                             ;   in Loop: Header=BB153_3 Depth=1
	ds_load_2addr_stride64_b64 v[36:39], v92 offset0:1 offset1:2
	ds_load_2addr_stride64_b64 v[44:47], v92 offset0:3 offset1:4
	;; [unrolled: 1-line block ×3, first 2 shown]
	s_wait_dscnt 0x2
	v_pk_add_f32 v[36:37], v[42:43], v[36:37]
	s_delay_alu instid0(VALU_DEP_1) | instskip(SKIP_3) | instid1(VALU_DEP_1)
	v_pk_add_f32 v[42:43], v[36:37], v[38:39]
	ds_load_2addr_stride64_b64 v[36:39], v92 offset0:7 offset1:8
	s_wait_dscnt 0x2
	v_pk_add_f32 v[42:43], v[42:43], v[44:45]
	v_pk_add_f32 v[46:47], v[42:43], v[46:47]
	ds_load_2addr_stride64_b64 v[42:45], v92 offset0:9 offset1:10
	s_wait_dscnt 0x2
	v_pk_add_f32 v[46:47], v[46:47], v[98:99]
	s_delay_alu instid0(VALU_DEP_1) | instskip(SKIP_3) | instid1(VALU_DEP_1)
	v_pk_add_f32 v[46:47], v[46:47], v[100:101]
	ds_load_2addr_stride64_b64 v[98:101], v92 offset0:11 offset1:12
	s_wait_dscnt 0x2
	v_pk_add_f32 v[36:37], v[46:47], v[36:37]
	v_pk_add_f32 v[46:47], v[36:37], v[38:39]
	ds_load_2addr_stride64_b64 v[36:39], v92 offset0:13 offset1:14
	s_wait_dscnt 0x2
	v_pk_add_f32 v[42:43], v[46:47], v[42:43]
	s_delay_alu instid0(VALU_DEP_1) | instskip(SKIP_3) | instid1(VALU_DEP_1)
	v_pk_add_f32 v[42:43], v[42:43], v[44:45]
	ds_load_b64 v[44:45], v92 offset:7680
	s_wait_dscnt 0x2
	v_pk_add_f32 v[42:43], v[42:43], v[98:99]
	v_pk_add_f32 v[42:43], v[42:43], v[100:101]
	s_wait_dscnt 0x1
	s_delay_alu instid0(VALU_DEP_1) | instskip(NEXT) | instid1(VALU_DEP_1)
	v_pk_add_f32 v[36:37], v[42:43], v[36:37]
	v_pk_add_f32 v[36:37], v[36:37], v[38:39]
	s_wait_dscnt 0x0
	s_delay_alu instid0(VALU_DEP_1) | instskip(NEXT) | instid1(VALU_DEP_1)
	v_pk_add_f32 v[36:37], v[36:37], v[44:45]
	v_cndmask_b32_e64 v43, -v37, 0, s49
	s_delay_alu instid0(VALU_DEP_2)
	v_cndmask_b32_e64 v42, -v36, 0, s49
.LBB153_1019:                           ;   in Loop: Header=BB153_3 Depth=1
	s_or_b32 exec_lo, exec_lo, s51
	s_delay_alu instid0(SALU_CYCLE_1)
	s_and_not1_b32 vcc_lo, exec_lo, s88
	s_cbranch_vccnz .LBB153_1029
; %bb.1020:                             ;   in Loop: Header=BB153_3 Depth=1
	s_and_saveexec_b32 s51, s2
; %bb.1021:                             ;   in Loop: Header=BB153_3 Depth=1
	ds_store_b64 v94, v[42:43]
; %bb.1022:                             ;   in Loop: Header=BB153_3 Depth=1
	s_or_b32 exec_lo, exec_lo, s51
	v_mov_b64_e32 v[36:37], 0
	s_wait_dscnt 0x0
	s_barrier_signal -1
	s_barrier_wait -1
	s_and_saveexec_b32 s51, s6
	s_cbranch_execnz .LBB153_1069
; %bb.1023:                             ;   in Loop: Header=BB153_3 Depth=1
	s_or_b32 exec_lo, exec_lo, s51
	s_and_saveexec_b32 s51, s7
	s_cbranch_execnz .LBB153_1070
.LBB153_1024:                           ;   in Loop: Header=BB153_3 Depth=1
	s_or_b32 exec_lo, exec_lo, s51
	s_and_saveexec_b32 s51, s8
	s_cbranch_execnz .LBB153_1071
.LBB153_1025:                           ;   in Loop: Header=BB153_3 Depth=1
	s_or_b32 exec_lo, exec_lo, s51
	s_and_saveexec_b32 s51, s9
	s_cbranch_execz .LBB153_1027
.LBB153_1026:                           ;   in Loop: Header=BB153_3 Depth=1
	ds_load_b64 v[38:39], v93 offset:24576
	ds_load_b64 v[44:45], v81 offset:384
	s_wait_dscnt 0x0
	v_pk_mul_f32 v[46:47], v[44:45], v[38:39] op_sel:[1,1] op_sel_hi:[0,1]
	s_delay_alu instid0(VALU_DEP_1) | instskip(SKIP_1) | instid1(VALU_DEP_2)
	v_pk_fma_f32 v[98:99], v[44:45], v[38:39], v[46:47] op_sel_hi:[1,0,1]
	v_pk_fma_f32 v[38:39], v[44:45], v[38:39], v[46:47] neg_lo:[0,0,1] neg_hi:[0,0,1]
	v_mov_b32_e32 v39, v99
	s_delay_alu instid0(VALU_DEP_1)
	v_pk_add_f32 v[36:37], v[36:37], v[38:39]
.LBB153_1027:                           ;   in Loop: Header=BB153_3 Depth=1
	s_or_b32 exec_lo, exec_lo, s51
	s_mov_b32 s51, 0
	s_mov_b32 s82, 0
	ds_store_b64 v90, v[36:37]
	s_wait_dscnt 0x0
	s_barrier_signal -1
	s_barrier_wait -1
                                        ; implicit-def: $vgpr38_vgpr39
	s_and_saveexec_b32 s52, s2
	s_cbranch_execz .LBB153_1072
; %bb.1028:                             ;   in Loop: Header=BB153_3 Depth=1
	ds_load_2addr_stride64_b64 v[44:47], v92 offset0:1 offset1:2
	ds_load_2addr_stride64_b64 v[98:101], v92 offset0:3 offset1:4
	;; [unrolled: 1-line block ×3, first 2 shown]
	s_mov_b32 s82, exec_lo
	s_wait_dscnt 0x2
	v_pk_add_f32 v[36:37], v[36:37], v[44:45]
	s_delay_alu instid0(VALU_DEP_1) | instskip(SKIP_3) | instid1(VALU_DEP_1)
	v_pk_add_f32 v[44:45], v[36:37], v[46:47]
	ds_load_2addr_stride64_b64 v[36:39], v92 offset0:7 offset1:8
	s_wait_dscnt 0x2
	v_pk_add_f32 v[44:45], v[44:45], v[98:99]
	v_pk_add_f32 v[98:99], v[44:45], v[100:101]
	ds_load_2addr_stride64_b64 v[44:47], v92 offset0:9 offset1:10
	s_wait_dscnt 0x2
	v_pk_add_f32 v[98:99], v[98:99], v[102:103]
	s_delay_alu instid0(VALU_DEP_1) | instskip(SKIP_3) | instid1(VALU_DEP_1)
	v_pk_add_f32 v[102:103], v[98:99], v[104:105]
	ds_load_2addr_stride64_b64 v[98:101], v92 offset0:11 offset1:12
	s_wait_dscnt 0x2
	v_pk_add_f32 v[36:37], v[102:103], v[36:37]
	v_pk_add_f32 v[36:37], v[36:37], v[38:39]
	s_wait_dscnt 0x1
	s_delay_alu instid0(VALU_DEP_1)
	v_pk_add_f32 v[44:45], v[36:37], v[44:45]
	ds_load_2addr_stride64_b64 v[36:39], v92 offset0:13 offset1:14
	v_pk_add_f32 v[44:45], v[44:45], v[46:47]
	ds_load_b64 v[46:47], v92 offset:7680
	s_wait_dscnt 0x2
	v_pk_add_f32 v[44:45], v[44:45], v[98:99]
	s_delay_alu instid0(VALU_DEP_1) | instskip(SKIP_1) | instid1(VALU_DEP_1)
	v_pk_add_f32 v[44:45], v[44:45], v[100:101]
	s_wait_dscnt 0x1
	v_pk_add_f32 v[36:37], v[44:45], v[36:37]
	s_delay_alu instid0(VALU_DEP_1) | instskip(SKIP_1) | instid1(VALU_DEP_1)
	v_pk_add_f32 v[36:37], v[36:37], v[38:39]
	s_wait_dscnt 0x0
	v_pk_add_f32 v[38:39], v[36:37], v[46:47]
	s_or_b32 exec_lo, exec_lo, s52
	s_delay_alu instid0(SALU_CYCLE_1)
	s_and_b32 vcc_lo, exec_lo, s51
	s_cbranch_vccnz .LBB153_1030
	s_branch .LBB153_1073
.LBB153_1029:                           ;   in Loop: Header=BB153_3 Depth=1
	s_mov_b32 s82, 0
                                        ; implicit-def: $vgpr38_vgpr39
	s_cbranch_execz .LBB153_1073
.LBB153_1030:                           ;   in Loop: Header=BB153_3 Depth=1
	v_dual_mov_b32 v36, v97 :: v_dual_mov_b32 v37, v95
	s_mov_b32 s51, 63
	s_branch .LBB153_1032
.LBB153_1031:                           ;   in Loop: Header=BB153_1032 Depth=2
	s_or_b32 exec_lo, exec_lo, s52
	v_add_nc_u32_e32 v37, 0xfffff800, v37
	v_add_nc_u32_e32 v36, 4, v36
	s_add_co_i32 s51, s51, -4
	s_cmp_lg_u32 s83, 0
	s_barrier_signal -1
	s_barrier_wait -1
	s_cbranch_scc0 .LBB153_1048
.LBB153_1032:                           ;   Parent Loop BB153_3 Depth=1
                                        ; =>  This Inner Loop Header: Depth=2
	s_delay_alu instid0(VALU_DEP_1) | instskip(SKIP_1) | instid1(SALU_CYCLE_1)
	v_cmp_eq_u32_e32 vcc_lo, 0, v36
	s_and_b32 s53, s2, vcc_lo
	s_and_saveexec_b32 s52, s53
; %bb.1033:                             ;   in Loop: Header=BB153_1032 Depth=2
	ds_store_b64 v3, v[42:43] offset:41472
; %bb.1034:                             ;   in Loop: Header=BB153_1032 Depth=2
	s_or_b32 exec_lo, exec_lo, s52
	v_cmp_gt_u32_e32 vcc_lo, s51, v4
	s_wait_dscnt 0x0
	s_barrier_signal -1
	s_barrier_wait -1
	s_and_b32 s53, s2, vcc_lo
	s_delay_alu instid0(SALU_CYCLE_1)
	s_and_saveexec_b32 s52, s53
	s_cbranch_execz .LBB153_1036
; %bb.1035:                             ;   in Loop: Header=BB153_1032 Depth=2
	ds_load_b64 v[38:39], v37 offset:1536
	ds_load_b64 v[44:45], v3 offset:41472
	s_wait_dscnt 0x0
	v_pk_mul_f32 v[46:47], v[44:45], v[38:39] op_sel:[1,1] op_sel_hi:[0,1]
	s_delay_alu instid0(VALU_DEP_1) | instskip(SKIP_1) | instid1(VALU_DEP_2)
	v_pk_fma_f32 v[98:99], v[44:45], v[38:39], v[46:47] op_sel_hi:[1,0,1]
	v_pk_fma_f32 v[38:39], v[44:45], v[38:39], v[46:47] neg_lo:[0,0,1] neg_hi:[0,0,1]
	v_mov_b32_e32 v39, v99
	s_delay_alu instid0(VALU_DEP_1)
	v_pk_add_f32 v[42:43], v[42:43], v[38:39]
.LBB153_1036:                           ;   in Loop: Header=BB153_1032 Depth=2
	s_or_b32 exec_lo, exec_lo, s52
	s_add_co_i32 s52, s51, -1
	s_delay_alu instid0(SALU_CYCLE_1) | instskip(SKIP_3) | instid1(SALU_CYCLE_1)
	v_cmp_eq_u32_e32 vcc_lo, s52, v4
	s_barrier_signal -1
	s_barrier_wait -1
	s_and_b32 s54, s2, vcc_lo
	s_and_saveexec_b32 s53, s54
; %bb.1037:                             ;   in Loop: Header=BB153_1032 Depth=2
	ds_store_b64 v3, v[42:43] offset:41472
; %bb.1038:                             ;   in Loop: Header=BB153_1032 Depth=2
	s_or_b32 exec_lo, exec_lo, s53
	v_cmp_gt_u32_e32 vcc_lo, s52, v4
	s_wait_dscnt 0x0
	s_barrier_signal -1
	s_barrier_wait -1
	s_and_b32 s53, s2, vcc_lo
	s_delay_alu instid0(SALU_CYCLE_1)
	s_and_saveexec_b32 s52, s53
	s_cbranch_execz .LBB153_1040
; %bb.1039:                             ;   in Loop: Header=BB153_1032 Depth=2
	ds_load_b64 v[38:39], v37 offset:1024
	ds_load_b64 v[44:45], v3 offset:41472
	s_wait_dscnt 0x0
	v_pk_mul_f32 v[46:47], v[44:45], v[38:39] op_sel:[1,1] op_sel_hi:[0,1]
	s_delay_alu instid0(VALU_DEP_1) | instskip(SKIP_1) | instid1(VALU_DEP_2)
	v_pk_fma_f32 v[98:99], v[44:45], v[38:39], v[46:47] op_sel_hi:[1,0,1]
	v_pk_fma_f32 v[38:39], v[44:45], v[38:39], v[46:47] neg_lo:[0,0,1] neg_hi:[0,0,1]
	v_mov_b32_e32 v39, v99
	s_delay_alu instid0(VALU_DEP_1)
	v_pk_add_f32 v[42:43], v[42:43], v[38:39]
.LBB153_1040:                           ;   in Loop: Header=BB153_1032 Depth=2
	s_or_b32 exec_lo, exec_lo, s52
	s_add_co_i32 s52, s51, -2
	s_delay_alu instid0(SALU_CYCLE_1) | instskip(SKIP_3) | instid1(SALU_CYCLE_1)
	v_cmp_eq_u32_e32 vcc_lo, s52, v4
	s_barrier_signal -1
	s_barrier_wait -1
	;; [unrolled: 32-line block ×3, first 2 shown]
	s_and_b32 s53, s2, vcc_lo
	s_and_saveexec_b32 s52, s53
; %bb.1045:                             ;   in Loop: Header=BB153_1032 Depth=2
	ds_store_b64 v3, v[42:43] offset:41472
; %bb.1046:                             ;   in Loop: Header=BB153_1032 Depth=2
	s_or_b32 exec_lo, exec_lo, s52
	v_cmp_gt_u32_e32 vcc_lo, s83, v4
	s_wait_dscnt 0x0
	s_barrier_signal -1
	s_barrier_wait -1
	s_and_b32 s53, s2, vcc_lo
	s_delay_alu instid0(SALU_CYCLE_1)
	s_and_saveexec_b32 s52, s53
	s_cbranch_execz .LBB153_1031
; %bb.1047:                             ;   in Loop: Header=BB153_1032 Depth=2
	ds_load_b64 v[38:39], v37
	ds_load_b64 v[44:45], v3 offset:41472
	s_wait_dscnt 0x0
	v_pk_mul_f32 v[46:47], v[44:45], v[38:39] op_sel:[1,1] op_sel_hi:[0,1]
	s_delay_alu instid0(VALU_DEP_1) | instskip(SKIP_1) | instid1(VALU_DEP_2)
	v_pk_fma_f32 v[98:99], v[44:45], v[38:39], v[46:47] op_sel_hi:[1,0,1]
	v_pk_fma_f32 v[38:39], v[44:45], v[38:39], v[46:47] neg_lo:[0,0,1] neg_hi:[0,0,1]
	v_mov_b32_e32 v39, v99
	s_delay_alu instid0(VALU_DEP_1)
	v_pk_add_f32 v[42:43], v[42:43], v[38:39]
	s_branch .LBB153_1031
.LBB153_1048:                           ;   in Loop: Header=BB153_3 Depth=1
	s_and_b32 vcc_lo, exec_lo, s86
	s_mov_b32 s51, -1
	s_cbranch_vccnz .LBB153_1074
; %bb.1049:                             ;   in Loop: Header=BB153_3 Depth=1
	s_and_not1_b32 vcc_lo, exec_lo, s51
	s_cbranch_vccz .LBB153_1075
.LBB153_1050:                           ;   in Loop: Header=BB153_3 Depth=1
	s_and_saveexec_b32 s51, s82
	s_cbranch_execz .LBB153_1052
.LBB153_1051:                           ;   in Loop: Header=BB153_3 Depth=1
	v_lshl_add_u64 v[36:37], v[22:23], 3, v[40:41]
	flat_store_b64 v[36:37], v[42:43]
.LBB153_1052:                           ;   in Loop: Header=BB153_3 Depth=1
	s_wait_xcnt 0x0
	s_or_b32 exec_lo, exec_lo, s51
	global_wb scope:SCOPE_DEV
	s_wait_storecnt_dscnt 0x0
	global_inv scope:SCOPE_DEV
	s_wait_loadcnt 0x0
	s_barrier_signal -1
	s_barrier_wait -1
	s_and_saveexec_b32 s51, s35
	s_cbranch_execz .LBB153_2
; %bb.1053:                             ;   in Loop: Header=BB153_3 Depth=1
	s_lshl_b64 s[52:53], s[62:63], 2
	s_delay_alu instid0(SALU_CYCLE_1)
	s_add_nc_u64 s[52:53], s[78:79], s[52:53]
	global_load_b32 v36, v3, s[52:53]
	s_wait_loadcnt 0x0
	v_add_nc_u32_e32 v36, 1, v36
	global_store_b32 v3, v36, s[52:53]
	s_branch .LBB153_2
.LBB153_1054:                           ;   in Loop: Header=BB153_3 Depth=1
	s_mov_b32 s52, exec_lo
	v_readlane_b32 s53, v107, 22
	s_and_b32 s53, s52, s53
	s_delay_alu instid0(SALU_CYCLE_1)
	s_mov_b32 exec_lo, s53
; %bb.1055:                             ;   in Loop: Header=BB153_3 Depth=1
	ds_store_b64 v86, v[24:25]
; %bb.1056:                             ;   in Loop: Header=BB153_3 Depth=1
	s_or_b32 exec_lo, exec_lo, s52
	s_and_not1_saveexec_b32 s51, s51
	s_cbranch_execz .LBB153_16
.LBB153_1057:                           ;   in Loop: Header=BB153_3 Depth=1
	v_lshl_add_u64 v[44:45], v[0:1], 3, v[42:43]
	flat_load_b64 v[44:45], v[44:45]
	s_wait_loadcnt_dscnt 0x0
	v_xor_b32_e32 v44, 0x80000000, v44
	ds_store_b64 v86, v[44:45]
	s_or_b32 exec_lo, exec_lo, s51
	s_and_saveexec_b32 s51, s7
	s_delay_alu instid0(SALU_CYCLE_1)
	s_xor_b32 s51, exec_lo, s51
	s_cbranch_execz .LBB153_17
.LBB153_1058:                           ;   in Loop: Header=BB153_3 Depth=1
	s_mov_b32 s52, exec_lo
	v_readlane_b32 s53, v107, 23
	s_and_b32 s53, s52, s53
	s_delay_alu instid0(SALU_CYCLE_1)
	s_mov_b32 exec_lo, s53
; %bb.1059:                             ;   in Loop: Header=BB153_3 Depth=1
	ds_store_b64 v87, v[24:25]
; %bb.1060:                             ;   in Loop: Header=BB153_3 Depth=1
	s_or_b32 exec_lo, exec_lo, s52
	s_and_not1_saveexec_b32 s51, s51
	s_cbranch_execz .LBB153_18
.LBB153_1061:                           ;   in Loop: Header=BB153_3 Depth=1
	v_lshl_add_u64 v[44:45], v[14:15], 3, v[42:43]
	flat_load_b64 v[44:45], v[44:45]
	s_wait_loadcnt_dscnt 0x0
	v_xor_b32_e32 v44, 0x80000000, v44
	ds_store_b64 v87, v[44:45]
	s_or_b32 exec_lo, exec_lo, s51
	s_and_saveexec_b32 s51, s8
	s_delay_alu instid0(SALU_CYCLE_1)
	s_xor_b32 s51, exec_lo, s51
	s_cbranch_execz .LBB153_19
.LBB153_1062:                           ;   in Loop: Header=BB153_3 Depth=1
	s_mov_b32 s52, exec_lo
	v_readlane_b32 s53, v107, 24
	s_and_b32 s53, s52, s53
	s_delay_alu instid0(SALU_CYCLE_1)
	s_mov_b32 exec_lo, s53
; %bb.1063:                             ;   in Loop: Header=BB153_3 Depth=1
	ds_store_b64 v88, v[24:25]
; %bb.1064:                             ;   in Loop: Header=BB153_3 Depth=1
	s_or_b32 exec_lo, exec_lo, s52
	s_and_not1_saveexec_b32 s51, s51
	s_cbranch_execz .LBB153_20
.LBB153_1065:                           ;   in Loop: Header=BB153_3 Depth=1
	v_lshl_add_u64 v[44:45], v[16:17], 3, v[42:43]
	flat_load_b64 v[44:45], v[44:45]
	s_wait_loadcnt_dscnt 0x0
	v_xor_b32_e32 v44, 0x80000000, v44
	ds_store_b64 v88, v[44:45]
	s_or_b32 exec_lo, exec_lo, s51
	s_and_saveexec_b32 s51, s9
	s_delay_alu instid0(SALU_CYCLE_1)
	s_xor_b32 s51, exec_lo, s51
	s_cbranch_execz .LBB153_21
.LBB153_1066:                           ;   in Loop: Header=BB153_3 Depth=1
	s_mov_b32 s52, exec_lo
	v_readlane_b32 s53, v106, 6
	s_and_b32 s53, s52, s53
	s_delay_alu instid0(SALU_CYCLE_1)
	s_mov_b32 exec_lo, s53
; %bb.1067:                             ;   in Loop: Header=BB153_3 Depth=1
	ds_store_b64 v89, v[24:25]
; %bb.1068:                             ;   in Loop: Header=BB153_3 Depth=1
	s_or_b32 exec_lo, exec_lo, s52
	s_and_not1_saveexec_b32 s51, s51
	s_cbranch_execnz .LBB153_22
	s_branch .LBB153_23
.LBB153_1069:                           ;   in Loop: Header=BB153_3 Depth=1
	ds_load_b64 v[36:37], v93
	ds_load_b64 v[38:39], v81
	s_wait_dscnt 0x0
	v_dual_mul_f32 v44, v39, v37 :: v_dual_mul_f32 v37, v38, v37
	s_delay_alu instid0(VALU_DEP_1) | instskip(NEXT) | instid1(VALU_DEP_1)
	v_dual_fma_f32 v38, v38, v36, -v44 :: v_dual_fmac_f32 v37, v39, v36
	v_dual_add_f32 v36, 0, v38 :: v_dual_add_f32 v37, 0, v37
	s_or_b32 exec_lo, exec_lo, s51
	s_and_saveexec_b32 s51, s7
	s_cbranch_execz .LBB153_1024
.LBB153_1070:                           ;   in Loop: Header=BB153_3 Depth=1
	ds_load_b64 v[38:39], v93 offset:8192
	ds_load_b64 v[44:45], v81 offset:128
	s_wait_dscnt 0x0
	v_dual_mul_f32 v46, v45, v39 :: v_dual_mul_f32 v47, v44, v39
	s_delay_alu instid0(VALU_DEP_1) | instskip(NEXT) | instid1(VALU_DEP_1)
	v_dual_fma_f32 v46, v44, v38, -v46 :: v_dual_fmac_f32 v47, v45, v38
	v_pk_add_f32 v[36:37], v[36:37], v[46:47]
	s_or_b32 exec_lo, exec_lo, s51
	s_and_saveexec_b32 s51, s8
	s_cbranch_execz .LBB153_1025
.LBB153_1071:                           ;   in Loop: Header=BB153_3 Depth=1
	ds_load_b64 v[38:39], v93 offset:16384
	ds_load_b64 v[44:45], v81 offset:256
	s_wait_dscnt 0x0
	v_pk_mul_f32 v[46:47], v[44:45], v[38:39] op_sel:[1,1] op_sel_hi:[0,1]
	s_delay_alu instid0(VALU_DEP_1) | instskip(SKIP_1) | instid1(VALU_DEP_2)
	v_pk_fma_f32 v[98:99], v[44:45], v[38:39], v[46:47] op_sel_hi:[1,0,1]
	v_pk_fma_f32 v[38:39], v[44:45], v[38:39], v[46:47] neg_lo:[0,0,1] neg_hi:[0,0,1]
	v_mov_b32_e32 v39, v99
	s_delay_alu instid0(VALU_DEP_1)
	v_pk_add_f32 v[36:37], v[36:37], v[38:39]
	s_or_b32 exec_lo, exec_lo, s51
	s_and_saveexec_b32 s51, s9
	s_cbranch_execnz .LBB153_1026
	s_branch .LBB153_1027
.LBB153_1072:                           ;   in Loop: Header=BB153_3 Depth=1
	s_or_b32 exec_lo, exec_lo, s52
	s_delay_alu instid0(SALU_CYCLE_1)
	s_and_b32 vcc_lo, exec_lo, s51
	s_cbranch_vccnz .LBB153_1030
.LBB153_1073:                           ;   in Loop: Header=BB153_3 Depth=1
	v_mov_b64_e32 v[42:43], v[38:39]
	s_and_saveexec_b32 s51, s82
	s_cbranch_execnz .LBB153_1051
	s_branch .LBB153_1052
.LBB153_1074:                           ;   in Loop: Header=BB153_3 Depth=1
	s_and_not1_b32 s52, s82, exec_lo
	s_and_b32 s53, s2, exec_lo
	s_delay_alu instid0(SALU_CYCLE_1)
	s_or_b32 s82, s52, s53
	s_cbranch_execnz .LBB153_1050
.LBB153_1075:                           ;   in Loop: Header=BB153_3 Depth=1
	v_readlane_b32 s52, v107, 13
	s_and_not1_b32 s51, s82, exec_lo
	s_and_b32 s52, s52, exec_lo
	s_delay_alu instid0(SALU_CYCLE_1) | instskip(NEXT) | instid1(SALU_CYCLE_1)
	s_or_b32 s82, s51, s52
	s_and_saveexec_b32 s51, s82
	s_cbranch_execnz .LBB153_1051
	s_branch .LBB153_1052
.LBB153_1076:                           ;   in Loop: Header=BB153_3 Depth=1
	ds_load_b64 v[44:45], v57 offset:544
	ds_load_b64 v[46:47], v52 offset:8
	s_wait_dscnt 0x0
	v_dual_mul_f32 v48, v47, v45 :: v_dual_mul_f32 v45, v46, v45
	s_delay_alu instid0(VALU_DEP_1) | instskip(NEXT) | instid1(VALU_DEP_1)
	v_dual_fma_f32 v46, v46, v44, -v48 :: v_dual_fmac_f32 v45, v47, v44
	v_dual_add_f32 v42, v42, v46 :: v_dual_add_f32 v43, v43, v45
	s_or_b32 exec_lo, exec_lo, s52
	s_and_saveexec_b32 s52, s16
	s_cbranch_execz .LBB153_72
.LBB153_1077:                           ;   in Loop: Header=BB153_3 Depth=1
	ds_load_b64 v[44:45], v56 offset:1056
	ds_load_b64 v[46:47], v52 offset:16
	s_wait_dscnt 0x0
	v_dual_mul_f32 v48, v47, v45 :: v_dual_mul_f32 v45, v46, v45
	s_delay_alu instid0(VALU_DEP_1) | instskip(NEXT) | instid1(VALU_DEP_1)
	v_dual_fma_f32 v46, v46, v44, -v48 :: v_dual_fmac_f32 v45, v47, v44
	v_dual_add_f32 v42, v42, v46 :: v_dual_add_f32 v43, v43, v45
	s_or_b32 exec_lo, exec_lo, s52
	s_and_saveexec_b32 s52, s1
	s_cbranch_execnz .LBB153_73
	s_branch .LBB153_74
.LBB153_1078:                           ;   in Loop: Header=BB153_3 Depth=1
	ds_load_b64 v[44:45], v66 offset:576
	ds_load_b64 v[46:47], v60 offset:8
	s_wait_dscnt 0x0
	v_dual_mul_f32 v48, v47, v45 :: v_dual_mul_f32 v45, v46, v45
	s_delay_alu instid0(VALU_DEP_1) | instskip(NEXT) | instid1(VALU_DEP_1)
	v_dual_fma_f32 v46, v46, v44, -v48 :: v_dual_fmac_f32 v45, v47, v44
	v_dual_add_f32 v42, v42, v46 :: v_dual_add_f32 v43, v43, v45
	s_or_b32 exec_lo, exec_lo, s52
	s_and_saveexec_b32 s52, s18
	s_cbranch_execz .LBB153_114
.LBB153_1079:                           ;   in Loop: Header=BB153_3 Depth=1
	ds_load_b64 v[44:45], v66 offset:1088
	ds_load_b64 v[46:47], v60 offset:16
	s_wait_dscnt 0x0
	v_dual_mul_f32 v48, v47, v45 :: v_dual_mul_f32 v45, v46, v45
	s_delay_alu instid0(VALU_DEP_1) | instskip(NEXT) | instid1(VALU_DEP_1)
	v_dual_fma_f32 v46, v46, v44, -v48 :: v_dual_fmac_f32 v45, v47, v44
	v_dual_add_f32 v42, v42, v46 :: v_dual_add_f32 v43, v43, v45
	s_or_b32 exec_lo, exec_lo, s52
	s_and_saveexec_b32 s52, s19
	s_cbranch_execz .LBB153_115
.LBB153_1080:                           ;   in Loop: Header=BB153_3 Depth=1
	ds_load_b64 v[44:45], v66 offset:1600
	ds_load_b64 v[46:47], v60 offset:24
	s_wait_dscnt 0x0
	v_dual_mul_f32 v48, v47, v45 :: v_dual_mul_f32 v45, v46, v45
	s_delay_alu instid0(VALU_DEP_1) | instskip(NEXT) | instid1(VALU_DEP_1)
	v_dual_fma_f32 v46, v46, v44, -v48 :: v_dual_fmac_f32 v45, v47, v44
	v_dual_add_f32 v42, v42, v46 :: v_dual_add_f32 v43, v43, v45
	s_or_b32 exec_lo, exec_lo, s52
	s_and_saveexec_b32 s52, s20
	s_cbranch_execz .LBB153_116
.LBB153_1081:                           ;   in Loop: Header=BB153_3 Depth=1
	ds_load_b64 v[44:45], v65 offset:2112
	ds_load_b64 v[46:47], v60 offset:32
	s_wait_dscnt 0x0
	v_dual_mul_f32 v48, v47, v45 :: v_dual_mul_f32 v45, v46, v45
	s_delay_alu instid0(VALU_DEP_1) | instskip(NEXT) | instid1(VALU_DEP_1)
	v_dual_fma_f32 v46, v46, v44, -v48 :: v_dual_fmac_f32 v45, v47, v44
	v_dual_add_f32 v42, v42, v46 :: v_dual_add_f32 v43, v43, v45
	s_or_b32 exec_lo, exec_lo, s52
	s_and_saveexec_b32 s52, s21
	s_cbranch_execz .LBB153_117
.LBB153_1082:                           ;   in Loop: Header=BB153_3 Depth=1
	ds_load_b64 v[44:45], v66 offset:2624
	ds_load_b64 v[46:47], v60 offset:40
	s_wait_dscnt 0x0
	v_dual_mul_f32 v48, v47, v45 :: v_dual_mul_f32 v99, v46, v45
	s_delay_alu instid0(VALU_DEP_1) | instskip(NEXT) | instid1(VALU_DEP_1)
	v_dual_fma_f32 v98, v46, v44, -v48 :: v_dual_fmac_f32 v99, v47, v44
	v_pk_add_f32 v[42:43], v[42:43], v[98:99]
	s_or_b32 exec_lo, exec_lo, s52
	s_and_saveexec_b32 s52, s3
	s_cbranch_execz .LBB153_118
.LBB153_1083:                           ;   in Loop: Header=BB153_3 Depth=1
	ds_load_b64 v[44:45], v65 offset:3136
	ds_load_b64 v[46:47], v60 offset:48
	s_wait_dscnt 0x0
	v_pk_mul_f32 v[98:99], v[46:47], v[44:45] op_sel:[1,1] op_sel_hi:[0,1]
	s_delay_alu instid0(VALU_DEP_1) | instskip(SKIP_1) | instid1(VALU_DEP_2)
	v_pk_fma_f32 v[100:101], v[46:47], v[44:45], v[98:99] op_sel_hi:[1,0,1]
	v_pk_fma_f32 v[44:45], v[46:47], v[44:45], v[98:99] neg_lo:[0,0,1] neg_hi:[0,0,1]
	v_mov_b32_e32 v45, v101
	s_delay_alu instid0(VALU_DEP_1)
	v_pk_add_f32 v[42:43], v[42:43], v[44:45]
	s_or_b32 exec_lo, exec_lo, s52
	s_and_saveexec_b32 s52, s16
	s_cbranch_execnz .LBB153_119
	s_branch .LBB153_120
.LBB153_1084:                           ;   in Loop: Header=BB153_3 Depth=1
	ds_load_b64 v[44:45], v57 offset:4704
	ds_load_b64 v[46:47], v52 offset:4168
	s_wait_dscnt 0x0
	v_dual_mul_f32 v48, v47, v45 :: v_dual_mul_f32 v45, v46, v45
	s_delay_alu instid0(VALU_DEP_1) | instskip(NEXT) | instid1(VALU_DEP_1)
	v_dual_fma_f32 v46, v46, v44, -v48 :: v_dual_fmac_f32 v45, v47, v44
	v_dual_add_f32 v42, v42, v46 :: v_dual_add_f32 v43, v43, v45
	s_or_b32 exec_lo, exec_lo, s52
	s_and_saveexec_b32 s52, s16
	s_cbranch_execz .LBB153_176
.LBB153_1085:                           ;   in Loop: Header=BB153_3 Depth=1
	ds_load_b64 v[44:45], v56 offset:5216
	ds_load_b64 v[46:47], v52 offset:4176
	s_wait_dscnt 0x0
	v_dual_mul_f32 v48, v47, v45 :: v_dual_mul_f32 v45, v46, v45
	s_delay_alu instid0(VALU_DEP_1) | instskip(NEXT) | instid1(VALU_DEP_1)
	v_dual_fma_f32 v46, v46, v44, -v48 :: v_dual_fmac_f32 v45, v47, v44
	v_dual_add_f32 v42, v42, v46 :: v_dual_add_f32 v43, v43, v45
	s_or_b32 exec_lo, exec_lo, s52
	s_and_saveexec_b32 s52, s1
	s_cbranch_execnz .LBB153_177
	s_branch .LBB153_178
.LBB153_1086:                           ;   in Loop: Header=BB153_3 Depth=1
	ds_load_b64 v[44:45], v76 offset:5760
	ds_load_b64 v[46:47], v71 offset:88
	s_wait_dscnt 0x0
	v_dual_mul_f32 v48, v47, v45 :: v_dual_mul_f32 v45, v46, v45
	s_delay_alu instid0(VALU_DEP_1) | instskip(NEXT) | instid1(VALU_DEP_1)
	v_dual_fma_f32 v46, v46, v44, -v48 :: v_dual_fmac_f32 v45, v47, v44
	v_dual_add_f32 v42, v42, v46 :: v_dual_add_f32 v43, v43, v45
	s_or_b32 exec_lo, exec_lo, s51
	s_and_saveexec_b32 s51, s4
	s_cbranch_execz .LBB153_238
.LBB153_1087:                           ;   in Loop: Header=BB153_3 Depth=1
	ds_load_b64 v[44:45], v75 offset:6272
	ds_load_b64 v[46:47], v71 offset:96
	s_wait_dscnt 0x0
	v_dual_mul_f32 v48, v47, v45 :: v_dual_mul_f32 v45, v46, v45
	s_delay_alu instid0(VALU_DEP_1) | instskip(NEXT) | instid1(VALU_DEP_1)
	v_dual_fma_f32 v46, v46, v44, -v48 :: v_dual_fmac_f32 v45, v47, v44
	v_dual_add_f32 v42, v42, v46 :: v_dual_add_f32 v43, v43, v45
	s_or_b32 exec_lo, exec_lo, s51
	s_and_saveexec_b32 s51, s18
	s_cbranch_execz .LBB153_239
.LBB153_1088:                           ;   in Loop: Header=BB153_3 Depth=1
	ds_load_b64 v[44:45], v76 offset:6784
	ds_load_b64 v[46:47], v71 offset:104
	s_wait_dscnt 0x0
	v_dual_mul_f32 v48, v47, v45 :: v_dual_mul_f32 v45, v46, v45
	s_delay_alu instid0(VALU_DEP_1) | instskip(NEXT) | instid1(VALU_DEP_1)
	v_dual_fma_f32 v46, v46, v44, -v48 :: v_dual_fmac_f32 v45, v47, v44
	v_dual_add_f32 v42, v42, v46 :: v_dual_add_f32 v43, v43, v45
	s_or_b32 exec_lo, exec_lo, s51
	s_and_saveexec_b32 s51, s20
	s_cbranch_execz .LBB153_240
.LBB153_1089:                           ;   in Loop: Header=BB153_3 Depth=1
	ds_load_b64 v[44:45], v75 offset:7296
	ds_load_b64 v[46:47], v71 offset:112
	s_wait_dscnt 0x0
	v_dual_mul_f32 v48, v47, v45 :: v_dual_mul_f32 v45, v46, v45
	s_delay_alu instid0(VALU_DEP_1) | instskip(NEXT) | instid1(VALU_DEP_1)
	v_dual_fma_f32 v46, v46, v44, -v48 :: v_dual_fmac_f32 v45, v47, v44
	v_dual_add_f32 v42, v42, v46 :: v_dual_add_f32 v43, v43, v45
	s_or_b32 exec_lo, exec_lo, s51
	s_and_saveexec_b32 s51, s3
	s_cbranch_execnz .LBB153_241
	s_branch .LBB153_242
.LBB153_1090:                           ;   in Loop: Header=BB153_3 Depth=1
	ds_load_b64 v[44:45], v57 offset:8864
	ds_load_b64 v[46:47], v52 offset:8328
	s_wait_dscnt 0x0
	v_dual_mul_f32 v48, v47, v45 :: v_dual_mul_f32 v45, v46, v45
	s_delay_alu instid0(VALU_DEP_1) | instskip(NEXT) | instid1(VALU_DEP_1)
	v_dual_fma_f32 v46, v46, v44, -v48 :: v_dual_fmac_f32 v45, v47, v44
	v_dual_add_f32 v42, v42, v46 :: v_dual_add_f32 v43, v43, v45
	s_or_b32 exec_lo, exec_lo, s52
	s_and_saveexec_b32 s52, s16
	s_cbranch_execz .LBB153_330
.LBB153_1091:                           ;   in Loop: Header=BB153_3 Depth=1
	ds_load_b64 v[44:45], v56 offset:9376
	ds_load_b64 v[46:47], v52 offset:8336
	s_wait_dscnt 0x0
	v_dual_mul_f32 v48, v47, v45 :: v_dual_mul_f32 v45, v46, v45
	s_delay_alu instid0(VALU_DEP_1) | instskip(NEXT) | instid1(VALU_DEP_1)
	v_dual_fma_f32 v46, v46, v44, -v48 :: v_dual_fmac_f32 v45, v47, v44
	v_dual_add_f32 v42, v42, v46 :: v_dual_add_f32 v43, v43, v45
	s_or_b32 exec_lo, exec_lo, s52
	s_and_saveexec_b32 s52, s1
	s_cbranch_execnz .LBB153_331
	s_branch .LBB153_332
.LBB153_1092:                           ;   in Loop: Header=BB153_3 Depth=1
	ds_load_b64 v[44:45], v66 offset:8896
	ds_load_b64 v[46:47], v60 offset:8328
	s_wait_dscnt 0x0
	v_dual_mul_f32 v48, v47, v45 :: v_dual_mul_f32 v45, v46, v45
	s_delay_alu instid0(VALU_DEP_1) | instskip(NEXT) | instid1(VALU_DEP_1)
	v_dual_fma_f32 v46, v46, v44, -v48 :: v_dual_fmac_f32 v45, v47, v44
	v_dual_add_f32 v42, v42, v46 :: v_dual_add_f32 v43, v43, v45
	s_or_b32 exec_lo, exec_lo, s52
	s_and_saveexec_b32 s52, s18
	s_cbranch_execz .LBB153_372
.LBB153_1093:                           ;   in Loop: Header=BB153_3 Depth=1
	ds_load_b64 v[44:45], v66 offset:9408
	ds_load_b64 v[46:47], v60 offset:8336
	s_wait_dscnt 0x0
	v_dual_mul_f32 v48, v47, v45 :: v_dual_mul_f32 v45, v46, v45
	s_delay_alu instid0(VALU_DEP_1) | instskip(NEXT) | instid1(VALU_DEP_1)
	v_dual_fma_f32 v46, v46, v44, -v48 :: v_dual_fmac_f32 v45, v47, v44
	v_dual_add_f32 v42, v42, v46 :: v_dual_add_f32 v43, v43, v45
	s_or_b32 exec_lo, exec_lo, s52
	s_and_saveexec_b32 s52, s19
	s_cbranch_execz .LBB153_373
.LBB153_1094:                           ;   in Loop: Header=BB153_3 Depth=1
	ds_load_b64 v[44:45], v66 offset:9920
	ds_load_b64 v[46:47], v60 offset:8344
	s_wait_dscnt 0x0
	v_dual_mul_f32 v48, v47, v45 :: v_dual_mul_f32 v45, v46, v45
	s_delay_alu instid0(VALU_DEP_1) | instskip(NEXT) | instid1(VALU_DEP_1)
	v_dual_fma_f32 v46, v46, v44, -v48 :: v_dual_fmac_f32 v45, v47, v44
	v_dual_add_f32 v42, v42, v46 :: v_dual_add_f32 v43, v43, v45
	s_or_b32 exec_lo, exec_lo, s52
	s_and_saveexec_b32 s52, s20
	s_cbranch_execz .LBB153_374
.LBB153_1095:                           ;   in Loop: Header=BB153_3 Depth=1
	ds_load_b64 v[44:45], v65 offset:10432
	ds_load_b64 v[46:47], v60 offset:8352
	s_wait_dscnt 0x0
	v_dual_mul_f32 v48, v47, v45 :: v_dual_mul_f32 v45, v46, v45
	s_delay_alu instid0(VALU_DEP_1) | instskip(NEXT) | instid1(VALU_DEP_1)
	v_dual_fma_f32 v46, v46, v44, -v48 :: v_dual_fmac_f32 v45, v47, v44
	v_dual_add_f32 v42, v42, v46 :: v_dual_add_f32 v43, v43, v45
	s_or_b32 exec_lo, exec_lo, s52
	s_and_saveexec_b32 s52, s21
	s_cbranch_execz .LBB153_375
.LBB153_1096:                           ;   in Loop: Header=BB153_3 Depth=1
	ds_load_b64 v[44:45], v66 offset:10944
	ds_load_b64 v[46:47], v60 offset:8360
	s_wait_dscnt 0x0
	v_dual_mul_f32 v48, v47, v45 :: v_dual_mul_f32 v99, v46, v45
	s_delay_alu instid0(VALU_DEP_1) | instskip(NEXT) | instid1(VALU_DEP_1)
	v_dual_fma_f32 v98, v46, v44, -v48 :: v_dual_fmac_f32 v99, v47, v44
	v_pk_add_f32 v[42:43], v[42:43], v[98:99]
	s_or_b32 exec_lo, exec_lo, s52
	s_and_saveexec_b32 s52, s3
	s_cbranch_execz .LBB153_376
.LBB153_1097:                           ;   in Loop: Header=BB153_3 Depth=1
	ds_load_b64 v[44:45], v65 offset:11456
	ds_load_b64 v[46:47], v60 offset:8368
	s_wait_dscnt 0x0
	v_pk_mul_f32 v[98:99], v[46:47], v[44:45] op_sel:[1,1] op_sel_hi:[0,1]
	s_delay_alu instid0(VALU_DEP_1) | instskip(SKIP_1) | instid1(VALU_DEP_2)
	v_pk_fma_f32 v[100:101], v[46:47], v[44:45], v[98:99] op_sel_hi:[1,0,1]
	v_pk_fma_f32 v[44:45], v[46:47], v[44:45], v[98:99] neg_lo:[0,0,1] neg_hi:[0,0,1]
	v_mov_b32_e32 v45, v101
	s_delay_alu instid0(VALU_DEP_1)
	v_pk_add_f32 v[42:43], v[42:43], v[44:45]
	s_or_b32 exec_lo, exec_lo, s52
	s_and_saveexec_b32 s52, s16
	s_cbranch_execnz .LBB153_377
	s_branch .LBB153_378
.LBB153_1098:                           ;   in Loop: Header=BB153_3 Depth=1
	ds_load_b64 v[44:45], v57 offset:13024
	ds_load_b64 v[46:47], v52 offset:12488
	s_wait_dscnt 0x0
	v_dual_mul_f32 v48, v47, v45 :: v_dual_mul_f32 v45, v46, v45
	s_delay_alu instid0(VALU_DEP_1) | instskip(NEXT) | instid1(VALU_DEP_1)
	v_dual_fma_f32 v46, v46, v44, -v48 :: v_dual_fmac_f32 v45, v47, v44
	v_dual_add_f32 v42, v42, v46 :: v_dual_add_f32 v43, v43, v45
	s_or_b32 exec_lo, exec_lo, s52
	s_and_saveexec_b32 s52, s16
	s_cbranch_execz .LBB153_434
.LBB153_1099:                           ;   in Loop: Header=BB153_3 Depth=1
	ds_load_b64 v[44:45], v56 offset:13536
	ds_load_b64 v[46:47], v52 offset:12496
	s_wait_dscnt 0x0
	v_dual_mul_f32 v48, v47, v45 :: v_dual_mul_f32 v45, v46, v45
	s_delay_alu instid0(VALU_DEP_1) | instskip(NEXT) | instid1(VALU_DEP_1)
	v_dual_fma_f32 v46, v46, v44, -v48 :: v_dual_fmac_f32 v45, v47, v44
	v_dual_add_f32 v42, v42, v46 :: v_dual_add_f32 v43, v43, v45
	s_or_b32 exec_lo, exec_lo, s52
	s_and_saveexec_b32 s52, s1
	s_cbranch_execnz .LBB153_435
	s_branch .LBB153_436
.LBB153_1100:                           ;   in Loop: Header=BB153_3 Depth=1
	ds_load_b64 v[46:47], v45 offset:15104
	ds_load_b64 v[98:99], v44 offset:232
	s_wait_dscnt 0x0
	v_pk_mul_f32 v[100:101], v[98:99], v[46:47] op_sel:[1,1] op_sel_hi:[0,1]
	s_delay_alu instid0(VALU_DEP_1) | instskip(SKIP_1) | instid1(VALU_DEP_2)
	v_pk_fma_f32 v[102:103], v[98:99], v[46:47], v[100:101] op_sel_hi:[1,0,1]
	v_pk_fma_f32 v[46:47], v[98:99], v[46:47], v[100:101] neg_lo:[0,0,1] neg_hi:[0,0,1]
	v_mov_b32_e32 v47, v103
	s_delay_alu instid0(VALU_DEP_1)
	v_pk_add_f32 v[42:43], v[42:43], v[46:47]
	s_or_b32 exec_lo, exec_lo, s51
	s_and_saveexec_b32 s51, s4
	s_cbranch_execz .LBB153_532
.LBB153_1101:                           ;   in Loop: Header=BB153_3 Depth=1
	ds_load_b64 v[46:47], v45 offset:15616
	ds_load_b64 v[98:99], v44 offset:240
	s_wait_dscnt 0x0
	v_pk_mul_f32 v[100:101], v[98:99], v[46:47] op_sel:[1,1] op_sel_hi:[0,1]
	s_delay_alu instid0(VALU_DEP_1) | instskip(SKIP_1) | instid1(VALU_DEP_2)
	v_pk_fma_f32 v[102:103], v[98:99], v[46:47], v[100:101] op_sel_hi:[1,0,1]
	v_pk_fma_f32 v[46:47], v[98:99], v[46:47], v[100:101] neg_lo:[0,0,1] neg_hi:[0,0,1]
	v_mov_b32_e32 v47, v103
	s_delay_alu instid0(VALU_DEP_1)
	v_pk_add_f32 v[42:43], v[42:43], v[46:47]
	s_or_b32 exec_lo, exec_lo, s51
	s_and_saveexec_b32 s51, s20
	s_cbranch_execnz .LBB153_533
	s_branch .LBB153_534
.LBB153_1102:                           ;   in Loop: Header=BB153_3 Depth=1
	ds_load_b64 v[44:45], v57 offset:17184
	ds_load_b64 v[46:47], v52 offset:16648
	s_wait_dscnt 0x0
	v_dual_mul_f32 v48, v47, v45 :: v_dual_mul_f32 v45, v46, v45
	s_delay_alu instid0(VALU_DEP_1) | instskip(NEXT) | instid1(VALU_DEP_1)
	v_dual_fma_f32 v46, v46, v44, -v48 :: v_dual_fmac_f32 v45, v47, v44
	v_dual_add_f32 v42, v42, v46 :: v_dual_add_f32 v43, v43, v45
	s_or_b32 exec_lo, exec_lo, s52
	s_and_saveexec_b32 s52, s16
	s_cbranch_execz .LBB153_578
.LBB153_1103:                           ;   in Loop: Header=BB153_3 Depth=1
	ds_load_b64 v[44:45], v56 offset:17696
	ds_load_b64 v[46:47], v52 offset:16656
	s_wait_dscnt 0x0
	v_dual_mul_f32 v48, v47, v45 :: v_dual_mul_f32 v45, v46, v45
	s_delay_alu instid0(VALU_DEP_1) | instskip(NEXT) | instid1(VALU_DEP_1)
	v_dual_fma_f32 v46, v46, v44, -v48 :: v_dual_fmac_f32 v45, v47, v44
	v_dual_add_f32 v42, v42, v46 :: v_dual_add_f32 v43, v43, v45
	s_or_b32 exec_lo, exec_lo, s52
	s_and_saveexec_b32 s52, s1
	s_cbranch_execnz .LBB153_579
	s_branch .LBB153_580
.LBB153_1104:                           ;   in Loop: Header=BB153_3 Depth=1
	ds_load_b64 v[44:45], v66 offset:17216
	ds_load_b64 v[46:47], v60 offset:16648
	s_wait_dscnt 0x0
	v_dual_mul_f32 v48, v47, v45 :: v_dual_mul_f32 v45, v46, v45
	s_delay_alu instid0(VALU_DEP_1) | instskip(NEXT) | instid1(VALU_DEP_1)
	v_dual_fma_f32 v46, v46, v44, -v48 :: v_dual_fmac_f32 v45, v47, v44
	v_dual_add_f32 v42, v42, v46 :: v_dual_add_f32 v43, v43, v45
	s_or_b32 exec_lo, exec_lo, s52
	s_and_saveexec_b32 s52, s18
	s_cbranch_execz .LBB153_620
.LBB153_1105:                           ;   in Loop: Header=BB153_3 Depth=1
	ds_load_b64 v[44:45], v66 offset:17728
	ds_load_b64 v[46:47], v60 offset:16656
	s_wait_dscnt 0x0
	v_dual_mul_f32 v48, v47, v45 :: v_dual_mul_f32 v45, v46, v45
	s_delay_alu instid0(VALU_DEP_1) | instskip(NEXT) | instid1(VALU_DEP_1)
	v_dual_fma_f32 v46, v46, v44, -v48 :: v_dual_fmac_f32 v45, v47, v44
	v_dual_add_f32 v42, v42, v46 :: v_dual_add_f32 v43, v43, v45
	s_or_b32 exec_lo, exec_lo, s52
	s_and_saveexec_b32 s52, s19
	s_cbranch_execz .LBB153_621
.LBB153_1106:                           ;   in Loop: Header=BB153_3 Depth=1
	ds_load_b64 v[44:45], v66 offset:18240
	ds_load_b64 v[46:47], v60 offset:16664
	s_wait_dscnt 0x0
	v_dual_mul_f32 v48, v47, v45 :: v_dual_mul_f32 v45, v46, v45
	s_delay_alu instid0(VALU_DEP_1) | instskip(NEXT) | instid1(VALU_DEP_1)
	v_dual_fma_f32 v46, v46, v44, -v48 :: v_dual_fmac_f32 v45, v47, v44
	v_dual_add_f32 v42, v42, v46 :: v_dual_add_f32 v43, v43, v45
	s_or_b32 exec_lo, exec_lo, s52
	s_and_saveexec_b32 s52, s20
	s_cbranch_execz .LBB153_622
.LBB153_1107:                           ;   in Loop: Header=BB153_3 Depth=1
	ds_load_b64 v[44:45], v65 offset:18752
	ds_load_b64 v[46:47], v60 offset:16672
	s_wait_dscnt 0x0
	v_dual_mul_f32 v48, v47, v45 :: v_dual_mul_f32 v45, v46, v45
	s_delay_alu instid0(VALU_DEP_1) | instskip(NEXT) | instid1(VALU_DEP_1)
	v_dual_fma_f32 v46, v46, v44, -v48 :: v_dual_fmac_f32 v45, v47, v44
	v_dual_add_f32 v42, v42, v46 :: v_dual_add_f32 v43, v43, v45
	s_or_b32 exec_lo, exec_lo, s52
	s_and_saveexec_b32 s52, s21
	s_cbranch_execz .LBB153_623
.LBB153_1108:                           ;   in Loop: Header=BB153_3 Depth=1
	ds_load_b64 v[44:45], v66 offset:19264
	ds_load_b64 v[46:47], v60 offset:16680
	s_wait_dscnt 0x0
	v_dual_mul_f32 v48, v47, v45 :: v_dual_mul_f32 v99, v46, v45
	s_delay_alu instid0(VALU_DEP_1) | instskip(NEXT) | instid1(VALU_DEP_1)
	v_dual_fma_f32 v98, v46, v44, -v48 :: v_dual_fmac_f32 v99, v47, v44
	v_pk_add_f32 v[42:43], v[42:43], v[98:99]
	s_or_b32 exec_lo, exec_lo, s52
	s_and_saveexec_b32 s52, s3
	s_cbranch_execz .LBB153_624
.LBB153_1109:                           ;   in Loop: Header=BB153_3 Depth=1
	ds_load_b64 v[44:45], v65 offset:19776
	ds_load_b64 v[46:47], v60 offset:16688
	s_wait_dscnt 0x0
	v_pk_mul_f32 v[98:99], v[46:47], v[44:45] op_sel:[1,1] op_sel_hi:[0,1]
	s_delay_alu instid0(VALU_DEP_1) | instskip(SKIP_1) | instid1(VALU_DEP_2)
	v_pk_fma_f32 v[100:101], v[46:47], v[44:45], v[98:99] op_sel_hi:[1,0,1]
	v_pk_fma_f32 v[44:45], v[46:47], v[44:45], v[98:99] neg_lo:[0,0,1] neg_hi:[0,0,1]
	v_mov_b32_e32 v45, v101
	s_delay_alu instid0(VALU_DEP_1)
	v_pk_add_f32 v[42:43], v[42:43], v[44:45]
	s_or_b32 exec_lo, exec_lo, s52
	s_and_saveexec_b32 s52, s16
	s_cbranch_execnz .LBB153_625
	s_branch .LBB153_626
.LBB153_1110:                           ;   in Loop: Header=BB153_3 Depth=1
	ds_load_b64 v[44:45], v57 offset:21344
	ds_load_b64 v[46:47], v52 offset:20808
	s_wait_dscnt 0x0
	v_dual_mul_f32 v48, v47, v45 :: v_dual_mul_f32 v45, v46, v45
	s_delay_alu instid0(VALU_DEP_1) | instskip(NEXT) | instid1(VALU_DEP_1)
	v_dual_fma_f32 v46, v46, v44, -v48 :: v_dual_fmac_f32 v45, v47, v44
	v_dual_add_f32 v42, v42, v46 :: v_dual_add_f32 v43, v43, v45
	s_or_b32 exec_lo, exec_lo, s52
	s_and_saveexec_b32 s52, s16
	s_cbranch_execz .LBB153_682
.LBB153_1111:                           ;   in Loop: Header=BB153_3 Depth=1
	ds_load_b64 v[44:45], v56 offset:21856
	ds_load_b64 v[46:47], v52 offset:20816
	s_wait_dscnt 0x0
	v_dual_mul_f32 v48, v47, v45 :: v_dual_mul_f32 v45, v46, v45
	s_delay_alu instid0(VALU_DEP_1) | instskip(NEXT) | instid1(VALU_DEP_1)
	v_dual_fma_f32 v46, v46, v44, -v48 :: v_dual_fmac_f32 v45, v47, v44
	v_dual_add_f32 v42, v42, v46 :: v_dual_add_f32 v43, v43, v45
	s_or_b32 exec_lo, exec_lo, s52
	s_and_saveexec_b32 s52, s1
	s_cbranch_execnz .LBB153_683
	s_branch .LBB153_684
.LBB153_1112:                           ;   in Loop: Header=BB153_3 Depth=1
	ds_load_b64 v[44:45], v76 offset:22400
	ds_load_b64 v[46:47], v71 offset:16728
	s_wait_dscnt 0x0
	v_dual_mul_f32 v48, v47, v45 :: v_dual_mul_f32 v45, v46, v45
	s_delay_alu instid0(VALU_DEP_1) | instskip(NEXT) | instid1(VALU_DEP_1)
	v_dual_fma_f32 v46, v46, v44, -v48 :: v_dual_fmac_f32 v45, v47, v44
	v_dual_add_f32 v42, v42, v46 :: v_dual_add_f32 v43, v43, v45
	s_or_b32 exec_lo, exec_lo, s51
	s_and_saveexec_b32 s51, s4
	s_cbranch_execz .LBB153_744
.LBB153_1113:                           ;   in Loop: Header=BB153_3 Depth=1
	ds_load_b64 v[44:45], v75 offset:22912
	ds_load_b64 v[46:47], v71 offset:16736
	s_wait_dscnt 0x0
	v_dual_mul_f32 v48, v47, v45 :: v_dual_mul_f32 v45, v46, v45
	s_delay_alu instid0(VALU_DEP_1) | instskip(NEXT) | instid1(VALU_DEP_1)
	v_dual_fma_f32 v46, v46, v44, -v48 :: v_dual_fmac_f32 v45, v47, v44
	v_dual_add_f32 v42, v42, v46 :: v_dual_add_f32 v43, v43, v45
	s_or_b32 exec_lo, exec_lo, s51
	s_and_saveexec_b32 s51, s18
	s_cbranch_execz .LBB153_745
.LBB153_1114:                           ;   in Loop: Header=BB153_3 Depth=1
	ds_load_b64 v[44:45], v76 offset:23424
	ds_load_b64 v[46:47], v71 offset:16744
	s_wait_dscnt 0x0
	v_dual_mul_f32 v48, v47, v45 :: v_dual_mul_f32 v45, v46, v45
	s_delay_alu instid0(VALU_DEP_1) | instskip(NEXT) | instid1(VALU_DEP_1)
	v_dual_fma_f32 v46, v46, v44, -v48 :: v_dual_fmac_f32 v45, v47, v44
	v_dual_add_f32 v42, v42, v46 :: v_dual_add_f32 v43, v43, v45
	s_or_b32 exec_lo, exec_lo, s51
	s_and_saveexec_b32 s51, s20
	s_cbranch_execz .LBB153_746
.LBB153_1115:                           ;   in Loop: Header=BB153_3 Depth=1
	ds_load_b64 v[44:45], v75 offset:23936
	ds_load_b64 v[46:47], v71 offset:16752
	s_wait_dscnt 0x0
	v_dual_mul_f32 v48, v47, v45 :: v_dual_mul_f32 v45, v46, v45
	s_delay_alu instid0(VALU_DEP_1) | instskip(NEXT) | instid1(VALU_DEP_1)
	v_dual_fma_f32 v46, v46, v44, -v48 :: v_dual_fmac_f32 v45, v47, v44
	v_dual_add_f32 v42, v42, v46 :: v_dual_add_f32 v43, v43, v45
	s_or_b32 exec_lo, exec_lo, s51
	s_and_saveexec_b32 s51, s3
	s_cbranch_execnz .LBB153_747
	s_branch .LBB153_748
.LBB153_1116:                           ;   in Loop: Header=BB153_3 Depth=1
	ds_load_b64 v[44:45], v57 offset:25504
	ds_load_b64 v[46:47], v52 offset:24968
	s_wait_dscnt 0x0
	v_dual_mul_f32 v48, v47, v45 :: v_dual_mul_f32 v45, v46, v45
	s_delay_alu instid0(VALU_DEP_1) | instskip(NEXT) | instid1(VALU_DEP_1)
	v_dual_fma_f32 v46, v46, v44, -v48 :: v_dual_fmac_f32 v45, v47, v44
	v_dual_add_f32 v42, v42, v46 :: v_dual_add_f32 v43, v43, v45
	s_or_b32 exec_lo, exec_lo, s52
	s_and_saveexec_b32 s52, s16
	s_cbranch_execz .LBB153_836
.LBB153_1117:                           ;   in Loop: Header=BB153_3 Depth=1
	ds_load_b64 v[44:45], v56 offset:26016
	ds_load_b64 v[46:47], v52 offset:24976
	s_wait_dscnt 0x0
	v_dual_mul_f32 v48, v47, v45 :: v_dual_mul_f32 v45, v46, v45
	s_delay_alu instid0(VALU_DEP_1) | instskip(NEXT) | instid1(VALU_DEP_1)
	v_dual_fma_f32 v46, v46, v44, -v48 :: v_dual_fmac_f32 v45, v47, v44
	v_dual_add_f32 v42, v42, v46 :: v_dual_add_f32 v43, v43, v45
	s_or_b32 exec_lo, exec_lo, s52
	s_and_saveexec_b32 s52, s1
	s_cbranch_execnz .LBB153_837
	s_branch .LBB153_838
.LBB153_1118:                           ;   in Loop: Header=BB153_3 Depth=1
	ds_load_b64 v[44:45], v66 offset:25536
	ds_load_b64 v[46:47], v60 offset:24968
	s_wait_dscnt 0x0
	v_dual_mul_f32 v48, v47, v45 :: v_dual_mul_f32 v45, v46, v45
	s_delay_alu instid0(VALU_DEP_1) | instskip(NEXT) | instid1(VALU_DEP_1)
	v_dual_fma_f32 v46, v46, v44, -v48 :: v_dual_fmac_f32 v45, v47, v44
	v_dual_add_f32 v42, v42, v46 :: v_dual_add_f32 v43, v43, v45
	s_or_b32 exec_lo, exec_lo, s52
	s_and_saveexec_b32 s52, s18
	s_cbranch_execz .LBB153_878
.LBB153_1119:                           ;   in Loop: Header=BB153_3 Depth=1
	ds_load_b64 v[44:45], v66 offset:26048
	ds_load_b64 v[46:47], v60 offset:24976
	s_wait_dscnt 0x0
	v_dual_mul_f32 v48, v47, v45 :: v_dual_mul_f32 v45, v46, v45
	s_delay_alu instid0(VALU_DEP_1) | instskip(NEXT) | instid1(VALU_DEP_1)
	v_dual_fma_f32 v46, v46, v44, -v48 :: v_dual_fmac_f32 v45, v47, v44
	v_dual_add_f32 v42, v42, v46 :: v_dual_add_f32 v43, v43, v45
	s_or_b32 exec_lo, exec_lo, s52
	s_and_saveexec_b32 s52, s19
	s_cbranch_execz .LBB153_879
.LBB153_1120:                           ;   in Loop: Header=BB153_3 Depth=1
	ds_load_b64 v[44:45], v66 offset:26560
	ds_load_b64 v[46:47], v60 offset:24984
	s_wait_dscnt 0x0
	v_dual_mul_f32 v48, v47, v45 :: v_dual_mul_f32 v45, v46, v45
	s_delay_alu instid0(VALU_DEP_1) | instskip(NEXT) | instid1(VALU_DEP_1)
	v_dual_fma_f32 v46, v46, v44, -v48 :: v_dual_fmac_f32 v45, v47, v44
	v_dual_add_f32 v42, v42, v46 :: v_dual_add_f32 v43, v43, v45
	s_or_b32 exec_lo, exec_lo, s52
	s_and_saveexec_b32 s52, s20
	s_cbranch_execz .LBB153_880
.LBB153_1121:                           ;   in Loop: Header=BB153_3 Depth=1
	ds_load_b64 v[44:45], v65 offset:27072
	ds_load_b64 v[46:47], v60 offset:24992
	s_wait_dscnt 0x0
	v_dual_mul_f32 v48, v47, v45 :: v_dual_mul_f32 v45, v46, v45
	s_delay_alu instid0(VALU_DEP_1) | instskip(NEXT) | instid1(VALU_DEP_1)
	v_dual_fma_f32 v46, v46, v44, -v48 :: v_dual_fmac_f32 v45, v47, v44
	v_dual_add_f32 v42, v42, v46 :: v_dual_add_f32 v43, v43, v45
	s_or_b32 exec_lo, exec_lo, s52
	s_and_saveexec_b32 s52, s21
	s_cbranch_execz .LBB153_881
.LBB153_1122:                           ;   in Loop: Header=BB153_3 Depth=1
	ds_load_b64 v[44:45], v66 offset:27584
	ds_load_b64 v[46:47], v60 offset:25000
	s_wait_dscnt 0x0
	v_dual_mul_f32 v48, v47, v45 :: v_dual_mul_f32 v99, v46, v45
	s_delay_alu instid0(VALU_DEP_1) | instskip(NEXT) | instid1(VALU_DEP_1)
	v_dual_fma_f32 v98, v46, v44, -v48 :: v_dual_fmac_f32 v99, v47, v44
	v_pk_add_f32 v[42:43], v[42:43], v[98:99]
	s_or_b32 exec_lo, exec_lo, s52
	s_and_saveexec_b32 s52, s3
	s_cbranch_execz .LBB153_882
.LBB153_1123:                           ;   in Loop: Header=BB153_3 Depth=1
	ds_load_b64 v[44:45], v65 offset:28096
	ds_load_b64 v[46:47], v60 offset:25008
	s_wait_dscnt 0x0
	v_pk_mul_f32 v[98:99], v[46:47], v[44:45] op_sel:[1,1] op_sel_hi:[0,1]
	s_delay_alu instid0(VALU_DEP_1) | instskip(SKIP_1) | instid1(VALU_DEP_2)
	v_pk_fma_f32 v[100:101], v[46:47], v[44:45], v[98:99] op_sel_hi:[1,0,1]
	v_pk_fma_f32 v[44:45], v[46:47], v[44:45], v[98:99] neg_lo:[0,0,1] neg_hi:[0,0,1]
	v_mov_b32_e32 v45, v101
	s_delay_alu instid0(VALU_DEP_1)
	v_pk_add_f32 v[42:43], v[42:43], v[44:45]
	s_or_b32 exec_lo, exec_lo, s52
	s_and_saveexec_b32 s52, s16
	s_cbranch_execnz .LBB153_883
	s_branch .LBB153_884
.LBB153_1124:                           ;   in Loop: Header=BB153_3 Depth=1
	ds_load_b64 v[44:45], v57 offset:29664
	ds_load_b64 v[46:47], v52 offset:29128
	s_wait_dscnt 0x0
	v_dual_mul_f32 v48, v47, v45 :: v_dual_mul_f32 v45, v46, v45
	s_delay_alu instid0(VALU_DEP_1) | instskip(NEXT) | instid1(VALU_DEP_1)
	v_dual_fma_f32 v46, v46, v44, -v48 :: v_dual_fmac_f32 v45, v47, v44
	v_dual_add_f32 v42, v42, v46 :: v_dual_add_f32 v43, v43, v45
	s_or_b32 exec_lo, exec_lo, s52
	s_and_saveexec_b32 s52, s16
	s_cbranch_execz .LBB153_940
.LBB153_1125:                           ;   in Loop: Header=BB153_3 Depth=1
	ds_load_b64 v[44:45], v56 offset:30176
	ds_load_b64 v[46:47], v52 offset:29136
	s_wait_dscnt 0x0
	v_dual_mul_f32 v48, v47, v45 :: v_dual_mul_f32 v45, v46, v45
	s_delay_alu instid0(VALU_DEP_1) | instskip(NEXT) | instid1(VALU_DEP_1)
	v_dual_fma_f32 v46, v46, v44, -v48 :: v_dual_fmac_f32 v45, v47, v44
	v_dual_add_f32 v42, v42, v46 :: v_dual_add_f32 v43, v43, v45
	s_or_b32 exec_lo, exec_lo, s52
	s_and_saveexec_b32 s52, s1
	s_cbranch_execnz .LBB153_941
	s_branch .LBB153_942
.LBB153_1126:
	s_endpgm
	.section	.rodata,"a",@progbits
	.p2align	6, 0x0
	.amdhsa_kernel _ZL19rocblas_trsv_deviceILi64ELi16ELb1ELb1ELb1ELb1E19rocblas_complex_numIfEPKS1_PKS3_PKPS1_EviT7_lllT6_T8_lllPii
		.amdhsa_group_segment_fixed_size 41480
		.amdhsa_private_segment_fixed_size 0
		.amdhsa_kernarg_size 352
		.amdhsa_user_sgpr_count 2
		.amdhsa_user_sgpr_dispatch_ptr 0
		.amdhsa_user_sgpr_queue_ptr 0
		.amdhsa_user_sgpr_kernarg_segment_ptr 1
		.amdhsa_user_sgpr_dispatch_id 0
		.amdhsa_user_sgpr_kernarg_preload_length 0
		.amdhsa_user_sgpr_kernarg_preload_offset 0
		.amdhsa_user_sgpr_private_segment_size 0
		.amdhsa_wavefront_size32 1
		.amdhsa_uses_dynamic_stack 0
		.amdhsa_enable_private_segment 0
		.amdhsa_system_sgpr_workgroup_id_x 1
		.amdhsa_system_sgpr_workgroup_id_y 0
		.amdhsa_system_sgpr_workgroup_id_z 1
		.amdhsa_system_sgpr_workgroup_info 0
		.amdhsa_system_vgpr_workitem_id 1
		.amdhsa_next_free_vgpr 108
		.amdhsa_next_free_sgpr 105
		.amdhsa_named_barrier_count 0
		.amdhsa_reserve_vcc 1
		.amdhsa_float_round_mode_32 0
		.amdhsa_float_round_mode_16_64 0
		.amdhsa_float_denorm_mode_32 3
		.amdhsa_float_denorm_mode_16_64 3
		.amdhsa_fp16_overflow 0
		.amdhsa_memory_ordered 1
		.amdhsa_forward_progress 1
		.amdhsa_inst_pref_size 255
		.amdhsa_round_robin_scheduling 0
		.amdhsa_exception_fp_ieee_invalid_op 0
		.amdhsa_exception_fp_denorm_src 0
		.amdhsa_exception_fp_ieee_div_zero 0
		.amdhsa_exception_fp_ieee_overflow 0
		.amdhsa_exception_fp_ieee_underflow 0
		.amdhsa_exception_fp_ieee_inexact 0
		.amdhsa_exception_int_div_zero 0
	.end_amdhsa_kernel
	.section	.text._ZL19rocblas_trsv_deviceILi64ELi16ELb1ELb1ELb1ELb1E19rocblas_complex_numIfEPKS1_PKS3_PKPS1_EviT7_lllT6_T8_lllPii,"axG",@progbits,_ZL19rocblas_trsv_deviceILi64ELi16ELb1ELb1ELb1ELb1E19rocblas_complex_numIfEPKS1_PKS3_PKPS1_EviT7_lllT6_T8_lllPii,comdat
.Lfunc_end153:
	.size	_ZL19rocblas_trsv_deviceILi64ELi16ELb1ELb1ELb1ELb1E19rocblas_complex_numIfEPKS1_PKS3_PKPS1_EviT7_lllT6_T8_lllPii, .Lfunc_end153-_ZL19rocblas_trsv_deviceILi64ELi16ELb1ELb1ELb1ELb1E19rocblas_complex_numIfEPKS1_PKS3_PKPS1_EviT7_lllT6_T8_lllPii
                                        ; -- End function
	.set _ZL19rocblas_trsv_deviceILi64ELi16ELb1ELb1ELb1ELb1E19rocblas_complex_numIfEPKS1_PKS3_PKPS1_EviT7_lllT6_T8_lllPii.num_vgpr, 108
	.set _ZL19rocblas_trsv_deviceILi64ELi16ELb1ELb1ELb1ELb1E19rocblas_complex_numIfEPKS1_PKS3_PKPS1_EviT7_lllT6_T8_lllPii.num_agpr, 0
	.set _ZL19rocblas_trsv_deviceILi64ELi16ELb1ELb1ELb1ELb1E19rocblas_complex_numIfEPKS1_PKS3_PKPS1_EviT7_lllT6_T8_lllPii.numbered_sgpr, 105
	.set _ZL19rocblas_trsv_deviceILi64ELi16ELb1ELb1ELb1ELb1E19rocblas_complex_numIfEPKS1_PKS3_PKPS1_EviT7_lllT6_T8_lllPii.num_named_barrier, 0
	.set _ZL19rocblas_trsv_deviceILi64ELi16ELb1ELb1ELb1ELb1E19rocblas_complex_numIfEPKS1_PKS3_PKPS1_EviT7_lllT6_T8_lllPii.private_seg_size, 0
	.set _ZL19rocblas_trsv_deviceILi64ELi16ELb1ELb1ELb1ELb1E19rocblas_complex_numIfEPKS1_PKS3_PKPS1_EviT7_lllT6_T8_lllPii.uses_vcc, 1
	.set _ZL19rocblas_trsv_deviceILi64ELi16ELb1ELb1ELb1ELb1E19rocblas_complex_numIfEPKS1_PKS3_PKPS1_EviT7_lllT6_T8_lllPii.uses_flat_scratch, 0
	.set _ZL19rocblas_trsv_deviceILi64ELi16ELb1ELb1ELb1ELb1E19rocblas_complex_numIfEPKS1_PKS3_PKPS1_EviT7_lllT6_T8_lllPii.has_dyn_sized_stack, 0
	.set _ZL19rocblas_trsv_deviceILi64ELi16ELb1ELb1ELb1ELb1E19rocblas_complex_numIfEPKS1_PKS3_PKPS1_EviT7_lllT6_T8_lllPii.has_recursion, 0
	.set _ZL19rocblas_trsv_deviceILi64ELi16ELb1ELb1ELb1ELb1E19rocblas_complex_numIfEPKS1_PKS3_PKPS1_EviT7_lllT6_T8_lllPii.has_indirect_call, 0
	.section	.AMDGPU.csdata,"",@progbits
; Kernel info:
; codeLenInByte = 40892
; TotalNumSgprs: 107
; NumVgprs: 108
; ScratchSize: 0
; MemoryBound: 0
; FloatMode: 240
; IeeeMode: 1
; LDSByteSize: 41480 bytes/workgroup (compile time only)
; SGPRBlocks: 0
; VGPRBlocks: 6
; NumSGPRsForWavesPerEU: 107
; NumVGPRsForWavesPerEU: 108
; NamedBarCnt: 0
; Occupancy: 9
; WaveLimiterHint : 1
; COMPUTE_PGM_RSRC2:SCRATCH_EN: 0
; COMPUTE_PGM_RSRC2:USER_SGPR: 2
; COMPUTE_PGM_RSRC2:TRAP_HANDLER: 0
; COMPUTE_PGM_RSRC2:TGID_X_EN: 1
; COMPUTE_PGM_RSRC2:TGID_Y_EN: 0
; COMPUTE_PGM_RSRC2:TGID_Z_EN: 1
; COMPUTE_PGM_RSRC2:TIDIG_COMP_CNT: 1
	.section	.text._ZL19rocblas_trsv_deviceILi64ELi16ELb1ELb0ELb0ELb0E19rocblas_complex_numIfEPKS1_PKS3_PKPS1_EviT7_lllT6_T8_lllPii,"axG",@progbits,_ZL19rocblas_trsv_deviceILi64ELi16ELb1ELb0ELb0ELb0E19rocblas_complex_numIfEPKS1_PKS3_PKPS1_EviT7_lllT6_T8_lllPii,comdat
	.globl	_ZL19rocblas_trsv_deviceILi64ELi16ELb1ELb0ELb0ELb0E19rocblas_complex_numIfEPKS1_PKS3_PKPS1_EviT7_lllT6_T8_lllPii ; -- Begin function _ZL19rocblas_trsv_deviceILi64ELi16ELb1ELb0ELb0ELb0E19rocblas_complex_numIfEPKS1_PKS3_PKPS1_EviT7_lllT6_T8_lllPii
	.p2align	8
	.type	_ZL19rocblas_trsv_deviceILi64ELi16ELb1ELb0ELb0ELb0E19rocblas_complex_numIfEPKS1_PKS3_PKPS1_EviT7_lllT6_T8_lllPii,@function
_ZL19rocblas_trsv_deviceILi64ELi16ELb1ELb0ELb0ELb0E19rocblas_complex_numIfEPKS1_PKS3_PKPS1_EviT7_lllT6_T8_lllPii: ; @_ZL19rocblas_trsv_deviceILi64ELi16ELb1ELb0ELb0ELb0E19rocblas_complex_numIfEPKS1_PKS3_PKPS1_EviT7_lllT6_T8_lllPii
; %bb.0:
	s_load_b32 s71, s[0:1], 0x58
	s_bfe_u32 s2, ttmp6, 0x40014
	s_lshr_b32 s3, ttmp7, 16
	s_add_co_i32 s2, s2, 1
	s_bfe_u32 s5, ttmp6, 0x40008
	s_mul_i32 s4, s3, s2
	s_getreg_b32 s2, hwreg(HW_REG_IB_STS2, 6, 4)
	s_add_co_i32 s5, s5, s4
	s_cmp_eq_u32 s2, 0
	s_mov_b32 s85, 0
	s_cselect_b32 s84, s3, s5
	s_wait_kmcnt 0x0
	s_cmp_ge_u32 s84, s71
	s_cbranch_scc1 .LBB154_1098
; %bb.1:
	s_clause 0x3
	s_load_b32 s3, s[0:1], 0x6c
	s_load_b32 s98, s[0:1], 0x0
	s_load_b64 s[86:87], s[0:1], 0x18
	s_load_b256 s[72:79], s[0:1], 0x28
	s_bfe_u32 s5, ttmp6, 0x4000c
	s_and_b32 s4, ttmp6, 15
	s_add_co_i32 s5, s5, 1
	s_clause 0x1
	s_load_b64 s[88:89], s[0:1], 0x50
	s_load_b128 s[80:83], s[0:1], 0x8
	s_wait_xcnt 0x0
	s_mul_i32 s0, ttmp9, s5
	v_bfe_u32 v46, v0, 10, 10
	s_add_co_i32 s4, s4, s0
	s_cmp_eq_u32 s2, 0
	v_mov_b32_e32 v1, 0
	s_cselect_b32 s99, ttmp9, s4
	v_and_b32_e32 v2, 0x3ff, v0
	v_lshlrev_b32_e32 v10, 6, v46
	v_sub_co_u32 v47, s5, s99, 1
	v_dual_mov_b32 v5, v1 :: v_dual_mov_b32 v3, v1
	s_wait_kmcnt 0x0
	s_add_co_i32 s0, s98, -1
	s_ashr_i32 s1, s98, 31
	s_and_b32 s2, s3, 0xffff
	s_ashr_i32 s3, s0, 31
	s_lshr_b32 s1, s1, 26
	s_lshr_b32 s3, s3, 26
	s_add_co_i32 s1, s98, s1
	s_add_co_i32 s0, s0, s3
	s_and_not1_b32 s1, s1, 63
	s_ashr_i32 s0, s0, 6
	s_sub_co_i32 s15, s98, s1
	s_cmp_eq_u32 s0, s99
	s_add_nc_u64 s[0:1], s[86:87], 1
	s_cselect_b32 s3, -1, 0
	s_cmp_lg_u32 s15, 0
	v_mad_u32_u24 v4, v46, s2, v2
	s_cselect_b32 s4, -1, 0
	s_lshl_b32 s10, s99, 6
	s_delay_alu instid0(SALU_CYCLE_1) | instskip(SKIP_3) | instid1(VALU_DEP_3)
	v_dual_add_nc_u32 v6, s10, v2 :: v_dual_bitop2_b32 v11, v10, v2 bitop3:0x14
	v_add_nc_u32_e32 v20, s10, v46
	v_mad_nc_u64_u32 v[18:19], s0, s10, v[2:3]
	s_and_b32 s13, s4, s3
	v_lshrrev_b16 v3, 1, v11
	v_and_b32_e32 v11, 1, v0
	v_subrev_nc_u32_e32 v12, 64, v20
	v_and_b32_e32 v14, v10, v2
	s_xor_b32 s2, s5, -1
	s_ashr_i32 s11, s10, 31
                                        ; implicit-def: $vgpr94 : SGPR spill to VGPR lane
	s_xor_b32 s101, s13, -1
	v_ashrrev_i32_e32 v13, 31, v12
	v_add_nc_u16 v3, v14, v3
	v_dual_add_nc_u32 v34, v10, v2 :: v_dual_lshlrev_b32 v14, 3, v11
	v_writelane_b32 v94, s2, 0
	s_mul_i32 s1, s1, s10
	s_delay_alu instid0(VALU_DEP_3)
	v_and_b32_e32 v10, 0xffff, v3
	s_mul_i32 s2, s0, s11
	s_cmp_gt_i32 s99, 4
	v_add3_u32 v19, s2, s1, v19
	s_cselect_b32 s1, -1, 0
	v_cmp_eq_u32_e64 s2, 1, v11
	v_ashrrev_i32_e32 v7, 31, v6
	v_mul_u64_e32 v[8:9], s[86:87], v[12:13]
	v_lshrrev_b32_e32 v13, 10, v0
	s_and_b32 s102, s1, s101
	v_cmp_gt_u32_e64 s1, 4, v34
	v_lshl_add_u32 v3, v10, 3, 0x8000
	v_lshl_or_b32 v48, v10, 9, v14
	v_mul_u32_u24_e32 v49, 0x208, v10
	v_dual_lshrrev_b32 v10, 2, v34 :: v_dual_bitop2_b32 v11, 3, v0 bitop3:0x40
	s_xor_b32 s3, s2, -1
	v_bitop3_b32 v35, v0, v13, 0x3ff bitop3:0xa8
	v_lshlrev_b32_e32 v50, 3, v2
	s_and_b32 s103, s3, s1
	v_dual_lshlrev_b32 v51, 3, v11 :: v_dual_lshlrev_b32 v13, 3, v10
	v_mul_u32_u24_e32 v52, 0x208, v10
	s_and_b32 s104, s2, s1
	v_cmp_gt_u32_e64 s2, 16, v34
	v_cmp_eq_u32_e64 s3, 0, v11
	v_cmp_ne_u32_e64 s4, 0, v11
	v_lshl_or_b32 v54, v10, 9, v51
	v_sub_nc_u32_e32 v10, v52, v13
	v_cmp_eq_u32_e64 s5, 1, v11
	v_cmp_lt_u32_e64 s6, 1, v11
	s_and_b32 vcc_hi, s3, s2
	s_and_b32 s43, s4, s2
	v_cmp_eq_u32_e64 s3, 2, v11
	v_cmp_eq_u32_e64 s4, 3, v11
	v_and_b32_e32 v11, 7, v0
	s_and_b32 s44, s5, s2
	v_add_nc_u32_e32 v55, v10, v51
	s_and_b32 s46, s3, s2
	s_and_b32 s47, s4, s2
	v_cmp_gt_u32_e64 s3, 64, v34
	v_cmp_eq_u32_e64 s4, 0, v11
	v_cmp_ne_u32_e64 s5, 0, v11
	v_dual_lshrrev_b32 v10, 3, v34 :: v_dual_lshlrev_b32 v57, 3, v11
	v_dual_mov_b32 v26, 0 :: v_dual_add_nc_u32 v53, 0x8000, v13
	s_and_b32 s48, s4, s3
	v_cmp_eq_u32_e64 s4, 1, v11
	s_and_b32 s49, s5, s3
	v_cmp_lt_u32_e64 s5, 1, v11
	v_and_b32_e32 v13, 0x1fff8, v34
	v_mul_u32_u24_e32 v56, 0x208, v10
	s_and_b32 s50, s4, s3
	v_cmp_eq_u32_e64 s4, 3, v11
	s_and_b32 s51, s5, s3
	v_cmp_lt_u32_e64 s5, 3, v11
	s_and_b32 s45, s6, s2
	v_sub_nc_u32_e32 v14, v56, v13
	v_cmp_eq_u32_e64 s6, 2, v11
	v_cmp_lt_u32_e64 s7, 2, v11
	s_and_b32 s54, s4, s3
	v_cmp_eq_u32_e64 s4, 4, v11
	s_and_b32 s55, s5, s3
	v_cmp_lt_u32_e64 s5, 5, v11
	v_lshl_or_b32 v59, v10, 9, v57
	s_and_b32 s52, s6, s3
	s_and_b32 s53, s7, s3
	v_cmp_lt_u32_e64 s6, 4, v11
	v_cmp_eq_u32_e64 s7, 5, v11
	s_and_b32 s56, s4, s3
	v_dual_lshrrev_b32 v10, 4, v34 :: v_dual_add_nc_u32 v60, v14, v57
	s_and_b32 s59, s5, s3
	v_cmp_eq_u32_e64 s4, 6, v11
	v_cmp_eq_u32_e64 s5, 7, v11
	v_and_b32_e32 v11, 15, v0
	s_and_b32 s57, s6, s3
	s_and_b32 s58, s7, s3
	;; [unrolled: 1-line block ×4, first 2 shown]
	v_cmp_gt_u32_e64 s4, 0x100, v34
	v_cmp_eq_u32_e64 s5, 0, v11
	v_cmp_ne_u32_e64 s6, 0, v11
	v_cmp_eq_u32_e64 s7, 2, v11
	v_cmp_lt_u32_e64 s8, 2, v11
	v_cmp_le_i32_e64 s14, s15, v2
	s_and_b32 s5, s5, s4
	s_and_b32 s6, s6, s4
	v_writelane_b32 v94, s5, 1
	v_cmp_eq_u32_e64 s5, 1, v11
	s_and_b32 s67, s8, s4
	v_cmp_eq_u32_e64 s8, 5, v11
	v_add_nc_u32_e32 v58, 0x8000, v13
	v_writelane_b32 v94, s6, 2
	v_cmp_lt_u32_e64 s6, 1, v11
	s_and_b32 s5, s5, s4
	s_and_b32 s25, s8, s4
	v_cmp_lt_u32_e64 s8, 7, v11
	v_writelane_b32 v94, s5, 3
	v_cmp_eq_u32_e64 s5, 3, v11
	s_and_b32 s6, s6, s4
	v_dual_lshlrev_b32 v13, 3, v10 :: v_dual_lshlrev_b32 v62, 3, v11
	v_writelane_b32 v94, s6, 4
	s_and_b32 s68, s5, s4
	v_cmp_eq_u32_e64 s5, 4, v11
	s_and_b32 s6, s7, s4
	v_cmp_lt_u32_e64 s7, 4, v11
	v_writelane_b32 v94, s6, 5
	v_cmp_lt_u32_e64 s6, 3, v11
	s_and_b32 s9, s5, s4
	v_cmp_eq_u32_e64 s5, 6, v11
	s_and_b32 s23, s7, s4
	v_cmp_eq_u32_e64 s7, 7, v11
	s_and_b32 s69, s6, s4
	v_cmp_lt_u32_e64 s6, 5, v11
	s_and_b32 s29, s5, s4
	v_cmp_eq_u32_e64 s5, 8, v11
	s_and_b32 s34, s7, s4
	v_cmp_lt_u32_e64 s7, 9, v11
	s_and_b32 s27, s6, s4
	v_cmp_lt_u32_e64 s6, 6, v11
	s_and_b32 s39, s5, s4
	v_cmp_eq_u32_e64 s5, 9, v11
	s_and_b32 s38, s8, s4
	v_cmp_eq_u32_e64 s8, 10, v11
	s_and_b32 s31, s6, s4
	v_cmp_lt_u32_e64 s6, 8, v11
	s_and_b32 s41, s5, s4
	v_cmp_eq_u32_e64 s5, 11, v11
	s_and_b32 s42, s7, s4
	v_cmp_eq_u32_e64 s7, 12, v11
	s_and_b32 s40, s6, s4
	v_cmp_lt_u32_e64 s6, 10, v11
	s_and_b32 s26, s5, s4
	v_cmp_eq_u32_e64 s5, 13, v11
	v_mul_u32_u24_e32 v61, 0x208, v10
	s_and_b32 s12, s8, s4
	s_and_b32 s24, s6, s4
	v_cmp_lt_u32_e64 s6, 11, v11
	s_and_b32 s33, s5, s4
	v_cmp_eq_u32_e64 s5, 14, v11
	v_cmp_lt_u32_e64 s8, 12, v11
	s_and_b32 s30, s7, s4
	s_and_b32 s28, s6, s4
	v_cmp_lt_u32_e64 s6, 13, v11
	v_cmp_eq_u32_e64 s7, 15, v11
	s_and_b32 s62, s5, s4
	v_cmp_eq_u32_e64 s5, 0, v46
	s_and_b32 s64, s14, s13
	v_cmp_gt_i32_e32 vcc_lo, s15, v2
	v_sub_nc_u32_e32 v14, v61, v13
	s_and_b32 s100, s6, s4
	s_xor_b32 s6, s64, -1
	s_and_b32 s8, s8, s4
	s_and_b32 s63, s7, s4
	;; [unrolled: 1-line block ×3, first 2 shown]
	s_cmp_gt_i32 s99, 0
	v_cmp_gt_i32_e64 s0, s98, v6
	v_lshl_or_b32 v64, v10, 9, v62
	v_lshrrev_b32_e32 v10, 5, v34
	v_dual_add_nc_u32 v65, v14, v62 :: v_dual_bitop2_b32 v67, 31, v0 bitop3:0x40
	s_cselect_b32 s66, -1, 0
	v_add_nc_u64_e32 v[14:15], s[10:11], v[4:5]
	v_subrev_nc_u32_e32 v5, 48, v20
	s_and_b32 s6, s5, vcc_lo
	v_cmp_gt_i32_e32 vcc_lo, s98, v12
	v_writelane_b32 v94, s6, 6
	v_add_nc_u32_e32 v63, 0x8000, v13
	v_dual_add_nc_u32 v38, 48, v46 :: v_dual_add_nc_u32 v0, s10, v4
	v_subrev_nc_u32_e32 v13, 32, v20
	v_cmp_gt_i32_e64 s6, s98, v5
	s_and_b32 s10, s0, vcc_lo
	v_cmp_le_i32_e32 vcc_lo, s15, v46
	v_writelane_b32 v94, s10, 7
	v_cmp_gt_i32_e64 s7, s98, v13
	s_and_b32 s6, s0, s6
	v_dual_add_nc_u32 v36, 16, v46 :: v_dual_add_nc_u32 v37, 32, v46
	v_writelane_b32 v94, s6, 8
	s_and_b32 s6, s0, s7
	v_cmp_le_u32_e64 s7, v2, v46
	s_delay_alu instid0(VALU_DEP_3)
	v_cmp_le_u32_e64 s11, v2, v36
	v_cmp_le_u32_e64 s17, v2, v37
	v_writelane_b32 v94, s6, 9
	s_or_b32 s6, vcc_lo, s14
	v_cmp_le_i32_e32 vcc_lo, s15, v36
	s_or_b32 s6, s6, s7
	v_cmp_le_i32_e64 s13, s15, v37
	v_writelane_b32 v94, s7, 10
	v_cmp_le_u32_e64 s19, v2, v38
	v_cmp_ne_u32_e64 s10, v2, v46
	v_cmp_ne_u32_e64 s16, v2, v36
	s_or_b32 s7, s13, s14
	v_writelane_b32 v94, s6, 11
	s_or_b32 s6, vcc_lo, s14
	v_cmp_le_i32_e32 vcc_lo, s15, v38
	s_or_b32 s6, s6, s11
	v_cmp_ne_u32_e64 s18, v2, v37
	v_writelane_b32 v94, s11, 12
                                        ; implicit-def: $vgpr93 : SGPR spill to VGPR lane
	v_add_max_i32_e64 v39, v20, -16, v6
	v_or_b32_e32 v40, v36, v2
	v_or_b32_e32 v41, v37, v2
	;; [unrolled: 1-line block ×3, first 2 shown]
	v_writelane_b32 v94, s6, 13
	s_or_b32 s6, s7, s17
	s_or_b32 s7, s14, s10
	v_mbcnt_lo_u32_b32 v5, -1, 0
	v_dual_lshlrev_b32 v66, 3, v10 :: v_dual_lshlrev_b32 v69, 9, v10
	v_writelane_b32 v94, s17, 14
	v_lshl_add_u32 v71, v46, 3, 0xa000
	s_delay_alu instid0(VALU_DEP_4) | instskip(SKIP_3) | instid1(VALU_DEP_3)
	v_dual_lshlrev_b32 v27, 20, v5 :: v_dual_lshlrev_b32 v5, 3, v67
	v_mul_u64_e32 v[14:15], s[78:79], v[14:15]
	v_writelane_b32 v94, s6, 15
	s_or_b32 s6, vcc_lo, s14
	v_add_nc_u64_e32 v[20:21], src_flat_scratch_base_lo, v[26:27]
	s_or_b32 s6, s6, s19
	v_mov_b32_e32 v26, 8
	v_writelane_b32 v94, s19, 16
	v_mul_u64_e32 v[30:31], s[78:79], v[0:1]
	v_mad_nc_u64_u32 v[10:11], s86, v46, v[18:19]
	v_mad_nc_u64_u32 v[12:13], s86, v36, v[18:19]
	v_add_nc_u64_e32 v[22:23], src_flat_scratch_base_lo, v[26:27]
	v_writelane_b32 v94, s6, 17
	v_cmp_ne_u32_e64 s6, v2, v38
	v_mov_b32_e32 v26, 16
	v_mad_nc_u64_u32 v[16:17], s86, v37, v[18:19]
	v_mad_nc_u64_u32 v[18:19], s86, v38, v[18:19]
	v_writelane_b32 v94, s10, 18
                                        ; implicit-def: $vgpr92 : SGPR spill to VGPR lane
	v_cmp_lt_u32_e32 vcc_lo, 0x3ff, v34
	v_add_nc_u64_e32 v[24:25], src_flat_scratch_base_lo, v[26:27]
	v_dual_mov_b32 v26, 24 :: v_dual_lshlrev_b32 v28, 9, v67
	v_or_b32_e32 v70, v69, v5
	v_writelane_b32 v94, s7, 19
	s_or_b32 s7, s14, s16
	s_delay_alu instid0(VALU_DEP_3)
	v_dual_add_nc_u32 v76, v71, v50 :: v_dual_add_nc_u32 v80, v5, v28
	v_mul_u64_e32 v[28:29], s[78:79], v[6:7]
	v_writelane_b32 v94, s16, 20
	v_mad_u32 v11, s87, v46, v11
	v_mad_u32 v13, s87, v36, v13
	v_mad_u32 v17, s87, v37, v17
	v_mad_u32 v19, s87, v38, v19
	v_writelane_b32 v94, s7, 21
	s_or_b32 s7, s14, s18
	v_add_nc_u64_e32 v[26:27], src_flat_scratch_base_lo, v[26:27]
	v_mov_b64_e32 v[32:33], 0
	v_add_nc_u32_e32 v68, 0x8000, v66
	v_writelane_b32 v94, s18, 22
	v_lshl_add_u32 v72, v4, 3, 0xa000
	v_lshl_add_u32 v73, v34, 3, 0x8000
	v_add_nc_u32_e32 v74, 0x8000, v50
	v_lshl_add_u32 v75, v46, 9, v50
	v_writelane_b32 v94, s7, 23
	v_lshl_add_u32 v77, v2, 9, v50
	v_lshl_add_u32 v78, v36, 9, v50
	;; [unrolled: 1-line block ×4, first 2 shown]
	v_writelane_b32 v94, s6, 24
	s_or_b32 s6, s14, s6
	v_or_b32_e32 v82, 0x4100, v5
	v_cmp_eq_u32_e64 s14, 0, v35
	v_cmp_gt_u32_e64 s15, 2, v34
	v_writelane_b32 v94, s6, 25
	v_cmp_gt_u32_e64 s6, 0xf0, v34
	v_cmp_gt_u32_e64 s16, 12, v34
	;; [unrolled: 1-line block ×5, first 2 shown]
	v_writelane_b32 v94, s6, 26
	v_cmp_gt_u32_e64 s6, 0xe0, v34
	v_cmp_gt_u32_e64 s20, 40, v34
	;; [unrolled: 1-line block ×5, first 2 shown]
	v_writelane_b32 v94, s6, 27
	v_cmp_gt_u32_e64 s6, 0xd0, v34
	v_cmp_eq_u32_e64 s36, 0, v4
	v_cmp_gt_u32_e64 s37, 64, v4
	s_xor_b32 s13, vcc_lo, -1
	s_lshl_b64 s[90:91], s[86:87], 7
	v_writelane_b32 v94, s6, 28
	v_cmp_gt_u32_e64 s6, 0xc0, v34
	s_lshl_b64 s[92:93], s[86:87], 8
	s_mul_u64 s[94:95], s[86:87], 0x180
	s_lshl_b64 s[82:83], s[82:83], 3
	s_lshl_b64 s[76:77], s[76:77], 3
	v_writelane_b32 v94, s6, 29
	v_cmp_gt_u32_e64 s6, 0xb0, v34
	s_delay_alu instid0(VALU_DEP_1) | instskip(SKIP_1) | instid1(VALU_DEP_1)
	v_writelane_b32 v94, s6, 30
	v_cmp_gt_u32_e64 s6, 0xa0, v34
	v_writelane_b32 v94, s6, 31
	v_cmp_gt_u32_e64 s6, 0x90, v34
	s_delay_alu instid0(VALU_DEP_1) | instskip(SKIP_1) | instid1(VALU_DEP_1)
	v_writelane_b32 v93, s6, 0
	v_cmp_gt_u32_e64 s6, 0x80, v34
	;; [unrolled: 5-line block ×3, first 2 shown]
	v_writelane_b32 v93, s6, 3
	v_cmp_gt_u32_e64 s6, 0x50, v34
	s_delay_alu instid0(VALU_DEP_1) | instskip(SKIP_1) | instid1(VALU_DEP_1)
	v_writelane_b32 v93, s6, 4
	v_cmp_ge_u32_e64 s6, v2, v46
	v_writelane_b32 v93, s6, 5
	v_cmp_ge_u32_e64 s6, v2, v36
	s_delay_alu instid0(VALU_DEP_1) | instskip(SKIP_1) | instid1(VALU_DEP_1)
	v_writelane_b32 v93, s6, 6
	v_cmp_ge_u32_e64 s6, v2, v37
	v_writelane_b32 v93, s6, 7
	v_cmp_ge_u32_e64 s6, v2, v38
	s_delay_alu instid0(VALU_DEP_1) | instskip(SKIP_1) | instid1(VALU_DEP_1)
	v_writelane_b32 v93, s6, 8
	v_cmp_le_i32_e64 s6, s98, v39
	v_writelane_b32 v93, s6, 9
	v_cmp_gt_u32_e64 s6, 64, v35
	s_delay_alu instid0(VALU_DEP_1) | instskip(SKIP_1) | instid1(VALU_DEP_1)
	v_writelane_b32 v93, s6, 10
	v_cmp_gt_u32_e64 s6, 64, v40
	v_writelane_b32 v93, s6, 11
	v_cmp_gt_u32_e64 s6, 64, v41
	s_delay_alu instid0(VALU_DEP_1) | instskip(SKIP_1) | instid1(VALU_DEP_1)
	v_writelane_b32 v93, s6, 12
	v_cmp_gt_u32_e64 s6, 64, v42
	;; [unrolled: 5-line block ×13, first 2 shown]
	v_writelane_b32 v92, s6, 3
	v_cmp_gt_u32_e64 s6, 0x120, v34
	s_delay_alu instid0(VALU_DEP_1)
	v_writelane_b32 v92, s6, 4
	s_branch .LBB154_3
.LBB154_2:                              ;   in Loop: Header=BB154_3 Depth=1
	s_wait_xcnt 0x0
	s_or_b32 exec_lo, exec_lo, s6
	s_add_co_i32 s84, s84, 0x10000
	global_wb scope:SCOPE_DEV
	s_wait_storecnt 0x0
	global_inv scope:SCOPE_DEV
	s_cmp_lt_u32 s84, s71
	s_cbranch_scc0 .LBB154_1098
.LBB154_3:                              ; =>This Loop Header: Depth=1
                                        ;     Child Loop BB154_588 Depth 2
                                        ;     Child Loop BB154_996 Depth 2
                                        ;       Child Loop BB154_998 Depth 3
                                        ;     Child Loop BB154_1030 Depth 2
	v_mov_b32_e32 v0, s84
	v_readlane_b32 s6, v94, 0
	s_clause 0x1
	global_load_b64 v[34:35], v0, s[80:81] scale_offset
	global_load_b64 v[38:39], v0, s[74:75] scale_offset
	global_load_b64 v[36:37], v1, s[72:73]
	s_and_not1_b32 vcc_lo, exec_lo, s6
	s_wait_loadcnt 0x2
	v_add_nc_u64_e32 v[34:35], s[82:83], v[34:35]
	s_cbranch_vccz .LBB154_6
; %bb.4:                                ;   in Loop: Header=BB154_3 Depth=1
	s_and_not1_b32 vcc_lo, exec_lo, s101
	s_mov_b32 s6, -1
	s_cbranch_vccz .LBB154_17
.LBB154_5:                              ;   in Loop: Header=BB154_3 Depth=1
	s_and_b32 vcc_lo, exec_lo, s6
	s_cbranch_vccnz .LBB154_74
	s_branch .LBB154_131
.LBB154_6:                              ;   in Loop: Header=BB154_3 Depth=1
	s_delay_alu instid0(VALU_DEP_1) | instskip(SKIP_3) | instid1(VALU_DEP_4)
	v_lshl_add_u64 v[40:41], v[8:9], 3, v[34:35]
	v_dual_mov_b32 v42, 0 :: v_dual_mov_b32 v44, 0
	v_mov_b32_e32 v45, 0
	v_readlane_b32 s7, v94, 7
	v_lshl_add_u64 v[40:41], v[6:7], 3, v[40:41]
	s_wait_loadcnt 0x0
	s_barrier_signal -1
	s_barrier_wait -1
	s_wait_xcnt 0x0
	s_and_saveexec_b32 s6, s7
	s_cbranch_execz .LBB154_8
; %bb.7:                                ;   in Loop: Header=BB154_3 Depth=1
	flat_load_b64 v[44:45], v[40:41]
.LBB154_8:                              ;   in Loop: Header=BB154_3 Depth=1
	s_wait_xcnt 0x0
	s_or_b32 exec_lo, exec_lo, s6
	v_mov_b32_e32 v43, 0
	v_readlane_b32 s7, v94, 8
	s_wait_loadcnt_dscnt 0x0
	scratch_store_b64 off, v[44:45], off
	s_wait_storecnt 0x0
	s_barrier_signal -1
	s_barrier_wait -1
	s_wait_xcnt 0x0
	s_and_saveexec_b32 s6, s7
	s_cbranch_execz .LBB154_10
; %bb.9:                                ;   in Loop: Header=BB154_3 Depth=1
	v_add_nc_u64_e32 v[42:43], s[90:91], v[40:41]
	flat_load_b64 v[42:43], v[42:43]
.LBB154_10:                             ;   in Loop: Header=BB154_3 Depth=1
	s_wait_xcnt 0x0
	s_or_b32 exec_lo, exec_lo, s6
	s_wait_loadcnt_dscnt 0x0
	scratch_store_b64 off, v[42:43], off offset:8
	s_wait_xcnt 0x0
	v_dual_mov_b32 v42, 0 :: v_dual_mov_b32 v43, 0
	v_readlane_b32 s7, v94, 9
	s_wait_storecnt 0x0
	s_barrier_signal -1
	s_barrier_wait -1
	s_and_saveexec_b32 s6, s7
	s_cbranch_execz .LBB154_12
; %bb.11:                               ;   in Loop: Header=BB154_3 Depth=1
	v_add_nc_u64_e32 v[42:43], s[92:93], v[40:41]
	flat_load_b64 v[42:43], v[42:43]
.LBB154_12:                             ;   in Loop: Header=BB154_3 Depth=1
	s_wait_xcnt 0x0
	s_or_b32 exec_lo, exec_lo, s6
	v_readlane_b32 s7, v93, 9
	s_wait_loadcnt_dscnt 0x0
	scratch_store_b64 off, v[42:43], off offset:16
	s_wait_storecnt 0x0
	s_barrier_signal -1
	s_barrier_wait -1
	s_wait_xcnt 0x0
	s_and_saveexec_b32 s6, s7
	s_delay_alu instid0(SALU_CYCLE_1)
	s_xor_b32 s6, exec_lo, s6
	s_cbranch_execz .LBB154_14
; %bb.13:                               ;   in Loop: Header=BB154_3 Depth=1
	scratch_store_b64 off, v[32:33], off offset:24
                                        ; implicit-def: $vgpr40_vgpr41
.LBB154_14:                             ;   in Loop: Header=BB154_3 Depth=1
	s_wait_xcnt 0x0
	s_and_not1_saveexec_b32 s6, s6
	s_cbranch_execz .LBB154_16
; %bb.15:                               ;   in Loop: Header=BB154_3 Depth=1
	v_add_nc_u64_e32 v[40:41], s[94:95], v[40:41]
	flat_load_b64 v[40:41], v[40:41]
	s_wait_loadcnt_dscnt 0x0
	scratch_store_b64 off, v[40:41], off offset:24
.LBB154_16:                             ;   in Loop: Header=BB154_3 Depth=1
	s_wait_xcnt 0x0
	s_or_b32 exec_lo, exec_lo, s6
	s_delay_alu instid0(SALU_CYCLE_1)
	s_and_not1_b32 vcc_lo, exec_lo, s101
	s_mov_b32 s6, -1
	s_cbranch_vccnz .LBB154_5
.LBB154_17:                             ;   in Loop: Header=BB154_3 Depth=1
	v_readlane_b32 s7, v94, 10
	s_wait_xcnt 0x0
	s_and_saveexec_b32 s6, s7
	s_delay_alu instid0(SALU_CYCLE_1)
	s_xor_b32 s11, exec_lo, s6
	s_cbranch_execz .LBB154_29
; %bb.18:                               ;   in Loop: Header=BB154_3 Depth=1
	v_readlane_b32 s7, v94, 18
	s_and_saveexec_b32 s6, s7
	s_delay_alu instid0(SALU_CYCLE_1)
	s_xor_b32 s6, exec_lo, s6
	s_cbranch_execz .LBB154_22
; %bb.19:                               ;   in Loop: Header=BB154_3 Depth=1
	v_readlane_b32 s7, v93, 10
	s_and_saveexec_b32 s70, s7
; %bb.20:                               ;   in Loop: Header=BB154_3 Depth=1
	ds_store_b64 v75, v[32:33]
; %bb.21:                               ;   in Loop: Header=BB154_3 Depth=1
	s_or_b32 exec_lo, exec_lo, s70
.LBB154_22:                             ;   in Loop: Header=BB154_3 Depth=1
	s_and_not1_saveexec_b32 s70, s6
	s_cbranch_execz .LBB154_28
; %bb.23:                               ;   in Loop: Header=BB154_3 Depth=1
	v_lshl_add_u64 v[40:41], v[10:11], 3, v[34:35]
	s_mov_b32 s96, exec_lo
                                        ; implicit-def: $vgpr42_vgpr43
	flat_load_b64 v[40:41], v[40:41]
	s_wait_loadcnt_dscnt 0x0
	v_cmpx_ngt_f32_e64 |v40|, |v41|
	s_xor_b32 s96, exec_lo, s96
	s_cbranch_execz .LBB154_25
; %bb.24:                               ;   in Loop: Header=BB154_3 Depth=1
	v_div_scale_f32 v0, null, v41, v41, v40
	v_div_scale_f32 v44, vcc_lo, v40, v41, v40
	s_delay_alu instid0(VALU_DEP_2) | instskip(SKIP_1) | instid1(TRANS32_DEP_1)
	v_rcp_f32_e32 v42, v0
	v_nop
	v_fma_f32 v43, -v0, v42, 1.0
	s_delay_alu instid0(VALU_DEP_1) | instskip(NEXT) | instid1(VALU_DEP_1)
	v_fmac_f32_e32 v42, v43, v42
	v_mul_f32_e32 v43, v44, v42
	s_delay_alu instid0(VALU_DEP_1) | instskip(NEXT) | instid1(VALU_DEP_1)
	v_fma_f32 v45, -v0, v43, v44
	v_fmac_f32_e32 v43, v45, v42
	s_delay_alu instid0(VALU_DEP_1) | instskip(NEXT) | instid1(VALU_DEP_1)
	v_fma_f32 v0, -v0, v43, v44
	v_div_fmas_f32 v0, v0, v42, v43
	s_delay_alu instid0(VALU_DEP_1) | instskip(NEXT) | instid1(VALU_DEP_1)
	v_div_fixup_f32 v0, v0, v41, v40
	v_fmac_f32_e32 v41, v40, v0
	s_delay_alu instid0(VALU_DEP_1) | instskip(SKIP_1) | instid1(VALU_DEP_2)
	v_div_scale_f32 v40, null, v41, v41, 1.0
	v_div_scale_f32 v44, vcc_lo, 1.0, v41, 1.0
	v_rcp_f32_e32 v42, v40
	v_nop
	s_delay_alu instid0(TRANS32_DEP_1) | instskip(NEXT) | instid1(VALU_DEP_1)
	v_fma_f32 v43, -v40, v42, 1.0
	v_fmac_f32_e32 v42, v43, v42
	s_delay_alu instid0(VALU_DEP_1) | instskip(NEXT) | instid1(VALU_DEP_1)
	v_mul_f32_e32 v43, v44, v42
	v_fma_f32 v45, -v40, v43, v44
	s_delay_alu instid0(VALU_DEP_1) | instskip(NEXT) | instid1(VALU_DEP_1)
	v_fmac_f32_e32 v43, v45, v42
	v_fma_f32 v40, -v40, v43, v44
	s_delay_alu instid0(VALU_DEP_1) | instskip(NEXT) | instid1(VALU_DEP_1)
	v_div_fmas_f32 v40, v40, v42, v43
	v_div_fixup_f32 v40, v40, v41, 1.0
	s_delay_alu instid0(VALU_DEP_1)
	v_mul_f32_e32 v42, v0, v40
	v_xor_b32_e32 v43, 0x80000000, v40
                                        ; implicit-def: $vgpr40_vgpr41
.LBB154_25:                             ;   in Loop: Header=BB154_3 Depth=1
	s_and_not1_saveexec_b32 s96, s96
	s_cbranch_execz .LBB154_27
; %bb.26:                               ;   in Loop: Header=BB154_3 Depth=1
	v_div_scale_f32 v0, null, v40, v40, v41
	v_div_scale_f32 v44, vcc_lo, v41, v40, v41
	s_delay_alu instid0(VALU_DEP_2) | instskip(SKIP_1) | instid1(TRANS32_DEP_1)
	v_rcp_f32_e32 v42, v0
	v_nop
	v_fma_f32 v43, -v0, v42, 1.0
	s_delay_alu instid0(VALU_DEP_1) | instskip(NEXT) | instid1(VALU_DEP_1)
	v_fmac_f32_e32 v42, v43, v42
	v_mul_f32_e32 v43, v44, v42
	s_delay_alu instid0(VALU_DEP_1) | instskip(NEXT) | instid1(VALU_DEP_1)
	v_fma_f32 v45, -v0, v43, v44
	v_fmac_f32_e32 v43, v45, v42
	s_delay_alu instid0(VALU_DEP_1) | instskip(NEXT) | instid1(VALU_DEP_1)
	v_fma_f32 v0, -v0, v43, v44
	v_div_fmas_f32 v0, v0, v42, v43
	s_delay_alu instid0(VALU_DEP_1) | instskip(NEXT) | instid1(VALU_DEP_1)
	v_div_fixup_f32 v0, v0, v40, v41
	v_fmac_f32_e32 v40, v41, v0
	s_delay_alu instid0(VALU_DEP_1) | instskip(NEXT) | instid1(VALU_DEP_1)
	v_div_scale_f32 v41, null, v40, v40, 1.0
	v_rcp_f32_e32 v42, v41
	v_nop
	s_delay_alu instid0(TRANS32_DEP_1) | instskip(NEXT) | instid1(VALU_DEP_1)
	v_fma_f32 v43, -v41, v42, 1.0
	v_fmac_f32_e32 v42, v43, v42
	v_div_scale_f32 v43, vcc_lo, 1.0, v40, 1.0
	s_delay_alu instid0(VALU_DEP_1) | instskip(NEXT) | instid1(VALU_DEP_1)
	v_mul_f32_e32 v44, v43, v42
	v_fma_f32 v45, -v41, v44, v43
	s_delay_alu instid0(VALU_DEP_1) | instskip(NEXT) | instid1(VALU_DEP_1)
	v_fmac_f32_e32 v44, v45, v42
	v_fma_f32 v41, -v41, v44, v43
	s_delay_alu instid0(VALU_DEP_1) | instskip(NEXT) | instid1(VALU_DEP_1)
	v_div_fmas_f32 v41, v41, v42, v44
	v_div_fixup_f32 v42, v41, v40, 1.0
	s_delay_alu instid0(VALU_DEP_1)
	v_mul_f32_e64 v43, v0, -v42
.LBB154_27:                             ;   in Loop: Header=BB154_3 Depth=1
	s_or_b32 exec_lo, exec_lo, s96
	ds_store_b64 v75, v[42:43]
.LBB154_28:                             ;   in Loop: Header=BB154_3 Depth=1
	s_or_b32 exec_lo, exec_lo, s70
.LBB154_29:                             ;   in Loop: Header=BB154_3 Depth=1
	s_and_not1_saveexec_b32 s6, s11
	s_cbranch_execz .LBB154_31
; %bb.30:                               ;   in Loop: Header=BB154_3 Depth=1
	v_lshl_add_u64 v[40:41], v[10:11], 3, v[34:35]
	flat_load_b64 v[40:41], v[40:41]
	s_wait_loadcnt_dscnt 0x0
	v_pk_add_f32 v[40:41], v[40:41], 0 neg_lo:[1,1] neg_hi:[1,1]
	ds_store_b64 v75, v[40:41]
.LBB154_31:                             ;   in Loop: Header=BB154_3 Depth=1
	s_or_b32 exec_lo, exec_lo, s6
	v_readlane_b32 s7, v94, 12
	s_and_saveexec_b32 s6, s7
	s_delay_alu instid0(SALU_CYCLE_1)
	s_xor_b32 s11, exec_lo, s6
	s_cbranch_execz .LBB154_43
; %bb.32:                               ;   in Loop: Header=BB154_3 Depth=1
	v_readlane_b32 s7, v94, 20
	s_and_saveexec_b32 s6, s7
	s_delay_alu instid0(SALU_CYCLE_1)
	s_xor_b32 s6, exec_lo, s6
	s_cbranch_execz .LBB154_36
; %bb.33:                               ;   in Loop: Header=BB154_3 Depth=1
	v_readlane_b32 s7, v93, 11
	s_and_saveexec_b32 s70, s7
; %bb.34:                               ;   in Loop: Header=BB154_3 Depth=1
	ds_store_b64 v78, v[32:33]
; %bb.35:                               ;   in Loop: Header=BB154_3 Depth=1
	s_or_b32 exec_lo, exec_lo, s70
.LBB154_36:                             ;   in Loop: Header=BB154_3 Depth=1
	s_and_not1_saveexec_b32 s70, s6
	s_cbranch_execz .LBB154_42
; %bb.37:                               ;   in Loop: Header=BB154_3 Depth=1
	v_lshl_add_u64 v[40:41], v[12:13], 3, v[34:35]
	s_mov_b32 s96, exec_lo
                                        ; implicit-def: $vgpr42_vgpr43
	flat_load_b64 v[40:41], v[40:41]
	s_wait_loadcnt_dscnt 0x0
	v_cmpx_ngt_f32_e64 |v40|, |v41|
	s_xor_b32 s96, exec_lo, s96
	s_cbranch_execz .LBB154_39
; %bb.38:                               ;   in Loop: Header=BB154_3 Depth=1
	v_div_scale_f32 v0, null, v41, v41, v40
	v_div_scale_f32 v44, vcc_lo, v40, v41, v40
	s_delay_alu instid0(VALU_DEP_2) | instskip(SKIP_1) | instid1(TRANS32_DEP_1)
	v_rcp_f32_e32 v42, v0
	v_nop
	v_fma_f32 v43, -v0, v42, 1.0
	s_delay_alu instid0(VALU_DEP_1) | instskip(NEXT) | instid1(VALU_DEP_1)
	v_fmac_f32_e32 v42, v43, v42
	v_mul_f32_e32 v43, v44, v42
	s_delay_alu instid0(VALU_DEP_1) | instskip(NEXT) | instid1(VALU_DEP_1)
	v_fma_f32 v45, -v0, v43, v44
	v_fmac_f32_e32 v43, v45, v42
	s_delay_alu instid0(VALU_DEP_1) | instskip(NEXT) | instid1(VALU_DEP_1)
	v_fma_f32 v0, -v0, v43, v44
	v_div_fmas_f32 v0, v0, v42, v43
	s_delay_alu instid0(VALU_DEP_1) | instskip(NEXT) | instid1(VALU_DEP_1)
	v_div_fixup_f32 v0, v0, v41, v40
	v_fmac_f32_e32 v41, v40, v0
	s_delay_alu instid0(VALU_DEP_1) | instskip(SKIP_1) | instid1(VALU_DEP_2)
	v_div_scale_f32 v40, null, v41, v41, 1.0
	v_div_scale_f32 v44, vcc_lo, 1.0, v41, 1.0
	v_rcp_f32_e32 v42, v40
	v_nop
	s_delay_alu instid0(TRANS32_DEP_1) | instskip(NEXT) | instid1(VALU_DEP_1)
	v_fma_f32 v43, -v40, v42, 1.0
	v_fmac_f32_e32 v42, v43, v42
	s_delay_alu instid0(VALU_DEP_1) | instskip(NEXT) | instid1(VALU_DEP_1)
	v_mul_f32_e32 v43, v44, v42
	v_fma_f32 v45, -v40, v43, v44
	s_delay_alu instid0(VALU_DEP_1) | instskip(NEXT) | instid1(VALU_DEP_1)
	v_fmac_f32_e32 v43, v45, v42
	v_fma_f32 v40, -v40, v43, v44
	s_delay_alu instid0(VALU_DEP_1) | instskip(NEXT) | instid1(VALU_DEP_1)
	v_div_fmas_f32 v40, v40, v42, v43
	v_div_fixup_f32 v40, v40, v41, 1.0
	s_delay_alu instid0(VALU_DEP_1)
	v_mul_f32_e32 v42, v0, v40
	v_xor_b32_e32 v43, 0x80000000, v40
                                        ; implicit-def: $vgpr40_vgpr41
.LBB154_39:                             ;   in Loop: Header=BB154_3 Depth=1
	s_and_not1_saveexec_b32 s96, s96
	s_cbranch_execz .LBB154_41
; %bb.40:                               ;   in Loop: Header=BB154_3 Depth=1
	v_div_scale_f32 v0, null, v40, v40, v41
	v_div_scale_f32 v44, vcc_lo, v41, v40, v41
	s_delay_alu instid0(VALU_DEP_2) | instskip(SKIP_1) | instid1(TRANS32_DEP_1)
	v_rcp_f32_e32 v42, v0
	v_nop
	v_fma_f32 v43, -v0, v42, 1.0
	s_delay_alu instid0(VALU_DEP_1) | instskip(NEXT) | instid1(VALU_DEP_1)
	v_fmac_f32_e32 v42, v43, v42
	v_mul_f32_e32 v43, v44, v42
	s_delay_alu instid0(VALU_DEP_1) | instskip(NEXT) | instid1(VALU_DEP_1)
	v_fma_f32 v45, -v0, v43, v44
	v_fmac_f32_e32 v43, v45, v42
	s_delay_alu instid0(VALU_DEP_1) | instskip(NEXT) | instid1(VALU_DEP_1)
	v_fma_f32 v0, -v0, v43, v44
	v_div_fmas_f32 v0, v0, v42, v43
	s_delay_alu instid0(VALU_DEP_1) | instskip(NEXT) | instid1(VALU_DEP_1)
	v_div_fixup_f32 v0, v0, v40, v41
	v_fmac_f32_e32 v40, v41, v0
	s_delay_alu instid0(VALU_DEP_1) | instskip(NEXT) | instid1(VALU_DEP_1)
	v_div_scale_f32 v41, null, v40, v40, 1.0
	v_rcp_f32_e32 v42, v41
	v_nop
	s_delay_alu instid0(TRANS32_DEP_1) | instskip(NEXT) | instid1(VALU_DEP_1)
	v_fma_f32 v43, -v41, v42, 1.0
	v_fmac_f32_e32 v42, v43, v42
	v_div_scale_f32 v43, vcc_lo, 1.0, v40, 1.0
	s_delay_alu instid0(VALU_DEP_1) | instskip(NEXT) | instid1(VALU_DEP_1)
	v_mul_f32_e32 v44, v43, v42
	v_fma_f32 v45, -v41, v44, v43
	s_delay_alu instid0(VALU_DEP_1) | instskip(NEXT) | instid1(VALU_DEP_1)
	v_fmac_f32_e32 v44, v45, v42
	v_fma_f32 v41, -v41, v44, v43
	s_delay_alu instid0(VALU_DEP_1) | instskip(NEXT) | instid1(VALU_DEP_1)
	v_div_fmas_f32 v41, v41, v42, v44
	v_div_fixup_f32 v42, v41, v40, 1.0
	s_delay_alu instid0(VALU_DEP_1)
	v_mul_f32_e64 v43, v0, -v42
.LBB154_41:                             ;   in Loop: Header=BB154_3 Depth=1
	s_or_b32 exec_lo, exec_lo, s96
	ds_store_b64 v78, v[42:43]
.LBB154_42:                             ;   in Loop: Header=BB154_3 Depth=1
	s_or_b32 exec_lo, exec_lo, s70
.LBB154_43:                             ;   in Loop: Header=BB154_3 Depth=1
	s_and_not1_saveexec_b32 s6, s11
	s_cbranch_execz .LBB154_45
; %bb.44:                               ;   in Loop: Header=BB154_3 Depth=1
	v_lshl_add_u64 v[40:41], v[12:13], 3, v[34:35]
	flat_load_b64 v[40:41], v[40:41]
	s_wait_loadcnt_dscnt 0x0
	v_pk_add_f32 v[40:41], v[40:41], 0 neg_lo:[1,1] neg_hi:[1,1]
	ds_store_b64 v78, v[40:41]
.LBB154_45:                             ;   in Loop: Header=BB154_3 Depth=1
	s_or_b32 exec_lo, exec_lo, s6
	v_readlane_b32 s7, v94, 14
	s_and_saveexec_b32 s6, s7
	s_delay_alu instid0(SALU_CYCLE_1)
	s_xor_b32 s11, exec_lo, s6
	s_cbranch_execz .LBB154_57
; %bb.46:                               ;   in Loop: Header=BB154_3 Depth=1
	v_readlane_b32 s7, v94, 22
	s_and_saveexec_b32 s6, s7
	s_delay_alu instid0(SALU_CYCLE_1)
	s_xor_b32 s6, exec_lo, s6
	s_cbranch_execz .LBB154_50
; %bb.47:                               ;   in Loop: Header=BB154_3 Depth=1
	v_readlane_b32 s7, v93, 12
	s_and_saveexec_b32 s70, s7
; %bb.48:                               ;   in Loop: Header=BB154_3 Depth=1
	ds_store_b64 v79, v[32:33]
; %bb.49:                               ;   in Loop: Header=BB154_3 Depth=1
	s_or_b32 exec_lo, exec_lo, s70
.LBB154_50:                             ;   in Loop: Header=BB154_3 Depth=1
	s_and_not1_saveexec_b32 s70, s6
	s_cbranch_execz .LBB154_56
; %bb.51:                               ;   in Loop: Header=BB154_3 Depth=1
	v_lshl_add_u64 v[40:41], v[16:17], 3, v[34:35]
	s_mov_b32 s96, exec_lo
                                        ; implicit-def: $vgpr42_vgpr43
	flat_load_b64 v[40:41], v[40:41]
	s_wait_loadcnt_dscnt 0x0
	v_cmpx_ngt_f32_e64 |v40|, |v41|
	s_xor_b32 s96, exec_lo, s96
	s_cbranch_execz .LBB154_53
; %bb.52:                               ;   in Loop: Header=BB154_3 Depth=1
	v_div_scale_f32 v0, null, v41, v41, v40
	v_div_scale_f32 v44, vcc_lo, v40, v41, v40
	s_delay_alu instid0(VALU_DEP_2) | instskip(SKIP_1) | instid1(TRANS32_DEP_1)
	v_rcp_f32_e32 v42, v0
	v_nop
	v_fma_f32 v43, -v0, v42, 1.0
	s_delay_alu instid0(VALU_DEP_1) | instskip(NEXT) | instid1(VALU_DEP_1)
	v_fmac_f32_e32 v42, v43, v42
	v_mul_f32_e32 v43, v44, v42
	s_delay_alu instid0(VALU_DEP_1) | instskip(NEXT) | instid1(VALU_DEP_1)
	v_fma_f32 v45, -v0, v43, v44
	v_fmac_f32_e32 v43, v45, v42
	s_delay_alu instid0(VALU_DEP_1) | instskip(NEXT) | instid1(VALU_DEP_1)
	v_fma_f32 v0, -v0, v43, v44
	v_div_fmas_f32 v0, v0, v42, v43
	s_delay_alu instid0(VALU_DEP_1) | instskip(NEXT) | instid1(VALU_DEP_1)
	v_div_fixup_f32 v0, v0, v41, v40
	v_fmac_f32_e32 v41, v40, v0
	s_delay_alu instid0(VALU_DEP_1) | instskip(SKIP_1) | instid1(VALU_DEP_2)
	v_div_scale_f32 v40, null, v41, v41, 1.0
	v_div_scale_f32 v44, vcc_lo, 1.0, v41, 1.0
	v_rcp_f32_e32 v42, v40
	v_nop
	s_delay_alu instid0(TRANS32_DEP_1) | instskip(NEXT) | instid1(VALU_DEP_1)
	v_fma_f32 v43, -v40, v42, 1.0
	v_fmac_f32_e32 v42, v43, v42
	s_delay_alu instid0(VALU_DEP_1) | instskip(NEXT) | instid1(VALU_DEP_1)
	v_mul_f32_e32 v43, v44, v42
	v_fma_f32 v45, -v40, v43, v44
	s_delay_alu instid0(VALU_DEP_1) | instskip(NEXT) | instid1(VALU_DEP_1)
	v_fmac_f32_e32 v43, v45, v42
	v_fma_f32 v40, -v40, v43, v44
	s_delay_alu instid0(VALU_DEP_1) | instskip(NEXT) | instid1(VALU_DEP_1)
	v_div_fmas_f32 v40, v40, v42, v43
	v_div_fixup_f32 v40, v40, v41, 1.0
	s_delay_alu instid0(VALU_DEP_1)
	v_mul_f32_e32 v42, v0, v40
	v_xor_b32_e32 v43, 0x80000000, v40
                                        ; implicit-def: $vgpr40_vgpr41
.LBB154_53:                             ;   in Loop: Header=BB154_3 Depth=1
	s_and_not1_saveexec_b32 s96, s96
	s_cbranch_execz .LBB154_55
; %bb.54:                               ;   in Loop: Header=BB154_3 Depth=1
	v_div_scale_f32 v0, null, v40, v40, v41
	v_div_scale_f32 v44, vcc_lo, v41, v40, v41
	s_delay_alu instid0(VALU_DEP_2) | instskip(SKIP_1) | instid1(TRANS32_DEP_1)
	v_rcp_f32_e32 v42, v0
	v_nop
	v_fma_f32 v43, -v0, v42, 1.0
	s_delay_alu instid0(VALU_DEP_1) | instskip(NEXT) | instid1(VALU_DEP_1)
	v_fmac_f32_e32 v42, v43, v42
	v_mul_f32_e32 v43, v44, v42
	s_delay_alu instid0(VALU_DEP_1) | instskip(NEXT) | instid1(VALU_DEP_1)
	v_fma_f32 v45, -v0, v43, v44
	v_fmac_f32_e32 v43, v45, v42
	s_delay_alu instid0(VALU_DEP_1) | instskip(NEXT) | instid1(VALU_DEP_1)
	v_fma_f32 v0, -v0, v43, v44
	v_div_fmas_f32 v0, v0, v42, v43
	s_delay_alu instid0(VALU_DEP_1) | instskip(NEXT) | instid1(VALU_DEP_1)
	v_div_fixup_f32 v0, v0, v40, v41
	v_fmac_f32_e32 v40, v41, v0
	s_delay_alu instid0(VALU_DEP_1) | instskip(NEXT) | instid1(VALU_DEP_1)
	v_div_scale_f32 v41, null, v40, v40, 1.0
	v_rcp_f32_e32 v42, v41
	v_nop
	s_delay_alu instid0(TRANS32_DEP_1) | instskip(NEXT) | instid1(VALU_DEP_1)
	v_fma_f32 v43, -v41, v42, 1.0
	v_fmac_f32_e32 v42, v43, v42
	v_div_scale_f32 v43, vcc_lo, 1.0, v40, 1.0
	s_delay_alu instid0(VALU_DEP_1) | instskip(NEXT) | instid1(VALU_DEP_1)
	v_mul_f32_e32 v44, v43, v42
	v_fma_f32 v45, -v41, v44, v43
	s_delay_alu instid0(VALU_DEP_1) | instskip(NEXT) | instid1(VALU_DEP_1)
	v_fmac_f32_e32 v44, v45, v42
	v_fma_f32 v41, -v41, v44, v43
	s_delay_alu instid0(VALU_DEP_1) | instskip(NEXT) | instid1(VALU_DEP_1)
	v_div_fmas_f32 v41, v41, v42, v44
	v_div_fixup_f32 v42, v41, v40, 1.0
	s_delay_alu instid0(VALU_DEP_1)
	v_mul_f32_e64 v43, v0, -v42
.LBB154_55:                             ;   in Loop: Header=BB154_3 Depth=1
	s_or_b32 exec_lo, exec_lo, s96
	ds_store_b64 v79, v[42:43]
.LBB154_56:                             ;   in Loop: Header=BB154_3 Depth=1
	s_or_b32 exec_lo, exec_lo, s70
.LBB154_57:                             ;   in Loop: Header=BB154_3 Depth=1
	s_and_not1_saveexec_b32 s6, s11
	s_cbranch_execz .LBB154_59
; %bb.58:                               ;   in Loop: Header=BB154_3 Depth=1
	v_lshl_add_u64 v[40:41], v[16:17], 3, v[34:35]
	flat_load_b64 v[40:41], v[40:41]
	s_wait_loadcnt_dscnt 0x0
	v_pk_add_f32 v[40:41], v[40:41], 0 neg_lo:[1,1] neg_hi:[1,1]
	ds_store_b64 v79, v[40:41]
.LBB154_59:                             ;   in Loop: Header=BB154_3 Depth=1
	s_or_b32 exec_lo, exec_lo, s6
	v_readlane_b32 s7, v94, 16
	s_and_saveexec_b32 s6, s7
	s_delay_alu instid0(SALU_CYCLE_1)
	s_xor_b32 s11, exec_lo, s6
	s_cbranch_execz .LBB154_71
; %bb.60:                               ;   in Loop: Header=BB154_3 Depth=1
	v_readlane_b32 s7, v94, 24
	s_and_saveexec_b32 s6, s7
	s_delay_alu instid0(SALU_CYCLE_1)
	s_xor_b32 s6, exec_lo, s6
	s_cbranch_execz .LBB154_64
; %bb.61:                               ;   in Loop: Header=BB154_3 Depth=1
	v_readlane_b32 s7, v93, 13
	s_and_saveexec_b32 s70, s7
; %bb.62:                               ;   in Loop: Header=BB154_3 Depth=1
	ds_store_b64 v81, v[32:33]
; %bb.63:                               ;   in Loop: Header=BB154_3 Depth=1
	s_or_b32 exec_lo, exec_lo, s70
.LBB154_64:                             ;   in Loop: Header=BB154_3 Depth=1
	s_and_not1_saveexec_b32 s70, s6
	s_cbranch_execz .LBB154_70
; %bb.65:                               ;   in Loop: Header=BB154_3 Depth=1
	v_lshl_add_u64 v[40:41], v[18:19], 3, v[34:35]
	s_mov_b32 s96, exec_lo
                                        ; implicit-def: $vgpr42_vgpr43
	flat_load_b64 v[40:41], v[40:41]
	s_wait_loadcnt_dscnt 0x0
	v_cmpx_ngt_f32_e64 |v40|, |v41|
	s_xor_b32 s96, exec_lo, s96
	s_cbranch_execz .LBB154_67
; %bb.66:                               ;   in Loop: Header=BB154_3 Depth=1
	v_div_scale_f32 v0, null, v41, v41, v40
	v_div_scale_f32 v44, vcc_lo, v40, v41, v40
	s_delay_alu instid0(VALU_DEP_2) | instskip(SKIP_1) | instid1(TRANS32_DEP_1)
	v_rcp_f32_e32 v42, v0
	v_nop
	v_fma_f32 v43, -v0, v42, 1.0
	s_delay_alu instid0(VALU_DEP_1) | instskip(NEXT) | instid1(VALU_DEP_1)
	v_fmac_f32_e32 v42, v43, v42
	v_mul_f32_e32 v43, v44, v42
	s_delay_alu instid0(VALU_DEP_1) | instskip(NEXT) | instid1(VALU_DEP_1)
	v_fma_f32 v45, -v0, v43, v44
	v_fmac_f32_e32 v43, v45, v42
	s_delay_alu instid0(VALU_DEP_1) | instskip(NEXT) | instid1(VALU_DEP_1)
	v_fma_f32 v0, -v0, v43, v44
	v_div_fmas_f32 v0, v0, v42, v43
	s_delay_alu instid0(VALU_DEP_1) | instskip(NEXT) | instid1(VALU_DEP_1)
	v_div_fixup_f32 v0, v0, v41, v40
	v_fmac_f32_e32 v41, v40, v0
	s_delay_alu instid0(VALU_DEP_1) | instskip(SKIP_1) | instid1(VALU_DEP_2)
	v_div_scale_f32 v40, null, v41, v41, 1.0
	v_div_scale_f32 v44, vcc_lo, 1.0, v41, 1.0
	v_rcp_f32_e32 v42, v40
	v_nop
	s_delay_alu instid0(TRANS32_DEP_1) | instskip(NEXT) | instid1(VALU_DEP_1)
	v_fma_f32 v43, -v40, v42, 1.0
	v_fmac_f32_e32 v42, v43, v42
	s_delay_alu instid0(VALU_DEP_1) | instskip(NEXT) | instid1(VALU_DEP_1)
	v_mul_f32_e32 v43, v44, v42
	v_fma_f32 v45, -v40, v43, v44
	s_delay_alu instid0(VALU_DEP_1) | instskip(NEXT) | instid1(VALU_DEP_1)
	v_fmac_f32_e32 v43, v45, v42
	v_fma_f32 v40, -v40, v43, v44
	s_delay_alu instid0(VALU_DEP_1) | instskip(NEXT) | instid1(VALU_DEP_1)
	v_div_fmas_f32 v40, v40, v42, v43
	v_div_fixup_f32 v40, v40, v41, 1.0
	s_delay_alu instid0(VALU_DEP_1)
	v_mul_f32_e32 v42, v0, v40
	v_xor_b32_e32 v43, 0x80000000, v40
                                        ; implicit-def: $vgpr40_vgpr41
.LBB154_67:                             ;   in Loop: Header=BB154_3 Depth=1
	s_and_not1_saveexec_b32 s96, s96
	s_cbranch_execz .LBB154_69
; %bb.68:                               ;   in Loop: Header=BB154_3 Depth=1
	v_div_scale_f32 v0, null, v40, v40, v41
	v_div_scale_f32 v44, vcc_lo, v41, v40, v41
	s_delay_alu instid0(VALU_DEP_2) | instskip(SKIP_1) | instid1(TRANS32_DEP_1)
	v_rcp_f32_e32 v42, v0
	v_nop
	v_fma_f32 v43, -v0, v42, 1.0
	s_delay_alu instid0(VALU_DEP_1) | instskip(NEXT) | instid1(VALU_DEP_1)
	v_fmac_f32_e32 v42, v43, v42
	v_mul_f32_e32 v43, v44, v42
	s_delay_alu instid0(VALU_DEP_1) | instskip(NEXT) | instid1(VALU_DEP_1)
	v_fma_f32 v45, -v0, v43, v44
	v_fmac_f32_e32 v43, v45, v42
	s_delay_alu instid0(VALU_DEP_1) | instskip(NEXT) | instid1(VALU_DEP_1)
	v_fma_f32 v0, -v0, v43, v44
	v_div_fmas_f32 v0, v0, v42, v43
	s_delay_alu instid0(VALU_DEP_1) | instskip(NEXT) | instid1(VALU_DEP_1)
	v_div_fixup_f32 v0, v0, v40, v41
	v_fmac_f32_e32 v40, v41, v0
	s_delay_alu instid0(VALU_DEP_1) | instskip(NEXT) | instid1(VALU_DEP_1)
	v_div_scale_f32 v41, null, v40, v40, 1.0
	v_rcp_f32_e32 v42, v41
	v_nop
	s_delay_alu instid0(TRANS32_DEP_1) | instskip(NEXT) | instid1(VALU_DEP_1)
	v_fma_f32 v43, -v41, v42, 1.0
	v_fmac_f32_e32 v42, v43, v42
	v_div_scale_f32 v43, vcc_lo, 1.0, v40, 1.0
	s_delay_alu instid0(VALU_DEP_1) | instskip(NEXT) | instid1(VALU_DEP_1)
	v_mul_f32_e32 v44, v43, v42
	v_fma_f32 v45, -v41, v44, v43
	s_delay_alu instid0(VALU_DEP_1) | instskip(NEXT) | instid1(VALU_DEP_1)
	v_fmac_f32_e32 v44, v45, v42
	v_fma_f32 v41, -v41, v44, v43
	s_delay_alu instid0(VALU_DEP_1) | instskip(NEXT) | instid1(VALU_DEP_1)
	v_div_fmas_f32 v41, v41, v42, v44
	v_div_fixup_f32 v42, v41, v40, 1.0
	s_delay_alu instid0(VALU_DEP_1)
	v_mul_f32_e64 v43, v0, -v42
.LBB154_69:                             ;   in Loop: Header=BB154_3 Depth=1
	s_or_b32 exec_lo, exec_lo, s96
	ds_store_b64 v81, v[42:43]
.LBB154_70:                             ;   in Loop: Header=BB154_3 Depth=1
	s_or_b32 exec_lo, exec_lo, s70
.LBB154_71:                             ;   in Loop: Header=BB154_3 Depth=1
	s_and_not1_saveexec_b32 s6, s11
	s_cbranch_execz .LBB154_73
; %bb.72:                               ;   in Loop: Header=BB154_3 Depth=1
	v_lshl_add_u64 v[40:41], v[18:19], 3, v[34:35]
	flat_load_b64 v[40:41], v[40:41]
	s_wait_loadcnt_dscnt 0x0
	v_pk_add_f32 v[40:41], v[40:41], 0 neg_lo:[1,1] neg_hi:[1,1]
	ds_store_b64 v81, v[40:41]
.LBB154_73:                             ;   in Loop: Header=BB154_3 Depth=1
	s_or_b32 exec_lo, exec_lo, s6
	s_branch .LBB154_131
.LBB154_74:                             ;   in Loop: Header=BB154_3 Depth=1
	v_readlane_b32 s7, v94, 11
	s_wait_xcnt 0x0
	s_and_saveexec_b32 s6, s7
	s_delay_alu instid0(SALU_CYCLE_1)
	s_xor_b32 s11, exec_lo, s6
	s_cbranch_execz .LBB154_86
; %bb.75:                               ;   in Loop: Header=BB154_3 Depth=1
	v_readlane_b32 s7, v94, 19
	s_and_saveexec_b32 s6, s7
	s_delay_alu instid0(SALU_CYCLE_1)
	s_xor_b32 s6, exec_lo, s6
	s_cbranch_execz .LBB154_79
; %bb.76:                               ;   in Loop: Header=BB154_3 Depth=1
	v_readlane_b32 s7, v93, 10
	s_and_saveexec_b32 s70, s7
; %bb.77:                               ;   in Loop: Header=BB154_3 Depth=1
	ds_store_b64 v75, v[32:33]
; %bb.78:                               ;   in Loop: Header=BB154_3 Depth=1
	s_or_b32 exec_lo, exec_lo, s70
.LBB154_79:                             ;   in Loop: Header=BB154_3 Depth=1
	s_and_not1_saveexec_b32 s70, s6
	s_cbranch_execz .LBB154_85
; %bb.80:                               ;   in Loop: Header=BB154_3 Depth=1
	v_lshl_add_u64 v[40:41], v[10:11], 3, v[34:35]
	s_mov_b32 s96, exec_lo
                                        ; implicit-def: $vgpr42_vgpr43
	flat_load_b64 v[40:41], v[40:41]
	s_wait_loadcnt_dscnt 0x0
	v_cmpx_ngt_f32_e64 |v40|, |v41|
	s_xor_b32 s96, exec_lo, s96
	s_cbranch_execz .LBB154_82
; %bb.81:                               ;   in Loop: Header=BB154_3 Depth=1
	v_div_scale_f32 v0, null, v41, v41, v40
	v_div_scale_f32 v44, vcc_lo, v40, v41, v40
	s_delay_alu instid0(VALU_DEP_2) | instskip(SKIP_1) | instid1(TRANS32_DEP_1)
	v_rcp_f32_e32 v42, v0
	v_nop
	v_fma_f32 v43, -v0, v42, 1.0
	s_delay_alu instid0(VALU_DEP_1) | instskip(NEXT) | instid1(VALU_DEP_1)
	v_fmac_f32_e32 v42, v43, v42
	v_mul_f32_e32 v43, v44, v42
	s_delay_alu instid0(VALU_DEP_1) | instskip(NEXT) | instid1(VALU_DEP_1)
	v_fma_f32 v45, -v0, v43, v44
	v_fmac_f32_e32 v43, v45, v42
	s_delay_alu instid0(VALU_DEP_1) | instskip(NEXT) | instid1(VALU_DEP_1)
	v_fma_f32 v0, -v0, v43, v44
	v_div_fmas_f32 v0, v0, v42, v43
	s_delay_alu instid0(VALU_DEP_1) | instskip(NEXT) | instid1(VALU_DEP_1)
	v_div_fixup_f32 v0, v0, v41, v40
	v_fmac_f32_e32 v41, v40, v0
	s_delay_alu instid0(VALU_DEP_1) | instskip(SKIP_1) | instid1(VALU_DEP_2)
	v_div_scale_f32 v40, null, v41, v41, 1.0
	v_div_scale_f32 v44, vcc_lo, 1.0, v41, 1.0
	v_rcp_f32_e32 v42, v40
	v_nop
	s_delay_alu instid0(TRANS32_DEP_1) | instskip(NEXT) | instid1(VALU_DEP_1)
	v_fma_f32 v43, -v40, v42, 1.0
	v_fmac_f32_e32 v42, v43, v42
	s_delay_alu instid0(VALU_DEP_1) | instskip(NEXT) | instid1(VALU_DEP_1)
	v_mul_f32_e32 v43, v44, v42
	v_fma_f32 v45, -v40, v43, v44
	s_delay_alu instid0(VALU_DEP_1) | instskip(NEXT) | instid1(VALU_DEP_1)
	v_fmac_f32_e32 v43, v45, v42
	v_fma_f32 v40, -v40, v43, v44
	s_delay_alu instid0(VALU_DEP_1) | instskip(NEXT) | instid1(VALU_DEP_1)
	v_div_fmas_f32 v40, v40, v42, v43
	v_div_fixup_f32 v40, v40, v41, 1.0
	s_delay_alu instid0(VALU_DEP_1)
	v_mul_f32_e32 v42, v0, v40
	v_xor_b32_e32 v43, 0x80000000, v40
                                        ; implicit-def: $vgpr40_vgpr41
.LBB154_82:                             ;   in Loop: Header=BB154_3 Depth=1
	s_and_not1_saveexec_b32 s96, s96
	s_cbranch_execz .LBB154_84
; %bb.83:                               ;   in Loop: Header=BB154_3 Depth=1
	v_div_scale_f32 v0, null, v40, v40, v41
	v_div_scale_f32 v44, vcc_lo, v41, v40, v41
	s_delay_alu instid0(VALU_DEP_2) | instskip(SKIP_1) | instid1(TRANS32_DEP_1)
	v_rcp_f32_e32 v42, v0
	v_nop
	v_fma_f32 v43, -v0, v42, 1.0
	s_delay_alu instid0(VALU_DEP_1) | instskip(NEXT) | instid1(VALU_DEP_1)
	v_fmac_f32_e32 v42, v43, v42
	v_mul_f32_e32 v43, v44, v42
	s_delay_alu instid0(VALU_DEP_1) | instskip(NEXT) | instid1(VALU_DEP_1)
	v_fma_f32 v45, -v0, v43, v44
	v_fmac_f32_e32 v43, v45, v42
	s_delay_alu instid0(VALU_DEP_1) | instskip(NEXT) | instid1(VALU_DEP_1)
	v_fma_f32 v0, -v0, v43, v44
	v_div_fmas_f32 v0, v0, v42, v43
	s_delay_alu instid0(VALU_DEP_1) | instskip(NEXT) | instid1(VALU_DEP_1)
	v_div_fixup_f32 v0, v0, v40, v41
	v_fmac_f32_e32 v40, v41, v0
	s_delay_alu instid0(VALU_DEP_1) | instskip(NEXT) | instid1(VALU_DEP_1)
	v_div_scale_f32 v41, null, v40, v40, 1.0
	v_rcp_f32_e32 v42, v41
	v_nop
	s_delay_alu instid0(TRANS32_DEP_1) | instskip(NEXT) | instid1(VALU_DEP_1)
	v_fma_f32 v43, -v41, v42, 1.0
	v_fmac_f32_e32 v42, v43, v42
	v_div_scale_f32 v43, vcc_lo, 1.0, v40, 1.0
	s_delay_alu instid0(VALU_DEP_1) | instskip(NEXT) | instid1(VALU_DEP_1)
	v_mul_f32_e32 v44, v43, v42
	v_fma_f32 v45, -v41, v44, v43
	s_delay_alu instid0(VALU_DEP_1) | instskip(NEXT) | instid1(VALU_DEP_1)
	v_fmac_f32_e32 v44, v45, v42
	v_fma_f32 v41, -v41, v44, v43
	s_delay_alu instid0(VALU_DEP_1) | instskip(NEXT) | instid1(VALU_DEP_1)
	v_div_fmas_f32 v41, v41, v42, v44
	v_div_fixup_f32 v42, v41, v40, 1.0
	s_delay_alu instid0(VALU_DEP_1)
	v_mul_f32_e64 v43, v0, -v42
.LBB154_84:                             ;   in Loop: Header=BB154_3 Depth=1
	s_or_b32 exec_lo, exec_lo, s96
	ds_store_b64 v75, v[42:43]
.LBB154_85:                             ;   in Loop: Header=BB154_3 Depth=1
	s_or_b32 exec_lo, exec_lo, s70
.LBB154_86:                             ;   in Loop: Header=BB154_3 Depth=1
	s_and_not1_saveexec_b32 s6, s11
	s_cbranch_execz .LBB154_88
; %bb.87:                               ;   in Loop: Header=BB154_3 Depth=1
	v_lshl_add_u64 v[40:41], v[10:11], 3, v[34:35]
	flat_load_b64 v[40:41], v[40:41]
	s_wait_loadcnt_dscnt 0x0
	v_pk_add_f32 v[40:41], v[40:41], 0 neg_lo:[1,1] neg_hi:[1,1]
	ds_store_b64 v75, v[40:41]
.LBB154_88:                             ;   in Loop: Header=BB154_3 Depth=1
	s_or_b32 exec_lo, exec_lo, s6
	v_readlane_b32 s7, v94, 13
	s_and_saveexec_b32 s6, s7
	s_delay_alu instid0(SALU_CYCLE_1)
	s_xor_b32 s11, exec_lo, s6
	s_cbranch_execz .LBB154_100
; %bb.89:                               ;   in Loop: Header=BB154_3 Depth=1
	v_readlane_b32 s7, v94, 21
	s_and_saveexec_b32 s6, s7
	s_delay_alu instid0(SALU_CYCLE_1)
	s_xor_b32 s6, exec_lo, s6
	s_cbranch_execz .LBB154_93
; %bb.90:                               ;   in Loop: Header=BB154_3 Depth=1
	v_readlane_b32 s7, v93, 11
	s_and_saveexec_b32 s70, s7
; %bb.91:                               ;   in Loop: Header=BB154_3 Depth=1
	ds_store_b64 v78, v[32:33]
; %bb.92:                               ;   in Loop: Header=BB154_3 Depth=1
	s_or_b32 exec_lo, exec_lo, s70
.LBB154_93:                             ;   in Loop: Header=BB154_3 Depth=1
	s_and_not1_saveexec_b32 s70, s6
	s_cbranch_execz .LBB154_99
; %bb.94:                               ;   in Loop: Header=BB154_3 Depth=1
	v_lshl_add_u64 v[40:41], v[12:13], 3, v[34:35]
	s_mov_b32 s96, exec_lo
                                        ; implicit-def: $vgpr42_vgpr43
	flat_load_b64 v[40:41], v[40:41]
	s_wait_loadcnt_dscnt 0x0
	v_cmpx_ngt_f32_e64 |v40|, |v41|
	s_xor_b32 s96, exec_lo, s96
	s_cbranch_execz .LBB154_96
; %bb.95:                               ;   in Loop: Header=BB154_3 Depth=1
	v_div_scale_f32 v0, null, v41, v41, v40
	v_div_scale_f32 v44, vcc_lo, v40, v41, v40
	s_delay_alu instid0(VALU_DEP_2) | instskip(SKIP_1) | instid1(TRANS32_DEP_1)
	v_rcp_f32_e32 v42, v0
	v_nop
	v_fma_f32 v43, -v0, v42, 1.0
	s_delay_alu instid0(VALU_DEP_1) | instskip(NEXT) | instid1(VALU_DEP_1)
	v_fmac_f32_e32 v42, v43, v42
	v_mul_f32_e32 v43, v44, v42
	s_delay_alu instid0(VALU_DEP_1) | instskip(NEXT) | instid1(VALU_DEP_1)
	v_fma_f32 v45, -v0, v43, v44
	v_fmac_f32_e32 v43, v45, v42
	s_delay_alu instid0(VALU_DEP_1) | instskip(NEXT) | instid1(VALU_DEP_1)
	v_fma_f32 v0, -v0, v43, v44
	v_div_fmas_f32 v0, v0, v42, v43
	s_delay_alu instid0(VALU_DEP_1) | instskip(NEXT) | instid1(VALU_DEP_1)
	v_div_fixup_f32 v0, v0, v41, v40
	v_fmac_f32_e32 v41, v40, v0
	s_delay_alu instid0(VALU_DEP_1) | instskip(SKIP_1) | instid1(VALU_DEP_2)
	v_div_scale_f32 v40, null, v41, v41, 1.0
	v_div_scale_f32 v44, vcc_lo, 1.0, v41, 1.0
	v_rcp_f32_e32 v42, v40
	v_nop
	s_delay_alu instid0(TRANS32_DEP_1) | instskip(NEXT) | instid1(VALU_DEP_1)
	v_fma_f32 v43, -v40, v42, 1.0
	v_fmac_f32_e32 v42, v43, v42
	s_delay_alu instid0(VALU_DEP_1) | instskip(NEXT) | instid1(VALU_DEP_1)
	v_mul_f32_e32 v43, v44, v42
	v_fma_f32 v45, -v40, v43, v44
	s_delay_alu instid0(VALU_DEP_1) | instskip(NEXT) | instid1(VALU_DEP_1)
	v_fmac_f32_e32 v43, v45, v42
	v_fma_f32 v40, -v40, v43, v44
	s_delay_alu instid0(VALU_DEP_1) | instskip(NEXT) | instid1(VALU_DEP_1)
	v_div_fmas_f32 v40, v40, v42, v43
	v_div_fixup_f32 v40, v40, v41, 1.0
	s_delay_alu instid0(VALU_DEP_1)
	v_mul_f32_e32 v42, v0, v40
	v_xor_b32_e32 v43, 0x80000000, v40
                                        ; implicit-def: $vgpr40_vgpr41
.LBB154_96:                             ;   in Loop: Header=BB154_3 Depth=1
	s_and_not1_saveexec_b32 s96, s96
	s_cbranch_execz .LBB154_98
; %bb.97:                               ;   in Loop: Header=BB154_3 Depth=1
	v_div_scale_f32 v0, null, v40, v40, v41
	v_div_scale_f32 v44, vcc_lo, v41, v40, v41
	s_delay_alu instid0(VALU_DEP_2) | instskip(SKIP_1) | instid1(TRANS32_DEP_1)
	v_rcp_f32_e32 v42, v0
	v_nop
	v_fma_f32 v43, -v0, v42, 1.0
	s_delay_alu instid0(VALU_DEP_1) | instskip(NEXT) | instid1(VALU_DEP_1)
	v_fmac_f32_e32 v42, v43, v42
	v_mul_f32_e32 v43, v44, v42
	s_delay_alu instid0(VALU_DEP_1) | instskip(NEXT) | instid1(VALU_DEP_1)
	v_fma_f32 v45, -v0, v43, v44
	v_fmac_f32_e32 v43, v45, v42
	s_delay_alu instid0(VALU_DEP_1) | instskip(NEXT) | instid1(VALU_DEP_1)
	v_fma_f32 v0, -v0, v43, v44
	v_div_fmas_f32 v0, v0, v42, v43
	s_delay_alu instid0(VALU_DEP_1) | instskip(NEXT) | instid1(VALU_DEP_1)
	v_div_fixup_f32 v0, v0, v40, v41
	v_fmac_f32_e32 v40, v41, v0
	s_delay_alu instid0(VALU_DEP_1) | instskip(NEXT) | instid1(VALU_DEP_1)
	v_div_scale_f32 v41, null, v40, v40, 1.0
	v_rcp_f32_e32 v42, v41
	v_nop
	s_delay_alu instid0(TRANS32_DEP_1) | instskip(NEXT) | instid1(VALU_DEP_1)
	v_fma_f32 v43, -v41, v42, 1.0
	v_fmac_f32_e32 v42, v43, v42
	v_div_scale_f32 v43, vcc_lo, 1.0, v40, 1.0
	s_delay_alu instid0(VALU_DEP_1) | instskip(NEXT) | instid1(VALU_DEP_1)
	v_mul_f32_e32 v44, v43, v42
	v_fma_f32 v45, -v41, v44, v43
	s_delay_alu instid0(VALU_DEP_1) | instskip(NEXT) | instid1(VALU_DEP_1)
	v_fmac_f32_e32 v44, v45, v42
	v_fma_f32 v41, -v41, v44, v43
	s_delay_alu instid0(VALU_DEP_1) | instskip(NEXT) | instid1(VALU_DEP_1)
	v_div_fmas_f32 v41, v41, v42, v44
	v_div_fixup_f32 v42, v41, v40, 1.0
	s_delay_alu instid0(VALU_DEP_1)
	v_mul_f32_e64 v43, v0, -v42
.LBB154_98:                             ;   in Loop: Header=BB154_3 Depth=1
	s_or_b32 exec_lo, exec_lo, s96
	ds_store_b64 v78, v[42:43]
.LBB154_99:                             ;   in Loop: Header=BB154_3 Depth=1
	s_or_b32 exec_lo, exec_lo, s70
.LBB154_100:                            ;   in Loop: Header=BB154_3 Depth=1
	s_and_not1_saveexec_b32 s6, s11
	s_cbranch_execz .LBB154_102
; %bb.101:                              ;   in Loop: Header=BB154_3 Depth=1
	v_lshl_add_u64 v[40:41], v[12:13], 3, v[34:35]
	flat_load_b64 v[40:41], v[40:41]
	s_wait_loadcnt_dscnt 0x0
	v_pk_add_f32 v[40:41], v[40:41], 0 neg_lo:[1,1] neg_hi:[1,1]
	ds_store_b64 v78, v[40:41]
.LBB154_102:                            ;   in Loop: Header=BB154_3 Depth=1
	s_or_b32 exec_lo, exec_lo, s6
	v_readlane_b32 s7, v94, 15
	s_and_saveexec_b32 s6, s7
	s_delay_alu instid0(SALU_CYCLE_1)
	s_xor_b32 s11, exec_lo, s6
	s_cbranch_execz .LBB154_114
; %bb.103:                              ;   in Loop: Header=BB154_3 Depth=1
	v_readlane_b32 s7, v94, 23
	s_and_saveexec_b32 s6, s7
	s_delay_alu instid0(SALU_CYCLE_1)
	s_xor_b32 s6, exec_lo, s6
	s_cbranch_execz .LBB154_107
; %bb.104:                              ;   in Loop: Header=BB154_3 Depth=1
	v_readlane_b32 s7, v93, 12
	s_and_saveexec_b32 s70, s7
; %bb.105:                              ;   in Loop: Header=BB154_3 Depth=1
	ds_store_b64 v79, v[32:33]
; %bb.106:                              ;   in Loop: Header=BB154_3 Depth=1
	s_or_b32 exec_lo, exec_lo, s70
.LBB154_107:                            ;   in Loop: Header=BB154_3 Depth=1
	s_and_not1_saveexec_b32 s70, s6
	s_cbranch_execz .LBB154_113
; %bb.108:                              ;   in Loop: Header=BB154_3 Depth=1
	v_lshl_add_u64 v[40:41], v[16:17], 3, v[34:35]
	s_mov_b32 s96, exec_lo
                                        ; implicit-def: $vgpr42_vgpr43
	flat_load_b64 v[40:41], v[40:41]
	s_wait_loadcnt_dscnt 0x0
	v_cmpx_ngt_f32_e64 |v40|, |v41|
	s_xor_b32 s96, exec_lo, s96
	s_cbranch_execz .LBB154_110
; %bb.109:                              ;   in Loop: Header=BB154_3 Depth=1
	v_div_scale_f32 v0, null, v41, v41, v40
	v_div_scale_f32 v44, vcc_lo, v40, v41, v40
	s_delay_alu instid0(VALU_DEP_2) | instskip(SKIP_1) | instid1(TRANS32_DEP_1)
	v_rcp_f32_e32 v42, v0
	v_nop
	v_fma_f32 v43, -v0, v42, 1.0
	s_delay_alu instid0(VALU_DEP_1) | instskip(NEXT) | instid1(VALU_DEP_1)
	v_fmac_f32_e32 v42, v43, v42
	v_mul_f32_e32 v43, v44, v42
	s_delay_alu instid0(VALU_DEP_1) | instskip(NEXT) | instid1(VALU_DEP_1)
	v_fma_f32 v45, -v0, v43, v44
	v_fmac_f32_e32 v43, v45, v42
	s_delay_alu instid0(VALU_DEP_1) | instskip(NEXT) | instid1(VALU_DEP_1)
	v_fma_f32 v0, -v0, v43, v44
	v_div_fmas_f32 v0, v0, v42, v43
	s_delay_alu instid0(VALU_DEP_1) | instskip(NEXT) | instid1(VALU_DEP_1)
	v_div_fixup_f32 v0, v0, v41, v40
	v_fmac_f32_e32 v41, v40, v0
	s_delay_alu instid0(VALU_DEP_1) | instskip(SKIP_1) | instid1(VALU_DEP_2)
	v_div_scale_f32 v40, null, v41, v41, 1.0
	v_div_scale_f32 v44, vcc_lo, 1.0, v41, 1.0
	v_rcp_f32_e32 v42, v40
	v_nop
	s_delay_alu instid0(TRANS32_DEP_1) | instskip(NEXT) | instid1(VALU_DEP_1)
	v_fma_f32 v43, -v40, v42, 1.0
	v_fmac_f32_e32 v42, v43, v42
	s_delay_alu instid0(VALU_DEP_1) | instskip(NEXT) | instid1(VALU_DEP_1)
	v_mul_f32_e32 v43, v44, v42
	v_fma_f32 v45, -v40, v43, v44
	s_delay_alu instid0(VALU_DEP_1) | instskip(NEXT) | instid1(VALU_DEP_1)
	v_fmac_f32_e32 v43, v45, v42
	v_fma_f32 v40, -v40, v43, v44
	s_delay_alu instid0(VALU_DEP_1) | instskip(NEXT) | instid1(VALU_DEP_1)
	v_div_fmas_f32 v40, v40, v42, v43
	v_div_fixup_f32 v40, v40, v41, 1.0
	s_delay_alu instid0(VALU_DEP_1)
	v_mul_f32_e32 v42, v0, v40
	v_xor_b32_e32 v43, 0x80000000, v40
                                        ; implicit-def: $vgpr40_vgpr41
.LBB154_110:                            ;   in Loop: Header=BB154_3 Depth=1
	s_and_not1_saveexec_b32 s96, s96
	s_cbranch_execz .LBB154_112
; %bb.111:                              ;   in Loop: Header=BB154_3 Depth=1
	v_div_scale_f32 v0, null, v40, v40, v41
	v_div_scale_f32 v44, vcc_lo, v41, v40, v41
	s_delay_alu instid0(VALU_DEP_2) | instskip(SKIP_1) | instid1(TRANS32_DEP_1)
	v_rcp_f32_e32 v42, v0
	v_nop
	v_fma_f32 v43, -v0, v42, 1.0
	s_delay_alu instid0(VALU_DEP_1) | instskip(NEXT) | instid1(VALU_DEP_1)
	v_fmac_f32_e32 v42, v43, v42
	v_mul_f32_e32 v43, v44, v42
	s_delay_alu instid0(VALU_DEP_1) | instskip(NEXT) | instid1(VALU_DEP_1)
	v_fma_f32 v45, -v0, v43, v44
	v_fmac_f32_e32 v43, v45, v42
	s_delay_alu instid0(VALU_DEP_1) | instskip(NEXT) | instid1(VALU_DEP_1)
	v_fma_f32 v0, -v0, v43, v44
	v_div_fmas_f32 v0, v0, v42, v43
	s_delay_alu instid0(VALU_DEP_1) | instskip(NEXT) | instid1(VALU_DEP_1)
	v_div_fixup_f32 v0, v0, v40, v41
	v_fmac_f32_e32 v40, v41, v0
	s_delay_alu instid0(VALU_DEP_1) | instskip(NEXT) | instid1(VALU_DEP_1)
	v_div_scale_f32 v41, null, v40, v40, 1.0
	v_rcp_f32_e32 v42, v41
	v_nop
	s_delay_alu instid0(TRANS32_DEP_1) | instskip(NEXT) | instid1(VALU_DEP_1)
	v_fma_f32 v43, -v41, v42, 1.0
	v_fmac_f32_e32 v42, v43, v42
	v_div_scale_f32 v43, vcc_lo, 1.0, v40, 1.0
	s_delay_alu instid0(VALU_DEP_1) | instskip(NEXT) | instid1(VALU_DEP_1)
	v_mul_f32_e32 v44, v43, v42
	v_fma_f32 v45, -v41, v44, v43
	s_delay_alu instid0(VALU_DEP_1) | instskip(NEXT) | instid1(VALU_DEP_1)
	v_fmac_f32_e32 v44, v45, v42
	v_fma_f32 v41, -v41, v44, v43
	s_delay_alu instid0(VALU_DEP_1) | instskip(NEXT) | instid1(VALU_DEP_1)
	v_div_fmas_f32 v41, v41, v42, v44
	v_div_fixup_f32 v42, v41, v40, 1.0
	s_delay_alu instid0(VALU_DEP_1)
	v_mul_f32_e64 v43, v0, -v42
.LBB154_112:                            ;   in Loop: Header=BB154_3 Depth=1
	s_or_b32 exec_lo, exec_lo, s96
	ds_store_b64 v79, v[42:43]
.LBB154_113:                            ;   in Loop: Header=BB154_3 Depth=1
	s_or_b32 exec_lo, exec_lo, s70
.LBB154_114:                            ;   in Loop: Header=BB154_3 Depth=1
	s_and_not1_saveexec_b32 s6, s11
	s_cbranch_execz .LBB154_116
; %bb.115:                              ;   in Loop: Header=BB154_3 Depth=1
	v_lshl_add_u64 v[40:41], v[16:17], 3, v[34:35]
	flat_load_b64 v[40:41], v[40:41]
	s_wait_loadcnt_dscnt 0x0
	v_pk_add_f32 v[40:41], v[40:41], 0 neg_lo:[1,1] neg_hi:[1,1]
	ds_store_b64 v79, v[40:41]
.LBB154_116:                            ;   in Loop: Header=BB154_3 Depth=1
	s_or_b32 exec_lo, exec_lo, s6
	v_readlane_b32 s7, v94, 17
	s_and_saveexec_b32 s6, s7
	s_delay_alu instid0(SALU_CYCLE_1)
	s_xor_b32 s11, exec_lo, s6
	s_cbranch_execz .LBB154_128
; %bb.117:                              ;   in Loop: Header=BB154_3 Depth=1
	v_readlane_b32 s7, v94, 25
	s_and_saveexec_b32 s6, s7
	s_delay_alu instid0(SALU_CYCLE_1)
	s_xor_b32 s6, exec_lo, s6
	s_cbranch_execz .LBB154_121
; %bb.118:                              ;   in Loop: Header=BB154_3 Depth=1
	v_readlane_b32 s7, v93, 13
	s_and_saveexec_b32 s70, s7
; %bb.119:                              ;   in Loop: Header=BB154_3 Depth=1
	ds_store_b64 v81, v[32:33]
; %bb.120:                              ;   in Loop: Header=BB154_3 Depth=1
	s_or_b32 exec_lo, exec_lo, s70
.LBB154_121:                            ;   in Loop: Header=BB154_3 Depth=1
	s_and_not1_saveexec_b32 s70, s6
	s_cbranch_execz .LBB154_127
; %bb.122:                              ;   in Loop: Header=BB154_3 Depth=1
	v_lshl_add_u64 v[40:41], v[18:19], 3, v[34:35]
	s_mov_b32 s96, exec_lo
                                        ; implicit-def: $vgpr42_vgpr43
	flat_load_b64 v[40:41], v[40:41]
	s_wait_loadcnt_dscnt 0x0
	v_cmpx_ngt_f32_e64 |v40|, |v41|
	s_xor_b32 s96, exec_lo, s96
	s_cbranch_execz .LBB154_124
; %bb.123:                              ;   in Loop: Header=BB154_3 Depth=1
	v_div_scale_f32 v0, null, v41, v41, v40
	v_div_scale_f32 v44, vcc_lo, v40, v41, v40
	s_delay_alu instid0(VALU_DEP_2) | instskip(SKIP_1) | instid1(TRANS32_DEP_1)
	v_rcp_f32_e32 v42, v0
	v_nop
	v_fma_f32 v43, -v0, v42, 1.0
	s_delay_alu instid0(VALU_DEP_1) | instskip(NEXT) | instid1(VALU_DEP_1)
	v_fmac_f32_e32 v42, v43, v42
	v_mul_f32_e32 v43, v44, v42
	s_delay_alu instid0(VALU_DEP_1) | instskip(NEXT) | instid1(VALU_DEP_1)
	v_fma_f32 v45, -v0, v43, v44
	v_fmac_f32_e32 v43, v45, v42
	s_delay_alu instid0(VALU_DEP_1) | instskip(NEXT) | instid1(VALU_DEP_1)
	v_fma_f32 v0, -v0, v43, v44
	v_div_fmas_f32 v0, v0, v42, v43
	s_delay_alu instid0(VALU_DEP_1) | instskip(NEXT) | instid1(VALU_DEP_1)
	v_div_fixup_f32 v0, v0, v41, v40
	v_fmac_f32_e32 v41, v40, v0
	s_delay_alu instid0(VALU_DEP_1) | instskip(SKIP_1) | instid1(VALU_DEP_2)
	v_div_scale_f32 v40, null, v41, v41, 1.0
	v_div_scale_f32 v44, vcc_lo, 1.0, v41, 1.0
	v_rcp_f32_e32 v42, v40
	v_nop
	s_delay_alu instid0(TRANS32_DEP_1) | instskip(NEXT) | instid1(VALU_DEP_1)
	v_fma_f32 v43, -v40, v42, 1.0
	v_fmac_f32_e32 v42, v43, v42
	s_delay_alu instid0(VALU_DEP_1) | instskip(NEXT) | instid1(VALU_DEP_1)
	v_mul_f32_e32 v43, v44, v42
	v_fma_f32 v45, -v40, v43, v44
	s_delay_alu instid0(VALU_DEP_1) | instskip(NEXT) | instid1(VALU_DEP_1)
	v_fmac_f32_e32 v43, v45, v42
	v_fma_f32 v40, -v40, v43, v44
	s_delay_alu instid0(VALU_DEP_1) | instskip(NEXT) | instid1(VALU_DEP_1)
	v_div_fmas_f32 v40, v40, v42, v43
	v_div_fixup_f32 v40, v40, v41, 1.0
	s_delay_alu instid0(VALU_DEP_1)
	v_mul_f32_e32 v42, v0, v40
	v_xor_b32_e32 v43, 0x80000000, v40
                                        ; implicit-def: $vgpr40_vgpr41
.LBB154_124:                            ;   in Loop: Header=BB154_3 Depth=1
	s_and_not1_saveexec_b32 s96, s96
	s_cbranch_execz .LBB154_126
; %bb.125:                              ;   in Loop: Header=BB154_3 Depth=1
	v_div_scale_f32 v0, null, v40, v40, v41
	v_div_scale_f32 v44, vcc_lo, v41, v40, v41
	s_delay_alu instid0(VALU_DEP_2) | instskip(SKIP_1) | instid1(TRANS32_DEP_1)
	v_rcp_f32_e32 v42, v0
	v_nop
	v_fma_f32 v43, -v0, v42, 1.0
	s_delay_alu instid0(VALU_DEP_1) | instskip(NEXT) | instid1(VALU_DEP_1)
	v_fmac_f32_e32 v42, v43, v42
	v_mul_f32_e32 v43, v44, v42
	s_delay_alu instid0(VALU_DEP_1) | instskip(NEXT) | instid1(VALU_DEP_1)
	v_fma_f32 v45, -v0, v43, v44
	v_fmac_f32_e32 v43, v45, v42
	s_delay_alu instid0(VALU_DEP_1) | instskip(NEXT) | instid1(VALU_DEP_1)
	v_fma_f32 v0, -v0, v43, v44
	v_div_fmas_f32 v0, v0, v42, v43
	s_delay_alu instid0(VALU_DEP_1) | instskip(NEXT) | instid1(VALU_DEP_1)
	v_div_fixup_f32 v0, v0, v40, v41
	v_fmac_f32_e32 v40, v41, v0
	s_delay_alu instid0(VALU_DEP_1) | instskip(NEXT) | instid1(VALU_DEP_1)
	v_div_scale_f32 v41, null, v40, v40, 1.0
	v_rcp_f32_e32 v42, v41
	v_nop
	s_delay_alu instid0(TRANS32_DEP_1) | instskip(NEXT) | instid1(VALU_DEP_1)
	v_fma_f32 v43, -v41, v42, 1.0
	v_fmac_f32_e32 v42, v43, v42
	v_div_scale_f32 v43, vcc_lo, 1.0, v40, 1.0
	s_delay_alu instid0(VALU_DEP_1) | instskip(NEXT) | instid1(VALU_DEP_1)
	v_mul_f32_e32 v44, v43, v42
	v_fma_f32 v45, -v41, v44, v43
	s_delay_alu instid0(VALU_DEP_1) | instskip(NEXT) | instid1(VALU_DEP_1)
	v_fmac_f32_e32 v44, v45, v42
	v_fma_f32 v41, -v41, v44, v43
	s_delay_alu instid0(VALU_DEP_1) | instskip(NEXT) | instid1(VALU_DEP_1)
	v_div_fmas_f32 v41, v41, v42, v44
	v_div_fixup_f32 v42, v41, v40, 1.0
	s_delay_alu instid0(VALU_DEP_1)
	v_mul_f32_e64 v43, v0, -v42
.LBB154_126:                            ;   in Loop: Header=BB154_3 Depth=1
	s_or_b32 exec_lo, exec_lo, s96
	ds_store_b64 v81, v[42:43]
.LBB154_127:                            ;   in Loop: Header=BB154_3 Depth=1
	s_or_b32 exec_lo, exec_lo, s70
.LBB154_128:                            ;   in Loop: Header=BB154_3 Depth=1
	s_and_not1_saveexec_b32 s6, s11
	s_cbranch_execz .LBB154_130
; %bb.129:                              ;   in Loop: Header=BB154_3 Depth=1
	v_lshl_add_u64 v[40:41], v[18:19], 3, v[34:35]
	flat_load_b64 v[40:41], v[40:41]
	s_wait_loadcnt_dscnt 0x0
	v_pk_add_f32 v[40:41], v[40:41], 0 neg_lo:[1,1] neg_hi:[1,1]
	ds_store_b64 v81, v[40:41]
.LBB154_130:                            ;   in Loop: Header=BB154_3 Depth=1
	s_or_b32 exec_lo, exec_lo, s6
.LBB154_131:                            ;   in Loop: Header=BB154_3 Depth=1
	s_delay_alu instid0(SALU_CYCLE_1)
	s_and_not1_b32 vcc_lo, exec_lo, s102
	s_wait_storecnt 0x0
	s_wait_loadcnt_dscnt 0x0
	s_barrier_signal -1
	s_barrier_wait -1
	s_cbranch_vccnz .LBB154_991
; %bb.132:                              ;   in Loop: Header=BB154_3 Depth=1
	s_wait_xcnt 0x0
	s_and_saveexec_b32 s11, s14
	s_cbranch_execz .LBB154_134
; %bb.133:                              ;   in Loop: Header=BB154_3 Depth=1
	ds_load_b128 v[40:43], v1
	ds_load_b64 v[44:45], v1 offset:520
	s_wait_dscnt 0x1
	v_dual_mov_b32 v84, v43 :: v_dual_mov_b32 v85, v42
	s_wait_dscnt 0x0
	v_dual_mul_f32 v83, v45, v41 :: v_dual_mul_f32 v0, v44, v41
	s_delay_alu instid0(VALU_DEP_1) | instskip(NEXT) | instid1(VALU_DEP_1)
	v_xor_b32_e32 v86, 0x80000000, v83
	v_dual_fmac_f32 v0, v45, v40 :: v_dual_fmac_f32 v86, v44, v40
	s_delay_alu instid0(VALU_DEP_1) | instskip(NEXT) | instid1(VALU_DEP_1)
	v_pk_mul_f32 v[40:41], v[0:1], v[84:85] op_sel_hi:[0,1]
	v_pk_fma_f32 v[44:45], v[86:87], v[42:43], v[40:41] op_sel_hi:[0,1,1]
	v_pk_fma_f32 v[40:41], v[86:87], v[42:43], v[40:41] neg_lo:[0,0,1] neg_hi:[0,0,1]
	s_delay_alu instid0(VALU_DEP_2)
	v_mov_b32_e32 v41, v45
	ds_store_b64 v1, v[40:41] offset:8
.LBB154_134:                            ;   in Loop: Header=BB154_3 Depth=1
	s_or_b32 exec_lo, exec_lo, s11
	v_mov_b32_e32 v41, 0
	s_wait_dscnt 0x0
	s_barrier_signal -1
	s_barrier_wait -1
	s_delay_alu instid0(VALU_DEP_1)
	v_mov_b32_e32 v40, v41
	s_and_saveexec_b32 s11, s1
	s_cbranch_execz .LBB154_138
; %bb.135:                              ;   in Loop: Header=BB154_3 Depth=1
	ds_load_b64 v[40:41], v48 offset:16
	ds_load_b64 v[42:43], v49
	s_wait_dscnt 0x0
	v_dual_mul_f32 v0, v43, v41 :: v_dual_mul_f32 v45, v42, v41
	s_delay_alu instid0(VALU_DEP_1) | instskip(NEXT) | instid1(VALU_DEP_1)
	v_dual_fma_f32 v44, v42, v40, -v0 :: v_dual_fmac_f32 v45, v43, v40
	v_pk_add_f32 v[40:41], v[44:45], 0 op_sel_hi:[1,0]
	s_and_saveexec_b32 s6, s15
	s_cbranch_execz .LBB154_137
; %bb.136:                              ;   in Loop: Header=BB154_3 Depth=1
	ds_load_b64 v[42:43], v50 offset:528
	ds_load_b64 v[44:45], v1 offset:8
	s_wait_dscnt 0x0
	v_pk_mul_f32 v[84:85], v[44:45], v[42:43] op_sel:[1,1] op_sel_hi:[0,1]
	s_delay_alu instid0(VALU_DEP_1) | instskip(SKIP_1) | instid1(VALU_DEP_2)
	v_pk_fma_f32 v[86:87], v[44:45], v[42:43], v[84:85] op_sel_hi:[1,0,1]
	v_pk_fma_f32 v[42:43], v[44:45], v[42:43], v[84:85] neg_lo:[0,0,1] neg_hi:[0,0,1]
	v_mov_b32_e32 v43, v87
	s_delay_alu instid0(VALU_DEP_1)
	v_pk_add_f32 v[40:41], v[40:41], v[42:43]
.LBB154_137:                            ;   in Loop: Header=BB154_3 Depth=1
	s_or_b32 exec_lo, exec_lo, s6
	s_delay_alu instid0(VALU_DEP_1)
	v_pk_add_f32 v[40:41], v[40:41], 0 neg_lo:[1,1] neg_hi:[1,1]
.LBB154_138:                            ;   in Loop: Header=BB154_3 Depth=1
	s_or_b32 exec_lo, exec_lo, s11
	s_and_saveexec_b32 s6, s103
	s_cbranch_execz .LBB154_140
; %bb.139:                              ;   in Loop: Header=BB154_3 Depth=1
	ds_load_b64 v[42:43], v1 offset:1040
	s_wait_dscnt 0x0
	v_pk_mul_f32 v[44:45], v[40:41], v[42:43] op_sel:[1,1] op_sel_hi:[1,0]
	s_delay_alu instid0(VALU_DEP_1) | instskip(SKIP_1) | instid1(VALU_DEP_2)
	v_pk_fma_f32 v[84:85], v[40:41], v[42:43], v[44:45] op_sel_hi:[0,1,1]
	v_pk_fma_f32 v[42:43], v[40:41], v[42:43], v[44:45] neg_lo:[0,0,1] neg_hi:[0,0,1]
	v_mov_b32_e32 v43, v85
	s_delay_alu instid0(VALU_DEP_1)
	v_mov_b64_e32 v[40:41], v[42:43]
	ds_store_b64 v3, v[42:43]
.LBB154_140:                            ;   in Loop: Header=BB154_3 Depth=1
	s_or_b32 exec_lo, exec_lo, s6
	s_wait_dscnt 0x0
	s_barrier_signal -1
	s_barrier_wait -1
	s_and_saveexec_b32 s6, s104
	s_cbranch_execz .LBB154_142
; %bb.141:                              ;   in Loop: Header=BB154_3 Depth=1
	ds_load_b64 v[42:43], v1 offset:1048
	ds_load_b64 v[44:45], v3
	s_wait_dscnt 0x0
	v_pk_mul_f32 v[84:85], v[44:45], v[42:43] op_sel:[1,1] op_sel_hi:[0,1]
	s_delay_alu instid0(VALU_DEP_1) | instskip(SKIP_1) | instid1(VALU_DEP_2)
	v_pk_fma_f32 v[86:87], v[44:45], v[42:43], v[84:85] op_sel_hi:[1,0,1]
	v_pk_fma_f32 v[42:43], v[44:45], v[42:43], v[84:85] neg_lo:[0,0,1] neg_hi:[0,0,1]
	v_mov_b32_e32 v43, v87
	s_delay_alu instid0(VALU_DEP_1)
	v_pk_add_f32 v[40:41], v[40:41], v[42:43]
.LBB154_142:                            ;   in Loop: Header=BB154_3 Depth=1
	s_or_b32 exec_lo, exec_lo, s6
	s_barrier_signal -1
	s_barrier_wait -1
	s_and_saveexec_b32 s6, s104
	s_cbranch_execz .LBB154_144
; %bb.143:                              ;   in Loop: Header=BB154_3 Depth=1
	ds_load_b64 v[42:43], v1 offset:1560
	s_wait_dscnt 0x0
	v_pk_mul_f32 v[44:45], v[40:41], v[42:43] op_sel:[1,1] op_sel_hi:[1,0]
	s_delay_alu instid0(VALU_DEP_1) | instskip(SKIP_1) | instid1(VALU_DEP_2)
	v_pk_fma_f32 v[84:85], v[40:41], v[42:43], v[44:45] op_sel_hi:[0,1,1]
	v_pk_fma_f32 v[42:43], v[40:41], v[42:43], v[44:45] neg_lo:[0,0,1] neg_hi:[0,0,1]
	v_mov_b32_e32 v43, v85
	s_delay_alu instid0(VALU_DEP_1)
	v_mov_b64_e32 v[40:41], v[42:43]
	ds_store_b64 v3, v[42:43]
.LBB154_144:                            ;   in Loop: Header=BB154_3 Depth=1
	s_or_b32 exec_lo, exec_lo, s6
	s_wait_dscnt 0x0
	s_barrier_signal -1
	s_barrier_wait -1
	s_barrier_signal -1
	s_barrier_wait -1
	s_and_saveexec_b32 s6, s1
; %bb.145:                              ;   in Loop: Header=BB154_3 Depth=1
	v_pk_add_f32 v[40:41], v[40:41], 0 neg_lo:[1,1] neg_hi:[1,1]
	ds_store_b64 v48, v[40:41] offset:16
; %bb.146:                              ;   in Loop: Header=BB154_3 Depth=1
	s_or_b32 exec_lo, exec_lo, s6
	s_wait_dscnt 0x0
	s_barrier_signal -1
	s_barrier_wait -1
	s_barrier_signal -1
	s_barrier_wait -1
	s_and_saveexec_b32 s11, s14
	s_cbranch_execz .LBB154_148
; %bb.147:                              ;   in Loop: Header=BB154_3 Depth=1
	ds_load_b128 v[40:43], v1 offset:1040
	ds_load_b64 v[44:45], v1 offset:1560
	s_wait_dscnt 0x1
	v_dual_mov_b32 v84, v43 :: v_dual_mov_b32 v85, v42
	s_wait_dscnt 0x0
	v_dual_mul_f32 v83, v45, v41 :: v_dual_mul_f32 v0, v44, v41
	s_delay_alu instid0(VALU_DEP_1) | instskip(NEXT) | instid1(VALU_DEP_1)
	v_xor_b32_e32 v86, 0x80000000, v83
	v_dual_fmac_f32 v0, v45, v40 :: v_dual_fmac_f32 v86, v44, v40
	s_delay_alu instid0(VALU_DEP_1) | instskip(NEXT) | instid1(VALU_DEP_1)
	v_pk_mul_f32 v[40:41], v[0:1], v[84:85] op_sel_hi:[0,1]
	v_pk_fma_f32 v[44:45], v[86:87], v[42:43], v[40:41] op_sel_hi:[0,1,1]
	v_pk_fma_f32 v[40:41], v[86:87], v[42:43], v[40:41] neg_lo:[0,0,1] neg_hi:[0,0,1]
	s_delay_alu instid0(VALU_DEP_2)
	v_mov_b32_e32 v41, v45
	ds_store_b64 v1, v[40:41] offset:1048
.LBB154_148:                            ;   in Loop: Header=BB154_3 Depth=1
	s_or_b32 exec_lo, exec_lo, s11
	v_mov_b32_e32 v40, 0
	s_wait_dscnt 0x0
	s_barrier_signal -1
	s_barrier_wait -1
	s_delay_alu instid0(VALU_DEP_1)
	v_mov_b32_e32 v41, v40
	s_and_saveexec_b32 s11, s2
	s_cbranch_execz .LBB154_154
; %bb.149:                              ;   in Loop: Header=BB154_3 Depth=1
	ds_load_b64 v[40:41], v54 offset:32
	ds_load_b64 v[42:43], v52
	s_wait_dscnt 0x0
	v_pk_mul_f32 v[44:45], v[42:43], v[40:41] op_sel:[0,1]
	s_delay_alu instid0(VALU_DEP_1) | instskip(SKIP_1) | instid1(VALU_DEP_2)
	v_pk_fma_f32 v[84:85], v[42:43], v[40:41], v[44:45] op_sel:[1,0,0] op_sel_hi:[0,0,1] neg_lo:[0,0,1] neg_hi:[0,0,1]
	v_pk_fma_f32 v[40:41], v[42:43], v[40:41], v[44:45] op_sel:[1,0,0] op_sel_hi:[0,1,1]
	v_mov_b32_e32 v41, v85
	s_delay_alu instid0(VALU_DEP_1)
	v_pk_add_f32 v[40:41], v[40:41], 0 op_sel_hi:[1,0]
	s_and_saveexec_b32 s6, s16
	s_cbranch_execnz .LBB154_1048
; %bb.150:                              ;   in Loop: Header=BB154_3 Depth=1
	s_or_b32 exec_lo, exec_lo, s6
	s_and_saveexec_b32 s6, s17
	s_cbranch_execnz .LBB154_1049
.LBB154_151:                            ;   in Loop: Header=BB154_3 Depth=1
	s_or_b32 exec_lo, exec_lo, s6
	s_and_saveexec_b32 s6, s1
	s_cbranch_execz .LBB154_153
.LBB154_152:                            ;   in Loop: Header=BB154_3 Depth=1
	ds_load_b64 v[42:43], v50 offset:1568
	ds_load_b64 v[44:45], v1 offset:24
	s_wait_dscnt 0x0
	v_pk_mul_f32 v[84:85], v[44:45], v[42:43] op_sel:[0,1]
	s_delay_alu instid0(VALU_DEP_1) | instskip(SKIP_1) | instid1(VALU_DEP_2)
	v_pk_fma_f32 v[86:87], v[44:45], v[42:43], v[84:85] op_sel:[1,0,0] op_sel_hi:[0,0,1] neg_lo:[0,0,1] neg_hi:[0,0,1]
	v_pk_fma_f32 v[42:43], v[44:45], v[42:43], v[84:85] op_sel:[1,0,0] op_sel_hi:[0,1,1]
	v_mov_b32_e32 v43, v87
	s_delay_alu instid0(VALU_DEP_1)
	v_pk_add_f32 v[40:41], v[40:41], v[42:43]
.LBB154_153:                            ;   in Loop: Header=BB154_3 Depth=1
	s_or_b32 exec_lo, exec_lo, s6
	s_delay_alu instid0(VALU_DEP_1) | instskip(NEXT) | instid1(VALU_DEP_1)
	v_pk_add_f32 v[42:43], v[40:41], 0 neg_lo:[1,1] neg_hi:[1,1]
	v_dual_mov_b32 v40, v43 :: v_dual_mov_b32 v41, v42
.LBB154_154:                            ;   in Loop: Header=BB154_3 Depth=1
	s_or_b32 exec_lo, exec_lo, s11
	s_and_saveexec_b32 s6, vcc_hi
	s_cbranch_execz .LBB154_156
; %bb.155:                              ;   in Loop: Header=BB154_3 Depth=1
	ds_load_b64 v[42:43], v1 offset:2080
	v_dual_mov_b32 v44, v41 :: v_dual_mov_b32 v45, v40
	s_wait_dscnt 0x0
	s_delay_alu instid0(VALU_DEP_1) | instskip(NEXT) | instid1(VALU_DEP_1)
	v_dual_mul_f32 v0, v44, v42 :: v_dual_mul_f32 v84, v41, v43
	v_pk_fma_f32 v[44:45], v[44:45], v[42:43], v[0:1] op_sel_hi:[1,1,0]
	s_delay_alu instid0(VALU_DEP_2) | instskip(NEXT) | instid1(VALU_DEP_2)
	v_pk_fma_f32 v[40:41], v[40:41], v[42:43], v[84:85] op_sel_hi:[1,1,0] neg_lo:[0,0,1] neg_hi:[0,0,1]
	v_mov_b32_e32 v41, v45
	ds_store_b64 v53, v[40:41]
.LBB154_156:                            ;   in Loop: Header=BB154_3 Depth=1
	s_or_b32 exec_lo, exec_lo, s6
	s_wait_dscnt 0x0
	s_barrier_signal -1
	s_barrier_wait -1
	s_and_saveexec_b32 s6, s43
	s_cbranch_execz .LBB154_158
; %bb.157:                              ;   in Loop: Header=BB154_3 Depth=1
	ds_load_b64 v[42:43], v51 offset:2080
	ds_load_b64 v[44:45], v53
	s_wait_dscnt 0x0
	v_dual_mul_f32 v0, v45, v43 :: v_dual_mul_f32 v85, v44, v43
	s_delay_alu instid0(VALU_DEP_1) | instskip(NEXT) | instid1(VALU_DEP_1)
	v_dual_fma_f32 v84, v44, v42, -v0 :: v_dual_fmac_f32 v85, v45, v42
	v_pk_add_f32 v[40:41], v[40:41], v[84:85]
.LBB154_158:                            ;   in Loop: Header=BB154_3 Depth=1
	s_or_b32 exec_lo, exec_lo, s6
	s_barrier_signal -1
	s_barrier_wait -1
	s_and_saveexec_b32 s6, s44
	s_cbranch_execz .LBB154_160
; %bb.159:                              ;   in Loop: Header=BB154_3 Depth=1
	ds_load_b64 v[42:43], v1 offset:2600
	s_wait_dscnt 0x0
	v_pk_mul_f32 v[44:45], v[40:41], v[42:43] op_sel:[1,1] op_sel_hi:[1,0]
	s_delay_alu instid0(VALU_DEP_1) | instskip(SKIP_1) | instid1(VALU_DEP_2)
	v_pk_fma_f32 v[84:85], v[40:41], v[42:43], v[44:45] op_sel_hi:[0,1,1]
	v_pk_fma_f32 v[42:43], v[40:41], v[42:43], v[44:45] neg_lo:[0,0,1] neg_hi:[0,0,1]
	v_mov_b32_e32 v43, v85
	s_delay_alu instid0(VALU_DEP_1)
	v_mov_b64_e32 v[40:41], v[42:43]
	ds_store_b64 v53, v[42:43]
.LBB154_160:                            ;   in Loop: Header=BB154_3 Depth=1
	s_or_b32 exec_lo, exec_lo, s6
	s_wait_dscnt 0x0
	s_barrier_signal -1
	s_barrier_wait -1
	s_and_saveexec_b32 s6, s45
	s_cbranch_execz .LBB154_162
; %bb.161:                              ;   in Loop: Header=BB154_3 Depth=1
	ds_load_b64 v[42:43], v51 offset:2592
	ds_load_b64 v[44:45], v53
	s_wait_dscnt 0x0
	v_pk_mul_f32 v[84:85], v[44:45], v[42:43] op_sel:[1,1] op_sel_hi:[0,1]
	s_delay_alu instid0(VALU_DEP_1) | instskip(SKIP_1) | instid1(VALU_DEP_2)
	v_pk_fma_f32 v[86:87], v[44:45], v[42:43], v[84:85] op_sel_hi:[1,0,1]
	v_pk_fma_f32 v[42:43], v[44:45], v[42:43], v[84:85] neg_lo:[0,0,1] neg_hi:[0,0,1]
	v_mov_b32_e32 v43, v87
	s_delay_alu instid0(VALU_DEP_1)
	v_pk_add_f32 v[40:41], v[40:41], v[42:43]
.LBB154_162:                            ;   in Loop: Header=BB154_3 Depth=1
	s_or_b32 exec_lo, exec_lo, s6
	s_barrier_signal -1
	s_barrier_wait -1
	s_and_saveexec_b32 s6, s46
	s_cbranch_execz .LBB154_164
; %bb.163:                              ;   in Loop: Header=BB154_3 Depth=1
	ds_load_b64 v[42:43], v1 offset:3120
	s_wait_dscnt 0x0
	v_pk_mul_f32 v[44:45], v[40:41], v[42:43] op_sel:[1,1] op_sel_hi:[1,0]
	s_delay_alu instid0(VALU_DEP_1) | instskip(SKIP_1) | instid1(VALU_DEP_2)
	v_pk_fma_f32 v[84:85], v[40:41], v[42:43], v[44:45] op_sel_hi:[0,1,1]
	v_pk_fma_f32 v[42:43], v[40:41], v[42:43], v[44:45] neg_lo:[0,0,1] neg_hi:[0,0,1]
	v_mov_b32_e32 v43, v85
	s_delay_alu instid0(VALU_DEP_1)
	v_mov_b64_e32 v[40:41], v[42:43]
	ds_store_b64 v53, v[42:43]
.LBB154_164:                            ;   in Loop: Header=BB154_3 Depth=1
	s_or_b32 exec_lo, exec_lo, s6
	s_wait_dscnt 0x0
	s_barrier_signal -1
	s_barrier_wait -1
	s_and_saveexec_b32 s6, s47
	s_cbranch_execz .LBB154_166
; %bb.165:                              ;   in Loop: Header=BB154_3 Depth=1
	ds_load_b64 v[42:43], v1 offset:3128
	ds_load_b64 v[44:45], v53
	s_wait_dscnt 0x0
	v_pk_mul_f32 v[84:85], v[44:45], v[42:43] op_sel:[1,1] op_sel_hi:[0,1]
	s_delay_alu instid0(VALU_DEP_1) | instskip(SKIP_1) | instid1(VALU_DEP_2)
	v_pk_fma_f32 v[86:87], v[44:45], v[42:43], v[84:85] op_sel_hi:[1,0,1]
	v_pk_fma_f32 v[42:43], v[44:45], v[42:43], v[84:85] neg_lo:[0,0,1] neg_hi:[0,0,1]
	v_mov_b32_e32 v43, v87
	s_delay_alu instid0(VALU_DEP_1)
	v_pk_add_f32 v[40:41], v[40:41], v[42:43]
.LBB154_166:                            ;   in Loop: Header=BB154_3 Depth=1
	s_or_b32 exec_lo, exec_lo, s6
	s_barrier_signal -1
	s_barrier_wait -1
	s_and_saveexec_b32 s6, s47
	s_cbranch_execz .LBB154_168
; %bb.167:                              ;   in Loop: Header=BB154_3 Depth=1
	ds_load_b64 v[42:43], v1 offset:3640
	s_wait_dscnt 0x0
	v_pk_mul_f32 v[44:45], v[40:41], v[42:43] op_sel:[1,1] op_sel_hi:[1,0]
	s_delay_alu instid0(VALU_DEP_1) | instskip(SKIP_1) | instid1(VALU_DEP_2)
	v_pk_fma_f32 v[84:85], v[40:41], v[42:43], v[44:45] op_sel_hi:[0,1,1]
	v_pk_fma_f32 v[42:43], v[40:41], v[42:43], v[44:45] neg_lo:[0,0,1] neg_hi:[0,0,1]
	v_mov_b32_e32 v43, v85
	s_delay_alu instid0(VALU_DEP_1)
	v_mov_b64_e32 v[40:41], v[42:43]
	ds_store_b64 v53, v[42:43]
.LBB154_168:                            ;   in Loop: Header=BB154_3 Depth=1
	s_or_b32 exec_lo, exec_lo, s6
	s_wait_dscnt 0x0
	s_barrier_signal -1
	s_barrier_wait -1
	s_barrier_signal -1
	s_barrier_wait -1
	s_and_saveexec_b32 s6, s2
; %bb.169:                              ;   in Loop: Header=BB154_3 Depth=1
	v_pk_add_f32 v[40:41], v[40:41], 0 neg_lo:[1,1] neg_hi:[1,1]
	ds_store_b64 v54, v[40:41] offset:32
; %bb.170:                              ;   in Loop: Header=BB154_3 Depth=1
	s_or_b32 exec_lo, exec_lo, s6
	s_wait_dscnt 0x0
	s_barrier_signal -1
	s_barrier_wait -1
	s_barrier_signal -1
	s_barrier_wait -1
	s_and_saveexec_b32 s11, s14
	s_cbranch_execz .LBB154_172
; %bb.171:                              ;   in Loop: Header=BB154_3 Depth=1
	ds_load_b128 v[40:43], v1 offset:2080
	ds_load_b64 v[44:45], v1 offset:2600
	s_wait_dscnt 0x1
	v_dual_mov_b32 v84, v43 :: v_dual_mov_b32 v85, v42
	s_wait_dscnt 0x0
	v_dual_mul_f32 v83, v45, v41 :: v_dual_mul_f32 v0, v44, v41
	s_delay_alu instid0(VALU_DEP_1) | instskip(NEXT) | instid1(VALU_DEP_1)
	v_xor_b32_e32 v86, 0x80000000, v83
	v_dual_fmac_f32 v0, v45, v40 :: v_dual_fmac_f32 v86, v44, v40
	s_delay_alu instid0(VALU_DEP_1) | instskip(NEXT) | instid1(VALU_DEP_1)
	v_pk_mul_f32 v[40:41], v[0:1], v[84:85] op_sel_hi:[0,1]
	v_pk_fma_f32 v[44:45], v[86:87], v[42:43], v[40:41] op_sel_hi:[0,1,1]
	v_pk_fma_f32 v[40:41], v[86:87], v[42:43], v[40:41] neg_lo:[0,0,1] neg_hi:[0,0,1]
	s_delay_alu instid0(VALU_DEP_2)
	v_mov_b32_e32 v41, v45
	ds_store_b64 v1, v[40:41] offset:2088
.LBB154_172:                            ;   in Loop: Header=BB154_3 Depth=1
	s_or_b32 exec_lo, exec_lo, s11
	v_mov_b32_e32 v41, 0
	s_wait_dscnt 0x0
	s_barrier_signal -1
	s_barrier_wait -1
	s_delay_alu instid0(VALU_DEP_1)
	v_mov_b32_e32 v40, v41
	s_and_saveexec_b32 s11, s1
	s_cbranch_execz .LBB154_176
; %bb.173:                              ;   in Loop: Header=BB154_3 Depth=1
	ds_load_b64 v[40:41], v48 offset:2096
	ds_load_b64 v[42:43], v49 offset:2080
	s_wait_dscnt 0x0
	v_dual_mul_f32 v0, v43, v41 :: v_dual_mul_f32 v45, v42, v41
	s_delay_alu instid0(VALU_DEP_1) | instskip(NEXT) | instid1(VALU_DEP_1)
	v_dual_fma_f32 v44, v42, v40, -v0 :: v_dual_fmac_f32 v45, v43, v40
	v_pk_add_f32 v[40:41], v[44:45], 0 op_sel_hi:[1,0]
	s_and_saveexec_b32 s6, s15
	s_cbranch_execz .LBB154_175
; %bb.174:                              ;   in Loop: Header=BB154_3 Depth=1
	ds_load_b64 v[42:43], v50 offset:2608
	ds_load_b64 v[44:45], v1 offset:2088
	s_wait_dscnt 0x0
	v_pk_mul_f32 v[84:85], v[44:45], v[42:43] op_sel:[1,1] op_sel_hi:[0,1]
	s_delay_alu instid0(VALU_DEP_1) | instskip(SKIP_1) | instid1(VALU_DEP_2)
	v_pk_fma_f32 v[86:87], v[44:45], v[42:43], v[84:85] op_sel_hi:[1,0,1]
	v_pk_fma_f32 v[42:43], v[44:45], v[42:43], v[84:85] neg_lo:[0,0,1] neg_hi:[0,0,1]
	v_mov_b32_e32 v43, v87
	s_delay_alu instid0(VALU_DEP_1)
	v_pk_add_f32 v[40:41], v[40:41], v[42:43]
.LBB154_175:                            ;   in Loop: Header=BB154_3 Depth=1
	s_or_b32 exec_lo, exec_lo, s6
	s_delay_alu instid0(VALU_DEP_1)
	v_pk_add_f32 v[40:41], v[40:41], 0 neg_lo:[1,1] neg_hi:[1,1]
.LBB154_176:                            ;   in Loop: Header=BB154_3 Depth=1
	s_or_b32 exec_lo, exec_lo, s11
	s_and_saveexec_b32 s6, s103
	s_cbranch_execz .LBB154_178
; %bb.177:                              ;   in Loop: Header=BB154_3 Depth=1
	ds_load_b64 v[42:43], v1 offset:3120
	s_wait_dscnt 0x0
	v_pk_mul_f32 v[44:45], v[40:41], v[42:43] op_sel:[1,1] op_sel_hi:[1,0]
	s_delay_alu instid0(VALU_DEP_1) | instskip(SKIP_1) | instid1(VALU_DEP_2)
	v_pk_fma_f32 v[84:85], v[40:41], v[42:43], v[44:45] op_sel_hi:[0,1,1]
	v_pk_fma_f32 v[42:43], v[40:41], v[42:43], v[44:45] neg_lo:[0,0,1] neg_hi:[0,0,1]
	v_mov_b32_e32 v43, v85
	s_delay_alu instid0(VALU_DEP_1)
	v_mov_b64_e32 v[40:41], v[42:43]
	ds_store_b64 v3, v[42:43]
.LBB154_178:                            ;   in Loop: Header=BB154_3 Depth=1
	s_or_b32 exec_lo, exec_lo, s6
	s_wait_dscnt 0x0
	s_barrier_signal -1
	s_barrier_wait -1
	s_and_saveexec_b32 s6, s104
	s_cbranch_execz .LBB154_180
; %bb.179:                              ;   in Loop: Header=BB154_3 Depth=1
	ds_load_b64 v[42:43], v1 offset:3128
	ds_load_b64 v[44:45], v3
	s_wait_dscnt 0x0
	v_pk_mul_f32 v[84:85], v[44:45], v[42:43] op_sel:[1,1] op_sel_hi:[0,1]
	s_delay_alu instid0(VALU_DEP_1) | instskip(SKIP_1) | instid1(VALU_DEP_2)
	v_pk_fma_f32 v[86:87], v[44:45], v[42:43], v[84:85] op_sel_hi:[1,0,1]
	v_pk_fma_f32 v[42:43], v[44:45], v[42:43], v[84:85] neg_lo:[0,0,1] neg_hi:[0,0,1]
	v_mov_b32_e32 v43, v87
	s_delay_alu instid0(VALU_DEP_1)
	v_pk_add_f32 v[40:41], v[40:41], v[42:43]
.LBB154_180:                            ;   in Loop: Header=BB154_3 Depth=1
	s_or_b32 exec_lo, exec_lo, s6
	s_barrier_signal -1
	s_barrier_wait -1
	s_and_saveexec_b32 s6, s104
	s_cbranch_execz .LBB154_182
; %bb.181:                              ;   in Loop: Header=BB154_3 Depth=1
	ds_load_b64 v[42:43], v1 offset:3640
	s_wait_dscnt 0x0
	v_pk_mul_f32 v[44:45], v[40:41], v[42:43] op_sel:[1,1] op_sel_hi:[1,0]
	s_delay_alu instid0(VALU_DEP_1) | instskip(SKIP_1) | instid1(VALU_DEP_2)
	v_pk_fma_f32 v[84:85], v[40:41], v[42:43], v[44:45] op_sel_hi:[0,1,1]
	v_pk_fma_f32 v[42:43], v[40:41], v[42:43], v[44:45] neg_lo:[0,0,1] neg_hi:[0,0,1]
	v_mov_b32_e32 v43, v85
	s_delay_alu instid0(VALU_DEP_1)
	v_mov_b64_e32 v[40:41], v[42:43]
	ds_store_b64 v3, v[42:43]
.LBB154_182:                            ;   in Loop: Header=BB154_3 Depth=1
	s_or_b32 exec_lo, exec_lo, s6
	s_wait_dscnt 0x0
	s_barrier_signal -1
	s_barrier_wait -1
	s_barrier_signal -1
	s_barrier_wait -1
	s_and_saveexec_b32 s6, s1
; %bb.183:                              ;   in Loop: Header=BB154_3 Depth=1
	v_pk_add_f32 v[40:41], v[40:41], 0 neg_lo:[1,1] neg_hi:[1,1]
	ds_store_b64 v48, v[40:41] offset:2096
; %bb.184:                              ;   in Loop: Header=BB154_3 Depth=1
	s_or_b32 exec_lo, exec_lo, s6
	s_wait_dscnt 0x0
	s_barrier_signal -1
	s_barrier_wait -1
	s_barrier_signal -1
	s_barrier_wait -1
	s_and_saveexec_b32 s11, s14
	s_cbranch_execz .LBB154_186
; %bb.185:                              ;   in Loop: Header=BB154_3 Depth=1
	ds_load_b128 v[40:43], v1 offset:3120
	ds_load_b64 v[44:45], v1 offset:3640
	s_wait_dscnt 0x1
	v_dual_mov_b32 v84, v43 :: v_dual_mov_b32 v85, v42
	s_wait_dscnt 0x0
	v_dual_mul_f32 v83, v45, v41 :: v_dual_mul_f32 v0, v44, v41
	s_delay_alu instid0(VALU_DEP_1) | instskip(NEXT) | instid1(VALU_DEP_1)
	v_xor_b32_e32 v86, 0x80000000, v83
	v_dual_fmac_f32 v0, v45, v40 :: v_dual_fmac_f32 v86, v44, v40
	s_delay_alu instid0(VALU_DEP_1) | instskip(NEXT) | instid1(VALU_DEP_1)
	v_pk_mul_f32 v[40:41], v[0:1], v[84:85] op_sel_hi:[0,1]
	v_pk_fma_f32 v[44:45], v[86:87], v[42:43], v[40:41] op_sel_hi:[0,1,1]
	v_pk_fma_f32 v[40:41], v[86:87], v[42:43], v[40:41] neg_lo:[0,0,1] neg_hi:[0,0,1]
	s_delay_alu instid0(VALU_DEP_2)
	v_mov_b32_e32 v41, v45
	ds_store_b64 v1, v[40:41] offset:3128
.LBB154_186:                            ;   in Loop: Header=BB154_3 Depth=1
	s_or_b32 exec_lo, exec_lo, s11
	v_mov_b32_e32 v40, 0
	s_wait_dscnt 0x0
	s_barrier_signal -1
	s_barrier_wait -1
	s_delay_alu instid0(VALU_DEP_1)
	v_mov_b32_e32 v41, v40
	s_and_saveexec_b32 s11, s3
	s_cbranch_execz .LBB154_196
; %bb.187:                              ;   in Loop: Header=BB154_3 Depth=1
	ds_load_b64 v[40:41], v59 offset:64
	ds_load_b64 v[42:43], v56
	s_wait_dscnt 0x0
	v_dual_mul_f32 v0, v43, v41 :: v_dual_mul_f32 v44, v42, v41
	s_delay_alu instid0(VALU_DEP_1) | instskip(NEXT) | instid1(VALU_DEP_2)
	v_fma_f32 v0, v42, v40, -v0
	v_fmac_f32_e32 v44, v43, v40
	s_delay_alu instid0(VALU_DEP_2) | instskip(NEXT) | instid1(VALU_DEP_2)
	v_add_f32_e32 v41, 0, v0
	v_add_f32_e32 v40, 0, v44
	s_and_saveexec_b32 s6, s18
	s_cbranch_execnz .LBB154_1050
; %bb.188:                              ;   in Loop: Header=BB154_3 Depth=1
	s_or_b32 exec_lo, exec_lo, s6
	s_and_saveexec_b32 s6, s19
	s_cbranch_execnz .LBB154_1051
.LBB154_189:                            ;   in Loop: Header=BB154_3 Depth=1
	s_or_b32 exec_lo, exec_lo, s6
	s_and_saveexec_b32 s6, s20
	s_cbranch_execnz .LBB154_1052
.LBB154_190:                            ;   in Loop: Header=BB154_3 Depth=1
	s_or_b32 exec_lo, exec_lo, s6
	s_and_saveexec_b32 s6, s21
	s_cbranch_execnz .LBB154_1053
.LBB154_191:                            ;   in Loop: Header=BB154_3 Depth=1
	s_or_b32 exec_lo, exec_lo, s6
	s_and_saveexec_b32 s6, s22
	s_cbranch_execnz .LBB154_1054
.LBB154_192:                            ;   in Loop: Header=BB154_3 Depth=1
	s_or_b32 exec_lo, exec_lo, s6
	s_and_saveexec_b32 s6, s2
	s_cbranch_execnz .LBB154_1055
.LBB154_193:                            ;   in Loop: Header=BB154_3 Depth=1
	s_or_b32 exec_lo, exec_lo, s6
	s_and_saveexec_b32 s6, s17
	s_cbranch_execz .LBB154_195
.LBB154_194:                            ;   in Loop: Header=BB154_3 Depth=1
	ds_load_b64 v[42:43], v50 offset:3648
	ds_load_b64 v[44:45], v1 offset:56
	s_wait_dscnt 0x0
	v_pk_mul_f32 v[84:85], v[44:45], v[42:43] op_sel:[0,1]
	s_delay_alu instid0(VALU_DEP_1) | instskip(SKIP_1) | instid1(VALU_DEP_2)
	v_pk_fma_f32 v[86:87], v[44:45], v[42:43], v[84:85] op_sel:[1,0,0] op_sel_hi:[0,0,1] neg_lo:[0,0,1] neg_hi:[0,0,1]
	v_pk_fma_f32 v[42:43], v[44:45], v[42:43], v[84:85] op_sel:[1,0,0] op_sel_hi:[0,1,1]
	v_mov_b32_e32 v43, v87
	s_delay_alu instid0(VALU_DEP_1)
	v_pk_add_f32 v[40:41], v[40:41], v[42:43]
.LBB154_195:                            ;   in Loop: Header=BB154_3 Depth=1
	s_or_b32 exec_lo, exec_lo, s6
	s_delay_alu instid0(VALU_DEP_1) | instskip(NEXT) | instid1(VALU_DEP_1)
	v_pk_add_f32 v[42:43], v[40:41], 0 neg_lo:[1,1] neg_hi:[1,1]
	v_dual_mov_b32 v40, v43 :: v_dual_mov_b32 v41, v42
.LBB154_196:                            ;   in Loop: Header=BB154_3 Depth=1
	s_or_b32 exec_lo, exec_lo, s11
	s_and_saveexec_b32 s6, s48
	s_cbranch_execz .LBB154_198
; %bb.197:                              ;   in Loop: Header=BB154_3 Depth=1
	ds_load_b64 v[42:43], v1 offset:4160
	v_dual_mov_b32 v44, v41 :: v_dual_mov_b32 v45, v40
	s_wait_dscnt 0x0
	s_delay_alu instid0(VALU_DEP_1) | instskip(NEXT) | instid1(VALU_DEP_1)
	v_dual_mul_f32 v0, v44, v42 :: v_dual_mul_f32 v84, v41, v43
	v_pk_fma_f32 v[44:45], v[44:45], v[42:43], v[0:1] op_sel_hi:[1,1,0]
	s_delay_alu instid0(VALU_DEP_2) | instskip(NEXT) | instid1(VALU_DEP_2)
	v_pk_fma_f32 v[40:41], v[40:41], v[42:43], v[84:85] op_sel_hi:[1,1,0] neg_lo:[0,0,1] neg_hi:[0,0,1]
	v_mov_b32_e32 v41, v45
	ds_store_b64 v58, v[40:41]
.LBB154_198:                            ;   in Loop: Header=BB154_3 Depth=1
	s_or_b32 exec_lo, exec_lo, s6
	s_wait_dscnt 0x0
	s_barrier_signal -1
	s_barrier_wait -1
	s_and_saveexec_b32 s6, s49
	s_cbranch_execz .LBB154_200
; %bb.199:                              ;   in Loop: Header=BB154_3 Depth=1
	ds_load_b64 v[42:43], v57 offset:4160
	ds_load_b64 v[44:45], v58
	s_wait_dscnt 0x0
	v_dual_mul_f32 v0, v45, v43 :: v_dual_mul_f32 v85, v44, v43
	s_delay_alu instid0(VALU_DEP_1) | instskip(NEXT) | instid1(VALU_DEP_1)
	v_dual_fma_f32 v84, v44, v42, -v0 :: v_dual_fmac_f32 v85, v45, v42
	v_pk_add_f32 v[40:41], v[40:41], v[84:85]
.LBB154_200:                            ;   in Loop: Header=BB154_3 Depth=1
	s_or_b32 exec_lo, exec_lo, s6
	s_barrier_signal -1
	s_barrier_wait -1
	s_and_saveexec_b32 s6, s50
	s_cbranch_execz .LBB154_202
; %bb.201:                              ;   in Loop: Header=BB154_3 Depth=1
	ds_load_b64 v[42:43], v1 offset:4680
	s_wait_dscnt 0x0
	v_pk_mul_f32 v[44:45], v[40:41], v[42:43] op_sel:[1,1] op_sel_hi:[1,0]
	s_delay_alu instid0(VALU_DEP_1) | instskip(SKIP_1) | instid1(VALU_DEP_2)
	v_pk_fma_f32 v[84:85], v[40:41], v[42:43], v[44:45] op_sel_hi:[0,1,1]
	v_pk_fma_f32 v[40:41], v[40:41], v[42:43], v[44:45] op_sel_hi:[0,1,1] neg_lo:[0,0,1] neg_hi:[0,0,1]
	v_mov_b32_e32 v41, v85
	ds_store_b64 v58, v[40:41]
.LBB154_202:                            ;   in Loop: Header=BB154_3 Depth=1
	s_or_b32 exec_lo, exec_lo, s6
	s_wait_dscnt 0x0
	s_barrier_signal -1
	s_barrier_wait -1
	s_and_saveexec_b32 s6, s51
	s_cbranch_execz .LBB154_204
; %bb.203:                              ;   in Loop: Header=BB154_3 Depth=1
	ds_load_b64 v[42:43], v57 offset:4672
	ds_load_b64 v[44:45], v58
	s_wait_dscnt 0x0
	v_pk_mul_f32 v[84:85], v[44:45], v[42:43] op_sel:[1,1] op_sel_hi:[0,1]
	s_delay_alu instid0(VALU_DEP_1) | instskip(SKIP_1) | instid1(VALU_DEP_2)
	v_pk_fma_f32 v[86:87], v[44:45], v[42:43], v[84:85] op_sel_hi:[1,0,1]
	v_pk_fma_f32 v[42:43], v[44:45], v[42:43], v[84:85] op_sel_hi:[1,0,1] neg_lo:[0,0,1] neg_hi:[0,0,1]
	v_mov_b32_e32 v43, v87
	s_delay_alu instid0(VALU_DEP_1)
	v_pk_add_f32 v[40:41], v[40:41], v[42:43]
.LBB154_204:                            ;   in Loop: Header=BB154_3 Depth=1
	s_or_b32 exec_lo, exec_lo, s6
	s_barrier_signal -1
	s_barrier_wait -1
	s_and_saveexec_b32 s6, s52
	s_cbranch_execz .LBB154_206
; %bb.205:                              ;   in Loop: Header=BB154_3 Depth=1
	ds_load_b64 v[42:43], v1 offset:5200
	s_wait_dscnt 0x0
	v_pk_mul_f32 v[44:45], v[40:41], v[42:43] op_sel:[1,1] op_sel_hi:[1,0]
	s_delay_alu instid0(VALU_DEP_1) | instskip(SKIP_1) | instid1(VALU_DEP_2)
	v_pk_fma_f32 v[84:85], v[40:41], v[42:43], v[44:45] op_sel_hi:[0,1,1]
	v_pk_fma_f32 v[40:41], v[40:41], v[42:43], v[44:45] op_sel_hi:[0,1,1] neg_lo:[0,0,1] neg_hi:[0,0,1]
	v_mov_b32_e32 v41, v85
	ds_store_b64 v58, v[40:41]
.LBB154_206:                            ;   in Loop: Header=BB154_3 Depth=1
	s_or_b32 exec_lo, exec_lo, s6
	s_wait_dscnt 0x0
	s_barrier_signal -1
	s_barrier_wait -1
	s_and_saveexec_b32 s6, s53
	s_cbranch_execz .LBB154_208
; %bb.207:                              ;   in Loop: Header=BB154_3 Depth=1
	ds_load_b64 v[42:43], v57 offset:5184
	ds_load_b64 v[44:45], v58
	s_wait_dscnt 0x0
	v_pk_mul_f32 v[84:85], v[44:45], v[42:43] op_sel:[1,1] op_sel_hi:[0,1]
	s_delay_alu instid0(VALU_DEP_1) | instskip(SKIP_1) | instid1(VALU_DEP_2)
	v_pk_fma_f32 v[86:87], v[44:45], v[42:43], v[84:85] op_sel_hi:[1,0,1]
	v_pk_fma_f32 v[42:43], v[44:45], v[42:43], v[84:85] op_sel_hi:[1,0,1] neg_lo:[0,0,1] neg_hi:[0,0,1]
	v_mov_b32_e32 v43, v87
	s_delay_alu instid0(VALU_DEP_1)
	v_pk_add_f32 v[40:41], v[40:41], v[42:43]
.LBB154_208:                            ;   in Loop: Header=BB154_3 Depth=1
	;; [unrolled: 33-line block ×3, first 2 shown]
	s_or_b32 exec_lo, exec_lo, s6
	s_barrier_signal -1
	s_barrier_wait -1
	s_and_saveexec_b32 s6, s56
	s_cbranch_execz .LBB154_214
; %bb.213:                              ;   in Loop: Header=BB154_3 Depth=1
	ds_load_b64 v[42:43], v1 offset:6240
	s_wait_dscnt 0x0
	v_dual_mul_f32 v0, v40, v43 :: v_dual_mul_f32 v44, v41, v43
	s_delay_alu instid0(VALU_DEP_1) | instskip(NEXT) | instid1(VALU_DEP_2)
	v_pk_fma_f32 v[84:85], v[40:41], v[42:43], v[0:1] op_sel:[0,1,0] op_sel_hi:[1,0,0]
	v_pk_fma_f32 v[42:43], v[40:41], v[42:43], v[44:45] op_sel_hi:[1,1,0] neg_lo:[0,0,1] neg_hi:[0,0,1]
	s_delay_alu instid0(VALU_DEP_2) | instskip(NEXT) | instid1(VALU_DEP_1)
	v_mov_b32_e32 v43, v85
	v_mov_b64_e32 v[40:41], v[42:43]
	ds_store_b64 v58, v[42:43]
.LBB154_214:                            ;   in Loop: Header=BB154_3 Depth=1
	s_or_b32 exec_lo, exec_lo, s6
	s_wait_dscnt 0x0
	s_barrier_signal -1
	s_barrier_wait -1
	s_and_saveexec_b32 s6, s57
	s_cbranch_execz .LBB154_216
; %bb.215:                              ;   in Loop: Header=BB154_3 Depth=1
	ds_load_b64 v[42:43], v57 offset:6208
	ds_load_b64 v[44:45], v58
	s_wait_dscnt 0x0
	v_dual_mul_f32 v0, v45, v43 :: v_dual_mul_f32 v85, v44, v43
	s_delay_alu instid0(VALU_DEP_1) | instskip(NEXT) | instid1(VALU_DEP_1)
	v_dual_fma_f32 v84, v44, v42, -v0 :: v_dual_fmac_f32 v85, v45, v42
	v_pk_add_f32 v[40:41], v[40:41], v[84:85]
.LBB154_216:                            ;   in Loop: Header=BB154_3 Depth=1
	s_or_b32 exec_lo, exec_lo, s6
	s_barrier_signal -1
	s_barrier_wait -1
	s_and_saveexec_b32 s6, s58
	s_cbranch_execz .LBB154_218
; %bb.217:                              ;   in Loop: Header=BB154_3 Depth=1
	ds_load_b64 v[42:43], v1 offset:6760
	s_wait_dscnt 0x0
	v_pk_mul_f32 v[44:45], v[40:41], v[42:43] op_sel:[1,1] op_sel_hi:[1,0]
	s_delay_alu instid0(VALU_DEP_1) | instskip(SKIP_1) | instid1(VALU_DEP_2)
	v_pk_fma_f32 v[84:85], v[40:41], v[42:43], v[44:45] op_sel_hi:[0,1,1]
	v_pk_fma_f32 v[42:43], v[40:41], v[42:43], v[44:45] neg_lo:[0,0,1] neg_hi:[0,0,1]
	v_mov_b32_e32 v43, v85
	s_delay_alu instid0(VALU_DEP_1)
	v_mov_b64_e32 v[40:41], v[42:43]
	ds_store_b64 v58, v[42:43]
.LBB154_218:                            ;   in Loop: Header=BB154_3 Depth=1
	s_or_b32 exec_lo, exec_lo, s6
	s_wait_dscnt 0x0
	s_barrier_signal -1
	s_barrier_wait -1
	s_and_saveexec_b32 s6, s59
	s_cbranch_execz .LBB154_220
; %bb.219:                              ;   in Loop: Header=BB154_3 Depth=1
	ds_load_b64 v[42:43], v57 offset:6720
	ds_load_b64 v[44:45], v58
	s_wait_dscnt 0x0
	v_pk_mul_f32 v[84:85], v[44:45], v[42:43] op_sel:[1,1] op_sel_hi:[0,1]
	s_delay_alu instid0(VALU_DEP_1) | instskip(SKIP_1) | instid1(VALU_DEP_2)
	v_pk_fma_f32 v[86:87], v[44:45], v[42:43], v[84:85] op_sel_hi:[1,0,1]
	v_pk_fma_f32 v[42:43], v[44:45], v[42:43], v[84:85] neg_lo:[0,0,1] neg_hi:[0,0,1]
	v_mov_b32_e32 v43, v87
	s_delay_alu instid0(VALU_DEP_1)
	v_pk_add_f32 v[40:41], v[40:41], v[42:43]
.LBB154_220:                            ;   in Loop: Header=BB154_3 Depth=1
	s_or_b32 exec_lo, exec_lo, s6
	s_barrier_signal -1
	s_barrier_wait -1
	s_and_saveexec_b32 s6, s60
	s_cbranch_execz .LBB154_222
; %bb.221:                              ;   in Loop: Header=BB154_3 Depth=1
	ds_load_b64 v[42:43], v1 offset:7280
	s_wait_dscnt 0x0
	v_pk_mul_f32 v[44:45], v[40:41], v[42:43] op_sel:[1,1] op_sel_hi:[1,0]
	s_delay_alu instid0(VALU_DEP_1) | instskip(SKIP_1) | instid1(VALU_DEP_2)
	v_pk_fma_f32 v[84:85], v[40:41], v[42:43], v[44:45] op_sel_hi:[0,1,1]
	v_pk_fma_f32 v[42:43], v[40:41], v[42:43], v[44:45] neg_lo:[0,0,1] neg_hi:[0,0,1]
	v_mov_b32_e32 v43, v85
	s_delay_alu instid0(VALU_DEP_1)
	v_mov_b64_e32 v[40:41], v[42:43]
	ds_store_b64 v58, v[42:43]
.LBB154_222:                            ;   in Loop: Header=BB154_3 Depth=1
	s_or_b32 exec_lo, exec_lo, s6
	s_wait_dscnt 0x0
	s_barrier_signal -1
	s_barrier_wait -1
	s_and_saveexec_b32 s6, s61
	s_cbranch_execz .LBB154_224
; %bb.223:                              ;   in Loop: Header=BB154_3 Depth=1
	ds_load_b64 v[42:43], v1 offset:7288
	ds_load_b64 v[44:45], v58
	s_wait_dscnt 0x0
	v_pk_mul_f32 v[84:85], v[44:45], v[42:43] op_sel:[1,1] op_sel_hi:[0,1]
	s_delay_alu instid0(VALU_DEP_1) | instskip(SKIP_1) | instid1(VALU_DEP_2)
	v_pk_fma_f32 v[86:87], v[44:45], v[42:43], v[84:85] op_sel_hi:[1,0,1]
	v_pk_fma_f32 v[42:43], v[44:45], v[42:43], v[84:85] neg_lo:[0,0,1] neg_hi:[0,0,1]
	v_mov_b32_e32 v43, v87
	s_delay_alu instid0(VALU_DEP_1)
	v_pk_add_f32 v[40:41], v[40:41], v[42:43]
.LBB154_224:                            ;   in Loop: Header=BB154_3 Depth=1
	s_or_b32 exec_lo, exec_lo, s6
	s_barrier_signal -1
	s_barrier_wait -1
	s_and_saveexec_b32 s6, s61
	s_cbranch_execz .LBB154_226
; %bb.225:                              ;   in Loop: Header=BB154_3 Depth=1
	ds_load_b64 v[42:43], v1 offset:7800
	s_wait_dscnt 0x0
	v_pk_mul_f32 v[44:45], v[40:41], v[42:43] op_sel:[1,1] op_sel_hi:[1,0]
	s_delay_alu instid0(VALU_DEP_1) | instskip(SKIP_1) | instid1(VALU_DEP_2)
	v_pk_fma_f32 v[84:85], v[40:41], v[42:43], v[44:45] op_sel_hi:[0,1,1]
	v_pk_fma_f32 v[42:43], v[40:41], v[42:43], v[44:45] neg_lo:[0,0,1] neg_hi:[0,0,1]
	v_mov_b32_e32 v43, v85
	s_delay_alu instid0(VALU_DEP_1)
	v_mov_b64_e32 v[40:41], v[42:43]
	ds_store_b64 v58, v[42:43]
.LBB154_226:                            ;   in Loop: Header=BB154_3 Depth=1
	s_or_b32 exec_lo, exec_lo, s6
	s_wait_dscnt 0x0
	s_barrier_signal -1
	s_barrier_wait -1
	s_barrier_signal -1
	s_barrier_wait -1
	s_and_saveexec_b32 s6, s3
; %bb.227:                              ;   in Loop: Header=BB154_3 Depth=1
	v_pk_add_f32 v[40:41], v[40:41], 0 neg_lo:[1,1] neg_hi:[1,1]
	ds_store_b64 v59, v[40:41] offset:64
; %bb.228:                              ;   in Loop: Header=BB154_3 Depth=1
	s_or_b32 exec_lo, exec_lo, s6
	s_wait_dscnt 0x0
	s_barrier_signal -1
	s_barrier_wait -1
	s_barrier_signal -1
	s_barrier_wait -1
	s_and_saveexec_b32 s11, s14
	s_cbranch_execz .LBB154_230
; %bb.229:                              ;   in Loop: Header=BB154_3 Depth=1
	ds_load_b128 v[40:43], v1 offset:4160
	ds_load_b64 v[44:45], v1 offset:4680
	s_wait_dscnt 0x1
	v_dual_mov_b32 v84, v43 :: v_dual_mov_b32 v85, v42
	s_wait_dscnt 0x0
	v_dual_mul_f32 v83, v45, v41 :: v_dual_mul_f32 v0, v44, v41
	s_delay_alu instid0(VALU_DEP_1) | instskip(NEXT) | instid1(VALU_DEP_1)
	v_xor_b32_e32 v86, 0x80000000, v83
	v_dual_fmac_f32 v0, v45, v40 :: v_dual_fmac_f32 v86, v44, v40
	s_delay_alu instid0(VALU_DEP_1) | instskip(NEXT) | instid1(VALU_DEP_1)
	v_pk_mul_f32 v[40:41], v[0:1], v[84:85] op_sel_hi:[0,1]
	v_pk_fma_f32 v[44:45], v[86:87], v[42:43], v[40:41] op_sel_hi:[0,1,1]
	v_pk_fma_f32 v[40:41], v[86:87], v[42:43], v[40:41] neg_lo:[0,0,1] neg_hi:[0,0,1]
	s_delay_alu instid0(VALU_DEP_2)
	v_mov_b32_e32 v41, v45
	ds_store_b64 v1, v[40:41] offset:4168
.LBB154_230:                            ;   in Loop: Header=BB154_3 Depth=1
	s_or_b32 exec_lo, exec_lo, s11
	v_mov_b32_e32 v41, 0
	s_wait_dscnt 0x0
	s_barrier_signal -1
	s_barrier_wait -1
	s_delay_alu instid0(VALU_DEP_1)
	v_mov_b32_e32 v40, v41
	s_and_saveexec_b32 s11, s1
	s_cbranch_execz .LBB154_234
; %bb.231:                              ;   in Loop: Header=BB154_3 Depth=1
	ds_load_b64 v[40:41], v48 offset:4176
	ds_load_b64 v[42:43], v49 offset:4160
	s_wait_dscnt 0x0
	v_dual_mul_f32 v0, v43, v41 :: v_dual_mul_f32 v45, v42, v41
	s_delay_alu instid0(VALU_DEP_1) | instskip(NEXT) | instid1(VALU_DEP_1)
	v_dual_fma_f32 v44, v42, v40, -v0 :: v_dual_fmac_f32 v45, v43, v40
	v_pk_add_f32 v[40:41], v[44:45], 0 op_sel_hi:[1,0]
	s_and_saveexec_b32 s6, s15
	s_cbranch_execz .LBB154_233
; %bb.232:                              ;   in Loop: Header=BB154_3 Depth=1
	ds_load_b64 v[42:43], v50 offset:4688
	ds_load_b64 v[44:45], v1 offset:4168
	s_wait_dscnt 0x0
	v_pk_mul_f32 v[84:85], v[44:45], v[42:43] op_sel:[1,1] op_sel_hi:[0,1]
	s_delay_alu instid0(VALU_DEP_1) | instskip(SKIP_1) | instid1(VALU_DEP_2)
	v_pk_fma_f32 v[86:87], v[44:45], v[42:43], v[84:85] op_sel_hi:[1,0,1]
	v_pk_fma_f32 v[42:43], v[44:45], v[42:43], v[84:85] neg_lo:[0,0,1] neg_hi:[0,0,1]
	v_mov_b32_e32 v43, v87
	s_delay_alu instid0(VALU_DEP_1)
	v_pk_add_f32 v[40:41], v[40:41], v[42:43]
.LBB154_233:                            ;   in Loop: Header=BB154_3 Depth=1
	s_or_b32 exec_lo, exec_lo, s6
	s_delay_alu instid0(VALU_DEP_1)
	v_pk_add_f32 v[40:41], v[40:41], 0 neg_lo:[1,1] neg_hi:[1,1]
.LBB154_234:                            ;   in Loop: Header=BB154_3 Depth=1
	s_or_b32 exec_lo, exec_lo, s11
	s_and_saveexec_b32 s6, s103
	s_cbranch_execz .LBB154_236
; %bb.235:                              ;   in Loop: Header=BB154_3 Depth=1
	ds_load_b64 v[42:43], v1 offset:5200
	s_wait_dscnt 0x0
	v_pk_mul_f32 v[44:45], v[40:41], v[42:43] op_sel:[1,1] op_sel_hi:[1,0]
	s_delay_alu instid0(VALU_DEP_1) | instskip(SKIP_1) | instid1(VALU_DEP_2)
	v_pk_fma_f32 v[84:85], v[40:41], v[42:43], v[44:45] op_sel_hi:[0,1,1]
	v_pk_fma_f32 v[42:43], v[40:41], v[42:43], v[44:45] neg_lo:[0,0,1] neg_hi:[0,0,1]
	v_mov_b32_e32 v43, v85
	s_delay_alu instid0(VALU_DEP_1)
	v_mov_b64_e32 v[40:41], v[42:43]
	ds_store_b64 v3, v[42:43]
.LBB154_236:                            ;   in Loop: Header=BB154_3 Depth=1
	s_or_b32 exec_lo, exec_lo, s6
	s_wait_dscnt 0x0
	s_barrier_signal -1
	s_barrier_wait -1
	s_and_saveexec_b32 s6, s104
	s_cbranch_execz .LBB154_238
; %bb.237:                              ;   in Loop: Header=BB154_3 Depth=1
	ds_load_b64 v[42:43], v1 offset:5208
	ds_load_b64 v[44:45], v3
	s_wait_dscnt 0x0
	v_pk_mul_f32 v[84:85], v[44:45], v[42:43] op_sel:[1,1] op_sel_hi:[0,1]
	s_delay_alu instid0(VALU_DEP_1) | instskip(SKIP_1) | instid1(VALU_DEP_2)
	v_pk_fma_f32 v[86:87], v[44:45], v[42:43], v[84:85] op_sel_hi:[1,0,1]
	v_pk_fma_f32 v[42:43], v[44:45], v[42:43], v[84:85] neg_lo:[0,0,1] neg_hi:[0,0,1]
	v_mov_b32_e32 v43, v87
	s_delay_alu instid0(VALU_DEP_1)
	v_pk_add_f32 v[40:41], v[40:41], v[42:43]
.LBB154_238:                            ;   in Loop: Header=BB154_3 Depth=1
	s_or_b32 exec_lo, exec_lo, s6
	s_barrier_signal -1
	s_barrier_wait -1
	s_and_saveexec_b32 s6, s104
	s_cbranch_execz .LBB154_240
; %bb.239:                              ;   in Loop: Header=BB154_3 Depth=1
	ds_load_b64 v[42:43], v1 offset:5720
	s_wait_dscnt 0x0
	v_pk_mul_f32 v[44:45], v[40:41], v[42:43] op_sel:[1,1] op_sel_hi:[1,0]
	s_delay_alu instid0(VALU_DEP_1) | instskip(SKIP_1) | instid1(VALU_DEP_2)
	v_pk_fma_f32 v[84:85], v[40:41], v[42:43], v[44:45] op_sel_hi:[0,1,1]
	v_pk_fma_f32 v[42:43], v[40:41], v[42:43], v[44:45] neg_lo:[0,0,1] neg_hi:[0,0,1]
	v_mov_b32_e32 v43, v85
	s_delay_alu instid0(VALU_DEP_1)
	v_mov_b64_e32 v[40:41], v[42:43]
	ds_store_b64 v3, v[42:43]
.LBB154_240:                            ;   in Loop: Header=BB154_3 Depth=1
	s_or_b32 exec_lo, exec_lo, s6
	s_wait_dscnt 0x0
	s_barrier_signal -1
	s_barrier_wait -1
	s_barrier_signal -1
	s_barrier_wait -1
	s_and_saveexec_b32 s6, s1
; %bb.241:                              ;   in Loop: Header=BB154_3 Depth=1
	v_pk_add_f32 v[40:41], v[40:41], 0 neg_lo:[1,1] neg_hi:[1,1]
	ds_store_b64 v48, v[40:41] offset:4176
; %bb.242:                              ;   in Loop: Header=BB154_3 Depth=1
	s_or_b32 exec_lo, exec_lo, s6
	s_wait_dscnt 0x0
	s_barrier_signal -1
	s_barrier_wait -1
	s_barrier_signal -1
	s_barrier_wait -1
	s_and_saveexec_b32 s11, s14
	s_cbranch_execz .LBB154_244
; %bb.243:                              ;   in Loop: Header=BB154_3 Depth=1
	ds_load_b128 v[40:43], v1 offset:5200
	ds_load_b64 v[44:45], v1 offset:5720
	s_wait_dscnt 0x1
	v_dual_mov_b32 v84, v43 :: v_dual_mov_b32 v85, v42
	s_wait_dscnt 0x0
	v_dual_mul_f32 v83, v45, v41 :: v_dual_mul_f32 v0, v44, v41
	s_delay_alu instid0(VALU_DEP_1) | instskip(NEXT) | instid1(VALU_DEP_1)
	v_xor_b32_e32 v86, 0x80000000, v83
	v_dual_fmac_f32 v0, v45, v40 :: v_dual_fmac_f32 v86, v44, v40
	s_delay_alu instid0(VALU_DEP_1) | instskip(NEXT) | instid1(VALU_DEP_1)
	v_pk_mul_f32 v[40:41], v[0:1], v[84:85] op_sel_hi:[0,1]
	v_pk_fma_f32 v[44:45], v[86:87], v[42:43], v[40:41] op_sel_hi:[0,1,1]
	v_pk_fma_f32 v[40:41], v[86:87], v[42:43], v[40:41] neg_lo:[0,0,1] neg_hi:[0,0,1]
	s_delay_alu instid0(VALU_DEP_2)
	v_mov_b32_e32 v41, v45
	ds_store_b64 v1, v[40:41] offset:5208
.LBB154_244:                            ;   in Loop: Header=BB154_3 Depth=1
	s_or_b32 exec_lo, exec_lo, s11
	v_mov_b32_e32 v40, 0
	s_wait_dscnt 0x0
	s_barrier_signal -1
	s_barrier_wait -1
	s_delay_alu instid0(VALU_DEP_1)
	v_mov_b32_e32 v41, v40
	s_and_saveexec_b32 s11, s2
	s_cbranch_execz .LBB154_250
; %bb.245:                              ;   in Loop: Header=BB154_3 Depth=1
	ds_load_b64 v[40:41], v54 offset:4192
	ds_load_b64 v[42:43], v52 offset:4160
	s_wait_dscnt 0x0
	v_pk_mul_f32 v[44:45], v[42:43], v[40:41] op_sel:[0,1]
	s_delay_alu instid0(VALU_DEP_1) | instskip(SKIP_1) | instid1(VALU_DEP_2)
	v_pk_fma_f32 v[84:85], v[42:43], v[40:41], v[44:45] op_sel:[1,0,0] op_sel_hi:[0,0,1] neg_lo:[0,0,1] neg_hi:[0,0,1]
	v_pk_fma_f32 v[40:41], v[42:43], v[40:41], v[44:45] op_sel:[1,0,0] op_sel_hi:[0,1,1]
	v_mov_b32_e32 v41, v85
	s_delay_alu instid0(VALU_DEP_1)
	v_pk_add_f32 v[40:41], v[40:41], 0 op_sel_hi:[1,0]
	s_and_saveexec_b32 s6, s16
	s_cbranch_execnz .LBB154_1056
; %bb.246:                              ;   in Loop: Header=BB154_3 Depth=1
	s_or_b32 exec_lo, exec_lo, s6
	s_and_saveexec_b32 s6, s17
	s_cbranch_execnz .LBB154_1057
.LBB154_247:                            ;   in Loop: Header=BB154_3 Depth=1
	s_or_b32 exec_lo, exec_lo, s6
	s_and_saveexec_b32 s6, s1
	s_cbranch_execz .LBB154_249
.LBB154_248:                            ;   in Loop: Header=BB154_3 Depth=1
	ds_load_b64 v[42:43], v50 offset:5728
	ds_load_b64 v[44:45], v1 offset:4184
	s_wait_dscnt 0x0
	v_pk_mul_f32 v[84:85], v[44:45], v[42:43] op_sel:[0,1]
	s_delay_alu instid0(VALU_DEP_1) | instskip(SKIP_1) | instid1(VALU_DEP_2)
	v_pk_fma_f32 v[86:87], v[44:45], v[42:43], v[84:85] op_sel:[1,0,0] op_sel_hi:[0,0,1] neg_lo:[0,0,1] neg_hi:[0,0,1]
	v_pk_fma_f32 v[42:43], v[44:45], v[42:43], v[84:85] op_sel:[1,0,0] op_sel_hi:[0,1,1]
	v_mov_b32_e32 v43, v87
	s_delay_alu instid0(VALU_DEP_1)
	v_pk_add_f32 v[40:41], v[40:41], v[42:43]
.LBB154_249:                            ;   in Loop: Header=BB154_3 Depth=1
	s_or_b32 exec_lo, exec_lo, s6
	s_delay_alu instid0(VALU_DEP_1) | instskip(NEXT) | instid1(VALU_DEP_1)
	v_pk_add_f32 v[42:43], v[40:41], 0 neg_lo:[1,1] neg_hi:[1,1]
	v_dual_mov_b32 v40, v43 :: v_dual_mov_b32 v41, v42
.LBB154_250:                            ;   in Loop: Header=BB154_3 Depth=1
	s_or_b32 exec_lo, exec_lo, s11
	s_and_saveexec_b32 s6, vcc_hi
	s_cbranch_execz .LBB154_252
; %bb.251:                              ;   in Loop: Header=BB154_3 Depth=1
	ds_load_b64 v[42:43], v1 offset:6240
	v_dual_mov_b32 v44, v41 :: v_dual_mov_b32 v45, v40
	s_wait_dscnt 0x0
	s_delay_alu instid0(VALU_DEP_1) | instskip(NEXT) | instid1(VALU_DEP_1)
	v_dual_mul_f32 v0, v44, v42 :: v_dual_mul_f32 v84, v41, v43
	v_pk_fma_f32 v[44:45], v[44:45], v[42:43], v[0:1] op_sel_hi:[1,1,0]
	s_delay_alu instid0(VALU_DEP_2) | instskip(NEXT) | instid1(VALU_DEP_2)
	v_pk_fma_f32 v[40:41], v[40:41], v[42:43], v[84:85] op_sel_hi:[1,1,0] neg_lo:[0,0,1] neg_hi:[0,0,1]
	v_mov_b32_e32 v41, v45
	ds_store_b64 v53, v[40:41]
.LBB154_252:                            ;   in Loop: Header=BB154_3 Depth=1
	s_or_b32 exec_lo, exec_lo, s6
	s_wait_dscnt 0x0
	s_barrier_signal -1
	s_barrier_wait -1
	s_and_saveexec_b32 s6, s43
	s_cbranch_execz .LBB154_254
; %bb.253:                              ;   in Loop: Header=BB154_3 Depth=1
	ds_load_b64 v[42:43], v51 offset:6240
	ds_load_b64 v[44:45], v53
	s_wait_dscnt 0x0
	v_dual_mul_f32 v0, v45, v43 :: v_dual_mul_f32 v85, v44, v43
	s_delay_alu instid0(VALU_DEP_1) | instskip(NEXT) | instid1(VALU_DEP_1)
	v_dual_fma_f32 v84, v44, v42, -v0 :: v_dual_fmac_f32 v85, v45, v42
	v_pk_add_f32 v[40:41], v[40:41], v[84:85]
.LBB154_254:                            ;   in Loop: Header=BB154_3 Depth=1
	s_or_b32 exec_lo, exec_lo, s6
	s_barrier_signal -1
	s_barrier_wait -1
	s_and_saveexec_b32 s6, s44
	s_cbranch_execz .LBB154_256
; %bb.255:                              ;   in Loop: Header=BB154_3 Depth=1
	ds_load_b64 v[42:43], v1 offset:6760
	s_wait_dscnt 0x0
	v_pk_mul_f32 v[44:45], v[40:41], v[42:43] op_sel:[1,1] op_sel_hi:[1,0]
	s_delay_alu instid0(VALU_DEP_1) | instskip(SKIP_1) | instid1(VALU_DEP_2)
	v_pk_fma_f32 v[84:85], v[40:41], v[42:43], v[44:45] op_sel_hi:[0,1,1]
	v_pk_fma_f32 v[42:43], v[40:41], v[42:43], v[44:45] neg_lo:[0,0,1] neg_hi:[0,0,1]
	v_mov_b32_e32 v43, v85
	s_delay_alu instid0(VALU_DEP_1)
	v_mov_b64_e32 v[40:41], v[42:43]
	ds_store_b64 v53, v[42:43]
.LBB154_256:                            ;   in Loop: Header=BB154_3 Depth=1
	s_or_b32 exec_lo, exec_lo, s6
	s_wait_dscnt 0x0
	s_barrier_signal -1
	s_barrier_wait -1
	s_and_saveexec_b32 s6, s45
	s_cbranch_execz .LBB154_258
; %bb.257:                              ;   in Loop: Header=BB154_3 Depth=1
	ds_load_b64 v[42:43], v51 offset:6752
	ds_load_b64 v[44:45], v53
	s_wait_dscnt 0x0
	v_pk_mul_f32 v[84:85], v[44:45], v[42:43] op_sel:[1,1] op_sel_hi:[0,1]
	s_delay_alu instid0(VALU_DEP_1) | instskip(SKIP_1) | instid1(VALU_DEP_2)
	v_pk_fma_f32 v[86:87], v[44:45], v[42:43], v[84:85] op_sel_hi:[1,0,1]
	v_pk_fma_f32 v[42:43], v[44:45], v[42:43], v[84:85] neg_lo:[0,0,1] neg_hi:[0,0,1]
	v_mov_b32_e32 v43, v87
	s_delay_alu instid0(VALU_DEP_1)
	v_pk_add_f32 v[40:41], v[40:41], v[42:43]
.LBB154_258:                            ;   in Loop: Header=BB154_3 Depth=1
	s_or_b32 exec_lo, exec_lo, s6
	s_barrier_signal -1
	s_barrier_wait -1
	s_and_saveexec_b32 s6, s46
	s_cbranch_execz .LBB154_260
; %bb.259:                              ;   in Loop: Header=BB154_3 Depth=1
	ds_load_b64 v[42:43], v1 offset:7280
	s_wait_dscnt 0x0
	v_pk_mul_f32 v[44:45], v[40:41], v[42:43] op_sel:[1,1] op_sel_hi:[1,0]
	s_delay_alu instid0(VALU_DEP_1) | instskip(SKIP_1) | instid1(VALU_DEP_2)
	v_pk_fma_f32 v[84:85], v[40:41], v[42:43], v[44:45] op_sel_hi:[0,1,1]
	v_pk_fma_f32 v[42:43], v[40:41], v[42:43], v[44:45] neg_lo:[0,0,1] neg_hi:[0,0,1]
	v_mov_b32_e32 v43, v85
	s_delay_alu instid0(VALU_DEP_1)
	v_mov_b64_e32 v[40:41], v[42:43]
	ds_store_b64 v53, v[42:43]
.LBB154_260:                            ;   in Loop: Header=BB154_3 Depth=1
	s_or_b32 exec_lo, exec_lo, s6
	s_wait_dscnt 0x0
	s_barrier_signal -1
	s_barrier_wait -1
	s_and_saveexec_b32 s6, s47
	s_cbranch_execz .LBB154_262
; %bb.261:                              ;   in Loop: Header=BB154_3 Depth=1
	ds_load_b64 v[42:43], v1 offset:7288
	ds_load_b64 v[44:45], v53
	s_wait_dscnt 0x0
	v_pk_mul_f32 v[84:85], v[44:45], v[42:43] op_sel:[1,1] op_sel_hi:[0,1]
	s_delay_alu instid0(VALU_DEP_1) | instskip(SKIP_1) | instid1(VALU_DEP_2)
	v_pk_fma_f32 v[86:87], v[44:45], v[42:43], v[84:85] op_sel_hi:[1,0,1]
	v_pk_fma_f32 v[42:43], v[44:45], v[42:43], v[84:85] neg_lo:[0,0,1] neg_hi:[0,0,1]
	v_mov_b32_e32 v43, v87
	s_delay_alu instid0(VALU_DEP_1)
	v_pk_add_f32 v[40:41], v[40:41], v[42:43]
.LBB154_262:                            ;   in Loop: Header=BB154_3 Depth=1
	s_or_b32 exec_lo, exec_lo, s6
	s_barrier_signal -1
	s_barrier_wait -1
	s_and_saveexec_b32 s6, s47
	s_cbranch_execz .LBB154_264
; %bb.263:                              ;   in Loop: Header=BB154_3 Depth=1
	ds_load_b64 v[42:43], v1 offset:7800
	s_wait_dscnt 0x0
	v_pk_mul_f32 v[44:45], v[40:41], v[42:43] op_sel:[1,1] op_sel_hi:[1,0]
	s_delay_alu instid0(VALU_DEP_1) | instskip(SKIP_1) | instid1(VALU_DEP_2)
	v_pk_fma_f32 v[84:85], v[40:41], v[42:43], v[44:45] op_sel_hi:[0,1,1]
	v_pk_fma_f32 v[42:43], v[40:41], v[42:43], v[44:45] neg_lo:[0,0,1] neg_hi:[0,0,1]
	v_mov_b32_e32 v43, v85
	s_delay_alu instid0(VALU_DEP_1)
	v_mov_b64_e32 v[40:41], v[42:43]
	ds_store_b64 v53, v[42:43]
.LBB154_264:                            ;   in Loop: Header=BB154_3 Depth=1
	s_or_b32 exec_lo, exec_lo, s6
	s_wait_dscnt 0x0
	s_barrier_signal -1
	s_barrier_wait -1
	s_barrier_signal -1
	s_barrier_wait -1
	s_and_saveexec_b32 s6, s2
; %bb.265:                              ;   in Loop: Header=BB154_3 Depth=1
	v_pk_add_f32 v[40:41], v[40:41], 0 neg_lo:[1,1] neg_hi:[1,1]
	ds_store_b64 v54, v[40:41] offset:4192
; %bb.266:                              ;   in Loop: Header=BB154_3 Depth=1
	s_or_b32 exec_lo, exec_lo, s6
	s_wait_dscnt 0x0
	s_barrier_signal -1
	s_barrier_wait -1
	s_barrier_signal -1
	s_barrier_wait -1
	s_and_saveexec_b32 s11, s14
	s_cbranch_execz .LBB154_268
; %bb.267:                              ;   in Loop: Header=BB154_3 Depth=1
	ds_load_b128 v[40:43], v1 offset:6240
	ds_load_b64 v[44:45], v1 offset:6760
	s_wait_dscnt 0x1
	v_dual_mov_b32 v84, v43 :: v_dual_mov_b32 v85, v42
	s_wait_dscnt 0x0
	v_dual_mul_f32 v83, v45, v41 :: v_dual_mul_f32 v0, v44, v41
	s_delay_alu instid0(VALU_DEP_1) | instskip(NEXT) | instid1(VALU_DEP_1)
	v_xor_b32_e32 v86, 0x80000000, v83
	v_dual_fmac_f32 v0, v45, v40 :: v_dual_fmac_f32 v86, v44, v40
	s_delay_alu instid0(VALU_DEP_1) | instskip(NEXT) | instid1(VALU_DEP_1)
	v_pk_mul_f32 v[40:41], v[0:1], v[84:85] op_sel_hi:[0,1]
	v_pk_fma_f32 v[44:45], v[86:87], v[42:43], v[40:41] op_sel_hi:[0,1,1]
	v_pk_fma_f32 v[40:41], v[86:87], v[42:43], v[40:41] neg_lo:[0,0,1] neg_hi:[0,0,1]
	s_delay_alu instid0(VALU_DEP_2)
	v_mov_b32_e32 v41, v45
	ds_store_b64 v1, v[40:41] offset:6248
.LBB154_268:                            ;   in Loop: Header=BB154_3 Depth=1
	s_or_b32 exec_lo, exec_lo, s11
	v_mov_b32_e32 v41, 0
	s_wait_dscnt 0x0
	s_barrier_signal -1
	s_barrier_wait -1
	s_delay_alu instid0(VALU_DEP_1)
	v_mov_b32_e32 v40, v41
	s_and_saveexec_b32 s11, s1
	s_cbranch_execz .LBB154_272
; %bb.269:                              ;   in Loop: Header=BB154_3 Depth=1
	ds_load_b64 v[40:41], v48 offset:6256
	ds_load_b64 v[42:43], v49 offset:6240
	s_wait_dscnt 0x0
	v_dual_mul_f32 v0, v43, v41 :: v_dual_mul_f32 v45, v42, v41
	s_delay_alu instid0(VALU_DEP_1) | instskip(NEXT) | instid1(VALU_DEP_1)
	v_dual_fma_f32 v44, v42, v40, -v0 :: v_dual_fmac_f32 v45, v43, v40
	v_pk_add_f32 v[40:41], v[44:45], 0 op_sel_hi:[1,0]
	s_and_saveexec_b32 s6, s15
	s_cbranch_execz .LBB154_271
; %bb.270:                              ;   in Loop: Header=BB154_3 Depth=1
	ds_load_b64 v[42:43], v50 offset:6768
	ds_load_b64 v[44:45], v1 offset:6248
	s_wait_dscnt 0x0
	v_pk_mul_f32 v[84:85], v[44:45], v[42:43] op_sel:[1,1] op_sel_hi:[0,1]
	s_delay_alu instid0(VALU_DEP_1) | instskip(SKIP_1) | instid1(VALU_DEP_2)
	v_pk_fma_f32 v[86:87], v[44:45], v[42:43], v[84:85] op_sel_hi:[1,0,1]
	v_pk_fma_f32 v[42:43], v[44:45], v[42:43], v[84:85] neg_lo:[0,0,1] neg_hi:[0,0,1]
	v_mov_b32_e32 v43, v87
	s_delay_alu instid0(VALU_DEP_1)
	v_pk_add_f32 v[40:41], v[40:41], v[42:43]
.LBB154_271:                            ;   in Loop: Header=BB154_3 Depth=1
	s_or_b32 exec_lo, exec_lo, s6
	s_delay_alu instid0(VALU_DEP_1)
	v_pk_add_f32 v[40:41], v[40:41], 0 neg_lo:[1,1] neg_hi:[1,1]
.LBB154_272:                            ;   in Loop: Header=BB154_3 Depth=1
	s_or_b32 exec_lo, exec_lo, s11
	s_and_saveexec_b32 s6, s103
	s_cbranch_execz .LBB154_274
; %bb.273:                              ;   in Loop: Header=BB154_3 Depth=1
	ds_load_b64 v[42:43], v1 offset:7280
	s_wait_dscnt 0x0
	v_pk_mul_f32 v[44:45], v[40:41], v[42:43] op_sel:[1,1] op_sel_hi:[1,0]
	s_delay_alu instid0(VALU_DEP_1) | instskip(SKIP_1) | instid1(VALU_DEP_2)
	v_pk_fma_f32 v[84:85], v[40:41], v[42:43], v[44:45] op_sel_hi:[0,1,1]
	v_pk_fma_f32 v[42:43], v[40:41], v[42:43], v[44:45] neg_lo:[0,0,1] neg_hi:[0,0,1]
	v_mov_b32_e32 v43, v85
	s_delay_alu instid0(VALU_DEP_1)
	v_mov_b64_e32 v[40:41], v[42:43]
	ds_store_b64 v3, v[42:43]
.LBB154_274:                            ;   in Loop: Header=BB154_3 Depth=1
	s_or_b32 exec_lo, exec_lo, s6
	s_wait_dscnt 0x0
	s_barrier_signal -1
	s_barrier_wait -1
	s_and_saveexec_b32 s6, s104
	s_cbranch_execz .LBB154_276
; %bb.275:                              ;   in Loop: Header=BB154_3 Depth=1
	ds_load_b64 v[42:43], v1 offset:7288
	ds_load_b64 v[44:45], v3
	s_wait_dscnt 0x0
	v_pk_mul_f32 v[84:85], v[44:45], v[42:43] op_sel:[1,1] op_sel_hi:[0,1]
	s_delay_alu instid0(VALU_DEP_1) | instskip(SKIP_1) | instid1(VALU_DEP_2)
	v_pk_fma_f32 v[86:87], v[44:45], v[42:43], v[84:85] op_sel_hi:[1,0,1]
	v_pk_fma_f32 v[42:43], v[44:45], v[42:43], v[84:85] neg_lo:[0,0,1] neg_hi:[0,0,1]
	v_mov_b32_e32 v43, v87
	s_delay_alu instid0(VALU_DEP_1)
	v_pk_add_f32 v[40:41], v[40:41], v[42:43]
.LBB154_276:                            ;   in Loop: Header=BB154_3 Depth=1
	s_or_b32 exec_lo, exec_lo, s6
	s_barrier_signal -1
	s_barrier_wait -1
	s_and_saveexec_b32 s6, s104
	s_cbranch_execz .LBB154_278
; %bb.277:                              ;   in Loop: Header=BB154_3 Depth=1
	ds_load_b64 v[42:43], v1 offset:7800
	s_wait_dscnt 0x0
	v_pk_mul_f32 v[44:45], v[40:41], v[42:43] op_sel:[1,1] op_sel_hi:[1,0]
	s_delay_alu instid0(VALU_DEP_1) | instskip(SKIP_1) | instid1(VALU_DEP_2)
	v_pk_fma_f32 v[84:85], v[40:41], v[42:43], v[44:45] op_sel_hi:[0,1,1]
	v_pk_fma_f32 v[42:43], v[40:41], v[42:43], v[44:45] neg_lo:[0,0,1] neg_hi:[0,0,1]
	v_mov_b32_e32 v43, v85
	s_delay_alu instid0(VALU_DEP_1)
	v_mov_b64_e32 v[40:41], v[42:43]
	ds_store_b64 v3, v[42:43]
.LBB154_278:                            ;   in Loop: Header=BB154_3 Depth=1
	s_or_b32 exec_lo, exec_lo, s6
	s_wait_dscnt 0x0
	s_barrier_signal -1
	s_barrier_wait -1
	s_barrier_signal -1
	s_barrier_wait -1
	s_and_saveexec_b32 s6, s1
; %bb.279:                              ;   in Loop: Header=BB154_3 Depth=1
	v_pk_add_f32 v[40:41], v[40:41], 0 neg_lo:[1,1] neg_hi:[1,1]
	ds_store_b64 v48, v[40:41] offset:6256
; %bb.280:                              ;   in Loop: Header=BB154_3 Depth=1
	s_or_b32 exec_lo, exec_lo, s6
	s_wait_dscnt 0x0
	s_barrier_signal -1
	s_barrier_wait -1
	s_barrier_signal -1
	s_barrier_wait -1
	s_and_saveexec_b32 s11, s14
	s_cbranch_execz .LBB154_282
; %bb.281:                              ;   in Loop: Header=BB154_3 Depth=1
	ds_load_b128 v[40:43], v1 offset:7280
	ds_load_b64 v[44:45], v1 offset:7800
	s_wait_dscnt 0x1
	v_dual_mov_b32 v84, v43 :: v_dual_mov_b32 v85, v42
	s_wait_dscnt 0x0
	v_dual_mul_f32 v83, v45, v41 :: v_dual_mul_f32 v0, v44, v41
	s_delay_alu instid0(VALU_DEP_1) | instskip(NEXT) | instid1(VALU_DEP_1)
	v_xor_b32_e32 v86, 0x80000000, v83
	v_dual_fmac_f32 v0, v45, v40 :: v_dual_fmac_f32 v86, v44, v40
	s_delay_alu instid0(VALU_DEP_1) | instskip(NEXT) | instid1(VALU_DEP_1)
	v_pk_mul_f32 v[40:41], v[0:1], v[84:85] op_sel_hi:[0,1]
	v_pk_fma_f32 v[44:45], v[86:87], v[42:43], v[40:41] op_sel_hi:[0,1,1]
	v_pk_fma_f32 v[40:41], v[86:87], v[42:43], v[40:41] neg_lo:[0,0,1] neg_hi:[0,0,1]
	s_delay_alu instid0(VALU_DEP_2)
	v_mov_b32_e32 v41, v45
	ds_store_b64 v1, v[40:41] offset:7288
.LBB154_282:                            ;   in Loop: Header=BB154_3 Depth=1
	s_or_b32 exec_lo, exec_lo, s11
	v_mov_b32_e32 v40, 0
	s_wait_dscnt 0x0
	s_barrier_signal -1
	s_barrier_wait -1
	s_delay_alu instid0(VALU_DEP_1)
	v_mov_b32_e32 v41, v40
	s_and_saveexec_b32 s70, s4
	s_cbranch_execz .LBB154_310
; %bb.283:                              ;   in Loop: Header=BB154_3 Depth=1
	ds_load_b64 v[40:41], v64 offset:128
	ds_load_b64 v[42:43], v61
	v_readlane_b32 s7, v94, 26
	s_wait_dscnt 0x0
	v_dual_mul_f32 v0, v43, v41 :: v_dual_mul_f32 v44, v42, v41
	s_delay_alu instid0(VALU_DEP_1) | instskip(NEXT) | instid1(VALU_DEP_2)
	v_fma_f32 v0, v42, v40, -v0
	v_fmac_f32_e32 v44, v43, v40
	s_delay_alu instid0(VALU_DEP_2) | instskip(NEXT) | instid1(VALU_DEP_2)
	v_add_f32_e32 v41, 0, v0
	v_add_f32_e32 v40, 0, v44
	s_and_saveexec_b32 s6, s7
	s_cbranch_execz .LBB154_285
; %bb.284:                              ;   in Loop: Header=BB154_3 Depth=1
	ds_load_b64 v[42:43], v65 offset:640
	ds_load_b64 v[44:45], v61 offset:8
	s_wait_dscnt 0x0
	v_dual_mul_f32 v0, v45, v43 :: v_dual_mul_f32 v43, v44, v43
	s_delay_alu instid0(VALU_DEP_1) | instskip(NEXT) | instid1(VALU_DEP_1)
	v_dual_fma_f32 v0, v44, v42, -v0 :: v_dual_fmac_f32 v43, v45, v42
	v_dual_add_f32 v41, v41, v0 :: v_dual_add_f32 v40, v40, v43
.LBB154_285:                            ;   in Loop: Header=BB154_3 Depth=1
	s_or_b32 exec_lo, exec_lo, s6
	v_readlane_b32 s7, v94, 27
	s_and_saveexec_b32 s6, s7
	s_cbranch_execz .LBB154_287
; %bb.286:                              ;   in Loop: Header=BB154_3 Depth=1
	ds_load_b64 v[42:43], v65 offset:1152
	ds_load_b64 v[44:45], v61 offset:16
	s_wait_dscnt 0x0
	v_dual_mul_f32 v0, v45, v43 :: v_dual_mul_f32 v43, v44, v43
	s_delay_alu instid0(VALU_DEP_1) | instskip(NEXT) | instid1(VALU_DEP_1)
	v_dual_fma_f32 v0, v44, v42, -v0 :: v_dual_fmac_f32 v43, v45, v42
	v_dual_add_f32 v41, v41, v0 :: v_dual_add_f32 v40, v40, v43
.LBB154_287:                            ;   in Loop: Header=BB154_3 Depth=1
	s_or_b32 exec_lo, exec_lo, s6
	v_readlane_b32 s7, v94, 28
	s_and_saveexec_b32 s6, s7
	s_cbranch_execz .LBB154_289
; %bb.288:                              ;   in Loop: Header=BB154_3 Depth=1
	ds_load_b64 v[42:43], v65 offset:1664
	ds_load_b64 v[44:45], v61 offset:24
	s_wait_dscnt 0x0
	v_dual_mul_f32 v0, v45, v43 :: v_dual_mul_f32 v43, v44, v43
	s_delay_alu instid0(VALU_DEP_1) | instskip(NEXT) | instid1(VALU_DEP_1)
	v_dual_fma_f32 v0, v44, v42, -v0 :: v_dual_fmac_f32 v43, v45, v42
	v_dual_add_f32 v41, v41, v0 :: v_dual_add_f32 v40, v40, v43
.LBB154_289:                            ;   in Loop: Header=BB154_3 Depth=1
	s_or_b32 exec_lo, exec_lo, s6
	v_readlane_b32 s7, v94, 29
	s_and_saveexec_b32 s6, s7
	s_cbranch_execz .LBB154_291
; %bb.290:                              ;   in Loop: Header=BB154_3 Depth=1
	ds_load_b64 v[42:43], v65 offset:2176
	ds_load_b64 v[44:45], v61 offset:32
	s_wait_dscnt 0x0
	v_dual_mul_f32 v0, v45, v43 :: v_dual_mul_f32 v43, v44, v43
	s_delay_alu instid0(VALU_DEP_1) | instskip(NEXT) | instid1(VALU_DEP_1)
	v_dual_fma_f32 v0, v44, v42, -v0 :: v_dual_fmac_f32 v43, v45, v42
	v_dual_add_f32 v41, v41, v0 :: v_dual_add_f32 v40, v40, v43
.LBB154_291:                            ;   in Loop: Header=BB154_3 Depth=1
	s_or_b32 exec_lo, exec_lo, s6
	v_readlane_b32 s7, v94, 30
	s_and_saveexec_b32 s6, s7
	s_cbranch_execz .LBB154_293
; %bb.292:                              ;   in Loop: Header=BB154_3 Depth=1
	ds_load_b64 v[42:43], v65 offset:2688
	ds_load_b64 v[44:45], v61 offset:40
	s_wait_dscnt 0x0
	v_dual_mul_f32 v0, v45, v43 :: v_dual_mul_f32 v43, v44, v43
	s_delay_alu instid0(VALU_DEP_1) | instskip(NEXT) | instid1(VALU_DEP_1)
	v_dual_fma_f32 v0, v44, v42, -v0 :: v_dual_fmac_f32 v43, v45, v42
	v_dual_add_f32 v41, v41, v0 :: v_dual_add_f32 v40, v40, v43
.LBB154_293:                            ;   in Loop: Header=BB154_3 Depth=1
	s_or_b32 exec_lo, exec_lo, s6
	v_readlane_b32 s7, v94, 31
	s_and_saveexec_b32 s6, s7
	s_cbranch_execz .LBB154_295
; %bb.294:                              ;   in Loop: Header=BB154_3 Depth=1
	ds_load_b64 v[42:43], v65 offset:3200
	ds_load_b64 v[44:45], v61 offset:48
	s_wait_dscnt 0x0
	v_dual_mul_f32 v0, v45, v43 :: v_dual_mul_f32 v43, v44, v43
	s_delay_alu instid0(VALU_DEP_1) | instskip(NEXT) | instid1(VALU_DEP_1)
	v_dual_fma_f32 v0, v44, v42, -v0 :: v_dual_fmac_f32 v43, v45, v42
	v_dual_add_f32 v41, v41, v0 :: v_dual_add_f32 v40, v40, v43
.LBB154_295:                            ;   in Loop: Header=BB154_3 Depth=1
	s_or_b32 exec_lo, exec_lo, s6
	v_readlane_b32 s7, v93, 0
	s_and_saveexec_b32 s6, s7
	s_cbranch_execz .LBB154_297
; %bb.296:                              ;   in Loop: Header=BB154_3 Depth=1
	ds_load_b64 v[42:43], v65 offset:3712
	ds_load_b64 v[44:45], v61 offset:56
	s_wait_dscnt 0x0
	v_dual_mul_f32 v0, v45, v43 :: v_dual_mul_f32 v43, v44, v43
	s_delay_alu instid0(VALU_DEP_1) | instskip(NEXT) | instid1(VALU_DEP_1)
	v_dual_fma_f32 v0, v44, v42, -v0 :: v_dual_fmac_f32 v43, v45, v42
	v_dual_add_f32 v41, v41, v0 :: v_dual_add_f32 v40, v40, v43
.LBB154_297:                            ;   in Loop: Header=BB154_3 Depth=1
	s_or_b32 exec_lo, exec_lo, s6
	v_readlane_b32 s7, v93, 1
	s_and_saveexec_b32 s6, s7
	s_cbranch_execz .LBB154_299
; %bb.298:                              ;   in Loop: Header=BB154_3 Depth=1
	ds_load_b64 v[42:43], v64 offset:4224
	ds_load_b64 v[44:45], v61 offset:64
	s_wait_dscnt 0x0
	v_dual_mul_f32 v0, v45, v43 :: v_dual_mul_f32 v43, v44, v43
	s_delay_alu instid0(VALU_DEP_1) | instskip(NEXT) | instid1(VALU_DEP_1)
	v_dual_fma_f32 v0, v44, v42, -v0 :: v_dual_fmac_f32 v43, v45, v42
	v_dual_add_f32 v41, v41, v0 :: v_dual_add_f32 v40, v40, v43
.LBB154_299:                            ;   in Loop: Header=BB154_3 Depth=1
	s_or_b32 exec_lo, exec_lo, s6
	v_readlane_b32 s7, v93, 2
	s_and_saveexec_b32 s6, s7
	s_cbranch_execz .LBB154_301
; %bb.300:                              ;   in Loop: Header=BB154_3 Depth=1
	ds_load_b64 v[42:43], v65 offset:4736
	ds_load_b64 v[44:45], v61 offset:72
	s_wait_dscnt 0x0
	v_dual_mul_f32 v0, v45, v43 :: v_dual_mul_f32 v43, v44, v43
	s_delay_alu instid0(VALU_DEP_1) | instskip(NEXT) | instid1(VALU_DEP_1)
	v_dual_fma_f32 v0, v44, v42, -v0 :: v_dual_fmac_f32 v43, v45, v42
	v_dual_add_f32 v41, v41, v0 :: v_dual_add_f32 v40, v40, v43
.LBB154_301:                            ;   in Loop: Header=BB154_3 Depth=1
	s_or_b32 exec_lo, exec_lo, s6
	v_readlane_b32 s7, v93, 3
	s_and_saveexec_b32 s6, s7
	s_cbranch_execz .LBB154_303
; %bb.302:                              ;   in Loop: Header=BB154_3 Depth=1
	ds_load_b64 v[42:43], v65 offset:5248
	ds_load_b64 v[44:45], v61 offset:80
	s_wait_dscnt 0x0
	v_dual_mul_f32 v0, v45, v43 :: v_dual_mul_f32 v43, v44, v43
	s_delay_alu instid0(VALU_DEP_1) | instskip(NEXT) | instid1(VALU_DEP_1)
	v_dual_fma_f32 v0, v44, v42, -v0 :: v_dual_fmac_f32 v43, v45, v42
	v_dual_add_f32 v41, v41, v0 :: v_dual_add_f32 v40, v40, v43
.LBB154_303:                            ;   in Loop: Header=BB154_3 Depth=1
	s_or_b32 exec_lo, exec_lo, s6
	v_readlane_b32 s7, v93, 4
	s_and_saveexec_b32 s6, s7
	s_cbranch_execnz .LBB154_1058
; %bb.304:                              ;   in Loop: Header=BB154_3 Depth=1
	s_or_b32 exec_lo, exec_lo, s6
	s_and_saveexec_b32 s6, s3
	s_cbranch_execnz .LBB154_1059
.LBB154_305:                            ;   in Loop: Header=BB154_3 Depth=1
	s_or_b32 exec_lo, exec_lo, s6
	s_and_saveexec_b32 s6, s19
	s_cbranch_execnz .LBB154_1060
.LBB154_306:                            ;   in Loop: Header=BB154_3 Depth=1
	s_or_b32 exec_lo, exec_lo, s6
	s_and_saveexec_b32 s6, s21
	s_cbranch_execnz .LBB154_1061
.LBB154_307:                            ;   in Loop: Header=BB154_3 Depth=1
	s_or_b32 exec_lo, exec_lo, s6
	s_and_saveexec_b32 s6, s2
	s_cbranch_execz .LBB154_309
.LBB154_308:                            ;   in Loop: Header=BB154_3 Depth=1
	ds_load_b64 v[42:43], v50 offset:7808
	ds_load_b64 v[44:45], v1 offset:120
	s_wait_dscnt 0x0
	v_pk_mul_f32 v[84:85], v[44:45], v[42:43] op_sel:[0,1]
	s_delay_alu instid0(VALU_DEP_1) | instskip(SKIP_1) | instid1(VALU_DEP_2)
	v_pk_fma_f32 v[86:87], v[44:45], v[42:43], v[84:85] op_sel:[1,0,0] op_sel_hi:[0,0,1] neg_lo:[0,0,1] neg_hi:[0,0,1]
	v_pk_fma_f32 v[42:43], v[44:45], v[42:43], v[84:85] op_sel:[1,0,0] op_sel_hi:[0,1,1]
	v_mov_b32_e32 v43, v87
	s_delay_alu instid0(VALU_DEP_1)
	v_pk_add_f32 v[40:41], v[40:41], v[42:43]
.LBB154_309:                            ;   in Loop: Header=BB154_3 Depth=1
	s_or_b32 exec_lo, exec_lo, s6
	s_delay_alu instid0(VALU_DEP_1) | instskip(NEXT) | instid1(VALU_DEP_1)
	v_pk_add_f32 v[42:43], v[40:41], 0 neg_lo:[1,1] neg_hi:[1,1]
	v_dual_mov_b32 v40, v43 :: v_dual_mov_b32 v41, v42
.LBB154_310:                            ;   in Loop: Header=BB154_3 Depth=1
	s_or_b32 exec_lo, exec_lo, s70
	v_readlane_b32 s7, v94, 1
	s_and_saveexec_b32 s6, s7
	s_cbranch_execz .LBB154_312
; %bb.311:                              ;   in Loop: Header=BB154_3 Depth=1
	ds_load_b64 v[42:43], v1 offset:8320
	v_dual_mov_b32 v44, v41 :: v_dual_mov_b32 v45, v40
	s_wait_dscnt 0x0
	s_delay_alu instid0(VALU_DEP_1) | instskip(NEXT) | instid1(VALU_DEP_1)
	v_dual_mul_f32 v0, v44, v42 :: v_dual_mul_f32 v84, v41, v43
	v_pk_fma_f32 v[44:45], v[44:45], v[42:43], v[0:1] op_sel_hi:[1,1,0]
	s_delay_alu instid0(VALU_DEP_2) | instskip(NEXT) | instid1(VALU_DEP_2)
	v_pk_fma_f32 v[40:41], v[40:41], v[42:43], v[84:85] op_sel_hi:[1,1,0] neg_lo:[0,0,1] neg_hi:[0,0,1]
	v_mov_b32_e32 v41, v45
	ds_store_b64 v63, v[40:41]
.LBB154_312:                            ;   in Loop: Header=BB154_3 Depth=1
	s_or_b32 exec_lo, exec_lo, s6
	v_readlane_b32 s7, v94, 2
	s_wait_dscnt 0x0
	s_barrier_signal -1
	s_barrier_wait -1
	s_and_saveexec_b32 s6, s7
	s_cbranch_execz .LBB154_314
; %bb.313:                              ;   in Loop: Header=BB154_3 Depth=1
	ds_load_b64 v[42:43], v62 offset:8320
	ds_load_b64 v[44:45], v63
	s_wait_dscnt 0x0
	v_dual_mul_f32 v0, v45, v43 :: v_dual_mul_f32 v85, v44, v43
	s_delay_alu instid0(VALU_DEP_1) | instskip(NEXT) | instid1(VALU_DEP_1)
	v_dual_fma_f32 v84, v44, v42, -v0 :: v_dual_fmac_f32 v85, v45, v42
	v_pk_add_f32 v[40:41], v[40:41], v[84:85]
.LBB154_314:                            ;   in Loop: Header=BB154_3 Depth=1
	s_or_b32 exec_lo, exec_lo, s6
	v_readlane_b32 s7, v94, 3
	s_barrier_signal -1
	s_barrier_wait -1
	s_and_saveexec_b32 s6, s7
	s_cbranch_execz .LBB154_316
; %bb.315:                              ;   in Loop: Header=BB154_3 Depth=1
	ds_load_b64 v[42:43], v1 offset:8840
	s_wait_dscnt 0x0
	v_pk_mul_f32 v[44:45], v[40:41], v[42:43] op_sel:[1,1] op_sel_hi:[1,0]
	s_delay_alu instid0(VALU_DEP_1) | instskip(SKIP_1) | instid1(VALU_DEP_2)
	v_pk_fma_f32 v[84:85], v[40:41], v[42:43], v[44:45] op_sel_hi:[0,1,1]
	v_pk_fma_f32 v[40:41], v[40:41], v[42:43], v[44:45] op_sel_hi:[0,1,1] neg_lo:[0,0,1] neg_hi:[0,0,1]
	v_mov_b32_e32 v41, v85
	ds_store_b64 v63, v[40:41]
.LBB154_316:                            ;   in Loop: Header=BB154_3 Depth=1
	s_or_b32 exec_lo, exec_lo, s6
	v_readlane_b32 s7, v94, 4
	s_wait_dscnt 0x0
	s_barrier_signal -1
	s_barrier_wait -1
	s_and_saveexec_b32 s6, s7
	s_cbranch_execz .LBB154_318
; %bb.317:                              ;   in Loop: Header=BB154_3 Depth=1
	ds_load_b64 v[42:43], v62 offset:8832
	ds_load_b64 v[44:45], v63
	s_wait_dscnt 0x0
	v_pk_mul_f32 v[84:85], v[44:45], v[42:43] op_sel:[1,1] op_sel_hi:[0,1]
	s_delay_alu instid0(VALU_DEP_1) | instskip(SKIP_1) | instid1(VALU_DEP_2)
	v_pk_fma_f32 v[86:87], v[44:45], v[42:43], v[84:85] op_sel_hi:[1,0,1]
	v_pk_fma_f32 v[42:43], v[44:45], v[42:43], v[84:85] op_sel_hi:[1,0,1] neg_lo:[0,0,1] neg_hi:[0,0,1]
	v_mov_b32_e32 v43, v87
	s_delay_alu instid0(VALU_DEP_1)
	v_pk_add_f32 v[40:41], v[40:41], v[42:43]
.LBB154_318:                            ;   in Loop: Header=BB154_3 Depth=1
	s_or_b32 exec_lo, exec_lo, s6
	v_readlane_b32 s7, v94, 5
	s_barrier_signal -1
	s_barrier_wait -1
	s_and_saveexec_b32 s6, s7
	s_cbranch_execz .LBB154_320
; %bb.319:                              ;   in Loop: Header=BB154_3 Depth=1
	ds_load_b64 v[42:43], v1 offset:9360
	s_wait_dscnt 0x0
	v_pk_mul_f32 v[44:45], v[40:41], v[42:43] op_sel:[1,1] op_sel_hi:[1,0]
	s_delay_alu instid0(VALU_DEP_1) | instskip(SKIP_1) | instid1(VALU_DEP_2)
	v_pk_fma_f32 v[84:85], v[40:41], v[42:43], v[44:45] op_sel_hi:[0,1,1]
	v_pk_fma_f32 v[40:41], v[40:41], v[42:43], v[44:45] op_sel_hi:[0,1,1] neg_lo:[0,0,1] neg_hi:[0,0,1]
	v_mov_b32_e32 v41, v85
	ds_store_b64 v63, v[40:41]
.LBB154_320:                            ;   in Loop: Header=BB154_3 Depth=1
	s_or_b32 exec_lo, exec_lo, s6
	s_wait_dscnt 0x0
	s_barrier_signal -1
	s_barrier_wait -1
	s_and_saveexec_b32 s6, s67
	s_cbranch_execz .LBB154_322
; %bb.321:                              ;   in Loop: Header=BB154_3 Depth=1
	ds_load_b64 v[42:43], v62 offset:9344
	ds_load_b64 v[44:45], v63
	s_wait_dscnt 0x0
	v_pk_mul_f32 v[84:85], v[44:45], v[42:43] op_sel:[1,1] op_sel_hi:[0,1]
	s_delay_alu instid0(VALU_DEP_1) | instskip(SKIP_1) | instid1(VALU_DEP_2)
	v_pk_fma_f32 v[86:87], v[44:45], v[42:43], v[84:85] op_sel_hi:[1,0,1]
	v_pk_fma_f32 v[42:43], v[44:45], v[42:43], v[84:85] op_sel_hi:[1,0,1] neg_lo:[0,0,1] neg_hi:[0,0,1]
	v_mov_b32_e32 v43, v87
	s_delay_alu instid0(VALU_DEP_1)
	v_pk_add_f32 v[40:41], v[40:41], v[42:43]
.LBB154_322:                            ;   in Loop: Header=BB154_3 Depth=1
	s_or_b32 exec_lo, exec_lo, s6
	s_barrier_signal -1
	s_barrier_wait -1
	s_and_saveexec_b32 s6, s68
	s_cbranch_execz .LBB154_324
; %bb.323:                              ;   in Loop: Header=BB154_3 Depth=1
	ds_load_b64 v[42:43], v1 offset:9880
	s_wait_dscnt 0x0
	v_pk_mul_f32 v[44:45], v[40:41], v[42:43] op_sel:[1,1] op_sel_hi:[1,0]
	s_delay_alu instid0(VALU_DEP_1) | instskip(SKIP_1) | instid1(VALU_DEP_2)
	v_pk_fma_f32 v[84:85], v[40:41], v[42:43], v[44:45] op_sel_hi:[0,1,1]
	v_pk_fma_f32 v[40:41], v[40:41], v[42:43], v[44:45] op_sel_hi:[0,1,1] neg_lo:[0,0,1] neg_hi:[0,0,1]
	v_mov_b32_e32 v41, v85
	ds_store_b64 v63, v[40:41]
.LBB154_324:                            ;   in Loop: Header=BB154_3 Depth=1
	s_or_b32 exec_lo, exec_lo, s6
	s_wait_dscnt 0x0
	s_barrier_signal -1
	s_barrier_wait -1
	s_and_saveexec_b32 s6, s69
	s_cbranch_execz .LBB154_326
; %bb.325:                              ;   in Loop: Header=BB154_3 Depth=1
	ds_load_b64 v[42:43], v62 offset:9856
	ds_load_b64 v[44:45], v63
	s_wait_dscnt 0x0
	v_pk_mul_f32 v[84:85], v[44:45], v[42:43] op_sel:[1,1] op_sel_hi:[0,1]
	s_delay_alu instid0(VALU_DEP_1) | instskip(SKIP_1) | instid1(VALU_DEP_2)
	v_pk_fma_f32 v[86:87], v[44:45], v[42:43], v[84:85] op_sel_hi:[1,0,1]
	v_pk_fma_f32 v[42:43], v[44:45], v[42:43], v[84:85] op_sel_hi:[1,0,1] neg_lo:[0,0,1] neg_hi:[0,0,1]
	v_mov_b32_e32 v43, v87
	s_delay_alu instid0(VALU_DEP_1)
	v_pk_add_f32 v[40:41], v[40:41], v[42:43]
.LBB154_326:                            ;   in Loop: Header=BB154_3 Depth=1
	s_or_b32 exec_lo, exec_lo, s6
	s_barrier_signal -1
	s_barrier_wait -1
	s_and_saveexec_b32 s6, s9
	s_cbranch_execz .LBB154_328
; %bb.327:                              ;   in Loop: Header=BB154_3 Depth=1
	ds_load_b64 v[42:43], v1 offset:10400
	s_wait_dscnt 0x0
	v_dual_mul_f32 v0, v40, v43 :: v_dual_mul_f32 v44, v41, v43
	s_delay_alu instid0(VALU_DEP_1) | instskip(NEXT) | instid1(VALU_DEP_2)
	v_pk_fma_f32 v[84:85], v[40:41], v[42:43], v[0:1] op_sel:[0,1,0] op_sel_hi:[1,0,0]
	v_pk_fma_f32 v[42:43], v[40:41], v[42:43], v[44:45] op_sel_hi:[1,1,0] neg_lo:[0,0,1] neg_hi:[0,0,1]
	s_delay_alu instid0(VALU_DEP_2) | instskip(NEXT) | instid1(VALU_DEP_1)
	v_mov_b32_e32 v43, v85
	v_mov_b64_e32 v[40:41], v[42:43]
	ds_store_b64 v63, v[42:43]
.LBB154_328:                            ;   in Loop: Header=BB154_3 Depth=1
	s_or_b32 exec_lo, exec_lo, s6
	s_wait_dscnt 0x0
	s_barrier_signal -1
	s_barrier_wait -1
	s_and_saveexec_b32 s6, s23
	s_cbranch_execz .LBB154_330
; %bb.329:                              ;   in Loop: Header=BB154_3 Depth=1
	ds_load_b64 v[42:43], v62 offset:10368
	ds_load_b64 v[44:45], v63
	s_wait_dscnt 0x0
	v_dual_mul_f32 v0, v45, v43 :: v_dual_mul_f32 v85, v44, v43
	s_delay_alu instid0(VALU_DEP_1) | instskip(NEXT) | instid1(VALU_DEP_1)
	v_dual_fma_f32 v84, v44, v42, -v0 :: v_dual_fmac_f32 v85, v45, v42
	v_pk_add_f32 v[40:41], v[40:41], v[84:85]
.LBB154_330:                            ;   in Loop: Header=BB154_3 Depth=1
	s_or_b32 exec_lo, exec_lo, s6
	s_barrier_signal -1
	s_barrier_wait -1
	s_and_saveexec_b32 s6, s25
	s_cbranch_execz .LBB154_332
; %bb.331:                              ;   in Loop: Header=BB154_3 Depth=1
	ds_load_b64 v[42:43], v1 offset:10920
	s_wait_dscnt 0x0
	v_pk_mul_f32 v[44:45], v[40:41], v[42:43] op_sel:[1,1] op_sel_hi:[1,0]
	s_delay_alu instid0(VALU_DEP_1) | instskip(SKIP_1) | instid1(VALU_DEP_2)
	v_pk_fma_f32 v[84:85], v[40:41], v[42:43], v[44:45] op_sel_hi:[0,1,1]
	v_pk_fma_f32 v[40:41], v[40:41], v[42:43], v[44:45] op_sel_hi:[0,1,1] neg_lo:[0,0,1] neg_hi:[0,0,1]
	v_mov_b32_e32 v41, v85
	ds_store_b64 v63, v[40:41]
.LBB154_332:                            ;   in Loop: Header=BB154_3 Depth=1
	s_or_b32 exec_lo, exec_lo, s6
	s_wait_dscnt 0x0
	s_barrier_signal -1
	s_barrier_wait -1
	s_and_saveexec_b32 s6, s27
	s_cbranch_execz .LBB154_334
; %bb.333:                              ;   in Loop: Header=BB154_3 Depth=1
	ds_load_b64 v[42:43], v62 offset:10880
	ds_load_b64 v[44:45], v63
	s_wait_dscnt 0x0
	v_pk_mul_f32 v[84:85], v[44:45], v[42:43] op_sel:[1,1] op_sel_hi:[0,1]
	s_delay_alu instid0(VALU_DEP_1) | instskip(SKIP_1) | instid1(VALU_DEP_2)
	v_pk_fma_f32 v[86:87], v[44:45], v[42:43], v[84:85] op_sel_hi:[1,0,1]
	v_pk_fma_f32 v[42:43], v[44:45], v[42:43], v[84:85] op_sel_hi:[1,0,1] neg_lo:[0,0,1] neg_hi:[0,0,1]
	v_mov_b32_e32 v43, v87
	s_delay_alu instid0(VALU_DEP_1)
	v_pk_add_f32 v[40:41], v[40:41], v[42:43]
.LBB154_334:                            ;   in Loop: Header=BB154_3 Depth=1
	s_or_b32 exec_lo, exec_lo, s6
	s_barrier_signal -1
	s_barrier_wait -1
	s_and_saveexec_b32 s6, s29
	s_cbranch_execz .LBB154_336
; %bb.335:                              ;   in Loop: Header=BB154_3 Depth=1
	ds_load_b64 v[42:43], v1 offset:11440
	s_wait_dscnt 0x0
	v_pk_mul_f32 v[44:45], v[40:41], v[42:43] op_sel:[1,1] op_sel_hi:[1,0]
	s_delay_alu instid0(VALU_DEP_1) | instskip(SKIP_1) | instid1(VALU_DEP_2)
	v_pk_fma_f32 v[84:85], v[40:41], v[42:43], v[44:45] op_sel_hi:[0,1,1]
	v_pk_fma_f32 v[40:41], v[40:41], v[42:43], v[44:45] op_sel_hi:[0,1,1] neg_lo:[0,0,1] neg_hi:[0,0,1]
	v_mov_b32_e32 v41, v85
	ds_store_b64 v63, v[40:41]
.LBB154_336:                            ;   in Loop: Header=BB154_3 Depth=1
	s_or_b32 exec_lo, exec_lo, s6
	s_wait_dscnt 0x0
	s_barrier_signal -1
	s_barrier_wait -1
	s_and_saveexec_b32 s6, s31
	s_cbranch_execz .LBB154_338
; %bb.337:                              ;   in Loop: Header=BB154_3 Depth=1
	ds_load_b64 v[42:43], v62 offset:11392
	ds_load_b64 v[44:45], v63
	s_wait_dscnt 0x0
	v_pk_mul_f32 v[84:85], v[44:45], v[42:43] op_sel:[1,1] op_sel_hi:[0,1]
	s_delay_alu instid0(VALU_DEP_1) | instskip(SKIP_1) | instid1(VALU_DEP_2)
	v_pk_fma_f32 v[86:87], v[44:45], v[42:43], v[84:85] op_sel_hi:[1,0,1]
	v_pk_fma_f32 v[42:43], v[44:45], v[42:43], v[84:85] op_sel_hi:[1,0,1] neg_lo:[0,0,1] neg_hi:[0,0,1]
	v_mov_b32_e32 v43, v87
	s_delay_alu instid0(VALU_DEP_1)
	v_pk_add_f32 v[40:41], v[40:41], v[42:43]
.LBB154_338:                            ;   in Loop: Header=BB154_3 Depth=1
	;; [unrolled: 33-line block ×3, first 2 shown]
	s_or_b32 exec_lo, exec_lo, s6
	s_barrier_signal -1
	s_barrier_wait -1
	s_and_saveexec_b32 s6, s39
	s_cbranch_execz .LBB154_344
; %bb.343:                              ;   in Loop: Header=BB154_3 Depth=1
	ds_load_b64 v[42:43], v1 offset:12480
	s_wait_dscnt 0x0
	v_dual_mul_f32 v0, v40, v43 :: v_dual_mul_f32 v44, v41, v43
	s_delay_alu instid0(VALU_DEP_1) | instskip(NEXT) | instid1(VALU_DEP_2)
	v_pk_fma_f32 v[84:85], v[40:41], v[42:43], v[0:1] op_sel:[0,1,0] op_sel_hi:[1,0,0]
	v_pk_fma_f32 v[42:43], v[40:41], v[42:43], v[44:45] op_sel_hi:[1,1,0] neg_lo:[0,0,1] neg_hi:[0,0,1]
	s_delay_alu instid0(VALU_DEP_2) | instskip(NEXT) | instid1(VALU_DEP_1)
	v_mov_b32_e32 v43, v85
	v_mov_b64_e32 v[40:41], v[42:43]
	ds_store_b64 v63, v[42:43]
.LBB154_344:                            ;   in Loop: Header=BB154_3 Depth=1
	s_or_b32 exec_lo, exec_lo, s6
	s_wait_dscnt 0x0
	s_barrier_signal -1
	s_barrier_wait -1
	s_and_saveexec_b32 s6, s40
	s_cbranch_execz .LBB154_346
; %bb.345:                              ;   in Loop: Header=BB154_3 Depth=1
	ds_load_b64 v[42:43], v62 offset:12416
	ds_load_b64 v[44:45], v63
	s_wait_dscnt 0x0
	v_dual_mul_f32 v0, v45, v43 :: v_dual_mul_f32 v85, v44, v43
	s_delay_alu instid0(VALU_DEP_1) | instskip(NEXT) | instid1(VALU_DEP_1)
	v_dual_fma_f32 v84, v44, v42, -v0 :: v_dual_fmac_f32 v85, v45, v42
	v_pk_add_f32 v[40:41], v[40:41], v[84:85]
.LBB154_346:                            ;   in Loop: Header=BB154_3 Depth=1
	s_or_b32 exec_lo, exec_lo, s6
	s_barrier_signal -1
	s_barrier_wait -1
	s_and_saveexec_b32 s6, s41
	s_cbranch_execz .LBB154_348
; %bb.347:                              ;   in Loop: Header=BB154_3 Depth=1
	ds_load_b64 v[42:43], v1 offset:13000
	s_wait_dscnt 0x0
	v_pk_mul_f32 v[44:45], v[40:41], v[42:43] op_sel:[1,1] op_sel_hi:[1,0]
	s_delay_alu instid0(VALU_DEP_1) | instskip(SKIP_1) | instid1(VALU_DEP_2)
	v_pk_fma_f32 v[84:85], v[40:41], v[42:43], v[44:45] op_sel_hi:[0,1,1]
	v_pk_fma_f32 v[40:41], v[40:41], v[42:43], v[44:45] op_sel_hi:[0,1,1] neg_lo:[0,0,1] neg_hi:[0,0,1]
	v_mov_b32_e32 v41, v85
	ds_store_b64 v63, v[40:41]
.LBB154_348:                            ;   in Loop: Header=BB154_3 Depth=1
	s_or_b32 exec_lo, exec_lo, s6
	s_wait_dscnt 0x0
	s_barrier_signal -1
	s_barrier_wait -1
	s_and_saveexec_b32 s6, s42
	s_cbranch_execz .LBB154_350
; %bb.349:                              ;   in Loop: Header=BB154_3 Depth=1
	ds_load_b64 v[42:43], v62 offset:12928
	ds_load_b64 v[44:45], v63
	s_wait_dscnt 0x0
	v_pk_mul_f32 v[84:85], v[44:45], v[42:43] op_sel:[1,1] op_sel_hi:[0,1]
	s_delay_alu instid0(VALU_DEP_1) | instskip(SKIP_1) | instid1(VALU_DEP_2)
	v_pk_fma_f32 v[86:87], v[44:45], v[42:43], v[84:85] op_sel_hi:[1,0,1]
	v_pk_fma_f32 v[42:43], v[44:45], v[42:43], v[84:85] op_sel_hi:[1,0,1] neg_lo:[0,0,1] neg_hi:[0,0,1]
	v_mov_b32_e32 v43, v87
	s_delay_alu instid0(VALU_DEP_1)
	v_pk_add_f32 v[40:41], v[40:41], v[42:43]
.LBB154_350:                            ;   in Loop: Header=BB154_3 Depth=1
	s_or_b32 exec_lo, exec_lo, s6
	s_barrier_signal -1
	s_barrier_wait -1
	s_and_saveexec_b32 s6, s12
	s_cbranch_execz .LBB154_352
; %bb.351:                              ;   in Loop: Header=BB154_3 Depth=1
	ds_load_b64 v[42:43], v1 offset:13520
	s_wait_dscnt 0x0
	v_pk_mul_f32 v[44:45], v[40:41], v[42:43] op_sel:[1,1] op_sel_hi:[1,0]
	s_delay_alu instid0(VALU_DEP_1) | instskip(SKIP_1) | instid1(VALU_DEP_2)
	v_pk_fma_f32 v[84:85], v[40:41], v[42:43], v[44:45] op_sel_hi:[0,1,1]
	v_pk_fma_f32 v[40:41], v[40:41], v[42:43], v[44:45] op_sel_hi:[0,1,1] neg_lo:[0,0,1] neg_hi:[0,0,1]
	v_mov_b32_e32 v41, v85
	ds_store_b64 v63, v[40:41]
.LBB154_352:                            ;   in Loop: Header=BB154_3 Depth=1
	s_or_b32 exec_lo, exec_lo, s6
	s_wait_dscnt 0x0
	s_barrier_signal -1
	s_barrier_wait -1
	s_and_saveexec_b32 s6, s24
	s_cbranch_execz .LBB154_354
; %bb.353:                              ;   in Loop: Header=BB154_3 Depth=1
	ds_load_b64 v[42:43], v62 offset:13440
	ds_load_b64 v[44:45], v63
	s_wait_dscnt 0x0
	v_pk_mul_f32 v[84:85], v[44:45], v[42:43] op_sel:[1,1] op_sel_hi:[0,1]
	s_delay_alu instid0(VALU_DEP_1) | instskip(SKIP_1) | instid1(VALU_DEP_2)
	v_pk_fma_f32 v[86:87], v[44:45], v[42:43], v[84:85] op_sel_hi:[1,0,1]
	v_pk_fma_f32 v[42:43], v[44:45], v[42:43], v[84:85] op_sel_hi:[1,0,1] neg_lo:[0,0,1] neg_hi:[0,0,1]
	v_mov_b32_e32 v43, v87
	s_delay_alu instid0(VALU_DEP_1)
	v_pk_add_f32 v[40:41], v[40:41], v[42:43]
.LBB154_354:                            ;   in Loop: Header=BB154_3 Depth=1
	;; [unrolled: 33-line block ×3, first 2 shown]
	s_or_b32 exec_lo, exec_lo, s6
	s_barrier_signal -1
	s_barrier_wait -1
	s_and_saveexec_b32 s6, s30
	s_cbranch_execz .LBB154_360
; %bb.359:                              ;   in Loop: Header=BB154_3 Depth=1
	ds_load_b64 v[42:43], v1 offset:14560
	s_wait_dscnt 0x0
	v_dual_mul_f32 v0, v40, v43 :: v_dual_mul_f32 v44, v41, v43
	s_delay_alu instid0(VALU_DEP_1) | instskip(NEXT) | instid1(VALU_DEP_2)
	v_pk_fma_f32 v[84:85], v[40:41], v[42:43], v[0:1] op_sel:[0,1,0] op_sel_hi:[1,0,0]
	v_pk_fma_f32 v[42:43], v[40:41], v[42:43], v[44:45] op_sel_hi:[1,1,0] neg_lo:[0,0,1] neg_hi:[0,0,1]
	s_delay_alu instid0(VALU_DEP_2) | instskip(NEXT) | instid1(VALU_DEP_1)
	v_mov_b32_e32 v43, v85
	v_mov_b64_e32 v[40:41], v[42:43]
	ds_store_b64 v63, v[42:43]
.LBB154_360:                            ;   in Loop: Header=BB154_3 Depth=1
	s_or_b32 exec_lo, exec_lo, s6
	s_wait_dscnt 0x0
	s_barrier_signal -1
	s_barrier_wait -1
	s_and_saveexec_b32 s6, s8
	s_cbranch_execz .LBB154_362
; %bb.361:                              ;   in Loop: Header=BB154_3 Depth=1
	ds_load_b64 v[42:43], v62 offset:14464
	ds_load_b64 v[44:45], v63
	s_wait_dscnt 0x0
	v_dual_mul_f32 v0, v45, v43 :: v_dual_mul_f32 v85, v44, v43
	s_delay_alu instid0(VALU_DEP_1) | instskip(NEXT) | instid1(VALU_DEP_1)
	v_dual_fma_f32 v84, v44, v42, -v0 :: v_dual_fmac_f32 v85, v45, v42
	v_pk_add_f32 v[40:41], v[40:41], v[84:85]
.LBB154_362:                            ;   in Loop: Header=BB154_3 Depth=1
	s_or_b32 exec_lo, exec_lo, s6
	s_barrier_signal -1
	s_barrier_wait -1
	s_and_saveexec_b32 s6, s33
	s_cbranch_execz .LBB154_364
; %bb.363:                              ;   in Loop: Header=BB154_3 Depth=1
	ds_load_b64 v[42:43], v1 offset:15080
	s_wait_dscnt 0x0
	v_pk_mul_f32 v[44:45], v[40:41], v[42:43] op_sel:[1,1] op_sel_hi:[1,0]
	s_delay_alu instid0(VALU_DEP_1) | instskip(SKIP_1) | instid1(VALU_DEP_2)
	v_pk_fma_f32 v[84:85], v[40:41], v[42:43], v[44:45] op_sel_hi:[0,1,1]
	v_pk_fma_f32 v[42:43], v[40:41], v[42:43], v[44:45] neg_lo:[0,0,1] neg_hi:[0,0,1]
	v_mov_b32_e32 v43, v85
	s_delay_alu instid0(VALU_DEP_1)
	v_mov_b64_e32 v[40:41], v[42:43]
	ds_store_b64 v63, v[42:43]
.LBB154_364:                            ;   in Loop: Header=BB154_3 Depth=1
	s_or_b32 exec_lo, exec_lo, s6
	s_wait_dscnt 0x0
	s_barrier_signal -1
	s_barrier_wait -1
	s_and_saveexec_b32 s6, s100
	s_cbranch_execz .LBB154_366
; %bb.365:                              ;   in Loop: Header=BB154_3 Depth=1
	ds_load_b64 v[42:43], v62 offset:14976
	ds_load_b64 v[44:45], v63
	s_wait_dscnt 0x0
	v_pk_mul_f32 v[84:85], v[44:45], v[42:43] op_sel:[1,1] op_sel_hi:[0,1]
	s_delay_alu instid0(VALU_DEP_1) | instskip(SKIP_1) | instid1(VALU_DEP_2)
	v_pk_fma_f32 v[86:87], v[44:45], v[42:43], v[84:85] op_sel_hi:[1,0,1]
	v_pk_fma_f32 v[42:43], v[44:45], v[42:43], v[84:85] neg_lo:[0,0,1] neg_hi:[0,0,1]
	v_mov_b32_e32 v43, v87
	s_delay_alu instid0(VALU_DEP_1)
	v_pk_add_f32 v[40:41], v[40:41], v[42:43]
.LBB154_366:                            ;   in Loop: Header=BB154_3 Depth=1
	s_or_b32 exec_lo, exec_lo, s6
	s_barrier_signal -1
	s_barrier_wait -1
	s_and_saveexec_b32 s6, s62
	s_cbranch_execz .LBB154_368
; %bb.367:                              ;   in Loop: Header=BB154_3 Depth=1
	ds_load_b64 v[42:43], v1 offset:15600
	s_wait_dscnt 0x0
	v_pk_mul_f32 v[44:45], v[40:41], v[42:43] op_sel:[1,1] op_sel_hi:[1,0]
	s_delay_alu instid0(VALU_DEP_1) | instskip(SKIP_1) | instid1(VALU_DEP_2)
	v_pk_fma_f32 v[84:85], v[40:41], v[42:43], v[44:45] op_sel_hi:[0,1,1]
	v_pk_fma_f32 v[42:43], v[40:41], v[42:43], v[44:45] neg_lo:[0,0,1] neg_hi:[0,0,1]
	v_mov_b32_e32 v43, v85
	s_delay_alu instid0(VALU_DEP_1)
	v_mov_b64_e32 v[40:41], v[42:43]
	ds_store_b64 v63, v[42:43]
.LBB154_368:                            ;   in Loop: Header=BB154_3 Depth=1
	s_or_b32 exec_lo, exec_lo, s6
	s_wait_dscnt 0x0
	s_barrier_signal -1
	s_barrier_wait -1
	s_and_saveexec_b32 s6, s63
	s_cbranch_execz .LBB154_370
; %bb.369:                              ;   in Loop: Header=BB154_3 Depth=1
	ds_load_b64 v[42:43], v1 offset:15608
	ds_load_b64 v[44:45], v63
	s_wait_dscnt 0x0
	v_pk_mul_f32 v[84:85], v[44:45], v[42:43] op_sel:[1,1] op_sel_hi:[0,1]
	s_delay_alu instid0(VALU_DEP_1) | instskip(SKIP_1) | instid1(VALU_DEP_2)
	v_pk_fma_f32 v[86:87], v[44:45], v[42:43], v[84:85] op_sel_hi:[1,0,1]
	v_pk_fma_f32 v[42:43], v[44:45], v[42:43], v[84:85] neg_lo:[0,0,1] neg_hi:[0,0,1]
	v_mov_b32_e32 v43, v87
	s_delay_alu instid0(VALU_DEP_1)
	v_pk_add_f32 v[40:41], v[40:41], v[42:43]
.LBB154_370:                            ;   in Loop: Header=BB154_3 Depth=1
	s_or_b32 exec_lo, exec_lo, s6
	s_barrier_signal -1
	s_barrier_wait -1
	s_and_saveexec_b32 s6, s63
	s_cbranch_execz .LBB154_372
; %bb.371:                              ;   in Loop: Header=BB154_3 Depth=1
	ds_load_b64 v[42:43], v1 offset:16120
	s_wait_dscnt 0x0
	v_pk_mul_f32 v[44:45], v[40:41], v[42:43] op_sel:[1,1] op_sel_hi:[1,0]
	s_delay_alu instid0(VALU_DEP_1) | instskip(SKIP_1) | instid1(VALU_DEP_2)
	v_pk_fma_f32 v[84:85], v[40:41], v[42:43], v[44:45] op_sel_hi:[0,1,1]
	v_pk_fma_f32 v[42:43], v[40:41], v[42:43], v[44:45] neg_lo:[0,0,1] neg_hi:[0,0,1]
	v_mov_b32_e32 v43, v85
	s_delay_alu instid0(VALU_DEP_1)
	v_mov_b64_e32 v[40:41], v[42:43]
	ds_store_b64 v63, v[42:43]
.LBB154_372:                            ;   in Loop: Header=BB154_3 Depth=1
	s_or_b32 exec_lo, exec_lo, s6
	s_wait_dscnt 0x0
	s_barrier_signal -1
	s_barrier_wait -1
	s_barrier_signal -1
	s_barrier_wait -1
	s_and_saveexec_b32 s6, s4
; %bb.373:                              ;   in Loop: Header=BB154_3 Depth=1
	v_pk_add_f32 v[40:41], v[40:41], 0 neg_lo:[1,1] neg_hi:[1,1]
	ds_store_b64 v64, v[40:41] offset:128
; %bb.374:                              ;   in Loop: Header=BB154_3 Depth=1
	s_or_b32 exec_lo, exec_lo, s6
	s_wait_dscnt 0x0
	s_barrier_signal -1
	s_barrier_wait -1
	s_barrier_signal -1
	s_barrier_wait -1
	s_and_saveexec_b32 s11, s14
	s_cbranch_execz .LBB154_376
; %bb.375:                              ;   in Loop: Header=BB154_3 Depth=1
	ds_load_b128 v[40:43], v1 offset:8320
	ds_load_b64 v[44:45], v1 offset:8840
	s_wait_dscnt 0x1
	v_dual_mov_b32 v84, v43 :: v_dual_mov_b32 v85, v42
	s_wait_dscnt 0x0
	v_dual_mul_f32 v83, v45, v41 :: v_dual_mul_f32 v0, v44, v41
	s_delay_alu instid0(VALU_DEP_1) | instskip(NEXT) | instid1(VALU_DEP_1)
	v_xor_b32_e32 v86, 0x80000000, v83
	v_dual_fmac_f32 v0, v45, v40 :: v_dual_fmac_f32 v86, v44, v40
	s_delay_alu instid0(VALU_DEP_1) | instskip(NEXT) | instid1(VALU_DEP_1)
	v_pk_mul_f32 v[40:41], v[0:1], v[84:85] op_sel_hi:[0,1]
	v_pk_fma_f32 v[44:45], v[86:87], v[42:43], v[40:41] op_sel_hi:[0,1,1]
	v_pk_fma_f32 v[40:41], v[86:87], v[42:43], v[40:41] neg_lo:[0,0,1] neg_hi:[0,0,1]
	s_delay_alu instid0(VALU_DEP_2)
	v_mov_b32_e32 v41, v45
	ds_store_b64 v1, v[40:41] offset:8328
.LBB154_376:                            ;   in Loop: Header=BB154_3 Depth=1
	s_or_b32 exec_lo, exec_lo, s11
	v_mov_b32_e32 v41, 0
	s_wait_dscnt 0x0
	s_barrier_signal -1
	s_barrier_wait -1
	s_delay_alu instid0(VALU_DEP_1)
	v_mov_b32_e32 v40, v41
	s_and_saveexec_b32 s11, s1
	s_cbranch_execz .LBB154_380
; %bb.377:                              ;   in Loop: Header=BB154_3 Depth=1
	ds_load_b64 v[40:41], v48 offset:8336
	ds_load_b64 v[42:43], v49 offset:8320
	s_wait_dscnt 0x0
	v_dual_mul_f32 v0, v43, v41 :: v_dual_mul_f32 v45, v42, v41
	s_delay_alu instid0(VALU_DEP_1) | instskip(NEXT) | instid1(VALU_DEP_1)
	v_dual_fma_f32 v44, v42, v40, -v0 :: v_dual_fmac_f32 v45, v43, v40
	v_pk_add_f32 v[40:41], v[44:45], 0 op_sel_hi:[1,0]
	s_and_saveexec_b32 s6, s15
	s_cbranch_execz .LBB154_379
; %bb.378:                              ;   in Loop: Header=BB154_3 Depth=1
	ds_load_b64 v[42:43], v50 offset:8848
	ds_load_b64 v[44:45], v1 offset:8328
	s_wait_dscnt 0x0
	v_pk_mul_f32 v[84:85], v[44:45], v[42:43] op_sel:[1,1] op_sel_hi:[0,1]
	s_delay_alu instid0(VALU_DEP_1) | instskip(SKIP_1) | instid1(VALU_DEP_2)
	v_pk_fma_f32 v[86:87], v[44:45], v[42:43], v[84:85] op_sel_hi:[1,0,1]
	v_pk_fma_f32 v[42:43], v[44:45], v[42:43], v[84:85] neg_lo:[0,0,1] neg_hi:[0,0,1]
	v_mov_b32_e32 v43, v87
	s_delay_alu instid0(VALU_DEP_1)
	v_pk_add_f32 v[40:41], v[40:41], v[42:43]
.LBB154_379:                            ;   in Loop: Header=BB154_3 Depth=1
	s_or_b32 exec_lo, exec_lo, s6
	s_delay_alu instid0(VALU_DEP_1)
	v_pk_add_f32 v[40:41], v[40:41], 0 neg_lo:[1,1] neg_hi:[1,1]
.LBB154_380:                            ;   in Loop: Header=BB154_3 Depth=1
	s_or_b32 exec_lo, exec_lo, s11
	s_and_saveexec_b32 s6, s103
	s_cbranch_execz .LBB154_382
; %bb.381:                              ;   in Loop: Header=BB154_3 Depth=1
	ds_load_b64 v[42:43], v1 offset:9360
	s_wait_dscnt 0x0
	v_pk_mul_f32 v[44:45], v[40:41], v[42:43] op_sel:[1,1] op_sel_hi:[1,0]
	s_delay_alu instid0(VALU_DEP_1) | instskip(SKIP_1) | instid1(VALU_DEP_2)
	v_pk_fma_f32 v[84:85], v[40:41], v[42:43], v[44:45] op_sel_hi:[0,1,1]
	v_pk_fma_f32 v[42:43], v[40:41], v[42:43], v[44:45] neg_lo:[0,0,1] neg_hi:[0,0,1]
	v_mov_b32_e32 v43, v85
	s_delay_alu instid0(VALU_DEP_1)
	v_mov_b64_e32 v[40:41], v[42:43]
	ds_store_b64 v3, v[42:43]
.LBB154_382:                            ;   in Loop: Header=BB154_3 Depth=1
	s_or_b32 exec_lo, exec_lo, s6
	s_wait_dscnt 0x0
	s_barrier_signal -1
	s_barrier_wait -1
	s_and_saveexec_b32 s6, s104
	s_cbranch_execz .LBB154_384
; %bb.383:                              ;   in Loop: Header=BB154_3 Depth=1
	ds_load_b64 v[42:43], v1 offset:9368
	ds_load_b64 v[44:45], v3
	s_wait_dscnt 0x0
	v_pk_mul_f32 v[84:85], v[44:45], v[42:43] op_sel:[1,1] op_sel_hi:[0,1]
	s_delay_alu instid0(VALU_DEP_1) | instskip(SKIP_1) | instid1(VALU_DEP_2)
	v_pk_fma_f32 v[86:87], v[44:45], v[42:43], v[84:85] op_sel_hi:[1,0,1]
	v_pk_fma_f32 v[42:43], v[44:45], v[42:43], v[84:85] neg_lo:[0,0,1] neg_hi:[0,0,1]
	v_mov_b32_e32 v43, v87
	s_delay_alu instid0(VALU_DEP_1)
	v_pk_add_f32 v[40:41], v[40:41], v[42:43]
.LBB154_384:                            ;   in Loop: Header=BB154_3 Depth=1
	s_or_b32 exec_lo, exec_lo, s6
	s_barrier_signal -1
	s_barrier_wait -1
	s_and_saveexec_b32 s6, s104
	s_cbranch_execz .LBB154_386
; %bb.385:                              ;   in Loop: Header=BB154_3 Depth=1
	ds_load_b64 v[42:43], v1 offset:9880
	s_wait_dscnt 0x0
	v_pk_mul_f32 v[44:45], v[40:41], v[42:43] op_sel:[1,1] op_sel_hi:[1,0]
	s_delay_alu instid0(VALU_DEP_1) | instskip(SKIP_1) | instid1(VALU_DEP_2)
	v_pk_fma_f32 v[84:85], v[40:41], v[42:43], v[44:45] op_sel_hi:[0,1,1]
	v_pk_fma_f32 v[42:43], v[40:41], v[42:43], v[44:45] neg_lo:[0,0,1] neg_hi:[0,0,1]
	v_mov_b32_e32 v43, v85
	s_delay_alu instid0(VALU_DEP_1)
	v_mov_b64_e32 v[40:41], v[42:43]
	ds_store_b64 v3, v[42:43]
.LBB154_386:                            ;   in Loop: Header=BB154_3 Depth=1
	s_or_b32 exec_lo, exec_lo, s6
	s_wait_dscnt 0x0
	s_barrier_signal -1
	s_barrier_wait -1
	s_barrier_signal -1
	s_barrier_wait -1
	s_and_saveexec_b32 s6, s1
; %bb.387:                              ;   in Loop: Header=BB154_3 Depth=1
	v_pk_add_f32 v[40:41], v[40:41], 0 neg_lo:[1,1] neg_hi:[1,1]
	ds_store_b64 v48, v[40:41] offset:8336
; %bb.388:                              ;   in Loop: Header=BB154_3 Depth=1
	s_or_b32 exec_lo, exec_lo, s6
	s_wait_dscnt 0x0
	s_barrier_signal -1
	s_barrier_wait -1
	s_barrier_signal -1
	s_barrier_wait -1
	s_and_saveexec_b32 s11, s14
	s_cbranch_execz .LBB154_390
; %bb.389:                              ;   in Loop: Header=BB154_3 Depth=1
	ds_load_b128 v[40:43], v1 offset:9360
	ds_load_b64 v[44:45], v1 offset:9880
	s_wait_dscnt 0x1
	v_dual_mov_b32 v84, v43 :: v_dual_mov_b32 v85, v42
	s_wait_dscnt 0x0
	v_dual_mul_f32 v83, v45, v41 :: v_dual_mul_f32 v0, v44, v41
	s_delay_alu instid0(VALU_DEP_1) | instskip(NEXT) | instid1(VALU_DEP_1)
	v_xor_b32_e32 v86, 0x80000000, v83
	v_dual_fmac_f32 v0, v45, v40 :: v_dual_fmac_f32 v86, v44, v40
	s_delay_alu instid0(VALU_DEP_1) | instskip(NEXT) | instid1(VALU_DEP_1)
	v_pk_mul_f32 v[40:41], v[0:1], v[84:85] op_sel_hi:[0,1]
	v_pk_fma_f32 v[44:45], v[86:87], v[42:43], v[40:41] op_sel_hi:[0,1,1]
	v_pk_fma_f32 v[40:41], v[86:87], v[42:43], v[40:41] neg_lo:[0,0,1] neg_hi:[0,0,1]
	s_delay_alu instid0(VALU_DEP_2)
	v_mov_b32_e32 v41, v45
	ds_store_b64 v1, v[40:41] offset:9368
.LBB154_390:                            ;   in Loop: Header=BB154_3 Depth=1
	s_or_b32 exec_lo, exec_lo, s11
	v_mov_b32_e32 v40, 0
	s_wait_dscnt 0x0
	s_barrier_signal -1
	s_barrier_wait -1
	s_delay_alu instid0(VALU_DEP_1)
	v_mov_b32_e32 v41, v40
	s_and_saveexec_b32 s11, s2
	s_cbranch_execz .LBB154_396
; %bb.391:                              ;   in Loop: Header=BB154_3 Depth=1
	ds_load_b64 v[40:41], v54 offset:8352
	ds_load_b64 v[42:43], v52 offset:8320
	s_wait_dscnt 0x0
	v_pk_mul_f32 v[44:45], v[42:43], v[40:41] op_sel:[0,1]
	s_delay_alu instid0(VALU_DEP_1) | instskip(SKIP_1) | instid1(VALU_DEP_2)
	v_pk_fma_f32 v[84:85], v[42:43], v[40:41], v[44:45] op_sel:[1,0,0] op_sel_hi:[0,0,1] neg_lo:[0,0,1] neg_hi:[0,0,1]
	v_pk_fma_f32 v[40:41], v[42:43], v[40:41], v[44:45] op_sel:[1,0,0] op_sel_hi:[0,1,1]
	v_mov_b32_e32 v41, v85
	s_delay_alu instid0(VALU_DEP_1)
	v_pk_add_f32 v[40:41], v[40:41], 0 op_sel_hi:[1,0]
	s_and_saveexec_b32 s6, s16
	s_cbranch_execnz .LBB154_1062
; %bb.392:                              ;   in Loop: Header=BB154_3 Depth=1
	s_or_b32 exec_lo, exec_lo, s6
	s_and_saveexec_b32 s6, s17
	s_cbranch_execnz .LBB154_1063
.LBB154_393:                            ;   in Loop: Header=BB154_3 Depth=1
	s_or_b32 exec_lo, exec_lo, s6
	s_and_saveexec_b32 s6, s1
	s_cbranch_execz .LBB154_395
.LBB154_394:                            ;   in Loop: Header=BB154_3 Depth=1
	ds_load_b64 v[42:43], v50 offset:9888
	ds_load_b64 v[44:45], v1 offset:8344
	s_wait_dscnt 0x0
	v_pk_mul_f32 v[84:85], v[44:45], v[42:43] op_sel:[0,1]
	s_delay_alu instid0(VALU_DEP_1) | instskip(SKIP_1) | instid1(VALU_DEP_2)
	v_pk_fma_f32 v[86:87], v[44:45], v[42:43], v[84:85] op_sel:[1,0,0] op_sel_hi:[0,0,1] neg_lo:[0,0,1] neg_hi:[0,0,1]
	v_pk_fma_f32 v[42:43], v[44:45], v[42:43], v[84:85] op_sel:[1,0,0] op_sel_hi:[0,1,1]
	v_mov_b32_e32 v43, v87
	s_delay_alu instid0(VALU_DEP_1)
	v_pk_add_f32 v[40:41], v[40:41], v[42:43]
.LBB154_395:                            ;   in Loop: Header=BB154_3 Depth=1
	s_or_b32 exec_lo, exec_lo, s6
	s_delay_alu instid0(VALU_DEP_1) | instskip(NEXT) | instid1(VALU_DEP_1)
	v_pk_add_f32 v[42:43], v[40:41], 0 neg_lo:[1,1] neg_hi:[1,1]
	v_dual_mov_b32 v40, v43 :: v_dual_mov_b32 v41, v42
.LBB154_396:                            ;   in Loop: Header=BB154_3 Depth=1
	s_or_b32 exec_lo, exec_lo, s11
	s_and_saveexec_b32 s6, vcc_hi
	s_cbranch_execz .LBB154_398
; %bb.397:                              ;   in Loop: Header=BB154_3 Depth=1
	ds_load_b64 v[42:43], v1 offset:10400
	v_dual_mov_b32 v44, v41 :: v_dual_mov_b32 v45, v40
	s_wait_dscnt 0x0
	s_delay_alu instid0(VALU_DEP_1) | instskip(NEXT) | instid1(VALU_DEP_1)
	v_dual_mul_f32 v0, v44, v42 :: v_dual_mul_f32 v84, v41, v43
	v_pk_fma_f32 v[44:45], v[44:45], v[42:43], v[0:1] op_sel_hi:[1,1,0]
	s_delay_alu instid0(VALU_DEP_2) | instskip(NEXT) | instid1(VALU_DEP_2)
	v_pk_fma_f32 v[40:41], v[40:41], v[42:43], v[84:85] op_sel_hi:[1,1,0] neg_lo:[0,0,1] neg_hi:[0,0,1]
	v_mov_b32_e32 v41, v45
	ds_store_b64 v53, v[40:41]
.LBB154_398:                            ;   in Loop: Header=BB154_3 Depth=1
	s_or_b32 exec_lo, exec_lo, s6
	s_wait_dscnt 0x0
	s_barrier_signal -1
	s_barrier_wait -1
	s_and_saveexec_b32 s6, s43
	s_cbranch_execz .LBB154_400
; %bb.399:                              ;   in Loop: Header=BB154_3 Depth=1
	ds_load_b64 v[42:43], v51 offset:10400
	ds_load_b64 v[44:45], v53
	s_wait_dscnt 0x0
	v_dual_mul_f32 v0, v45, v43 :: v_dual_mul_f32 v85, v44, v43
	s_delay_alu instid0(VALU_DEP_1) | instskip(NEXT) | instid1(VALU_DEP_1)
	v_dual_fma_f32 v84, v44, v42, -v0 :: v_dual_fmac_f32 v85, v45, v42
	v_pk_add_f32 v[40:41], v[40:41], v[84:85]
.LBB154_400:                            ;   in Loop: Header=BB154_3 Depth=1
	s_or_b32 exec_lo, exec_lo, s6
	s_barrier_signal -1
	s_barrier_wait -1
	s_and_saveexec_b32 s6, s44
	s_cbranch_execz .LBB154_402
; %bb.401:                              ;   in Loop: Header=BB154_3 Depth=1
	ds_load_b64 v[42:43], v1 offset:10920
	s_wait_dscnt 0x0
	v_pk_mul_f32 v[44:45], v[40:41], v[42:43] op_sel:[1,1] op_sel_hi:[1,0]
	s_delay_alu instid0(VALU_DEP_1) | instskip(SKIP_1) | instid1(VALU_DEP_2)
	v_pk_fma_f32 v[84:85], v[40:41], v[42:43], v[44:45] op_sel_hi:[0,1,1]
	v_pk_fma_f32 v[42:43], v[40:41], v[42:43], v[44:45] neg_lo:[0,0,1] neg_hi:[0,0,1]
	v_mov_b32_e32 v43, v85
	s_delay_alu instid0(VALU_DEP_1)
	v_mov_b64_e32 v[40:41], v[42:43]
	ds_store_b64 v53, v[42:43]
.LBB154_402:                            ;   in Loop: Header=BB154_3 Depth=1
	s_or_b32 exec_lo, exec_lo, s6
	s_wait_dscnt 0x0
	s_barrier_signal -1
	s_barrier_wait -1
	s_and_saveexec_b32 s6, s45
	s_cbranch_execz .LBB154_404
; %bb.403:                              ;   in Loop: Header=BB154_3 Depth=1
	ds_load_b64 v[42:43], v51 offset:10912
	ds_load_b64 v[44:45], v53
	s_wait_dscnt 0x0
	v_pk_mul_f32 v[84:85], v[44:45], v[42:43] op_sel:[1,1] op_sel_hi:[0,1]
	s_delay_alu instid0(VALU_DEP_1) | instskip(SKIP_1) | instid1(VALU_DEP_2)
	v_pk_fma_f32 v[86:87], v[44:45], v[42:43], v[84:85] op_sel_hi:[1,0,1]
	v_pk_fma_f32 v[42:43], v[44:45], v[42:43], v[84:85] neg_lo:[0,0,1] neg_hi:[0,0,1]
	v_mov_b32_e32 v43, v87
	s_delay_alu instid0(VALU_DEP_1)
	v_pk_add_f32 v[40:41], v[40:41], v[42:43]
.LBB154_404:                            ;   in Loop: Header=BB154_3 Depth=1
	s_or_b32 exec_lo, exec_lo, s6
	s_barrier_signal -1
	s_barrier_wait -1
	s_and_saveexec_b32 s6, s46
	s_cbranch_execz .LBB154_406
; %bb.405:                              ;   in Loop: Header=BB154_3 Depth=1
	ds_load_b64 v[42:43], v1 offset:11440
	s_wait_dscnt 0x0
	v_pk_mul_f32 v[44:45], v[40:41], v[42:43] op_sel:[1,1] op_sel_hi:[1,0]
	s_delay_alu instid0(VALU_DEP_1) | instskip(SKIP_1) | instid1(VALU_DEP_2)
	v_pk_fma_f32 v[84:85], v[40:41], v[42:43], v[44:45] op_sel_hi:[0,1,1]
	v_pk_fma_f32 v[42:43], v[40:41], v[42:43], v[44:45] neg_lo:[0,0,1] neg_hi:[0,0,1]
	v_mov_b32_e32 v43, v85
	s_delay_alu instid0(VALU_DEP_1)
	v_mov_b64_e32 v[40:41], v[42:43]
	ds_store_b64 v53, v[42:43]
.LBB154_406:                            ;   in Loop: Header=BB154_3 Depth=1
	s_or_b32 exec_lo, exec_lo, s6
	s_wait_dscnt 0x0
	s_barrier_signal -1
	s_barrier_wait -1
	s_and_saveexec_b32 s6, s47
	s_cbranch_execz .LBB154_408
; %bb.407:                              ;   in Loop: Header=BB154_3 Depth=1
	ds_load_b64 v[42:43], v1 offset:11448
	ds_load_b64 v[44:45], v53
	s_wait_dscnt 0x0
	v_pk_mul_f32 v[84:85], v[44:45], v[42:43] op_sel:[1,1] op_sel_hi:[0,1]
	s_delay_alu instid0(VALU_DEP_1) | instskip(SKIP_1) | instid1(VALU_DEP_2)
	v_pk_fma_f32 v[86:87], v[44:45], v[42:43], v[84:85] op_sel_hi:[1,0,1]
	v_pk_fma_f32 v[42:43], v[44:45], v[42:43], v[84:85] neg_lo:[0,0,1] neg_hi:[0,0,1]
	v_mov_b32_e32 v43, v87
	s_delay_alu instid0(VALU_DEP_1)
	v_pk_add_f32 v[40:41], v[40:41], v[42:43]
.LBB154_408:                            ;   in Loop: Header=BB154_3 Depth=1
	s_or_b32 exec_lo, exec_lo, s6
	s_barrier_signal -1
	s_barrier_wait -1
	s_and_saveexec_b32 s6, s47
	s_cbranch_execz .LBB154_410
; %bb.409:                              ;   in Loop: Header=BB154_3 Depth=1
	ds_load_b64 v[42:43], v1 offset:11960
	s_wait_dscnt 0x0
	v_pk_mul_f32 v[44:45], v[40:41], v[42:43] op_sel:[1,1] op_sel_hi:[1,0]
	s_delay_alu instid0(VALU_DEP_1) | instskip(SKIP_1) | instid1(VALU_DEP_2)
	v_pk_fma_f32 v[84:85], v[40:41], v[42:43], v[44:45] op_sel_hi:[0,1,1]
	v_pk_fma_f32 v[42:43], v[40:41], v[42:43], v[44:45] neg_lo:[0,0,1] neg_hi:[0,0,1]
	v_mov_b32_e32 v43, v85
	s_delay_alu instid0(VALU_DEP_1)
	v_mov_b64_e32 v[40:41], v[42:43]
	ds_store_b64 v53, v[42:43]
.LBB154_410:                            ;   in Loop: Header=BB154_3 Depth=1
	s_or_b32 exec_lo, exec_lo, s6
	s_wait_dscnt 0x0
	s_barrier_signal -1
	s_barrier_wait -1
	s_barrier_signal -1
	s_barrier_wait -1
	s_and_saveexec_b32 s6, s2
; %bb.411:                              ;   in Loop: Header=BB154_3 Depth=1
	v_pk_add_f32 v[40:41], v[40:41], 0 neg_lo:[1,1] neg_hi:[1,1]
	ds_store_b64 v54, v[40:41] offset:8352
; %bb.412:                              ;   in Loop: Header=BB154_3 Depth=1
	s_or_b32 exec_lo, exec_lo, s6
	s_wait_dscnt 0x0
	s_barrier_signal -1
	s_barrier_wait -1
	s_barrier_signal -1
	s_barrier_wait -1
	s_and_saveexec_b32 s11, s14
	s_cbranch_execz .LBB154_414
; %bb.413:                              ;   in Loop: Header=BB154_3 Depth=1
	ds_load_b128 v[40:43], v1 offset:10400
	ds_load_b64 v[44:45], v1 offset:10920
	s_wait_dscnt 0x1
	v_dual_mov_b32 v84, v43 :: v_dual_mov_b32 v85, v42
	s_wait_dscnt 0x0
	v_dual_mul_f32 v83, v45, v41 :: v_dual_mul_f32 v0, v44, v41
	s_delay_alu instid0(VALU_DEP_1) | instskip(NEXT) | instid1(VALU_DEP_1)
	v_xor_b32_e32 v86, 0x80000000, v83
	v_dual_fmac_f32 v0, v45, v40 :: v_dual_fmac_f32 v86, v44, v40
	s_delay_alu instid0(VALU_DEP_1) | instskip(NEXT) | instid1(VALU_DEP_1)
	v_pk_mul_f32 v[40:41], v[0:1], v[84:85] op_sel_hi:[0,1]
	v_pk_fma_f32 v[44:45], v[86:87], v[42:43], v[40:41] op_sel_hi:[0,1,1]
	v_pk_fma_f32 v[40:41], v[86:87], v[42:43], v[40:41] neg_lo:[0,0,1] neg_hi:[0,0,1]
	s_delay_alu instid0(VALU_DEP_2)
	v_mov_b32_e32 v41, v45
	ds_store_b64 v1, v[40:41] offset:10408
.LBB154_414:                            ;   in Loop: Header=BB154_3 Depth=1
	s_or_b32 exec_lo, exec_lo, s11
	v_mov_b32_e32 v41, 0
	s_wait_dscnt 0x0
	s_barrier_signal -1
	s_barrier_wait -1
	s_delay_alu instid0(VALU_DEP_1)
	v_mov_b32_e32 v40, v41
	s_and_saveexec_b32 s11, s1
	s_cbranch_execz .LBB154_418
; %bb.415:                              ;   in Loop: Header=BB154_3 Depth=1
	ds_load_b64 v[40:41], v48 offset:10416
	ds_load_b64 v[42:43], v49 offset:10400
	s_wait_dscnt 0x0
	v_dual_mul_f32 v0, v43, v41 :: v_dual_mul_f32 v45, v42, v41
	s_delay_alu instid0(VALU_DEP_1) | instskip(NEXT) | instid1(VALU_DEP_1)
	v_dual_fma_f32 v44, v42, v40, -v0 :: v_dual_fmac_f32 v45, v43, v40
	v_pk_add_f32 v[40:41], v[44:45], 0 op_sel_hi:[1,0]
	s_and_saveexec_b32 s6, s15
	s_cbranch_execz .LBB154_417
; %bb.416:                              ;   in Loop: Header=BB154_3 Depth=1
	ds_load_b64 v[42:43], v50 offset:10928
	ds_load_b64 v[44:45], v1 offset:10408
	s_wait_dscnt 0x0
	v_pk_mul_f32 v[84:85], v[44:45], v[42:43] op_sel:[1,1] op_sel_hi:[0,1]
	s_delay_alu instid0(VALU_DEP_1) | instskip(SKIP_1) | instid1(VALU_DEP_2)
	v_pk_fma_f32 v[86:87], v[44:45], v[42:43], v[84:85] op_sel_hi:[1,0,1]
	v_pk_fma_f32 v[42:43], v[44:45], v[42:43], v[84:85] neg_lo:[0,0,1] neg_hi:[0,0,1]
	v_mov_b32_e32 v43, v87
	s_delay_alu instid0(VALU_DEP_1)
	v_pk_add_f32 v[40:41], v[40:41], v[42:43]
.LBB154_417:                            ;   in Loop: Header=BB154_3 Depth=1
	s_or_b32 exec_lo, exec_lo, s6
	s_delay_alu instid0(VALU_DEP_1)
	v_pk_add_f32 v[40:41], v[40:41], 0 neg_lo:[1,1] neg_hi:[1,1]
.LBB154_418:                            ;   in Loop: Header=BB154_3 Depth=1
	s_or_b32 exec_lo, exec_lo, s11
	s_and_saveexec_b32 s6, s103
	s_cbranch_execz .LBB154_420
; %bb.419:                              ;   in Loop: Header=BB154_3 Depth=1
	ds_load_b64 v[42:43], v1 offset:11440
	s_wait_dscnt 0x0
	v_pk_mul_f32 v[44:45], v[40:41], v[42:43] op_sel:[1,1] op_sel_hi:[1,0]
	s_delay_alu instid0(VALU_DEP_1) | instskip(SKIP_1) | instid1(VALU_DEP_2)
	v_pk_fma_f32 v[84:85], v[40:41], v[42:43], v[44:45] op_sel_hi:[0,1,1]
	v_pk_fma_f32 v[42:43], v[40:41], v[42:43], v[44:45] neg_lo:[0,0,1] neg_hi:[0,0,1]
	v_mov_b32_e32 v43, v85
	s_delay_alu instid0(VALU_DEP_1)
	v_mov_b64_e32 v[40:41], v[42:43]
	ds_store_b64 v3, v[42:43]
.LBB154_420:                            ;   in Loop: Header=BB154_3 Depth=1
	s_or_b32 exec_lo, exec_lo, s6
	s_wait_dscnt 0x0
	s_barrier_signal -1
	s_barrier_wait -1
	s_and_saveexec_b32 s6, s104
	s_cbranch_execz .LBB154_422
; %bb.421:                              ;   in Loop: Header=BB154_3 Depth=1
	ds_load_b64 v[42:43], v1 offset:11448
	ds_load_b64 v[44:45], v3
	s_wait_dscnt 0x0
	v_pk_mul_f32 v[84:85], v[44:45], v[42:43] op_sel:[1,1] op_sel_hi:[0,1]
	s_delay_alu instid0(VALU_DEP_1) | instskip(SKIP_1) | instid1(VALU_DEP_2)
	v_pk_fma_f32 v[86:87], v[44:45], v[42:43], v[84:85] op_sel_hi:[1,0,1]
	v_pk_fma_f32 v[42:43], v[44:45], v[42:43], v[84:85] neg_lo:[0,0,1] neg_hi:[0,0,1]
	v_mov_b32_e32 v43, v87
	s_delay_alu instid0(VALU_DEP_1)
	v_pk_add_f32 v[40:41], v[40:41], v[42:43]
.LBB154_422:                            ;   in Loop: Header=BB154_3 Depth=1
	s_or_b32 exec_lo, exec_lo, s6
	s_barrier_signal -1
	s_barrier_wait -1
	s_and_saveexec_b32 s6, s104
	s_cbranch_execz .LBB154_424
; %bb.423:                              ;   in Loop: Header=BB154_3 Depth=1
	ds_load_b64 v[42:43], v1 offset:11960
	s_wait_dscnt 0x0
	v_pk_mul_f32 v[44:45], v[40:41], v[42:43] op_sel:[1,1] op_sel_hi:[1,0]
	s_delay_alu instid0(VALU_DEP_1) | instskip(SKIP_1) | instid1(VALU_DEP_2)
	v_pk_fma_f32 v[84:85], v[40:41], v[42:43], v[44:45] op_sel_hi:[0,1,1]
	v_pk_fma_f32 v[42:43], v[40:41], v[42:43], v[44:45] neg_lo:[0,0,1] neg_hi:[0,0,1]
	v_mov_b32_e32 v43, v85
	s_delay_alu instid0(VALU_DEP_1)
	v_mov_b64_e32 v[40:41], v[42:43]
	ds_store_b64 v3, v[42:43]
.LBB154_424:                            ;   in Loop: Header=BB154_3 Depth=1
	s_or_b32 exec_lo, exec_lo, s6
	s_wait_dscnt 0x0
	s_barrier_signal -1
	s_barrier_wait -1
	s_barrier_signal -1
	s_barrier_wait -1
	s_and_saveexec_b32 s6, s1
; %bb.425:                              ;   in Loop: Header=BB154_3 Depth=1
	v_pk_add_f32 v[40:41], v[40:41], 0 neg_lo:[1,1] neg_hi:[1,1]
	ds_store_b64 v48, v[40:41] offset:10416
; %bb.426:                              ;   in Loop: Header=BB154_3 Depth=1
	s_or_b32 exec_lo, exec_lo, s6
	s_wait_dscnt 0x0
	s_barrier_signal -1
	s_barrier_wait -1
	s_barrier_signal -1
	s_barrier_wait -1
	s_and_saveexec_b32 s11, s14
	s_cbranch_execz .LBB154_428
; %bb.427:                              ;   in Loop: Header=BB154_3 Depth=1
	ds_load_b128 v[40:43], v1 offset:11440
	ds_load_b64 v[44:45], v1 offset:11960
	s_wait_dscnt 0x1
	v_dual_mov_b32 v84, v43 :: v_dual_mov_b32 v85, v42
	s_wait_dscnt 0x0
	v_dual_mul_f32 v83, v45, v41 :: v_dual_mul_f32 v0, v44, v41
	s_delay_alu instid0(VALU_DEP_1) | instskip(NEXT) | instid1(VALU_DEP_1)
	v_xor_b32_e32 v86, 0x80000000, v83
	v_dual_fmac_f32 v0, v45, v40 :: v_dual_fmac_f32 v86, v44, v40
	s_delay_alu instid0(VALU_DEP_1) | instskip(NEXT) | instid1(VALU_DEP_1)
	v_pk_mul_f32 v[40:41], v[0:1], v[84:85] op_sel_hi:[0,1]
	v_pk_fma_f32 v[44:45], v[86:87], v[42:43], v[40:41] op_sel_hi:[0,1,1]
	v_pk_fma_f32 v[40:41], v[86:87], v[42:43], v[40:41] neg_lo:[0,0,1] neg_hi:[0,0,1]
	s_delay_alu instid0(VALU_DEP_2)
	v_mov_b32_e32 v41, v45
	ds_store_b64 v1, v[40:41] offset:11448
.LBB154_428:                            ;   in Loop: Header=BB154_3 Depth=1
	s_or_b32 exec_lo, exec_lo, s11
	v_mov_b32_e32 v40, 0
	s_wait_dscnt 0x0
	s_barrier_signal -1
	s_barrier_wait -1
	s_delay_alu instid0(VALU_DEP_1)
	v_mov_b32_e32 v41, v40
	s_and_saveexec_b32 s11, s3
	s_cbranch_execz .LBB154_438
; %bb.429:                              ;   in Loop: Header=BB154_3 Depth=1
	ds_load_b64 v[40:41], v59 offset:8384
	ds_load_b64 v[42:43], v56 offset:8320
	s_wait_dscnt 0x0
	v_dual_mul_f32 v0, v43, v41 :: v_dual_mul_f32 v44, v42, v41
	s_delay_alu instid0(VALU_DEP_1) | instskip(NEXT) | instid1(VALU_DEP_2)
	v_fma_f32 v0, v42, v40, -v0
	v_fmac_f32_e32 v44, v43, v40
	s_delay_alu instid0(VALU_DEP_2) | instskip(NEXT) | instid1(VALU_DEP_2)
	v_add_f32_e32 v41, 0, v0
	v_add_f32_e32 v40, 0, v44
	s_and_saveexec_b32 s6, s18
	s_cbranch_execnz .LBB154_1064
; %bb.430:                              ;   in Loop: Header=BB154_3 Depth=1
	s_or_b32 exec_lo, exec_lo, s6
	s_and_saveexec_b32 s6, s19
	s_cbranch_execnz .LBB154_1065
.LBB154_431:                            ;   in Loop: Header=BB154_3 Depth=1
	s_or_b32 exec_lo, exec_lo, s6
	s_and_saveexec_b32 s6, s20
	s_cbranch_execnz .LBB154_1066
.LBB154_432:                            ;   in Loop: Header=BB154_3 Depth=1
	s_or_b32 exec_lo, exec_lo, s6
	s_and_saveexec_b32 s6, s21
	s_cbranch_execnz .LBB154_1067
.LBB154_433:                            ;   in Loop: Header=BB154_3 Depth=1
	s_or_b32 exec_lo, exec_lo, s6
	s_and_saveexec_b32 s6, s22
	s_cbranch_execnz .LBB154_1068
.LBB154_434:                            ;   in Loop: Header=BB154_3 Depth=1
	s_or_b32 exec_lo, exec_lo, s6
	s_and_saveexec_b32 s6, s2
	s_cbranch_execnz .LBB154_1069
.LBB154_435:                            ;   in Loop: Header=BB154_3 Depth=1
	s_or_b32 exec_lo, exec_lo, s6
	s_and_saveexec_b32 s6, s17
	s_cbranch_execz .LBB154_437
.LBB154_436:                            ;   in Loop: Header=BB154_3 Depth=1
	ds_load_b64 v[42:43], v50 offset:11968
	ds_load_b64 v[44:45], v1 offset:8376
	s_wait_dscnt 0x0
	v_pk_mul_f32 v[84:85], v[44:45], v[42:43] op_sel:[0,1]
	s_delay_alu instid0(VALU_DEP_1) | instskip(SKIP_1) | instid1(VALU_DEP_2)
	v_pk_fma_f32 v[86:87], v[44:45], v[42:43], v[84:85] op_sel:[1,0,0] op_sel_hi:[0,0,1] neg_lo:[0,0,1] neg_hi:[0,0,1]
	v_pk_fma_f32 v[42:43], v[44:45], v[42:43], v[84:85] op_sel:[1,0,0] op_sel_hi:[0,1,1]
	v_mov_b32_e32 v43, v87
	s_delay_alu instid0(VALU_DEP_1)
	v_pk_add_f32 v[40:41], v[40:41], v[42:43]
.LBB154_437:                            ;   in Loop: Header=BB154_3 Depth=1
	s_or_b32 exec_lo, exec_lo, s6
	s_delay_alu instid0(VALU_DEP_1) | instskip(NEXT) | instid1(VALU_DEP_1)
	v_pk_add_f32 v[42:43], v[40:41], 0 neg_lo:[1,1] neg_hi:[1,1]
	v_dual_mov_b32 v40, v43 :: v_dual_mov_b32 v41, v42
.LBB154_438:                            ;   in Loop: Header=BB154_3 Depth=1
	s_or_b32 exec_lo, exec_lo, s11
	s_and_saveexec_b32 s6, s48
	s_cbranch_execz .LBB154_440
; %bb.439:                              ;   in Loop: Header=BB154_3 Depth=1
	ds_load_b64 v[42:43], v1 offset:12480
	v_dual_mov_b32 v44, v41 :: v_dual_mov_b32 v45, v40
	s_wait_dscnt 0x0
	s_delay_alu instid0(VALU_DEP_1) | instskip(NEXT) | instid1(VALU_DEP_1)
	v_dual_mul_f32 v0, v44, v42 :: v_dual_mul_f32 v84, v41, v43
	v_pk_fma_f32 v[44:45], v[44:45], v[42:43], v[0:1] op_sel_hi:[1,1,0]
	s_delay_alu instid0(VALU_DEP_2) | instskip(NEXT) | instid1(VALU_DEP_2)
	v_pk_fma_f32 v[40:41], v[40:41], v[42:43], v[84:85] op_sel_hi:[1,1,0] neg_lo:[0,0,1] neg_hi:[0,0,1]
	v_mov_b32_e32 v41, v45
	ds_store_b64 v58, v[40:41]
.LBB154_440:                            ;   in Loop: Header=BB154_3 Depth=1
	s_or_b32 exec_lo, exec_lo, s6
	s_wait_dscnt 0x0
	s_barrier_signal -1
	s_barrier_wait -1
	s_and_saveexec_b32 s6, s49
	s_cbranch_execz .LBB154_442
; %bb.441:                              ;   in Loop: Header=BB154_3 Depth=1
	ds_load_b64 v[42:43], v57 offset:12480
	ds_load_b64 v[44:45], v58
	s_wait_dscnt 0x0
	v_dual_mul_f32 v0, v45, v43 :: v_dual_mul_f32 v85, v44, v43
	s_delay_alu instid0(VALU_DEP_1) | instskip(NEXT) | instid1(VALU_DEP_1)
	v_dual_fma_f32 v84, v44, v42, -v0 :: v_dual_fmac_f32 v85, v45, v42
	v_pk_add_f32 v[40:41], v[40:41], v[84:85]
.LBB154_442:                            ;   in Loop: Header=BB154_3 Depth=1
	s_or_b32 exec_lo, exec_lo, s6
	s_barrier_signal -1
	s_barrier_wait -1
	s_and_saveexec_b32 s6, s50
	s_cbranch_execz .LBB154_444
; %bb.443:                              ;   in Loop: Header=BB154_3 Depth=1
	ds_load_b64 v[42:43], v1 offset:13000
	s_wait_dscnt 0x0
	v_pk_mul_f32 v[44:45], v[40:41], v[42:43] op_sel:[1,1] op_sel_hi:[1,0]
	s_delay_alu instid0(VALU_DEP_1) | instskip(SKIP_1) | instid1(VALU_DEP_2)
	v_pk_fma_f32 v[84:85], v[40:41], v[42:43], v[44:45] op_sel_hi:[0,1,1]
	v_pk_fma_f32 v[40:41], v[40:41], v[42:43], v[44:45] op_sel_hi:[0,1,1] neg_lo:[0,0,1] neg_hi:[0,0,1]
	v_mov_b32_e32 v41, v85
	ds_store_b64 v58, v[40:41]
.LBB154_444:                            ;   in Loop: Header=BB154_3 Depth=1
	s_or_b32 exec_lo, exec_lo, s6
	s_wait_dscnt 0x0
	s_barrier_signal -1
	s_barrier_wait -1
	s_and_saveexec_b32 s6, s51
	s_cbranch_execz .LBB154_446
; %bb.445:                              ;   in Loop: Header=BB154_3 Depth=1
	ds_load_b64 v[42:43], v57 offset:12992
	ds_load_b64 v[44:45], v58
	s_wait_dscnt 0x0
	v_pk_mul_f32 v[84:85], v[44:45], v[42:43] op_sel:[1,1] op_sel_hi:[0,1]
	s_delay_alu instid0(VALU_DEP_1) | instskip(SKIP_1) | instid1(VALU_DEP_2)
	v_pk_fma_f32 v[86:87], v[44:45], v[42:43], v[84:85] op_sel_hi:[1,0,1]
	v_pk_fma_f32 v[42:43], v[44:45], v[42:43], v[84:85] op_sel_hi:[1,0,1] neg_lo:[0,0,1] neg_hi:[0,0,1]
	v_mov_b32_e32 v43, v87
	s_delay_alu instid0(VALU_DEP_1)
	v_pk_add_f32 v[40:41], v[40:41], v[42:43]
.LBB154_446:                            ;   in Loop: Header=BB154_3 Depth=1
	s_or_b32 exec_lo, exec_lo, s6
	s_barrier_signal -1
	s_barrier_wait -1
	s_and_saveexec_b32 s6, s52
	s_cbranch_execz .LBB154_448
; %bb.447:                              ;   in Loop: Header=BB154_3 Depth=1
	ds_load_b64 v[42:43], v1 offset:13520
	s_wait_dscnt 0x0
	v_pk_mul_f32 v[44:45], v[40:41], v[42:43] op_sel:[1,1] op_sel_hi:[1,0]
	s_delay_alu instid0(VALU_DEP_1) | instskip(SKIP_1) | instid1(VALU_DEP_2)
	v_pk_fma_f32 v[84:85], v[40:41], v[42:43], v[44:45] op_sel_hi:[0,1,1]
	v_pk_fma_f32 v[40:41], v[40:41], v[42:43], v[44:45] op_sel_hi:[0,1,1] neg_lo:[0,0,1] neg_hi:[0,0,1]
	v_mov_b32_e32 v41, v85
	ds_store_b64 v58, v[40:41]
.LBB154_448:                            ;   in Loop: Header=BB154_3 Depth=1
	s_or_b32 exec_lo, exec_lo, s6
	s_wait_dscnt 0x0
	s_barrier_signal -1
	s_barrier_wait -1
	s_and_saveexec_b32 s6, s53
	s_cbranch_execz .LBB154_450
; %bb.449:                              ;   in Loop: Header=BB154_3 Depth=1
	ds_load_b64 v[42:43], v57 offset:13504
	ds_load_b64 v[44:45], v58
	s_wait_dscnt 0x0
	v_pk_mul_f32 v[84:85], v[44:45], v[42:43] op_sel:[1,1] op_sel_hi:[0,1]
	s_delay_alu instid0(VALU_DEP_1) | instskip(SKIP_1) | instid1(VALU_DEP_2)
	v_pk_fma_f32 v[86:87], v[44:45], v[42:43], v[84:85] op_sel_hi:[1,0,1]
	v_pk_fma_f32 v[42:43], v[44:45], v[42:43], v[84:85] op_sel_hi:[1,0,1] neg_lo:[0,0,1] neg_hi:[0,0,1]
	v_mov_b32_e32 v43, v87
	s_delay_alu instid0(VALU_DEP_1)
	v_pk_add_f32 v[40:41], v[40:41], v[42:43]
.LBB154_450:                            ;   in Loop: Header=BB154_3 Depth=1
	;; [unrolled: 33-line block ×3, first 2 shown]
	s_or_b32 exec_lo, exec_lo, s6
	s_barrier_signal -1
	s_barrier_wait -1
	s_and_saveexec_b32 s6, s56
	s_cbranch_execz .LBB154_456
; %bb.455:                              ;   in Loop: Header=BB154_3 Depth=1
	ds_load_b64 v[42:43], v1 offset:14560
	s_wait_dscnt 0x0
	v_dual_mul_f32 v0, v40, v43 :: v_dual_mul_f32 v44, v41, v43
	s_delay_alu instid0(VALU_DEP_1) | instskip(NEXT) | instid1(VALU_DEP_2)
	v_pk_fma_f32 v[84:85], v[40:41], v[42:43], v[0:1] op_sel:[0,1,0] op_sel_hi:[1,0,0]
	v_pk_fma_f32 v[42:43], v[40:41], v[42:43], v[44:45] op_sel_hi:[1,1,0] neg_lo:[0,0,1] neg_hi:[0,0,1]
	s_delay_alu instid0(VALU_DEP_2) | instskip(NEXT) | instid1(VALU_DEP_1)
	v_mov_b32_e32 v43, v85
	v_mov_b64_e32 v[40:41], v[42:43]
	ds_store_b64 v58, v[42:43]
.LBB154_456:                            ;   in Loop: Header=BB154_3 Depth=1
	s_or_b32 exec_lo, exec_lo, s6
	s_wait_dscnt 0x0
	s_barrier_signal -1
	s_barrier_wait -1
	s_and_saveexec_b32 s6, s57
	s_cbranch_execz .LBB154_458
; %bb.457:                              ;   in Loop: Header=BB154_3 Depth=1
	ds_load_b64 v[42:43], v57 offset:14528
	ds_load_b64 v[44:45], v58
	s_wait_dscnt 0x0
	v_dual_mul_f32 v0, v45, v43 :: v_dual_mul_f32 v85, v44, v43
	s_delay_alu instid0(VALU_DEP_1) | instskip(NEXT) | instid1(VALU_DEP_1)
	v_dual_fma_f32 v84, v44, v42, -v0 :: v_dual_fmac_f32 v85, v45, v42
	v_pk_add_f32 v[40:41], v[40:41], v[84:85]
.LBB154_458:                            ;   in Loop: Header=BB154_3 Depth=1
	s_or_b32 exec_lo, exec_lo, s6
	s_barrier_signal -1
	s_barrier_wait -1
	s_and_saveexec_b32 s6, s58
	s_cbranch_execz .LBB154_460
; %bb.459:                              ;   in Loop: Header=BB154_3 Depth=1
	ds_load_b64 v[42:43], v1 offset:15080
	s_wait_dscnt 0x0
	v_pk_mul_f32 v[44:45], v[40:41], v[42:43] op_sel:[1,1] op_sel_hi:[1,0]
	s_delay_alu instid0(VALU_DEP_1) | instskip(SKIP_1) | instid1(VALU_DEP_2)
	v_pk_fma_f32 v[84:85], v[40:41], v[42:43], v[44:45] op_sel_hi:[0,1,1]
	v_pk_fma_f32 v[42:43], v[40:41], v[42:43], v[44:45] neg_lo:[0,0,1] neg_hi:[0,0,1]
	v_mov_b32_e32 v43, v85
	s_delay_alu instid0(VALU_DEP_1)
	v_mov_b64_e32 v[40:41], v[42:43]
	ds_store_b64 v58, v[42:43]
.LBB154_460:                            ;   in Loop: Header=BB154_3 Depth=1
	s_or_b32 exec_lo, exec_lo, s6
	s_wait_dscnt 0x0
	s_barrier_signal -1
	s_barrier_wait -1
	s_and_saveexec_b32 s6, s59
	s_cbranch_execz .LBB154_462
; %bb.461:                              ;   in Loop: Header=BB154_3 Depth=1
	ds_load_b64 v[42:43], v57 offset:15040
	ds_load_b64 v[44:45], v58
	s_wait_dscnt 0x0
	v_pk_mul_f32 v[84:85], v[44:45], v[42:43] op_sel:[1,1] op_sel_hi:[0,1]
	s_delay_alu instid0(VALU_DEP_1) | instskip(SKIP_1) | instid1(VALU_DEP_2)
	v_pk_fma_f32 v[86:87], v[44:45], v[42:43], v[84:85] op_sel_hi:[1,0,1]
	v_pk_fma_f32 v[42:43], v[44:45], v[42:43], v[84:85] neg_lo:[0,0,1] neg_hi:[0,0,1]
	v_mov_b32_e32 v43, v87
	s_delay_alu instid0(VALU_DEP_1)
	v_pk_add_f32 v[40:41], v[40:41], v[42:43]
.LBB154_462:                            ;   in Loop: Header=BB154_3 Depth=1
	s_or_b32 exec_lo, exec_lo, s6
	s_barrier_signal -1
	s_barrier_wait -1
	s_and_saveexec_b32 s6, s60
	s_cbranch_execz .LBB154_464
; %bb.463:                              ;   in Loop: Header=BB154_3 Depth=1
	ds_load_b64 v[42:43], v1 offset:15600
	s_wait_dscnt 0x0
	v_pk_mul_f32 v[44:45], v[40:41], v[42:43] op_sel:[1,1] op_sel_hi:[1,0]
	s_delay_alu instid0(VALU_DEP_1) | instskip(SKIP_1) | instid1(VALU_DEP_2)
	v_pk_fma_f32 v[84:85], v[40:41], v[42:43], v[44:45] op_sel_hi:[0,1,1]
	v_pk_fma_f32 v[42:43], v[40:41], v[42:43], v[44:45] neg_lo:[0,0,1] neg_hi:[0,0,1]
	v_mov_b32_e32 v43, v85
	s_delay_alu instid0(VALU_DEP_1)
	v_mov_b64_e32 v[40:41], v[42:43]
	ds_store_b64 v58, v[42:43]
.LBB154_464:                            ;   in Loop: Header=BB154_3 Depth=1
	s_or_b32 exec_lo, exec_lo, s6
	s_wait_dscnt 0x0
	s_barrier_signal -1
	s_barrier_wait -1
	s_and_saveexec_b32 s6, s61
	s_cbranch_execz .LBB154_466
; %bb.465:                              ;   in Loop: Header=BB154_3 Depth=1
	ds_load_b64 v[42:43], v1 offset:15608
	ds_load_b64 v[44:45], v58
	s_wait_dscnt 0x0
	v_pk_mul_f32 v[84:85], v[44:45], v[42:43] op_sel:[1,1] op_sel_hi:[0,1]
	s_delay_alu instid0(VALU_DEP_1) | instskip(SKIP_1) | instid1(VALU_DEP_2)
	v_pk_fma_f32 v[86:87], v[44:45], v[42:43], v[84:85] op_sel_hi:[1,0,1]
	v_pk_fma_f32 v[42:43], v[44:45], v[42:43], v[84:85] neg_lo:[0,0,1] neg_hi:[0,0,1]
	v_mov_b32_e32 v43, v87
	s_delay_alu instid0(VALU_DEP_1)
	v_pk_add_f32 v[40:41], v[40:41], v[42:43]
.LBB154_466:                            ;   in Loop: Header=BB154_3 Depth=1
	s_or_b32 exec_lo, exec_lo, s6
	s_barrier_signal -1
	s_barrier_wait -1
	s_and_saveexec_b32 s6, s61
	s_cbranch_execz .LBB154_468
; %bb.467:                              ;   in Loop: Header=BB154_3 Depth=1
	ds_load_b64 v[42:43], v1 offset:16120
	s_wait_dscnt 0x0
	v_pk_mul_f32 v[44:45], v[40:41], v[42:43] op_sel:[1,1] op_sel_hi:[1,0]
	s_delay_alu instid0(VALU_DEP_1) | instskip(SKIP_1) | instid1(VALU_DEP_2)
	v_pk_fma_f32 v[84:85], v[40:41], v[42:43], v[44:45] op_sel_hi:[0,1,1]
	v_pk_fma_f32 v[42:43], v[40:41], v[42:43], v[44:45] neg_lo:[0,0,1] neg_hi:[0,0,1]
	v_mov_b32_e32 v43, v85
	s_delay_alu instid0(VALU_DEP_1)
	v_mov_b64_e32 v[40:41], v[42:43]
	ds_store_b64 v58, v[42:43]
.LBB154_468:                            ;   in Loop: Header=BB154_3 Depth=1
	s_or_b32 exec_lo, exec_lo, s6
	s_wait_dscnt 0x0
	s_barrier_signal -1
	s_barrier_wait -1
	s_barrier_signal -1
	s_barrier_wait -1
	s_and_saveexec_b32 s6, s3
; %bb.469:                              ;   in Loop: Header=BB154_3 Depth=1
	v_pk_add_f32 v[40:41], v[40:41], 0 neg_lo:[1,1] neg_hi:[1,1]
	ds_store_b64 v59, v[40:41] offset:8384
; %bb.470:                              ;   in Loop: Header=BB154_3 Depth=1
	s_or_b32 exec_lo, exec_lo, s6
	s_wait_dscnt 0x0
	s_barrier_signal -1
	s_barrier_wait -1
	s_barrier_signal -1
	s_barrier_wait -1
	s_and_saveexec_b32 s11, s14
	s_cbranch_execz .LBB154_472
; %bb.471:                              ;   in Loop: Header=BB154_3 Depth=1
	ds_load_b128 v[40:43], v1 offset:12480
	ds_load_b64 v[44:45], v1 offset:13000
	s_wait_dscnt 0x1
	v_dual_mov_b32 v84, v43 :: v_dual_mov_b32 v85, v42
	s_wait_dscnt 0x0
	v_dual_mul_f32 v83, v45, v41 :: v_dual_mul_f32 v0, v44, v41
	s_delay_alu instid0(VALU_DEP_1) | instskip(NEXT) | instid1(VALU_DEP_1)
	v_xor_b32_e32 v86, 0x80000000, v83
	v_dual_fmac_f32 v0, v45, v40 :: v_dual_fmac_f32 v86, v44, v40
	s_delay_alu instid0(VALU_DEP_1) | instskip(NEXT) | instid1(VALU_DEP_1)
	v_pk_mul_f32 v[40:41], v[0:1], v[84:85] op_sel_hi:[0,1]
	v_pk_fma_f32 v[44:45], v[86:87], v[42:43], v[40:41] op_sel_hi:[0,1,1]
	v_pk_fma_f32 v[40:41], v[86:87], v[42:43], v[40:41] neg_lo:[0,0,1] neg_hi:[0,0,1]
	s_delay_alu instid0(VALU_DEP_2)
	v_mov_b32_e32 v41, v45
	ds_store_b64 v1, v[40:41] offset:12488
.LBB154_472:                            ;   in Loop: Header=BB154_3 Depth=1
	s_or_b32 exec_lo, exec_lo, s11
	v_mov_b32_e32 v41, 0
	s_wait_dscnt 0x0
	s_barrier_signal -1
	s_barrier_wait -1
	s_delay_alu instid0(VALU_DEP_1)
	v_mov_b32_e32 v40, v41
	s_and_saveexec_b32 s11, s1
	s_cbranch_execz .LBB154_476
; %bb.473:                              ;   in Loop: Header=BB154_3 Depth=1
	ds_load_b64 v[40:41], v48 offset:12496
	ds_load_b64 v[42:43], v49 offset:12480
	s_wait_dscnt 0x0
	v_dual_mul_f32 v0, v43, v41 :: v_dual_mul_f32 v45, v42, v41
	s_delay_alu instid0(VALU_DEP_1) | instskip(NEXT) | instid1(VALU_DEP_1)
	v_dual_fma_f32 v44, v42, v40, -v0 :: v_dual_fmac_f32 v45, v43, v40
	v_pk_add_f32 v[40:41], v[44:45], 0 op_sel_hi:[1,0]
	s_and_saveexec_b32 s6, s15
	s_cbranch_execz .LBB154_475
; %bb.474:                              ;   in Loop: Header=BB154_3 Depth=1
	ds_load_b64 v[42:43], v50 offset:13008
	ds_load_b64 v[44:45], v1 offset:12488
	s_wait_dscnt 0x0
	v_pk_mul_f32 v[84:85], v[44:45], v[42:43] op_sel:[1,1] op_sel_hi:[0,1]
	s_delay_alu instid0(VALU_DEP_1) | instskip(SKIP_1) | instid1(VALU_DEP_2)
	v_pk_fma_f32 v[86:87], v[44:45], v[42:43], v[84:85] op_sel_hi:[1,0,1]
	v_pk_fma_f32 v[42:43], v[44:45], v[42:43], v[84:85] neg_lo:[0,0,1] neg_hi:[0,0,1]
	v_mov_b32_e32 v43, v87
	s_delay_alu instid0(VALU_DEP_1)
	v_pk_add_f32 v[40:41], v[40:41], v[42:43]
.LBB154_475:                            ;   in Loop: Header=BB154_3 Depth=1
	s_or_b32 exec_lo, exec_lo, s6
	s_delay_alu instid0(VALU_DEP_1)
	v_pk_add_f32 v[40:41], v[40:41], 0 neg_lo:[1,1] neg_hi:[1,1]
.LBB154_476:                            ;   in Loop: Header=BB154_3 Depth=1
	s_or_b32 exec_lo, exec_lo, s11
	s_and_saveexec_b32 s6, s103
	s_cbranch_execz .LBB154_478
; %bb.477:                              ;   in Loop: Header=BB154_3 Depth=1
	ds_load_b64 v[42:43], v1 offset:13520
	s_wait_dscnt 0x0
	v_pk_mul_f32 v[44:45], v[40:41], v[42:43] op_sel:[1,1] op_sel_hi:[1,0]
	s_delay_alu instid0(VALU_DEP_1) | instskip(SKIP_1) | instid1(VALU_DEP_2)
	v_pk_fma_f32 v[84:85], v[40:41], v[42:43], v[44:45] op_sel_hi:[0,1,1]
	v_pk_fma_f32 v[42:43], v[40:41], v[42:43], v[44:45] neg_lo:[0,0,1] neg_hi:[0,0,1]
	v_mov_b32_e32 v43, v85
	s_delay_alu instid0(VALU_DEP_1)
	v_mov_b64_e32 v[40:41], v[42:43]
	ds_store_b64 v3, v[42:43]
.LBB154_478:                            ;   in Loop: Header=BB154_3 Depth=1
	s_or_b32 exec_lo, exec_lo, s6
	s_wait_dscnt 0x0
	s_barrier_signal -1
	s_barrier_wait -1
	s_and_saveexec_b32 s6, s104
	s_cbranch_execz .LBB154_480
; %bb.479:                              ;   in Loop: Header=BB154_3 Depth=1
	ds_load_b64 v[42:43], v1 offset:13528
	ds_load_b64 v[44:45], v3
	s_wait_dscnt 0x0
	v_pk_mul_f32 v[84:85], v[44:45], v[42:43] op_sel:[1,1] op_sel_hi:[0,1]
	s_delay_alu instid0(VALU_DEP_1) | instskip(SKIP_1) | instid1(VALU_DEP_2)
	v_pk_fma_f32 v[86:87], v[44:45], v[42:43], v[84:85] op_sel_hi:[1,0,1]
	v_pk_fma_f32 v[42:43], v[44:45], v[42:43], v[84:85] neg_lo:[0,0,1] neg_hi:[0,0,1]
	v_mov_b32_e32 v43, v87
	s_delay_alu instid0(VALU_DEP_1)
	v_pk_add_f32 v[40:41], v[40:41], v[42:43]
.LBB154_480:                            ;   in Loop: Header=BB154_3 Depth=1
	s_or_b32 exec_lo, exec_lo, s6
	s_barrier_signal -1
	s_barrier_wait -1
	s_and_saveexec_b32 s6, s104
	s_cbranch_execz .LBB154_482
; %bb.481:                              ;   in Loop: Header=BB154_3 Depth=1
	ds_load_b64 v[42:43], v1 offset:14040
	s_wait_dscnt 0x0
	v_pk_mul_f32 v[44:45], v[40:41], v[42:43] op_sel:[1,1] op_sel_hi:[1,0]
	s_delay_alu instid0(VALU_DEP_1) | instskip(SKIP_1) | instid1(VALU_DEP_2)
	v_pk_fma_f32 v[84:85], v[40:41], v[42:43], v[44:45] op_sel_hi:[0,1,1]
	v_pk_fma_f32 v[42:43], v[40:41], v[42:43], v[44:45] neg_lo:[0,0,1] neg_hi:[0,0,1]
	v_mov_b32_e32 v43, v85
	s_delay_alu instid0(VALU_DEP_1)
	v_mov_b64_e32 v[40:41], v[42:43]
	ds_store_b64 v3, v[42:43]
.LBB154_482:                            ;   in Loop: Header=BB154_3 Depth=1
	s_or_b32 exec_lo, exec_lo, s6
	s_wait_dscnt 0x0
	s_barrier_signal -1
	s_barrier_wait -1
	s_barrier_signal -1
	s_barrier_wait -1
	s_and_saveexec_b32 s6, s1
; %bb.483:                              ;   in Loop: Header=BB154_3 Depth=1
	v_pk_add_f32 v[40:41], v[40:41], 0 neg_lo:[1,1] neg_hi:[1,1]
	ds_store_b64 v48, v[40:41] offset:12496
; %bb.484:                              ;   in Loop: Header=BB154_3 Depth=1
	s_or_b32 exec_lo, exec_lo, s6
	s_wait_dscnt 0x0
	s_barrier_signal -1
	s_barrier_wait -1
	s_barrier_signal -1
	s_barrier_wait -1
	s_and_saveexec_b32 s11, s14
	s_cbranch_execz .LBB154_486
; %bb.485:                              ;   in Loop: Header=BB154_3 Depth=1
	ds_load_b128 v[40:43], v1 offset:13520
	ds_load_b64 v[44:45], v1 offset:14040
	s_wait_dscnt 0x1
	v_dual_mov_b32 v84, v43 :: v_dual_mov_b32 v85, v42
	s_wait_dscnt 0x0
	v_dual_mul_f32 v83, v45, v41 :: v_dual_mul_f32 v0, v44, v41
	s_delay_alu instid0(VALU_DEP_1) | instskip(NEXT) | instid1(VALU_DEP_1)
	v_xor_b32_e32 v86, 0x80000000, v83
	v_dual_fmac_f32 v0, v45, v40 :: v_dual_fmac_f32 v86, v44, v40
	s_delay_alu instid0(VALU_DEP_1) | instskip(NEXT) | instid1(VALU_DEP_1)
	v_pk_mul_f32 v[40:41], v[0:1], v[84:85] op_sel_hi:[0,1]
	v_pk_fma_f32 v[44:45], v[86:87], v[42:43], v[40:41] op_sel_hi:[0,1,1]
	v_pk_fma_f32 v[40:41], v[86:87], v[42:43], v[40:41] neg_lo:[0,0,1] neg_hi:[0,0,1]
	s_delay_alu instid0(VALU_DEP_2)
	v_mov_b32_e32 v41, v45
	ds_store_b64 v1, v[40:41] offset:13528
.LBB154_486:                            ;   in Loop: Header=BB154_3 Depth=1
	s_or_b32 exec_lo, exec_lo, s11
	v_mov_b32_e32 v40, 0
	s_wait_dscnt 0x0
	s_barrier_signal -1
	s_barrier_wait -1
	s_delay_alu instid0(VALU_DEP_1)
	v_mov_b32_e32 v41, v40
	s_and_saveexec_b32 s11, s2
	s_cbranch_execz .LBB154_492
; %bb.487:                              ;   in Loop: Header=BB154_3 Depth=1
	ds_load_b64 v[40:41], v54 offset:12512
	ds_load_b64 v[42:43], v52 offset:12480
	s_wait_dscnt 0x0
	v_pk_mul_f32 v[44:45], v[42:43], v[40:41] op_sel:[0,1]
	s_delay_alu instid0(VALU_DEP_1) | instskip(SKIP_1) | instid1(VALU_DEP_2)
	v_pk_fma_f32 v[84:85], v[42:43], v[40:41], v[44:45] op_sel:[1,0,0] op_sel_hi:[0,0,1] neg_lo:[0,0,1] neg_hi:[0,0,1]
	v_pk_fma_f32 v[40:41], v[42:43], v[40:41], v[44:45] op_sel:[1,0,0] op_sel_hi:[0,1,1]
	v_mov_b32_e32 v41, v85
	s_delay_alu instid0(VALU_DEP_1)
	v_pk_add_f32 v[40:41], v[40:41], 0 op_sel_hi:[1,0]
	s_and_saveexec_b32 s6, s16
	s_cbranch_execnz .LBB154_1070
; %bb.488:                              ;   in Loop: Header=BB154_3 Depth=1
	s_or_b32 exec_lo, exec_lo, s6
	s_and_saveexec_b32 s6, s17
	s_cbranch_execnz .LBB154_1071
.LBB154_489:                            ;   in Loop: Header=BB154_3 Depth=1
	s_or_b32 exec_lo, exec_lo, s6
	s_and_saveexec_b32 s6, s1
	s_cbranch_execz .LBB154_491
.LBB154_490:                            ;   in Loop: Header=BB154_3 Depth=1
	ds_load_b64 v[42:43], v50 offset:14048
	ds_load_b64 v[44:45], v1 offset:12504
	s_wait_dscnt 0x0
	v_pk_mul_f32 v[84:85], v[44:45], v[42:43] op_sel:[0,1]
	s_delay_alu instid0(VALU_DEP_1) | instskip(SKIP_1) | instid1(VALU_DEP_2)
	v_pk_fma_f32 v[86:87], v[44:45], v[42:43], v[84:85] op_sel:[1,0,0] op_sel_hi:[0,0,1] neg_lo:[0,0,1] neg_hi:[0,0,1]
	v_pk_fma_f32 v[42:43], v[44:45], v[42:43], v[84:85] op_sel:[1,0,0] op_sel_hi:[0,1,1]
	v_mov_b32_e32 v43, v87
	s_delay_alu instid0(VALU_DEP_1)
	v_pk_add_f32 v[40:41], v[40:41], v[42:43]
.LBB154_491:                            ;   in Loop: Header=BB154_3 Depth=1
	s_or_b32 exec_lo, exec_lo, s6
	s_delay_alu instid0(VALU_DEP_1) | instskip(NEXT) | instid1(VALU_DEP_1)
	v_pk_add_f32 v[42:43], v[40:41], 0 neg_lo:[1,1] neg_hi:[1,1]
	v_dual_mov_b32 v40, v43 :: v_dual_mov_b32 v41, v42
.LBB154_492:                            ;   in Loop: Header=BB154_3 Depth=1
	s_or_b32 exec_lo, exec_lo, s11
	s_and_saveexec_b32 s6, vcc_hi
	s_cbranch_execz .LBB154_494
; %bb.493:                              ;   in Loop: Header=BB154_3 Depth=1
	ds_load_b64 v[42:43], v1 offset:14560
	v_dual_mov_b32 v44, v41 :: v_dual_mov_b32 v45, v40
	s_wait_dscnt 0x0
	s_delay_alu instid0(VALU_DEP_1) | instskip(NEXT) | instid1(VALU_DEP_1)
	v_dual_mul_f32 v0, v44, v42 :: v_dual_mul_f32 v84, v41, v43
	v_pk_fma_f32 v[44:45], v[44:45], v[42:43], v[0:1] op_sel_hi:[1,1,0]
	s_delay_alu instid0(VALU_DEP_2) | instskip(NEXT) | instid1(VALU_DEP_2)
	v_pk_fma_f32 v[40:41], v[40:41], v[42:43], v[84:85] op_sel_hi:[1,1,0] neg_lo:[0,0,1] neg_hi:[0,0,1]
	v_mov_b32_e32 v41, v45
	ds_store_b64 v53, v[40:41]
.LBB154_494:                            ;   in Loop: Header=BB154_3 Depth=1
	s_or_b32 exec_lo, exec_lo, s6
	s_wait_dscnt 0x0
	s_barrier_signal -1
	s_barrier_wait -1
	s_and_saveexec_b32 s6, s43
	s_cbranch_execz .LBB154_496
; %bb.495:                              ;   in Loop: Header=BB154_3 Depth=1
	ds_load_b64 v[42:43], v51 offset:14560
	ds_load_b64 v[44:45], v53
	s_wait_dscnt 0x0
	v_dual_mul_f32 v0, v45, v43 :: v_dual_mul_f32 v85, v44, v43
	s_delay_alu instid0(VALU_DEP_1) | instskip(NEXT) | instid1(VALU_DEP_1)
	v_dual_fma_f32 v84, v44, v42, -v0 :: v_dual_fmac_f32 v85, v45, v42
	v_pk_add_f32 v[40:41], v[40:41], v[84:85]
.LBB154_496:                            ;   in Loop: Header=BB154_3 Depth=1
	s_or_b32 exec_lo, exec_lo, s6
	s_barrier_signal -1
	s_barrier_wait -1
	s_and_saveexec_b32 s6, s44
	s_cbranch_execz .LBB154_498
; %bb.497:                              ;   in Loop: Header=BB154_3 Depth=1
	ds_load_b64 v[42:43], v1 offset:15080
	s_wait_dscnt 0x0
	v_pk_mul_f32 v[44:45], v[40:41], v[42:43] op_sel:[1,1] op_sel_hi:[1,0]
	s_delay_alu instid0(VALU_DEP_1) | instskip(SKIP_1) | instid1(VALU_DEP_2)
	v_pk_fma_f32 v[84:85], v[40:41], v[42:43], v[44:45] op_sel_hi:[0,1,1]
	v_pk_fma_f32 v[42:43], v[40:41], v[42:43], v[44:45] neg_lo:[0,0,1] neg_hi:[0,0,1]
	v_mov_b32_e32 v43, v85
	s_delay_alu instid0(VALU_DEP_1)
	v_mov_b64_e32 v[40:41], v[42:43]
	ds_store_b64 v53, v[42:43]
.LBB154_498:                            ;   in Loop: Header=BB154_3 Depth=1
	s_or_b32 exec_lo, exec_lo, s6
	s_wait_dscnt 0x0
	s_barrier_signal -1
	s_barrier_wait -1
	s_and_saveexec_b32 s6, s45
	s_cbranch_execz .LBB154_500
; %bb.499:                              ;   in Loop: Header=BB154_3 Depth=1
	ds_load_b64 v[42:43], v51 offset:15072
	ds_load_b64 v[44:45], v53
	s_wait_dscnt 0x0
	v_pk_mul_f32 v[84:85], v[44:45], v[42:43] op_sel:[1,1] op_sel_hi:[0,1]
	s_delay_alu instid0(VALU_DEP_1) | instskip(SKIP_1) | instid1(VALU_DEP_2)
	v_pk_fma_f32 v[86:87], v[44:45], v[42:43], v[84:85] op_sel_hi:[1,0,1]
	v_pk_fma_f32 v[42:43], v[44:45], v[42:43], v[84:85] neg_lo:[0,0,1] neg_hi:[0,0,1]
	v_mov_b32_e32 v43, v87
	s_delay_alu instid0(VALU_DEP_1)
	v_pk_add_f32 v[40:41], v[40:41], v[42:43]
.LBB154_500:                            ;   in Loop: Header=BB154_3 Depth=1
	s_or_b32 exec_lo, exec_lo, s6
	s_barrier_signal -1
	s_barrier_wait -1
	s_and_saveexec_b32 s6, s46
	s_cbranch_execz .LBB154_502
; %bb.501:                              ;   in Loop: Header=BB154_3 Depth=1
	ds_load_b64 v[42:43], v1 offset:15600
	s_wait_dscnt 0x0
	v_pk_mul_f32 v[44:45], v[40:41], v[42:43] op_sel:[1,1] op_sel_hi:[1,0]
	s_delay_alu instid0(VALU_DEP_1) | instskip(SKIP_1) | instid1(VALU_DEP_2)
	v_pk_fma_f32 v[84:85], v[40:41], v[42:43], v[44:45] op_sel_hi:[0,1,1]
	v_pk_fma_f32 v[42:43], v[40:41], v[42:43], v[44:45] neg_lo:[0,0,1] neg_hi:[0,0,1]
	v_mov_b32_e32 v43, v85
	s_delay_alu instid0(VALU_DEP_1)
	v_mov_b64_e32 v[40:41], v[42:43]
	ds_store_b64 v53, v[42:43]
.LBB154_502:                            ;   in Loop: Header=BB154_3 Depth=1
	s_or_b32 exec_lo, exec_lo, s6
	s_wait_dscnt 0x0
	s_barrier_signal -1
	s_barrier_wait -1
	s_and_saveexec_b32 s6, s47
	s_cbranch_execz .LBB154_504
; %bb.503:                              ;   in Loop: Header=BB154_3 Depth=1
	ds_load_b64 v[42:43], v1 offset:15608
	ds_load_b64 v[44:45], v53
	s_wait_dscnt 0x0
	v_pk_mul_f32 v[84:85], v[44:45], v[42:43] op_sel:[1,1] op_sel_hi:[0,1]
	s_delay_alu instid0(VALU_DEP_1) | instskip(SKIP_1) | instid1(VALU_DEP_2)
	v_pk_fma_f32 v[86:87], v[44:45], v[42:43], v[84:85] op_sel_hi:[1,0,1]
	v_pk_fma_f32 v[42:43], v[44:45], v[42:43], v[84:85] neg_lo:[0,0,1] neg_hi:[0,0,1]
	v_mov_b32_e32 v43, v87
	s_delay_alu instid0(VALU_DEP_1)
	v_pk_add_f32 v[40:41], v[40:41], v[42:43]
.LBB154_504:                            ;   in Loop: Header=BB154_3 Depth=1
	s_or_b32 exec_lo, exec_lo, s6
	s_barrier_signal -1
	s_barrier_wait -1
	s_and_saveexec_b32 s6, s47
	s_cbranch_execz .LBB154_506
; %bb.505:                              ;   in Loop: Header=BB154_3 Depth=1
	ds_load_b64 v[42:43], v1 offset:16120
	s_wait_dscnt 0x0
	v_pk_mul_f32 v[44:45], v[40:41], v[42:43] op_sel:[1,1] op_sel_hi:[1,0]
	s_delay_alu instid0(VALU_DEP_1) | instskip(SKIP_1) | instid1(VALU_DEP_2)
	v_pk_fma_f32 v[84:85], v[40:41], v[42:43], v[44:45] op_sel_hi:[0,1,1]
	v_pk_fma_f32 v[42:43], v[40:41], v[42:43], v[44:45] neg_lo:[0,0,1] neg_hi:[0,0,1]
	v_mov_b32_e32 v43, v85
	s_delay_alu instid0(VALU_DEP_1)
	v_mov_b64_e32 v[40:41], v[42:43]
	ds_store_b64 v53, v[42:43]
.LBB154_506:                            ;   in Loop: Header=BB154_3 Depth=1
	s_or_b32 exec_lo, exec_lo, s6
	s_wait_dscnt 0x0
	s_barrier_signal -1
	s_barrier_wait -1
	s_barrier_signal -1
	s_barrier_wait -1
	s_and_saveexec_b32 s6, s2
; %bb.507:                              ;   in Loop: Header=BB154_3 Depth=1
	v_pk_add_f32 v[40:41], v[40:41], 0 neg_lo:[1,1] neg_hi:[1,1]
	ds_store_b64 v54, v[40:41] offset:12512
; %bb.508:                              ;   in Loop: Header=BB154_3 Depth=1
	s_or_b32 exec_lo, exec_lo, s6
	s_wait_dscnt 0x0
	s_barrier_signal -1
	s_barrier_wait -1
	s_barrier_signal -1
	s_barrier_wait -1
	s_and_saveexec_b32 s11, s14
	s_cbranch_execz .LBB154_510
; %bb.509:                              ;   in Loop: Header=BB154_3 Depth=1
	ds_load_b128 v[40:43], v1 offset:14560
	ds_load_b64 v[44:45], v1 offset:15080
	s_wait_dscnt 0x1
	v_dual_mov_b32 v84, v43 :: v_dual_mov_b32 v85, v42
	s_wait_dscnt 0x0
	v_dual_mul_f32 v83, v45, v41 :: v_dual_mul_f32 v0, v44, v41
	s_delay_alu instid0(VALU_DEP_1) | instskip(NEXT) | instid1(VALU_DEP_1)
	v_xor_b32_e32 v86, 0x80000000, v83
	v_dual_fmac_f32 v0, v45, v40 :: v_dual_fmac_f32 v86, v44, v40
	s_delay_alu instid0(VALU_DEP_1) | instskip(NEXT) | instid1(VALU_DEP_1)
	v_pk_mul_f32 v[40:41], v[0:1], v[84:85] op_sel_hi:[0,1]
	v_pk_fma_f32 v[44:45], v[86:87], v[42:43], v[40:41] op_sel_hi:[0,1,1]
	v_pk_fma_f32 v[40:41], v[86:87], v[42:43], v[40:41] neg_lo:[0,0,1] neg_hi:[0,0,1]
	s_delay_alu instid0(VALU_DEP_2)
	v_mov_b32_e32 v41, v45
	ds_store_b64 v1, v[40:41] offset:14568
.LBB154_510:                            ;   in Loop: Header=BB154_3 Depth=1
	s_or_b32 exec_lo, exec_lo, s11
	v_mov_b32_e32 v41, 0
	s_wait_dscnt 0x0
	s_barrier_signal -1
	s_barrier_wait -1
	s_delay_alu instid0(VALU_DEP_1)
	v_mov_b32_e32 v40, v41
	s_and_saveexec_b32 s11, s1
	s_cbranch_execz .LBB154_514
; %bb.511:                              ;   in Loop: Header=BB154_3 Depth=1
	ds_load_b64 v[40:41], v48 offset:14576
	ds_load_b64 v[42:43], v49 offset:14560
	s_wait_dscnt 0x0
	v_dual_mul_f32 v0, v43, v41 :: v_dual_mul_f32 v45, v42, v41
	s_delay_alu instid0(VALU_DEP_1) | instskip(NEXT) | instid1(VALU_DEP_1)
	v_dual_fma_f32 v44, v42, v40, -v0 :: v_dual_fmac_f32 v45, v43, v40
	v_pk_add_f32 v[40:41], v[44:45], 0 op_sel_hi:[1,0]
	s_and_saveexec_b32 s6, s15
	s_cbranch_execz .LBB154_513
; %bb.512:                              ;   in Loop: Header=BB154_3 Depth=1
	ds_load_b64 v[42:43], v50 offset:15088
	ds_load_b64 v[44:45], v1 offset:14568
	s_wait_dscnt 0x0
	v_pk_mul_f32 v[84:85], v[44:45], v[42:43] op_sel:[1,1] op_sel_hi:[0,1]
	s_delay_alu instid0(VALU_DEP_1) | instskip(SKIP_1) | instid1(VALU_DEP_2)
	v_pk_fma_f32 v[86:87], v[44:45], v[42:43], v[84:85] op_sel_hi:[1,0,1]
	v_pk_fma_f32 v[42:43], v[44:45], v[42:43], v[84:85] neg_lo:[0,0,1] neg_hi:[0,0,1]
	v_mov_b32_e32 v43, v87
	s_delay_alu instid0(VALU_DEP_1)
	v_pk_add_f32 v[40:41], v[40:41], v[42:43]
.LBB154_513:                            ;   in Loop: Header=BB154_3 Depth=1
	s_or_b32 exec_lo, exec_lo, s6
	s_delay_alu instid0(VALU_DEP_1)
	v_pk_add_f32 v[40:41], v[40:41], 0 neg_lo:[1,1] neg_hi:[1,1]
.LBB154_514:                            ;   in Loop: Header=BB154_3 Depth=1
	s_or_b32 exec_lo, exec_lo, s11
	s_and_saveexec_b32 s6, s103
	s_cbranch_execz .LBB154_516
; %bb.515:                              ;   in Loop: Header=BB154_3 Depth=1
	ds_load_b64 v[42:43], v1 offset:15600
	s_wait_dscnt 0x0
	v_pk_mul_f32 v[44:45], v[40:41], v[42:43] op_sel:[1,1] op_sel_hi:[1,0]
	s_delay_alu instid0(VALU_DEP_1) | instskip(SKIP_1) | instid1(VALU_DEP_2)
	v_pk_fma_f32 v[84:85], v[40:41], v[42:43], v[44:45] op_sel_hi:[0,1,1]
	v_pk_fma_f32 v[42:43], v[40:41], v[42:43], v[44:45] neg_lo:[0,0,1] neg_hi:[0,0,1]
	v_mov_b32_e32 v43, v85
	s_delay_alu instid0(VALU_DEP_1)
	v_mov_b64_e32 v[40:41], v[42:43]
	ds_store_b64 v3, v[42:43]
.LBB154_516:                            ;   in Loop: Header=BB154_3 Depth=1
	s_or_b32 exec_lo, exec_lo, s6
	s_wait_dscnt 0x0
	s_barrier_signal -1
	s_barrier_wait -1
	s_and_saveexec_b32 s6, s104
	s_cbranch_execz .LBB154_518
; %bb.517:                              ;   in Loop: Header=BB154_3 Depth=1
	ds_load_b64 v[42:43], v1 offset:15608
	ds_load_b64 v[44:45], v3
	s_wait_dscnt 0x0
	v_pk_mul_f32 v[84:85], v[44:45], v[42:43] op_sel:[1,1] op_sel_hi:[0,1]
	s_delay_alu instid0(VALU_DEP_1) | instskip(SKIP_1) | instid1(VALU_DEP_2)
	v_pk_fma_f32 v[86:87], v[44:45], v[42:43], v[84:85] op_sel_hi:[1,0,1]
	v_pk_fma_f32 v[42:43], v[44:45], v[42:43], v[84:85] neg_lo:[0,0,1] neg_hi:[0,0,1]
	v_mov_b32_e32 v43, v87
	s_delay_alu instid0(VALU_DEP_1)
	v_pk_add_f32 v[40:41], v[40:41], v[42:43]
.LBB154_518:                            ;   in Loop: Header=BB154_3 Depth=1
	s_or_b32 exec_lo, exec_lo, s6
	s_barrier_signal -1
	s_barrier_wait -1
	s_and_saveexec_b32 s6, s104
	s_cbranch_execz .LBB154_520
; %bb.519:                              ;   in Loop: Header=BB154_3 Depth=1
	ds_load_b64 v[42:43], v1 offset:16120
	s_wait_dscnt 0x0
	v_pk_mul_f32 v[44:45], v[40:41], v[42:43] op_sel:[1,1] op_sel_hi:[1,0]
	s_delay_alu instid0(VALU_DEP_1) | instskip(SKIP_1) | instid1(VALU_DEP_2)
	v_pk_fma_f32 v[84:85], v[40:41], v[42:43], v[44:45] op_sel_hi:[0,1,1]
	v_pk_fma_f32 v[42:43], v[40:41], v[42:43], v[44:45] neg_lo:[0,0,1] neg_hi:[0,0,1]
	v_mov_b32_e32 v43, v85
	s_delay_alu instid0(VALU_DEP_1)
	v_mov_b64_e32 v[40:41], v[42:43]
	ds_store_b64 v3, v[42:43]
.LBB154_520:                            ;   in Loop: Header=BB154_3 Depth=1
	s_or_b32 exec_lo, exec_lo, s6
	s_wait_dscnt 0x0
	s_barrier_signal -1
	s_barrier_wait -1
	s_barrier_signal -1
	s_barrier_wait -1
	s_and_saveexec_b32 s6, s1
; %bb.521:                              ;   in Loop: Header=BB154_3 Depth=1
	v_pk_add_f32 v[40:41], v[40:41], 0 neg_lo:[1,1] neg_hi:[1,1]
	ds_store_b64 v48, v[40:41] offset:14576
; %bb.522:                              ;   in Loop: Header=BB154_3 Depth=1
	s_or_b32 exec_lo, exec_lo, s6
	s_wait_dscnt 0x0
	s_barrier_signal -1
	s_barrier_wait -1
	s_barrier_signal -1
	s_barrier_wait -1
	s_and_saveexec_b32 s11, s14
	s_cbranch_execz .LBB154_524
; %bb.523:                              ;   in Loop: Header=BB154_3 Depth=1
	ds_load_b128 v[40:43], v1 offset:15600
	ds_load_b64 v[44:45], v1 offset:16120
	s_wait_dscnt 0x1
	v_dual_mov_b32 v84, v43 :: v_dual_mov_b32 v85, v42
	s_wait_dscnt 0x0
	v_dual_mul_f32 v83, v45, v41 :: v_dual_mul_f32 v0, v44, v41
	s_delay_alu instid0(VALU_DEP_1) | instskip(NEXT) | instid1(VALU_DEP_1)
	v_xor_b32_e32 v86, 0x80000000, v83
	v_dual_fmac_f32 v0, v45, v40 :: v_dual_fmac_f32 v86, v44, v40
	s_delay_alu instid0(VALU_DEP_1) | instskip(NEXT) | instid1(VALU_DEP_1)
	v_pk_mul_f32 v[40:41], v[0:1], v[84:85] op_sel_hi:[0,1]
	v_pk_fma_f32 v[44:45], v[86:87], v[42:43], v[40:41] op_sel_hi:[0,1,1]
	v_pk_fma_f32 v[40:41], v[86:87], v[42:43], v[40:41] neg_lo:[0,0,1] neg_hi:[0,0,1]
	s_delay_alu instid0(VALU_DEP_2)
	v_mov_b32_e32 v41, v45
	ds_store_b64 v1, v[40:41] offset:15608
.LBB154_524:                            ;   in Loop: Header=BB154_3 Depth=1
	s_or_b32 exec_lo, exec_lo, s11
	v_mov_b64_e32 v[40:41], 0
	s_wait_dscnt 0x0
	s_barrier_signal -1
	s_barrier_wait -1
	s_and_saveexec_b32 s70, s35
	s_cbranch_execz .LBB154_586
; %bb.525:                              ;   in Loop: Header=BB154_3 Depth=1
	v_add_nc_u32_e32 v42, v5, v69
	v_add_nc_u32_e32 v0, v69, v66
	v_readlane_b32 s7, v93, 14
	ds_load_b64 v[40:41], v42 offset:256
	ds_load_b64 v[44:45], v0
	s_wait_dscnt 0x0
	v_pk_mul_f32 v[84:85], v[44:45], v[40:41] op_sel:[1,1] op_sel_hi:[0,1]
	s_delay_alu instid0(VALU_DEP_1) | instskip(SKIP_1) | instid1(VALU_DEP_2)
	v_pk_fma_f32 v[86:87], v[44:45], v[40:41], v[84:85] op_sel_hi:[1,0,1]
	v_pk_fma_f32 v[40:41], v[44:45], v[40:41], v[84:85] neg_lo:[0,0,1] neg_hi:[0,0,1]
	v_mov_b32_e32 v41, v87
	s_delay_alu instid0(VALU_DEP_1)
	v_pk_add_f32 v[40:41], v[40:41], 0 op_sel_hi:[1,0]
	s_and_saveexec_b32 s6, s7
	s_cbranch_execz .LBB154_527
; %bb.526:                              ;   in Loop: Header=BB154_3 Depth=1
	ds_load_b64 v[44:45], v42 offset:768
	ds_load_b64 v[84:85], v0 offset:8
	s_wait_dscnt 0x0
	v_pk_mul_f32 v[86:87], v[84:85], v[44:45] op_sel:[1,1] op_sel_hi:[0,1]
	s_delay_alu instid0(VALU_DEP_1) | instskip(SKIP_1) | instid1(VALU_DEP_2)
	v_pk_fma_f32 v[88:89], v[84:85], v[44:45], v[86:87] op_sel_hi:[1,0,1]
	v_pk_fma_f32 v[44:45], v[84:85], v[44:45], v[86:87] neg_lo:[0,0,1] neg_hi:[0,0,1]
	v_mov_b32_e32 v45, v89
	s_delay_alu instid0(VALU_DEP_1)
	v_pk_add_f32 v[40:41], v[40:41], v[44:45]
.LBB154_527:                            ;   in Loop: Header=BB154_3 Depth=1
	s_or_b32 exec_lo, exec_lo, s6
	v_readlane_b32 s7, v93, 15
	s_and_saveexec_b32 s6, s7
	s_cbranch_execz .LBB154_529
; %bb.528:                              ;   in Loop: Header=BB154_3 Depth=1
	ds_load_b64 v[44:45], v42 offset:1280
	ds_load_b64 v[84:85], v0 offset:16
	s_wait_dscnt 0x0
	v_pk_mul_f32 v[86:87], v[84:85], v[44:45] op_sel:[1,1] op_sel_hi:[0,1]
	s_delay_alu instid0(VALU_DEP_1) | instskip(SKIP_1) | instid1(VALU_DEP_2)
	v_pk_fma_f32 v[88:89], v[84:85], v[44:45], v[86:87] op_sel_hi:[1,0,1]
	v_pk_fma_f32 v[44:45], v[84:85], v[44:45], v[86:87] neg_lo:[0,0,1] neg_hi:[0,0,1]
	v_mov_b32_e32 v45, v89
	s_delay_alu instid0(VALU_DEP_1)
	v_pk_add_f32 v[40:41], v[40:41], v[44:45]
.LBB154_529:                            ;   in Loop: Header=BB154_3 Depth=1
	s_or_b32 exec_lo, exec_lo, s6
	v_readlane_b32 s7, v93, 16
	;; [unrolled: 16-line block ×22, first 2 shown]
	s_and_saveexec_b32 s6, s7
	s_cbranch_execz .LBB154_571
; %bb.570:                              ;   in Loop: Header=BB154_3 Depth=1
	ds_load_b64 v[44:45], v42 offset:12032
	ds_load_b64 v[84:85], v0 offset:184
	s_wait_dscnt 0x0
	v_pk_mul_f32 v[86:87], v[84:85], v[44:45] op_sel:[1,1] op_sel_hi:[0,1]
	s_delay_alu instid0(VALU_DEP_1) | instskip(SKIP_1) | instid1(VALU_DEP_2)
	v_pk_fma_f32 v[88:89], v[84:85], v[44:45], v[86:87] op_sel_hi:[1,0,1]
	v_pk_fma_f32 v[44:45], v[84:85], v[44:45], v[86:87] neg_lo:[0,0,1] neg_hi:[0,0,1]
	v_mov_b32_e32 v45, v89
	s_delay_alu instid0(VALU_DEP_1)
	v_pk_add_f32 v[40:41], v[40:41], v[44:45]
.LBB154_571:                            ;   in Loop: Header=BB154_3 Depth=1
	s_or_b32 exec_lo, exec_lo, s6
	s_and_saveexec_b32 s6, s4
	s_cbranch_execz .LBB154_573
; %bb.572:                              ;   in Loop: Header=BB154_3 Depth=1
	ds_load_b64 v[44:45], v42 offset:12544
	ds_load_b64 v[84:85], v0 offset:192
	s_wait_dscnt 0x0
	v_pk_mul_f32 v[86:87], v[84:85], v[44:45] op_sel:[1,1] op_sel_hi:[0,1]
	s_delay_alu instid0(VALU_DEP_1) | instskip(SKIP_1) | instid1(VALU_DEP_2)
	v_pk_fma_f32 v[88:89], v[84:85], v[44:45], v[86:87] op_sel_hi:[1,0,1]
	v_pk_fma_f32 v[44:45], v[84:85], v[44:45], v[86:87] neg_lo:[0,0,1] neg_hi:[0,0,1]
	v_mov_b32_e32 v45, v89
	s_delay_alu instid0(VALU_DEP_1)
	v_pk_add_f32 v[40:41], v[40:41], v[44:45]
.LBB154_573:                            ;   in Loop: Header=BB154_3 Depth=1
	s_or_b32 exec_lo, exec_lo, s6
	v_readlane_b32 s7, v94, 27
	s_and_saveexec_b32 s6, s7
	s_cbranch_execz .LBB154_575
; %bb.574:                              ;   in Loop: Header=BB154_3 Depth=1
	ds_load_b64 v[44:45], v42 offset:13056
	ds_load_b64 v[84:85], v0 offset:200
	s_wait_dscnt 0x0
	v_pk_mul_f32 v[86:87], v[84:85], v[44:45] op_sel:[1,1] op_sel_hi:[0,1]
	s_delay_alu instid0(VALU_DEP_1) | instskip(SKIP_1) | instid1(VALU_DEP_2)
	v_pk_fma_f32 v[88:89], v[84:85], v[44:45], v[86:87] op_sel_hi:[1,0,1]
	v_pk_fma_f32 v[44:45], v[84:85], v[44:45], v[86:87] neg_lo:[0,0,1] neg_hi:[0,0,1]
	v_mov_b32_e32 v45, v89
	s_delay_alu instid0(VALU_DEP_1)
	v_pk_add_f32 v[40:41], v[40:41], v[44:45]
.LBB154_575:                            ;   in Loop: Header=BB154_3 Depth=1
	s_or_b32 exec_lo, exec_lo, s6
	v_readlane_b32 s7, v94, 29
	;; [unrolled: 16-line block ×5, first 2 shown]
	s_and_saveexec_b32 s6, s7
	s_cbranch_execnz .LBB154_1072
; %bb.582:                              ;   in Loop: Header=BB154_3 Depth=1
	s_or_b32 exec_lo, exec_lo, s6
	s_and_saveexec_b32 s6, s3
	s_cbranch_execnz .LBB154_1073
.LBB154_583:                            ;   in Loop: Header=BB154_3 Depth=1
	s_or_b32 exec_lo, exec_lo, s6
	s_and_saveexec_b32 s6, s21
	s_cbranch_execz .LBB154_585
.LBB154_584:                            ;   in Loop: Header=BB154_3 Depth=1
	ds_load_b64 v[42:43], v5 offset:16128
	ds_load_b64 v[44:45], v0 offset:248
	s_wait_dscnt 0x0
	v_pk_mul_f32 v[84:85], v[44:45], v[42:43] op_sel:[1,1] op_sel_hi:[0,1]
	s_delay_alu instid0(VALU_DEP_1) | instskip(SKIP_1) | instid1(VALU_DEP_2)
	v_pk_fma_f32 v[86:87], v[44:45], v[42:43], v[84:85] op_sel_hi:[1,0,1]
	v_pk_fma_f32 v[42:43], v[44:45], v[42:43], v[84:85] neg_lo:[0,0,1] neg_hi:[0,0,1]
	v_mov_b32_e32 v43, v87
	s_delay_alu instid0(VALU_DEP_1)
	v_pk_add_f32 v[40:41], v[40:41], v[42:43]
.LBB154_585:                            ;   in Loop: Header=BB154_3 Depth=1
	s_or_b32 exec_lo, exec_lo, s6
	s_delay_alu instid0(VALU_DEP_1)
	v_pk_add_f32 v[40:41], v[40:41], 0 neg_lo:[1,1] neg_hi:[1,1]
.LBB154_586:                            ;   in Loop: Header=BB154_3 Depth=1
	s_or_b32 exec_lo, exec_lo, s70
	v_dual_mov_b32 v0, v67 :: v_dual_mov_b32 v42, v82
	s_mov_b32 s11, 0
	s_branch .LBB154_588
.LBB154_587:                            ;   in Loop: Header=BB154_588 Depth=2
	s_or_b32 exec_lo, exec_lo, s6
	v_add_nc_u32_e32 v42, 0x400, v42
	v_add_nc_u32_e32 v0, -2, v0
	s_add_co_i32 s11, s11, 2
	s_delay_alu instid0(SALU_CYCLE_1)
	s_cmp_eq_u32 s11, 32
	s_barrier_signal -1
	s_barrier_wait -1
	s_cbranch_scc1 .LBB154_596
.LBB154_588:                            ;   Parent Loop BB154_3 Depth=1
                                        ; =>  This Inner Loop Header: Depth=2
	s_delay_alu instid0(VALU_DEP_1) | instskip(SKIP_1) | instid1(SALU_CYCLE_1)
	v_cmp_eq_u32_e32 vcc_lo, 0, v0
	s_and_b32 s70, s13, vcc_lo
	s_and_saveexec_b32 s6, s70
	s_cbranch_execz .LBB154_590
; %bb.589:                              ;   in Loop: Header=BB154_588 Depth=2
	ds_load_b64 v[44:45], v80 offset:16640
	s_wait_dscnt 0x0
	v_pk_mul_f32 v[84:85], v[40:41], v[44:45] op_sel:[1,1] op_sel_hi:[1,0]
	s_delay_alu instid0(VALU_DEP_1) | instskip(SKIP_1) | instid1(VALU_DEP_2)
	v_pk_fma_f32 v[86:87], v[40:41], v[44:45], v[84:85] op_sel_hi:[0,1,1]
	v_pk_fma_f32 v[44:45], v[40:41], v[44:45], v[84:85] neg_lo:[0,0,1] neg_hi:[0,0,1]
	v_mov_b32_e32 v45, v87
	s_delay_alu instid0(VALU_DEP_1)
	v_mov_b64_e32 v[40:41], v[44:45]
	ds_store_b64 v68, v[44:45]
.LBB154_590:                            ;   in Loop: Header=BB154_588 Depth=2
	s_or_b32 exec_lo, exec_lo, s6
	v_cmp_lt_u32_e32 vcc_lo, s11, v67
	s_wait_dscnt 0x0
	s_barrier_signal -1
	s_barrier_wait -1
	s_and_b32 s70, s13, vcc_lo
	s_delay_alu instid0(SALU_CYCLE_1)
	s_and_saveexec_b32 s6, s70
	s_cbranch_execz .LBB154_592
; %bb.591:                              ;   in Loop: Header=BB154_588 Depth=2
	ds_load_b64 v[44:45], v42
	ds_load_b64 v[84:85], v68
	s_wait_dscnt 0x0
	v_pk_mul_f32 v[86:87], v[84:85], v[44:45] op_sel:[1,1] op_sel_hi:[0,1]
	s_delay_alu instid0(VALU_DEP_1) | instskip(SKIP_1) | instid1(VALU_DEP_2)
	v_pk_fma_f32 v[88:89], v[84:85], v[44:45], v[86:87] op_sel_hi:[1,0,1]
	v_pk_fma_f32 v[44:45], v[84:85], v[44:45], v[86:87] neg_lo:[0,0,1] neg_hi:[0,0,1]
	v_mov_b32_e32 v45, v89
	s_delay_alu instid0(VALU_DEP_1)
	v_pk_add_f32 v[40:41], v[40:41], v[44:45]
.LBB154_592:                            ;   in Loop: Header=BB154_588 Depth=2
	s_or_b32 exec_lo, exec_lo, s6
	s_or_b32 s6, s11, 1
	s_delay_alu instid0(SALU_CYCLE_1) | instskip(SKIP_3) | instid1(SALU_CYCLE_1)
	v_cmp_eq_u32_e32 vcc_lo, s6, v67
	s_barrier_signal -1
	s_barrier_wait -1
	s_and_b32 s96, s13, vcc_lo
	s_and_saveexec_b32 s70, s96
	s_cbranch_execz .LBB154_594
; %bb.593:                              ;   in Loop: Header=BB154_588 Depth=2
	ds_load_b64 v[44:45], v80 offset:16640
	s_wait_dscnt 0x0
	v_pk_mul_f32 v[84:85], v[40:41], v[44:45] op_sel:[1,1] op_sel_hi:[1,0]
	s_delay_alu instid0(VALU_DEP_1) | instskip(SKIP_1) | instid1(VALU_DEP_2)
	v_pk_fma_f32 v[86:87], v[40:41], v[44:45], v[84:85] op_sel_hi:[0,1,1]
	v_pk_fma_f32 v[44:45], v[40:41], v[44:45], v[84:85] neg_lo:[0,0,1] neg_hi:[0,0,1]
	v_mov_b32_e32 v45, v87
	s_delay_alu instid0(VALU_DEP_1)
	v_mov_b64_e32 v[40:41], v[44:45]
	ds_store_b64 v68, v[44:45]
.LBB154_594:                            ;   in Loop: Header=BB154_588 Depth=2
	s_or_b32 exec_lo, exec_lo, s70
	v_cmp_lt_u32_e32 vcc_lo, s6, v67
	s_wait_dscnt 0x0
	s_barrier_signal -1
	s_barrier_wait -1
	s_and_b32 s70, s13, vcc_lo
	s_delay_alu instid0(SALU_CYCLE_1)
	s_and_saveexec_b32 s6, s70
	s_cbranch_execz .LBB154_587
; %bb.595:                              ;   in Loop: Header=BB154_588 Depth=2
	ds_load_b64 v[44:45], v42 offset:512
	ds_load_b64 v[84:85], v68
	s_wait_dscnt 0x0
	v_pk_mul_f32 v[86:87], v[84:85], v[44:45] op_sel:[1,1] op_sel_hi:[0,1]
	s_delay_alu instid0(VALU_DEP_1) | instskip(SKIP_1) | instid1(VALU_DEP_2)
	v_pk_fma_f32 v[88:89], v[84:85], v[44:45], v[86:87] op_sel_hi:[1,0,1]
	v_pk_fma_f32 v[44:45], v[84:85], v[44:45], v[86:87] neg_lo:[0,0,1] neg_hi:[0,0,1]
	v_mov_b32_e32 v45, v89
	s_delay_alu instid0(VALU_DEP_1)
	v_pk_add_f32 v[40:41], v[40:41], v[44:45]
	s_branch .LBB154_587
.LBB154_596:                            ;   in Loop: Header=BB154_3 Depth=1
	s_and_saveexec_b32 s6, s35
; %bb.597:                              ;   in Loop: Header=BB154_3 Depth=1
	v_pk_add_f32 v[40:41], v[40:41], 0 neg_lo:[1,1] neg_hi:[1,1]
	ds_store_b64 v70, v[40:41] offset:256
; %bb.598:                              ;   in Loop: Header=BB154_3 Depth=1
	s_or_b32 exec_lo, exec_lo, s6
	s_wait_dscnt 0x0
	s_barrier_signal -1
	s_barrier_wait -1
	s_barrier_signal -1
	s_barrier_wait -1
	s_and_saveexec_b32 s11, s14
	s_cbranch_execz .LBB154_600
; %bb.599:                              ;   in Loop: Header=BB154_3 Depth=1
	ds_load_b128 v[40:43], v1 offset:16640
	ds_load_b64 v[44:45], v1 offset:17160
	s_wait_dscnt 0x1
	v_dual_mov_b32 v84, v43 :: v_dual_mov_b32 v85, v42
	s_wait_dscnt 0x0
	v_dual_mul_f32 v83, v45, v41 :: v_dual_mul_f32 v0, v44, v41
	s_delay_alu instid0(VALU_DEP_1) | instskip(NEXT) | instid1(VALU_DEP_1)
	v_xor_b32_e32 v86, 0x80000000, v83
	v_dual_fmac_f32 v0, v45, v40 :: v_dual_fmac_f32 v86, v44, v40
	s_delay_alu instid0(VALU_DEP_1) | instskip(NEXT) | instid1(VALU_DEP_1)
	v_pk_mul_f32 v[40:41], v[0:1], v[84:85] op_sel_hi:[0,1]
	v_pk_fma_f32 v[44:45], v[86:87], v[42:43], v[40:41] op_sel_hi:[0,1,1]
	v_pk_fma_f32 v[40:41], v[86:87], v[42:43], v[40:41] neg_lo:[0,0,1] neg_hi:[0,0,1]
	s_delay_alu instid0(VALU_DEP_2)
	v_mov_b32_e32 v41, v45
	ds_store_b64 v1, v[40:41] offset:16648
.LBB154_600:                            ;   in Loop: Header=BB154_3 Depth=1
	s_or_b32 exec_lo, exec_lo, s11
	v_mov_b32_e32 v41, 0
	s_wait_dscnt 0x0
	s_barrier_signal -1
	s_barrier_wait -1
	s_delay_alu instid0(VALU_DEP_1)
	v_mov_b32_e32 v40, v41
	s_and_saveexec_b32 s11, s1
	s_cbranch_execz .LBB154_604
; %bb.601:                              ;   in Loop: Header=BB154_3 Depth=1
	ds_load_b64 v[40:41], v48 offset:16656
	ds_load_b64 v[42:43], v49 offset:16640
	s_wait_dscnt 0x0
	v_dual_mul_f32 v0, v43, v41 :: v_dual_mul_f32 v45, v42, v41
	s_delay_alu instid0(VALU_DEP_1) | instskip(NEXT) | instid1(VALU_DEP_1)
	v_dual_fma_f32 v44, v42, v40, -v0 :: v_dual_fmac_f32 v45, v43, v40
	v_pk_add_f32 v[40:41], v[44:45], 0 op_sel_hi:[1,0]
	s_and_saveexec_b32 s6, s15
	s_cbranch_execz .LBB154_603
; %bb.602:                              ;   in Loop: Header=BB154_3 Depth=1
	ds_load_b64 v[42:43], v50 offset:17168
	ds_load_b64 v[44:45], v1 offset:16648
	s_wait_dscnt 0x0
	v_pk_mul_f32 v[84:85], v[44:45], v[42:43] op_sel:[1,1] op_sel_hi:[0,1]
	s_delay_alu instid0(VALU_DEP_1) | instskip(SKIP_1) | instid1(VALU_DEP_2)
	v_pk_fma_f32 v[86:87], v[44:45], v[42:43], v[84:85] op_sel_hi:[1,0,1]
	v_pk_fma_f32 v[42:43], v[44:45], v[42:43], v[84:85] neg_lo:[0,0,1] neg_hi:[0,0,1]
	v_mov_b32_e32 v43, v87
	s_delay_alu instid0(VALU_DEP_1)
	v_pk_add_f32 v[40:41], v[40:41], v[42:43]
.LBB154_603:                            ;   in Loop: Header=BB154_3 Depth=1
	s_or_b32 exec_lo, exec_lo, s6
	s_delay_alu instid0(VALU_DEP_1)
	v_pk_add_f32 v[40:41], v[40:41], 0 neg_lo:[1,1] neg_hi:[1,1]
.LBB154_604:                            ;   in Loop: Header=BB154_3 Depth=1
	s_or_b32 exec_lo, exec_lo, s11
	s_and_saveexec_b32 s6, s103
	s_cbranch_execz .LBB154_606
; %bb.605:                              ;   in Loop: Header=BB154_3 Depth=1
	ds_load_b64 v[42:43], v1 offset:17680
	s_wait_dscnt 0x0
	v_pk_mul_f32 v[44:45], v[40:41], v[42:43] op_sel:[1,1] op_sel_hi:[1,0]
	s_delay_alu instid0(VALU_DEP_1) | instskip(SKIP_1) | instid1(VALU_DEP_2)
	v_pk_fma_f32 v[84:85], v[40:41], v[42:43], v[44:45] op_sel_hi:[0,1,1]
	v_pk_fma_f32 v[42:43], v[40:41], v[42:43], v[44:45] neg_lo:[0,0,1] neg_hi:[0,0,1]
	v_mov_b32_e32 v43, v85
	s_delay_alu instid0(VALU_DEP_1)
	v_mov_b64_e32 v[40:41], v[42:43]
	ds_store_b64 v3, v[42:43]
.LBB154_606:                            ;   in Loop: Header=BB154_3 Depth=1
	s_or_b32 exec_lo, exec_lo, s6
	s_wait_dscnt 0x0
	s_barrier_signal -1
	s_barrier_wait -1
	s_and_saveexec_b32 s6, s104
	s_cbranch_execz .LBB154_608
; %bb.607:                              ;   in Loop: Header=BB154_3 Depth=1
	ds_load_b64 v[42:43], v1 offset:17688
	ds_load_b64 v[44:45], v3
	s_wait_dscnt 0x0
	v_pk_mul_f32 v[84:85], v[44:45], v[42:43] op_sel:[1,1] op_sel_hi:[0,1]
	s_delay_alu instid0(VALU_DEP_1) | instskip(SKIP_1) | instid1(VALU_DEP_2)
	v_pk_fma_f32 v[86:87], v[44:45], v[42:43], v[84:85] op_sel_hi:[1,0,1]
	v_pk_fma_f32 v[42:43], v[44:45], v[42:43], v[84:85] neg_lo:[0,0,1] neg_hi:[0,0,1]
	v_mov_b32_e32 v43, v87
	s_delay_alu instid0(VALU_DEP_1)
	v_pk_add_f32 v[40:41], v[40:41], v[42:43]
.LBB154_608:                            ;   in Loop: Header=BB154_3 Depth=1
	s_or_b32 exec_lo, exec_lo, s6
	s_barrier_signal -1
	s_barrier_wait -1
	s_and_saveexec_b32 s6, s104
	s_cbranch_execz .LBB154_610
; %bb.609:                              ;   in Loop: Header=BB154_3 Depth=1
	ds_load_b64 v[42:43], v1 offset:18200
	s_wait_dscnt 0x0
	v_pk_mul_f32 v[44:45], v[40:41], v[42:43] op_sel:[1,1] op_sel_hi:[1,0]
	s_delay_alu instid0(VALU_DEP_1) | instskip(SKIP_1) | instid1(VALU_DEP_2)
	v_pk_fma_f32 v[84:85], v[40:41], v[42:43], v[44:45] op_sel_hi:[0,1,1]
	v_pk_fma_f32 v[42:43], v[40:41], v[42:43], v[44:45] neg_lo:[0,0,1] neg_hi:[0,0,1]
	v_mov_b32_e32 v43, v85
	s_delay_alu instid0(VALU_DEP_1)
	v_mov_b64_e32 v[40:41], v[42:43]
	ds_store_b64 v3, v[42:43]
.LBB154_610:                            ;   in Loop: Header=BB154_3 Depth=1
	s_or_b32 exec_lo, exec_lo, s6
	s_wait_dscnt 0x0
	s_barrier_signal -1
	s_barrier_wait -1
	s_barrier_signal -1
	s_barrier_wait -1
	s_and_saveexec_b32 s6, s1
; %bb.611:                              ;   in Loop: Header=BB154_3 Depth=1
	v_pk_add_f32 v[40:41], v[40:41], 0 neg_lo:[1,1] neg_hi:[1,1]
	ds_store_b64 v48, v[40:41] offset:16656
; %bb.612:                              ;   in Loop: Header=BB154_3 Depth=1
	s_or_b32 exec_lo, exec_lo, s6
	s_wait_dscnt 0x0
	s_barrier_signal -1
	s_barrier_wait -1
	s_barrier_signal -1
	s_barrier_wait -1
	s_and_saveexec_b32 s11, s14
	s_cbranch_execz .LBB154_614
; %bb.613:                              ;   in Loop: Header=BB154_3 Depth=1
	ds_load_b128 v[40:43], v1 offset:17680
	ds_load_b64 v[44:45], v1 offset:18200
	s_wait_dscnt 0x1
	v_dual_mov_b32 v84, v43 :: v_dual_mov_b32 v85, v42
	s_wait_dscnt 0x0
	v_dual_mul_f32 v83, v45, v41 :: v_dual_mul_f32 v0, v44, v41
	s_delay_alu instid0(VALU_DEP_1) | instskip(NEXT) | instid1(VALU_DEP_1)
	v_xor_b32_e32 v86, 0x80000000, v83
	v_dual_fmac_f32 v0, v45, v40 :: v_dual_fmac_f32 v86, v44, v40
	s_delay_alu instid0(VALU_DEP_1) | instskip(NEXT) | instid1(VALU_DEP_1)
	v_pk_mul_f32 v[40:41], v[0:1], v[84:85] op_sel_hi:[0,1]
	v_pk_fma_f32 v[44:45], v[86:87], v[42:43], v[40:41] op_sel_hi:[0,1,1]
	v_pk_fma_f32 v[40:41], v[86:87], v[42:43], v[40:41] neg_lo:[0,0,1] neg_hi:[0,0,1]
	s_delay_alu instid0(VALU_DEP_2)
	v_mov_b32_e32 v41, v45
	ds_store_b64 v1, v[40:41] offset:17688
.LBB154_614:                            ;   in Loop: Header=BB154_3 Depth=1
	s_or_b32 exec_lo, exec_lo, s11
	v_mov_b32_e32 v40, 0
	s_wait_dscnt 0x0
	s_barrier_signal -1
	s_barrier_wait -1
	s_delay_alu instid0(VALU_DEP_1)
	v_mov_b32_e32 v41, v40
	s_and_saveexec_b32 s11, s2
	s_cbranch_execz .LBB154_620
; %bb.615:                              ;   in Loop: Header=BB154_3 Depth=1
	ds_load_b64 v[40:41], v54 offset:16672
	ds_load_b64 v[42:43], v52 offset:16640
	s_wait_dscnt 0x0
	v_pk_mul_f32 v[44:45], v[42:43], v[40:41] op_sel:[0,1]
	s_delay_alu instid0(VALU_DEP_1) | instskip(SKIP_1) | instid1(VALU_DEP_2)
	v_pk_fma_f32 v[84:85], v[42:43], v[40:41], v[44:45] op_sel:[1,0,0] op_sel_hi:[0,0,1] neg_lo:[0,0,1] neg_hi:[0,0,1]
	v_pk_fma_f32 v[40:41], v[42:43], v[40:41], v[44:45] op_sel:[1,0,0] op_sel_hi:[0,1,1]
	v_mov_b32_e32 v41, v85
	s_delay_alu instid0(VALU_DEP_1)
	v_pk_add_f32 v[40:41], v[40:41], 0 op_sel_hi:[1,0]
	s_and_saveexec_b32 s6, s16
	s_cbranch_execnz .LBB154_1074
; %bb.616:                              ;   in Loop: Header=BB154_3 Depth=1
	s_or_b32 exec_lo, exec_lo, s6
	s_and_saveexec_b32 s6, s17
	s_cbranch_execnz .LBB154_1075
.LBB154_617:                            ;   in Loop: Header=BB154_3 Depth=1
	s_or_b32 exec_lo, exec_lo, s6
	s_and_saveexec_b32 s6, s1
	s_cbranch_execz .LBB154_619
.LBB154_618:                            ;   in Loop: Header=BB154_3 Depth=1
	ds_load_b64 v[42:43], v50 offset:18208
	ds_load_b64 v[44:45], v1 offset:16664
	s_wait_dscnt 0x0
	v_pk_mul_f32 v[84:85], v[44:45], v[42:43] op_sel:[0,1]
	s_delay_alu instid0(VALU_DEP_1) | instskip(SKIP_1) | instid1(VALU_DEP_2)
	v_pk_fma_f32 v[86:87], v[44:45], v[42:43], v[84:85] op_sel:[1,0,0] op_sel_hi:[0,0,1] neg_lo:[0,0,1] neg_hi:[0,0,1]
	v_pk_fma_f32 v[42:43], v[44:45], v[42:43], v[84:85] op_sel:[1,0,0] op_sel_hi:[0,1,1]
	v_mov_b32_e32 v43, v87
	s_delay_alu instid0(VALU_DEP_1)
	v_pk_add_f32 v[40:41], v[40:41], v[42:43]
.LBB154_619:                            ;   in Loop: Header=BB154_3 Depth=1
	s_or_b32 exec_lo, exec_lo, s6
	s_delay_alu instid0(VALU_DEP_1) | instskip(NEXT) | instid1(VALU_DEP_1)
	v_pk_add_f32 v[42:43], v[40:41], 0 neg_lo:[1,1] neg_hi:[1,1]
	v_dual_mov_b32 v40, v43 :: v_dual_mov_b32 v41, v42
.LBB154_620:                            ;   in Loop: Header=BB154_3 Depth=1
	s_or_b32 exec_lo, exec_lo, s11
	s_and_saveexec_b32 s6, vcc_hi
	s_cbranch_execz .LBB154_622
; %bb.621:                              ;   in Loop: Header=BB154_3 Depth=1
	ds_load_b64 v[42:43], v1 offset:18720
	v_dual_mov_b32 v44, v41 :: v_dual_mov_b32 v45, v40
	s_wait_dscnt 0x0
	s_delay_alu instid0(VALU_DEP_1) | instskip(NEXT) | instid1(VALU_DEP_1)
	v_dual_mul_f32 v0, v44, v42 :: v_dual_mul_f32 v84, v41, v43
	v_pk_fma_f32 v[44:45], v[44:45], v[42:43], v[0:1] op_sel_hi:[1,1,0]
	s_delay_alu instid0(VALU_DEP_2) | instskip(NEXT) | instid1(VALU_DEP_2)
	v_pk_fma_f32 v[40:41], v[40:41], v[42:43], v[84:85] op_sel_hi:[1,1,0] neg_lo:[0,0,1] neg_hi:[0,0,1]
	v_mov_b32_e32 v41, v45
	ds_store_b64 v53, v[40:41]
.LBB154_622:                            ;   in Loop: Header=BB154_3 Depth=1
	s_or_b32 exec_lo, exec_lo, s6
	s_wait_dscnt 0x0
	s_barrier_signal -1
	s_barrier_wait -1
	s_and_saveexec_b32 s6, s43
	s_cbranch_execz .LBB154_624
; %bb.623:                              ;   in Loop: Header=BB154_3 Depth=1
	ds_load_b64 v[42:43], v51 offset:18720
	ds_load_b64 v[44:45], v53
	s_wait_dscnt 0x0
	v_dual_mul_f32 v0, v45, v43 :: v_dual_mul_f32 v85, v44, v43
	s_delay_alu instid0(VALU_DEP_1) | instskip(NEXT) | instid1(VALU_DEP_1)
	v_dual_fma_f32 v84, v44, v42, -v0 :: v_dual_fmac_f32 v85, v45, v42
	v_pk_add_f32 v[40:41], v[40:41], v[84:85]
.LBB154_624:                            ;   in Loop: Header=BB154_3 Depth=1
	s_or_b32 exec_lo, exec_lo, s6
	s_barrier_signal -1
	s_barrier_wait -1
	s_and_saveexec_b32 s6, s44
	s_cbranch_execz .LBB154_626
; %bb.625:                              ;   in Loop: Header=BB154_3 Depth=1
	ds_load_b64 v[42:43], v1 offset:19240
	s_wait_dscnt 0x0
	v_pk_mul_f32 v[44:45], v[40:41], v[42:43] op_sel:[1,1] op_sel_hi:[1,0]
	s_delay_alu instid0(VALU_DEP_1) | instskip(SKIP_1) | instid1(VALU_DEP_2)
	v_pk_fma_f32 v[84:85], v[40:41], v[42:43], v[44:45] op_sel_hi:[0,1,1]
	v_pk_fma_f32 v[42:43], v[40:41], v[42:43], v[44:45] neg_lo:[0,0,1] neg_hi:[0,0,1]
	v_mov_b32_e32 v43, v85
	s_delay_alu instid0(VALU_DEP_1)
	v_mov_b64_e32 v[40:41], v[42:43]
	ds_store_b64 v53, v[42:43]
.LBB154_626:                            ;   in Loop: Header=BB154_3 Depth=1
	s_or_b32 exec_lo, exec_lo, s6
	s_wait_dscnt 0x0
	s_barrier_signal -1
	s_barrier_wait -1
	s_and_saveexec_b32 s6, s45
	s_cbranch_execz .LBB154_628
; %bb.627:                              ;   in Loop: Header=BB154_3 Depth=1
	ds_load_b64 v[42:43], v51 offset:19232
	ds_load_b64 v[44:45], v53
	s_wait_dscnt 0x0
	v_pk_mul_f32 v[84:85], v[44:45], v[42:43] op_sel:[1,1] op_sel_hi:[0,1]
	s_delay_alu instid0(VALU_DEP_1) | instskip(SKIP_1) | instid1(VALU_DEP_2)
	v_pk_fma_f32 v[86:87], v[44:45], v[42:43], v[84:85] op_sel_hi:[1,0,1]
	v_pk_fma_f32 v[42:43], v[44:45], v[42:43], v[84:85] neg_lo:[0,0,1] neg_hi:[0,0,1]
	v_mov_b32_e32 v43, v87
	s_delay_alu instid0(VALU_DEP_1)
	v_pk_add_f32 v[40:41], v[40:41], v[42:43]
.LBB154_628:                            ;   in Loop: Header=BB154_3 Depth=1
	s_or_b32 exec_lo, exec_lo, s6
	s_barrier_signal -1
	s_barrier_wait -1
	s_and_saveexec_b32 s6, s46
	s_cbranch_execz .LBB154_630
; %bb.629:                              ;   in Loop: Header=BB154_3 Depth=1
	ds_load_b64 v[42:43], v1 offset:19760
	s_wait_dscnt 0x0
	v_pk_mul_f32 v[44:45], v[40:41], v[42:43] op_sel:[1,1] op_sel_hi:[1,0]
	s_delay_alu instid0(VALU_DEP_1) | instskip(SKIP_1) | instid1(VALU_DEP_2)
	v_pk_fma_f32 v[84:85], v[40:41], v[42:43], v[44:45] op_sel_hi:[0,1,1]
	v_pk_fma_f32 v[42:43], v[40:41], v[42:43], v[44:45] neg_lo:[0,0,1] neg_hi:[0,0,1]
	v_mov_b32_e32 v43, v85
	s_delay_alu instid0(VALU_DEP_1)
	v_mov_b64_e32 v[40:41], v[42:43]
	ds_store_b64 v53, v[42:43]
.LBB154_630:                            ;   in Loop: Header=BB154_3 Depth=1
	s_or_b32 exec_lo, exec_lo, s6
	s_wait_dscnt 0x0
	s_barrier_signal -1
	s_barrier_wait -1
	s_and_saveexec_b32 s6, s47
	s_cbranch_execz .LBB154_632
; %bb.631:                              ;   in Loop: Header=BB154_3 Depth=1
	ds_load_b64 v[42:43], v1 offset:19768
	ds_load_b64 v[44:45], v53
	s_wait_dscnt 0x0
	v_pk_mul_f32 v[84:85], v[44:45], v[42:43] op_sel:[1,1] op_sel_hi:[0,1]
	s_delay_alu instid0(VALU_DEP_1) | instskip(SKIP_1) | instid1(VALU_DEP_2)
	v_pk_fma_f32 v[86:87], v[44:45], v[42:43], v[84:85] op_sel_hi:[1,0,1]
	v_pk_fma_f32 v[42:43], v[44:45], v[42:43], v[84:85] neg_lo:[0,0,1] neg_hi:[0,0,1]
	v_mov_b32_e32 v43, v87
	s_delay_alu instid0(VALU_DEP_1)
	v_pk_add_f32 v[40:41], v[40:41], v[42:43]
.LBB154_632:                            ;   in Loop: Header=BB154_3 Depth=1
	s_or_b32 exec_lo, exec_lo, s6
	s_barrier_signal -1
	s_barrier_wait -1
	s_and_saveexec_b32 s6, s47
	s_cbranch_execz .LBB154_634
; %bb.633:                              ;   in Loop: Header=BB154_3 Depth=1
	ds_load_b64 v[42:43], v1 offset:20280
	s_wait_dscnt 0x0
	v_pk_mul_f32 v[44:45], v[40:41], v[42:43] op_sel:[1,1] op_sel_hi:[1,0]
	s_delay_alu instid0(VALU_DEP_1) | instskip(SKIP_1) | instid1(VALU_DEP_2)
	v_pk_fma_f32 v[84:85], v[40:41], v[42:43], v[44:45] op_sel_hi:[0,1,1]
	v_pk_fma_f32 v[42:43], v[40:41], v[42:43], v[44:45] neg_lo:[0,0,1] neg_hi:[0,0,1]
	v_mov_b32_e32 v43, v85
	s_delay_alu instid0(VALU_DEP_1)
	v_mov_b64_e32 v[40:41], v[42:43]
	ds_store_b64 v53, v[42:43]
.LBB154_634:                            ;   in Loop: Header=BB154_3 Depth=1
	s_or_b32 exec_lo, exec_lo, s6
	s_wait_dscnt 0x0
	s_barrier_signal -1
	s_barrier_wait -1
	s_barrier_signal -1
	s_barrier_wait -1
	s_and_saveexec_b32 s6, s2
; %bb.635:                              ;   in Loop: Header=BB154_3 Depth=1
	v_pk_add_f32 v[40:41], v[40:41], 0 neg_lo:[1,1] neg_hi:[1,1]
	ds_store_b64 v54, v[40:41] offset:16672
; %bb.636:                              ;   in Loop: Header=BB154_3 Depth=1
	s_or_b32 exec_lo, exec_lo, s6
	s_wait_dscnt 0x0
	s_barrier_signal -1
	s_barrier_wait -1
	s_barrier_signal -1
	s_barrier_wait -1
	s_and_saveexec_b32 s11, s14
	s_cbranch_execz .LBB154_638
; %bb.637:                              ;   in Loop: Header=BB154_3 Depth=1
	ds_load_b128 v[40:43], v1 offset:18720
	ds_load_b64 v[44:45], v1 offset:19240
	s_wait_dscnt 0x1
	v_dual_mov_b32 v84, v43 :: v_dual_mov_b32 v85, v42
	s_wait_dscnt 0x0
	v_dual_mul_f32 v83, v45, v41 :: v_dual_mul_f32 v0, v44, v41
	s_delay_alu instid0(VALU_DEP_1) | instskip(NEXT) | instid1(VALU_DEP_1)
	v_xor_b32_e32 v86, 0x80000000, v83
	v_dual_fmac_f32 v0, v45, v40 :: v_dual_fmac_f32 v86, v44, v40
	s_delay_alu instid0(VALU_DEP_1) | instskip(NEXT) | instid1(VALU_DEP_1)
	v_pk_mul_f32 v[40:41], v[0:1], v[84:85] op_sel_hi:[0,1]
	v_pk_fma_f32 v[44:45], v[86:87], v[42:43], v[40:41] op_sel_hi:[0,1,1]
	v_pk_fma_f32 v[40:41], v[86:87], v[42:43], v[40:41] neg_lo:[0,0,1] neg_hi:[0,0,1]
	s_delay_alu instid0(VALU_DEP_2)
	v_mov_b32_e32 v41, v45
	ds_store_b64 v1, v[40:41] offset:18728
.LBB154_638:                            ;   in Loop: Header=BB154_3 Depth=1
	s_or_b32 exec_lo, exec_lo, s11
	v_mov_b32_e32 v41, 0
	s_wait_dscnt 0x0
	s_barrier_signal -1
	s_barrier_wait -1
	s_delay_alu instid0(VALU_DEP_1)
	v_mov_b32_e32 v40, v41
	s_and_saveexec_b32 s11, s1
	s_cbranch_execz .LBB154_642
; %bb.639:                              ;   in Loop: Header=BB154_3 Depth=1
	ds_load_b64 v[40:41], v48 offset:18736
	ds_load_b64 v[42:43], v49 offset:18720
	s_wait_dscnt 0x0
	v_dual_mul_f32 v0, v43, v41 :: v_dual_mul_f32 v45, v42, v41
	s_delay_alu instid0(VALU_DEP_1) | instskip(NEXT) | instid1(VALU_DEP_1)
	v_dual_fma_f32 v44, v42, v40, -v0 :: v_dual_fmac_f32 v45, v43, v40
	v_pk_add_f32 v[40:41], v[44:45], 0 op_sel_hi:[1,0]
	s_and_saveexec_b32 s6, s15
	s_cbranch_execz .LBB154_641
; %bb.640:                              ;   in Loop: Header=BB154_3 Depth=1
	ds_load_b64 v[42:43], v50 offset:19248
	ds_load_b64 v[44:45], v1 offset:18728
	s_wait_dscnt 0x0
	v_pk_mul_f32 v[84:85], v[44:45], v[42:43] op_sel:[1,1] op_sel_hi:[0,1]
	s_delay_alu instid0(VALU_DEP_1) | instskip(SKIP_1) | instid1(VALU_DEP_2)
	v_pk_fma_f32 v[86:87], v[44:45], v[42:43], v[84:85] op_sel_hi:[1,0,1]
	v_pk_fma_f32 v[42:43], v[44:45], v[42:43], v[84:85] neg_lo:[0,0,1] neg_hi:[0,0,1]
	v_mov_b32_e32 v43, v87
	s_delay_alu instid0(VALU_DEP_1)
	v_pk_add_f32 v[40:41], v[40:41], v[42:43]
.LBB154_641:                            ;   in Loop: Header=BB154_3 Depth=1
	s_or_b32 exec_lo, exec_lo, s6
	s_delay_alu instid0(VALU_DEP_1)
	v_pk_add_f32 v[40:41], v[40:41], 0 neg_lo:[1,1] neg_hi:[1,1]
.LBB154_642:                            ;   in Loop: Header=BB154_3 Depth=1
	s_or_b32 exec_lo, exec_lo, s11
	s_and_saveexec_b32 s6, s103
	s_cbranch_execz .LBB154_644
; %bb.643:                              ;   in Loop: Header=BB154_3 Depth=1
	ds_load_b64 v[42:43], v1 offset:19760
	s_wait_dscnt 0x0
	v_pk_mul_f32 v[44:45], v[40:41], v[42:43] op_sel:[1,1] op_sel_hi:[1,0]
	s_delay_alu instid0(VALU_DEP_1) | instskip(SKIP_1) | instid1(VALU_DEP_2)
	v_pk_fma_f32 v[84:85], v[40:41], v[42:43], v[44:45] op_sel_hi:[0,1,1]
	v_pk_fma_f32 v[42:43], v[40:41], v[42:43], v[44:45] neg_lo:[0,0,1] neg_hi:[0,0,1]
	v_mov_b32_e32 v43, v85
	s_delay_alu instid0(VALU_DEP_1)
	v_mov_b64_e32 v[40:41], v[42:43]
	ds_store_b64 v3, v[42:43]
.LBB154_644:                            ;   in Loop: Header=BB154_3 Depth=1
	s_or_b32 exec_lo, exec_lo, s6
	s_wait_dscnt 0x0
	s_barrier_signal -1
	s_barrier_wait -1
	s_and_saveexec_b32 s6, s104
	s_cbranch_execz .LBB154_646
; %bb.645:                              ;   in Loop: Header=BB154_3 Depth=1
	ds_load_b64 v[42:43], v1 offset:19768
	ds_load_b64 v[44:45], v3
	s_wait_dscnt 0x0
	v_pk_mul_f32 v[84:85], v[44:45], v[42:43] op_sel:[1,1] op_sel_hi:[0,1]
	s_delay_alu instid0(VALU_DEP_1) | instskip(SKIP_1) | instid1(VALU_DEP_2)
	v_pk_fma_f32 v[86:87], v[44:45], v[42:43], v[84:85] op_sel_hi:[1,0,1]
	v_pk_fma_f32 v[42:43], v[44:45], v[42:43], v[84:85] neg_lo:[0,0,1] neg_hi:[0,0,1]
	v_mov_b32_e32 v43, v87
	s_delay_alu instid0(VALU_DEP_1)
	v_pk_add_f32 v[40:41], v[40:41], v[42:43]
.LBB154_646:                            ;   in Loop: Header=BB154_3 Depth=1
	s_or_b32 exec_lo, exec_lo, s6
	s_barrier_signal -1
	s_barrier_wait -1
	s_and_saveexec_b32 s6, s104
	s_cbranch_execz .LBB154_648
; %bb.647:                              ;   in Loop: Header=BB154_3 Depth=1
	ds_load_b64 v[42:43], v1 offset:20280
	s_wait_dscnt 0x0
	v_pk_mul_f32 v[44:45], v[40:41], v[42:43] op_sel:[1,1] op_sel_hi:[1,0]
	s_delay_alu instid0(VALU_DEP_1) | instskip(SKIP_1) | instid1(VALU_DEP_2)
	v_pk_fma_f32 v[84:85], v[40:41], v[42:43], v[44:45] op_sel_hi:[0,1,1]
	v_pk_fma_f32 v[42:43], v[40:41], v[42:43], v[44:45] neg_lo:[0,0,1] neg_hi:[0,0,1]
	v_mov_b32_e32 v43, v85
	s_delay_alu instid0(VALU_DEP_1)
	v_mov_b64_e32 v[40:41], v[42:43]
	ds_store_b64 v3, v[42:43]
.LBB154_648:                            ;   in Loop: Header=BB154_3 Depth=1
	s_or_b32 exec_lo, exec_lo, s6
	s_wait_dscnt 0x0
	s_barrier_signal -1
	s_barrier_wait -1
	s_barrier_signal -1
	s_barrier_wait -1
	s_and_saveexec_b32 s6, s1
; %bb.649:                              ;   in Loop: Header=BB154_3 Depth=1
	v_pk_add_f32 v[40:41], v[40:41], 0 neg_lo:[1,1] neg_hi:[1,1]
	ds_store_b64 v48, v[40:41] offset:18736
; %bb.650:                              ;   in Loop: Header=BB154_3 Depth=1
	s_or_b32 exec_lo, exec_lo, s6
	s_wait_dscnt 0x0
	s_barrier_signal -1
	s_barrier_wait -1
	s_barrier_signal -1
	s_barrier_wait -1
	s_and_saveexec_b32 s11, s14
	s_cbranch_execz .LBB154_652
; %bb.651:                              ;   in Loop: Header=BB154_3 Depth=1
	ds_load_b128 v[40:43], v1 offset:19760
	ds_load_b64 v[44:45], v1 offset:20280
	s_wait_dscnt 0x1
	v_dual_mov_b32 v84, v43 :: v_dual_mov_b32 v85, v42
	s_wait_dscnt 0x0
	v_dual_mul_f32 v83, v45, v41 :: v_dual_mul_f32 v0, v44, v41
	s_delay_alu instid0(VALU_DEP_1) | instskip(NEXT) | instid1(VALU_DEP_1)
	v_xor_b32_e32 v86, 0x80000000, v83
	v_dual_fmac_f32 v0, v45, v40 :: v_dual_fmac_f32 v86, v44, v40
	s_delay_alu instid0(VALU_DEP_1) | instskip(NEXT) | instid1(VALU_DEP_1)
	v_pk_mul_f32 v[40:41], v[0:1], v[84:85] op_sel_hi:[0,1]
	v_pk_fma_f32 v[44:45], v[86:87], v[42:43], v[40:41] op_sel_hi:[0,1,1]
	v_pk_fma_f32 v[40:41], v[86:87], v[42:43], v[40:41] neg_lo:[0,0,1] neg_hi:[0,0,1]
	s_delay_alu instid0(VALU_DEP_2)
	v_mov_b32_e32 v41, v45
	ds_store_b64 v1, v[40:41] offset:19768
.LBB154_652:                            ;   in Loop: Header=BB154_3 Depth=1
	s_or_b32 exec_lo, exec_lo, s11
	v_mov_b32_e32 v40, 0
	s_wait_dscnt 0x0
	s_barrier_signal -1
	s_barrier_wait -1
	s_delay_alu instid0(VALU_DEP_1)
	v_mov_b32_e32 v41, v40
	s_and_saveexec_b32 s11, s3
	s_cbranch_execz .LBB154_662
; %bb.653:                              ;   in Loop: Header=BB154_3 Depth=1
	ds_load_b64 v[40:41], v59 offset:16704
	ds_load_b64 v[42:43], v56 offset:16640
	s_wait_dscnt 0x0
	v_dual_mul_f32 v0, v43, v41 :: v_dual_mul_f32 v44, v42, v41
	s_delay_alu instid0(VALU_DEP_1) | instskip(NEXT) | instid1(VALU_DEP_2)
	v_fma_f32 v0, v42, v40, -v0
	v_fmac_f32_e32 v44, v43, v40
	s_delay_alu instid0(VALU_DEP_2) | instskip(NEXT) | instid1(VALU_DEP_2)
	v_add_f32_e32 v41, 0, v0
	v_add_f32_e32 v40, 0, v44
	s_and_saveexec_b32 s6, s18
	s_cbranch_execnz .LBB154_1076
; %bb.654:                              ;   in Loop: Header=BB154_3 Depth=1
	s_or_b32 exec_lo, exec_lo, s6
	s_and_saveexec_b32 s6, s19
	s_cbranch_execnz .LBB154_1077
.LBB154_655:                            ;   in Loop: Header=BB154_3 Depth=1
	s_or_b32 exec_lo, exec_lo, s6
	s_and_saveexec_b32 s6, s20
	s_cbranch_execnz .LBB154_1078
.LBB154_656:                            ;   in Loop: Header=BB154_3 Depth=1
	s_or_b32 exec_lo, exec_lo, s6
	s_and_saveexec_b32 s6, s21
	s_cbranch_execnz .LBB154_1079
.LBB154_657:                            ;   in Loop: Header=BB154_3 Depth=1
	s_or_b32 exec_lo, exec_lo, s6
	s_and_saveexec_b32 s6, s22
	s_cbranch_execnz .LBB154_1080
.LBB154_658:                            ;   in Loop: Header=BB154_3 Depth=1
	s_or_b32 exec_lo, exec_lo, s6
	s_and_saveexec_b32 s6, s2
	s_cbranch_execnz .LBB154_1081
.LBB154_659:                            ;   in Loop: Header=BB154_3 Depth=1
	s_or_b32 exec_lo, exec_lo, s6
	s_and_saveexec_b32 s6, s17
	s_cbranch_execz .LBB154_661
.LBB154_660:                            ;   in Loop: Header=BB154_3 Depth=1
	ds_load_b64 v[42:43], v50 offset:20288
	ds_load_b64 v[44:45], v1 offset:16696
	s_wait_dscnt 0x0
	v_pk_mul_f32 v[84:85], v[44:45], v[42:43] op_sel:[0,1]
	s_delay_alu instid0(VALU_DEP_1) | instskip(SKIP_1) | instid1(VALU_DEP_2)
	v_pk_fma_f32 v[86:87], v[44:45], v[42:43], v[84:85] op_sel:[1,0,0] op_sel_hi:[0,0,1] neg_lo:[0,0,1] neg_hi:[0,0,1]
	v_pk_fma_f32 v[42:43], v[44:45], v[42:43], v[84:85] op_sel:[1,0,0] op_sel_hi:[0,1,1]
	v_mov_b32_e32 v43, v87
	s_delay_alu instid0(VALU_DEP_1)
	v_pk_add_f32 v[40:41], v[40:41], v[42:43]
.LBB154_661:                            ;   in Loop: Header=BB154_3 Depth=1
	s_or_b32 exec_lo, exec_lo, s6
	s_delay_alu instid0(VALU_DEP_1) | instskip(NEXT) | instid1(VALU_DEP_1)
	v_pk_add_f32 v[42:43], v[40:41], 0 neg_lo:[1,1] neg_hi:[1,1]
	v_dual_mov_b32 v40, v43 :: v_dual_mov_b32 v41, v42
.LBB154_662:                            ;   in Loop: Header=BB154_3 Depth=1
	s_or_b32 exec_lo, exec_lo, s11
	s_and_saveexec_b32 s6, s48
	s_cbranch_execz .LBB154_664
; %bb.663:                              ;   in Loop: Header=BB154_3 Depth=1
	ds_load_b64 v[42:43], v1 offset:20800
	v_dual_mov_b32 v44, v41 :: v_dual_mov_b32 v45, v40
	s_wait_dscnt 0x0
	s_delay_alu instid0(VALU_DEP_1) | instskip(NEXT) | instid1(VALU_DEP_1)
	v_dual_mul_f32 v0, v44, v42 :: v_dual_mul_f32 v84, v41, v43
	v_pk_fma_f32 v[44:45], v[44:45], v[42:43], v[0:1] op_sel_hi:[1,1,0]
	s_delay_alu instid0(VALU_DEP_2) | instskip(NEXT) | instid1(VALU_DEP_2)
	v_pk_fma_f32 v[40:41], v[40:41], v[42:43], v[84:85] op_sel_hi:[1,1,0] neg_lo:[0,0,1] neg_hi:[0,0,1]
	v_mov_b32_e32 v41, v45
	ds_store_b64 v58, v[40:41]
.LBB154_664:                            ;   in Loop: Header=BB154_3 Depth=1
	s_or_b32 exec_lo, exec_lo, s6
	s_wait_dscnt 0x0
	s_barrier_signal -1
	s_barrier_wait -1
	s_and_saveexec_b32 s6, s49
	s_cbranch_execz .LBB154_666
; %bb.665:                              ;   in Loop: Header=BB154_3 Depth=1
	ds_load_b64 v[42:43], v57 offset:20800
	ds_load_b64 v[44:45], v58
	s_wait_dscnt 0x0
	v_dual_mul_f32 v0, v45, v43 :: v_dual_mul_f32 v85, v44, v43
	s_delay_alu instid0(VALU_DEP_1) | instskip(NEXT) | instid1(VALU_DEP_1)
	v_dual_fma_f32 v84, v44, v42, -v0 :: v_dual_fmac_f32 v85, v45, v42
	v_pk_add_f32 v[40:41], v[40:41], v[84:85]
.LBB154_666:                            ;   in Loop: Header=BB154_3 Depth=1
	s_or_b32 exec_lo, exec_lo, s6
	s_barrier_signal -1
	s_barrier_wait -1
	s_and_saveexec_b32 s6, s50
	s_cbranch_execz .LBB154_668
; %bb.667:                              ;   in Loop: Header=BB154_3 Depth=1
	ds_load_b64 v[42:43], v1 offset:21320
	s_wait_dscnt 0x0
	v_pk_mul_f32 v[44:45], v[40:41], v[42:43] op_sel:[1,1] op_sel_hi:[1,0]
	s_delay_alu instid0(VALU_DEP_1) | instskip(SKIP_1) | instid1(VALU_DEP_2)
	v_pk_fma_f32 v[84:85], v[40:41], v[42:43], v[44:45] op_sel_hi:[0,1,1]
	v_pk_fma_f32 v[40:41], v[40:41], v[42:43], v[44:45] op_sel_hi:[0,1,1] neg_lo:[0,0,1] neg_hi:[0,0,1]
	v_mov_b32_e32 v41, v85
	ds_store_b64 v58, v[40:41]
.LBB154_668:                            ;   in Loop: Header=BB154_3 Depth=1
	s_or_b32 exec_lo, exec_lo, s6
	s_wait_dscnt 0x0
	s_barrier_signal -1
	s_barrier_wait -1
	s_and_saveexec_b32 s6, s51
	s_cbranch_execz .LBB154_670
; %bb.669:                              ;   in Loop: Header=BB154_3 Depth=1
	ds_load_b64 v[42:43], v57 offset:21312
	ds_load_b64 v[44:45], v58
	s_wait_dscnt 0x0
	v_pk_mul_f32 v[84:85], v[44:45], v[42:43] op_sel:[1,1] op_sel_hi:[0,1]
	s_delay_alu instid0(VALU_DEP_1) | instskip(SKIP_1) | instid1(VALU_DEP_2)
	v_pk_fma_f32 v[86:87], v[44:45], v[42:43], v[84:85] op_sel_hi:[1,0,1]
	v_pk_fma_f32 v[42:43], v[44:45], v[42:43], v[84:85] op_sel_hi:[1,0,1] neg_lo:[0,0,1] neg_hi:[0,0,1]
	v_mov_b32_e32 v43, v87
	s_delay_alu instid0(VALU_DEP_1)
	v_pk_add_f32 v[40:41], v[40:41], v[42:43]
.LBB154_670:                            ;   in Loop: Header=BB154_3 Depth=1
	s_or_b32 exec_lo, exec_lo, s6
	s_barrier_signal -1
	s_barrier_wait -1
	s_and_saveexec_b32 s6, s52
	s_cbranch_execz .LBB154_672
; %bb.671:                              ;   in Loop: Header=BB154_3 Depth=1
	ds_load_b64 v[42:43], v1 offset:21840
	s_wait_dscnt 0x0
	v_pk_mul_f32 v[44:45], v[40:41], v[42:43] op_sel:[1,1] op_sel_hi:[1,0]
	s_delay_alu instid0(VALU_DEP_1) | instskip(SKIP_1) | instid1(VALU_DEP_2)
	v_pk_fma_f32 v[84:85], v[40:41], v[42:43], v[44:45] op_sel_hi:[0,1,1]
	v_pk_fma_f32 v[40:41], v[40:41], v[42:43], v[44:45] op_sel_hi:[0,1,1] neg_lo:[0,0,1] neg_hi:[0,0,1]
	v_mov_b32_e32 v41, v85
	ds_store_b64 v58, v[40:41]
.LBB154_672:                            ;   in Loop: Header=BB154_3 Depth=1
	s_or_b32 exec_lo, exec_lo, s6
	s_wait_dscnt 0x0
	s_barrier_signal -1
	s_barrier_wait -1
	s_and_saveexec_b32 s6, s53
	s_cbranch_execz .LBB154_674
; %bb.673:                              ;   in Loop: Header=BB154_3 Depth=1
	ds_load_b64 v[42:43], v57 offset:21824
	ds_load_b64 v[44:45], v58
	s_wait_dscnt 0x0
	v_pk_mul_f32 v[84:85], v[44:45], v[42:43] op_sel:[1,1] op_sel_hi:[0,1]
	s_delay_alu instid0(VALU_DEP_1) | instskip(SKIP_1) | instid1(VALU_DEP_2)
	v_pk_fma_f32 v[86:87], v[44:45], v[42:43], v[84:85] op_sel_hi:[1,0,1]
	v_pk_fma_f32 v[42:43], v[44:45], v[42:43], v[84:85] op_sel_hi:[1,0,1] neg_lo:[0,0,1] neg_hi:[0,0,1]
	v_mov_b32_e32 v43, v87
	s_delay_alu instid0(VALU_DEP_1)
	v_pk_add_f32 v[40:41], v[40:41], v[42:43]
.LBB154_674:                            ;   in Loop: Header=BB154_3 Depth=1
	;; [unrolled: 33-line block ×3, first 2 shown]
	s_or_b32 exec_lo, exec_lo, s6
	s_barrier_signal -1
	s_barrier_wait -1
	s_and_saveexec_b32 s6, s56
	s_cbranch_execz .LBB154_680
; %bb.679:                              ;   in Loop: Header=BB154_3 Depth=1
	ds_load_b64 v[42:43], v1 offset:22880
	s_wait_dscnt 0x0
	v_dual_mul_f32 v0, v40, v43 :: v_dual_mul_f32 v44, v41, v43
	s_delay_alu instid0(VALU_DEP_1) | instskip(NEXT) | instid1(VALU_DEP_2)
	v_pk_fma_f32 v[84:85], v[40:41], v[42:43], v[0:1] op_sel:[0,1,0] op_sel_hi:[1,0,0]
	v_pk_fma_f32 v[42:43], v[40:41], v[42:43], v[44:45] op_sel_hi:[1,1,0] neg_lo:[0,0,1] neg_hi:[0,0,1]
	s_delay_alu instid0(VALU_DEP_2) | instskip(NEXT) | instid1(VALU_DEP_1)
	v_mov_b32_e32 v43, v85
	v_mov_b64_e32 v[40:41], v[42:43]
	ds_store_b64 v58, v[42:43]
.LBB154_680:                            ;   in Loop: Header=BB154_3 Depth=1
	s_or_b32 exec_lo, exec_lo, s6
	s_wait_dscnt 0x0
	s_barrier_signal -1
	s_barrier_wait -1
	s_and_saveexec_b32 s6, s57
	s_cbranch_execz .LBB154_682
; %bb.681:                              ;   in Loop: Header=BB154_3 Depth=1
	ds_load_b64 v[42:43], v57 offset:22848
	ds_load_b64 v[44:45], v58
	s_wait_dscnt 0x0
	v_dual_mul_f32 v0, v45, v43 :: v_dual_mul_f32 v85, v44, v43
	s_delay_alu instid0(VALU_DEP_1) | instskip(NEXT) | instid1(VALU_DEP_1)
	v_dual_fma_f32 v84, v44, v42, -v0 :: v_dual_fmac_f32 v85, v45, v42
	v_pk_add_f32 v[40:41], v[40:41], v[84:85]
.LBB154_682:                            ;   in Loop: Header=BB154_3 Depth=1
	s_or_b32 exec_lo, exec_lo, s6
	s_barrier_signal -1
	s_barrier_wait -1
	s_and_saveexec_b32 s6, s58
	s_cbranch_execz .LBB154_684
; %bb.683:                              ;   in Loop: Header=BB154_3 Depth=1
	ds_load_b64 v[42:43], v1 offset:23400
	s_wait_dscnt 0x0
	v_pk_mul_f32 v[44:45], v[40:41], v[42:43] op_sel:[1,1] op_sel_hi:[1,0]
	s_delay_alu instid0(VALU_DEP_1) | instskip(SKIP_1) | instid1(VALU_DEP_2)
	v_pk_fma_f32 v[84:85], v[40:41], v[42:43], v[44:45] op_sel_hi:[0,1,1]
	v_pk_fma_f32 v[42:43], v[40:41], v[42:43], v[44:45] neg_lo:[0,0,1] neg_hi:[0,0,1]
	v_mov_b32_e32 v43, v85
	s_delay_alu instid0(VALU_DEP_1)
	v_mov_b64_e32 v[40:41], v[42:43]
	ds_store_b64 v58, v[42:43]
.LBB154_684:                            ;   in Loop: Header=BB154_3 Depth=1
	s_or_b32 exec_lo, exec_lo, s6
	s_wait_dscnt 0x0
	s_barrier_signal -1
	s_barrier_wait -1
	s_and_saveexec_b32 s6, s59
	s_cbranch_execz .LBB154_686
; %bb.685:                              ;   in Loop: Header=BB154_3 Depth=1
	ds_load_b64 v[42:43], v57 offset:23360
	ds_load_b64 v[44:45], v58
	s_wait_dscnt 0x0
	v_pk_mul_f32 v[84:85], v[44:45], v[42:43] op_sel:[1,1] op_sel_hi:[0,1]
	s_delay_alu instid0(VALU_DEP_1) | instskip(SKIP_1) | instid1(VALU_DEP_2)
	v_pk_fma_f32 v[86:87], v[44:45], v[42:43], v[84:85] op_sel_hi:[1,0,1]
	v_pk_fma_f32 v[42:43], v[44:45], v[42:43], v[84:85] neg_lo:[0,0,1] neg_hi:[0,0,1]
	v_mov_b32_e32 v43, v87
	s_delay_alu instid0(VALU_DEP_1)
	v_pk_add_f32 v[40:41], v[40:41], v[42:43]
.LBB154_686:                            ;   in Loop: Header=BB154_3 Depth=1
	s_or_b32 exec_lo, exec_lo, s6
	s_barrier_signal -1
	s_barrier_wait -1
	s_and_saveexec_b32 s6, s60
	s_cbranch_execz .LBB154_688
; %bb.687:                              ;   in Loop: Header=BB154_3 Depth=1
	ds_load_b64 v[42:43], v1 offset:23920
	s_wait_dscnt 0x0
	v_pk_mul_f32 v[44:45], v[40:41], v[42:43] op_sel:[1,1] op_sel_hi:[1,0]
	s_delay_alu instid0(VALU_DEP_1) | instskip(SKIP_1) | instid1(VALU_DEP_2)
	v_pk_fma_f32 v[84:85], v[40:41], v[42:43], v[44:45] op_sel_hi:[0,1,1]
	v_pk_fma_f32 v[42:43], v[40:41], v[42:43], v[44:45] neg_lo:[0,0,1] neg_hi:[0,0,1]
	v_mov_b32_e32 v43, v85
	s_delay_alu instid0(VALU_DEP_1)
	v_mov_b64_e32 v[40:41], v[42:43]
	ds_store_b64 v58, v[42:43]
.LBB154_688:                            ;   in Loop: Header=BB154_3 Depth=1
	s_or_b32 exec_lo, exec_lo, s6
	s_wait_dscnt 0x0
	s_barrier_signal -1
	s_barrier_wait -1
	s_and_saveexec_b32 s6, s61
	s_cbranch_execz .LBB154_690
; %bb.689:                              ;   in Loop: Header=BB154_3 Depth=1
	ds_load_b64 v[42:43], v1 offset:23928
	ds_load_b64 v[44:45], v58
	s_wait_dscnt 0x0
	v_pk_mul_f32 v[84:85], v[44:45], v[42:43] op_sel:[1,1] op_sel_hi:[0,1]
	s_delay_alu instid0(VALU_DEP_1) | instskip(SKIP_1) | instid1(VALU_DEP_2)
	v_pk_fma_f32 v[86:87], v[44:45], v[42:43], v[84:85] op_sel_hi:[1,0,1]
	v_pk_fma_f32 v[42:43], v[44:45], v[42:43], v[84:85] neg_lo:[0,0,1] neg_hi:[0,0,1]
	v_mov_b32_e32 v43, v87
	s_delay_alu instid0(VALU_DEP_1)
	v_pk_add_f32 v[40:41], v[40:41], v[42:43]
.LBB154_690:                            ;   in Loop: Header=BB154_3 Depth=1
	s_or_b32 exec_lo, exec_lo, s6
	s_barrier_signal -1
	s_barrier_wait -1
	s_and_saveexec_b32 s6, s61
	s_cbranch_execz .LBB154_692
; %bb.691:                              ;   in Loop: Header=BB154_3 Depth=1
	ds_load_b64 v[42:43], v1 offset:24440
	s_wait_dscnt 0x0
	v_pk_mul_f32 v[44:45], v[40:41], v[42:43] op_sel:[1,1] op_sel_hi:[1,0]
	s_delay_alu instid0(VALU_DEP_1) | instskip(SKIP_1) | instid1(VALU_DEP_2)
	v_pk_fma_f32 v[84:85], v[40:41], v[42:43], v[44:45] op_sel_hi:[0,1,1]
	v_pk_fma_f32 v[42:43], v[40:41], v[42:43], v[44:45] neg_lo:[0,0,1] neg_hi:[0,0,1]
	v_mov_b32_e32 v43, v85
	s_delay_alu instid0(VALU_DEP_1)
	v_mov_b64_e32 v[40:41], v[42:43]
	ds_store_b64 v58, v[42:43]
.LBB154_692:                            ;   in Loop: Header=BB154_3 Depth=1
	s_or_b32 exec_lo, exec_lo, s6
	s_wait_dscnt 0x0
	s_barrier_signal -1
	s_barrier_wait -1
	s_barrier_signal -1
	s_barrier_wait -1
	s_and_saveexec_b32 s6, s3
; %bb.693:                              ;   in Loop: Header=BB154_3 Depth=1
	v_pk_add_f32 v[40:41], v[40:41], 0 neg_lo:[1,1] neg_hi:[1,1]
	ds_store_b64 v59, v[40:41] offset:16704
; %bb.694:                              ;   in Loop: Header=BB154_3 Depth=1
	s_or_b32 exec_lo, exec_lo, s6
	s_wait_dscnt 0x0
	s_barrier_signal -1
	s_barrier_wait -1
	s_barrier_signal -1
	s_barrier_wait -1
	s_and_saveexec_b32 s11, s14
	s_cbranch_execz .LBB154_696
; %bb.695:                              ;   in Loop: Header=BB154_3 Depth=1
	ds_load_b128 v[40:43], v1 offset:20800
	ds_load_b64 v[44:45], v1 offset:21320
	s_wait_dscnt 0x1
	v_dual_mov_b32 v84, v43 :: v_dual_mov_b32 v85, v42
	s_wait_dscnt 0x0
	v_dual_mul_f32 v83, v45, v41 :: v_dual_mul_f32 v0, v44, v41
	s_delay_alu instid0(VALU_DEP_1) | instskip(NEXT) | instid1(VALU_DEP_1)
	v_xor_b32_e32 v86, 0x80000000, v83
	v_dual_fmac_f32 v0, v45, v40 :: v_dual_fmac_f32 v86, v44, v40
	s_delay_alu instid0(VALU_DEP_1) | instskip(NEXT) | instid1(VALU_DEP_1)
	v_pk_mul_f32 v[40:41], v[0:1], v[84:85] op_sel_hi:[0,1]
	v_pk_fma_f32 v[44:45], v[86:87], v[42:43], v[40:41] op_sel_hi:[0,1,1]
	v_pk_fma_f32 v[40:41], v[86:87], v[42:43], v[40:41] neg_lo:[0,0,1] neg_hi:[0,0,1]
	s_delay_alu instid0(VALU_DEP_2)
	v_mov_b32_e32 v41, v45
	ds_store_b64 v1, v[40:41] offset:20808
.LBB154_696:                            ;   in Loop: Header=BB154_3 Depth=1
	s_or_b32 exec_lo, exec_lo, s11
	v_mov_b32_e32 v41, 0
	s_wait_dscnt 0x0
	s_barrier_signal -1
	s_barrier_wait -1
	s_delay_alu instid0(VALU_DEP_1)
	v_mov_b32_e32 v40, v41
	s_and_saveexec_b32 s11, s1
	s_cbranch_execz .LBB154_700
; %bb.697:                              ;   in Loop: Header=BB154_3 Depth=1
	ds_load_b64 v[40:41], v48 offset:20816
	ds_load_b64 v[42:43], v49 offset:20800
	s_wait_dscnt 0x0
	v_dual_mul_f32 v0, v43, v41 :: v_dual_mul_f32 v45, v42, v41
	s_delay_alu instid0(VALU_DEP_1) | instskip(NEXT) | instid1(VALU_DEP_1)
	v_dual_fma_f32 v44, v42, v40, -v0 :: v_dual_fmac_f32 v45, v43, v40
	v_pk_add_f32 v[40:41], v[44:45], 0 op_sel_hi:[1,0]
	s_and_saveexec_b32 s6, s15
	s_cbranch_execz .LBB154_699
; %bb.698:                              ;   in Loop: Header=BB154_3 Depth=1
	ds_load_b64 v[42:43], v50 offset:21328
	ds_load_b64 v[44:45], v1 offset:20808
	s_wait_dscnt 0x0
	v_pk_mul_f32 v[84:85], v[44:45], v[42:43] op_sel:[1,1] op_sel_hi:[0,1]
	s_delay_alu instid0(VALU_DEP_1) | instskip(SKIP_1) | instid1(VALU_DEP_2)
	v_pk_fma_f32 v[86:87], v[44:45], v[42:43], v[84:85] op_sel_hi:[1,0,1]
	v_pk_fma_f32 v[42:43], v[44:45], v[42:43], v[84:85] neg_lo:[0,0,1] neg_hi:[0,0,1]
	v_mov_b32_e32 v43, v87
	s_delay_alu instid0(VALU_DEP_1)
	v_pk_add_f32 v[40:41], v[40:41], v[42:43]
.LBB154_699:                            ;   in Loop: Header=BB154_3 Depth=1
	s_or_b32 exec_lo, exec_lo, s6
	s_delay_alu instid0(VALU_DEP_1)
	v_pk_add_f32 v[40:41], v[40:41], 0 neg_lo:[1,1] neg_hi:[1,1]
.LBB154_700:                            ;   in Loop: Header=BB154_3 Depth=1
	s_or_b32 exec_lo, exec_lo, s11
	s_and_saveexec_b32 s6, s103
	s_cbranch_execz .LBB154_702
; %bb.701:                              ;   in Loop: Header=BB154_3 Depth=1
	ds_load_b64 v[42:43], v1 offset:21840
	s_wait_dscnt 0x0
	v_pk_mul_f32 v[44:45], v[40:41], v[42:43] op_sel:[1,1] op_sel_hi:[1,0]
	s_delay_alu instid0(VALU_DEP_1) | instskip(SKIP_1) | instid1(VALU_DEP_2)
	v_pk_fma_f32 v[84:85], v[40:41], v[42:43], v[44:45] op_sel_hi:[0,1,1]
	v_pk_fma_f32 v[42:43], v[40:41], v[42:43], v[44:45] neg_lo:[0,0,1] neg_hi:[0,0,1]
	v_mov_b32_e32 v43, v85
	s_delay_alu instid0(VALU_DEP_1)
	v_mov_b64_e32 v[40:41], v[42:43]
	ds_store_b64 v3, v[42:43]
.LBB154_702:                            ;   in Loop: Header=BB154_3 Depth=1
	s_or_b32 exec_lo, exec_lo, s6
	s_wait_dscnt 0x0
	s_barrier_signal -1
	s_barrier_wait -1
	s_and_saveexec_b32 s6, s104
	s_cbranch_execz .LBB154_704
; %bb.703:                              ;   in Loop: Header=BB154_3 Depth=1
	ds_load_b64 v[42:43], v1 offset:21848
	ds_load_b64 v[44:45], v3
	s_wait_dscnt 0x0
	v_pk_mul_f32 v[84:85], v[44:45], v[42:43] op_sel:[1,1] op_sel_hi:[0,1]
	s_delay_alu instid0(VALU_DEP_1) | instskip(SKIP_1) | instid1(VALU_DEP_2)
	v_pk_fma_f32 v[86:87], v[44:45], v[42:43], v[84:85] op_sel_hi:[1,0,1]
	v_pk_fma_f32 v[42:43], v[44:45], v[42:43], v[84:85] neg_lo:[0,0,1] neg_hi:[0,0,1]
	v_mov_b32_e32 v43, v87
	s_delay_alu instid0(VALU_DEP_1)
	v_pk_add_f32 v[40:41], v[40:41], v[42:43]
.LBB154_704:                            ;   in Loop: Header=BB154_3 Depth=1
	s_or_b32 exec_lo, exec_lo, s6
	s_barrier_signal -1
	s_barrier_wait -1
	s_and_saveexec_b32 s6, s104
	s_cbranch_execz .LBB154_706
; %bb.705:                              ;   in Loop: Header=BB154_3 Depth=1
	ds_load_b64 v[42:43], v1 offset:22360
	s_wait_dscnt 0x0
	v_pk_mul_f32 v[44:45], v[40:41], v[42:43] op_sel:[1,1] op_sel_hi:[1,0]
	s_delay_alu instid0(VALU_DEP_1) | instskip(SKIP_1) | instid1(VALU_DEP_2)
	v_pk_fma_f32 v[84:85], v[40:41], v[42:43], v[44:45] op_sel_hi:[0,1,1]
	v_pk_fma_f32 v[42:43], v[40:41], v[42:43], v[44:45] neg_lo:[0,0,1] neg_hi:[0,0,1]
	v_mov_b32_e32 v43, v85
	s_delay_alu instid0(VALU_DEP_1)
	v_mov_b64_e32 v[40:41], v[42:43]
	ds_store_b64 v3, v[42:43]
.LBB154_706:                            ;   in Loop: Header=BB154_3 Depth=1
	s_or_b32 exec_lo, exec_lo, s6
	s_wait_dscnt 0x0
	s_barrier_signal -1
	s_barrier_wait -1
	s_barrier_signal -1
	s_barrier_wait -1
	s_and_saveexec_b32 s6, s1
; %bb.707:                              ;   in Loop: Header=BB154_3 Depth=1
	v_pk_add_f32 v[40:41], v[40:41], 0 neg_lo:[1,1] neg_hi:[1,1]
	ds_store_b64 v48, v[40:41] offset:20816
; %bb.708:                              ;   in Loop: Header=BB154_3 Depth=1
	s_or_b32 exec_lo, exec_lo, s6
	s_wait_dscnt 0x0
	s_barrier_signal -1
	s_barrier_wait -1
	s_barrier_signal -1
	s_barrier_wait -1
	s_and_saveexec_b32 s11, s14
	s_cbranch_execz .LBB154_710
; %bb.709:                              ;   in Loop: Header=BB154_3 Depth=1
	ds_load_b128 v[40:43], v1 offset:21840
	ds_load_b64 v[44:45], v1 offset:22360
	s_wait_dscnt 0x1
	v_dual_mov_b32 v84, v43 :: v_dual_mov_b32 v85, v42
	s_wait_dscnt 0x0
	v_dual_mul_f32 v83, v45, v41 :: v_dual_mul_f32 v0, v44, v41
	s_delay_alu instid0(VALU_DEP_1) | instskip(NEXT) | instid1(VALU_DEP_1)
	v_xor_b32_e32 v86, 0x80000000, v83
	v_dual_fmac_f32 v0, v45, v40 :: v_dual_fmac_f32 v86, v44, v40
	s_delay_alu instid0(VALU_DEP_1) | instskip(NEXT) | instid1(VALU_DEP_1)
	v_pk_mul_f32 v[40:41], v[0:1], v[84:85] op_sel_hi:[0,1]
	v_pk_fma_f32 v[44:45], v[86:87], v[42:43], v[40:41] op_sel_hi:[0,1,1]
	v_pk_fma_f32 v[40:41], v[86:87], v[42:43], v[40:41] neg_lo:[0,0,1] neg_hi:[0,0,1]
	s_delay_alu instid0(VALU_DEP_2)
	v_mov_b32_e32 v41, v45
	ds_store_b64 v1, v[40:41] offset:21848
.LBB154_710:                            ;   in Loop: Header=BB154_3 Depth=1
	s_or_b32 exec_lo, exec_lo, s11
	v_mov_b32_e32 v40, 0
	s_wait_dscnt 0x0
	s_barrier_signal -1
	s_barrier_wait -1
	s_delay_alu instid0(VALU_DEP_1)
	v_mov_b32_e32 v41, v40
	s_and_saveexec_b32 s11, s2
	s_cbranch_execz .LBB154_716
; %bb.711:                              ;   in Loop: Header=BB154_3 Depth=1
	ds_load_b64 v[40:41], v54 offset:20832
	ds_load_b64 v[42:43], v52 offset:20800
	s_wait_dscnt 0x0
	v_pk_mul_f32 v[44:45], v[42:43], v[40:41] op_sel:[0,1]
	s_delay_alu instid0(VALU_DEP_1) | instskip(SKIP_1) | instid1(VALU_DEP_2)
	v_pk_fma_f32 v[84:85], v[42:43], v[40:41], v[44:45] op_sel:[1,0,0] op_sel_hi:[0,0,1] neg_lo:[0,0,1] neg_hi:[0,0,1]
	v_pk_fma_f32 v[40:41], v[42:43], v[40:41], v[44:45] op_sel:[1,0,0] op_sel_hi:[0,1,1]
	v_mov_b32_e32 v41, v85
	s_delay_alu instid0(VALU_DEP_1)
	v_pk_add_f32 v[40:41], v[40:41], 0 op_sel_hi:[1,0]
	s_and_saveexec_b32 s6, s16
	s_cbranch_execnz .LBB154_1082
; %bb.712:                              ;   in Loop: Header=BB154_3 Depth=1
	s_or_b32 exec_lo, exec_lo, s6
	s_and_saveexec_b32 s6, s17
	s_cbranch_execnz .LBB154_1083
.LBB154_713:                            ;   in Loop: Header=BB154_3 Depth=1
	s_or_b32 exec_lo, exec_lo, s6
	s_and_saveexec_b32 s6, s1
	s_cbranch_execz .LBB154_715
.LBB154_714:                            ;   in Loop: Header=BB154_3 Depth=1
	ds_load_b64 v[42:43], v50 offset:22368
	ds_load_b64 v[44:45], v1 offset:20824
	s_wait_dscnt 0x0
	v_pk_mul_f32 v[84:85], v[44:45], v[42:43] op_sel:[0,1]
	s_delay_alu instid0(VALU_DEP_1) | instskip(SKIP_1) | instid1(VALU_DEP_2)
	v_pk_fma_f32 v[86:87], v[44:45], v[42:43], v[84:85] op_sel:[1,0,0] op_sel_hi:[0,0,1] neg_lo:[0,0,1] neg_hi:[0,0,1]
	v_pk_fma_f32 v[42:43], v[44:45], v[42:43], v[84:85] op_sel:[1,0,0] op_sel_hi:[0,1,1]
	v_mov_b32_e32 v43, v87
	s_delay_alu instid0(VALU_DEP_1)
	v_pk_add_f32 v[40:41], v[40:41], v[42:43]
.LBB154_715:                            ;   in Loop: Header=BB154_3 Depth=1
	s_or_b32 exec_lo, exec_lo, s6
	s_delay_alu instid0(VALU_DEP_1) | instskip(NEXT) | instid1(VALU_DEP_1)
	v_pk_add_f32 v[42:43], v[40:41], 0 neg_lo:[1,1] neg_hi:[1,1]
	v_dual_mov_b32 v40, v43 :: v_dual_mov_b32 v41, v42
.LBB154_716:                            ;   in Loop: Header=BB154_3 Depth=1
	s_or_b32 exec_lo, exec_lo, s11
	s_and_saveexec_b32 s6, vcc_hi
	s_cbranch_execz .LBB154_718
; %bb.717:                              ;   in Loop: Header=BB154_3 Depth=1
	ds_load_b64 v[42:43], v1 offset:22880
	v_dual_mov_b32 v44, v41 :: v_dual_mov_b32 v45, v40
	s_wait_dscnt 0x0
	s_delay_alu instid0(VALU_DEP_1) | instskip(NEXT) | instid1(VALU_DEP_1)
	v_dual_mul_f32 v0, v44, v42 :: v_dual_mul_f32 v84, v41, v43
	v_pk_fma_f32 v[44:45], v[44:45], v[42:43], v[0:1] op_sel_hi:[1,1,0]
	s_delay_alu instid0(VALU_DEP_2) | instskip(NEXT) | instid1(VALU_DEP_2)
	v_pk_fma_f32 v[40:41], v[40:41], v[42:43], v[84:85] op_sel_hi:[1,1,0] neg_lo:[0,0,1] neg_hi:[0,0,1]
	v_mov_b32_e32 v41, v45
	ds_store_b64 v53, v[40:41]
.LBB154_718:                            ;   in Loop: Header=BB154_3 Depth=1
	s_or_b32 exec_lo, exec_lo, s6
	s_wait_dscnt 0x0
	s_barrier_signal -1
	s_barrier_wait -1
	s_and_saveexec_b32 s6, s43
	s_cbranch_execz .LBB154_720
; %bb.719:                              ;   in Loop: Header=BB154_3 Depth=1
	ds_load_b64 v[42:43], v51 offset:22880
	ds_load_b64 v[44:45], v53
	s_wait_dscnt 0x0
	v_dual_mul_f32 v0, v45, v43 :: v_dual_mul_f32 v85, v44, v43
	s_delay_alu instid0(VALU_DEP_1) | instskip(NEXT) | instid1(VALU_DEP_1)
	v_dual_fma_f32 v84, v44, v42, -v0 :: v_dual_fmac_f32 v85, v45, v42
	v_pk_add_f32 v[40:41], v[40:41], v[84:85]
.LBB154_720:                            ;   in Loop: Header=BB154_3 Depth=1
	s_or_b32 exec_lo, exec_lo, s6
	s_barrier_signal -1
	s_barrier_wait -1
	s_and_saveexec_b32 s6, s44
	s_cbranch_execz .LBB154_722
; %bb.721:                              ;   in Loop: Header=BB154_3 Depth=1
	ds_load_b64 v[42:43], v1 offset:23400
	s_wait_dscnt 0x0
	v_pk_mul_f32 v[44:45], v[40:41], v[42:43] op_sel:[1,1] op_sel_hi:[1,0]
	s_delay_alu instid0(VALU_DEP_1) | instskip(SKIP_1) | instid1(VALU_DEP_2)
	v_pk_fma_f32 v[84:85], v[40:41], v[42:43], v[44:45] op_sel_hi:[0,1,1]
	v_pk_fma_f32 v[42:43], v[40:41], v[42:43], v[44:45] neg_lo:[0,0,1] neg_hi:[0,0,1]
	v_mov_b32_e32 v43, v85
	s_delay_alu instid0(VALU_DEP_1)
	v_mov_b64_e32 v[40:41], v[42:43]
	ds_store_b64 v53, v[42:43]
.LBB154_722:                            ;   in Loop: Header=BB154_3 Depth=1
	s_or_b32 exec_lo, exec_lo, s6
	s_wait_dscnt 0x0
	s_barrier_signal -1
	s_barrier_wait -1
	s_and_saveexec_b32 s6, s45
	s_cbranch_execz .LBB154_724
; %bb.723:                              ;   in Loop: Header=BB154_3 Depth=1
	ds_load_b64 v[42:43], v51 offset:23392
	ds_load_b64 v[44:45], v53
	s_wait_dscnt 0x0
	v_pk_mul_f32 v[84:85], v[44:45], v[42:43] op_sel:[1,1] op_sel_hi:[0,1]
	s_delay_alu instid0(VALU_DEP_1) | instskip(SKIP_1) | instid1(VALU_DEP_2)
	v_pk_fma_f32 v[86:87], v[44:45], v[42:43], v[84:85] op_sel_hi:[1,0,1]
	v_pk_fma_f32 v[42:43], v[44:45], v[42:43], v[84:85] neg_lo:[0,0,1] neg_hi:[0,0,1]
	v_mov_b32_e32 v43, v87
	s_delay_alu instid0(VALU_DEP_1)
	v_pk_add_f32 v[40:41], v[40:41], v[42:43]
.LBB154_724:                            ;   in Loop: Header=BB154_3 Depth=1
	s_or_b32 exec_lo, exec_lo, s6
	s_barrier_signal -1
	s_barrier_wait -1
	s_and_saveexec_b32 s6, s46
	s_cbranch_execz .LBB154_726
; %bb.725:                              ;   in Loop: Header=BB154_3 Depth=1
	ds_load_b64 v[42:43], v1 offset:23920
	s_wait_dscnt 0x0
	v_pk_mul_f32 v[44:45], v[40:41], v[42:43] op_sel:[1,1] op_sel_hi:[1,0]
	s_delay_alu instid0(VALU_DEP_1) | instskip(SKIP_1) | instid1(VALU_DEP_2)
	v_pk_fma_f32 v[84:85], v[40:41], v[42:43], v[44:45] op_sel_hi:[0,1,1]
	v_pk_fma_f32 v[42:43], v[40:41], v[42:43], v[44:45] neg_lo:[0,0,1] neg_hi:[0,0,1]
	v_mov_b32_e32 v43, v85
	s_delay_alu instid0(VALU_DEP_1)
	v_mov_b64_e32 v[40:41], v[42:43]
	ds_store_b64 v53, v[42:43]
.LBB154_726:                            ;   in Loop: Header=BB154_3 Depth=1
	s_or_b32 exec_lo, exec_lo, s6
	s_wait_dscnt 0x0
	s_barrier_signal -1
	s_barrier_wait -1
	s_and_saveexec_b32 s6, s47
	s_cbranch_execz .LBB154_728
; %bb.727:                              ;   in Loop: Header=BB154_3 Depth=1
	ds_load_b64 v[42:43], v1 offset:23928
	ds_load_b64 v[44:45], v53
	s_wait_dscnt 0x0
	v_pk_mul_f32 v[84:85], v[44:45], v[42:43] op_sel:[1,1] op_sel_hi:[0,1]
	s_delay_alu instid0(VALU_DEP_1) | instskip(SKIP_1) | instid1(VALU_DEP_2)
	v_pk_fma_f32 v[86:87], v[44:45], v[42:43], v[84:85] op_sel_hi:[1,0,1]
	v_pk_fma_f32 v[42:43], v[44:45], v[42:43], v[84:85] neg_lo:[0,0,1] neg_hi:[0,0,1]
	v_mov_b32_e32 v43, v87
	s_delay_alu instid0(VALU_DEP_1)
	v_pk_add_f32 v[40:41], v[40:41], v[42:43]
.LBB154_728:                            ;   in Loop: Header=BB154_3 Depth=1
	s_or_b32 exec_lo, exec_lo, s6
	s_barrier_signal -1
	s_barrier_wait -1
	s_and_saveexec_b32 s6, s47
	s_cbranch_execz .LBB154_730
; %bb.729:                              ;   in Loop: Header=BB154_3 Depth=1
	ds_load_b64 v[42:43], v1 offset:24440
	s_wait_dscnt 0x0
	v_pk_mul_f32 v[44:45], v[40:41], v[42:43] op_sel:[1,1] op_sel_hi:[1,0]
	s_delay_alu instid0(VALU_DEP_1) | instskip(SKIP_1) | instid1(VALU_DEP_2)
	v_pk_fma_f32 v[84:85], v[40:41], v[42:43], v[44:45] op_sel_hi:[0,1,1]
	v_pk_fma_f32 v[42:43], v[40:41], v[42:43], v[44:45] neg_lo:[0,0,1] neg_hi:[0,0,1]
	v_mov_b32_e32 v43, v85
	s_delay_alu instid0(VALU_DEP_1)
	v_mov_b64_e32 v[40:41], v[42:43]
	ds_store_b64 v53, v[42:43]
.LBB154_730:                            ;   in Loop: Header=BB154_3 Depth=1
	s_or_b32 exec_lo, exec_lo, s6
	s_wait_dscnt 0x0
	s_barrier_signal -1
	s_barrier_wait -1
	s_barrier_signal -1
	s_barrier_wait -1
	s_and_saveexec_b32 s6, s2
; %bb.731:                              ;   in Loop: Header=BB154_3 Depth=1
	v_pk_add_f32 v[40:41], v[40:41], 0 neg_lo:[1,1] neg_hi:[1,1]
	ds_store_b64 v54, v[40:41] offset:20832
; %bb.732:                              ;   in Loop: Header=BB154_3 Depth=1
	s_or_b32 exec_lo, exec_lo, s6
	s_wait_dscnt 0x0
	s_barrier_signal -1
	s_barrier_wait -1
	s_barrier_signal -1
	s_barrier_wait -1
	s_and_saveexec_b32 s11, s14
	s_cbranch_execz .LBB154_734
; %bb.733:                              ;   in Loop: Header=BB154_3 Depth=1
	ds_load_b128 v[40:43], v1 offset:22880
	ds_load_b64 v[44:45], v1 offset:23400
	s_wait_dscnt 0x1
	v_dual_mov_b32 v84, v43 :: v_dual_mov_b32 v85, v42
	s_wait_dscnt 0x0
	v_dual_mul_f32 v83, v45, v41 :: v_dual_mul_f32 v0, v44, v41
	s_delay_alu instid0(VALU_DEP_1) | instskip(NEXT) | instid1(VALU_DEP_1)
	v_xor_b32_e32 v86, 0x80000000, v83
	v_dual_fmac_f32 v0, v45, v40 :: v_dual_fmac_f32 v86, v44, v40
	s_delay_alu instid0(VALU_DEP_1) | instskip(NEXT) | instid1(VALU_DEP_1)
	v_pk_mul_f32 v[40:41], v[0:1], v[84:85] op_sel_hi:[0,1]
	v_pk_fma_f32 v[44:45], v[86:87], v[42:43], v[40:41] op_sel_hi:[0,1,1]
	v_pk_fma_f32 v[40:41], v[86:87], v[42:43], v[40:41] neg_lo:[0,0,1] neg_hi:[0,0,1]
	s_delay_alu instid0(VALU_DEP_2)
	v_mov_b32_e32 v41, v45
	ds_store_b64 v1, v[40:41] offset:22888
.LBB154_734:                            ;   in Loop: Header=BB154_3 Depth=1
	s_or_b32 exec_lo, exec_lo, s11
	v_mov_b32_e32 v41, 0
	s_wait_dscnt 0x0
	s_barrier_signal -1
	s_barrier_wait -1
	s_delay_alu instid0(VALU_DEP_1)
	v_mov_b32_e32 v40, v41
	s_and_saveexec_b32 s11, s1
	s_cbranch_execz .LBB154_738
; %bb.735:                              ;   in Loop: Header=BB154_3 Depth=1
	ds_load_b64 v[40:41], v48 offset:22896
	ds_load_b64 v[42:43], v49 offset:22880
	s_wait_dscnt 0x0
	v_dual_mul_f32 v0, v43, v41 :: v_dual_mul_f32 v45, v42, v41
	s_delay_alu instid0(VALU_DEP_1) | instskip(NEXT) | instid1(VALU_DEP_1)
	v_dual_fma_f32 v44, v42, v40, -v0 :: v_dual_fmac_f32 v45, v43, v40
	v_pk_add_f32 v[40:41], v[44:45], 0 op_sel_hi:[1,0]
	s_and_saveexec_b32 s6, s15
	s_cbranch_execz .LBB154_737
; %bb.736:                              ;   in Loop: Header=BB154_3 Depth=1
	ds_load_b64 v[42:43], v50 offset:23408
	ds_load_b64 v[44:45], v1 offset:22888
	s_wait_dscnt 0x0
	v_pk_mul_f32 v[84:85], v[44:45], v[42:43] op_sel:[1,1] op_sel_hi:[0,1]
	s_delay_alu instid0(VALU_DEP_1) | instskip(SKIP_1) | instid1(VALU_DEP_2)
	v_pk_fma_f32 v[86:87], v[44:45], v[42:43], v[84:85] op_sel_hi:[1,0,1]
	v_pk_fma_f32 v[42:43], v[44:45], v[42:43], v[84:85] neg_lo:[0,0,1] neg_hi:[0,0,1]
	v_mov_b32_e32 v43, v87
	s_delay_alu instid0(VALU_DEP_1)
	v_pk_add_f32 v[40:41], v[40:41], v[42:43]
.LBB154_737:                            ;   in Loop: Header=BB154_3 Depth=1
	s_or_b32 exec_lo, exec_lo, s6
	s_delay_alu instid0(VALU_DEP_1)
	v_pk_add_f32 v[40:41], v[40:41], 0 neg_lo:[1,1] neg_hi:[1,1]
.LBB154_738:                            ;   in Loop: Header=BB154_3 Depth=1
	s_or_b32 exec_lo, exec_lo, s11
	s_and_saveexec_b32 s6, s103
	s_cbranch_execz .LBB154_740
; %bb.739:                              ;   in Loop: Header=BB154_3 Depth=1
	ds_load_b64 v[42:43], v1 offset:23920
	s_wait_dscnt 0x0
	v_pk_mul_f32 v[44:45], v[40:41], v[42:43] op_sel:[1,1] op_sel_hi:[1,0]
	s_delay_alu instid0(VALU_DEP_1) | instskip(SKIP_1) | instid1(VALU_DEP_2)
	v_pk_fma_f32 v[84:85], v[40:41], v[42:43], v[44:45] op_sel_hi:[0,1,1]
	v_pk_fma_f32 v[42:43], v[40:41], v[42:43], v[44:45] neg_lo:[0,0,1] neg_hi:[0,0,1]
	v_mov_b32_e32 v43, v85
	s_delay_alu instid0(VALU_DEP_1)
	v_mov_b64_e32 v[40:41], v[42:43]
	ds_store_b64 v3, v[42:43]
.LBB154_740:                            ;   in Loop: Header=BB154_3 Depth=1
	s_or_b32 exec_lo, exec_lo, s6
	s_wait_dscnt 0x0
	s_barrier_signal -1
	s_barrier_wait -1
	s_and_saveexec_b32 s6, s104
	s_cbranch_execz .LBB154_742
; %bb.741:                              ;   in Loop: Header=BB154_3 Depth=1
	ds_load_b64 v[42:43], v1 offset:23928
	ds_load_b64 v[44:45], v3
	s_wait_dscnt 0x0
	v_pk_mul_f32 v[84:85], v[44:45], v[42:43] op_sel:[1,1] op_sel_hi:[0,1]
	s_delay_alu instid0(VALU_DEP_1) | instskip(SKIP_1) | instid1(VALU_DEP_2)
	v_pk_fma_f32 v[86:87], v[44:45], v[42:43], v[84:85] op_sel_hi:[1,0,1]
	v_pk_fma_f32 v[42:43], v[44:45], v[42:43], v[84:85] neg_lo:[0,0,1] neg_hi:[0,0,1]
	v_mov_b32_e32 v43, v87
	s_delay_alu instid0(VALU_DEP_1)
	v_pk_add_f32 v[40:41], v[40:41], v[42:43]
.LBB154_742:                            ;   in Loop: Header=BB154_3 Depth=1
	s_or_b32 exec_lo, exec_lo, s6
	s_barrier_signal -1
	s_barrier_wait -1
	s_and_saveexec_b32 s6, s104
	s_cbranch_execz .LBB154_744
; %bb.743:                              ;   in Loop: Header=BB154_3 Depth=1
	ds_load_b64 v[42:43], v1 offset:24440
	s_wait_dscnt 0x0
	v_pk_mul_f32 v[44:45], v[40:41], v[42:43] op_sel:[1,1] op_sel_hi:[1,0]
	s_delay_alu instid0(VALU_DEP_1) | instskip(SKIP_1) | instid1(VALU_DEP_2)
	v_pk_fma_f32 v[84:85], v[40:41], v[42:43], v[44:45] op_sel_hi:[0,1,1]
	v_pk_fma_f32 v[42:43], v[40:41], v[42:43], v[44:45] neg_lo:[0,0,1] neg_hi:[0,0,1]
	v_mov_b32_e32 v43, v85
	s_delay_alu instid0(VALU_DEP_1)
	v_mov_b64_e32 v[40:41], v[42:43]
	ds_store_b64 v3, v[42:43]
.LBB154_744:                            ;   in Loop: Header=BB154_3 Depth=1
	s_or_b32 exec_lo, exec_lo, s6
	s_wait_dscnt 0x0
	s_barrier_signal -1
	s_barrier_wait -1
	s_barrier_signal -1
	s_barrier_wait -1
	s_and_saveexec_b32 s6, s1
; %bb.745:                              ;   in Loop: Header=BB154_3 Depth=1
	v_pk_add_f32 v[40:41], v[40:41], 0 neg_lo:[1,1] neg_hi:[1,1]
	ds_store_b64 v48, v[40:41] offset:22896
; %bb.746:                              ;   in Loop: Header=BB154_3 Depth=1
	s_or_b32 exec_lo, exec_lo, s6
	s_wait_dscnt 0x0
	s_barrier_signal -1
	s_barrier_wait -1
	s_barrier_signal -1
	s_barrier_wait -1
	s_and_saveexec_b32 s11, s14
	s_cbranch_execz .LBB154_748
; %bb.747:                              ;   in Loop: Header=BB154_3 Depth=1
	ds_load_b128 v[40:43], v1 offset:23920
	ds_load_b64 v[44:45], v1 offset:24440
	s_wait_dscnt 0x1
	v_dual_mov_b32 v84, v43 :: v_dual_mov_b32 v85, v42
	s_wait_dscnt 0x0
	v_dual_mul_f32 v83, v45, v41 :: v_dual_mul_f32 v0, v44, v41
	s_delay_alu instid0(VALU_DEP_1) | instskip(NEXT) | instid1(VALU_DEP_1)
	v_xor_b32_e32 v86, 0x80000000, v83
	v_dual_fmac_f32 v0, v45, v40 :: v_dual_fmac_f32 v86, v44, v40
	s_delay_alu instid0(VALU_DEP_1) | instskip(NEXT) | instid1(VALU_DEP_1)
	v_pk_mul_f32 v[40:41], v[0:1], v[84:85] op_sel_hi:[0,1]
	v_pk_fma_f32 v[44:45], v[86:87], v[42:43], v[40:41] op_sel_hi:[0,1,1]
	v_pk_fma_f32 v[40:41], v[86:87], v[42:43], v[40:41] neg_lo:[0,0,1] neg_hi:[0,0,1]
	s_delay_alu instid0(VALU_DEP_2)
	v_mov_b32_e32 v41, v45
	ds_store_b64 v1, v[40:41] offset:23928
.LBB154_748:                            ;   in Loop: Header=BB154_3 Depth=1
	s_or_b32 exec_lo, exec_lo, s11
	v_mov_b32_e32 v40, 0
	s_wait_dscnt 0x0
	s_barrier_signal -1
	s_barrier_wait -1
	s_delay_alu instid0(VALU_DEP_1)
	v_mov_b32_e32 v41, v40
	s_and_saveexec_b32 s70, s4
	s_cbranch_execz .LBB154_776
; %bb.749:                              ;   in Loop: Header=BB154_3 Depth=1
	ds_load_b64 v[40:41], v64 offset:16768
	ds_load_b64 v[42:43], v61 offset:16640
	v_readlane_b32 s7, v94, 26
	s_wait_dscnt 0x0
	v_dual_mul_f32 v0, v43, v41 :: v_dual_mul_f32 v44, v42, v41
	s_delay_alu instid0(VALU_DEP_1) | instskip(NEXT) | instid1(VALU_DEP_2)
	v_fma_f32 v0, v42, v40, -v0
	v_fmac_f32_e32 v44, v43, v40
	s_delay_alu instid0(VALU_DEP_2) | instskip(NEXT) | instid1(VALU_DEP_2)
	v_add_f32_e32 v41, 0, v0
	v_add_f32_e32 v40, 0, v44
	s_and_saveexec_b32 s6, s7
	s_cbranch_execz .LBB154_751
; %bb.750:                              ;   in Loop: Header=BB154_3 Depth=1
	ds_load_b64 v[42:43], v65 offset:17280
	ds_load_b64 v[44:45], v61 offset:16648
	s_wait_dscnt 0x0
	v_dual_mul_f32 v0, v45, v43 :: v_dual_mul_f32 v43, v44, v43
	s_delay_alu instid0(VALU_DEP_1) | instskip(NEXT) | instid1(VALU_DEP_1)
	v_dual_fma_f32 v0, v44, v42, -v0 :: v_dual_fmac_f32 v43, v45, v42
	v_dual_add_f32 v41, v41, v0 :: v_dual_add_f32 v40, v40, v43
.LBB154_751:                            ;   in Loop: Header=BB154_3 Depth=1
	s_or_b32 exec_lo, exec_lo, s6
	v_readlane_b32 s7, v94, 27
	s_and_saveexec_b32 s6, s7
	s_cbranch_execz .LBB154_753
; %bb.752:                              ;   in Loop: Header=BB154_3 Depth=1
	ds_load_b64 v[42:43], v65 offset:17792
	ds_load_b64 v[44:45], v61 offset:16656
	s_wait_dscnt 0x0
	v_dual_mul_f32 v0, v45, v43 :: v_dual_mul_f32 v43, v44, v43
	s_delay_alu instid0(VALU_DEP_1) | instskip(NEXT) | instid1(VALU_DEP_1)
	v_dual_fma_f32 v0, v44, v42, -v0 :: v_dual_fmac_f32 v43, v45, v42
	v_dual_add_f32 v41, v41, v0 :: v_dual_add_f32 v40, v40, v43
.LBB154_753:                            ;   in Loop: Header=BB154_3 Depth=1
	s_or_b32 exec_lo, exec_lo, s6
	v_readlane_b32 s7, v94, 28
	;; [unrolled: 13-line block ×10, first 2 shown]
	s_and_saveexec_b32 s6, s7
	s_cbranch_execnz .LBB154_1084
; %bb.770:                              ;   in Loop: Header=BB154_3 Depth=1
	s_or_b32 exec_lo, exec_lo, s6
	s_and_saveexec_b32 s6, s3
	s_cbranch_execnz .LBB154_1085
.LBB154_771:                            ;   in Loop: Header=BB154_3 Depth=1
	s_or_b32 exec_lo, exec_lo, s6
	s_and_saveexec_b32 s6, s19
	s_cbranch_execnz .LBB154_1086
.LBB154_772:                            ;   in Loop: Header=BB154_3 Depth=1
	s_or_b32 exec_lo, exec_lo, s6
	s_and_saveexec_b32 s6, s21
	s_cbranch_execnz .LBB154_1087
.LBB154_773:                            ;   in Loop: Header=BB154_3 Depth=1
	s_or_b32 exec_lo, exec_lo, s6
	s_and_saveexec_b32 s6, s2
	s_cbranch_execz .LBB154_775
.LBB154_774:                            ;   in Loop: Header=BB154_3 Depth=1
	ds_load_b64 v[42:43], v50 offset:24448
	ds_load_b64 v[44:45], v1 offset:16760
	s_wait_dscnt 0x0
	v_pk_mul_f32 v[84:85], v[44:45], v[42:43] op_sel:[0,1]
	s_delay_alu instid0(VALU_DEP_1) | instskip(SKIP_1) | instid1(VALU_DEP_2)
	v_pk_fma_f32 v[86:87], v[44:45], v[42:43], v[84:85] op_sel:[1,0,0] op_sel_hi:[0,0,1] neg_lo:[0,0,1] neg_hi:[0,0,1]
	v_pk_fma_f32 v[42:43], v[44:45], v[42:43], v[84:85] op_sel:[1,0,0] op_sel_hi:[0,1,1]
	v_mov_b32_e32 v43, v87
	s_delay_alu instid0(VALU_DEP_1)
	v_pk_add_f32 v[40:41], v[40:41], v[42:43]
.LBB154_775:                            ;   in Loop: Header=BB154_3 Depth=1
	s_or_b32 exec_lo, exec_lo, s6
	s_delay_alu instid0(VALU_DEP_1) | instskip(NEXT) | instid1(VALU_DEP_1)
	v_pk_add_f32 v[42:43], v[40:41], 0 neg_lo:[1,1] neg_hi:[1,1]
	v_dual_mov_b32 v40, v43 :: v_dual_mov_b32 v41, v42
.LBB154_776:                            ;   in Loop: Header=BB154_3 Depth=1
	s_or_b32 exec_lo, exec_lo, s70
	v_readlane_b32 s7, v94, 1
	s_and_saveexec_b32 s6, s7
	s_cbranch_execz .LBB154_778
; %bb.777:                              ;   in Loop: Header=BB154_3 Depth=1
	ds_load_b64 v[42:43], v1 offset:24960
	v_dual_mov_b32 v44, v41 :: v_dual_mov_b32 v45, v40
	s_wait_dscnt 0x0
	s_delay_alu instid0(VALU_DEP_1) | instskip(NEXT) | instid1(VALU_DEP_1)
	v_dual_mul_f32 v0, v44, v42 :: v_dual_mul_f32 v84, v41, v43
	v_pk_fma_f32 v[44:45], v[44:45], v[42:43], v[0:1] op_sel_hi:[1,1,0]
	s_delay_alu instid0(VALU_DEP_2) | instskip(NEXT) | instid1(VALU_DEP_2)
	v_pk_fma_f32 v[40:41], v[40:41], v[42:43], v[84:85] op_sel_hi:[1,1,0] neg_lo:[0,0,1] neg_hi:[0,0,1]
	v_mov_b32_e32 v41, v45
	ds_store_b64 v63, v[40:41]
.LBB154_778:                            ;   in Loop: Header=BB154_3 Depth=1
	s_or_b32 exec_lo, exec_lo, s6
	v_readlane_b32 s7, v94, 2
	s_wait_dscnt 0x0
	s_barrier_signal -1
	s_barrier_wait -1
	s_and_saveexec_b32 s6, s7
	s_cbranch_execz .LBB154_780
; %bb.779:                              ;   in Loop: Header=BB154_3 Depth=1
	ds_load_b64 v[42:43], v62 offset:24960
	ds_load_b64 v[44:45], v63
	s_wait_dscnt 0x0
	v_dual_mul_f32 v0, v45, v43 :: v_dual_mul_f32 v85, v44, v43
	s_delay_alu instid0(VALU_DEP_1) | instskip(NEXT) | instid1(VALU_DEP_1)
	v_dual_fma_f32 v84, v44, v42, -v0 :: v_dual_fmac_f32 v85, v45, v42
	v_pk_add_f32 v[40:41], v[40:41], v[84:85]
.LBB154_780:                            ;   in Loop: Header=BB154_3 Depth=1
	s_or_b32 exec_lo, exec_lo, s6
	v_readlane_b32 s7, v94, 3
	s_barrier_signal -1
	s_barrier_wait -1
	s_and_saveexec_b32 s6, s7
	s_cbranch_execz .LBB154_782
; %bb.781:                              ;   in Loop: Header=BB154_3 Depth=1
	ds_load_b64 v[42:43], v1 offset:25480
	s_wait_dscnt 0x0
	v_pk_mul_f32 v[44:45], v[40:41], v[42:43] op_sel:[1,1] op_sel_hi:[1,0]
	s_delay_alu instid0(VALU_DEP_1) | instskip(SKIP_1) | instid1(VALU_DEP_2)
	v_pk_fma_f32 v[84:85], v[40:41], v[42:43], v[44:45] op_sel_hi:[0,1,1]
	v_pk_fma_f32 v[40:41], v[40:41], v[42:43], v[44:45] op_sel_hi:[0,1,1] neg_lo:[0,0,1] neg_hi:[0,0,1]
	v_mov_b32_e32 v41, v85
	ds_store_b64 v63, v[40:41]
.LBB154_782:                            ;   in Loop: Header=BB154_3 Depth=1
	s_or_b32 exec_lo, exec_lo, s6
	v_readlane_b32 s7, v94, 4
	s_wait_dscnt 0x0
	s_barrier_signal -1
	s_barrier_wait -1
	s_and_saveexec_b32 s6, s7
	s_cbranch_execz .LBB154_784
; %bb.783:                              ;   in Loop: Header=BB154_3 Depth=1
	ds_load_b64 v[42:43], v62 offset:25472
	ds_load_b64 v[44:45], v63
	s_wait_dscnt 0x0
	v_pk_mul_f32 v[84:85], v[44:45], v[42:43] op_sel:[1,1] op_sel_hi:[0,1]
	s_delay_alu instid0(VALU_DEP_1) | instskip(SKIP_1) | instid1(VALU_DEP_2)
	v_pk_fma_f32 v[86:87], v[44:45], v[42:43], v[84:85] op_sel_hi:[1,0,1]
	v_pk_fma_f32 v[42:43], v[44:45], v[42:43], v[84:85] op_sel_hi:[1,0,1] neg_lo:[0,0,1] neg_hi:[0,0,1]
	v_mov_b32_e32 v43, v87
	s_delay_alu instid0(VALU_DEP_1)
	v_pk_add_f32 v[40:41], v[40:41], v[42:43]
.LBB154_784:                            ;   in Loop: Header=BB154_3 Depth=1
	s_or_b32 exec_lo, exec_lo, s6
	v_readlane_b32 s7, v94, 5
	s_barrier_signal -1
	s_barrier_wait -1
	s_and_saveexec_b32 s6, s7
	s_cbranch_execz .LBB154_786
; %bb.785:                              ;   in Loop: Header=BB154_3 Depth=1
	ds_load_b64 v[42:43], v1 offset:26000
	s_wait_dscnt 0x0
	v_pk_mul_f32 v[44:45], v[40:41], v[42:43] op_sel:[1,1] op_sel_hi:[1,0]
	s_delay_alu instid0(VALU_DEP_1) | instskip(SKIP_1) | instid1(VALU_DEP_2)
	v_pk_fma_f32 v[84:85], v[40:41], v[42:43], v[44:45] op_sel_hi:[0,1,1]
	v_pk_fma_f32 v[40:41], v[40:41], v[42:43], v[44:45] op_sel_hi:[0,1,1] neg_lo:[0,0,1] neg_hi:[0,0,1]
	v_mov_b32_e32 v41, v85
	ds_store_b64 v63, v[40:41]
.LBB154_786:                            ;   in Loop: Header=BB154_3 Depth=1
	s_or_b32 exec_lo, exec_lo, s6
	s_wait_dscnt 0x0
	s_barrier_signal -1
	s_barrier_wait -1
	s_and_saveexec_b32 s6, s67
	s_cbranch_execz .LBB154_788
; %bb.787:                              ;   in Loop: Header=BB154_3 Depth=1
	ds_load_b64 v[42:43], v62 offset:25984
	ds_load_b64 v[44:45], v63
	s_wait_dscnt 0x0
	v_pk_mul_f32 v[84:85], v[44:45], v[42:43] op_sel:[1,1] op_sel_hi:[0,1]
	s_delay_alu instid0(VALU_DEP_1) | instskip(SKIP_1) | instid1(VALU_DEP_2)
	v_pk_fma_f32 v[86:87], v[44:45], v[42:43], v[84:85] op_sel_hi:[1,0,1]
	v_pk_fma_f32 v[42:43], v[44:45], v[42:43], v[84:85] op_sel_hi:[1,0,1] neg_lo:[0,0,1] neg_hi:[0,0,1]
	v_mov_b32_e32 v43, v87
	s_delay_alu instid0(VALU_DEP_1)
	v_pk_add_f32 v[40:41], v[40:41], v[42:43]
.LBB154_788:                            ;   in Loop: Header=BB154_3 Depth=1
	s_or_b32 exec_lo, exec_lo, s6
	s_barrier_signal -1
	s_barrier_wait -1
	s_and_saveexec_b32 s6, s68
	s_cbranch_execz .LBB154_790
; %bb.789:                              ;   in Loop: Header=BB154_3 Depth=1
	ds_load_b64 v[42:43], v1 offset:26520
	s_wait_dscnt 0x0
	v_pk_mul_f32 v[44:45], v[40:41], v[42:43] op_sel:[1,1] op_sel_hi:[1,0]
	s_delay_alu instid0(VALU_DEP_1) | instskip(SKIP_1) | instid1(VALU_DEP_2)
	v_pk_fma_f32 v[84:85], v[40:41], v[42:43], v[44:45] op_sel_hi:[0,1,1]
	v_pk_fma_f32 v[40:41], v[40:41], v[42:43], v[44:45] op_sel_hi:[0,1,1] neg_lo:[0,0,1] neg_hi:[0,0,1]
	v_mov_b32_e32 v41, v85
	ds_store_b64 v63, v[40:41]
.LBB154_790:                            ;   in Loop: Header=BB154_3 Depth=1
	s_or_b32 exec_lo, exec_lo, s6
	s_wait_dscnt 0x0
	s_barrier_signal -1
	s_barrier_wait -1
	s_and_saveexec_b32 s6, s69
	s_cbranch_execz .LBB154_792
; %bb.791:                              ;   in Loop: Header=BB154_3 Depth=1
	ds_load_b64 v[42:43], v62 offset:26496
	ds_load_b64 v[44:45], v63
	s_wait_dscnt 0x0
	v_pk_mul_f32 v[84:85], v[44:45], v[42:43] op_sel:[1,1] op_sel_hi:[0,1]
	s_delay_alu instid0(VALU_DEP_1) | instskip(SKIP_1) | instid1(VALU_DEP_2)
	v_pk_fma_f32 v[86:87], v[44:45], v[42:43], v[84:85] op_sel_hi:[1,0,1]
	v_pk_fma_f32 v[42:43], v[44:45], v[42:43], v[84:85] op_sel_hi:[1,0,1] neg_lo:[0,0,1] neg_hi:[0,0,1]
	v_mov_b32_e32 v43, v87
	s_delay_alu instid0(VALU_DEP_1)
	v_pk_add_f32 v[40:41], v[40:41], v[42:43]
.LBB154_792:                            ;   in Loop: Header=BB154_3 Depth=1
	s_or_b32 exec_lo, exec_lo, s6
	s_barrier_signal -1
	s_barrier_wait -1
	s_and_saveexec_b32 s6, s9
	s_cbranch_execz .LBB154_794
; %bb.793:                              ;   in Loop: Header=BB154_3 Depth=1
	ds_load_b64 v[42:43], v1 offset:27040
	s_wait_dscnt 0x0
	v_dual_mul_f32 v0, v40, v43 :: v_dual_mul_f32 v44, v41, v43
	s_delay_alu instid0(VALU_DEP_1) | instskip(NEXT) | instid1(VALU_DEP_2)
	v_pk_fma_f32 v[84:85], v[40:41], v[42:43], v[0:1] op_sel:[0,1,0] op_sel_hi:[1,0,0]
	v_pk_fma_f32 v[42:43], v[40:41], v[42:43], v[44:45] op_sel_hi:[1,1,0] neg_lo:[0,0,1] neg_hi:[0,0,1]
	s_delay_alu instid0(VALU_DEP_2) | instskip(NEXT) | instid1(VALU_DEP_1)
	v_mov_b32_e32 v43, v85
	v_mov_b64_e32 v[40:41], v[42:43]
	ds_store_b64 v63, v[42:43]
.LBB154_794:                            ;   in Loop: Header=BB154_3 Depth=1
	s_or_b32 exec_lo, exec_lo, s6
	s_wait_dscnt 0x0
	s_barrier_signal -1
	s_barrier_wait -1
	s_and_saveexec_b32 s6, s23
	s_cbranch_execz .LBB154_796
; %bb.795:                              ;   in Loop: Header=BB154_3 Depth=1
	ds_load_b64 v[42:43], v62 offset:27008
	ds_load_b64 v[44:45], v63
	s_wait_dscnt 0x0
	v_dual_mul_f32 v0, v45, v43 :: v_dual_mul_f32 v85, v44, v43
	s_delay_alu instid0(VALU_DEP_1) | instskip(NEXT) | instid1(VALU_DEP_1)
	v_dual_fma_f32 v84, v44, v42, -v0 :: v_dual_fmac_f32 v85, v45, v42
	v_pk_add_f32 v[40:41], v[40:41], v[84:85]
.LBB154_796:                            ;   in Loop: Header=BB154_3 Depth=1
	s_or_b32 exec_lo, exec_lo, s6
	s_barrier_signal -1
	s_barrier_wait -1
	s_and_saveexec_b32 s6, s25
	s_cbranch_execz .LBB154_798
; %bb.797:                              ;   in Loop: Header=BB154_3 Depth=1
	ds_load_b64 v[42:43], v1 offset:27560
	s_wait_dscnt 0x0
	v_pk_mul_f32 v[44:45], v[40:41], v[42:43] op_sel:[1,1] op_sel_hi:[1,0]
	s_delay_alu instid0(VALU_DEP_1) | instskip(SKIP_1) | instid1(VALU_DEP_2)
	v_pk_fma_f32 v[84:85], v[40:41], v[42:43], v[44:45] op_sel_hi:[0,1,1]
	v_pk_fma_f32 v[40:41], v[40:41], v[42:43], v[44:45] op_sel_hi:[0,1,1] neg_lo:[0,0,1] neg_hi:[0,0,1]
	v_mov_b32_e32 v41, v85
	ds_store_b64 v63, v[40:41]
.LBB154_798:                            ;   in Loop: Header=BB154_3 Depth=1
	s_or_b32 exec_lo, exec_lo, s6
	s_wait_dscnt 0x0
	s_barrier_signal -1
	s_barrier_wait -1
	s_and_saveexec_b32 s6, s27
	s_cbranch_execz .LBB154_800
; %bb.799:                              ;   in Loop: Header=BB154_3 Depth=1
	ds_load_b64 v[42:43], v62 offset:27520
	ds_load_b64 v[44:45], v63
	s_wait_dscnt 0x0
	v_pk_mul_f32 v[84:85], v[44:45], v[42:43] op_sel:[1,1] op_sel_hi:[0,1]
	s_delay_alu instid0(VALU_DEP_1) | instskip(SKIP_1) | instid1(VALU_DEP_2)
	v_pk_fma_f32 v[86:87], v[44:45], v[42:43], v[84:85] op_sel_hi:[1,0,1]
	v_pk_fma_f32 v[42:43], v[44:45], v[42:43], v[84:85] op_sel_hi:[1,0,1] neg_lo:[0,0,1] neg_hi:[0,0,1]
	v_mov_b32_e32 v43, v87
	s_delay_alu instid0(VALU_DEP_1)
	v_pk_add_f32 v[40:41], v[40:41], v[42:43]
.LBB154_800:                            ;   in Loop: Header=BB154_3 Depth=1
	s_or_b32 exec_lo, exec_lo, s6
	s_barrier_signal -1
	s_barrier_wait -1
	s_and_saveexec_b32 s6, s29
	s_cbranch_execz .LBB154_802
; %bb.801:                              ;   in Loop: Header=BB154_3 Depth=1
	ds_load_b64 v[42:43], v1 offset:28080
	s_wait_dscnt 0x0
	v_pk_mul_f32 v[44:45], v[40:41], v[42:43] op_sel:[1,1] op_sel_hi:[1,0]
	s_delay_alu instid0(VALU_DEP_1) | instskip(SKIP_1) | instid1(VALU_DEP_2)
	v_pk_fma_f32 v[84:85], v[40:41], v[42:43], v[44:45] op_sel_hi:[0,1,1]
	v_pk_fma_f32 v[40:41], v[40:41], v[42:43], v[44:45] op_sel_hi:[0,1,1] neg_lo:[0,0,1] neg_hi:[0,0,1]
	v_mov_b32_e32 v41, v85
	ds_store_b64 v63, v[40:41]
.LBB154_802:                            ;   in Loop: Header=BB154_3 Depth=1
	s_or_b32 exec_lo, exec_lo, s6
	s_wait_dscnt 0x0
	s_barrier_signal -1
	s_barrier_wait -1
	s_and_saveexec_b32 s6, s31
	s_cbranch_execz .LBB154_804
; %bb.803:                              ;   in Loop: Header=BB154_3 Depth=1
	ds_load_b64 v[42:43], v62 offset:28032
	ds_load_b64 v[44:45], v63
	s_wait_dscnt 0x0
	v_pk_mul_f32 v[84:85], v[44:45], v[42:43] op_sel:[1,1] op_sel_hi:[0,1]
	s_delay_alu instid0(VALU_DEP_1) | instskip(SKIP_1) | instid1(VALU_DEP_2)
	v_pk_fma_f32 v[86:87], v[44:45], v[42:43], v[84:85] op_sel_hi:[1,0,1]
	v_pk_fma_f32 v[42:43], v[44:45], v[42:43], v[84:85] op_sel_hi:[1,0,1] neg_lo:[0,0,1] neg_hi:[0,0,1]
	v_mov_b32_e32 v43, v87
	s_delay_alu instid0(VALU_DEP_1)
	v_pk_add_f32 v[40:41], v[40:41], v[42:43]
.LBB154_804:                            ;   in Loop: Header=BB154_3 Depth=1
	s_or_b32 exec_lo, exec_lo, s6
	s_barrier_signal -1
	s_barrier_wait -1
	s_and_saveexec_b32 s6, s34
	s_cbranch_execz .LBB154_806
; %bb.805:                              ;   in Loop: Header=BB154_3 Depth=1
	ds_load_b64 v[42:43], v1 offset:28600
	s_wait_dscnt 0x0
	v_pk_mul_f32 v[44:45], v[40:41], v[42:43] op_sel:[1,1] op_sel_hi:[1,0]
	s_delay_alu instid0(VALU_DEP_1) | instskip(SKIP_1) | instid1(VALU_DEP_2)
	v_pk_fma_f32 v[84:85], v[40:41], v[42:43], v[44:45] op_sel_hi:[0,1,1]
	v_pk_fma_f32 v[40:41], v[40:41], v[42:43], v[44:45] op_sel_hi:[0,1,1] neg_lo:[0,0,1] neg_hi:[0,0,1]
	v_mov_b32_e32 v41, v85
	ds_store_b64 v63, v[40:41]
.LBB154_806:                            ;   in Loop: Header=BB154_3 Depth=1
	s_or_b32 exec_lo, exec_lo, s6
	s_wait_dscnt 0x0
	s_barrier_signal -1
	s_barrier_wait -1
	s_and_saveexec_b32 s6, s38
	s_cbranch_execz .LBB154_808
; %bb.807:                              ;   in Loop: Header=BB154_3 Depth=1
	ds_load_b64 v[42:43], v62 offset:28544
	ds_load_b64 v[44:45], v63
	s_wait_dscnt 0x0
	v_pk_mul_f32 v[84:85], v[44:45], v[42:43] op_sel:[1,1] op_sel_hi:[0,1]
	s_delay_alu instid0(VALU_DEP_1) | instskip(SKIP_1) | instid1(VALU_DEP_2)
	v_pk_fma_f32 v[86:87], v[44:45], v[42:43], v[84:85] op_sel_hi:[1,0,1]
	v_pk_fma_f32 v[42:43], v[44:45], v[42:43], v[84:85] op_sel_hi:[1,0,1] neg_lo:[0,0,1] neg_hi:[0,0,1]
	v_mov_b32_e32 v43, v87
	s_delay_alu instid0(VALU_DEP_1)
	v_pk_add_f32 v[40:41], v[40:41], v[42:43]
.LBB154_808:                            ;   in Loop: Header=BB154_3 Depth=1
	s_or_b32 exec_lo, exec_lo, s6
	s_barrier_signal -1
	s_barrier_wait -1
	s_and_saveexec_b32 s6, s39
	s_cbranch_execz .LBB154_810
; %bb.809:                              ;   in Loop: Header=BB154_3 Depth=1
	ds_load_b64 v[42:43], v1 offset:29120
	s_wait_dscnt 0x0
	v_dual_mul_f32 v0, v40, v43 :: v_dual_mul_f32 v44, v41, v43
	s_delay_alu instid0(VALU_DEP_1) | instskip(NEXT) | instid1(VALU_DEP_2)
	v_pk_fma_f32 v[84:85], v[40:41], v[42:43], v[0:1] op_sel:[0,1,0] op_sel_hi:[1,0,0]
	v_pk_fma_f32 v[42:43], v[40:41], v[42:43], v[44:45] op_sel_hi:[1,1,0] neg_lo:[0,0,1] neg_hi:[0,0,1]
	s_delay_alu instid0(VALU_DEP_2) | instskip(NEXT) | instid1(VALU_DEP_1)
	v_mov_b32_e32 v43, v85
	v_mov_b64_e32 v[40:41], v[42:43]
	ds_store_b64 v63, v[42:43]
.LBB154_810:                            ;   in Loop: Header=BB154_3 Depth=1
	s_or_b32 exec_lo, exec_lo, s6
	s_wait_dscnt 0x0
	s_barrier_signal -1
	s_barrier_wait -1
	s_and_saveexec_b32 s6, s40
	s_cbranch_execz .LBB154_812
; %bb.811:                              ;   in Loop: Header=BB154_3 Depth=1
	ds_load_b64 v[42:43], v62 offset:29056
	ds_load_b64 v[44:45], v63
	s_wait_dscnt 0x0
	v_dual_mul_f32 v0, v45, v43 :: v_dual_mul_f32 v85, v44, v43
	s_delay_alu instid0(VALU_DEP_1) | instskip(NEXT) | instid1(VALU_DEP_1)
	v_dual_fma_f32 v84, v44, v42, -v0 :: v_dual_fmac_f32 v85, v45, v42
	v_pk_add_f32 v[40:41], v[40:41], v[84:85]
.LBB154_812:                            ;   in Loop: Header=BB154_3 Depth=1
	s_or_b32 exec_lo, exec_lo, s6
	s_barrier_signal -1
	s_barrier_wait -1
	s_and_saveexec_b32 s6, s41
	s_cbranch_execz .LBB154_814
; %bb.813:                              ;   in Loop: Header=BB154_3 Depth=1
	ds_load_b64 v[42:43], v1 offset:29640
	s_wait_dscnt 0x0
	v_pk_mul_f32 v[44:45], v[40:41], v[42:43] op_sel:[1,1] op_sel_hi:[1,0]
	s_delay_alu instid0(VALU_DEP_1) | instskip(SKIP_1) | instid1(VALU_DEP_2)
	v_pk_fma_f32 v[84:85], v[40:41], v[42:43], v[44:45] op_sel_hi:[0,1,1]
	v_pk_fma_f32 v[40:41], v[40:41], v[42:43], v[44:45] op_sel_hi:[0,1,1] neg_lo:[0,0,1] neg_hi:[0,0,1]
	v_mov_b32_e32 v41, v85
	ds_store_b64 v63, v[40:41]
.LBB154_814:                            ;   in Loop: Header=BB154_3 Depth=1
	s_or_b32 exec_lo, exec_lo, s6
	s_wait_dscnt 0x0
	s_barrier_signal -1
	s_barrier_wait -1
	s_and_saveexec_b32 s6, s42
	s_cbranch_execz .LBB154_816
; %bb.815:                              ;   in Loop: Header=BB154_3 Depth=1
	ds_load_b64 v[42:43], v62 offset:29568
	ds_load_b64 v[44:45], v63
	s_wait_dscnt 0x0
	v_pk_mul_f32 v[84:85], v[44:45], v[42:43] op_sel:[1,1] op_sel_hi:[0,1]
	s_delay_alu instid0(VALU_DEP_1) | instskip(SKIP_1) | instid1(VALU_DEP_2)
	v_pk_fma_f32 v[86:87], v[44:45], v[42:43], v[84:85] op_sel_hi:[1,0,1]
	v_pk_fma_f32 v[42:43], v[44:45], v[42:43], v[84:85] op_sel_hi:[1,0,1] neg_lo:[0,0,1] neg_hi:[0,0,1]
	v_mov_b32_e32 v43, v87
	s_delay_alu instid0(VALU_DEP_1)
	v_pk_add_f32 v[40:41], v[40:41], v[42:43]
.LBB154_816:                            ;   in Loop: Header=BB154_3 Depth=1
	s_or_b32 exec_lo, exec_lo, s6
	s_barrier_signal -1
	s_barrier_wait -1
	s_and_saveexec_b32 s6, s12
	s_cbranch_execz .LBB154_818
; %bb.817:                              ;   in Loop: Header=BB154_3 Depth=1
	ds_load_b64 v[42:43], v1 offset:30160
	s_wait_dscnt 0x0
	v_pk_mul_f32 v[44:45], v[40:41], v[42:43] op_sel:[1,1] op_sel_hi:[1,0]
	s_delay_alu instid0(VALU_DEP_1) | instskip(SKIP_1) | instid1(VALU_DEP_2)
	v_pk_fma_f32 v[84:85], v[40:41], v[42:43], v[44:45] op_sel_hi:[0,1,1]
	v_pk_fma_f32 v[40:41], v[40:41], v[42:43], v[44:45] op_sel_hi:[0,1,1] neg_lo:[0,0,1] neg_hi:[0,0,1]
	v_mov_b32_e32 v41, v85
	ds_store_b64 v63, v[40:41]
.LBB154_818:                            ;   in Loop: Header=BB154_3 Depth=1
	s_or_b32 exec_lo, exec_lo, s6
	s_wait_dscnt 0x0
	s_barrier_signal -1
	s_barrier_wait -1
	s_and_saveexec_b32 s6, s24
	s_cbranch_execz .LBB154_820
; %bb.819:                              ;   in Loop: Header=BB154_3 Depth=1
	ds_load_b64 v[42:43], v62 offset:30080
	ds_load_b64 v[44:45], v63
	s_wait_dscnt 0x0
	v_pk_mul_f32 v[84:85], v[44:45], v[42:43] op_sel:[1,1] op_sel_hi:[0,1]
	s_delay_alu instid0(VALU_DEP_1) | instskip(SKIP_1) | instid1(VALU_DEP_2)
	v_pk_fma_f32 v[86:87], v[44:45], v[42:43], v[84:85] op_sel_hi:[1,0,1]
	v_pk_fma_f32 v[42:43], v[44:45], v[42:43], v[84:85] op_sel_hi:[1,0,1] neg_lo:[0,0,1] neg_hi:[0,0,1]
	v_mov_b32_e32 v43, v87
	s_delay_alu instid0(VALU_DEP_1)
	v_pk_add_f32 v[40:41], v[40:41], v[42:43]
.LBB154_820:                            ;   in Loop: Header=BB154_3 Depth=1
	;; [unrolled: 33-line block ×3, first 2 shown]
	s_or_b32 exec_lo, exec_lo, s6
	s_barrier_signal -1
	s_barrier_wait -1
	s_and_saveexec_b32 s6, s30
	s_cbranch_execz .LBB154_826
; %bb.825:                              ;   in Loop: Header=BB154_3 Depth=1
	ds_load_b64 v[42:43], v1 offset:31200
	s_wait_dscnt 0x0
	v_dual_mul_f32 v0, v40, v43 :: v_dual_mul_f32 v44, v41, v43
	s_delay_alu instid0(VALU_DEP_1) | instskip(NEXT) | instid1(VALU_DEP_2)
	v_pk_fma_f32 v[84:85], v[40:41], v[42:43], v[0:1] op_sel:[0,1,0] op_sel_hi:[1,0,0]
	v_pk_fma_f32 v[42:43], v[40:41], v[42:43], v[44:45] op_sel_hi:[1,1,0] neg_lo:[0,0,1] neg_hi:[0,0,1]
	s_delay_alu instid0(VALU_DEP_2) | instskip(NEXT) | instid1(VALU_DEP_1)
	v_mov_b32_e32 v43, v85
	v_mov_b64_e32 v[40:41], v[42:43]
	ds_store_b64 v63, v[42:43]
.LBB154_826:                            ;   in Loop: Header=BB154_3 Depth=1
	s_or_b32 exec_lo, exec_lo, s6
	s_wait_dscnt 0x0
	s_barrier_signal -1
	s_barrier_wait -1
	s_and_saveexec_b32 s6, s8
	s_cbranch_execz .LBB154_828
; %bb.827:                              ;   in Loop: Header=BB154_3 Depth=1
	ds_load_b64 v[42:43], v62 offset:31104
	ds_load_b64 v[44:45], v63
	s_wait_dscnt 0x0
	v_dual_mul_f32 v0, v45, v43 :: v_dual_mul_f32 v85, v44, v43
	s_delay_alu instid0(VALU_DEP_1) | instskip(NEXT) | instid1(VALU_DEP_1)
	v_dual_fma_f32 v84, v44, v42, -v0 :: v_dual_fmac_f32 v85, v45, v42
	v_pk_add_f32 v[40:41], v[40:41], v[84:85]
.LBB154_828:                            ;   in Loop: Header=BB154_3 Depth=1
	s_or_b32 exec_lo, exec_lo, s6
	s_barrier_signal -1
	s_barrier_wait -1
	s_and_saveexec_b32 s6, s33
	s_cbranch_execz .LBB154_830
; %bb.829:                              ;   in Loop: Header=BB154_3 Depth=1
	ds_load_b64 v[42:43], v1 offset:31720
	s_wait_dscnt 0x0
	v_pk_mul_f32 v[44:45], v[40:41], v[42:43] op_sel:[1,1] op_sel_hi:[1,0]
	s_delay_alu instid0(VALU_DEP_1) | instskip(SKIP_1) | instid1(VALU_DEP_2)
	v_pk_fma_f32 v[84:85], v[40:41], v[42:43], v[44:45] op_sel_hi:[0,1,1]
	v_pk_fma_f32 v[42:43], v[40:41], v[42:43], v[44:45] neg_lo:[0,0,1] neg_hi:[0,0,1]
	v_mov_b32_e32 v43, v85
	s_delay_alu instid0(VALU_DEP_1)
	v_mov_b64_e32 v[40:41], v[42:43]
	ds_store_b64 v63, v[42:43]
.LBB154_830:                            ;   in Loop: Header=BB154_3 Depth=1
	s_or_b32 exec_lo, exec_lo, s6
	s_wait_dscnt 0x0
	s_barrier_signal -1
	s_barrier_wait -1
	s_and_saveexec_b32 s6, s100
	s_cbranch_execz .LBB154_832
; %bb.831:                              ;   in Loop: Header=BB154_3 Depth=1
	ds_load_b64 v[42:43], v62 offset:31616
	ds_load_b64 v[44:45], v63
	s_wait_dscnt 0x0
	v_pk_mul_f32 v[84:85], v[44:45], v[42:43] op_sel:[1,1] op_sel_hi:[0,1]
	s_delay_alu instid0(VALU_DEP_1) | instskip(SKIP_1) | instid1(VALU_DEP_2)
	v_pk_fma_f32 v[86:87], v[44:45], v[42:43], v[84:85] op_sel_hi:[1,0,1]
	v_pk_fma_f32 v[42:43], v[44:45], v[42:43], v[84:85] neg_lo:[0,0,1] neg_hi:[0,0,1]
	v_mov_b32_e32 v43, v87
	s_delay_alu instid0(VALU_DEP_1)
	v_pk_add_f32 v[40:41], v[40:41], v[42:43]
.LBB154_832:                            ;   in Loop: Header=BB154_3 Depth=1
	s_or_b32 exec_lo, exec_lo, s6
	s_barrier_signal -1
	s_barrier_wait -1
	s_and_saveexec_b32 s6, s62
	s_cbranch_execz .LBB154_834
; %bb.833:                              ;   in Loop: Header=BB154_3 Depth=1
	ds_load_b64 v[42:43], v1 offset:32240
	s_wait_dscnt 0x0
	v_pk_mul_f32 v[44:45], v[40:41], v[42:43] op_sel:[1,1] op_sel_hi:[1,0]
	s_delay_alu instid0(VALU_DEP_1) | instskip(SKIP_1) | instid1(VALU_DEP_2)
	v_pk_fma_f32 v[84:85], v[40:41], v[42:43], v[44:45] op_sel_hi:[0,1,1]
	v_pk_fma_f32 v[42:43], v[40:41], v[42:43], v[44:45] neg_lo:[0,0,1] neg_hi:[0,0,1]
	v_mov_b32_e32 v43, v85
	s_delay_alu instid0(VALU_DEP_1)
	v_mov_b64_e32 v[40:41], v[42:43]
	ds_store_b64 v63, v[42:43]
.LBB154_834:                            ;   in Loop: Header=BB154_3 Depth=1
	s_or_b32 exec_lo, exec_lo, s6
	s_wait_dscnt 0x0
	s_barrier_signal -1
	s_barrier_wait -1
	s_and_saveexec_b32 s6, s63
	s_cbranch_execz .LBB154_836
; %bb.835:                              ;   in Loop: Header=BB154_3 Depth=1
	ds_load_b64 v[42:43], v1 offset:32248
	ds_load_b64 v[44:45], v63
	s_wait_dscnt 0x0
	v_pk_mul_f32 v[84:85], v[44:45], v[42:43] op_sel:[1,1] op_sel_hi:[0,1]
	s_delay_alu instid0(VALU_DEP_1) | instskip(SKIP_1) | instid1(VALU_DEP_2)
	v_pk_fma_f32 v[86:87], v[44:45], v[42:43], v[84:85] op_sel_hi:[1,0,1]
	v_pk_fma_f32 v[42:43], v[44:45], v[42:43], v[84:85] neg_lo:[0,0,1] neg_hi:[0,0,1]
	v_mov_b32_e32 v43, v87
	s_delay_alu instid0(VALU_DEP_1)
	v_pk_add_f32 v[40:41], v[40:41], v[42:43]
.LBB154_836:                            ;   in Loop: Header=BB154_3 Depth=1
	s_or_b32 exec_lo, exec_lo, s6
	s_barrier_signal -1
	s_barrier_wait -1
	s_and_saveexec_b32 s6, s63
	s_cbranch_execz .LBB154_838
; %bb.837:                              ;   in Loop: Header=BB154_3 Depth=1
	ds_load_b64 v[42:43], v1 offset:32760
	s_wait_dscnt 0x0
	v_pk_mul_f32 v[44:45], v[40:41], v[42:43] op_sel:[1,1] op_sel_hi:[1,0]
	s_delay_alu instid0(VALU_DEP_1) | instskip(SKIP_1) | instid1(VALU_DEP_2)
	v_pk_fma_f32 v[84:85], v[40:41], v[42:43], v[44:45] op_sel_hi:[0,1,1]
	v_pk_fma_f32 v[42:43], v[40:41], v[42:43], v[44:45] neg_lo:[0,0,1] neg_hi:[0,0,1]
	v_mov_b32_e32 v43, v85
	s_delay_alu instid0(VALU_DEP_1)
	v_mov_b64_e32 v[40:41], v[42:43]
	ds_store_b64 v63, v[42:43]
.LBB154_838:                            ;   in Loop: Header=BB154_3 Depth=1
	s_or_b32 exec_lo, exec_lo, s6
	s_wait_dscnt 0x0
	s_barrier_signal -1
	s_barrier_wait -1
	s_barrier_signal -1
	s_barrier_wait -1
	s_and_saveexec_b32 s6, s4
; %bb.839:                              ;   in Loop: Header=BB154_3 Depth=1
	v_pk_add_f32 v[40:41], v[40:41], 0 neg_lo:[1,1] neg_hi:[1,1]
	ds_store_b64 v64, v[40:41] offset:16768
; %bb.840:                              ;   in Loop: Header=BB154_3 Depth=1
	s_or_b32 exec_lo, exec_lo, s6
	s_wait_dscnt 0x0
	s_barrier_signal -1
	s_barrier_wait -1
	s_barrier_signal -1
	s_barrier_wait -1
	s_and_saveexec_b32 s11, s14
	s_cbranch_execz .LBB154_842
; %bb.841:                              ;   in Loop: Header=BB154_3 Depth=1
	ds_load_b128 v[40:43], v1 offset:24960
	ds_load_b64 v[44:45], v1 offset:25480
	s_wait_dscnt 0x1
	v_dual_mov_b32 v84, v43 :: v_dual_mov_b32 v85, v42
	s_wait_dscnt 0x0
	v_dual_mul_f32 v83, v45, v41 :: v_dual_mul_f32 v0, v44, v41
	s_delay_alu instid0(VALU_DEP_1) | instskip(NEXT) | instid1(VALU_DEP_1)
	v_xor_b32_e32 v86, 0x80000000, v83
	v_dual_fmac_f32 v0, v45, v40 :: v_dual_fmac_f32 v86, v44, v40
	s_delay_alu instid0(VALU_DEP_1) | instskip(NEXT) | instid1(VALU_DEP_1)
	v_pk_mul_f32 v[40:41], v[0:1], v[84:85] op_sel_hi:[0,1]
	v_pk_fma_f32 v[44:45], v[86:87], v[42:43], v[40:41] op_sel_hi:[0,1,1]
	v_pk_fma_f32 v[40:41], v[86:87], v[42:43], v[40:41] neg_lo:[0,0,1] neg_hi:[0,0,1]
	s_delay_alu instid0(VALU_DEP_2)
	v_mov_b32_e32 v41, v45
	ds_store_b64 v1, v[40:41] offset:24968
.LBB154_842:                            ;   in Loop: Header=BB154_3 Depth=1
	s_or_b32 exec_lo, exec_lo, s11
	v_mov_b32_e32 v41, 0
	s_wait_dscnt 0x0
	s_barrier_signal -1
	s_barrier_wait -1
	s_delay_alu instid0(VALU_DEP_1)
	v_mov_b32_e32 v40, v41
	s_and_saveexec_b32 s11, s1
	s_cbranch_execz .LBB154_846
; %bb.843:                              ;   in Loop: Header=BB154_3 Depth=1
	ds_load_b64 v[40:41], v48 offset:24976
	ds_load_b64 v[42:43], v49 offset:24960
	s_wait_dscnt 0x0
	v_dual_mul_f32 v0, v43, v41 :: v_dual_mul_f32 v45, v42, v41
	s_delay_alu instid0(VALU_DEP_1) | instskip(NEXT) | instid1(VALU_DEP_1)
	v_dual_fma_f32 v44, v42, v40, -v0 :: v_dual_fmac_f32 v45, v43, v40
	v_pk_add_f32 v[40:41], v[44:45], 0 op_sel_hi:[1,0]
	s_and_saveexec_b32 s6, s15
	s_cbranch_execz .LBB154_845
; %bb.844:                              ;   in Loop: Header=BB154_3 Depth=1
	ds_load_b64 v[42:43], v50 offset:25488
	ds_load_b64 v[44:45], v1 offset:24968
	s_wait_dscnt 0x0
	v_pk_mul_f32 v[84:85], v[44:45], v[42:43] op_sel:[1,1] op_sel_hi:[0,1]
	s_delay_alu instid0(VALU_DEP_1) | instskip(SKIP_1) | instid1(VALU_DEP_2)
	v_pk_fma_f32 v[86:87], v[44:45], v[42:43], v[84:85] op_sel_hi:[1,0,1]
	v_pk_fma_f32 v[42:43], v[44:45], v[42:43], v[84:85] neg_lo:[0,0,1] neg_hi:[0,0,1]
	v_mov_b32_e32 v43, v87
	s_delay_alu instid0(VALU_DEP_1)
	v_pk_add_f32 v[40:41], v[40:41], v[42:43]
.LBB154_845:                            ;   in Loop: Header=BB154_3 Depth=1
	s_or_b32 exec_lo, exec_lo, s6
	s_delay_alu instid0(VALU_DEP_1)
	v_pk_add_f32 v[40:41], v[40:41], 0 neg_lo:[1,1] neg_hi:[1,1]
.LBB154_846:                            ;   in Loop: Header=BB154_3 Depth=1
	s_or_b32 exec_lo, exec_lo, s11
	s_and_saveexec_b32 s6, s103
	s_cbranch_execz .LBB154_848
; %bb.847:                              ;   in Loop: Header=BB154_3 Depth=1
	ds_load_b64 v[42:43], v1 offset:26000
	s_wait_dscnt 0x0
	v_pk_mul_f32 v[44:45], v[40:41], v[42:43] op_sel:[1,1] op_sel_hi:[1,0]
	s_delay_alu instid0(VALU_DEP_1) | instskip(SKIP_1) | instid1(VALU_DEP_2)
	v_pk_fma_f32 v[84:85], v[40:41], v[42:43], v[44:45] op_sel_hi:[0,1,1]
	v_pk_fma_f32 v[42:43], v[40:41], v[42:43], v[44:45] neg_lo:[0,0,1] neg_hi:[0,0,1]
	v_mov_b32_e32 v43, v85
	s_delay_alu instid0(VALU_DEP_1)
	v_mov_b64_e32 v[40:41], v[42:43]
	ds_store_b64 v3, v[42:43]
.LBB154_848:                            ;   in Loop: Header=BB154_3 Depth=1
	s_or_b32 exec_lo, exec_lo, s6
	s_wait_dscnt 0x0
	s_barrier_signal -1
	s_barrier_wait -1
	s_and_saveexec_b32 s6, s104
	s_cbranch_execz .LBB154_850
; %bb.849:                              ;   in Loop: Header=BB154_3 Depth=1
	ds_load_b64 v[42:43], v1 offset:26008
	ds_load_b64 v[44:45], v3
	s_wait_dscnt 0x0
	v_pk_mul_f32 v[84:85], v[44:45], v[42:43] op_sel:[1,1] op_sel_hi:[0,1]
	s_delay_alu instid0(VALU_DEP_1) | instskip(SKIP_1) | instid1(VALU_DEP_2)
	v_pk_fma_f32 v[86:87], v[44:45], v[42:43], v[84:85] op_sel_hi:[1,0,1]
	v_pk_fma_f32 v[42:43], v[44:45], v[42:43], v[84:85] neg_lo:[0,0,1] neg_hi:[0,0,1]
	v_mov_b32_e32 v43, v87
	s_delay_alu instid0(VALU_DEP_1)
	v_pk_add_f32 v[40:41], v[40:41], v[42:43]
.LBB154_850:                            ;   in Loop: Header=BB154_3 Depth=1
	s_or_b32 exec_lo, exec_lo, s6
	s_barrier_signal -1
	s_barrier_wait -1
	s_and_saveexec_b32 s6, s104
	s_cbranch_execz .LBB154_852
; %bb.851:                              ;   in Loop: Header=BB154_3 Depth=1
	ds_load_b64 v[42:43], v1 offset:26520
	s_wait_dscnt 0x0
	v_pk_mul_f32 v[44:45], v[40:41], v[42:43] op_sel:[1,1] op_sel_hi:[1,0]
	s_delay_alu instid0(VALU_DEP_1) | instskip(SKIP_1) | instid1(VALU_DEP_2)
	v_pk_fma_f32 v[84:85], v[40:41], v[42:43], v[44:45] op_sel_hi:[0,1,1]
	v_pk_fma_f32 v[42:43], v[40:41], v[42:43], v[44:45] neg_lo:[0,0,1] neg_hi:[0,0,1]
	v_mov_b32_e32 v43, v85
	s_delay_alu instid0(VALU_DEP_1)
	v_mov_b64_e32 v[40:41], v[42:43]
	ds_store_b64 v3, v[42:43]
.LBB154_852:                            ;   in Loop: Header=BB154_3 Depth=1
	s_or_b32 exec_lo, exec_lo, s6
	s_wait_dscnt 0x0
	s_barrier_signal -1
	s_barrier_wait -1
	s_barrier_signal -1
	s_barrier_wait -1
	s_and_saveexec_b32 s6, s1
; %bb.853:                              ;   in Loop: Header=BB154_3 Depth=1
	v_pk_add_f32 v[40:41], v[40:41], 0 neg_lo:[1,1] neg_hi:[1,1]
	ds_store_b64 v48, v[40:41] offset:24976
; %bb.854:                              ;   in Loop: Header=BB154_3 Depth=1
	s_or_b32 exec_lo, exec_lo, s6
	s_wait_dscnt 0x0
	s_barrier_signal -1
	s_barrier_wait -1
	s_barrier_signal -1
	s_barrier_wait -1
	s_and_saveexec_b32 s11, s14
	s_cbranch_execz .LBB154_856
; %bb.855:                              ;   in Loop: Header=BB154_3 Depth=1
	ds_load_b128 v[40:43], v1 offset:26000
	ds_load_b64 v[44:45], v1 offset:26520
	s_wait_dscnt 0x1
	v_dual_mov_b32 v84, v43 :: v_dual_mov_b32 v85, v42
	s_wait_dscnt 0x0
	v_dual_mul_f32 v83, v45, v41 :: v_dual_mul_f32 v0, v44, v41
	s_delay_alu instid0(VALU_DEP_1) | instskip(NEXT) | instid1(VALU_DEP_1)
	v_xor_b32_e32 v86, 0x80000000, v83
	v_dual_fmac_f32 v0, v45, v40 :: v_dual_fmac_f32 v86, v44, v40
	s_delay_alu instid0(VALU_DEP_1) | instskip(NEXT) | instid1(VALU_DEP_1)
	v_pk_mul_f32 v[40:41], v[0:1], v[84:85] op_sel_hi:[0,1]
	v_pk_fma_f32 v[44:45], v[86:87], v[42:43], v[40:41] op_sel_hi:[0,1,1]
	v_pk_fma_f32 v[40:41], v[86:87], v[42:43], v[40:41] neg_lo:[0,0,1] neg_hi:[0,0,1]
	s_delay_alu instid0(VALU_DEP_2)
	v_mov_b32_e32 v41, v45
	ds_store_b64 v1, v[40:41] offset:26008
.LBB154_856:                            ;   in Loop: Header=BB154_3 Depth=1
	s_or_b32 exec_lo, exec_lo, s11
	v_mov_b32_e32 v40, 0
	s_wait_dscnt 0x0
	s_barrier_signal -1
	s_barrier_wait -1
	s_delay_alu instid0(VALU_DEP_1)
	v_mov_b32_e32 v41, v40
	s_and_saveexec_b32 s11, s2
	s_cbranch_execz .LBB154_862
; %bb.857:                              ;   in Loop: Header=BB154_3 Depth=1
	ds_load_b64 v[40:41], v54 offset:24992
	ds_load_b64 v[42:43], v52 offset:24960
	s_wait_dscnt 0x0
	v_pk_mul_f32 v[44:45], v[42:43], v[40:41] op_sel:[0,1]
	s_delay_alu instid0(VALU_DEP_1) | instskip(SKIP_1) | instid1(VALU_DEP_2)
	v_pk_fma_f32 v[84:85], v[42:43], v[40:41], v[44:45] op_sel:[1,0,0] op_sel_hi:[0,0,1] neg_lo:[0,0,1] neg_hi:[0,0,1]
	v_pk_fma_f32 v[40:41], v[42:43], v[40:41], v[44:45] op_sel:[1,0,0] op_sel_hi:[0,1,1]
	v_mov_b32_e32 v41, v85
	s_delay_alu instid0(VALU_DEP_1)
	v_pk_add_f32 v[40:41], v[40:41], 0 op_sel_hi:[1,0]
	s_and_saveexec_b32 s6, s16
	s_cbranch_execnz .LBB154_1088
; %bb.858:                              ;   in Loop: Header=BB154_3 Depth=1
	s_or_b32 exec_lo, exec_lo, s6
	s_and_saveexec_b32 s6, s17
	s_cbranch_execnz .LBB154_1089
.LBB154_859:                            ;   in Loop: Header=BB154_3 Depth=1
	s_or_b32 exec_lo, exec_lo, s6
	s_and_saveexec_b32 s6, s1
	s_cbranch_execz .LBB154_861
.LBB154_860:                            ;   in Loop: Header=BB154_3 Depth=1
	ds_load_b64 v[42:43], v50 offset:26528
	ds_load_b64 v[44:45], v1 offset:24984
	s_wait_dscnt 0x0
	v_pk_mul_f32 v[84:85], v[44:45], v[42:43] op_sel:[0,1]
	s_delay_alu instid0(VALU_DEP_1) | instskip(SKIP_1) | instid1(VALU_DEP_2)
	v_pk_fma_f32 v[86:87], v[44:45], v[42:43], v[84:85] op_sel:[1,0,0] op_sel_hi:[0,0,1] neg_lo:[0,0,1] neg_hi:[0,0,1]
	v_pk_fma_f32 v[42:43], v[44:45], v[42:43], v[84:85] op_sel:[1,0,0] op_sel_hi:[0,1,1]
	v_mov_b32_e32 v43, v87
	s_delay_alu instid0(VALU_DEP_1)
	v_pk_add_f32 v[40:41], v[40:41], v[42:43]
.LBB154_861:                            ;   in Loop: Header=BB154_3 Depth=1
	s_or_b32 exec_lo, exec_lo, s6
	s_delay_alu instid0(VALU_DEP_1) | instskip(NEXT) | instid1(VALU_DEP_1)
	v_pk_add_f32 v[42:43], v[40:41], 0 neg_lo:[1,1] neg_hi:[1,1]
	v_dual_mov_b32 v40, v43 :: v_dual_mov_b32 v41, v42
.LBB154_862:                            ;   in Loop: Header=BB154_3 Depth=1
	s_or_b32 exec_lo, exec_lo, s11
	s_and_saveexec_b32 s6, vcc_hi
	s_cbranch_execz .LBB154_864
; %bb.863:                              ;   in Loop: Header=BB154_3 Depth=1
	ds_load_b64 v[42:43], v1 offset:27040
	v_dual_mov_b32 v44, v41 :: v_dual_mov_b32 v45, v40
	s_wait_dscnt 0x0
	s_delay_alu instid0(VALU_DEP_1) | instskip(NEXT) | instid1(VALU_DEP_1)
	v_dual_mul_f32 v0, v44, v42 :: v_dual_mul_f32 v84, v41, v43
	v_pk_fma_f32 v[44:45], v[44:45], v[42:43], v[0:1] op_sel_hi:[1,1,0]
	s_delay_alu instid0(VALU_DEP_2) | instskip(NEXT) | instid1(VALU_DEP_2)
	v_pk_fma_f32 v[40:41], v[40:41], v[42:43], v[84:85] op_sel_hi:[1,1,0] neg_lo:[0,0,1] neg_hi:[0,0,1]
	v_mov_b32_e32 v41, v45
	ds_store_b64 v53, v[40:41]
.LBB154_864:                            ;   in Loop: Header=BB154_3 Depth=1
	s_or_b32 exec_lo, exec_lo, s6
	s_wait_dscnt 0x0
	s_barrier_signal -1
	s_barrier_wait -1
	s_and_saveexec_b32 s6, s43
	s_cbranch_execz .LBB154_866
; %bb.865:                              ;   in Loop: Header=BB154_3 Depth=1
	ds_load_b64 v[42:43], v51 offset:27040
	ds_load_b64 v[44:45], v53
	s_wait_dscnt 0x0
	v_dual_mul_f32 v0, v45, v43 :: v_dual_mul_f32 v85, v44, v43
	s_delay_alu instid0(VALU_DEP_1) | instskip(NEXT) | instid1(VALU_DEP_1)
	v_dual_fma_f32 v84, v44, v42, -v0 :: v_dual_fmac_f32 v85, v45, v42
	v_pk_add_f32 v[40:41], v[40:41], v[84:85]
.LBB154_866:                            ;   in Loop: Header=BB154_3 Depth=1
	s_or_b32 exec_lo, exec_lo, s6
	s_barrier_signal -1
	s_barrier_wait -1
	s_and_saveexec_b32 s6, s44
	s_cbranch_execz .LBB154_868
; %bb.867:                              ;   in Loop: Header=BB154_3 Depth=1
	ds_load_b64 v[42:43], v1 offset:27560
	s_wait_dscnt 0x0
	v_pk_mul_f32 v[44:45], v[40:41], v[42:43] op_sel:[1,1] op_sel_hi:[1,0]
	s_delay_alu instid0(VALU_DEP_1) | instskip(SKIP_1) | instid1(VALU_DEP_2)
	v_pk_fma_f32 v[84:85], v[40:41], v[42:43], v[44:45] op_sel_hi:[0,1,1]
	v_pk_fma_f32 v[42:43], v[40:41], v[42:43], v[44:45] neg_lo:[0,0,1] neg_hi:[0,0,1]
	v_mov_b32_e32 v43, v85
	s_delay_alu instid0(VALU_DEP_1)
	v_mov_b64_e32 v[40:41], v[42:43]
	ds_store_b64 v53, v[42:43]
.LBB154_868:                            ;   in Loop: Header=BB154_3 Depth=1
	s_or_b32 exec_lo, exec_lo, s6
	s_wait_dscnt 0x0
	s_barrier_signal -1
	s_barrier_wait -1
	s_and_saveexec_b32 s6, s45
	s_cbranch_execz .LBB154_870
; %bb.869:                              ;   in Loop: Header=BB154_3 Depth=1
	ds_load_b64 v[42:43], v51 offset:27552
	ds_load_b64 v[44:45], v53
	s_wait_dscnt 0x0
	v_pk_mul_f32 v[84:85], v[44:45], v[42:43] op_sel:[1,1] op_sel_hi:[0,1]
	s_delay_alu instid0(VALU_DEP_1) | instskip(SKIP_1) | instid1(VALU_DEP_2)
	v_pk_fma_f32 v[86:87], v[44:45], v[42:43], v[84:85] op_sel_hi:[1,0,1]
	v_pk_fma_f32 v[42:43], v[44:45], v[42:43], v[84:85] neg_lo:[0,0,1] neg_hi:[0,0,1]
	v_mov_b32_e32 v43, v87
	s_delay_alu instid0(VALU_DEP_1)
	v_pk_add_f32 v[40:41], v[40:41], v[42:43]
.LBB154_870:                            ;   in Loop: Header=BB154_3 Depth=1
	s_or_b32 exec_lo, exec_lo, s6
	s_barrier_signal -1
	s_barrier_wait -1
	s_and_saveexec_b32 s6, s46
	s_cbranch_execz .LBB154_872
; %bb.871:                              ;   in Loop: Header=BB154_3 Depth=1
	ds_load_b64 v[42:43], v1 offset:28080
	s_wait_dscnt 0x0
	v_pk_mul_f32 v[44:45], v[40:41], v[42:43] op_sel:[1,1] op_sel_hi:[1,0]
	s_delay_alu instid0(VALU_DEP_1) | instskip(SKIP_1) | instid1(VALU_DEP_2)
	v_pk_fma_f32 v[84:85], v[40:41], v[42:43], v[44:45] op_sel_hi:[0,1,1]
	v_pk_fma_f32 v[42:43], v[40:41], v[42:43], v[44:45] neg_lo:[0,0,1] neg_hi:[0,0,1]
	v_mov_b32_e32 v43, v85
	s_delay_alu instid0(VALU_DEP_1)
	v_mov_b64_e32 v[40:41], v[42:43]
	ds_store_b64 v53, v[42:43]
.LBB154_872:                            ;   in Loop: Header=BB154_3 Depth=1
	s_or_b32 exec_lo, exec_lo, s6
	s_wait_dscnt 0x0
	s_barrier_signal -1
	s_barrier_wait -1
	s_and_saveexec_b32 s6, s47
	s_cbranch_execz .LBB154_874
; %bb.873:                              ;   in Loop: Header=BB154_3 Depth=1
	ds_load_b64 v[42:43], v1 offset:28088
	ds_load_b64 v[44:45], v53
	s_wait_dscnt 0x0
	v_pk_mul_f32 v[84:85], v[44:45], v[42:43] op_sel:[1,1] op_sel_hi:[0,1]
	s_delay_alu instid0(VALU_DEP_1) | instskip(SKIP_1) | instid1(VALU_DEP_2)
	v_pk_fma_f32 v[86:87], v[44:45], v[42:43], v[84:85] op_sel_hi:[1,0,1]
	v_pk_fma_f32 v[42:43], v[44:45], v[42:43], v[84:85] neg_lo:[0,0,1] neg_hi:[0,0,1]
	v_mov_b32_e32 v43, v87
	s_delay_alu instid0(VALU_DEP_1)
	v_pk_add_f32 v[40:41], v[40:41], v[42:43]
.LBB154_874:                            ;   in Loop: Header=BB154_3 Depth=1
	s_or_b32 exec_lo, exec_lo, s6
	s_barrier_signal -1
	s_barrier_wait -1
	s_and_saveexec_b32 s6, s47
	s_cbranch_execz .LBB154_876
; %bb.875:                              ;   in Loop: Header=BB154_3 Depth=1
	ds_load_b64 v[42:43], v1 offset:28600
	s_wait_dscnt 0x0
	v_pk_mul_f32 v[44:45], v[40:41], v[42:43] op_sel:[1,1] op_sel_hi:[1,0]
	s_delay_alu instid0(VALU_DEP_1) | instskip(SKIP_1) | instid1(VALU_DEP_2)
	v_pk_fma_f32 v[84:85], v[40:41], v[42:43], v[44:45] op_sel_hi:[0,1,1]
	v_pk_fma_f32 v[42:43], v[40:41], v[42:43], v[44:45] neg_lo:[0,0,1] neg_hi:[0,0,1]
	v_mov_b32_e32 v43, v85
	s_delay_alu instid0(VALU_DEP_1)
	v_mov_b64_e32 v[40:41], v[42:43]
	ds_store_b64 v53, v[42:43]
.LBB154_876:                            ;   in Loop: Header=BB154_3 Depth=1
	s_or_b32 exec_lo, exec_lo, s6
	s_wait_dscnt 0x0
	s_barrier_signal -1
	s_barrier_wait -1
	s_barrier_signal -1
	s_barrier_wait -1
	s_and_saveexec_b32 s6, s2
; %bb.877:                              ;   in Loop: Header=BB154_3 Depth=1
	v_pk_add_f32 v[40:41], v[40:41], 0 neg_lo:[1,1] neg_hi:[1,1]
	ds_store_b64 v54, v[40:41] offset:24992
; %bb.878:                              ;   in Loop: Header=BB154_3 Depth=1
	s_or_b32 exec_lo, exec_lo, s6
	s_wait_dscnt 0x0
	s_barrier_signal -1
	s_barrier_wait -1
	s_barrier_signal -1
	s_barrier_wait -1
	s_and_saveexec_b32 s11, s14
	s_cbranch_execz .LBB154_880
; %bb.879:                              ;   in Loop: Header=BB154_3 Depth=1
	ds_load_b128 v[40:43], v1 offset:27040
	ds_load_b64 v[44:45], v1 offset:27560
	s_wait_dscnt 0x1
	v_dual_mov_b32 v84, v43 :: v_dual_mov_b32 v85, v42
	s_wait_dscnt 0x0
	v_dual_mul_f32 v83, v45, v41 :: v_dual_mul_f32 v0, v44, v41
	s_delay_alu instid0(VALU_DEP_1) | instskip(NEXT) | instid1(VALU_DEP_1)
	v_xor_b32_e32 v86, 0x80000000, v83
	v_dual_fmac_f32 v0, v45, v40 :: v_dual_fmac_f32 v86, v44, v40
	s_delay_alu instid0(VALU_DEP_1) | instskip(NEXT) | instid1(VALU_DEP_1)
	v_pk_mul_f32 v[40:41], v[0:1], v[84:85] op_sel_hi:[0,1]
	v_pk_fma_f32 v[44:45], v[86:87], v[42:43], v[40:41] op_sel_hi:[0,1,1]
	v_pk_fma_f32 v[40:41], v[86:87], v[42:43], v[40:41] neg_lo:[0,0,1] neg_hi:[0,0,1]
	s_delay_alu instid0(VALU_DEP_2)
	v_mov_b32_e32 v41, v45
	ds_store_b64 v1, v[40:41] offset:27048
.LBB154_880:                            ;   in Loop: Header=BB154_3 Depth=1
	s_or_b32 exec_lo, exec_lo, s11
	v_mov_b32_e32 v41, 0
	s_wait_dscnt 0x0
	s_barrier_signal -1
	s_barrier_wait -1
	s_delay_alu instid0(VALU_DEP_1)
	v_mov_b32_e32 v40, v41
	s_and_saveexec_b32 s11, s1
	s_cbranch_execz .LBB154_884
; %bb.881:                              ;   in Loop: Header=BB154_3 Depth=1
	ds_load_b64 v[40:41], v48 offset:27056
	ds_load_b64 v[42:43], v49 offset:27040
	s_wait_dscnt 0x0
	v_dual_mul_f32 v0, v43, v41 :: v_dual_mul_f32 v45, v42, v41
	s_delay_alu instid0(VALU_DEP_1) | instskip(NEXT) | instid1(VALU_DEP_1)
	v_dual_fma_f32 v44, v42, v40, -v0 :: v_dual_fmac_f32 v45, v43, v40
	v_pk_add_f32 v[40:41], v[44:45], 0 op_sel_hi:[1,0]
	s_and_saveexec_b32 s6, s15
	s_cbranch_execz .LBB154_883
; %bb.882:                              ;   in Loop: Header=BB154_3 Depth=1
	ds_load_b64 v[42:43], v50 offset:27568
	ds_load_b64 v[44:45], v1 offset:27048
	s_wait_dscnt 0x0
	v_pk_mul_f32 v[84:85], v[44:45], v[42:43] op_sel:[1,1] op_sel_hi:[0,1]
	s_delay_alu instid0(VALU_DEP_1) | instskip(SKIP_1) | instid1(VALU_DEP_2)
	v_pk_fma_f32 v[86:87], v[44:45], v[42:43], v[84:85] op_sel_hi:[1,0,1]
	v_pk_fma_f32 v[42:43], v[44:45], v[42:43], v[84:85] neg_lo:[0,0,1] neg_hi:[0,0,1]
	v_mov_b32_e32 v43, v87
	s_delay_alu instid0(VALU_DEP_1)
	v_pk_add_f32 v[40:41], v[40:41], v[42:43]
.LBB154_883:                            ;   in Loop: Header=BB154_3 Depth=1
	s_or_b32 exec_lo, exec_lo, s6
	s_delay_alu instid0(VALU_DEP_1)
	v_pk_add_f32 v[40:41], v[40:41], 0 neg_lo:[1,1] neg_hi:[1,1]
.LBB154_884:                            ;   in Loop: Header=BB154_3 Depth=1
	s_or_b32 exec_lo, exec_lo, s11
	s_and_saveexec_b32 s6, s103
	s_cbranch_execz .LBB154_886
; %bb.885:                              ;   in Loop: Header=BB154_3 Depth=1
	ds_load_b64 v[42:43], v1 offset:28080
	s_wait_dscnt 0x0
	v_pk_mul_f32 v[44:45], v[40:41], v[42:43] op_sel:[1,1] op_sel_hi:[1,0]
	s_delay_alu instid0(VALU_DEP_1) | instskip(SKIP_1) | instid1(VALU_DEP_2)
	v_pk_fma_f32 v[84:85], v[40:41], v[42:43], v[44:45] op_sel_hi:[0,1,1]
	v_pk_fma_f32 v[42:43], v[40:41], v[42:43], v[44:45] neg_lo:[0,0,1] neg_hi:[0,0,1]
	v_mov_b32_e32 v43, v85
	s_delay_alu instid0(VALU_DEP_1)
	v_mov_b64_e32 v[40:41], v[42:43]
	ds_store_b64 v3, v[42:43]
.LBB154_886:                            ;   in Loop: Header=BB154_3 Depth=1
	s_or_b32 exec_lo, exec_lo, s6
	s_wait_dscnt 0x0
	s_barrier_signal -1
	s_barrier_wait -1
	s_and_saveexec_b32 s6, s104
	s_cbranch_execz .LBB154_888
; %bb.887:                              ;   in Loop: Header=BB154_3 Depth=1
	ds_load_b64 v[42:43], v1 offset:28088
	ds_load_b64 v[44:45], v3
	s_wait_dscnt 0x0
	v_pk_mul_f32 v[84:85], v[44:45], v[42:43] op_sel:[1,1] op_sel_hi:[0,1]
	s_delay_alu instid0(VALU_DEP_1) | instskip(SKIP_1) | instid1(VALU_DEP_2)
	v_pk_fma_f32 v[86:87], v[44:45], v[42:43], v[84:85] op_sel_hi:[1,0,1]
	v_pk_fma_f32 v[42:43], v[44:45], v[42:43], v[84:85] neg_lo:[0,0,1] neg_hi:[0,0,1]
	v_mov_b32_e32 v43, v87
	s_delay_alu instid0(VALU_DEP_1)
	v_pk_add_f32 v[40:41], v[40:41], v[42:43]
.LBB154_888:                            ;   in Loop: Header=BB154_3 Depth=1
	s_or_b32 exec_lo, exec_lo, s6
	s_barrier_signal -1
	s_barrier_wait -1
	s_and_saveexec_b32 s6, s104
	s_cbranch_execz .LBB154_890
; %bb.889:                              ;   in Loop: Header=BB154_3 Depth=1
	ds_load_b64 v[42:43], v1 offset:28600
	s_wait_dscnt 0x0
	v_pk_mul_f32 v[44:45], v[40:41], v[42:43] op_sel:[1,1] op_sel_hi:[1,0]
	s_delay_alu instid0(VALU_DEP_1) | instskip(SKIP_1) | instid1(VALU_DEP_2)
	v_pk_fma_f32 v[84:85], v[40:41], v[42:43], v[44:45] op_sel_hi:[0,1,1]
	v_pk_fma_f32 v[42:43], v[40:41], v[42:43], v[44:45] neg_lo:[0,0,1] neg_hi:[0,0,1]
	v_mov_b32_e32 v43, v85
	s_delay_alu instid0(VALU_DEP_1)
	v_mov_b64_e32 v[40:41], v[42:43]
	ds_store_b64 v3, v[42:43]
.LBB154_890:                            ;   in Loop: Header=BB154_3 Depth=1
	s_or_b32 exec_lo, exec_lo, s6
	s_wait_dscnt 0x0
	s_barrier_signal -1
	s_barrier_wait -1
	s_barrier_signal -1
	s_barrier_wait -1
	s_and_saveexec_b32 s6, s1
; %bb.891:                              ;   in Loop: Header=BB154_3 Depth=1
	v_pk_add_f32 v[40:41], v[40:41], 0 neg_lo:[1,1] neg_hi:[1,1]
	ds_store_b64 v48, v[40:41] offset:27056
; %bb.892:                              ;   in Loop: Header=BB154_3 Depth=1
	s_or_b32 exec_lo, exec_lo, s6
	s_wait_dscnt 0x0
	s_barrier_signal -1
	s_barrier_wait -1
	s_barrier_signal -1
	s_barrier_wait -1
	s_and_saveexec_b32 s11, s14
	s_cbranch_execz .LBB154_894
; %bb.893:                              ;   in Loop: Header=BB154_3 Depth=1
	ds_load_b128 v[40:43], v1 offset:28080
	ds_load_b64 v[44:45], v1 offset:28600
	s_wait_dscnt 0x1
	v_dual_mov_b32 v84, v43 :: v_dual_mov_b32 v85, v42
	s_wait_dscnt 0x0
	v_dual_mul_f32 v83, v45, v41 :: v_dual_mul_f32 v0, v44, v41
	s_delay_alu instid0(VALU_DEP_1) | instskip(NEXT) | instid1(VALU_DEP_1)
	v_xor_b32_e32 v86, 0x80000000, v83
	v_dual_fmac_f32 v0, v45, v40 :: v_dual_fmac_f32 v86, v44, v40
	s_delay_alu instid0(VALU_DEP_1) | instskip(NEXT) | instid1(VALU_DEP_1)
	v_pk_mul_f32 v[40:41], v[0:1], v[84:85] op_sel_hi:[0,1]
	v_pk_fma_f32 v[44:45], v[86:87], v[42:43], v[40:41] op_sel_hi:[0,1,1]
	v_pk_fma_f32 v[40:41], v[86:87], v[42:43], v[40:41] neg_lo:[0,0,1] neg_hi:[0,0,1]
	s_delay_alu instid0(VALU_DEP_2)
	v_mov_b32_e32 v41, v45
	ds_store_b64 v1, v[40:41] offset:28088
.LBB154_894:                            ;   in Loop: Header=BB154_3 Depth=1
	s_or_b32 exec_lo, exec_lo, s11
	v_mov_b32_e32 v40, 0
	s_wait_dscnt 0x0
	s_barrier_signal -1
	s_barrier_wait -1
	s_delay_alu instid0(VALU_DEP_1)
	v_mov_b32_e32 v41, v40
	s_and_saveexec_b32 s11, s3
	s_cbranch_execz .LBB154_904
; %bb.895:                              ;   in Loop: Header=BB154_3 Depth=1
	ds_load_b64 v[40:41], v59 offset:25024
	ds_load_b64 v[42:43], v56 offset:24960
	s_wait_dscnt 0x0
	v_dual_mul_f32 v0, v43, v41 :: v_dual_mul_f32 v44, v42, v41
	s_delay_alu instid0(VALU_DEP_1) | instskip(NEXT) | instid1(VALU_DEP_2)
	v_fma_f32 v0, v42, v40, -v0
	v_fmac_f32_e32 v44, v43, v40
	s_delay_alu instid0(VALU_DEP_2) | instskip(NEXT) | instid1(VALU_DEP_2)
	v_add_f32_e32 v41, 0, v0
	v_add_f32_e32 v40, 0, v44
	s_and_saveexec_b32 s6, s18
	s_cbranch_execnz .LBB154_1090
; %bb.896:                              ;   in Loop: Header=BB154_3 Depth=1
	s_or_b32 exec_lo, exec_lo, s6
	s_and_saveexec_b32 s6, s19
	s_cbranch_execnz .LBB154_1091
.LBB154_897:                            ;   in Loop: Header=BB154_3 Depth=1
	s_or_b32 exec_lo, exec_lo, s6
	s_and_saveexec_b32 s6, s20
	s_cbranch_execnz .LBB154_1092
.LBB154_898:                            ;   in Loop: Header=BB154_3 Depth=1
	s_or_b32 exec_lo, exec_lo, s6
	s_and_saveexec_b32 s6, s21
	s_cbranch_execnz .LBB154_1093
.LBB154_899:                            ;   in Loop: Header=BB154_3 Depth=1
	s_or_b32 exec_lo, exec_lo, s6
	s_and_saveexec_b32 s6, s22
	s_cbranch_execnz .LBB154_1094
.LBB154_900:                            ;   in Loop: Header=BB154_3 Depth=1
	s_or_b32 exec_lo, exec_lo, s6
	s_and_saveexec_b32 s6, s2
	s_cbranch_execnz .LBB154_1095
.LBB154_901:                            ;   in Loop: Header=BB154_3 Depth=1
	s_or_b32 exec_lo, exec_lo, s6
	s_and_saveexec_b32 s6, s17
	s_cbranch_execz .LBB154_903
.LBB154_902:                            ;   in Loop: Header=BB154_3 Depth=1
	ds_load_b64 v[42:43], v50 offset:28608
	ds_load_b64 v[44:45], v1 offset:25016
	s_wait_dscnt 0x0
	v_pk_mul_f32 v[84:85], v[44:45], v[42:43] op_sel:[0,1]
	s_delay_alu instid0(VALU_DEP_1) | instskip(SKIP_1) | instid1(VALU_DEP_2)
	v_pk_fma_f32 v[86:87], v[44:45], v[42:43], v[84:85] op_sel:[1,0,0] op_sel_hi:[0,0,1] neg_lo:[0,0,1] neg_hi:[0,0,1]
	v_pk_fma_f32 v[42:43], v[44:45], v[42:43], v[84:85] op_sel:[1,0,0] op_sel_hi:[0,1,1]
	v_mov_b32_e32 v43, v87
	s_delay_alu instid0(VALU_DEP_1)
	v_pk_add_f32 v[40:41], v[40:41], v[42:43]
.LBB154_903:                            ;   in Loop: Header=BB154_3 Depth=1
	s_or_b32 exec_lo, exec_lo, s6
	s_delay_alu instid0(VALU_DEP_1) | instskip(NEXT) | instid1(VALU_DEP_1)
	v_pk_add_f32 v[42:43], v[40:41], 0 neg_lo:[1,1] neg_hi:[1,1]
	v_dual_mov_b32 v40, v43 :: v_dual_mov_b32 v41, v42
.LBB154_904:                            ;   in Loop: Header=BB154_3 Depth=1
	s_or_b32 exec_lo, exec_lo, s11
	s_and_saveexec_b32 s6, s48
	s_cbranch_execz .LBB154_906
; %bb.905:                              ;   in Loop: Header=BB154_3 Depth=1
	ds_load_b64 v[42:43], v1 offset:29120
	v_dual_mov_b32 v44, v41 :: v_dual_mov_b32 v45, v40
	s_wait_dscnt 0x0
	s_delay_alu instid0(VALU_DEP_1) | instskip(NEXT) | instid1(VALU_DEP_1)
	v_dual_mul_f32 v0, v44, v42 :: v_dual_mul_f32 v84, v41, v43
	v_pk_fma_f32 v[44:45], v[44:45], v[42:43], v[0:1] op_sel_hi:[1,1,0]
	s_delay_alu instid0(VALU_DEP_2) | instskip(NEXT) | instid1(VALU_DEP_2)
	v_pk_fma_f32 v[40:41], v[40:41], v[42:43], v[84:85] op_sel_hi:[1,1,0] neg_lo:[0,0,1] neg_hi:[0,0,1]
	v_mov_b32_e32 v41, v45
	ds_store_b64 v58, v[40:41]
.LBB154_906:                            ;   in Loop: Header=BB154_3 Depth=1
	s_or_b32 exec_lo, exec_lo, s6
	s_wait_dscnt 0x0
	s_barrier_signal -1
	s_barrier_wait -1
	s_and_saveexec_b32 s6, s49
	s_cbranch_execz .LBB154_908
; %bb.907:                              ;   in Loop: Header=BB154_3 Depth=1
	ds_load_b64 v[42:43], v57 offset:29120
	ds_load_b64 v[44:45], v58
	s_wait_dscnt 0x0
	v_dual_mul_f32 v0, v45, v43 :: v_dual_mul_f32 v85, v44, v43
	s_delay_alu instid0(VALU_DEP_1) | instskip(NEXT) | instid1(VALU_DEP_1)
	v_dual_fma_f32 v84, v44, v42, -v0 :: v_dual_fmac_f32 v85, v45, v42
	v_pk_add_f32 v[40:41], v[40:41], v[84:85]
.LBB154_908:                            ;   in Loop: Header=BB154_3 Depth=1
	s_or_b32 exec_lo, exec_lo, s6
	s_barrier_signal -1
	s_barrier_wait -1
	s_and_saveexec_b32 s6, s50
	s_cbranch_execz .LBB154_910
; %bb.909:                              ;   in Loop: Header=BB154_3 Depth=1
	ds_load_b64 v[42:43], v1 offset:29640
	s_wait_dscnt 0x0
	v_pk_mul_f32 v[44:45], v[40:41], v[42:43] op_sel:[1,1] op_sel_hi:[1,0]
	s_delay_alu instid0(VALU_DEP_1) | instskip(SKIP_1) | instid1(VALU_DEP_2)
	v_pk_fma_f32 v[84:85], v[40:41], v[42:43], v[44:45] op_sel_hi:[0,1,1]
	v_pk_fma_f32 v[40:41], v[40:41], v[42:43], v[44:45] op_sel_hi:[0,1,1] neg_lo:[0,0,1] neg_hi:[0,0,1]
	v_mov_b32_e32 v41, v85
	ds_store_b64 v58, v[40:41]
.LBB154_910:                            ;   in Loop: Header=BB154_3 Depth=1
	s_or_b32 exec_lo, exec_lo, s6
	s_wait_dscnt 0x0
	s_barrier_signal -1
	s_barrier_wait -1
	s_and_saveexec_b32 s6, s51
	s_cbranch_execz .LBB154_912
; %bb.911:                              ;   in Loop: Header=BB154_3 Depth=1
	ds_load_b64 v[42:43], v57 offset:29632
	ds_load_b64 v[44:45], v58
	s_wait_dscnt 0x0
	v_pk_mul_f32 v[84:85], v[44:45], v[42:43] op_sel:[1,1] op_sel_hi:[0,1]
	s_delay_alu instid0(VALU_DEP_1) | instskip(SKIP_1) | instid1(VALU_DEP_2)
	v_pk_fma_f32 v[86:87], v[44:45], v[42:43], v[84:85] op_sel_hi:[1,0,1]
	v_pk_fma_f32 v[42:43], v[44:45], v[42:43], v[84:85] op_sel_hi:[1,0,1] neg_lo:[0,0,1] neg_hi:[0,0,1]
	v_mov_b32_e32 v43, v87
	s_delay_alu instid0(VALU_DEP_1)
	v_pk_add_f32 v[40:41], v[40:41], v[42:43]
.LBB154_912:                            ;   in Loop: Header=BB154_3 Depth=1
	s_or_b32 exec_lo, exec_lo, s6
	s_barrier_signal -1
	s_barrier_wait -1
	s_and_saveexec_b32 s6, s52
	s_cbranch_execz .LBB154_914
; %bb.913:                              ;   in Loop: Header=BB154_3 Depth=1
	ds_load_b64 v[42:43], v1 offset:30160
	s_wait_dscnt 0x0
	v_pk_mul_f32 v[44:45], v[40:41], v[42:43] op_sel:[1,1] op_sel_hi:[1,0]
	s_delay_alu instid0(VALU_DEP_1) | instskip(SKIP_1) | instid1(VALU_DEP_2)
	v_pk_fma_f32 v[84:85], v[40:41], v[42:43], v[44:45] op_sel_hi:[0,1,1]
	v_pk_fma_f32 v[40:41], v[40:41], v[42:43], v[44:45] op_sel_hi:[0,1,1] neg_lo:[0,0,1] neg_hi:[0,0,1]
	v_mov_b32_e32 v41, v85
	ds_store_b64 v58, v[40:41]
.LBB154_914:                            ;   in Loop: Header=BB154_3 Depth=1
	s_or_b32 exec_lo, exec_lo, s6
	s_wait_dscnt 0x0
	s_barrier_signal -1
	s_barrier_wait -1
	s_and_saveexec_b32 s6, s53
	s_cbranch_execz .LBB154_916
; %bb.915:                              ;   in Loop: Header=BB154_3 Depth=1
	ds_load_b64 v[42:43], v57 offset:30144
	ds_load_b64 v[44:45], v58
	s_wait_dscnt 0x0
	v_pk_mul_f32 v[84:85], v[44:45], v[42:43] op_sel:[1,1] op_sel_hi:[0,1]
	s_delay_alu instid0(VALU_DEP_1) | instskip(SKIP_1) | instid1(VALU_DEP_2)
	v_pk_fma_f32 v[86:87], v[44:45], v[42:43], v[84:85] op_sel_hi:[1,0,1]
	v_pk_fma_f32 v[42:43], v[44:45], v[42:43], v[84:85] op_sel_hi:[1,0,1] neg_lo:[0,0,1] neg_hi:[0,0,1]
	v_mov_b32_e32 v43, v87
	s_delay_alu instid0(VALU_DEP_1)
	v_pk_add_f32 v[40:41], v[40:41], v[42:43]
.LBB154_916:                            ;   in Loop: Header=BB154_3 Depth=1
	;; [unrolled: 33-line block ×3, first 2 shown]
	s_or_b32 exec_lo, exec_lo, s6
	s_barrier_signal -1
	s_barrier_wait -1
	s_and_saveexec_b32 s6, s56
	s_cbranch_execz .LBB154_922
; %bb.921:                              ;   in Loop: Header=BB154_3 Depth=1
	ds_load_b64 v[42:43], v1 offset:31200
	s_wait_dscnt 0x0
	v_dual_mul_f32 v0, v40, v43 :: v_dual_mul_f32 v44, v41, v43
	s_delay_alu instid0(VALU_DEP_1) | instskip(NEXT) | instid1(VALU_DEP_2)
	v_pk_fma_f32 v[84:85], v[40:41], v[42:43], v[0:1] op_sel:[0,1,0] op_sel_hi:[1,0,0]
	v_pk_fma_f32 v[42:43], v[40:41], v[42:43], v[44:45] op_sel_hi:[1,1,0] neg_lo:[0,0,1] neg_hi:[0,0,1]
	s_delay_alu instid0(VALU_DEP_2) | instskip(NEXT) | instid1(VALU_DEP_1)
	v_mov_b32_e32 v43, v85
	v_mov_b64_e32 v[40:41], v[42:43]
	ds_store_b64 v58, v[42:43]
.LBB154_922:                            ;   in Loop: Header=BB154_3 Depth=1
	s_or_b32 exec_lo, exec_lo, s6
	s_wait_dscnt 0x0
	s_barrier_signal -1
	s_barrier_wait -1
	s_and_saveexec_b32 s6, s57
	s_cbranch_execz .LBB154_924
; %bb.923:                              ;   in Loop: Header=BB154_3 Depth=1
	ds_load_b64 v[42:43], v57 offset:31168
	ds_load_b64 v[44:45], v58
	s_wait_dscnt 0x0
	v_dual_mul_f32 v0, v45, v43 :: v_dual_mul_f32 v85, v44, v43
	s_delay_alu instid0(VALU_DEP_1) | instskip(NEXT) | instid1(VALU_DEP_1)
	v_dual_fma_f32 v84, v44, v42, -v0 :: v_dual_fmac_f32 v85, v45, v42
	v_pk_add_f32 v[40:41], v[40:41], v[84:85]
.LBB154_924:                            ;   in Loop: Header=BB154_3 Depth=1
	s_or_b32 exec_lo, exec_lo, s6
	s_barrier_signal -1
	s_barrier_wait -1
	s_and_saveexec_b32 s6, s58
	s_cbranch_execz .LBB154_926
; %bb.925:                              ;   in Loop: Header=BB154_3 Depth=1
	ds_load_b64 v[42:43], v1 offset:31720
	s_wait_dscnt 0x0
	v_pk_mul_f32 v[44:45], v[40:41], v[42:43] op_sel:[1,1] op_sel_hi:[1,0]
	s_delay_alu instid0(VALU_DEP_1) | instskip(SKIP_1) | instid1(VALU_DEP_2)
	v_pk_fma_f32 v[84:85], v[40:41], v[42:43], v[44:45] op_sel_hi:[0,1,1]
	v_pk_fma_f32 v[42:43], v[40:41], v[42:43], v[44:45] neg_lo:[0,0,1] neg_hi:[0,0,1]
	v_mov_b32_e32 v43, v85
	s_delay_alu instid0(VALU_DEP_1)
	v_mov_b64_e32 v[40:41], v[42:43]
	ds_store_b64 v58, v[42:43]
.LBB154_926:                            ;   in Loop: Header=BB154_3 Depth=1
	s_or_b32 exec_lo, exec_lo, s6
	s_wait_dscnt 0x0
	s_barrier_signal -1
	s_barrier_wait -1
	s_and_saveexec_b32 s6, s59
	s_cbranch_execz .LBB154_928
; %bb.927:                              ;   in Loop: Header=BB154_3 Depth=1
	ds_load_b64 v[42:43], v57 offset:31680
	ds_load_b64 v[44:45], v58
	s_wait_dscnt 0x0
	v_pk_mul_f32 v[84:85], v[44:45], v[42:43] op_sel:[1,1] op_sel_hi:[0,1]
	s_delay_alu instid0(VALU_DEP_1) | instskip(SKIP_1) | instid1(VALU_DEP_2)
	v_pk_fma_f32 v[86:87], v[44:45], v[42:43], v[84:85] op_sel_hi:[1,0,1]
	v_pk_fma_f32 v[42:43], v[44:45], v[42:43], v[84:85] neg_lo:[0,0,1] neg_hi:[0,0,1]
	v_mov_b32_e32 v43, v87
	s_delay_alu instid0(VALU_DEP_1)
	v_pk_add_f32 v[40:41], v[40:41], v[42:43]
.LBB154_928:                            ;   in Loop: Header=BB154_3 Depth=1
	s_or_b32 exec_lo, exec_lo, s6
	s_barrier_signal -1
	s_barrier_wait -1
	s_and_saveexec_b32 s6, s60
	s_cbranch_execz .LBB154_930
; %bb.929:                              ;   in Loop: Header=BB154_3 Depth=1
	ds_load_b64 v[42:43], v1 offset:32240
	s_wait_dscnt 0x0
	v_pk_mul_f32 v[44:45], v[40:41], v[42:43] op_sel:[1,1] op_sel_hi:[1,0]
	s_delay_alu instid0(VALU_DEP_1) | instskip(SKIP_1) | instid1(VALU_DEP_2)
	v_pk_fma_f32 v[84:85], v[40:41], v[42:43], v[44:45] op_sel_hi:[0,1,1]
	v_pk_fma_f32 v[42:43], v[40:41], v[42:43], v[44:45] neg_lo:[0,0,1] neg_hi:[0,0,1]
	v_mov_b32_e32 v43, v85
	s_delay_alu instid0(VALU_DEP_1)
	v_mov_b64_e32 v[40:41], v[42:43]
	ds_store_b64 v58, v[42:43]
.LBB154_930:                            ;   in Loop: Header=BB154_3 Depth=1
	s_or_b32 exec_lo, exec_lo, s6
	s_wait_dscnt 0x0
	s_barrier_signal -1
	s_barrier_wait -1
	s_and_saveexec_b32 s6, s61
	s_cbranch_execz .LBB154_932
; %bb.931:                              ;   in Loop: Header=BB154_3 Depth=1
	ds_load_b64 v[42:43], v1 offset:32248
	ds_load_b64 v[44:45], v58
	s_wait_dscnt 0x0
	v_pk_mul_f32 v[84:85], v[44:45], v[42:43] op_sel:[1,1] op_sel_hi:[0,1]
	s_delay_alu instid0(VALU_DEP_1) | instskip(SKIP_1) | instid1(VALU_DEP_2)
	v_pk_fma_f32 v[86:87], v[44:45], v[42:43], v[84:85] op_sel_hi:[1,0,1]
	v_pk_fma_f32 v[42:43], v[44:45], v[42:43], v[84:85] neg_lo:[0,0,1] neg_hi:[0,0,1]
	v_mov_b32_e32 v43, v87
	s_delay_alu instid0(VALU_DEP_1)
	v_pk_add_f32 v[40:41], v[40:41], v[42:43]
.LBB154_932:                            ;   in Loop: Header=BB154_3 Depth=1
	s_or_b32 exec_lo, exec_lo, s6
	s_barrier_signal -1
	s_barrier_wait -1
	s_and_saveexec_b32 s6, s61
	s_cbranch_execz .LBB154_934
; %bb.933:                              ;   in Loop: Header=BB154_3 Depth=1
	ds_load_b64 v[42:43], v1 offset:32760
	s_wait_dscnt 0x0
	v_pk_mul_f32 v[44:45], v[40:41], v[42:43] op_sel:[1,1] op_sel_hi:[1,0]
	s_delay_alu instid0(VALU_DEP_1) | instskip(SKIP_1) | instid1(VALU_DEP_2)
	v_pk_fma_f32 v[84:85], v[40:41], v[42:43], v[44:45] op_sel_hi:[0,1,1]
	v_pk_fma_f32 v[42:43], v[40:41], v[42:43], v[44:45] neg_lo:[0,0,1] neg_hi:[0,0,1]
	v_mov_b32_e32 v43, v85
	s_delay_alu instid0(VALU_DEP_1)
	v_mov_b64_e32 v[40:41], v[42:43]
	ds_store_b64 v58, v[42:43]
.LBB154_934:                            ;   in Loop: Header=BB154_3 Depth=1
	s_or_b32 exec_lo, exec_lo, s6
	s_wait_dscnt 0x0
	s_barrier_signal -1
	s_barrier_wait -1
	s_barrier_signal -1
	s_barrier_wait -1
	s_and_saveexec_b32 s6, s3
; %bb.935:                              ;   in Loop: Header=BB154_3 Depth=1
	v_pk_add_f32 v[40:41], v[40:41], 0 neg_lo:[1,1] neg_hi:[1,1]
	ds_store_b64 v59, v[40:41] offset:25024
; %bb.936:                              ;   in Loop: Header=BB154_3 Depth=1
	s_or_b32 exec_lo, exec_lo, s6
	s_wait_dscnt 0x0
	s_barrier_signal -1
	s_barrier_wait -1
	s_barrier_signal -1
	s_barrier_wait -1
	s_and_saveexec_b32 s11, s14
	s_cbranch_execz .LBB154_938
; %bb.937:                              ;   in Loop: Header=BB154_3 Depth=1
	ds_load_b128 v[40:43], v1 offset:29120
	ds_load_b64 v[44:45], v1 offset:29640
	s_wait_dscnt 0x1
	v_dual_mov_b32 v84, v43 :: v_dual_mov_b32 v85, v42
	s_wait_dscnt 0x0
	v_dual_mul_f32 v83, v45, v41 :: v_dual_mul_f32 v0, v44, v41
	s_delay_alu instid0(VALU_DEP_1) | instskip(NEXT) | instid1(VALU_DEP_1)
	v_xor_b32_e32 v86, 0x80000000, v83
	v_dual_fmac_f32 v0, v45, v40 :: v_dual_fmac_f32 v86, v44, v40
	s_delay_alu instid0(VALU_DEP_1) | instskip(NEXT) | instid1(VALU_DEP_1)
	v_pk_mul_f32 v[40:41], v[0:1], v[84:85] op_sel_hi:[0,1]
	v_pk_fma_f32 v[44:45], v[86:87], v[42:43], v[40:41] op_sel_hi:[0,1,1]
	v_pk_fma_f32 v[40:41], v[86:87], v[42:43], v[40:41] neg_lo:[0,0,1] neg_hi:[0,0,1]
	s_delay_alu instid0(VALU_DEP_2)
	v_mov_b32_e32 v41, v45
	ds_store_b64 v1, v[40:41] offset:29128
.LBB154_938:                            ;   in Loop: Header=BB154_3 Depth=1
	s_or_b32 exec_lo, exec_lo, s11
	v_mov_b32_e32 v41, 0
	s_wait_dscnt 0x0
	s_barrier_signal -1
	s_barrier_wait -1
	s_delay_alu instid0(VALU_DEP_1)
	v_mov_b32_e32 v40, v41
	s_and_saveexec_b32 s11, s1
	s_cbranch_execz .LBB154_942
; %bb.939:                              ;   in Loop: Header=BB154_3 Depth=1
	ds_load_b64 v[40:41], v48 offset:29136
	ds_load_b64 v[42:43], v49 offset:29120
	s_wait_dscnt 0x0
	v_dual_mul_f32 v0, v43, v41 :: v_dual_mul_f32 v45, v42, v41
	s_delay_alu instid0(VALU_DEP_1) | instskip(NEXT) | instid1(VALU_DEP_1)
	v_dual_fma_f32 v44, v42, v40, -v0 :: v_dual_fmac_f32 v45, v43, v40
	v_pk_add_f32 v[40:41], v[44:45], 0 op_sel_hi:[1,0]
	s_and_saveexec_b32 s6, s15
	s_cbranch_execz .LBB154_941
; %bb.940:                              ;   in Loop: Header=BB154_3 Depth=1
	ds_load_b64 v[42:43], v50 offset:29648
	ds_load_b64 v[44:45], v1 offset:29128
	s_wait_dscnt 0x0
	v_pk_mul_f32 v[84:85], v[44:45], v[42:43] op_sel:[1,1] op_sel_hi:[0,1]
	s_delay_alu instid0(VALU_DEP_1) | instskip(SKIP_1) | instid1(VALU_DEP_2)
	v_pk_fma_f32 v[86:87], v[44:45], v[42:43], v[84:85] op_sel_hi:[1,0,1]
	v_pk_fma_f32 v[42:43], v[44:45], v[42:43], v[84:85] neg_lo:[0,0,1] neg_hi:[0,0,1]
	v_mov_b32_e32 v43, v87
	s_delay_alu instid0(VALU_DEP_1)
	v_pk_add_f32 v[40:41], v[40:41], v[42:43]
.LBB154_941:                            ;   in Loop: Header=BB154_3 Depth=1
	s_or_b32 exec_lo, exec_lo, s6
	s_delay_alu instid0(VALU_DEP_1)
	v_pk_add_f32 v[40:41], v[40:41], 0 neg_lo:[1,1] neg_hi:[1,1]
.LBB154_942:                            ;   in Loop: Header=BB154_3 Depth=1
	s_or_b32 exec_lo, exec_lo, s11
	s_and_saveexec_b32 s6, s103
	s_cbranch_execz .LBB154_944
; %bb.943:                              ;   in Loop: Header=BB154_3 Depth=1
	ds_load_b64 v[42:43], v1 offset:30160
	s_wait_dscnt 0x0
	v_pk_mul_f32 v[44:45], v[40:41], v[42:43] op_sel:[1,1] op_sel_hi:[1,0]
	s_delay_alu instid0(VALU_DEP_1) | instskip(SKIP_1) | instid1(VALU_DEP_2)
	v_pk_fma_f32 v[84:85], v[40:41], v[42:43], v[44:45] op_sel_hi:[0,1,1]
	v_pk_fma_f32 v[42:43], v[40:41], v[42:43], v[44:45] neg_lo:[0,0,1] neg_hi:[0,0,1]
	v_mov_b32_e32 v43, v85
	s_delay_alu instid0(VALU_DEP_1)
	v_mov_b64_e32 v[40:41], v[42:43]
	ds_store_b64 v3, v[42:43]
.LBB154_944:                            ;   in Loop: Header=BB154_3 Depth=1
	s_or_b32 exec_lo, exec_lo, s6
	s_wait_dscnt 0x0
	s_barrier_signal -1
	s_barrier_wait -1
	s_and_saveexec_b32 s6, s104
	s_cbranch_execz .LBB154_946
; %bb.945:                              ;   in Loop: Header=BB154_3 Depth=1
	ds_load_b64 v[42:43], v1 offset:30168
	ds_load_b64 v[44:45], v3
	s_wait_dscnt 0x0
	v_pk_mul_f32 v[84:85], v[44:45], v[42:43] op_sel:[1,1] op_sel_hi:[0,1]
	s_delay_alu instid0(VALU_DEP_1) | instskip(SKIP_1) | instid1(VALU_DEP_2)
	v_pk_fma_f32 v[86:87], v[44:45], v[42:43], v[84:85] op_sel_hi:[1,0,1]
	v_pk_fma_f32 v[42:43], v[44:45], v[42:43], v[84:85] neg_lo:[0,0,1] neg_hi:[0,0,1]
	v_mov_b32_e32 v43, v87
	s_delay_alu instid0(VALU_DEP_1)
	v_pk_add_f32 v[40:41], v[40:41], v[42:43]
.LBB154_946:                            ;   in Loop: Header=BB154_3 Depth=1
	s_or_b32 exec_lo, exec_lo, s6
	s_barrier_signal -1
	s_barrier_wait -1
	s_and_saveexec_b32 s6, s104
	s_cbranch_execz .LBB154_948
; %bb.947:                              ;   in Loop: Header=BB154_3 Depth=1
	ds_load_b64 v[42:43], v1 offset:30680
	s_wait_dscnt 0x0
	v_pk_mul_f32 v[44:45], v[40:41], v[42:43] op_sel:[1,1] op_sel_hi:[1,0]
	s_delay_alu instid0(VALU_DEP_1) | instskip(SKIP_1) | instid1(VALU_DEP_2)
	v_pk_fma_f32 v[84:85], v[40:41], v[42:43], v[44:45] op_sel_hi:[0,1,1]
	v_pk_fma_f32 v[42:43], v[40:41], v[42:43], v[44:45] neg_lo:[0,0,1] neg_hi:[0,0,1]
	v_mov_b32_e32 v43, v85
	s_delay_alu instid0(VALU_DEP_1)
	v_mov_b64_e32 v[40:41], v[42:43]
	ds_store_b64 v3, v[42:43]
.LBB154_948:                            ;   in Loop: Header=BB154_3 Depth=1
	s_or_b32 exec_lo, exec_lo, s6
	s_wait_dscnt 0x0
	s_barrier_signal -1
	s_barrier_wait -1
	s_barrier_signal -1
	s_barrier_wait -1
	s_and_saveexec_b32 s6, s1
; %bb.949:                              ;   in Loop: Header=BB154_3 Depth=1
	v_pk_add_f32 v[40:41], v[40:41], 0 neg_lo:[1,1] neg_hi:[1,1]
	ds_store_b64 v48, v[40:41] offset:29136
; %bb.950:                              ;   in Loop: Header=BB154_3 Depth=1
	s_or_b32 exec_lo, exec_lo, s6
	s_wait_dscnt 0x0
	s_barrier_signal -1
	s_barrier_wait -1
	s_barrier_signal -1
	s_barrier_wait -1
	s_and_saveexec_b32 s11, s14
	s_cbranch_execz .LBB154_952
; %bb.951:                              ;   in Loop: Header=BB154_3 Depth=1
	ds_load_b128 v[40:43], v1 offset:30160
	ds_load_b64 v[44:45], v1 offset:30680
	s_wait_dscnt 0x1
	v_dual_mov_b32 v84, v43 :: v_dual_mov_b32 v85, v42
	s_wait_dscnt 0x0
	v_dual_mul_f32 v83, v45, v41 :: v_dual_mul_f32 v0, v44, v41
	s_delay_alu instid0(VALU_DEP_1) | instskip(NEXT) | instid1(VALU_DEP_1)
	v_xor_b32_e32 v86, 0x80000000, v83
	v_dual_fmac_f32 v0, v45, v40 :: v_dual_fmac_f32 v86, v44, v40
	s_delay_alu instid0(VALU_DEP_1) | instskip(NEXT) | instid1(VALU_DEP_1)
	v_pk_mul_f32 v[40:41], v[0:1], v[84:85] op_sel_hi:[0,1]
	v_pk_fma_f32 v[44:45], v[86:87], v[42:43], v[40:41] op_sel_hi:[0,1,1]
	v_pk_fma_f32 v[40:41], v[86:87], v[42:43], v[40:41] neg_lo:[0,0,1] neg_hi:[0,0,1]
	s_delay_alu instid0(VALU_DEP_2)
	v_mov_b32_e32 v41, v45
	ds_store_b64 v1, v[40:41] offset:30168
.LBB154_952:                            ;   in Loop: Header=BB154_3 Depth=1
	s_or_b32 exec_lo, exec_lo, s11
	v_mov_b32_e32 v40, 0
	s_wait_dscnt 0x0
	s_barrier_signal -1
	s_barrier_wait -1
	s_delay_alu instid0(VALU_DEP_1)
	v_mov_b32_e32 v41, v40
	s_and_saveexec_b32 s11, s2
	s_cbranch_execz .LBB154_958
; %bb.953:                              ;   in Loop: Header=BB154_3 Depth=1
	ds_load_b64 v[40:41], v54 offset:29152
	ds_load_b64 v[42:43], v52 offset:29120
	s_wait_dscnt 0x0
	v_pk_mul_f32 v[44:45], v[42:43], v[40:41] op_sel:[0,1]
	s_delay_alu instid0(VALU_DEP_1) | instskip(SKIP_1) | instid1(VALU_DEP_2)
	v_pk_fma_f32 v[84:85], v[42:43], v[40:41], v[44:45] op_sel:[1,0,0] op_sel_hi:[0,0,1] neg_lo:[0,0,1] neg_hi:[0,0,1]
	v_pk_fma_f32 v[40:41], v[42:43], v[40:41], v[44:45] op_sel:[1,0,0] op_sel_hi:[0,1,1]
	v_mov_b32_e32 v41, v85
	s_delay_alu instid0(VALU_DEP_1)
	v_pk_add_f32 v[40:41], v[40:41], 0 op_sel_hi:[1,0]
	s_and_saveexec_b32 s6, s16
	s_cbranch_execnz .LBB154_1096
; %bb.954:                              ;   in Loop: Header=BB154_3 Depth=1
	s_or_b32 exec_lo, exec_lo, s6
	s_and_saveexec_b32 s6, s17
	s_cbranch_execnz .LBB154_1097
.LBB154_955:                            ;   in Loop: Header=BB154_3 Depth=1
	s_or_b32 exec_lo, exec_lo, s6
	s_and_saveexec_b32 s6, s1
	s_cbranch_execz .LBB154_957
.LBB154_956:                            ;   in Loop: Header=BB154_3 Depth=1
	ds_load_b64 v[42:43], v50 offset:30688
	ds_load_b64 v[44:45], v1 offset:29144
	s_wait_dscnt 0x0
	v_pk_mul_f32 v[84:85], v[44:45], v[42:43] op_sel:[0,1]
	s_delay_alu instid0(VALU_DEP_1) | instskip(SKIP_1) | instid1(VALU_DEP_2)
	v_pk_fma_f32 v[86:87], v[44:45], v[42:43], v[84:85] op_sel:[1,0,0] op_sel_hi:[0,0,1] neg_lo:[0,0,1] neg_hi:[0,0,1]
	v_pk_fma_f32 v[42:43], v[44:45], v[42:43], v[84:85] op_sel:[1,0,0] op_sel_hi:[0,1,1]
	v_mov_b32_e32 v43, v87
	s_delay_alu instid0(VALU_DEP_1)
	v_pk_add_f32 v[40:41], v[40:41], v[42:43]
.LBB154_957:                            ;   in Loop: Header=BB154_3 Depth=1
	s_or_b32 exec_lo, exec_lo, s6
	s_delay_alu instid0(VALU_DEP_1) | instskip(NEXT) | instid1(VALU_DEP_1)
	v_pk_add_f32 v[42:43], v[40:41], 0 neg_lo:[1,1] neg_hi:[1,1]
	v_dual_mov_b32 v40, v43 :: v_dual_mov_b32 v41, v42
.LBB154_958:                            ;   in Loop: Header=BB154_3 Depth=1
	s_or_b32 exec_lo, exec_lo, s11
	s_and_saveexec_b32 s6, vcc_hi
	s_cbranch_execz .LBB154_960
; %bb.959:                              ;   in Loop: Header=BB154_3 Depth=1
	ds_load_b64 v[42:43], v1 offset:31200
	v_dual_mov_b32 v44, v41 :: v_dual_mov_b32 v45, v40
	s_wait_dscnt 0x0
	s_delay_alu instid0(VALU_DEP_1) | instskip(NEXT) | instid1(VALU_DEP_1)
	v_dual_mul_f32 v0, v44, v42 :: v_dual_mul_f32 v84, v41, v43
	v_pk_fma_f32 v[44:45], v[44:45], v[42:43], v[0:1] op_sel_hi:[1,1,0]
	s_delay_alu instid0(VALU_DEP_2) | instskip(NEXT) | instid1(VALU_DEP_2)
	v_pk_fma_f32 v[40:41], v[40:41], v[42:43], v[84:85] op_sel_hi:[1,1,0] neg_lo:[0,0,1] neg_hi:[0,0,1]
	v_mov_b32_e32 v41, v45
	ds_store_b64 v53, v[40:41]
.LBB154_960:                            ;   in Loop: Header=BB154_3 Depth=1
	s_or_b32 exec_lo, exec_lo, s6
	s_wait_dscnt 0x0
	s_barrier_signal -1
	s_barrier_wait -1
	s_and_saveexec_b32 s6, s43
	s_cbranch_execz .LBB154_962
; %bb.961:                              ;   in Loop: Header=BB154_3 Depth=1
	ds_load_b64 v[42:43], v51 offset:31200
	ds_load_b64 v[44:45], v53
	s_wait_dscnt 0x0
	v_dual_mul_f32 v0, v45, v43 :: v_dual_mul_f32 v85, v44, v43
	s_delay_alu instid0(VALU_DEP_1) | instskip(NEXT) | instid1(VALU_DEP_1)
	v_dual_fma_f32 v84, v44, v42, -v0 :: v_dual_fmac_f32 v85, v45, v42
	v_pk_add_f32 v[40:41], v[40:41], v[84:85]
.LBB154_962:                            ;   in Loop: Header=BB154_3 Depth=1
	s_or_b32 exec_lo, exec_lo, s6
	s_barrier_signal -1
	s_barrier_wait -1
	s_and_saveexec_b32 s6, s44
	s_cbranch_execz .LBB154_964
; %bb.963:                              ;   in Loop: Header=BB154_3 Depth=1
	ds_load_b64 v[42:43], v1 offset:31720
	s_wait_dscnt 0x0
	v_pk_mul_f32 v[44:45], v[40:41], v[42:43] op_sel:[1,1] op_sel_hi:[1,0]
	s_delay_alu instid0(VALU_DEP_1) | instskip(SKIP_1) | instid1(VALU_DEP_2)
	v_pk_fma_f32 v[84:85], v[40:41], v[42:43], v[44:45] op_sel_hi:[0,1,1]
	v_pk_fma_f32 v[42:43], v[40:41], v[42:43], v[44:45] neg_lo:[0,0,1] neg_hi:[0,0,1]
	v_mov_b32_e32 v43, v85
	s_delay_alu instid0(VALU_DEP_1)
	v_mov_b64_e32 v[40:41], v[42:43]
	ds_store_b64 v53, v[42:43]
.LBB154_964:                            ;   in Loop: Header=BB154_3 Depth=1
	s_or_b32 exec_lo, exec_lo, s6
	s_wait_dscnt 0x0
	s_barrier_signal -1
	s_barrier_wait -1
	s_and_saveexec_b32 s6, s45
	s_cbranch_execz .LBB154_966
; %bb.965:                              ;   in Loop: Header=BB154_3 Depth=1
	ds_load_b64 v[42:43], v51 offset:31712
	ds_load_b64 v[44:45], v53
	s_wait_dscnt 0x0
	v_pk_mul_f32 v[84:85], v[44:45], v[42:43] op_sel:[1,1] op_sel_hi:[0,1]
	s_delay_alu instid0(VALU_DEP_1) | instskip(SKIP_1) | instid1(VALU_DEP_2)
	v_pk_fma_f32 v[86:87], v[44:45], v[42:43], v[84:85] op_sel_hi:[1,0,1]
	v_pk_fma_f32 v[42:43], v[44:45], v[42:43], v[84:85] neg_lo:[0,0,1] neg_hi:[0,0,1]
	v_mov_b32_e32 v43, v87
	s_delay_alu instid0(VALU_DEP_1)
	v_pk_add_f32 v[40:41], v[40:41], v[42:43]
.LBB154_966:                            ;   in Loop: Header=BB154_3 Depth=1
	s_or_b32 exec_lo, exec_lo, s6
	s_barrier_signal -1
	s_barrier_wait -1
	s_and_saveexec_b32 s6, s46
	s_cbranch_execz .LBB154_968
; %bb.967:                              ;   in Loop: Header=BB154_3 Depth=1
	ds_load_b64 v[42:43], v1 offset:32240
	s_wait_dscnt 0x0
	v_pk_mul_f32 v[44:45], v[40:41], v[42:43] op_sel:[1,1] op_sel_hi:[1,0]
	s_delay_alu instid0(VALU_DEP_1) | instskip(SKIP_1) | instid1(VALU_DEP_2)
	v_pk_fma_f32 v[84:85], v[40:41], v[42:43], v[44:45] op_sel_hi:[0,1,1]
	v_pk_fma_f32 v[42:43], v[40:41], v[42:43], v[44:45] neg_lo:[0,0,1] neg_hi:[0,0,1]
	v_mov_b32_e32 v43, v85
	s_delay_alu instid0(VALU_DEP_1)
	v_mov_b64_e32 v[40:41], v[42:43]
	ds_store_b64 v53, v[42:43]
.LBB154_968:                            ;   in Loop: Header=BB154_3 Depth=1
	s_or_b32 exec_lo, exec_lo, s6
	s_wait_dscnt 0x0
	s_barrier_signal -1
	s_barrier_wait -1
	s_and_saveexec_b32 s6, s47
	s_cbranch_execz .LBB154_970
; %bb.969:                              ;   in Loop: Header=BB154_3 Depth=1
	ds_load_b64 v[42:43], v1 offset:32248
	ds_load_b64 v[44:45], v53
	s_wait_dscnt 0x0
	v_pk_mul_f32 v[84:85], v[44:45], v[42:43] op_sel:[1,1] op_sel_hi:[0,1]
	s_delay_alu instid0(VALU_DEP_1) | instskip(SKIP_1) | instid1(VALU_DEP_2)
	v_pk_fma_f32 v[86:87], v[44:45], v[42:43], v[84:85] op_sel_hi:[1,0,1]
	v_pk_fma_f32 v[42:43], v[44:45], v[42:43], v[84:85] neg_lo:[0,0,1] neg_hi:[0,0,1]
	v_mov_b32_e32 v43, v87
	s_delay_alu instid0(VALU_DEP_1)
	v_pk_add_f32 v[40:41], v[40:41], v[42:43]
.LBB154_970:                            ;   in Loop: Header=BB154_3 Depth=1
	s_or_b32 exec_lo, exec_lo, s6
	s_barrier_signal -1
	s_barrier_wait -1
	s_and_saveexec_b32 s6, s47
	s_cbranch_execz .LBB154_972
; %bb.971:                              ;   in Loop: Header=BB154_3 Depth=1
	ds_load_b64 v[42:43], v1 offset:32760
	s_wait_dscnt 0x0
	v_pk_mul_f32 v[44:45], v[40:41], v[42:43] op_sel:[1,1] op_sel_hi:[1,0]
	s_delay_alu instid0(VALU_DEP_1) | instskip(SKIP_1) | instid1(VALU_DEP_2)
	v_pk_fma_f32 v[84:85], v[40:41], v[42:43], v[44:45] op_sel_hi:[0,1,1]
	v_pk_fma_f32 v[42:43], v[40:41], v[42:43], v[44:45] neg_lo:[0,0,1] neg_hi:[0,0,1]
	v_mov_b32_e32 v43, v85
	s_delay_alu instid0(VALU_DEP_1)
	v_mov_b64_e32 v[40:41], v[42:43]
	ds_store_b64 v53, v[42:43]
.LBB154_972:                            ;   in Loop: Header=BB154_3 Depth=1
	s_or_b32 exec_lo, exec_lo, s6
	s_wait_dscnt 0x0
	s_barrier_signal -1
	s_barrier_wait -1
	s_barrier_signal -1
	s_barrier_wait -1
	s_and_saveexec_b32 s6, s2
; %bb.973:                              ;   in Loop: Header=BB154_3 Depth=1
	v_pk_add_f32 v[40:41], v[40:41], 0 neg_lo:[1,1] neg_hi:[1,1]
	ds_store_b64 v54, v[40:41] offset:29152
; %bb.974:                              ;   in Loop: Header=BB154_3 Depth=1
	s_or_b32 exec_lo, exec_lo, s6
	s_wait_dscnt 0x0
	s_barrier_signal -1
	s_barrier_wait -1
	s_barrier_signal -1
	s_barrier_wait -1
	s_and_saveexec_b32 s11, s14
	s_cbranch_execz .LBB154_976
; %bb.975:                              ;   in Loop: Header=BB154_3 Depth=1
	ds_load_b128 v[40:43], v1 offset:31200
	ds_load_b64 v[44:45], v1 offset:31720
	s_wait_dscnt 0x1
	v_dual_mov_b32 v84, v43 :: v_dual_mov_b32 v85, v42
	s_wait_dscnt 0x0
	v_dual_mul_f32 v83, v45, v41 :: v_dual_mul_f32 v0, v44, v41
	s_delay_alu instid0(VALU_DEP_1) | instskip(NEXT) | instid1(VALU_DEP_1)
	v_xor_b32_e32 v86, 0x80000000, v83
	v_dual_fmac_f32 v0, v45, v40 :: v_dual_fmac_f32 v86, v44, v40
	s_delay_alu instid0(VALU_DEP_1) | instskip(NEXT) | instid1(VALU_DEP_1)
	v_pk_mul_f32 v[40:41], v[0:1], v[84:85] op_sel_hi:[0,1]
	v_pk_fma_f32 v[44:45], v[86:87], v[42:43], v[40:41] op_sel_hi:[0,1,1]
	v_pk_fma_f32 v[40:41], v[86:87], v[42:43], v[40:41] neg_lo:[0,0,1] neg_hi:[0,0,1]
	s_delay_alu instid0(VALU_DEP_2)
	v_mov_b32_e32 v41, v45
	ds_store_b64 v1, v[40:41] offset:31208
.LBB154_976:                            ;   in Loop: Header=BB154_3 Depth=1
	s_or_b32 exec_lo, exec_lo, s11
	v_mov_b32_e32 v41, 0
	s_wait_dscnt 0x0
	s_barrier_signal -1
	s_barrier_wait -1
	s_delay_alu instid0(VALU_DEP_1)
	v_mov_b32_e32 v40, v41
	s_and_saveexec_b32 s11, s1
	s_cbranch_execz .LBB154_980
; %bb.977:                              ;   in Loop: Header=BB154_3 Depth=1
	ds_load_b64 v[40:41], v48 offset:31216
	ds_load_b64 v[42:43], v49 offset:31200
	s_wait_dscnt 0x0
	v_dual_mul_f32 v0, v43, v41 :: v_dual_mul_f32 v45, v42, v41
	s_delay_alu instid0(VALU_DEP_1) | instskip(NEXT) | instid1(VALU_DEP_1)
	v_dual_fma_f32 v44, v42, v40, -v0 :: v_dual_fmac_f32 v45, v43, v40
	v_pk_add_f32 v[40:41], v[44:45], 0 op_sel_hi:[1,0]
	s_and_saveexec_b32 s6, s15
	s_cbranch_execz .LBB154_979
; %bb.978:                              ;   in Loop: Header=BB154_3 Depth=1
	ds_load_b64 v[42:43], v50 offset:31728
	ds_load_b64 v[44:45], v1 offset:31208
	s_wait_dscnt 0x0
	v_pk_mul_f32 v[84:85], v[44:45], v[42:43] op_sel:[1,1] op_sel_hi:[0,1]
	s_delay_alu instid0(VALU_DEP_1) | instskip(SKIP_1) | instid1(VALU_DEP_2)
	v_pk_fma_f32 v[86:87], v[44:45], v[42:43], v[84:85] op_sel_hi:[1,0,1]
	v_pk_fma_f32 v[42:43], v[44:45], v[42:43], v[84:85] neg_lo:[0,0,1] neg_hi:[0,0,1]
	v_mov_b32_e32 v43, v87
	s_delay_alu instid0(VALU_DEP_1)
	v_pk_add_f32 v[40:41], v[40:41], v[42:43]
.LBB154_979:                            ;   in Loop: Header=BB154_3 Depth=1
	s_or_b32 exec_lo, exec_lo, s6
	s_delay_alu instid0(VALU_DEP_1)
	v_pk_add_f32 v[40:41], v[40:41], 0 neg_lo:[1,1] neg_hi:[1,1]
.LBB154_980:                            ;   in Loop: Header=BB154_3 Depth=1
	s_or_b32 exec_lo, exec_lo, s11
	s_and_saveexec_b32 s6, s103
	s_cbranch_execz .LBB154_982
; %bb.981:                              ;   in Loop: Header=BB154_3 Depth=1
	ds_load_b64 v[42:43], v1 offset:32240
	s_wait_dscnt 0x0
	v_pk_mul_f32 v[44:45], v[40:41], v[42:43] op_sel:[1,1] op_sel_hi:[1,0]
	s_delay_alu instid0(VALU_DEP_1) | instskip(SKIP_1) | instid1(VALU_DEP_2)
	v_pk_fma_f32 v[84:85], v[40:41], v[42:43], v[44:45] op_sel_hi:[0,1,1]
	v_pk_fma_f32 v[42:43], v[40:41], v[42:43], v[44:45] neg_lo:[0,0,1] neg_hi:[0,0,1]
	v_mov_b32_e32 v43, v85
	s_delay_alu instid0(VALU_DEP_1)
	v_mov_b64_e32 v[40:41], v[42:43]
	ds_store_b64 v3, v[42:43]
.LBB154_982:                            ;   in Loop: Header=BB154_3 Depth=1
	s_or_b32 exec_lo, exec_lo, s6
	s_wait_dscnt 0x0
	s_barrier_signal -1
	s_barrier_wait -1
	s_and_saveexec_b32 s6, s104
	s_cbranch_execz .LBB154_984
; %bb.983:                              ;   in Loop: Header=BB154_3 Depth=1
	ds_load_b64 v[42:43], v1 offset:32248
	ds_load_b64 v[44:45], v3
	s_wait_dscnt 0x0
	v_pk_mul_f32 v[84:85], v[44:45], v[42:43] op_sel:[1,1] op_sel_hi:[0,1]
	s_delay_alu instid0(VALU_DEP_1) | instskip(SKIP_1) | instid1(VALU_DEP_2)
	v_pk_fma_f32 v[86:87], v[44:45], v[42:43], v[84:85] op_sel_hi:[1,0,1]
	v_pk_fma_f32 v[42:43], v[44:45], v[42:43], v[84:85] neg_lo:[0,0,1] neg_hi:[0,0,1]
	v_mov_b32_e32 v43, v87
	s_delay_alu instid0(VALU_DEP_1)
	v_pk_add_f32 v[40:41], v[40:41], v[42:43]
.LBB154_984:                            ;   in Loop: Header=BB154_3 Depth=1
	s_or_b32 exec_lo, exec_lo, s6
	s_barrier_signal -1
	s_barrier_wait -1
	s_and_saveexec_b32 s6, s104
	s_cbranch_execz .LBB154_986
; %bb.985:                              ;   in Loop: Header=BB154_3 Depth=1
	ds_load_b64 v[42:43], v1 offset:32760
	s_wait_dscnt 0x0
	v_pk_mul_f32 v[44:45], v[40:41], v[42:43] op_sel:[1,1] op_sel_hi:[1,0]
	s_delay_alu instid0(VALU_DEP_1) | instskip(SKIP_1) | instid1(VALU_DEP_2)
	v_pk_fma_f32 v[84:85], v[40:41], v[42:43], v[44:45] op_sel_hi:[0,1,1]
	v_pk_fma_f32 v[42:43], v[40:41], v[42:43], v[44:45] neg_lo:[0,0,1] neg_hi:[0,0,1]
	v_mov_b32_e32 v43, v85
	s_delay_alu instid0(VALU_DEP_1)
	v_mov_b64_e32 v[40:41], v[42:43]
	ds_store_b64 v3, v[42:43]
.LBB154_986:                            ;   in Loop: Header=BB154_3 Depth=1
	s_or_b32 exec_lo, exec_lo, s6
	s_wait_dscnt 0x0
	s_barrier_signal -1
	s_barrier_wait -1
	s_barrier_signal -1
	s_barrier_wait -1
	s_and_saveexec_b32 s6, s1
; %bb.987:                              ;   in Loop: Header=BB154_3 Depth=1
	v_pk_add_f32 v[40:41], v[40:41], 0 neg_lo:[1,1] neg_hi:[1,1]
	ds_store_b64 v48, v[40:41] offset:31216
; %bb.988:                              ;   in Loop: Header=BB154_3 Depth=1
	s_or_b32 exec_lo, exec_lo, s6
	s_wait_dscnt 0x0
	s_barrier_signal -1
	s_barrier_wait -1
	s_barrier_signal -1
	s_barrier_wait -1
	s_and_saveexec_b32 s11, s14
	s_cbranch_execz .LBB154_990
; %bb.989:                              ;   in Loop: Header=BB154_3 Depth=1
	ds_load_b128 v[40:43], v1 offset:32240
	ds_load_b64 v[44:45], v1 offset:32760
	s_wait_dscnt 0x1
	v_dual_mov_b32 v84, v43 :: v_dual_mov_b32 v85, v42
	s_wait_dscnt 0x0
	v_dual_mul_f32 v83, v45, v41 :: v_dual_mul_f32 v0, v44, v41
	s_delay_alu instid0(VALU_DEP_1) | instskip(NEXT) | instid1(VALU_DEP_1)
	v_xor_b32_e32 v86, 0x80000000, v83
	v_dual_fmac_f32 v0, v45, v40 :: v_dual_fmac_f32 v86, v44, v40
	s_delay_alu instid0(VALU_DEP_1) | instskip(NEXT) | instid1(VALU_DEP_1)
	v_pk_mul_f32 v[40:41], v[0:1], v[84:85] op_sel_hi:[0,1]
	v_pk_fma_f32 v[44:45], v[86:87], v[42:43], v[40:41] op_sel_hi:[0,1,1]
	v_pk_fma_f32 v[40:41], v[86:87], v[42:43], v[40:41] neg_lo:[0,0,1] neg_hi:[0,0,1]
	s_delay_alu instid0(VALU_DEP_2)
	v_mov_b32_e32 v41, v45
	ds_store_b64 v1, v[40:41] offset:32248
.LBB154_990:                            ;   in Loop: Header=BB154_3 Depth=1
	s_or_b32 exec_lo, exec_lo, s11
.LBB154_991:                            ;   in Loop: Header=BB154_3 Depth=1
	v_add_nc_u64_e32 v[38:39], s[76:77], v[38:39]
	v_mov_b64_e32 v[40:41], 0
	s_wait_dscnt 0x0
	s_barrier_signal -1
	s_barrier_wait -1
	s_wait_xcnt 0x0
	s_and_saveexec_b32 s6, s65
	s_cbranch_execz .LBB154_993
; %bb.992:                              ;   in Loop: Header=BB154_3 Depth=1
	v_lshl_add_u64 v[40:41], v[28:29], 3, v[38:39]
	flat_load_b64 v[40:41], v[40:41]
	s_wait_loadcnt_dscnt 0x0
	v_pk_mul_f32 v[42:43], v[36:37], v[40:41] op_sel:[1,0] neg_lo:[1,0]
	s_delay_alu instid0(VALU_DEP_1)
	v_pk_fma_f32 v[40:41], v[36:37], v[40:41], v[42:43] op_sel:[0,0,1] op_sel_hi:[0,1,0] neg_lo:[1,0,0] neg_hi:[1,0,0]
.LBB154_993:                            ;   in Loop: Header=BB154_3 Depth=1
	s_or_b32 exec_lo, exec_lo, s6
	s_delay_alu instid0(SALU_CYCLE_1)
	s_and_not1_b32 vcc_lo, exec_lo, s66
	s_cbranch_vccnz .LBB154_1012
; %bb.994:                              ;   in Loop: Header=BB154_3 Depth=1
	v_lshl_add_u64 v[34:35], v[6:7], 3, v[34:35]
	v_mov_b32_e32 v42, -1
	s_lshl_b64 s[96:97], s[84:85], 2
	s_mov_b32 s11, 0
	s_add_nc_u64 s[96:97], s[88:89], s[96:97]
	s_branch .LBB154_996
.LBB154_995:                            ;   in Loop: Header=BB154_996 Depth=2
	s_or_b32 exec_lo, exec_lo, s6
	s_add_co_i32 s11, s11, 1
	s_delay_alu instid0(SALU_CYCLE_1)
	s_cmp_eq_u32 s11, s99
	s_cbranch_scc1 .LBB154_1012
.LBB154_996:                            ;   Parent Loop BB154_3 Depth=1
                                        ; =>  This Loop Header: Depth=2
                                        ;       Child Loop BB154_998 Depth 3
	v_cmp_gt_i32_e32 vcc_lo, s11, v42
	s_and_b32 s70, s36, vcc_lo
	s_delay_alu instid0(SALU_CYCLE_1)
	s_and_saveexec_b32 s6, s70
	s_cbranch_execz .LBB154_999
; %bb.997:                              ;   in Loop: Header=BB154_996 Depth=2
	global_load_b32 v42, v1, s[96:97]
	s_wait_loadcnt 0x0
	v_cmp_le_i32_e32 vcc_lo, s11, v42
	s_cbranch_vccnz .LBB154_999
.LBB154_998:                            ;   Parent Loop BB154_3 Depth=1
                                        ;     Parent Loop BB154_996 Depth=2
                                        ; =>    This Inner Loop Header: Depth=3
	global_wb scope:SCOPE_DEV
	s_wait_storecnt 0x0
	global_inv scope:SCOPE_DEV
	global_load_b32 v42, v1, s[96:97]
	s_wait_loadcnt 0x0
	v_cmp_gt_i32_e32 vcc_lo, s11, v42
	s_cbranch_vccnz .LBB154_998
.LBB154_999:                            ;   in Loop: Header=BB154_996 Depth=2
	s_or_b32 exec_lo, exec_lo, s6
	s_lshl_b32 s70, s11, 6
	global_wb scope:SCOPE_DEV
	s_wait_storecnt 0x0
	global_inv scope:SCOPE_DEV
	s_wait_loadcnt 0x0
	s_barrier_signal -1
	s_barrier_wait -1
	s_and_saveexec_b32 s6, s37
	s_cbranch_execz .LBB154_1004
; %bb.1000:                             ;   in Loop: Header=BB154_996 Depth=2
	v_or_b32_e32 v0, s70, v4
	s_delay_alu instid0(VALU_DEP_1) | instskip(SKIP_1) | instid1(SALU_CYCLE_1)
	v_cmp_le_i32_e32 vcc_lo, s98, v0
	s_and_saveexec_b32 s10, vcc_lo
	s_xor_b32 vcc_lo, exec_lo, s10
; %bb.1001:                             ;   in Loop: Header=BB154_996 Depth=2
	ds_store_b64 v72, v[32:33]
; %bb.1002:                             ;   in Loop: Header=BB154_996 Depth=2
	s_and_not1_saveexec_b32 s7, vcc_lo
	s_cbranch_execz .LBB154_1004
; %bb.1003:                             ;   in Loop: Header=BB154_996 Depth=2
	v_mul_u64_e32 v[36:37], s[78:79], v[0:1]
	s_delay_alu instid0(VALU_DEP_1)
	v_lshl_add_u64 v[36:37], v[36:37], 3, v[38:39]
	flat_load_b64 v[36:37], v[36:37]
	s_wait_loadcnt_dscnt 0x0
	ds_store_b64 v72, v[36:37]
.LBB154_1004:                           ;   in Loop: Header=BB154_996 Depth=2
	s_or_b32 exec_lo, exec_lo, s6
	v_add_nc_u32_e32 v0, s70, v46
	s_wait_dscnt 0x0
	v_cmp_eq_u32_e32 vcc_lo, s11, v47
	s_barrier_signal -1
	s_barrier_wait -1
	v_mul_u64_e32 v[36:37], s[86:87], v[0:1]
	v_cmp_gt_i32_e64 s70, s98, v0
	s_and_b32 s7, s0, s70
	v_lshl_add_u64 v[36:37], v[36:37], 3, v[34:35]
	s_and_saveexec_b32 s6, s7
	s_cbranch_execz .LBB154_1006
; %bb.1005:                             ;   in Loop: Header=BB154_996 Depth=2
	s_delay_alu instid0(VALU_DEP_1) | instskip(SKIP_4) | instid1(VALU_DEP_1)
	v_dual_cndmask_b32 v45, v37, v21 :: v_dual_cndmask_b32 v44, v36, v20
	ds_load_b64 v[84:85], v71
	flat_load_b64 v[44:45], v[44:45]
	s_wait_loadcnt_dscnt 0x0
	v_dual_mul_f32 v43, v85, v45 :: v_dual_mul_f32 v45, v84, v45
	v_dual_fma_f32 v43, v84, v44, -v43 :: v_dual_fmac_f32 v45, v85, v44
	s_delay_alu instid0(VALU_DEP_1)
	v_dual_add_f32 v40, v40, v43 :: v_dual_add_f32 v41, v41, v45
.LBB154_1006:                           ;   in Loop: Header=BB154_996 Depth=2
	s_or_b32 exec_lo, exec_lo, s6
	v_add_nc_u32_e32 v43, 16, v0
	s_delay_alu instid0(VALU_DEP_1) | instskip(SKIP_1) | instid1(SALU_CYCLE_1)
	v_cmp_gt_i32_e64 s70, s98, v43
	s_and_b32 s7, s0, s70
	s_and_saveexec_b32 s6, s7
	s_cbranch_execz .LBB154_1008
; %bb.1007:                             ;   in Loop: Header=BB154_996 Depth=2
	v_add_nc_u64_e32 v[44:45], s[90:91], v[36:37]
	ds_load_b64 v[84:85], v71 offset:128
	v_dual_cndmask_b32 v45, v45, v23 :: v_dual_cndmask_b32 v44, v44, v22
	flat_load_b64 v[44:45], v[44:45]
	s_wait_loadcnt_dscnt 0x0
	v_dual_mul_f32 v43, v85, v45 :: v_dual_mul_f32 v45, v84, v45
	s_delay_alu instid0(VALU_DEP_1) | instskip(NEXT) | instid1(VALU_DEP_1)
	v_dual_fma_f32 v43, v84, v44, -v43 :: v_dual_fmac_f32 v45, v85, v44
	v_dual_add_f32 v40, v40, v43 :: v_dual_add_f32 v41, v41, v45
.LBB154_1008:                           ;   in Loop: Header=BB154_996 Depth=2
	s_or_b32 exec_lo, exec_lo, s6
	v_add_nc_u32_e32 v43, 32, v0
	s_delay_alu instid0(VALU_DEP_1) | instskip(SKIP_1) | instid1(SALU_CYCLE_1)
	v_cmp_gt_i32_e64 s70, s98, v43
	s_and_b32 s7, s0, s70
	s_and_saveexec_b32 s6, s7
	s_cbranch_execz .LBB154_1010
; %bb.1009:                             ;   in Loop: Header=BB154_996 Depth=2
	v_add_nc_u64_e32 v[44:45], s[92:93], v[36:37]
	ds_load_b64 v[84:85], v71 offset:256
	v_dual_cndmask_b32 v45, v45, v25 :: v_dual_cndmask_b32 v44, v44, v24
	flat_load_b64 v[44:45], v[44:45]
	s_wait_loadcnt_dscnt 0x0
	v_dual_mul_f32 v43, v85, v45 :: v_dual_mul_f32 v87, v84, v45
	s_delay_alu instid0(VALU_DEP_1) | instskip(NEXT) | instid1(VALU_DEP_2)
	v_fma_f32 v86, v84, v44, -v43
	v_fmac_f32_e32 v87, v85, v44
	s_delay_alu instid0(VALU_DEP_1)
	v_pk_add_f32 v[40:41], v[40:41], v[86:87]
.LBB154_1010:                           ;   in Loop: Header=BB154_996 Depth=2
	s_or_b32 exec_lo, exec_lo, s6
	v_add_nc_u32_e32 v0, 48, v0
	s_delay_alu instid0(VALU_DEP_1) | instskip(SKIP_1) | instid1(SALU_CYCLE_1)
	v_cmp_gt_i32_e64 s70, s98, v0
	s_and_b32 s7, s0, s70
	s_and_saveexec_b32 s6, s7
	s_cbranch_execz .LBB154_995
; %bb.1011:                             ;   in Loop: Header=BB154_996 Depth=2
	v_add_nc_u64_e32 v[36:37], s[94:95], v[36:37]
	ds_load_b64 v[44:45], v71 offset:384
	v_dual_cndmask_b32 v37, v37, v27 :: v_dual_cndmask_b32 v36, v36, v26
	flat_load_b64 v[36:37], v[36:37]
	s_wait_loadcnt_dscnt 0x0
	v_pk_mul_f32 v[84:85], v[44:45], v[36:37] op_sel:[1,1] op_sel_hi:[0,1]
	s_delay_alu instid0(VALU_DEP_1) | instskip(SKIP_1) | instid1(VALU_DEP_2)
	v_pk_fma_f32 v[86:87], v[44:45], v[36:37], v[84:85] op_sel_hi:[1,0,1]
	v_pk_fma_f32 v[36:37], v[44:45], v[36:37], v[84:85] neg_lo:[0,0,1] neg_hi:[0,0,1]
	v_mov_b32_e32 v37, v87
	s_delay_alu instid0(VALU_DEP_1)
	v_pk_add_f32 v[40:41], v[40:41], v[36:37]
	s_branch .LBB154_995
.LBB154_1012:                           ;   in Loop: Header=BB154_3 Depth=1
	ds_store_b64 v73, v[40:41]
	s_wait_dscnt 0x0
	s_barrier_signal -1
	s_barrier_wait -1
	s_and_saveexec_b32 s11, s5
	s_cbranch_execz .LBB154_1014
; %bb.1013:                             ;   in Loop: Header=BB154_3 Depth=1
	ds_load_2addr_stride64_b64 v[34:37], v74 offset0:1 offset1:2
	ds_load_2addr_stride64_b64 v[42:45], v74 offset0:3 offset1:4
	;; [unrolled: 1-line block ×3, first 2 shown]
	s_wait_dscnt 0x2
	v_pk_add_f32 v[34:35], v[40:41], v[34:35]
	s_delay_alu instid0(VALU_DEP_1) | instskip(SKIP_3) | instid1(VALU_DEP_1)
	v_pk_add_f32 v[40:41], v[34:35], v[36:37]
	ds_load_2addr_stride64_b64 v[34:37], v74 offset0:7 offset1:8
	s_wait_dscnt 0x2
	v_pk_add_f32 v[40:41], v[40:41], v[42:43]
	v_pk_add_f32 v[44:45], v[40:41], v[44:45]
	ds_load_2addr_stride64_b64 v[40:43], v74 offset0:9 offset1:10
	s_wait_dscnt 0x2
	v_pk_add_f32 v[44:45], v[44:45], v[84:85]
	s_delay_alu instid0(VALU_DEP_1) | instskip(SKIP_3) | instid1(VALU_DEP_1)
	v_pk_add_f32 v[44:45], v[44:45], v[86:87]
	ds_load_2addr_stride64_b64 v[84:87], v74 offset0:11 offset1:12
	s_wait_dscnt 0x2
	v_pk_add_f32 v[34:35], v[44:45], v[34:35]
	v_pk_add_f32 v[44:45], v[34:35], v[36:37]
	ds_load_2addr_stride64_b64 v[34:37], v74 offset0:13 offset1:14
	s_wait_dscnt 0x2
	v_pk_add_f32 v[40:41], v[44:45], v[40:41]
	s_delay_alu instid0(VALU_DEP_1) | instskip(SKIP_3) | instid1(VALU_DEP_1)
	v_pk_add_f32 v[40:41], v[40:41], v[42:43]
	ds_load_b64 v[42:43], v74 offset:7680
	s_wait_dscnt 0x2
	v_pk_add_f32 v[40:41], v[40:41], v[84:85]
	v_pk_add_f32 v[40:41], v[40:41], v[86:87]
	s_wait_dscnt 0x1
	s_delay_alu instid0(VALU_DEP_1) | instskip(NEXT) | instid1(VALU_DEP_1)
	v_pk_add_f32 v[34:35], v[40:41], v[34:35]
	v_pk_add_f32 v[34:35], v[34:35], v[36:37]
	s_wait_dscnt 0x0
	s_delay_alu instid0(VALU_DEP_1) | instskip(NEXT) | instid1(VALU_DEP_1)
	v_pk_add_f32 v[34:35], v[34:35], v[42:43]
	v_cndmask_b32_e64 v41, -v35, 0, s64
	s_delay_alu instid0(VALU_DEP_2)
	v_cndmask_b32_e64 v40, -v34, 0, s64
.LBB154_1014:                           ;   in Loop: Header=BB154_3 Depth=1
	s_or_b32 exec_lo, exec_lo, s11
	s_delay_alu instid0(SALU_CYCLE_1)
	s_and_not1_b32 vcc_lo, exec_lo, s102
	s_cbranch_vccnz .LBB154_1027
; %bb.1015:                             ;   in Loop: Header=BB154_3 Depth=1
	s_and_saveexec_b32 s6, s5
; %bb.1016:                             ;   in Loop: Header=BB154_3 Depth=1
	ds_store_b64 v76, v[40:41]
; %bb.1017:                             ;   in Loop: Header=BB154_3 Depth=1
	s_or_b32 exec_lo, exec_lo, s6
	v_mov_b64_e32 v[34:35], 0
	s_wait_dscnt 0x0
	s_barrier_signal -1
	s_barrier_wait -1
	s_mov_b32 s6, exec_lo
	v_readlane_b32 s7, v93, 5
	s_and_b32 s7, s6, s7
	s_delay_alu instid0(SALU_CYCLE_1)
	s_mov_b32 exec_lo, s7
	s_cbranch_execz .LBB154_1019
; %bb.1018:                             ;   in Loop: Header=BB154_3 Depth=1
	ds_load_b64 v[34:35], v75
	ds_load_b64 v[36:37], v71
	s_wait_dscnt 0x0
	v_dual_mul_f32 v0, v37, v35 :: v_dual_mul_f32 v35, v36, v35
	s_delay_alu instid0(VALU_DEP_1) | instskip(NEXT) | instid1(VALU_DEP_1)
	v_dual_fma_f32 v0, v36, v34, -v0 :: v_dual_fmac_f32 v35, v37, v34
	v_dual_add_f32 v34, 0, v0 :: v_dual_add_f32 v35, 0, v35
.LBB154_1019:                           ;   in Loop: Header=BB154_3 Depth=1
	s_or_b32 exec_lo, exec_lo, s6
	s_delay_alu instid0(SALU_CYCLE_1) | instskip(SKIP_2) | instid1(SALU_CYCLE_1)
	s_mov_b32 s6, exec_lo
	v_readlane_b32 s7, v93, 6
	s_and_b32 s7, s6, s7
	s_mov_b32 exec_lo, s7
	s_cbranch_execz .LBB154_1021
; %bb.1020:                             ;   in Loop: Header=BB154_3 Depth=1
	ds_load_b64 v[36:37], v75 offset:8192
	ds_load_b64 v[42:43], v71 offset:128
	s_wait_dscnt 0x0
	v_dual_mul_f32 v0, v43, v37 :: v_dual_mul_f32 v45, v42, v37
	s_delay_alu instid0(VALU_DEP_1) | instskip(NEXT) | instid1(VALU_DEP_1)
	v_dual_fma_f32 v44, v42, v36, -v0 :: v_dual_fmac_f32 v45, v43, v36
	v_pk_add_f32 v[34:35], v[34:35], v[44:45]
.LBB154_1021:                           ;   in Loop: Header=BB154_3 Depth=1
	s_or_b32 exec_lo, exec_lo, s6
	s_delay_alu instid0(SALU_CYCLE_1) | instskip(SKIP_2) | instid1(SALU_CYCLE_1)
	s_mov_b32 s6, exec_lo
	v_readlane_b32 s7, v93, 7
	s_and_b32 s7, s6, s7
	s_mov_b32 exec_lo, s7
	s_cbranch_execz .LBB154_1023
; %bb.1022:                             ;   in Loop: Header=BB154_3 Depth=1
	ds_load_b64 v[36:37], v75 offset:16384
	ds_load_b64 v[42:43], v71 offset:256
	s_wait_dscnt 0x0
	v_pk_mul_f32 v[44:45], v[42:43], v[36:37] op_sel:[1,1] op_sel_hi:[0,1]
	s_delay_alu instid0(VALU_DEP_1) | instskip(SKIP_1) | instid1(VALU_DEP_2)
	v_pk_fma_f32 v[84:85], v[42:43], v[36:37], v[44:45] op_sel_hi:[1,0,1]
	v_pk_fma_f32 v[36:37], v[42:43], v[36:37], v[44:45] neg_lo:[0,0,1] neg_hi:[0,0,1]
	v_mov_b32_e32 v37, v85
	s_delay_alu instid0(VALU_DEP_1)
	v_pk_add_f32 v[34:35], v[34:35], v[36:37]
.LBB154_1023:                           ;   in Loop: Header=BB154_3 Depth=1
	s_or_b32 exec_lo, exec_lo, s6
	s_delay_alu instid0(SALU_CYCLE_1) | instskip(SKIP_2) | instid1(SALU_CYCLE_1)
	s_mov_b32 s6, exec_lo
	v_readlane_b32 s7, v93, 8
	s_and_b32 s7, s6, s7
	s_mov_b32 exec_lo, s7
	s_cbranch_execz .LBB154_1025
; %bb.1024:                             ;   in Loop: Header=BB154_3 Depth=1
	ds_load_b64 v[36:37], v75 offset:24576
	ds_load_b64 v[42:43], v71 offset:384
	s_wait_dscnt 0x0
	v_pk_mul_f32 v[44:45], v[42:43], v[36:37] op_sel:[1,1] op_sel_hi:[0,1]
	s_delay_alu instid0(VALU_DEP_1) | instskip(SKIP_1) | instid1(VALU_DEP_2)
	v_pk_fma_f32 v[84:85], v[42:43], v[36:37], v[44:45] op_sel_hi:[1,0,1]
	v_pk_fma_f32 v[36:37], v[42:43], v[36:37], v[44:45] neg_lo:[0,0,1] neg_hi:[0,0,1]
	v_mov_b32_e32 v37, v85
	s_delay_alu instid0(VALU_DEP_1)
	v_pk_add_f32 v[34:35], v[34:35], v[36:37]
.LBB154_1025:                           ;   in Loop: Header=BB154_3 Depth=1
	s_or_b32 exec_lo, exec_lo, s6
	s_mov_b32 s11, 0
	s_mov_b32 s70, 0
	ds_store_b64 v73, v[34:35]
	s_wait_dscnt 0x0
	s_barrier_signal -1
	s_barrier_wait -1
                                        ; implicit-def: $vgpr36_vgpr37
	s_and_saveexec_b32 s96, s5
	s_cbranch_execz .LBB154_1043
; %bb.1026:                             ;   in Loop: Header=BB154_3 Depth=1
	ds_load_2addr_stride64_b64 v[42:45], v74 offset0:1 offset1:2
	ds_load_2addr_stride64_b64 v[84:87], v74 offset0:3 offset1:4
	;; [unrolled: 1-line block ×3, first 2 shown]
	s_mov_b32 s70, exec_lo
	s_wait_dscnt 0x2
	v_pk_add_f32 v[34:35], v[34:35], v[42:43]
	s_delay_alu instid0(VALU_DEP_1) | instskip(SKIP_3) | instid1(VALU_DEP_1)
	v_pk_add_f32 v[42:43], v[34:35], v[44:45]
	ds_load_2addr_stride64_b64 v[34:37], v74 offset0:7 offset1:8
	s_wait_dscnt 0x2
	v_pk_add_f32 v[42:43], v[42:43], v[84:85]
	v_pk_add_f32 v[84:85], v[42:43], v[86:87]
	ds_load_2addr_stride64_b64 v[42:45], v74 offset0:9 offset1:10
	s_wait_dscnt 0x2
	v_pk_add_f32 v[84:85], v[84:85], v[88:89]
	s_delay_alu instid0(VALU_DEP_1) | instskip(SKIP_3) | instid1(VALU_DEP_1)
	v_pk_add_f32 v[88:89], v[84:85], v[90:91]
	ds_load_2addr_stride64_b64 v[84:87], v74 offset0:11 offset1:12
	s_wait_dscnt 0x2
	v_pk_add_f32 v[34:35], v[88:89], v[34:35]
	v_pk_add_f32 v[34:35], v[34:35], v[36:37]
	s_wait_dscnt 0x1
	s_delay_alu instid0(VALU_DEP_1)
	v_pk_add_f32 v[42:43], v[34:35], v[42:43]
	ds_load_2addr_stride64_b64 v[34:37], v74 offset0:13 offset1:14
	v_pk_add_f32 v[42:43], v[42:43], v[44:45]
	ds_load_b64 v[44:45], v74 offset:7680
	s_wait_dscnt 0x2
	v_pk_add_f32 v[42:43], v[42:43], v[84:85]
	s_delay_alu instid0(VALU_DEP_1) | instskip(SKIP_1) | instid1(VALU_DEP_1)
	v_pk_add_f32 v[42:43], v[42:43], v[86:87]
	s_wait_dscnt 0x1
	v_pk_add_f32 v[34:35], v[42:43], v[34:35]
	s_delay_alu instid0(VALU_DEP_1) | instskip(SKIP_1) | instid1(VALU_DEP_1)
	v_pk_add_f32 v[34:35], v[34:35], v[36:37]
	s_wait_dscnt 0x0
	v_pk_add_f32 v[36:37], v[34:35], v[44:45]
	s_or_b32 exec_lo, exec_lo, s96
	s_delay_alu instid0(SALU_CYCLE_1)
	s_and_b32 vcc_lo, exec_lo, s11
	s_cbranch_vccnz .LBB154_1028
	s_branch .LBB154_1044
.LBB154_1027:                           ;   in Loop: Header=BB154_3 Depth=1
	s_mov_b32 s70, 0
                                        ; implicit-def: $vgpr36_vgpr37
	s_cbranch_execz .LBB154_1044
.LBB154_1028:                           ;   in Loop: Header=BB154_3 Depth=1
	v_dual_mov_b32 v0, v2 :: v_dual_mov_b32 v34, v50
	s_mov_b32 s11, 0
	s_branch .LBB154_1030
.LBB154_1029:                           ;   in Loop: Header=BB154_1030 Depth=2
	s_or_b32 exec_lo, exec_lo, s6
	v_add_nc_u32_e32 v34, 0x400, v34
	v_add_nc_u32_e32 v0, -2, v0
	s_add_co_i32 s11, s11, 2
	s_delay_alu instid0(SALU_CYCLE_1)
	s_cmp_lg_u32 s11, 64
	s_barrier_signal -1
	s_barrier_wait -1
	s_cbranch_scc0 .LBB154_1038
.LBB154_1030:                           ;   Parent Loop BB154_3 Depth=1
                                        ; =>  This Inner Loop Header: Depth=2
	s_delay_alu instid0(VALU_DEP_1) | instskip(SKIP_1) | instid1(SALU_CYCLE_1)
	v_cmp_eq_u32_e32 vcc_lo, 0, v0
	s_and_b32 s7, s5, vcc_lo
	s_and_saveexec_b32 s6, s7
	s_cbranch_execz .LBB154_1032
; %bb.1031:                             ;   in Loop: Header=BB154_1030 Depth=2
	ds_load_b64 v[36:37], v77
	s_wait_dscnt 0x0
	v_pk_mul_f32 v[42:43], v[40:41], v[36:37] op_sel:[1,1] op_sel_hi:[1,0]
	s_delay_alu instid0(VALU_DEP_1) | instskip(SKIP_1) | instid1(VALU_DEP_2)
	v_pk_fma_f32 v[44:45], v[40:41], v[36:37], v[42:43] op_sel_hi:[0,1,1]
	v_pk_fma_f32 v[36:37], v[40:41], v[36:37], v[42:43] neg_lo:[0,0,1] neg_hi:[0,0,1]
	v_mov_b32_e32 v37, v45
	s_delay_alu instid0(VALU_DEP_1)
	v_mov_b64_e32 v[40:41], v[36:37]
	ds_store_b64 v1, v[36:37] offset:41472
.LBB154_1032:                           ;   in Loop: Header=BB154_1030 Depth=2
	s_or_b32 exec_lo, exec_lo, s6
	v_cmp_lt_u32_e32 vcc_lo, s11, v2
	s_wait_dscnt 0x0
	s_barrier_signal -1
	s_barrier_wait -1
	s_and_b32 s7, s5, vcc_lo
	s_delay_alu instid0(SALU_CYCLE_1)
	s_and_saveexec_b32 s6, s7
	s_cbranch_execz .LBB154_1034
; %bb.1033:                             ;   in Loop: Header=BB154_1030 Depth=2
	ds_load_b64 v[36:37], v34
	ds_load_b64 v[42:43], v1 offset:41472
	s_wait_dscnt 0x0
	v_pk_mul_f32 v[44:45], v[42:43], v[36:37] op_sel:[1,1] op_sel_hi:[0,1]
	s_delay_alu instid0(VALU_DEP_1) | instskip(SKIP_1) | instid1(VALU_DEP_2)
	v_pk_fma_f32 v[84:85], v[42:43], v[36:37], v[44:45] op_sel_hi:[1,0,1]
	v_pk_fma_f32 v[36:37], v[42:43], v[36:37], v[44:45] neg_lo:[0,0,1] neg_hi:[0,0,1]
	v_mov_b32_e32 v37, v85
	s_delay_alu instid0(VALU_DEP_1)
	v_pk_add_f32 v[40:41], v[40:41], v[36:37]
.LBB154_1034:                           ;   in Loop: Header=BB154_1030 Depth=2
	s_or_b32 exec_lo, exec_lo, s6
	s_or_b32 s6, s11, 1
	s_delay_alu instid0(SALU_CYCLE_1) | instskip(SKIP_3) | instid1(SALU_CYCLE_1)
	v_cmp_eq_u32_e32 vcc_lo, s6, v2
	s_barrier_signal -1
	s_barrier_wait -1
	s_and_b32 s7, s5, vcc_lo
	s_and_saveexec_b32 s96, s7
	s_cbranch_execz .LBB154_1036
; %bb.1035:                             ;   in Loop: Header=BB154_1030 Depth=2
	ds_load_b64 v[36:37], v77
	s_wait_dscnt 0x0
	v_pk_mul_f32 v[42:43], v[40:41], v[36:37] op_sel:[1,1] op_sel_hi:[1,0]
	s_delay_alu instid0(VALU_DEP_1) | instskip(SKIP_1) | instid1(VALU_DEP_2)
	v_pk_fma_f32 v[44:45], v[40:41], v[36:37], v[42:43] op_sel_hi:[0,1,1]
	v_pk_fma_f32 v[36:37], v[40:41], v[36:37], v[42:43] neg_lo:[0,0,1] neg_hi:[0,0,1]
	v_mov_b32_e32 v37, v45
	s_delay_alu instid0(VALU_DEP_1)
	v_mov_b64_e32 v[40:41], v[36:37]
	ds_store_b64 v1, v[36:37] offset:41472
.LBB154_1036:                           ;   in Loop: Header=BB154_1030 Depth=2
	s_or_b32 exec_lo, exec_lo, s96
	v_cmp_lt_u32_e32 vcc_lo, s6, v2
	s_wait_dscnt 0x0
	s_barrier_signal -1
	s_barrier_wait -1
	s_and_b32 s7, s5, vcc_lo
	s_delay_alu instid0(SALU_CYCLE_1)
	s_and_saveexec_b32 s6, s7
	s_cbranch_execz .LBB154_1029
; %bb.1037:                             ;   in Loop: Header=BB154_1030 Depth=2
	ds_load_b64 v[36:37], v34 offset:512
	ds_load_b64 v[42:43], v1 offset:41472
	s_wait_dscnt 0x0
	v_pk_mul_f32 v[44:45], v[42:43], v[36:37] op_sel:[1,1] op_sel_hi:[0,1]
	s_delay_alu instid0(VALU_DEP_1) | instskip(SKIP_1) | instid1(VALU_DEP_2)
	v_pk_fma_f32 v[84:85], v[42:43], v[36:37], v[44:45] op_sel_hi:[1,0,1]
	v_pk_fma_f32 v[36:37], v[42:43], v[36:37], v[44:45] neg_lo:[0,0,1] neg_hi:[0,0,1]
	v_mov_b32_e32 v37, v85
	s_delay_alu instid0(VALU_DEP_1)
	v_pk_add_f32 v[40:41], v[40:41], v[36:37]
	s_branch .LBB154_1029
.LBB154_1038:                           ;   in Loop: Header=BB154_3 Depth=1
	s_and_b32 vcc_lo, exec_lo, s101
	s_mov_b32 s6, -1
	s_cbranch_vccz .LBB154_1040
; %bb.1039:                             ;   in Loop: Header=BB154_3 Depth=1
	s_and_not1_b32 s7, s70, exec_lo
	s_and_b32 s10, s5, exec_lo
	s_mov_b32 s6, 0
	s_or_b32 s70, s7, s10
.LBB154_1040:                           ;   in Loop: Header=BB154_3 Depth=1
	s_and_not1_b32 vcc_lo, exec_lo, s6
	s_cbranch_vccnz .LBB154_1042
; %bb.1041:                             ;   in Loop: Header=BB154_3 Depth=1
	v_readlane_b32 s7, v94, 6
	s_and_not1_b32 s6, s70, exec_lo
	s_and_b32 s7, s7, exec_lo
	s_delay_alu instid0(SALU_CYCLE_1)
	s_or_b32 s70, s6, s7
.LBB154_1042:                           ;   in Loop: Header=BB154_3 Depth=1
	v_mov_b64_e32 v[34:35], v[14:15]
	s_and_saveexec_b32 s6, s70
	s_cbranch_execnz .LBB154_1045
	s_branch .LBB154_1046
.LBB154_1043:                           ;   in Loop: Header=BB154_3 Depth=1
	s_or_b32 exec_lo, exec_lo, s96
	s_delay_alu instid0(SALU_CYCLE_1)
	s_and_b32 vcc_lo, exec_lo, s11
	s_cbranch_vccnz .LBB154_1028
.LBB154_1044:                           ;   in Loop: Header=BB154_3 Depth=1
	v_mov_b64_e32 v[40:41], v[36:37]
	v_mov_b64_e32 v[34:35], v[30:31]
	s_and_saveexec_b32 s6, s70
	s_cbranch_execz .LBB154_1046
.LBB154_1045:                           ;   in Loop: Header=BB154_3 Depth=1
	s_delay_alu instid0(VALU_DEP_1)
	v_lshl_add_u64 v[34:35], v[34:35], 3, v[38:39]
	flat_store_b64 v[34:35], v[40:41]
.LBB154_1046:                           ;   in Loop: Header=BB154_3 Depth=1
	s_wait_xcnt 0x0
	s_or_b32 exec_lo, exec_lo, s6
	global_wb scope:SCOPE_DEV
	s_wait_storecnt_dscnt 0x0
	global_inv scope:SCOPE_DEV
	s_wait_loadcnt 0x0
	s_barrier_signal -1
	s_barrier_wait -1
	s_and_saveexec_b32 s6, s36
	s_cbranch_execz .LBB154_2
; %bb.1047:                             ;   in Loop: Header=BB154_3 Depth=1
	s_lshl_b64 s[96:97], s[84:85], 2
	s_delay_alu instid0(SALU_CYCLE_1)
	s_add_nc_u64 s[96:97], s[88:89], s[96:97]
	global_load_b32 v0, v1, s[96:97]
	s_wait_loadcnt 0x0
	v_add_nc_u32_e32 v0, 1, v0
	global_store_b32 v1, v0, s[96:97]
	s_branch .LBB154_2
.LBB154_1048:                           ;   in Loop: Header=BB154_3 Depth=1
	ds_load_b64 v[42:43], v55 offset:544
	ds_load_b64 v[44:45], v52 offset:8
	s_wait_dscnt 0x0
	v_pk_mul_f32 v[84:85], v[44:45], v[42:43] op_sel:[0,1]
	s_delay_alu instid0(VALU_DEP_1) | instskip(SKIP_1) | instid1(VALU_DEP_2)
	v_pk_fma_f32 v[86:87], v[44:45], v[42:43], v[84:85] op_sel:[1,0,0] op_sel_hi:[0,0,1] neg_lo:[0,0,1] neg_hi:[0,0,1]
	v_pk_fma_f32 v[42:43], v[44:45], v[42:43], v[84:85] op_sel:[1,0,0] op_sel_hi:[0,1,1]
	v_mov_b32_e32 v43, v87
	s_delay_alu instid0(VALU_DEP_1)
	v_pk_add_f32 v[40:41], v[40:41], v[42:43]
	s_or_b32 exec_lo, exec_lo, s6
	s_and_saveexec_b32 s6, s17
	s_cbranch_execz .LBB154_151
.LBB154_1049:                           ;   in Loop: Header=BB154_3 Depth=1
	ds_load_b64 v[42:43], v54 offset:1056
	ds_load_b64 v[44:45], v52 offset:16
	s_wait_dscnt 0x0
	v_pk_mul_f32 v[84:85], v[44:45], v[42:43] op_sel:[0,1]
	s_delay_alu instid0(VALU_DEP_1) | instskip(SKIP_1) | instid1(VALU_DEP_2)
	v_pk_fma_f32 v[86:87], v[44:45], v[42:43], v[84:85] op_sel:[1,0,0] op_sel_hi:[0,0,1] neg_lo:[0,0,1] neg_hi:[0,0,1]
	v_pk_fma_f32 v[42:43], v[44:45], v[42:43], v[84:85] op_sel:[1,0,0] op_sel_hi:[0,1,1]
	v_mov_b32_e32 v43, v87
	s_delay_alu instid0(VALU_DEP_1)
	v_pk_add_f32 v[40:41], v[40:41], v[42:43]
	s_or_b32 exec_lo, exec_lo, s6
	s_and_saveexec_b32 s6, s1
	s_cbranch_execnz .LBB154_152
	s_branch .LBB154_153
.LBB154_1050:                           ;   in Loop: Header=BB154_3 Depth=1
	ds_load_b64 v[42:43], v60 offset:576
	ds_load_b64 v[44:45], v56 offset:8
	s_wait_dscnt 0x0
	v_dual_mul_f32 v0, v45, v43 :: v_dual_mul_f32 v43, v44, v43
	s_delay_alu instid0(VALU_DEP_1) | instskip(NEXT) | instid1(VALU_DEP_1)
	v_dual_fma_f32 v0, v44, v42, -v0 :: v_dual_fmac_f32 v43, v45, v42
	v_dual_add_f32 v41, v41, v0 :: v_dual_add_f32 v40, v40, v43
	s_or_b32 exec_lo, exec_lo, s6
	s_and_saveexec_b32 s6, s19
	s_cbranch_execz .LBB154_189
.LBB154_1051:                           ;   in Loop: Header=BB154_3 Depth=1
	ds_load_b64 v[42:43], v60 offset:1088
	ds_load_b64 v[44:45], v56 offset:16
	s_wait_dscnt 0x0
	v_dual_mul_f32 v0, v45, v43 :: v_dual_mul_f32 v43, v44, v43
	s_delay_alu instid0(VALU_DEP_1) | instskip(NEXT) | instid1(VALU_DEP_1)
	v_dual_fma_f32 v0, v44, v42, -v0 :: v_dual_fmac_f32 v43, v45, v42
	v_dual_add_f32 v41, v41, v0 :: v_dual_add_f32 v40, v40, v43
	s_or_b32 exec_lo, exec_lo, s6
	s_and_saveexec_b32 s6, s20
	s_cbranch_execz .LBB154_190
.LBB154_1052:                           ;   in Loop: Header=BB154_3 Depth=1
	ds_load_b64 v[42:43], v60 offset:1600
	ds_load_b64 v[44:45], v56 offset:24
	s_wait_dscnt 0x0
	v_dual_mul_f32 v0, v45, v43 :: v_dual_mul_f32 v43, v44, v43
	s_delay_alu instid0(VALU_DEP_1) | instskip(NEXT) | instid1(VALU_DEP_1)
	v_dual_fma_f32 v0, v44, v42, -v0 :: v_dual_fmac_f32 v43, v45, v42
	v_dual_add_f32 v41, v41, v0 :: v_dual_add_f32 v40, v40, v43
	s_or_b32 exec_lo, exec_lo, s6
	s_and_saveexec_b32 s6, s21
	s_cbranch_execz .LBB154_191
.LBB154_1053:                           ;   in Loop: Header=BB154_3 Depth=1
	ds_load_b64 v[42:43], v59 offset:2112
	ds_load_b64 v[44:45], v56 offset:32
	s_wait_dscnt 0x0
	v_dual_mul_f32 v0, v45, v43 :: v_dual_mul_f32 v84, v44, v43
	s_delay_alu instid0(VALU_DEP_1) | instskip(NEXT) | instid1(VALU_DEP_2)
	v_fma_f32 v85, v44, v42, -v0
	v_fmac_f32_e32 v84, v45, v42
	s_delay_alu instid0(VALU_DEP_1)
	v_pk_add_f32 v[40:41], v[40:41], v[84:85]
	s_or_b32 exec_lo, exec_lo, s6
	s_and_saveexec_b32 s6, s22
	s_cbranch_execz .LBB154_192
.LBB154_1054:                           ;   in Loop: Header=BB154_3 Depth=1
	ds_load_b64 v[42:43], v60 offset:2624
	ds_load_b64 v[44:45], v56 offset:40
	s_wait_dscnt 0x0
	v_pk_mul_f32 v[84:85], v[44:45], v[42:43] op_sel:[0,1]
	s_delay_alu instid0(VALU_DEP_1) | instskip(SKIP_1) | instid1(VALU_DEP_2)
	v_pk_fma_f32 v[86:87], v[44:45], v[42:43], v[84:85] op_sel:[1,0,0] op_sel_hi:[0,0,1] neg_lo:[0,0,1] neg_hi:[0,0,1]
	v_pk_fma_f32 v[42:43], v[44:45], v[42:43], v[84:85] op_sel:[1,0,0] op_sel_hi:[0,1,1]
	v_mov_b32_e32 v43, v87
	s_delay_alu instid0(VALU_DEP_1)
	v_pk_add_f32 v[40:41], v[40:41], v[42:43]
	s_or_b32 exec_lo, exec_lo, s6
	s_and_saveexec_b32 s6, s2
	s_cbranch_execz .LBB154_193
.LBB154_1055:                           ;   in Loop: Header=BB154_3 Depth=1
	ds_load_b64 v[42:43], v59 offset:3136
	ds_load_b64 v[44:45], v56 offset:48
	s_wait_dscnt 0x0
	v_pk_mul_f32 v[84:85], v[44:45], v[42:43] op_sel:[0,1]
	s_delay_alu instid0(VALU_DEP_1) | instskip(SKIP_1) | instid1(VALU_DEP_2)
	v_pk_fma_f32 v[86:87], v[44:45], v[42:43], v[84:85] op_sel:[1,0,0] op_sel_hi:[0,0,1] neg_lo:[0,0,1] neg_hi:[0,0,1]
	v_pk_fma_f32 v[42:43], v[44:45], v[42:43], v[84:85] op_sel:[1,0,0] op_sel_hi:[0,1,1]
	v_mov_b32_e32 v43, v87
	s_delay_alu instid0(VALU_DEP_1)
	v_pk_add_f32 v[40:41], v[40:41], v[42:43]
	s_or_b32 exec_lo, exec_lo, s6
	s_and_saveexec_b32 s6, s17
	s_cbranch_execnz .LBB154_194
	s_branch .LBB154_195
.LBB154_1056:                           ;   in Loop: Header=BB154_3 Depth=1
	ds_load_b64 v[42:43], v55 offset:4704
	ds_load_b64 v[44:45], v52 offset:4168
	s_wait_dscnt 0x0
	v_pk_mul_f32 v[84:85], v[44:45], v[42:43] op_sel:[0,1]
	s_delay_alu instid0(VALU_DEP_1) | instskip(SKIP_1) | instid1(VALU_DEP_2)
	v_pk_fma_f32 v[86:87], v[44:45], v[42:43], v[84:85] op_sel:[1,0,0] op_sel_hi:[0,0,1] neg_lo:[0,0,1] neg_hi:[0,0,1]
	v_pk_fma_f32 v[42:43], v[44:45], v[42:43], v[84:85] op_sel:[1,0,0] op_sel_hi:[0,1,1]
	v_mov_b32_e32 v43, v87
	s_delay_alu instid0(VALU_DEP_1)
	v_pk_add_f32 v[40:41], v[40:41], v[42:43]
	s_or_b32 exec_lo, exec_lo, s6
	s_and_saveexec_b32 s6, s17
	s_cbranch_execz .LBB154_247
.LBB154_1057:                           ;   in Loop: Header=BB154_3 Depth=1
	ds_load_b64 v[42:43], v54 offset:5216
	ds_load_b64 v[44:45], v52 offset:4176
	s_wait_dscnt 0x0
	v_pk_mul_f32 v[84:85], v[44:45], v[42:43] op_sel:[0,1]
	s_delay_alu instid0(VALU_DEP_1) | instskip(SKIP_1) | instid1(VALU_DEP_2)
	v_pk_fma_f32 v[86:87], v[44:45], v[42:43], v[84:85] op_sel:[1,0,0] op_sel_hi:[0,0,1] neg_lo:[0,0,1] neg_hi:[0,0,1]
	v_pk_fma_f32 v[42:43], v[44:45], v[42:43], v[84:85] op_sel:[1,0,0] op_sel_hi:[0,1,1]
	v_mov_b32_e32 v43, v87
	s_delay_alu instid0(VALU_DEP_1)
	v_pk_add_f32 v[40:41], v[40:41], v[42:43]
	s_or_b32 exec_lo, exec_lo, s6
	s_and_saveexec_b32 s6, s1
	s_cbranch_execnz .LBB154_248
	s_branch .LBB154_249
.LBB154_1058:                           ;   in Loop: Header=BB154_3 Depth=1
	ds_load_b64 v[42:43], v65 offset:5760
	ds_load_b64 v[44:45], v61 offset:88
	s_wait_dscnt 0x0
	v_dual_mul_f32 v0, v45, v43 :: v_dual_mul_f32 v43, v44, v43
	s_delay_alu instid0(VALU_DEP_1) | instskip(NEXT) | instid1(VALU_DEP_1)
	v_dual_fma_f32 v0, v44, v42, -v0 :: v_dual_fmac_f32 v43, v45, v42
	v_dual_add_f32 v41, v41, v0 :: v_dual_add_f32 v40, v40, v43
	s_or_b32 exec_lo, exec_lo, s6
	s_and_saveexec_b32 s6, s3
	s_cbranch_execz .LBB154_305
.LBB154_1059:                           ;   in Loop: Header=BB154_3 Depth=1
	ds_load_b64 v[42:43], v64 offset:6272
	ds_load_b64 v[44:45], v61 offset:96
	s_wait_dscnt 0x0
	v_dual_mul_f32 v0, v45, v43 :: v_dual_mul_f32 v84, v44, v43
	s_delay_alu instid0(VALU_DEP_1) | instskip(NEXT) | instid1(VALU_DEP_2)
	v_fma_f32 v85, v44, v42, -v0
	v_fmac_f32_e32 v84, v45, v42
	s_delay_alu instid0(VALU_DEP_1)
	v_pk_add_f32 v[40:41], v[40:41], v[84:85]
	s_or_b32 exec_lo, exec_lo, s6
	s_and_saveexec_b32 s6, s19
	s_cbranch_execz .LBB154_306
.LBB154_1060:                           ;   in Loop: Header=BB154_3 Depth=1
	ds_load_b64 v[42:43], v65 offset:6784
	ds_load_b64 v[44:45], v61 offset:104
	s_wait_dscnt 0x0
	v_pk_mul_f32 v[84:85], v[44:45], v[42:43] op_sel:[0,1]
	s_delay_alu instid0(VALU_DEP_1) | instskip(SKIP_1) | instid1(VALU_DEP_2)
	v_pk_fma_f32 v[86:87], v[44:45], v[42:43], v[84:85] op_sel:[1,0,0] op_sel_hi:[0,0,1] neg_lo:[0,0,1] neg_hi:[0,0,1]
	v_pk_fma_f32 v[42:43], v[44:45], v[42:43], v[84:85] op_sel:[1,0,0] op_sel_hi:[0,1,1]
	v_mov_b32_e32 v43, v87
	s_delay_alu instid0(VALU_DEP_1)
	v_pk_add_f32 v[40:41], v[40:41], v[42:43]
	s_or_b32 exec_lo, exec_lo, s6
	s_and_saveexec_b32 s6, s21
	s_cbranch_execz .LBB154_307
.LBB154_1061:                           ;   in Loop: Header=BB154_3 Depth=1
	ds_load_b64 v[42:43], v64 offset:7296
	ds_load_b64 v[44:45], v61 offset:112
	s_wait_dscnt 0x0
	v_pk_mul_f32 v[84:85], v[44:45], v[42:43] op_sel:[0,1]
	s_delay_alu instid0(VALU_DEP_1) | instskip(SKIP_1) | instid1(VALU_DEP_2)
	v_pk_fma_f32 v[86:87], v[44:45], v[42:43], v[84:85] op_sel:[1,0,0] op_sel_hi:[0,0,1] neg_lo:[0,0,1] neg_hi:[0,0,1]
	v_pk_fma_f32 v[42:43], v[44:45], v[42:43], v[84:85] op_sel:[1,0,0] op_sel_hi:[0,1,1]
	v_mov_b32_e32 v43, v87
	s_delay_alu instid0(VALU_DEP_1)
	v_pk_add_f32 v[40:41], v[40:41], v[42:43]
	s_or_b32 exec_lo, exec_lo, s6
	s_and_saveexec_b32 s6, s2
	s_cbranch_execnz .LBB154_308
	s_branch .LBB154_309
.LBB154_1062:                           ;   in Loop: Header=BB154_3 Depth=1
	ds_load_b64 v[42:43], v55 offset:8864
	ds_load_b64 v[44:45], v52 offset:8328
	s_wait_dscnt 0x0
	v_pk_mul_f32 v[84:85], v[44:45], v[42:43] op_sel:[0,1]
	s_delay_alu instid0(VALU_DEP_1) | instskip(SKIP_1) | instid1(VALU_DEP_2)
	v_pk_fma_f32 v[86:87], v[44:45], v[42:43], v[84:85] op_sel:[1,0,0] op_sel_hi:[0,0,1] neg_lo:[0,0,1] neg_hi:[0,0,1]
	v_pk_fma_f32 v[42:43], v[44:45], v[42:43], v[84:85] op_sel:[1,0,0] op_sel_hi:[0,1,1]
	v_mov_b32_e32 v43, v87
	s_delay_alu instid0(VALU_DEP_1)
	v_pk_add_f32 v[40:41], v[40:41], v[42:43]
	s_or_b32 exec_lo, exec_lo, s6
	s_and_saveexec_b32 s6, s17
	s_cbranch_execz .LBB154_393
.LBB154_1063:                           ;   in Loop: Header=BB154_3 Depth=1
	ds_load_b64 v[42:43], v54 offset:9376
	ds_load_b64 v[44:45], v52 offset:8336
	s_wait_dscnt 0x0
	v_pk_mul_f32 v[84:85], v[44:45], v[42:43] op_sel:[0,1]
	s_delay_alu instid0(VALU_DEP_1) | instskip(SKIP_1) | instid1(VALU_DEP_2)
	v_pk_fma_f32 v[86:87], v[44:45], v[42:43], v[84:85] op_sel:[1,0,0] op_sel_hi:[0,0,1] neg_lo:[0,0,1] neg_hi:[0,0,1]
	v_pk_fma_f32 v[42:43], v[44:45], v[42:43], v[84:85] op_sel:[1,0,0] op_sel_hi:[0,1,1]
	v_mov_b32_e32 v43, v87
	s_delay_alu instid0(VALU_DEP_1)
	v_pk_add_f32 v[40:41], v[40:41], v[42:43]
	s_or_b32 exec_lo, exec_lo, s6
	s_and_saveexec_b32 s6, s1
	s_cbranch_execnz .LBB154_394
	s_branch .LBB154_395
.LBB154_1064:                           ;   in Loop: Header=BB154_3 Depth=1
	ds_load_b64 v[42:43], v60 offset:8896
	ds_load_b64 v[44:45], v56 offset:8328
	s_wait_dscnt 0x0
	v_dual_mul_f32 v0, v45, v43 :: v_dual_mul_f32 v43, v44, v43
	s_delay_alu instid0(VALU_DEP_1) | instskip(NEXT) | instid1(VALU_DEP_1)
	v_dual_fma_f32 v0, v44, v42, -v0 :: v_dual_fmac_f32 v43, v45, v42
	v_dual_add_f32 v41, v41, v0 :: v_dual_add_f32 v40, v40, v43
	s_or_b32 exec_lo, exec_lo, s6
	s_and_saveexec_b32 s6, s19
	s_cbranch_execz .LBB154_431
.LBB154_1065:                           ;   in Loop: Header=BB154_3 Depth=1
	ds_load_b64 v[42:43], v60 offset:9408
	ds_load_b64 v[44:45], v56 offset:8336
	s_wait_dscnt 0x0
	v_dual_mul_f32 v0, v45, v43 :: v_dual_mul_f32 v43, v44, v43
	s_delay_alu instid0(VALU_DEP_1) | instskip(NEXT) | instid1(VALU_DEP_1)
	v_dual_fma_f32 v0, v44, v42, -v0 :: v_dual_fmac_f32 v43, v45, v42
	v_dual_add_f32 v41, v41, v0 :: v_dual_add_f32 v40, v40, v43
	s_or_b32 exec_lo, exec_lo, s6
	s_and_saveexec_b32 s6, s20
	s_cbranch_execz .LBB154_432
.LBB154_1066:                           ;   in Loop: Header=BB154_3 Depth=1
	ds_load_b64 v[42:43], v60 offset:9920
	ds_load_b64 v[44:45], v56 offset:8344
	s_wait_dscnt 0x0
	v_dual_mul_f32 v0, v45, v43 :: v_dual_mul_f32 v43, v44, v43
	s_delay_alu instid0(VALU_DEP_1) | instskip(NEXT) | instid1(VALU_DEP_1)
	v_dual_fma_f32 v0, v44, v42, -v0 :: v_dual_fmac_f32 v43, v45, v42
	v_dual_add_f32 v41, v41, v0 :: v_dual_add_f32 v40, v40, v43
	s_or_b32 exec_lo, exec_lo, s6
	s_and_saveexec_b32 s6, s21
	s_cbranch_execz .LBB154_433
.LBB154_1067:                           ;   in Loop: Header=BB154_3 Depth=1
	ds_load_b64 v[42:43], v59 offset:10432
	ds_load_b64 v[44:45], v56 offset:8352
	s_wait_dscnt 0x0
	v_dual_mul_f32 v0, v45, v43 :: v_dual_mul_f32 v84, v44, v43
	s_delay_alu instid0(VALU_DEP_1) | instskip(NEXT) | instid1(VALU_DEP_2)
	v_fma_f32 v85, v44, v42, -v0
	v_fmac_f32_e32 v84, v45, v42
	s_delay_alu instid0(VALU_DEP_1)
	v_pk_add_f32 v[40:41], v[40:41], v[84:85]
	s_or_b32 exec_lo, exec_lo, s6
	s_and_saveexec_b32 s6, s22
	s_cbranch_execz .LBB154_434
.LBB154_1068:                           ;   in Loop: Header=BB154_3 Depth=1
	ds_load_b64 v[42:43], v60 offset:10944
	ds_load_b64 v[44:45], v56 offset:8360
	s_wait_dscnt 0x0
	v_pk_mul_f32 v[84:85], v[44:45], v[42:43] op_sel:[0,1]
	s_delay_alu instid0(VALU_DEP_1) | instskip(SKIP_1) | instid1(VALU_DEP_2)
	v_pk_fma_f32 v[86:87], v[44:45], v[42:43], v[84:85] op_sel:[1,0,0] op_sel_hi:[0,0,1] neg_lo:[0,0,1] neg_hi:[0,0,1]
	v_pk_fma_f32 v[42:43], v[44:45], v[42:43], v[84:85] op_sel:[1,0,0] op_sel_hi:[0,1,1]
	v_mov_b32_e32 v43, v87
	s_delay_alu instid0(VALU_DEP_1)
	v_pk_add_f32 v[40:41], v[40:41], v[42:43]
	s_or_b32 exec_lo, exec_lo, s6
	s_and_saveexec_b32 s6, s2
	s_cbranch_execz .LBB154_435
.LBB154_1069:                           ;   in Loop: Header=BB154_3 Depth=1
	ds_load_b64 v[42:43], v59 offset:11456
	ds_load_b64 v[44:45], v56 offset:8368
	s_wait_dscnt 0x0
	v_pk_mul_f32 v[84:85], v[44:45], v[42:43] op_sel:[0,1]
	s_delay_alu instid0(VALU_DEP_1) | instskip(SKIP_1) | instid1(VALU_DEP_2)
	v_pk_fma_f32 v[86:87], v[44:45], v[42:43], v[84:85] op_sel:[1,0,0] op_sel_hi:[0,0,1] neg_lo:[0,0,1] neg_hi:[0,0,1]
	v_pk_fma_f32 v[42:43], v[44:45], v[42:43], v[84:85] op_sel:[1,0,0] op_sel_hi:[0,1,1]
	v_mov_b32_e32 v43, v87
	s_delay_alu instid0(VALU_DEP_1)
	v_pk_add_f32 v[40:41], v[40:41], v[42:43]
	s_or_b32 exec_lo, exec_lo, s6
	s_and_saveexec_b32 s6, s17
	s_cbranch_execnz .LBB154_436
	s_branch .LBB154_437
.LBB154_1070:                           ;   in Loop: Header=BB154_3 Depth=1
	ds_load_b64 v[42:43], v55 offset:13024
	ds_load_b64 v[44:45], v52 offset:12488
	s_wait_dscnt 0x0
	v_pk_mul_f32 v[84:85], v[44:45], v[42:43] op_sel:[0,1]
	s_delay_alu instid0(VALU_DEP_1) | instskip(SKIP_1) | instid1(VALU_DEP_2)
	v_pk_fma_f32 v[86:87], v[44:45], v[42:43], v[84:85] op_sel:[1,0,0] op_sel_hi:[0,0,1] neg_lo:[0,0,1] neg_hi:[0,0,1]
	v_pk_fma_f32 v[42:43], v[44:45], v[42:43], v[84:85] op_sel:[1,0,0] op_sel_hi:[0,1,1]
	v_mov_b32_e32 v43, v87
	s_delay_alu instid0(VALU_DEP_1)
	v_pk_add_f32 v[40:41], v[40:41], v[42:43]
	s_or_b32 exec_lo, exec_lo, s6
	s_and_saveexec_b32 s6, s17
	s_cbranch_execz .LBB154_489
.LBB154_1071:                           ;   in Loop: Header=BB154_3 Depth=1
	ds_load_b64 v[42:43], v54 offset:13536
	ds_load_b64 v[44:45], v52 offset:12496
	s_wait_dscnt 0x0
	v_pk_mul_f32 v[84:85], v[44:45], v[42:43] op_sel:[0,1]
	s_delay_alu instid0(VALU_DEP_1) | instskip(SKIP_1) | instid1(VALU_DEP_2)
	v_pk_fma_f32 v[86:87], v[44:45], v[42:43], v[84:85] op_sel:[1,0,0] op_sel_hi:[0,0,1] neg_lo:[0,0,1] neg_hi:[0,0,1]
	v_pk_fma_f32 v[42:43], v[44:45], v[42:43], v[84:85] op_sel:[1,0,0] op_sel_hi:[0,1,1]
	v_mov_b32_e32 v43, v87
	s_delay_alu instid0(VALU_DEP_1)
	v_pk_add_f32 v[40:41], v[40:41], v[42:43]
	s_or_b32 exec_lo, exec_lo, s6
	s_and_saveexec_b32 s6, s1
	s_cbranch_execnz .LBB154_490
	s_branch .LBB154_491
.LBB154_1072:                           ;   in Loop: Header=BB154_3 Depth=1
	ds_load_b64 v[44:45], v42 offset:15104
	ds_load_b64 v[84:85], v0 offset:232
	s_wait_dscnt 0x0
	v_pk_mul_f32 v[86:87], v[84:85], v[44:45] op_sel:[1,1] op_sel_hi:[0,1]
	s_delay_alu instid0(VALU_DEP_1) | instskip(SKIP_1) | instid1(VALU_DEP_2)
	v_pk_fma_f32 v[88:89], v[84:85], v[44:45], v[86:87] op_sel_hi:[1,0,1]
	v_pk_fma_f32 v[44:45], v[84:85], v[44:45], v[86:87] neg_lo:[0,0,1] neg_hi:[0,0,1]
	v_mov_b32_e32 v45, v89
	s_delay_alu instid0(VALU_DEP_1)
	v_pk_add_f32 v[40:41], v[40:41], v[44:45]
	s_or_b32 exec_lo, exec_lo, s6
	s_and_saveexec_b32 s6, s3
	s_cbranch_execz .LBB154_583
.LBB154_1073:                           ;   in Loop: Header=BB154_3 Depth=1
	ds_load_b64 v[42:43], v42 offset:15616
	ds_load_b64 v[44:45], v0 offset:240
	s_wait_dscnt 0x0
	v_pk_mul_f32 v[84:85], v[44:45], v[42:43] op_sel:[1,1] op_sel_hi:[0,1]
	s_delay_alu instid0(VALU_DEP_1) | instskip(SKIP_1) | instid1(VALU_DEP_2)
	v_pk_fma_f32 v[86:87], v[44:45], v[42:43], v[84:85] op_sel_hi:[1,0,1]
	v_pk_fma_f32 v[42:43], v[44:45], v[42:43], v[84:85] neg_lo:[0,0,1] neg_hi:[0,0,1]
	v_mov_b32_e32 v43, v87
	s_delay_alu instid0(VALU_DEP_1)
	v_pk_add_f32 v[40:41], v[40:41], v[42:43]
	s_or_b32 exec_lo, exec_lo, s6
	s_and_saveexec_b32 s6, s21
	s_cbranch_execnz .LBB154_584
	s_branch .LBB154_585
.LBB154_1074:                           ;   in Loop: Header=BB154_3 Depth=1
	ds_load_b64 v[42:43], v55 offset:17184
	ds_load_b64 v[44:45], v52 offset:16648
	s_wait_dscnt 0x0
	v_pk_mul_f32 v[84:85], v[44:45], v[42:43] op_sel:[0,1]
	s_delay_alu instid0(VALU_DEP_1) | instskip(SKIP_1) | instid1(VALU_DEP_2)
	v_pk_fma_f32 v[86:87], v[44:45], v[42:43], v[84:85] op_sel:[1,0,0] op_sel_hi:[0,0,1] neg_lo:[0,0,1] neg_hi:[0,0,1]
	v_pk_fma_f32 v[42:43], v[44:45], v[42:43], v[84:85] op_sel:[1,0,0] op_sel_hi:[0,1,1]
	v_mov_b32_e32 v43, v87
	s_delay_alu instid0(VALU_DEP_1)
	v_pk_add_f32 v[40:41], v[40:41], v[42:43]
	s_or_b32 exec_lo, exec_lo, s6
	s_and_saveexec_b32 s6, s17
	s_cbranch_execz .LBB154_617
.LBB154_1075:                           ;   in Loop: Header=BB154_3 Depth=1
	ds_load_b64 v[42:43], v54 offset:17696
	ds_load_b64 v[44:45], v52 offset:16656
	s_wait_dscnt 0x0
	v_pk_mul_f32 v[84:85], v[44:45], v[42:43] op_sel:[0,1]
	s_delay_alu instid0(VALU_DEP_1) | instskip(SKIP_1) | instid1(VALU_DEP_2)
	v_pk_fma_f32 v[86:87], v[44:45], v[42:43], v[84:85] op_sel:[1,0,0] op_sel_hi:[0,0,1] neg_lo:[0,0,1] neg_hi:[0,0,1]
	v_pk_fma_f32 v[42:43], v[44:45], v[42:43], v[84:85] op_sel:[1,0,0] op_sel_hi:[0,1,1]
	v_mov_b32_e32 v43, v87
	s_delay_alu instid0(VALU_DEP_1)
	v_pk_add_f32 v[40:41], v[40:41], v[42:43]
	s_or_b32 exec_lo, exec_lo, s6
	s_and_saveexec_b32 s6, s1
	s_cbranch_execnz .LBB154_618
	s_branch .LBB154_619
.LBB154_1076:                           ;   in Loop: Header=BB154_3 Depth=1
	ds_load_b64 v[42:43], v60 offset:17216
	ds_load_b64 v[44:45], v56 offset:16648
	s_wait_dscnt 0x0
	v_dual_mul_f32 v0, v45, v43 :: v_dual_mul_f32 v43, v44, v43
	s_delay_alu instid0(VALU_DEP_1) | instskip(NEXT) | instid1(VALU_DEP_1)
	v_dual_fma_f32 v0, v44, v42, -v0 :: v_dual_fmac_f32 v43, v45, v42
	v_dual_add_f32 v41, v41, v0 :: v_dual_add_f32 v40, v40, v43
	s_or_b32 exec_lo, exec_lo, s6
	s_and_saveexec_b32 s6, s19
	s_cbranch_execz .LBB154_655
.LBB154_1077:                           ;   in Loop: Header=BB154_3 Depth=1
	ds_load_b64 v[42:43], v60 offset:17728
	ds_load_b64 v[44:45], v56 offset:16656
	s_wait_dscnt 0x0
	v_dual_mul_f32 v0, v45, v43 :: v_dual_mul_f32 v43, v44, v43
	s_delay_alu instid0(VALU_DEP_1) | instskip(NEXT) | instid1(VALU_DEP_1)
	v_dual_fma_f32 v0, v44, v42, -v0 :: v_dual_fmac_f32 v43, v45, v42
	v_dual_add_f32 v41, v41, v0 :: v_dual_add_f32 v40, v40, v43
	s_or_b32 exec_lo, exec_lo, s6
	s_and_saveexec_b32 s6, s20
	s_cbranch_execz .LBB154_656
.LBB154_1078:                           ;   in Loop: Header=BB154_3 Depth=1
	ds_load_b64 v[42:43], v60 offset:18240
	ds_load_b64 v[44:45], v56 offset:16664
	s_wait_dscnt 0x0
	v_dual_mul_f32 v0, v45, v43 :: v_dual_mul_f32 v43, v44, v43
	s_delay_alu instid0(VALU_DEP_1) | instskip(NEXT) | instid1(VALU_DEP_1)
	v_dual_fma_f32 v0, v44, v42, -v0 :: v_dual_fmac_f32 v43, v45, v42
	v_dual_add_f32 v41, v41, v0 :: v_dual_add_f32 v40, v40, v43
	s_or_b32 exec_lo, exec_lo, s6
	s_and_saveexec_b32 s6, s21
	s_cbranch_execz .LBB154_657
.LBB154_1079:                           ;   in Loop: Header=BB154_3 Depth=1
	ds_load_b64 v[42:43], v59 offset:18752
	ds_load_b64 v[44:45], v56 offset:16672
	s_wait_dscnt 0x0
	v_dual_mul_f32 v0, v45, v43 :: v_dual_mul_f32 v84, v44, v43
	s_delay_alu instid0(VALU_DEP_1) | instskip(NEXT) | instid1(VALU_DEP_2)
	v_fma_f32 v85, v44, v42, -v0
	v_fmac_f32_e32 v84, v45, v42
	s_delay_alu instid0(VALU_DEP_1)
	v_pk_add_f32 v[40:41], v[40:41], v[84:85]
	s_or_b32 exec_lo, exec_lo, s6
	s_and_saveexec_b32 s6, s22
	s_cbranch_execz .LBB154_658
.LBB154_1080:                           ;   in Loop: Header=BB154_3 Depth=1
	ds_load_b64 v[42:43], v60 offset:19264
	ds_load_b64 v[44:45], v56 offset:16680
	s_wait_dscnt 0x0
	v_pk_mul_f32 v[84:85], v[44:45], v[42:43] op_sel:[0,1]
	s_delay_alu instid0(VALU_DEP_1) | instskip(SKIP_1) | instid1(VALU_DEP_2)
	v_pk_fma_f32 v[86:87], v[44:45], v[42:43], v[84:85] op_sel:[1,0,0] op_sel_hi:[0,0,1] neg_lo:[0,0,1] neg_hi:[0,0,1]
	v_pk_fma_f32 v[42:43], v[44:45], v[42:43], v[84:85] op_sel:[1,0,0] op_sel_hi:[0,1,1]
	v_mov_b32_e32 v43, v87
	s_delay_alu instid0(VALU_DEP_1)
	v_pk_add_f32 v[40:41], v[40:41], v[42:43]
	s_or_b32 exec_lo, exec_lo, s6
	s_and_saveexec_b32 s6, s2
	s_cbranch_execz .LBB154_659
.LBB154_1081:                           ;   in Loop: Header=BB154_3 Depth=1
	ds_load_b64 v[42:43], v59 offset:19776
	ds_load_b64 v[44:45], v56 offset:16688
	s_wait_dscnt 0x0
	v_pk_mul_f32 v[84:85], v[44:45], v[42:43] op_sel:[0,1]
	s_delay_alu instid0(VALU_DEP_1) | instskip(SKIP_1) | instid1(VALU_DEP_2)
	v_pk_fma_f32 v[86:87], v[44:45], v[42:43], v[84:85] op_sel:[1,0,0] op_sel_hi:[0,0,1] neg_lo:[0,0,1] neg_hi:[0,0,1]
	v_pk_fma_f32 v[42:43], v[44:45], v[42:43], v[84:85] op_sel:[1,0,0] op_sel_hi:[0,1,1]
	v_mov_b32_e32 v43, v87
	s_delay_alu instid0(VALU_DEP_1)
	v_pk_add_f32 v[40:41], v[40:41], v[42:43]
	s_or_b32 exec_lo, exec_lo, s6
	s_and_saveexec_b32 s6, s17
	s_cbranch_execnz .LBB154_660
	s_branch .LBB154_661
.LBB154_1082:                           ;   in Loop: Header=BB154_3 Depth=1
	ds_load_b64 v[42:43], v55 offset:21344
	ds_load_b64 v[44:45], v52 offset:20808
	s_wait_dscnt 0x0
	v_pk_mul_f32 v[84:85], v[44:45], v[42:43] op_sel:[0,1]
	s_delay_alu instid0(VALU_DEP_1) | instskip(SKIP_1) | instid1(VALU_DEP_2)
	v_pk_fma_f32 v[86:87], v[44:45], v[42:43], v[84:85] op_sel:[1,0,0] op_sel_hi:[0,0,1] neg_lo:[0,0,1] neg_hi:[0,0,1]
	v_pk_fma_f32 v[42:43], v[44:45], v[42:43], v[84:85] op_sel:[1,0,0] op_sel_hi:[0,1,1]
	v_mov_b32_e32 v43, v87
	s_delay_alu instid0(VALU_DEP_1)
	v_pk_add_f32 v[40:41], v[40:41], v[42:43]
	s_or_b32 exec_lo, exec_lo, s6
	s_and_saveexec_b32 s6, s17
	s_cbranch_execz .LBB154_713
.LBB154_1083:                           ;   in Loop: Header=BB154_3 Depth=1
	ds_load_b64 v[42:43], v54 offset:21856
	ds_load_b64 v[44:45], v52 offset:20816
	s_wait_dscnt 0x0
	v_pk_mul_f32 v[84:85], v[44:45], v[42:43] op_sel:[0,1]
	s_delay_alu instid0(VALU_DEP_1) | instskip(SKIP_1) | instid1(VALU_DEP_2)
	v_pk_fma_f32 v[86:87], v[44:45], v[42:43], v[84:85] op_sel:[1,0,0] op_sel_hi:[0,0,1] neg_lo:[0,0,1] neg_hi:[0,0,1]
	v_pk_fma_f32 v[42:43], v[44:45], v[42:43], v[84:85] op_sel:[1,0,0] op_sel_hi:[0,1,1]
	v_mov_b32_e32 v43, v87
	s_delay_alu instid0(VALU_DEP_1)
	v_pk_add_f32 v[40:41], v[40:41], v[42:43]
	s_or_b32 exec_lo, exec_lo, s6
	s_and_saveexec_b32 s6, s1
	s_cbranch_execnz .LBB154_714
	s_branch .LBB154_715
.LBB154_1084:                           ;   in Loop: Header=BB154_3 Depth=1
	ds_load_b64 v[42:43], v65 offset:22400
	ds_load_b64 v[44:45], v61 offset:16728
	s_wait_dscnt 0x0
	v_dual_mul_f32 v0, v45, v43 :: v_dual_mul_f32 v43, v44, v43
	s_delay_alu instid0(VALU_DEP_1) | instskip(NEXT) | instid1(VALU_DEP_1)
	v_dual_fma_f32 v0, v44, v42, -v0 :: v_dual_fmac_f32 v43, v45, v42
	v_dual_add_f32 v41, v41, v0 :: v_dual_add_f32 v40, v40, v43
	s_or_b32 exec_lo, exec_lo, s6
	s_and_saveexec_b32 s6, s3
	s_cbranch_execz .LBB154_771
.LBB154_1085:                           ;   in Loop: Header=BB154_3 Depth=1
	ds_load_b64 v[42:43], v64 offset:22912
	ds_load_b64 v[44:45], v61 offset:16736
	s_wait_dscnt 0x0
	v_dual_mul_f32 v0, v45, v43 :: v_dual_mul_f32 v84, v44, v43
	s_delay_alu instid0(VALU_DEP_1) | instskip(NEXT) | instid1(VALU_DEP_2)
	v_fma_f32 v85, v44, v42, -v0
	v_fmac_f32_e32 v84, v45, v42
	s_delay_alu instid0(VALU_DEP_1)
	v_pk_add_f32 v[40:41], v[40:41], v[84:85]
	s_or_b32 exec_lo, exec_lo, s6
	s_and_saveexec_b32 s6, s19
	s_cbranch_execz .LBB154_772
.LBB154_1086:                           ;   in Loop: Header=BB154_3 Depth=1
	ds_load_b64 v[42:43], v65 offset:23424
	ds_load_b64 v[44:45], v61 offset:16744
	s_wait_dscnt 0x0
	v_pk_mul_f32 v[84:85], v[44:45], v[42:43] op_sel:[0,1]
	s_delay_alu instid0(VALU_DEP_1) | instskip(SKIP_1) | instid1(VALU_DEP_2)
	v_pk_fma_f32 v[86:87], v[44:45], v[42:43], v[84:85] op_sel:[1,0,0] op_sel_hi:[0,0,1] neg_lo:[0,0,1] neg_hi:[0,0,1]
	v_pk_fma_f32 v[42:43], v[44:45], v[42:43], v[84:85] op_sel:[1,0,0] op_sel_hi:[0,1,1]
	v_mov_b32_e32 v43, v87
	s_delay_alu instid0(VALU_DEP_1)
	v_pk_add_f32 v[40:41], v[40:41], v[42:43]
	s_or_b32 exec_lo, exec_lo, s6
	s_and_saveexec_b32 s6, s21
	s_cbranch_execz .LBB154_773
.LBB154_1087:                           ;   in Loop: Header=BB154_3 Depth=1
	ds_load_b64 v[42:43], v64 offset:23936
	ds_load_b64 v[44:45], v61 offset:16752
	s_wait_dscnt 0x0
	v_pk_mul_f32 v[84:85], v[44:45], v[42:43] op_sel:[0,1]
	s_delay_alu instid0(VALU_DEP_1) | instskip(SKIP_1) | instid1(VALU_DEP_2)
	v_pk_fma_f32 v[86:87], v[44:45], v[42:43], v[84:85] op_sel:[1,0,0] op_sel_hi:[0,0,1] neg_lo:[0,0,1] neg_hi:[0,0,1]
	v_pk_fma_f32 v[42:43], v[44:45], v[42:43], v[84:85] op_sel:[1,0,0] op_sel_hi:[0,1,1]
	v_mov_b32_e32 v43, v87
	s_delay_alu instid0(VALU_DEP_1)
	v_pk_add_f32 v[40:41], v[40:41], v[42:43]
	s_or_b32 exec_lo, exec_lo, s6
	s_and_saveexec_b32 s6, s2
	s_cbranch_execnz .LBB154_774
	s_branch .LBB154_775
.LBB154_1088:                           ;   in Loop: Header=BB154_3 Depth=1
	ds_load_b64 v[42:43], v55 offset:25504
	ds_load_b64 v[44:45], v52 offset:24968
	s_wait_dscnt 0x0
	v_pk_mul_f32 v[84:85], v[44:45], v[42:43] op_sel:[0,1]
	s_delay_alu instid0(VALU_DEP_1) | instskip(SKIP_1) | instid1(VALU_DEP_2)
	v_pk_fma_f32 v[86:87], v[44:45], v[42:43], v[84:85] op_sel:[1,0,0] op_sel_hi:[0,0,1] neg_lo:[0,0,1] neg_hi:[0,0,1]
	v_pk_fma_f32 v[42:43], v[44:45], v[42:43], v[84:85] op_sel:[1,0,0] op_sel_hi:[0,1,1]
	v_mov_b32_e32 v43, v87
	s_delay_alu instid0(VALU_DEP_1)
	v_pk_add_f32 v[40:41], v[40:41], v[42:43]
	s_or_b32 exec_lo, exec_lo, s6
	s_and_saveexec_b32 s6, s17
	s_cbranch_execz .LBB154_859
.LBB154_1089:                           ;   in Loop: Header=BB154_3 Depth=1
	ds_load_b64 v[42:43], v54 offset:26016
	ds_load_b64 v[44:45], v52 offset:24976
	s_wait_dscnt 0x0
	v_pk_mul_f32 v[84:85], v[44:45], v[42:43] op_sel:[0,1]
	s_delay_alu instid0(VALU_DEP_1) | instskip(SKIP_1) | instid1(VALU_DEP_2)
	v_pk_fma_f32 v[86:87], v[44:45], v[42:43], v[84:85] op_sel:[1,0,0] op_sel_hi:[0,0,1] neg_lo:[0,0,1] neg_hi:[0,0,1]
	v_pk_fma_f32 v[42:43], v[44:45], v[42:43], v[84:85] op_sel:[1,0,0] op_sel_hi:[0,1,1]
	v_mov_b32_e32 v43, v87
	s_delay_alu instid0(VALU_DEP_1)
	v_pk_add_f32 v[40:41], v[40:41], v[42:43]
	s_or_b32 exec_lo, exec_lo, s6
	s_and_saveexec_b32 s6, s1
	s_cbranch_execnz .LBB154_860
	s_branch .LBB154_861
.LBB154_1090:                           ;   in Loop: Header=BB154_3 Depth=1
	ds_load_b64 v[42:43], v60 offset:25536
	ds_load_b64 v[44:45], v56 offset:24968
	s_wait_dscnt 0x0
	v_dual_mul_f32 v0, v45, v43 :: v_dual_mul_f32 v43, v44, v43
	s_delay_alu instid0(VALU_DEP_1) | instskip(NEXT) | instid1(VALU_DEP_1)
	v_dual_fma_f32 v0, v44, v42, -v0 :: v_dual_fmac_f32 v43, v45, v42
	v_dual_add_f32 v41, v41, v0 :: v_dual_add_f32 v40, v40, v43
	s_or_b32 exec_lo, exec_lo, s6
	s_and_saveexec_b32 s6, s19
	s_cbranch_execz .LBB154_897
.LBB154_1091:                           ;   in Loop: Header=BB154_3 Depth=1
	ds_load_b64 v[42:43], v60 offset:26048
	ds_load_b64 v[44:45], v56 offset:24976
	s_wait_dscnt 0x0
	v_dual_mul_f32 v0, v45, v43 :: v_dual_mul_f32 v43, v44, v43
	s_delay_alu instid0(VALU_DEP_1) | instskip(NEXT) | instid1(VALU_DEP_1)
	v_dual_fma_f32 v0, v44, v42, -v0 :: v_dual_fmac_f32 v43, v45, v42
	v_dual_add_f32 v41, v41, v0 :: v_dual_add_f32 v40, v40, v43
	s_or_b32 exec_lo, exec_lo, s6
	s_and_saveexec_b32 s6, s20
	s_cbranch_execz .LBB154_898
.LBB154_1092:                           ;   in Loop: Header=BB154_3 Depth=1
	ds_load_b64 v[42:43], v60 offset:26560
	ds_load_b64 v[44:45], v56 offset:24984
	s_wait_dscnt 0x0
	v_dual_mul_f32 v0, v45, v43 :: v_dual_mul_f32 v43, v44, v43
	s_delay_alu instid0(VALU_DEP_1) | instskip(NEXT) | instid1(VALU_DEP_1)
	v_dual_fma_f32 v0, v44, v42, -v0 :: v_dual_fmac_f32 v43, v45, v42
	v_dual_add_f32 v41, v41, v0 :: v_dual_add_f32 v40, v40, v43
	s_or_b32 exec_lo, exec_lo, s6
	s_and_saveexec_b32 s6, s21
	s_cbranch_execz .LBB154_899
.LBB154_1093:                           ;   in Loop: Header=BB154_3 Depth=1
	ds_load_b64 v[42:43], v59 offset:27072
	ds_load_b64 v[44:45], v56 offset:24992
	s_wait_dscnt 0x0
	v_dual_mul_f32 v0, v45, v43 :: v_dual_mul_f32 v84, v44, v43
	s_delay_alu instid0(VALU_DEP_1) | instskip(NEXT) | instid1(VALU_DEP_2)
	v_fma_f32 v85, v44, v42, -v0
	v_fmac_f32_e32 v84, v45, v42
	s_delay_alu instid0(VALU_DEP_1)
	v_pk_add_f32 v[40:41], v[40:41], v[84:85]
	s_or_b32 exec_lo, exec_lo, s6
	s_and_saveexec_b32 s6, s22
	s_cbranch_execz .LBB154_900
.LBB154_1094:                           ;   in Loop: Header=BB154_3 Depth=1
	ds_load_b64 v[42:43], v60 offset:27584
	ds_load_b64 v[44:45], v56 offset:25000
	s_wait_dscnt 0x0
	v_pk_mul_f32 v[84:85], v[44:45], v[42:43] op_sel:[0,1]
	s_delay_alu instid0(VALU_DEP_1) | instskip(SKIP_1) | instid1(VALU_DEP_2)
	v_pk_fma_f32 v[86:87], v[44:45], v[42:43], v[84:85] op_sel:[1,0,0] op_sel_hi:[0,0,1] neg_lo:[0,0,1] neg_hi:[0,0,1]
	v_pk_fma_f32 v[42:43], v[44:45], v[42:43], v[84:85] op_sel:[1,0,0] op_sel_hi:[0,1,1]
	v_mov_b32_e32 v43, v87
	s_delay_alu instid0(VALU_DEP_1)
	v_pk_add_f32 v[40:41], v[40:41], v[42:43]
	s_or_b32 exec_lo, exec_lo, s6
	s_and_saveexec_b32 s6, s2
	s_cbranch_execz .LBB154_901
.LBB154_1095:                           ;   in Loop: Header=BB154_3 Depth=1
	ds_load_b64 v[42:43], v59 offset:28096
	ds_load_b64 v[44:45], v56 offset:25008
	s_wait_dscnt 0x0
	v_pk_mul_f32 v[84:85], v[44:45], v[42:43] op_sel:[0,1]
	s_delay_alu instid0(VALU_DEP_1) | instskip(SKIP_1) | instid1(VALU_DEP_2)
	v_pk_fma_f32 v[86:87], v[44:45], v[42:43], v[84:85] op_sel:[1,0,0] op_sel_hi:[0,0,1] neg_lo:[0,0,1] neg_hi:[0,0,1]
	v_pk_fma_f32 v[42:43], v[44:45], v[42:43], v[84:85] op_sel:[1,0,0] op_sel_hi:[0,1,1]
	v_mov_b32_e32 v43, v87
	s_delay_alu instid0(VALU_DEP_1)
	v_pk_add_f32 v[40:41], v[40:41], v[42:43]
	s_or_b32 exec_lo, exec_lo, s6
	s_and_saveexec_b32 s6, s17
	s_cbranch_execnz .LBB154_902
	s_branch .LBB154_903
.LBB154_1096:                           ;   in Loop: Header=BB154_3 Depth=1
	ds_load_b64 v[42:43], v55 offset:29664
	ds_load_b64 v[44:45], v52 offset:29128
	s_wait_dscnt 0x0
	v_pk_mul_f32 v[84:85], v[44:45], v[42:43] op_sel:[0,1]
	s_delay_alu instid0(VALU_DEP_1) | instskip(SKIP_1) | instid1(VALU_DEP_2)
	v_pk_fma_f32 v[86:87], v[44:45], v[42:43], v[84:85] op_sel:[1,0,0] op_sel_hi:[0,0,1] neg_lo:[0,0,1] neg_hi:[0,0,1]
	v_pk_fma_f32 v[42:43], v[44:45], v[42:43], v[84:85] op_sel:[1,0,0] op_sel_hi:[0,1,1]
	v_mov_b32_e32 v43, v87
	s_delay_alu instid0(VALU_DEP_1)
	v_pk_add_f32 v[40:41], v[40:41], v[42:43]
	s_or_b32 exec_lo, exec_lo, s6
	s_and_saveexec_b32 s6, s17
	s_cbranch_execz .LBB154_955
.LBB154_1097:                           ;   in Loop: Header=BB154_3 Depth=1
	ds_load_b64 v[42:43], v54 offset:30176
	ds_load_b64 v[44:45], v52 offset:29136
	s_wait_dscnt 0x0
	v_pk_mul_f32 v[84:85], v[44:45], v[42:43] op_sel:[0,1]
	s_delay_alu instid0(VALU_DEP_1) | instskip(SKIP_1) | instid1(VALU_DEP_2)
	v_pk_fma_f32 v[86:87], v[44:45], v[42:43], v[84:85] op_sel:[1,0,0] op_sel_hi:[0,0,1] neg_lo:[0,0,1] neg_hi:[0,0,1]
	v_pk_fma_f32 v[42:43], v[44:45], v[42:43], v[84:85] op_sel:[1,0,0] op_sel_hi:[0,1,1]
	v_mov_b32_e32 v43, v87
	s_delay_alu instid0(VALU_DEP_1)
	v_pk_add_f32 v[40:41], v[40:41], v[42:43]
	s_or_b32 exec_lo, exec_lo, s6
	s_and_saveexec_b32 s6, s1
	s_cbranch_execnz .LBB154_956
	s_branch .LBB154_957
.LBB154_1098:
	s_endpgm
	.section	.rodata,"a",@progbits
	.p2align	6, 0x0
	.amdhsa_kernel _ZL19rocblas_trsv_deviceILi64ELi16ELb1ELb0ELb0ELb0E19rocblas_complex_numIfEPKS1_PKS3_PKPS1_EviT7_lllT6_T8_lllPii
		.amdhsa_group_segment_fixed_size 41480
		.amdhsa_private_segment_fixed_size 48
		.amdhsa_kernarg_size 352
		.amdhsa_user_sgpr_count 2
		.amdhsa_user_sgpr_dispatch_ptr 0
		.amdhsa_user_sgpr_queue_ptr 0
		.amdhsa_user_sgpr_kernarg_segment_ptr 1
		.amdhsa_user_sgpr_dispatch_id 0
		.amdhsa_user_sgpr_kernarg_preload_length 0
		.amdhsa_user_sgpr_kernarg_preload_offset 0
		.amdhsa_user_sgpr_private_segment_size 0
		.amdhsa_wavefront_size32 1
		.amdhsa_uses_dynamic_stack 0
		.amdhsa_enable_private_segment 1
		.amdhsa_system_sgpr_workgroup_id_x 1
		.amdhsa_system_sgpr_workgroup_id_y 0
		.amdhsa_system_sgpr_workgroup_id_z 1
		.amdhsa_system_sgpr_workgroup_info 0
		.amdhsa_system_vgpr_workitem_id 1
		.amdhsa_next_free_vgpr 95
		.amdhsa_next_free_sgpr 105
		.amdhsa_named_barrier_count 0
		.amdhsa_reserve_vcc 1
		.amdhsa_float_round_mode_32 0
		.amdhsa_float_round_mode_16_64 0
		.amdhsa_float_denorm_mode_32 3
		.amdhsa_float_denorm_mode_16_64 3
		.amdhsa_fp16_overflow 0
		.amdhsa_memory_ordered 1
		.amdhsa_forward_progress 1
		.amdhsa_inst_pref_size 255
		.amdhsa_round_robin_scheduling 0
		.amdhsa_exception_fp_ieee_invalid_op 0
		.amdhsa_exception_fp_denorm_src 0
		.amdhsa_exception_fp_ieee_div_zero 0
		.amdhsa_exception_fp_ieee_overflow 0
		.amdhsa_exception_fp_ieee_underflow 0
		.amdhsa_exception_fp_ieee_inexact 0
		.amdhsa_exception_int_div_zero 0
	.end_amdhsa_kernel
	.section	.text._ZL19rocblas_trsv_deviceILi64ELi16ELb1ELb0ELb0ELb0E19rocblas_complex_numIfEPKS1_PKS3_PKPS1_EviT7_lllT6_T8_lllPii,"axG",@progbits,_ZL19rocblas_trsv_deviceILi64ELi16ELb1ELb0ELb0ELb0E19rocblas_complex_numIfEPKS1_PKS3_PKPS1_EviT7_lllT6_T8_lllPii,comdat
.Lfunc_end154:
	.size	_ZL19rocblas_trsv_deviceILi64ELi16ELb1ELb0ELb0ELb0E19rocblas_complex_numIfEPKS1_PKS3_PKPS1_EviT7_lllT6_T8_lllPii, .Lfunc_end154-_ZL19rocblas_trsv_deviceILi64ELi16ELb1ELb0ELb0ELb0E19rocblas_complex_numIfEPKS1_PKS3_PKPS1_EviT7_lllT6_T8_lllPii
                                        ; -- End function
	.set _ZL19rocblas_trsv_deviceILi64ELi16ELb1ELb0ELb0ELb0E19rocblas_complex_numIfEPKS1_PKS3_PKPS1_EviT7_lllT6_T8_lllPii.num_vgpr, 95
	.set _ZL19rocblas_trsv_deviceILi64ELi16ELb1ELb0ELb0ELb0E19rocblas_complex_numIfEPKS1_PKS3_PKPS1_EviT7_lllT6_T8_lllPii.num_agpr, 0
	.set _ZL19rocblas_trsv_deviceILi64ELi16ELb1ELb0ELb0ELb0E19rocblas_complex_numIfEPKS1_PKS3_PKPS1_EviT7_lllT6_T8_lllPii.numbered_sgpr, 105
	.set _ZL19rocblas_trsv_deviceILi64ELi16ELb1ELb0ELb0ELb0E19rocblas_complex_numIfEPKS1_PKS3_PKPS1_EviT7_lllT6_T8_lllPii.num_named_barrier, 0
	.set _ZL19rocblas_trsv_deviceILi64ELi16ELb1ELb0ELb0ELb0E19rocblas_complex_numIfEPKS1_PKS3_PKPS1_EviT7_lllT6_T8_lllPii.private_seg_size, 48
	.set _ZL19rocblas_trsv_deviceILi64ELi16ELb1ELb0ELb0ELb0E19rocblas_complex_numIfEPKS1_PKS3_PKPS1_EviT7_lllT6_T8_lllPii.uses_vcc, 1
	.set _ZL19rocblas_trsv_deviceILi64ELi16ELb1ELb0ELb0ELb0E19rocblas_complex_numIfEPKS1_PKS3_PKPS1_EviT7_lllT6_T8_lllPii.uses_flat_scratch, 0
	.set _ZL19rocblas_trsv_deviceILi64ELi16ELb1ELb0ELb0ELb0E19rocblas_complex_numIfEPKS1_PKS3_PKPS1_EviT7_lllT6_T8_lllPii.has_dyn_sized_stack, 0
	.set _ZL19rocblas_trsv_deviceILi64ELi16ELb1ELb0ELb0ELb0E19rocblas_complex_numIfEPKS1_PKS3_PKPS1_EviT7_lllT6_T8_lllPii.has_recursion, 0
	.set _ZL19rocblas_trsv_deviceILi64ELi16ELb1ELb0ELb0ELb0E19rocblas_complex_numIfEPKS1_PKS3_PKPS1_EviT7_lllT6_T8_lllPii.has_indirect_call, 0
	.section	.AMDGPU.csdata,"",@progbits
; Kernel info:
; codeLenInByte = 49512
; TotalNumSgprs: 107
; NumVgprs: 95
; ScratchSize: 48
; MemoryBound: 0
; FloatMode: 240
; IeeeMode: 1
; LDSByteSize: 41480 bytes/workgroup (compile time only)
; SGPRBlocks: 0
; VGPRBlocks: 5
; NumSGPRsForWavesPerEU: 107
; NumVGPRsForWavesPerEU: 95
; NamedBarCnt: 0
; Occupancy: 10
; WaveLimiterHint : 1
; COMPUTE_PGM_RSRC2:SCRATCH_EN: 1
; COMPUTE_PGM_RSRC2:USER_SGPR: 2
; COMPUTE_PGM_RSRC2:TRAP_HANDLER: 0
; COMPUTE_PGM_RSRC2:TGID_X_EN: 1
; COMPUTE_PGM_RSRC2:TGID_Y_EN: 0
; COMPUTE_PGM_RSRC2:TGID_Z_EN: 1
; COMPUTE_PGM_RSRC2:TIDIG_COMP_CNT: 1
	.section	.text._ZL19rocblas_trsv_deviceILi64ELi16ELb1ELb1ELb0ELb0E19rocblas_complex_numIfEPKS1_PKS3_PKPS1_EviT7_lllT6_T8_lllPii,"axG",@progbits,_ZL19rocblas_trsv_deviceILi64ELi16ELb1ELb1ELb0ELb0E19rocblas_complex_numIfEPKS1_PKS3_PKPS1_EviT7_lllT6_T8_lllPii,comdat
	.globl	_ZL19rocblas_trsv_deviceILi64ELi16ELb1ELb1ELb0ELb0E19rocblas_complex_numIfEPKS1_PKS3_PKPS1_EviT7_lllT6_T8_lllPii ; -- Begin function _ZL19rocblas_trsv_deviceILi64ELi16ELb1ELb1ELb0ELb0E19rocblas_complex_numIfEPKS1_PKS3_PKPS1_EviT7_lllT6_T8_lllPii
	.p2align	8
	.type	_ZL19rocblas_trsv_deviceILi64ELi16ELb1ELb1ELb0ELb0E19rocblas_complex_numIfEPKS1_PKS3_PKPS1_EviT7_lllT6_T8_lllPii,@function
_ZL19rocblas_trsv_deviceILi64ELi16ELb1ELb1ELb0ELb0E19rocblas_complex_numIfEPKS1_PKS3_PKPS1_EviT7_lllT6_T8_lllPii: ; @_ZL19rocblas_trsv_deviceILi64ELi16ELb1ELb1ELb0ELb0E19rocblas_complex_numIfEPKS1_PKS3_PKPS1_EviT7_lllT6_T8_lllPii
; %bb.0:
	s_load_b32 s67, s[0:1], 0x58
	s_bfe_u32 s2, ttmp6, 0x40014
	s_lshr_b32 s3, ttmp7, 16
	s_add_co_i32 s2, s2, 1
	s_bfe_u32 s5, ttmp6, 0x40008
	s_mul_i32 s4, s3, s2
	s_getreg_b32 s2, hwreg(HW_REG_IB_STS2, 6, 4)
	s_add_co_i32 s5, s5, s4
	s_cmp_eq_u32 s2, 0
	s_mov_b32 s81, 0
	s_cselect_b32 s80, s3, s5
	s_wait_kmcnt 0x0
	s_cmp_ge_u32 s80, s67
	s_cbranch_scc1 .LBB155_1160
; %bb.1:
	s_clause 0x2
	s_load_b32 s3, s[0:1], 0x6c
	s_load_b32 s89, s[0:1], 0x60
	s_load_b32 s82, s[0:1], 0x0
	s_bfe_u32 s5, ttmp6, 0x4000c
	s_and_b32 s4, ttmp6, 15
	s_add_co_i32 s5, s5, 1
	s_clause 0x1
	s_load_b64 s[12:13], s[0:1], 0x18
	s_load_b256 s[68:75], s[0:1], 0x28
	s_mul_i32 s5, ttmp9, s5
	s_clause 0x1
	s_load_b64 s[84:85], s[0:1], 0x50
	s_load_b128 s[76:79], s[0:1], 0x8
	s_add_co_i32 s4, s4, s5
	s_cmp_eq_u32 s2, 0
	v_and_b32_e32 v2, 0x3ff, v0
	s_cselect_b32 s88, ttmp9, s4
	v_bfe_u32 v44, v0, 10, 10
	v_mov_b32_e32 v5, 0
                                        ; implicit-def: $vgpr108 : SGPR spill to VGPR lane
                                        ; implicit-def: $vgpr107 : SGPR spill to VGPR lane
                                        ; implicit-def: $vgpr106 : SGPR spill to VGPR lane
	s_delay_alu instid0(VALU_DEP_3) | instskip(NEXT) | instid1(VALU_DEP_3)
	v_dual_lshlrev_b32 v12, 6, v2 :: v_dual_bitop2_b32 v67, 31, v0 bitop3:0x40
	v_dual_lshlrev_b32 v47, 3, v2 :: v_dual_add_nc_u32 v26, 16, v44
	s_delay_alu instid0(VALU_DEP_3)
	v_mov_b32_e32 v3, v5
	s_wait_kmcnt 0x0
	s_and_b32 s0, s3, 0xffff
	s_add_co_i32 s1, s82, -1
	s_ashr_i32 s83, s82, 31
	s_ashr_i32 s2, s1, 31
	s_lshr_b32 s3, s83, 26
	s_lshr_b32 s2, s2, 26
	s_add_co_i32 s3, s82, s3
	s_add_co_i32 s89, s89, -1
	s_add_co_i32 s1, s1, s2
	s_and_not1_b32 s3, s3, 63
	s_sub_co_i32 s55, s89, s88
	s_ashr_i32 s1, s1, 6
	s_sub_co_i32 s15, s82, s3
	s_cmp_eq_u32 s1, s55
	v_lshl_add_u32 v30, v44, 6, v2
	s_cselect_b32 s1, -1, 0
	s_cmp_lg_u32 s15, 0
	v_cmp_gt_u32_e64 s4, 2, v2
	s_cselect_b32 s2, -1, 0
	v_dual_add_nc_u32 v27, 32, v44 :: v_dual_add_nc_u32 v32, 48, v44
	s_and_b32 s18, s2, s1
	s_add_nc_u64 s[2:3], s[12:13], 1
	s_xor_b32 s90, s18, -1
	s_cmp_lg_u32 s88, 0
	v_dual_add_nc_u32 v14, v27, v12 :: v_dual_add_nc_u32 v16, v32, v12
	s_cselect_b32 s1, -1, 0
	s_lshl_b32 s16, s55, 6
	s_delay_alu instid0(SALU_CYCLE_1)
	v_dual_add_nc_u32 v1, v44, v12 :: v_dual_add_nc_u32 v20, s16, v2
	s_cmp_lt_i32 s88, 5
	v_add_nc_u32_e32 v22, s16, v44
	v_add_nc_u32_e32 v10, v26, v12
	v_mad_nc_u64_u32 v[18:19], s2, s16, v[2:3]
	v_lshl_add_u32 v3, v26, 6, v2
	s_cselect_b32 vcc_lo, -1, 0
	s_delay_alu instid0(SALU_CYCLE_1)
	v_dual_ashrrev_i32 v21, 31, v20 :: v_dual_cndmask_b32 v23, v30, v1, vcc_lo
	s_or_b32 vcc_lo, vcc_lo, s18
	v_add_nc_u32_e32 v6, 64, v22
	v_dual_cndmask_b32 v24, v3, v10, vcc_lo :: v_dual_bitop2_b32 v1, 1, v0 bitop3:0x40
	s_ashr_i32 s17, s16, 31
	v_writelane_b32 v108, s1, 0
	s_mul_i32 s1, s2, s17
	s_mul_i32 s2, s3, s16
	v_cmp_eq_u32_e64 s3, 1, v1
	v_dual_lshrrev_b32 v3, 10, v0 :: v_dual_lshrrev_b32 v10, 1, v30
	v_add3_u32 v19, s1, s2, v19
	v_lshlrev_b32_e32 v11, 3, v1
	v_cmp_gt_u32_e64 s1, 4, v30
	s_xor_b32 s2, s3, -1
	v_bitop3_b32 v31, v0, v3, 0x3ff bitop3:0xa8
	v_lshl_add_u32 v3, v10, 3, 0x8000
	v_lshl_or_b32 v45, v10, 9, v11
	v_mul_u32_u24_e32 v46, 0x208, v10
	v_dual_lshrrev_b32 v1, 2, v30 :: v_dual_bitop2_b32 v10, 3, v0 bitop3:0x40
	s_and_b32 s93, s2, s1
	v_cmp_eq_u32_e64 s2, 0, v44
	s_and_b32 s94, s3, s1
	v_dual_lshlrev_b32 v11, 3, v1 :: v_dual_lshlrev_b32 v49, 3, v10
	v_mul_u32_u24_e32 v48, 0x208, v1
	s_and_b32 s95, s2, s4
	v_cmp_gt_u32_e64 s3, 16, v30
	v_cmp_eq_u32_e64 s4, 0, v10
	v_cmp_ne_u32_e64 s5, 0, v10
	v_sub_nc_u32_e32 v13, v48, v11
	v_lshl_or_b32 v52, v1, 9, v49
	v_cmp_eq_u32_e64 s6, 1, v10
	s_and_b32 s96, s4, s3
	v_cmp_lt_u32_e64 s4, 1, v10
	v_cmp_eq_u32_e64 s8, 2, v10
	s_and_b32 s97, s5, s3
	v_cmp_eq_u32_e64 s5, 3, v10
	v_dual_lshrrev_b32 v1, 3, v30 :: v_dual_add_nc_u32 v53, v13, v49
	v_and_b32_e32 v10, 7, v0
	s_and_b32 s99, s4, s3
	v_cmp_gt_u32_e64 s4, 4, v2
	s_and_b32 s98, s6, s3
	s_and_b32 s101, s5, s3
	v_cmp_eq_u32_e64 s5, 0, v10
	v_cmp_ne_u32_e64 s6, 0, v10
	s_and_b32 s102, s2, s4
	v_cmp_gt_u32_e64 s4, 64, v30
	v_mul_u32_u24_e32 v56, 0x208, v1
	v_lshl_add_u32 v15, v27, 6, v2
	v_add_nc_u32_e32 v51, 0x8000, v11
	v_and_b32_e32 v11, -8, v30
	v_lshlrev_b32_e32 v58, 3, v10
	s_and_b32 s103, s5, s4
	s_and_b32 s104, s6, s4
	v_cmp_eq_u32_e64 s5, 1, v10
	v_cmp_lt_u32_e64 s6, 1, v10
	s_and_b32 s100, s8, s3
	v_lshl_or_b32 v60, v1, 9, v58
	v_cmp_eq_u32_e64 s8, 2, v10
	v_cmp_lt_u32_e64 s9, 2, v10
	v_cmp_eq_u32_e64 s10, 3, v10
	s_and_b32 vcc_hi, s5, s4
	s_and_b32 s39, s6, s4
	v_cmp_lt_u32_e64 s5, 3, v10
	v_cmp_eq_u32_e64 s6, 4, v10
	v_dual_lshrrev_b32 v1, 4, v30 :: v_dual_sub_nc_u32 v13, v56, v11
	s_and_b32 s40, s8, s4
	s_and_b32 s41, s9, s4
	;; [unrolled: 1-line block ×3, first 2 shown]
	v_cmp_lt_u32_e64 s8, 4, v10
	v_add_nc_u32_e32 v61, v13, v58
	v_cmp_eq_u32_e64 s9, 5, v10
	v_cmp_lt_u32_e64 s10, 5, v10
	s_and_b32 s43, s5, s4
	s_and_b32 s44, s6, s4
	v_cmp_eq_u32_e64 s5, 6, v10
	v_cmp_eq_u32_e64 s6, 7, v10
	v_and_b32_e32 v10, 15, v0
	s_and_b32 s45, s8, s4
	v_cmp_gt_u32_e64 s8, 8, v2
	s_and_b32 s48, s5, s4
	s_and_b32 s49, s6, s4
	v_cmp_gt_u32_e64 s5, 0x100, v30
	v_cmp_eq_u32_e64 s6, 0, v10
	s_and_b32 s50, s2, s8
	v_cmp_ne_u32_e64 s8, 0, v10
	s_and_b32 s46, s9, s4
	v_cmp_eq_u32_e64 s9, 1, v10
	s_and_b32 s6, s6, s5
	s_and_b32 s47, s10, s4
	v_writelane_b32 v108, s6, 1
	s_and_b32 s8, s8, s5
	v_cmp_lt_u32_e64 s6, 1, v10
	v_cmp_eq_u32_e64 s10, 2, v10
	v_mad_u32_u24 v50, 0x1f8, v2, v47
	v_writelane_b32 v108, s8, 2
	s_and_b32 s8, s9, s5
	s_and_b32 s6, s6, s5
	v_cmp_lt_u32_e64 s9, 3, v10
	v_mad_i32_i24 v55, 0xfffffe08, v2, v50
	v_writelane_b32 v108, s8, 3
	v_cmp_lt_u32_e64 s8, 2, v10
	v_add_nc_u32_e32 v59, 0x8000, v11
	v_dual_lshlrev_b32 v11, 3, v1 :: v_dual_lshlrev_b32 v63, 3, v10
	v_writelane_b32 v108, s6, 4
	s_and_b32 s6, s10, s5
	s_and_b32 s8, s8, s5
	v_mad_u32_u24 v57, 0x1f8, v2, v55
	v_mul_u32_u24_e32 v62, 0x208, v1
	v_writelane_b32 v108, s6, 5
	v_cmp_eq_u32_e64 s6, 3, v10
	v_lshl_or_b32 v65, v1, 9, v63
	v_mad_i32_i24 v70, 0xfffffe08, v2, v57
	v_dual_sub_nc_u32 v13, v62, v11 :: v_dual_lshrrev_b32 v1, 5, v30
	v_writelane_b32 v108, s8, 6
	s_and_b32 s6, s6, s5
	v_cmp_eq_u32_e64 s8, 4, v10
	v_mad_u32_u24 v71, 0x1f8, v2, v70
	v_cmp_lt_u32_e64 s10, 4, v10
	v_writelane_b32 v108, s6, 7
	s_and_b32 s6, s9, s5
	s_and_b32 s8, s8, s5
	v_mad_i32_i24 v72, 0xfffffe08, v2, v71
	v_ashrrev_i32_e32 v7, 31, v6
	v_writelane_b32 v108, s6, 8
	v_cmp_eq_u32_e64 s6, 5, v10
	v_mul_u64_e32 v[8:9], s[12:13], v[20:21]
	v_mad_u32_u24 v73, 0x1f8, v2, v72
	v_mul_i32_i24_e32 v54, 0xfffffe08, v2
	v_writelane_b32 v108, s8, 9
	s_and_b32 s61, s6, s5
	v_cmp_lt_u32_e64 s6, 6, v10
	v_cmp_lt_u32_e64 s8, 5, v10
	v_dual_add_nc_u32 v66, v13, v63 :: v_dual_lshlrev_b32 v68, 3, v1
	v_lshlrev_b32_e32 v69, 9, v1
	s_and_b32 s64, s6, s5
	v_cmp_eq_u32_e64 s6, 8, v10
	s_and_b32 s62, s8, s5
	v_cmp_lt_u32_e64 s8, 7, v10
	v_mul_u64_e32 v[0:1], s[74:75], v[20:21]
	v_lshl_add_u32 v17, v32, 6, v2
	s_and_b32 s23, s6, s5
	v_cmp_eq_u32_e64 s6, 10, v10
	v_add_nc_u32_e32 v21, 0x60, v22
	s_and_b32 s11, s8, s5
	v_cmp_eq_u32_e64 s8, 9, v10
	v_mad_i32_i24 v74, 0xfffffe08, v2, v73
	s_and_b32 s31, s6, s5
	v_cmp_lt_u32_e64 s6, 11, v10
	s_and_b32 s60, s10, s5
	v_cmp_eq_u32_e64 s9, 6, v10
	v_cmp_eq_u32_e64 s10, 7, v10
	s_xor_b32 s92, vcc_lo, -1
	v_dual_cndmask_b32 v29, v17, v16 :: v_dual_add_nc_u32 v64, 0x8000, v11
	v_cndmask_b32_e32 v28, v15, v14, vcc_lo
	v_cmp_gt_i32_e32 vcc_lo, s82, v21
	v_mul_lo_u32 v21, v54, 6
	s_and_b32 s27, s8, s5
	v_cmp_lt_u32_e64 s8, 10, v10
	s_and_b32 s24, s6, s5
	v_cmp_eq_u32_e64 s6, 13, v10
	v_mad_u32_u24 v75, 0x1f8, v2, v74
	s_and_b32 s63, s9, s5
	s_and_b32 s65, s10, s5
	v_cmp_lt_u32_e64 s9, 8, v10
	v_cmp_lt_u32_e64 s10, 9, v10
	v_mul_u32_u24_e32 v25, 0x1f8, v2
	s_and_b32 s34, s8, s5
	v_cmp_lt_u32_e64 s8, 12, v10
	s_and_b32 s30, s6, s5
	v_cmp_gt_u32_e64 s6, 16, v2
	v_mad_i32_i24 v77, 0xfffffe08, v2, v75
	s_and_b32 s25, s9, s5
	s_and_b32 s29, s10, s5
	v_cmp_eq_u32_e64 s9, 11, v10
	v_cmp_eq_u32_e64 s10, 12, v10
	v_cmp_le_i32_e64 s14, s15, v2
	v_mad_u32_u24 v4, v44, s0, v2
	v_cmp_gt_i32_e64 s0, s82, v20
	v_add_max_i32_e64 v33, 0x70, v22, v20
	v_mad_u32 v20, v25, 7, v21
	s_and_b32 s28, s8, s5
	v_cmp_eq_u32_e64 s8, 14, v10
	s_and_b32 s51, s2, s6
	v_cmp_gt_u32_e64 s6, 32, v2
	v_mad_u32_u24 v79, 0x1f8, v2, v77
	s_and_b32 s38, s9, s5
	s_and_b32 s26, s10, s5
	v_cmp_lt_u32_e64 s9, 13, v10
	v_cmp_eq_u32_e64 s10, 15, v10
	s_and_b32 s52, s14, s18
	v_cmp_gt_i32_e64 s7, s15, v2
	s_and_b32 s91, s8, s5
	s_xor_b32 s8, s52, -1
	s_and_b32 s6, s2, s6
	v_add_nc_u32_e32 v13, 0x50, v22
	v_mul_u32_u24_e32 v21, 0x1f0, v2
	v_mbcnt_lo_u32_b32 v22, -1, 0
	v_mad_i32_i24 v81, 0xfffffe08, v2, v79
	s_and_b32 s33, s9, s5
	s_and_b32 s10, s10, s5
	v_writelane_b32 v108, s6, 10
	s_and_b32 s53, s2, s8
	s_cmp_gt_i32 s88, 0
	v_cmp_gt_i32_e64 s8, s82, v6
	s_cselect_b32 s54, -1, 0
	s_and_b32 s7, s2, s7
	v_dual_lshlrev_b32 v76, 3, v23 :: v_dual_lshlrev_b32 v78, 3, v24
	v_dual_lshlrev_b32 v80, 3, v28 :: v_dual_lshlrev_b32 v82, 3, v29
	v_dual_lshlrev_b32 v23, 3, v44 :: v_dual_sub_nc_u32 v34, v20, v21
	v_mad_u32_u24 v83, 0x1f8, v2, v81
	v_dual_mov_b32 v28, 0 :: v_dual_lshlrev_b32 v29, 20, v22
	v_writelane_b32 v108, s7, 11
	s_and_b32 s7, s8, s0
	s_delay_alu instid0(VALU_DEP_3)
	v_add_nc_u32_e32 v85, v83, v23
	v_cmp_le_u32_e64 s6, v2, v44
	v_add_nc_u64_e32 v[20:21], src_flat_scratch_base_lo, v[28:29]
	v_mov_b32_e32 v28, 8
	v_cmp_gt_i32_e64 s9, s82, v13
	v_writelane_b32 v108, s7, 12
	v_mad_nc_u64_u32 v[12:13], s12, v44, v[18:19]
	v_mad_nc_u64_u32 v[14:15], s12, v26, v[18:19]
	;; [unrolled: 1-line block ×3, first 2 shown]
	s_and_b32 s7, s9, s0
	v_mad_nc_u64_u32 v[18:19], s12, v32, v[18:19]
	v_writelane_b32 v108, s7, 13
	s_and_b32 s7, vcc_lo, s0
	v_cmp_le_i32_e32 vcc_lo, s15, v44
	v_cmp_le_u32_e64 s8, v2, v27
	v_cmp_le_i32_e64 s9, s15, v32
	v_writelane_b32 v108, s7, 14
	v_mad_u32 v13, s13, v44, v13
	s_or_b32 s7, vcc_lo, s14
	v_cmp_le_i32_e32 vcc_lo, s15, v26
	s_or_b32 s7, s7, s6
	v_mad_u32 v15, s13, v26, v15
	v_writelane_b32 v108, s7, 15
	v_cmp_le_u32_e64 s7, v2, v26
	s_or_b32 s12, vcc_lo, s14
	v_cmp_le_i32_e32 vcc_lo, s15, v27
	v_mad_u32 v17, s13, v27, v17
	v_mad_u32 v19, s13, v32, v19
	s_or_b32 s12, s12, s7
	v_cmp_ne_u32_e64 s15, v2, v27
	v_writelane_b32 v108, s12, 16
	s_or_b32 s13, vcc_lo, s14
	v_add_nc_u64_e32 v[10:11], s[16:17], v[4:5]
	s_or_b32 s12, s13, s8
	v_cmp_ne_u32_e64 s13, v2, v26
	v_writelane_b32 v108, s12, 17
	s_or_b32 s12, s9, s14
	v_cmp_le_u32_e64 s9, v2, v32
	v_cmp_ne_u32_e64 s16, v2, v32
	v_or_b32_e32 v84, 0xa000, v23
	v_add_nc_u64_e32 v[22:23], src_flat_scratch_base_lo, v[28:29]
	v_mov_b32_e32 v28, 16
	s_or_b32 s12, s12, s9
	v_or_b32_e32 v35, v26, v2
	v_writelane_b32 v108, s12, 18
	v_cmp_ne_u32_e64 s12, v2, v44
	v_add_nc_u64_e32 v[24:25], src_flat_scratch_base_lo, v[28:29]
	v_dual_mov_b32 v28, 24 :: v_dual_bitop2_b32 v36, v27, v2 bitop3:0x54
	v_lshlrev_b32_e32 v87, 3, v67
	s_delay_alu instid0(VALU_DEP_4)
	v_writelane_b32 v108, s12, 19
	s_or_b32 s12, s14, s12
	v_or_b32_e32 v37, v32, v2
	v_add_nc_u64_e32 v[26:27], src_flat_scratch_base_lo, v[28:29]
	v_lshlrev_b32_e32 v28, 9, v67
	v_writelane_b32 v108, s12, 20
	s_or_b32 s12, s14, s13
	v_mul_u64_e32 v[10:11], s[74:75], v[10:11]
	v_cmp_lt_u32_e32 vcc_lo, 0x3ff, v30
	v_dual_add_nc_u32 v88, v87, v28 :: v_dual_bitop2_b32 v90, v69, v87 bitop3:0x54
	v_writelane_b32 v108, s13, 21
	v_cmp_gt_u32_e64 s13, 0xf0, v30
	v_mov_b64_e32 v[28:29], 0
	v_add_nc_u32_e32 v86, 0x7c00, v34
	v_add_nc_u32_e32 v89, 0x8000, v68
	v_writelane_b32 v108, s12, 22
	s_or_b32 s12, s14, s15
	v_lshl_add_u32 v91, v4, 3, 0xa000
	v_lshl_add_u32 v92, v30, 3, 0x8000
	v_add_nc_u32_e32 v93, 0x8000, v47
	v_writelane_b32 v108, s15, 23
	v_lshl_add_u32 v94, v44, 9, v77
	v_add_nc_u32_e32 v95, v84, v47
	v_or_b32_e32 v96, 0x4100, v87
	v_subrev_nc_u32_e32 v97, 63, v2
	v_writelane_b32 v108, s12, 24
	s_or_b32 s12, s14, s16
	v_cmp_eq_u32_e64 s14, 0, v31
	v_cmp_gt_u32_e64 s15, 2, v30
	v_cmp_gt_u32_e64 s17, 8, v30
	v_writelane_b32 v108, s16, 25
	v_cmp_gt_u32_e64 s16, 12, v30
	v_cmp_gt_u32_e64 s18, 56, v30
	;; [unrolled: 1-line block ×4, first 2 shown]
	v_writelane_b32 v108, s12, 26
	v_cmp_gt_u32_e64 s21, 32, v30
	v_cmp_gt_u32_e64 s22, 24, v30
	;; [unrolled: 1-line block ×3, first 2 shown]
	v_cmp_eq_u32_e64 s36, 0, v4
	v_writelane_b32 v108, s13, 27
	v_cmp_gt_u32_e64 s13, 0xe0, v30
	v_cmp_gt_u32_e64 s37, 64, v4
	s_add_co_i32 s55, s55, 1
	s_xor_b32 s12, vcc_lo, -1
	s_lshl_b64 s[78:79], s[78:79], 3
	v_writelane_b32 v108, s13, 28
	v_cmp_gt_u32_e64 s13, 0xd0, v30
	s_lshl_b64 s[72:73], s[72:73], 3
	v_writelane_b32 v108, s13, 29
	v_cmp_gt_u32_e64 s13, 0xc0, v30
	s_delay_alu instid0(VALU_DEP_1) | instskip(SKIP_1) | instid1(VALU_DEP_1)
	v_writelane_b32 v108, s13, 30
	v_cmp_gt_u32_e64 s13, 0xb0, v30
	v_writelane_b32 v108, s13, 31
	v_cmp_gt_u32_e64 s13, 0xa0, v30
	s_delay_alu instid0(VALU_DEP_1) | instskip(SKIP_1) | instid1(VALU_DEP_1)
	v_writelane_b32 v107, s13, 0
	v_cmp_gt_u32_e64 s13, 0x90, v30
	;; [unrolled: 5-line block ×4, first 2 shown]
	v_writelane_b32 v107, s13, 5
	v_cmp_le_i32_e64 s13, s82, v33
	s_delay_alu instid0(VALU_DEP_1) | instskip(SKIP_1) | instid1(VALU_DEP_1)
	v_writelane_b32 v107, s13, 6
	v_cmp_gt_u32_e64 s13, 64, v31
	v_writelane_b32 v107, s13, 7
	v_cmp_gt_u32_e64 s13, 64, v35
	s_delay_alu instid0(VALU_DEP_1) | instskip(SKIP_1) | instid1(VALU_DEP_1)
	v_writelane_b32 v107, s13, 8
	v_cmp_gt_u32_e64 s13, 64, v36
	v_writelane_b32 v107, s13, 9
	v_cmp_gt_u32_e64 s13, 64, v37
	;; [unrolled: 5-line block ×13, first 2 shown]
	s_delay_alu instid0(VALU_DEP_1) | instskip(SKIP_1) | instid1(VALU_DEP_1)
	v_writelane_b32 v106, s13, 0
	v_cmp_gt_u32_e64 s13, 0x120, v30
	v_writelane_b32 v106, s13, 1
	s_branch .LBB155_3
.LBB155_2:                              ;   in Loop: Header=BB155_3 Depth=1
	s_wait_xcnt 0x0
	s_or_b32 exec_lo, exec_lo, s13
	s_add_co_i32 s80, s80, 0x10000
	global_wb scope:SCOPE_DEV
	s_wait_storecnt 0x0
	global_inv scope:SCOPE_DEV
	s_cmp_lt_u32 s80, s67
	s_cbranch_scc0 .LBB155_1160
.LBB155_3:                              ; =>This Loop Header: Depth=1
                                        ;     Child Loop BB155_571 Depth 2
                                        ;     Child Loop BB155_1011 Depth 2
                                        ;       Child Loop BB155_1013 Depth 3
                                        ;     Child Loop BB155_1042 Depth 2
	v_mov_b32_e32 v32, s80
	v_readlane_b32 s13, v108, 0
	s_clause 0x1
	global_load_b64 v[30:31], v32, s[76:77] scale_offset
	global_load_b64 v[34:35], v32, s[70:71] scale_offset
	global_load_b64 v[32:33], v5, s[68:69]
	s_and_not1_b32 vcc_lo, exec_lo, s13
	s_wait_loadcnt 0x2
	v_add_nc_u64_e32 v[36:37], s[78:79], v[30:31]
	s_delay_alu instid0(VALU_DEP_1)
	v_lshl_add_u64 v[30:31], v[8:9], 3, v[36:37]
	s_cbranch_vccnz .LBB155_15
; %bb.4:                                ;   in Loop: Header=BB155_3 Depth=1
	s_delay_alu instid0(VALU_DEP_1)
	v_lshl_add_u64 v[38:39], v[6:7], 3, v[30:31]
	v_dual_mov_b32 v40, 0 :: v_dual_mov_b32 v42, 0
	v_mov_b32_e32 v43, 0
	s_wait_loadcnt 0x0
	s_barrier_signal -1
	s_barrier_wait -1
	s_wait_xcnt 0x0
	s_mov_b32 s13, exec_lo
	v_readlane_b32 s56, v108, 12
	s_and_b32 s56, s13, s56
	s_delay_alu instid0(SALU_CYCLE_1)
	s_mov_b32 exec_lo, s56
	s_cbranch_execz .LBB155_6
; %bb.5:                                ;   in Loop: Header=BB155_3 Depth=1
	flat_load_b64 v[42:43], v[38:39]
.LBB155_6:                              ;   in Loop: Header=BB155_3 Depth=1
	s_wait_xcnt 0x0
	s_or_b32 exec_lo, exec_lo, s13
	v_mov_b32_e32 v41, 0
	s_wait_loadcnt_dscnt 0x0
	scratch_store_b64 off, v[42:43], off
	s_wait_storecnt 0x0
	s_barrier_signal -1
	s_barrier_wait -1
	s_wait_xcnt 0x0
	s_mov_b32 s13, exec_lo
	v_readlane_b32 s56, v108, 13
	s_and_b32 s56, s13, s56
	s_delay_alu instid0(SALU_CYCLE_1)
	s_mov_b32 exec_lo, s56
	s_cbranch_execz .LBB155_8
; %bb.7:                                ;   in Loop: Header=BB155_3 Depth=1
	flat_load_b64 v[40:41], v[38:39] offset:128
.LBB155_8:                              ;   in Loop: Header=BB155_3 Depth=1
	s_wait_xcnt 0x0
	s_or_b32 exec_lo, exec_lo, s13
	s_wait_loadcnt_dscnt 0x0
	scratch_store_b64 off, v[40:41], off offset:8
	s_wait_xcnt 0x0
	v_dual_mov_b32 v40, 0 :: v_dual_mov_b32 v41, 0
	s_wait_storecnt 0x0
	s_barrier_signal -1
	s_barrier_wait -1
	s_mov_b32 s13, exec_lo
	v_readlane_b32 s56, v108, 14
	s_and_b32 s56, s13, s56
	s_delay_alu instid0(SALU_CYCLE_1)
	s_mov_b32 exec_lo, s56
	s_cbranch_execz .LBB155_10
; %bb.9:                                ;   in Loop: Header=BB155_3 Depth=1
	flat_load_b64 v[40:41], v[38:39] offset:256
.LBB155_10:                             ;   in Loop: Header=BB155_3 Depth=1
	s_wait_xcnt 0x0
	s_or_b32 exec_lo, exec_lo, s13
	s_wait_loadcnt_dscnt 0x0
	scratch_store_b64 off, v[40:41], off offset:16
	s_wait_storecnt 0x0
	s_barrier_signal -1
	s_barrier_wait -1
	s_wait_xcnt 0x0
	s_mov_b32 s13, exec_lo
	v_readlane_b32 s56, v107, 6
	s_and_b32 s56, s13, s56
	s_delay_alu instid0(SALU_CYCLE_1)
	s_xor_b32 s13, s56, s13
	s_mov_b32 exec_lo, s56
	s_cbranch_execz .LBB155_12
; %bb.11:                               ;   in Loop: Header=BB155_3 Depth=1
	scratch_store_b64 off, v[28:29], off offset:24
                                        ; implicit-def: $vgpr38_vgpr39
.LBB155_12:                             ;   in Loop: Header=BB155_3 Depth=1
	s_wait_xcnt 0x0
	s_and_not1_saveexec_b32 s13, s13
	s_cbranch_execz .LBB155_14
; %bb.13:                               ;   in Loop: Header=BB155_3 Depth=1
	flat_load_b64 v[38:39], v[38:39] offset:384
	s_wait_loadcnt_dscnt 0x0
	scratch_store_b64 off, v[38:39], off offset:24
.LBB155_14:                             ;   in Loop: Header=BB155_3 Depth=1
	s_wait_xcnt 0x0
	s_or_b32 exec_lo, exec_lo, s13
.LBB155_15:                             ;   in Loop: Header=BB155_3 Depth=1
	s_delay_alu instid0(SALU_CYCLE_1)
	s_and_not1_b32 vcc_lo, exec_lo, s90
	s_mov_b32 s13, -1
	s_cbranch_vccnz .LBB155_26
; %bb.16:                               ;   in Loop: Header=BB155_3 Depth=1
	s_wait_xcnt 0x0
	s_and_saveexec_b32 s13, s6
	s_delay_alu instid0(SALU_CYCLE_1)
	s_xor_b32 s13, exec_lo, s13
	s_cbranch_execnz .LBB155_1056
; %bb.17:                               ;   in Loop: Header=BB155_3 Depth=1
	s_and_not1_saveexec_b32 s13, s13
	s_cbranch_execnz .LBB155_1067
.LBB155_18:                             ;   in Loop: Header=BB155_3 Depth=1
	s_or_b32 exec_lo, exec_lo, s13
	s_and_saveexec_b32 s13, s7
	s_delay_alu instid0(SALU_CYCLE_1)
	s_xor_b32 s13, exec_lo, s13
	s_cbranch_execnz .LBB155_1068
.LBB155_19:                             ;   in Loop: Header=BB155_3 Depth=1
	s_and_not1_saveexec_b32 s13, s13
	s_cbranch_execnz .LBB155_1079
.LBB155_20:                             ;   in Loop: Header=BB155_3 Depth=1
	s_or_b32 exec_lo, exec_lo, s13
	s_and_saveexec_b32 s13, s8
	s_delay_alu instid0(SALU_CYCLE_1)
	s_xor_b32 s13, exec_lo, s13
	s_cbranch_execnz .LBB155_1080
.LBB155_21:                             ;   in Loop: Header=BB155_3 Depth=1
	s_and_not1_saveexec_b32 s13, s13
	s_cbranch_execnz .LBB155_1091
.LBB155_22:                             ;   in Loop: Header=BB155_3 Depth=1
	s_or_b32 exec_lo, exec_lo, s13
	s_and_saveexec_b32 s13, s9
	s_delay_alu instid0(SALU_CYCLE_1)
	s_xor_b32 s13, exec_lo, s13
	s_cbranch_execnz .LBB155_1092
.LBB155_23:                             ;   in Loop: Header=BB155_3 Depth=1
	s_and_not1_saveexec_b32 s13, s13
	s_cbranch_execz .LBB155_25
.LBB155_24:                             ;   in Loop: Header=BB155_3 Depth=1
	v_lshl_add_u64 v[38:39], v[18:19], 3, v[36:37]
	flat_load_b64 v[38:39], v[38:39]
	s_wait_loadcnt_dscnt 0x0
	v_pk_add_f32 v[38:39], v[38:39], 0 neg_lo:[1,1] neg_hi:[1,1]
	ds_store_b64 v82, v[38:39]
.LBB155_25:                             ;   in Loop: Header=BB155_3 Depth=1
	s_or_b32 exec_lo, exec_lo, s13
	s_mov_b32 s13, 0
.LBB155_26:                             ;   in Loop: Header=BB155_3 Depth=1
	s_delay_alu instid0(SALU_CYCLE_1)
	s_and_b32 vcc_lo, exec_lo, s13
	s_cbranch_vccz .LBB155_84
; %bb.27:                               ;   in Loop: Header=BB155_3 Depth=1
	s_wait_xcnt 0x0
	s_mov_b32 s13, exec_lo
	v_readlane_b32 s56, v108, 15
	s_and_b32 s56, s13, s56
	s_delay_alu instid0(SALU_CYCLE_1)
	s_xor_b32 s13, s56, s13
	s_mov_b32 exec_lo, s56
	s_cbranch_execz .LBB155_39
; %bb.28:                               ;   in Loop: Header=BB155_3 Depth=1
	s_mov_b32 s56, exec_lo
	v_readlane_b32 s57, v108, 20
	s_and_b32 s57, s56, s57
	s_delay_alu instid0(SALU_CYCLE_1)
	s_xor_b32 s56, s57, s56
	s_mov_b32 exec_lo, s57
	s_cbranch_execz .LBB155_32
; %bb.29:                               ;   in Loop: Header=BB155_3 Depth=1
	v_readlane_b32 s58, v107, 7
	s_and_saveexec_b32 s57, s58
; %bb.30:                               ;   in Loop: Header=BB155_3 Depth=1
	ds_store_b64 v85, v[28:29]
; %bb.31:                               ;   in Loop: Header=BB155_3 Depth=1
	s_or_b32 exec_lo, exec_lo, s57
.LBB155_32:                             ;   in Loop: Header=BB155_3 Depth=1
	s_and_not1_saveexec_b32 s66, s56
	s_cbranch_execz .LBB155_38
; %bb.33:                               ;   in Loop: Header=BB155_3 Depth=1
	v_lshl_add_u64 v[38:39], v[12:13], 3, v[36:37]
                                        ; implicit-def: $vgpr40_vgpr41
	flat_load_b64 v[38:39], v[38:39]
	s_wait_loadcnt_dscnt 0x0
	v_cmp_ngt_f32_e64 s56, |v38|, |v39|
	s_wait_xcnt 0x0
	s_and_saveexec_b32 s57, s56
	s_delay_alu instid0(SALU_CYCLE_1)
	s_xor_b32 s56, exec_lo, s57
	s_cbranch_execz .LBB155_35
; %bb.34:                               ;   in Loop: Header=BB155_3 Depth=1
	v_div_scale_f32 v40, null, v39, v39, v38
	v_div_scale_f32 v43, vcc_lo, v38, v39, v38
	s_delay_alu instid0(VALU_DEP_2) | instskip(SKIP_1) | instid1(TRANS32_DEP_1)
	v_rcp_f32_e32 v41, v40
	v_nop
	v_fma_f32 v42, -v40, v41, 1.0
	s_delay_alu instid0(VALU_DEP_1) | instskip(NEXT) | instid1(VALU_DEP_1)
	v_fmac_f32_e32 v41, v42, v41
	v_mul_f32_e32 v42, v43, v41
	s_delay_alu instid0(VALU_DEP_1) | instskip(NEXT) | instid1(VALU_DEP_1)
	v_fma_f32 v98, -v40, v42, v43
	v_fmac_f32_e32 v42, v98, v41
	s_delay_alu instid0(VALU_DEP_1) | instskip(NEXT) | instid1(VALU_DEP_1)
	v_fma_f32 v40, -v40, v42, v43
	v_div_fmas_f32 v40, v40, v41, v42
	s_delay_alu instid0(VALU_DEP_1) | instskip(NEXT) | instid1(VALU_DEP_1)
	v_div_fixup_f32 v40, v40, v39, v38
	v_fmac_f32_e32 v39, v38, v40
	s_delay_alu instid0(VALU_DEP_1) | instskip(SKIP_1) | instid1(VALU_DEP_2)
	v_div_scale_f32 v38, null, v39, v39, 1.0
	v_div_scale_f32 v43, vcc_lo, 1.0, v39, 1.0
	v_rcp_f32_e32 v41, v38
	v_nop
	s_delay_alu instid0(TRANS32_DEP_1) | instskip(NEXT) | instid1(VALU_DEP_1)
	v_fma_f32 v42, -v38, v41, 1.0
	v_fmac_f32_e32 v41, v42, v41
	s_delay_alu instid0(VALU_DEP_1) | instskip(NEXT) | instid1(VALU_DEP_1)
	v_mul_f32_e32 v42, v43, v41
	v_fma_f32 v98, -v38, v42, v43
	s_delay_alu instid0(VALU_DEP_1) | instskip(NEXT) | instid1(VALU_DEP_1)
	v_fmac_f32_e32 v42, v98, v41
	v_fma_f32 v38, -v38, v42, v43
	s_delay_alu instid0(VALU_DEP_1) | instskip(NEXT) | instid1(VALU_DEP_1)
	v_div_fmas_f32 v38, v38, v41, v42
	v_div_fixup_f32 v38, v38, v39, 1.0
	s_delay_alu instid0(VALU_DEP_1)
	v_mul_f32_e32 v40, v40, v38
	v_xor_b32_e32 v41, 0x80000000, v38
                                        ; implicit-def: $vgpr38_vgpr39
.LBB155_35:                             ;   in Loop: Header=BB155_3 Depth=1
	s_and_not1_saveexec_b32 s56, s56
	s_cbranch_execz .LBB155_37
; %bb.36:                               ;   in Loop: Header=BB155_3 Depth=1
	v_div_scale_f32 v40, null, v38, v38, v39
	v_div_scale_f32 v43, vcc_lo, v39, v38, v39
	s_delay_alu instid0(VALU_DEP_2) | instskip(SKIP_1) | instid1(TRANS32_DEP_1)
	v_rcp_f32_e32 v41, v40
	v_nop
	v_fma_f32 v42, -v40, v41, 1.0
	s_delay_alu instid0(VALU_DEP_1) | instskip(NEXT) | instid1(VALU_DEP_1)
	v_fmac_f32_e32 v41, v42, v41
	v_mul_f32_e32 v42, v43, v41
	s_delay_alu instid0(VALU_DEP_1) | instskip(NEXT) | instid1(VALU_DEP_1)
	v_fma_f32 v98, -v40, v42, v43
	v_fmac_f32_e32 v42, v98, v41
	s_delay_alu instid0(VALU_DEP_1) | instskip(NEXT) | instid1(VALU_DEP_1)
	v_fma_f32 v40, -v40, v42, v43
	v_div_fmas_f32 v40, v40, v41, v42
	s_delay_alu instid0(VALU_DEP_1) | instskip(NEXT) | instid1(VALU_DEP_1)
	v_div_fixup_f32 v41, v40, v38, v39
	v_fmac_f32_e32 v38, v39, v41
	s_delay_alu instid0(VALU_DEP_1) | instskip(NEXT) | instid1(VALU_DEP_1)
	v_div_scale_f32 v39, null, v38, v38, 1.0
	v_rcp_f32_e32 v40, v39
	v_nop
	s_delay_alu instid0(TRANS32_DEP_1) | instskip(NEXT) | instid1(VALU_DEP_1)
	v_fma_f32 v42, -v39, v40, 1.0
	v_fmac_f32_e32 v40, v42, v40
	v_div_scale_f32 v42, vcc_lo, 1.0, v38, 1.0
	s_delay_alu instid0(VALU_DEP_1) | instskip(NEXT) | instid1(VALU_DEP_1)
	v_mul_f32_e32 v43, v42, v40
	v_fma_f32 v98, -v39, v43, v42
	s_delay_alu instid0(VALU_DEP_1) | instskip(NEXT) | instid1(VALU_DEP_1)
	v_fmac_f32_e32 v43, v98, v40
	v_fma_f32 v39, -v39, v43, v42
	s_delay_alu instid0(VALU_DEP_1) | instskip(NEXT) | instid1(VALU_DEP_1)
	v_div_fmas_f32 v39, v39, v40, v43
	v_div_fixup_f32 v40, v39, v38, 1.0
	s_delay_alu instid0(VALU_DEP_1)
	v_mul_f32_e64 v41, v41, -v40
.LBB155_37:                             ;   in Loop: Header=BB155_3 Depth=1
	s_or_b32 exec_lo, exec_lo, s56
	ds_store_b64 v85, v[40:41]
.LBB155_38:                             ;   in Loop: Header=BB155_3 Depth=1
	s_or_b32 exec_lo, exec_lo, s66
.LBB155_39:                             ;   in Loop: Header=BB155_3 Depth=1
	s_and_not1_saveexec_b32 s13, s13
	s_cbranch_execz .LBB155_41
; %bb.40:                               ;   in Loop: Header=BB155_3 Depth=1
	v_lshl_add_u64 v[38:39], v[12:13], 3, v[36:37]
	flat_load_b64 v[38:39], v[38:39]
	s_wait_loadcnt_dscnt 0x0
	v_pk_add_f32 v[38:39], v[38:39], 0 neg_lo:[1,1] neg_hi:[1,1]
	ds_store_b64 v85, v[38:39]
.LBB155_41:                             ;   in Loop: Header=BB155_3 Depth=1
	s_or_b32 exec_lo, exec_lo, s13
	s_delay_alu instid0(SALU_CYCLE_1) | instskip(SKIP_2) | instid1(SALU_CYCLE_1)
	s_mov_b32 s13, exec_lo
	v_readlane_b32 s56, v108, 16
	s_and_b32 s56, s13, s56
	s_xor_b32 s13, s56, s13
	s_mov_b32 exec_lo, s56
	s_cbranch_execz .LBB155_53
; %bb.42:                               ;   in Loop: Header=BB155_3 Depth=1
	s_mov_b32 s56, exec_lo
	v_readlane_b32 s57, v108, 22
	s_and_b32 s57, s56, s57
	s_delay_alu instid0(SALU_CYCLE_1)
	s_xor_b32 s56, s57, s56
	s_mov_b32 exec_lo, s57
	s_cbranch_execz .LBB155_46
; %bb.43:                               ;   in Loop: Header=BB155_3 Depth=1
	v_readlane_b32 s58, v107, 8
	s_and_saveexec_b32 s57, s58
; %bb.44:                               ;   in Loop: Header=BB155_3 Depth=1
	ds_store_b64 v78, v[28:29]
; %bb.45:                               ;   in Loop: Header=BB155_3 Depth=1
	s_or_b32 exec_lo, exec_lo, s57
.LBB155_46:                             ;   in Loop: Header=BB155_3 Depth=1
	s_and_not1_saveexec_b32 s66, s56
	s_cbranch_execz .LBB155_52
; %bb.47:                               ;   in Loop: Header=BB155_3 Depth=1
	v_lshl_add_u64 v[38:39], v[14:15], 3, v[36:37]
                                        ; implicit-def: $vgpr40_vgpr41
	flat_load_b64 v[38:39], v[38:39]
	s_wait_loadcnt_dscnt 0x0
	v_cmp_ngt_f32_e64 s56, |v38|, |v39|
	s_wait_xcnt 0x0
	s_and_saveexec_b32 s57, s56
	s_delay_alu instid0(SALU_CYCLE_1)
	s_xor_b32 s56, exec_lo, s57
	s_cbranch_execz .LBB155_49
; %bb.48:                               ;   in Loop: Header=BB155_3 Depth=1
	v_div_scale_f32 v40, null, v39, v39, v38
	v_div_scale_f32 v43, vcc_lo, v38, v39, v38
	s_delay_alu instid0(VALU_DEP_2) | instskip(SKIP_1) | instid1(TRANS32_DEP_1)
	v_rcp_f32_e32 v41, v40
	v_nop
	v_fma_f32 v42, -v40, v41, 1.0
	s_delay_alu instid0(VALU_DEP_1) | instskip(NEXT) | instid1(VALU_DEP_1)
	v_fmac_f32_e32 v41, v42, v41
	v_mul_f32_e32 v42, v43, v41
	s_delay_alu instid0(VALU_DEP_1) | instskip(NEXT) | instid1(VALU_DEP_1)
	v_fma_f32 v98, -v40, v42, v43
	v_fmac_f32_e32 v42, v98, v41
	s_delay_alu instid0(VALU_DEP_1) | instskip(NEXT) | instid1(VALU_DEP_1)
	v_fma_f32 v40, -v40, v42, v43
	v_div_fmas_f32 v40, v40, v41, v42
	s_delay_alu instid0(VALU_DEP_1) | instskip(NEXT) | instid1(VALU_DEP_1)
	v_div_fixup_f32 v40, v40, v39, v38
	v_fmac_f32_e32 v39, v38, v40
	s_delay_alu instid0(VALU_DEP_1) | instskip(SKIP_1) | instid1(VALU_DEP_2)
	v_div_scale_f32 v38, null, v39, v39, 1.0
	v_div_scale_f32 v43, vcc_lo, 1.0, v39, 1.0
	v_rcp_f32_e32 v41, v38
	v_nop
	s_delay_alu instid0(TRANS32_DEP_1) | instskip(NEXT) | instid1(VALU_DEP_1)
	v_fma_f32 v42, -v38, v41, 1.0
	v_fmac_f32_e32 v41, v42, v41
	s_delay_alu instid0(VALU_DEP_1) | instskip(NEXT) | instid1(VALU_DEP_1)
	v_mul_f32_e32 v42, v43, v41
	v_fma_f32 v98, -v38, v42, v43
	s_delay_alu instid0(VALU_DEP_1) | instskip(NEXT) | instid1(VALU_DEP_1)
	v_fmac_f32_e32 v42, v98, v41
	v_fma_f32 v38, -v38, v42, v43
	s_delay_alu instid0(VALU_DEP_1) | instskip(NEXT) | instid1(VALU_DEP_1)
	v_div_fmas_f32 v38, v38, v41, v42
	v_div_fixup_f32 v38, v38, v39, 1.0
	s_delay_alu instid0(VALU_DEP_1)
	v_mul_f32_e32 v40, v40, v38
	v_xor_b32_e32 v41, 0x80000000, v38
                                        ; implicit-def: $vgpr38_vgpr39
.LBB155_49:                             ;   in Loop: Header=BB155_3 Depth=1
	s_and_not1_saveexec_b32 s56, s56
	s_cbranch_execz .LBB155_51
; %bb.50:                               ;   in Loop: Header=BB155_3 Depth=1
	v_div_scale_f32 v40, null, v38, v38, v39
	v_div_scale_f32 v43, vcc_lo, v39, v38, v39
	s_delay_alu instid0(VALU_DEP_2) | instskip(SKIP_1) | instid1(TRANS32_DEP_1)
	v_rcp_f32_e32 v41, v40
	v_nop
	v_fma_f32 v42, -v40, v41, 1.0
	s_delay_alu instid0(VALU_DEP_1) | instskip(NEXT) | instid1(VALU_DEP_1)
	v_fmac_f32_e32 v41, v42, v41
	v_mul_f32_e32 v42, v43, v41
	s_delay_alu instid0(VALU_DEP_1) | instskip(NEXT) | instid1(VALU_DEP_1)
	v_fma_f32 v98, -v40, v42, v43
	v_fmac_f32_e32 v42, v98, v41
	s_delay_alu instid0(VALU_DEP_1) | instskip(NEXT) | instid1(VALU_DEP_1)
	v_fma_f32 v40, -v40, v42, v43
	v_div_fmas_f32 v40, v40, v41, v42
	s_delay_alu instid0(VALU_DEP_1) | instskip(NEXT) | instid1(VALU_DEP_1)
	v_div_fixup_f32 v41, v40, v38, v39
	v_fmac_f32_e32 v38, v39, v41
	s_delay_alu instid0(VALU_DEP_1) | instskip(NEXT) | instid1(VALU_DEP_1)
	v_div_scale_f32 v39, null, v38, v38, 1.0
	v_rcp_f32_e32 v40, v39
	v_nop
	s_delay_alu instid0(TRANS32_DEP_1) | instskip(NEXT) | instid1(VALU_DEP_1)
	v_fma_f32 v42, -v39, v40, 1.0
	v_fmac_f32_e32 v40, v42, v40
	v_div_scale_f32 v42, vcc_lo, 1.0, v38, 1.0
	s_delay_alu instid0(VALU_DEP_1) | instskip(NEXT) | instid1(VALU_DEP_1)
	v_mul_f32_e32 v43, v42, v40
	v_fma_f32 v98, -v39, v43, v42
	s_delay_alu instid0(VALU_DEP_1) | instskip(NEXT) | instid1(VALU_DEP_1)
	v_fmac_f32_e32 v43, v98, v40
	v_fma_f32 v39, -v39, v43, v42
	s_delay_alu instid0(VALU_DEP_1) | instskip(NEXT) | instid1(VALU_DEP_1)
	v_div_fmas_f32 v39, v39, v40, v43
	v_div_fixup_f32 v40, v39, v38, 1.0
	s_delay_alu instid0(VALU_DEP_1)
	v_mul_f32_e64 v41, v41, -v40
.LBB155_51:                             ;   in Loop: Header=BB155_3 Depth=1
	s_or_b32 exec_lo, exec_lo, s56
	ds_store_b64 v78, v[40:41]
.LBB155_52:                             ;   in Loop: Header=BB155_3 Depth=1
	s_or_b32 exec_lo, exec_lo, s66
.LBB155_53:                             ;   in Loop: Header=BB155_3 Depth=1
	s_and_not1_saveexec_b32 s13, s13
	s_cbranch_execz .LBB155_55
; %bb.54:                               ;   in Loop: Header=BB155_3 Depth=1
	v_lshl_add_u64 v[38:39], v[14:15], 3, v[36:37]
	flat_load_b64 v[38:39], v[38:39]
	s_wait_loadcnt_dscnt 0x0
	v_pk_add_f32 v[38:39], v[38:39], 0 neg_lo:[1,1] neg_hi:[1,1]
	ds_store_b64 v78, v[38:39]
.LBB155_55:                             ;   in Loop: Header=BB155_3 Depth=1
	s_or_b32 exec_lo, exec_lo, s13
	s_delay_alu instid0(SALU_CYCLE_1) | instskip(SKIP_2) | instid1(SALU_CYCLE_1)
	s_mov_b32 s13, exec_lo
	v_readlane_b32 s56, v108, 17
	s_and_b32 s56, s13, s56
	s_xor_b32 s13, s56, s13
	s_mov_b32 exec_lo, s56
	s_cbranch_execz .LBB155_67
; %bb.56:                               ;   in Loop: Header=BB155_3 Depth=1
	s_mov_b32 s56, exec_lo
	v_readlane_b32 s57, v108, 24
	s_and_b32 s57, s56, s57
	s_delay_alu instid0(SALU_CYCLE_1)
	s_xor_b32 s56, s57, s56
	s_mov_b32 exec_lo, s57
	s_cbranch_execz .LBB155_60
; %bb.57:                               ;   in Loop: Header=BB155_3 Depth=1
	v_readlane_b32 s58, v107, 9
	s_and_saveexec_b32 s57, s58
; %bb.58:                               ;   in Loop: Header=BB155_3 Depth=1
	ds_store_b64 v80, v[28:29]
; %bb.59:                               ;   in Loop: Header=BB155_3 Depth=1
	s_or_b32 exec_lo, exec_lo, s57
.LBB155_60:                             ;   in Loop: Header=BB155_3 Depth=1
	s_and_not1_saveexec_b32 s66, s56
	s_cbranch_execz .LBB155_66
; %bb.61:                               ;   in Loop: Header=BB155_3 Depth=1
	v_lshl_add_u64 v[38:39], v[16:17], 3, v[36:37]
                                        ; implicit-def: $vgpr40_vgpr41
	flat_load_b64 v[38:39], v[38:39]
	s_wait_loadcnt_dscnt 0x0
	v_cmp_ngt_f32_e64 s56, |v38|, |v39|
	s_wait_xcnt 0x0
	s_and_saveexec_b32 s57, s56
	s_delay_alu instid0(SALU_CYCLE_1)
	s_xor_b32 s56, exec_lo, s57
	s_cbranch_execz .LBB155_63
; %bb.62:                               ;   in Loop: Header=BB155_3 Depth=1
	v_div_scale_f32 v40, null, v39, v39, v38
	v_div_scale_f32 v43, vcc_lo, v38, v39, v38
	s_delay_alu instid0(VALU_DEP_2) | instskip(SKIP_1) | instid1(TRANS32_DEP_1)
	v_rcp_f32_e32 v41, v40
	v_nop
	v_fma_f32 v42, -v40, v41, 1.0
	s_delay_alu instid0(VALU_DEP_1) | instskip(NEXT) | instid1(VALU_DEP_1)
	v_fmac_f32_e32 v41, v42, v41
	v_mul_f32_e32 v42, v43, v41
	s_delay_alu instid0(VALU_DEP_1) | instskip(NEXT) | instid1(VALU_DEP_1)
	v_fma_f32 v98, -v40, v42, v43
	v_fmac_f32_e32 v42, v98, v41
	s_delay_alu instid0(VALU_DEP_1) | instskip(NEXT) | instid1(VALU_DEP_1)
	v_fma_f32 v40, -v40, v42, v43
	v_div_fmas_f32 v40, v40, v41, v42
	s_delay_alu instid0(VALU_DEP_1) | instskip(NEXT) | instid1(VALU_DEP_1)
	v_div_fixup_f32 v40, v40, v39, v38
	v_fmac_f32_e32 v39, v38, v40
	s_delay_alu instid0(VALU_DEP_1) | instskip(SKIP_1) | instid1(VALU_DEP_2)
	v_div_scale_f32 v38, null, v39, v39, 1.0
	v_div_scale_f32 v43, vcc_lo, 1.0, v39, 1.0
	v_rcp_f32_e32 v41, v38
	v_nop
	s_delay_alu instid0(TRANS32_DEP_1) | instskip(NEXT) | instid1(VALU_DEP_1)
	v_fma_f32 v42, -v38, v41, 1.0
	v_fmac_f32_e32 v41, v42, v41
	s_delay_alu instid0(VALU_DEP_1) | instskip(NEXT) | instid1(VALU_DEP_1)
	v_mul_f32_e32 v42, v43, v41
	v_fma_f32 v98, -v38, v42, v43
	s_delay_alu instid0(VALU_DEP_1) | instskip(NEXT) | instid1(VALU_DEP_1)
	v_fmac_f32_e32 v42, v98, v41
	v_fma_f32 v38, -v38, v42, v43
	s_delay_alu instid0(VALU_DEP_1) | instskip(NEXT) | instid1(VALU_DEP_1)
	v_div_fmas_f32 v38, v38, v41, v42
	v_div_fixup_f32 v38, v38, v39, 1.0
	s_delay_alu instid0(VALU_DEP_1)
	v_mul_f32_e32 v40, v40, v38
	v_xor_b32_e32 v41, 0x80000000, v38
                                        ; implicit-def: $vgpr38_vgpr39
.LBB155_63:                             ;   in Loop: Header=BB155_3 Depth=1
	s_and_not1_saveexec_b32 s56, s56
	s_cbranch_execz .LBB155_65
; %bb.64:                               ;   in Loop: Header=BB155_3 Depth=1
	v_div_scale_f32 v40, null, v38, v38, v39
	v_div_scale_f32 v43, vcc_lo, v39, v38, v39
	s_delay_alu instid0(VALU_DEP_2) | instskip(SKIP_1) | instid1(TRANS32_DEP_1)
	v_rcp_f32_e32 v41, v40
	v_nop
	v_fma_f32 v42, -v40, v41, 1.0
	s_delay_alu instid0(VALU_DEP_1) | instskip(NEXT) | instid1(VALU_DEP_1)
	v_fmac_f32_e32 v41, v42, v41
	v_mul_f32_e32 v42, v43, v41
	s_delay_alu instid0(VALU_DEP_1) | instskip(NEXT) | instid1(VALU_DEP_1)
	v_fma_f32 v98, -v40, v42, v43
	v_fmac_f32_e32 v42, v98, v41
	s_delay_alu instid0(VALU_DEP_1) | instskip(NEXT) | instid1(VALU_DEP_1)
	v_fma_f32 v40, -v40, v42, v43
	v_div_fmas_f32 v40, v40, v41, v42
	s_delay_alu instid0(VALU_DEP_1) | instskip(NEXT) | instid1(VALU_DEP_1)
	v_div_fixup_f32 v41, v40, v38, v39
	v_fmac_f32_e32 v38, v39, v41
	s_delay_alu instid0(VALU_DEP_1) | instskip(NEXT) | instid1(VALU_DEP_1)
	v_div_scale_f32 v39, null, v38, v38, 1.0
	v_rcp_f32_e32 v40, v39
	v_nop
	s_delay_alu instid0(TRANS32_DEP_1) | instskip(NEXT) | instid1(VALU_DEP_1)
	v_fma_f32 v42, -v39, v40, 1.0
	v_fmac_f32_e32 v40, v42, v40
	v_div_scale_f32 v42, vcc_lo, 1.0, v38, 1.0
	s_delay_alu instid0(VALU_DEP_1) | instskip(NEXT) | instid1(VALU_DEP_1)
	v_mul_f32_e32 v43, v42, v40
	v_fma_f32 v98, -v39, v43, v42
	s_delay_alu instid0(VALU_DEP_1) | instskip(NEXT) | instid1(VALU_DEP_1)
	v_fmac_f32_e32 v43, v98, v40
	v_fma_f32 v39, -v39, v43, v42
	s_delay_alu instid0(VALU_DEP_1) | instskip(NEXT) | instid1(VALU_DEP_1)
	v_div_fmas_f32 v39, v39, v40, v43
	v_div_fixup_f32 v40, v39, v38, 1.0
	s_delay_alu instid0(VALU_DEP_1)
	v_mul_f32_e64 v41, v41, -v40
.LBB155_65:                             ;   in Loop: Header=BB155_3 Depth=1
	s_or_b32 exec_lo, exec_lo, s56
	ds_store_b64 v80, v[40:41]
.LBB155_66:                             ;   in Loop: Header=BB155_3 Depth=1
	s_or_b32 exec_lo, exec_lo, s66
.LBB155_67:                             ;   in Loop: Header=BB155_3 Depth=1
	s_and_not1_saveexec_b32 s13, s13
	s_cbranch_execz .LBB155_69
; %bb.68:                               ;   in Loop: Header=BB155_3 Depth=1
	v_lshl_add_u64 v[38:39], v[16:17], 3, v[36:37]
	flat_load_b64 v[38:39], v[38:39]
	s_wait_loadcnt_dscnt 0x0
	v_pk_add_f32 v[38:39], v[38:39], 0 neg_lo:[1,1] neg_hi:[1,1]
	ds_store_b64 v80, v[38:39]
.LBB155_69:                             ;   in Loop: Header=BB155_3 Depth=1
	s_or_b32 exec_lo, exec_lo, s13
	s_delay_alu instid0(SALU_CYCLE_1) | instskip(SKIP_2) | instid1(SALU_CYCLE_1)
	s_mov_b32 s13, exec_lo
	v_readlane_b32 s56, v108, 18
	s_and_b32 s56, s13, s56
	s_xor_b32 s13, s56, s13
	s_mov_b32 exec_lo, s56
	s_cbranch_execz .LBB155_81
; %bb.70:                               ;   in Loop: Header=BB155_3 Depth=1
	s_mov_b32 s56, exec_lo
	v_readlane_b32 s57, v108, 26
	s_and_b32 s57, s56, s57
	s_delay_alu instid0(SALU_CYCLE_1)
	s_xor_b32 s56, s57, s56
	s_mov_b32 exec_lo, s57
	s_cbranch_execz .LBB155_74
; %bb.71:                               ;   in Loop: Header=BB155_3 Depth=1
	v_readlane_b32 s58, v107, 10
	s_and_saveexec_b32 s57, s58
; %bb.72:                               ;   in Loop: Header=BB155_3 Depth=1
	ds_store_b64 v82, v[28:29]
; %bb.73:                               ;   in Loop: Header=BB155_3 Depth=1
	s_or_b32 exec_lo, exec_lo, s57
                                        ; implicit-def: $vgpr36_vgpr37
.LBB155_74:                             ;   in Loop: Header=BB155_3 Depth=1
	s_and_not1_saveexec_b32 s66, s56
	s_cbranch_execz .LBB155_80
; %bb.75:                               ;   in Loop: Header=BB155_3 Depth=1
	v_lshl_add_u64 v[36:37], v[18:19], 3, v[36:37]
                                        ; implicit-def: $vgpr38_vgpr39
	flat_load_b64 v[36:37], v[36:37]
	s_wait_loadcnt_dscnt 0x0
	v_cmp_ngt_f32_e64 s56, |v36|, |v37|
	s_wait_xcnt 0x0
	s_and_saveexec_b32 s57, s56
	s_delay_alu instid0(SALU_CYCLE_1)
	s_xor_b32 s56, exec_lo, s57
	s_cbranch_execz .LBB155_77
; %bb.76:                               ;   in Loop: Header=BB155_3 Depth=1
	v_div_scale_f32 v38, null, v37, v37, v36
	v_div_scale_f32 v41, vcc_lo, v36, v37, v36
	s_delay_alu instid0(VALU_DEP_2) | instskip(SKIP_1) | instid1(TRANS32_DEP_1)
	v_rcp_f32_e32 v39, v38
	v_nop
	v_fma_f32 v40, -v38, v39, 1.0
	s_delay_alu instid0(VALU_DEP_1) | instskip(NEXT) | instid1(VALU_DEP_1)
	v_fmac_f32_e32 v39, v40, v39
	v_mul_f32_e32 v40, v41, v39
	s_delay_alu instid0(VALU_DEP_1) | instskip(NEXT) | instid1(VALU_DEP_1)
	v_fma_f32 v42, -v38, v40, v41
	v_fmac_f32_e32 v40, v42, v39
	s_delay_alu instid0(VALU_DEP_1) | instskip(NEXT) | instid1(VALU_DEP_1)
	v_fma_f32 v38, -v38, v40, v41
	v_div_fmas_f32 v38, v38, v39, v40
	s_delay_alu instid0(VALU_DEP_1) | instskip(NEXT) | instid1(VALU_DEP_1)
	v_div_fixup_f32 v38, v38, v37, v36
	v_fmac_f32_e32 v37, v36, v38
	s_delay_alu instid0(VALU_DEP_1) | instskip(SKIP_1) | instid1(VALU_DEP_2)
	v_div_scale_f32 v36, null, v37, v37, 1.0
	v_div_scale_f32 v41, vcc_lo, 1.0, v37, 1.0
	v_rcp_f32_e32 v39, v36
	v_nop
	s_delay_alu instid0(TRANS32_DEP_1) | instskip(NEXT) | instid1(VALU_DEP_1)
	v_fma_f32 v40, -v36, v39, 1.0
	v_fmac_f32_e32 v39, v40, v39
	s_delay_alu instid0(VALU_DEP_1) | instskip(NEXT) | instid1(VALU_DEP_1)
	v_mul_f32_e32 v40, v41, v39
	v_fma_f32 v42, -v36, v40, v41
	s_delay_alu instid0(VALU_DEP_1) | instskip(NEXT) | instid1(VALU_DEP_1)
	v_fmac_f32_e32 v40, v42, v39
	v_fma_f32 v36, -v36, v40, v41
	s_delay_alu instid0(VALU_DEP_1) | instskip(NEXT) | instid1(VALU_DEP_1)
	v_div_fmas_f32 v36, v36, v39, v40
	v_div_fixup_f32 v36, v36, v37, 1.0
	s_delay_alu instid0(VALU_DEP_1)
	v_mul_f32_e32 v38, v38, v36
	v_xor_b32_e32 v39, 0x80000000, v36
                                        ; implicit-def: $vgpr36_vgpr37
.LBB155_77:                             ;   in Loop: Header=BB155_3 Depth=1
	s_and_not1_saveexec_b32 s56, s56
	s_cbranch_execz .LBB155_79
; %bb.78:                               ;   in Loop: Header=BB155_3 Depth=1
	v_div_scale_f32 v38, null, v36, v36, v37
	v_div_scale_f32 v41, vcc_lo, v37, v36, v37
	s_delay_alu instid0(VALU_DEP_2) | instskip(SKIP_1) | instid1(TRANS32_DEP_1)
	v_rcp_f32_e32 v39, v38
	v_nop
	v_fma_f32 v40, -v38, v39, 1.0
	s_delay_alu instid0(VALU_DEP_1) | instskip(NEXT) | instid1(VALU_DEP_1)
	v_fmac_f32_e32 v39, v40, v39
	v_mul_f32_e32 v40, v41, v39
	s_delay_alu instid0(VALU_DEP_1) | instskip(NEXT) | instid1(VALU_DEP_1)
	v_fma_f32 v42, -v38, v40, v41
	v_fmac_f32_e32 v40, v42, v39
	s_delay_alu instid0(VALU_DEP_1) | instskip(NEXT) | instid1(VALU_DEP_1)
	v_fma_f32 v38, -v38, v40, v41
	v_div_fmas_f32 v38, v38, v39, v40
	s_delay_alu instid0(VALU_DEP_1) | instskip(NEXT) | instid1(VALU_DEP_1)
	v_div_fixup_f32 v39, v38, v36, v37
	v_fmac_f32_e32 v36, v37, v39
	s_delay_alu instid0(VALU_DEP_1) | instskip(NEXT) | instid1(VALU_DEP_1)
	v_div_scale_f32 v37, null, v36, v36, 1.0
	v_rcp_f32_e32 v38, v37
	v_nop
	s_delay_alu instid0(TRANS32_DEP_1) | instskip(NEXT) | instid1(VALU_DEP_1)
	v_fma_f32 v40, -v37, v38, 1.0
	v_fmac_f32_e32 v38, v40, v38
	v_div_scale_f32 v40, vcc_lo, 1.0, v36, 1.0
	s_delay_alu instid0(VALU_DEP_1) | instskip(NEXT) | instid1(VALU_DEP_1)
	v_mul_f32_e32 v41, v40, v38
	v_fma_f32 v42, -v37, v41, v40
	s_delay_alu instid0(VALU_DEP_1) | instskip(NEXT) | instid1(VALU_DEP_1)
	v_fmac_f32_e32 v41, v42, v38
	v_fma_f32 v37, -v37, v41, v40
	s_delay_alu instid0(VALU_DEP_1) | instskip(NEXT) | instid1(VALU_DEP_1)
	v_div_fmas_f32 v37, v37, v38, v41
	v_div_fixup_f32 v38, v37, v36, 1.0
	s_delay_alu instid0(VALU_DEP_1)
	v_mul_f32_e64 v39, v39, -v38
.LBB155_79:                             ;   in Loop: Header=BB155_3 Depth=1
	s_or_b32 exec_lo, exec_lo, s56
	ds_store_b64 v82, v[38:39]
.LBB155_80:                             ;   in Loop: Header=BB155_3 Depth=1
	s_or_b32 exec_lo, exec_lo, s66
                                        ; implicit-def: $vgpr36_vgpr37
.LBB155_81:                             ;   in Loop: Header=BB155_3 Depth=1
	s_and_not1_saveexec_b32 s13, s13
	s_cbranch_execz .LBB155_83
; %bb.82:                               ;   in Loop: Header=BB155_3 Depth=1
	v_lshl_add_u64 v[36:37], v[18:19], 3, v[36:37]
	flat_load_b64 v[36:37], v[36:37]
	s_wait_loadcnt_dscnt 0x0
	v_pk_add_f32 v[36:37], v[36:37], 0 neg_lo:[1,1] neg_hi:[1,1]
	ds_store_b64 v82, v[36:37]
.LBB155_83:                             ;   in Loop: Header=BB155_3 Depth=1
	s_or_b32 exec_lo, exec_lo, s13
.LBB155_84:                             ;   in Loop: Header=BB155_3 Depth=1
	s_delay_alu instid0(SALU_CYCLE_1)
	s_and_not1_b32 vcc_lo, exec_lo, s92
	s_wait_storecnt 0x0
	s_wait_loadcnt_dscnt 0x0
	s_barrier_signal -1
	s_barrier_wait -1
	s_cbranch_vccnz .LBB155_1006
; %bb.85:                               ;   in Loop: Header=BB155_3 Depth=1
	s_and_saveexec_b32 s13, s14
	s_cbranch_execz .LBB155_87
; %bb.86:                               ;   in Loop: Header=BB155_3 Depth=1
	ds_load_b128 v[36:39], v5
	ds_load_b64 v[40:41], v5 offset:520
	s_wait_dscnt 0x1
	v_dual_mov_b32 v98, v39 :: v_dual_mov_b32 v99, v38
	s_wait_dscnt 0x0
	v_dual_mul_f32 v43, v41, v37 :: v_dual_mul_f32 v42, v40, v37
	s_delay_alu instid0(VALU_DEP_1) | instskip(NEXT) | instid1(VALU_DEP_1)
	v_xor_b32_e32 v100, 0x80000000, v43
	v_dual_fmac_f32 v42, v41, v36 :: v_dual_fmac_f32 v100, v40, v36
	s_delay_alu instid0(VALU_DEP_1) | instskip(NEXT) | instid1(VALU_DEP_1)
	v_pk_mul_f32 v[36:37], v[42:43], v[98:99] op_sel_hi:[0,1]
	v_pk_fma_f32 v[40:41], v[100:101], v[38:39], v[36:37] op_sel_hi:[0,1,1]
	v_pk_fma_f32 v[36:37], v[100:101], v[38:39], v[36:37] neg_lo:[0,0,1] neg_hi:[0,0,1]
	s_delay_alu instid0(VALU_DEP_2)
	v_mov_b32_e32 v37, v41
	ds_store_2addr_b64 v5, v[36:37], v[36:37] offset0:1 offset1:64
.LBB155_87:                             ;   in Loop: Header=BB155_3 Depth=1
	s_or_b32 exec_lo, exec_lo, s13
	v_mov_b32_e32 v37, 0
	s_wait_dscnt 0x0
	s_barrier_signal -1
	s_barrier_wait -1
	s_delay_alu instid0(VALU_DEP_1)
	v_mov_b32_e32 v36, v37
	s_and_saveexec_b32 s13, s1
	s_cbranch_execz .LBB155_91
; %bb.88:                               ;   in Loop: Header=BB155_3 Depth=1
	ds_load_b64 v[36:37], v45 offset:16
	ds_load_b64 v[38:39], v46
	s_wait_dscnt 0x0
	v_dual_mul_f32 v40, v39, v37 :: v_dual_mul_f32 v41, v38, v37
	s_delay_alu instid0(VALU_DEP_1) | instskip(NEXT) | instid1(VALU_DEP_1)
	v_dual_fma_f32 v40, v38, v36, -v40 :: v_dual_fmac_f32 v41, v39, v36
	v_pk_add_f32 v[36:37], v[40:41], 0 op_sel_hi:[1,0]
	s_and_saveexec_b32 s56, s15
	s_cbranch_execz .LBB155_90
; %bb.89:                               ;   in Loop: Header=BB155_3 Depth=1
	ds_load_b64 v[38:39], v47 offset:528
	ds_load_b64 v[40:41], v5 offset:8
	s_wait_dscnt 0x0
	v_pk_mul_f32 v[42:43], v[40:41], v[38:39] op_sel:[1,1] op_sel_hi:[0,1]
	s_delay_alu instid0(VALU_DEP_1) | instskip(SKIP_1) | instid1(VALU_DEP_2)
	v_pk_fma_f32 v[98:99], v[40:41], v[38:39], v[42:43] op_sel_hi:[1,0,1]
	v_pk_fma_f32 v[38:39], v[40:41], v[38:39], v[42:43] neg_lo:[0,0,1] neg_hi:[0,0,1]
	v_mov_b32_e32 v39, v99
	s_delay_alu instid0(VALU_DEP_1)
	v_pk_add_f32 v[36:37], v[36:37], v[38:39]
.LBB155_90:                             ;   in Loop: Header=BB155_3 Depth=1
	s_or_b32 exec_lo, exec_lo, s56
	s_delay_alu instid0(VALU_DEP_1)
	v_pk_add_f32 v[36:37], v[36:37], 0 neg_lo:[1,1] neg_hi:[1,1]
.LBB155_91:                             ;   in Loop: Header=BB155_3 Depth=1
	s_or_b32 exec_lo, exec_lo, s13
	s_and_saveexec_b32 s13, s93
	s_cbranch_execz .LBB155_93
; %bb.92:                               ;   in Loop: Header=BB155_3 Depth=1
	ds_load_b64 v[38:39], v5 offset:1040
	s_wait_dscnt 0x0
	v_pk_mul_f32 v[40:41], v[36:37], v[38:39] op_sel:[1,1] op_sel_hi:[1,0]
	s_delay_alu instid0(VALU_DEP_1) | instskip(SKIP_1) | instid1(VALU_DEP_2)
	v_pk_fma_f32 v[42:43], v[36:37], v[38:39], v[40:41] op_sel_hi:[0,1,1]
	v_pk_fma_f32 v[38:39], v[36:37], v[38:39], v[40:41] neg_lo:[0,0,1] neg_hi:[0,0,1]
	v_mov_b32_e32 v39, v43
	s_delay_alu instid0(VALU_DEP_1)
	v_mov_b64_e32 v[36:37], v[38:39]
	ds_store_b64 v3, v[38:39]
.LBB155_93:                             ;   in Loop: Header=BB155_3 Depth=1
	s_or_b32 exec_lo, exec_lo, s13
	s_wait_dscnt 0x0
	s_barrier_signal -1
	s_barrier_wait -1
	s_and_saveexec_b32 s13, s94
	s_cbranch_execz .LBB155_95
; %bb.94:                               ;   in Loop: Header=BB155_3 Depth=1
	ds_load_b64 v[38:39], v5 offset:1048
	ds_load_b64 v[40:41], v3
	s_wait_dscnt 0x0
	v_pk_mul_f32 v[42:43], v[40:41], v[38:39] op_sel:[1,1] op_sel_hi:[0,1]
	s_delay_alu instid0(VALU_DEP_1) | instskip(SKIP_1) | instid1(VALU_DEP_2)
	v_pk_fma_f32 v[98:99], v[40:41], v[38:39], v[42:43] op_sel_hi:[1,0,1]
	v_pk_fma_f32 v[38:39], v[40:41], v[38:39], v[42:43] neg_lo:[0,0,1] neg_hi:[0,0,1]
	v_mov_b32_e32 v39, v99
	s_delay_alu instid0(VALU_DEP_1)
	v_pk_add_f32 v[36:37], v[36:37], v[38:39]
.LBB155_95:                             ;   in Loop: Header=BB155_3 Depth=1
	s_or_b32 exec_lo, exec_lo, s13
	s_barrier_signal -1
	s_barrier_wait -1
	s_and_saveexec_b32 s13, s94
	s_cbranch_execz .LBB155_97
; %bb.96:                               ;   in Loop: Header=BB155_3 Depth=1
	ds_load_b64 v[38:39], v5 offset:1560
	s_wait_dscnt 0x0
	v_pk_mul_f32 v[40:41], v[36:37], v[38:39] op_sel:[1,1] op_sel_hi:[1,0]
	s_delay_alu instid0(VALU_DEP_1) | instskip(SKIP_1) | instid1(VALU_DEP_2)
	v_pk_fma_f32 v[42:43], v[36:37], v[38:39], v[40:41] op_sel_hi:[0,1,1]
	v_pk_fma_f32 v[38:39], v[36:37], v[38:39], v[40:41] neg_lo:[0,0,1] neg_hi:[0,0,1]
	v_mov_b32_e32 v39, v43
	s_delay_alu instid0(VALU_DEP_1)
	v_mov_b64_e32 v[36:37], v[38:39]
	ds_store_b64 v3, v[38:39]
.LBB155_97:                             ;   in Loop: Header=BB155_3 Depth=1
	s_or_b32 exec_lo, exec_lo, s13
	s_wait_dscnt 0x0
	s_barrier_signal -1
	s_barrier_wait -1
	s_barrier_signal -1
	s_barrier_wait -1
	s_and_saveexec_b32 s13, s1
; %bb.98:                               ;   in Loop: Header=BB155_3 Depth=1
	v_pk_add_f32 v[36:37], v[36:37], 0 neg_lo:[1,1] neg_hi:[1,1]
	ds_store_b64 v45, v[36:37] offset:16
; %bb.99:                               ;   in Loop: Header=BB155_3 Depth=1
	s_or_b32 exec_lo, exec_lo, s13
	s_wait_dscnt 0x0
	s_barrier_signal -1
	s_barrier_wait -1
	s_barrier_signal -1
	s_barrier_wait -1
	s_and_saveexec_b32 s13, s95
	s_cbranch_execz .LBB155_101
; %bb.100:                              ;   in Loop: Header=BB155_3 Depth=1
	ds_load_b64 v[36:37], v50 offset:16
	s_wait_dscnt 0x0
	ds_store_b64 v47, v[36:37] offset:1024
	ds_load_b64 v[36:37], v50 offset:24
	s_wait_dscnt 0x0
	ds_store_b64 v47, v[36:37] offset:1536
.LBB155_101:                            ;   in Loop: Header=BB155_3 Depth=1
	s_or_b32 exec_lo, exec_lo, s13
	s_wait_dscnt 0x0
	s_barrier_signal -1
	s_barrier_wait -1
	s_and_saveexec_b32 s13, s14
	s_cbranch_execz .LBB155_103
; %bb.102:                              ;   in Loop: Header=BB155_3 Depth=1
	ds_load_b128 v[36:39], v5 offset:1040
	ds_load_b64 v[40:41], v5 offset:1560
	s_wait_dscnt 0x1
	v_dual_mov_b32 v98, v39 :: v_dual_mov_b32 v99, v38
	s_wait_dscnt 0x0
	v_dual_mul_f32 v43, v41, v37 :: v_dual_mul_f32 v42, v40, v37
	s_delay_alu instid0(VALU_DEP_1) | instskip(NEXT) | instid1(VALU_DEP_1)
	v_xor_b32_e32 v100, 0x80000000, v43
	v_dual_fmac_f32 v42, v41, v36 :: v_dual_fmac_f32 v100, v40, v36
	s_delay_alu instid0(VALU_DEP_1) | instskip(NEXT) | instid1(VALU_DEP_1)
	v_pk_mul_f32 v[36:37], v[42:43], v[98:99] op_sel_hi:[0,1]
	v_pk_fma_f32 v[40:41], v[100:101], v[38:39], v[36:37] op_sel_hi:[0,1,1]
	v_pk_fma_f32 v[36:37], v[100:101], v[38:39], v[36:37] neg_lo:[0,0,1] neg_hi:[0,0,1]
	s_delay_alu instid0(VALU_DEP_2)
	v_mov_b32_e32 v37, v41
	ds_store_2addr_b64 v5, v[36:37], v[36:37] offset0:131 offset1:194
.LBB155_103:                            ;   in Loop: Header=BB155_3 Depth=1
	s_or_b32 exec_lo, exec_lo, s13
	v_mov_b32_e32 v36, 0
	s_wait_dscnt 0x0
	s_barrier_signal -1
	s_barrier_wait -1
	s_delay_alu instid0(VALU_DEP_1)
	v_mov_b32_e32 v37, v36
	s_and_saveexec_b32 s13, s3
	s_cbranch_execz .LBB155_109
; %bb.104:                              ;   in Loop: Header=BB155_3 Depth=1
	ds_load_b64 v[36:37], v52 offset:32
	ds_load_b64 v[38:39], v48
	s_wait_dscnt 0x0
	v_pk_mul_f32 v[40:41], v[38:39], v[36:37] op_sel:[0,1]
	s_delay_alu instid0(VALU_DEP_1) | instskip(SKIP_1) | instid1(VALU_DEP_2)
	v_pk_fma_f32 v[42:43], v[38:39], v[36:37], v[40:41] op_sel:[1,0,0] op_sel_hi:[0,0,1] neg_lo:[0,0,1] neg_hi:[0,0,1]
	v_pk_fma_f32 v[36:37], v[38:39], v[36:37], v[40:41] op_sel:[1,0,0] op_sel_hi:[0,1,1]
	v_mov_b32_e32 v37, v43
	s_delay_alu instid0(VALU_DEP_1)
	v_pk_add_f32 v[36:37], v[36:37], 0 op_sel_hi:[1,0]
	s_and_saveexec_b32 s56, s16
	s_cbranch_execnz .LBB155_1110
; %bb.105:                              ;   in Loop: Header=BB155_3 Depth=1
	s_or_b32 exec_lo, exec_lo, s56
	s_and_saveexec_b32 s56, s17
	s_cbranch_execnz .LBB155_1111
.LBB155_106:                            ;   in Loop: Header=BB155_3 Depth=1
	s_or_b32 exec_lo, exec_lo, s56
	s_and_saveexec_b32 s56, s1
	s_cbranch_execz .LBB155_108
.LBB155_107:                            ;   in Loop: Header=BB155_3 Depth=1
	ds_load_b64 v[38:39], v55 offset:1568
	ds_load_b64 v[40:41], v5 offset:24
	s_wait_dscnt 0x0
	v_pk_mul_f32 v[42:43], v[40:41], v[38:39] op_sel:[0,1]
	s_delay_alu instid0(VALU_DEP_1) | instskip(SKIP_1) | instid1(VALU_DEP_2)
	v_pk_fma_f32 v[98:99], v[40:41], v[38:39], v[42:43] op_sel:[1,0,0] op_sel_hi:[0,0,1] neg_lo:[0,0,1] neg_hi:[0,0,1]
	v_pk_fma_f32 v[38:39], v[40:41], v[38:39], v[42:43] op_sel:[1,0,0] op_sel_hi:[0,1,1]
	v_mov_b32_e32 v39, v99
	s_delay_alu instid0(VALU_DEP_1)
	v_pk_add_f32 v[36:37], v[36:37], v[38:39]
.LBB155_108:                            ;   in Loop: Header=BB155_3 Depth=1
	s_or_b32 exec_lo, exec_lo, s56
	s_delay_alu instid0(VALU_DEP_1) | instskip(NEXT) | instid1(VALU_DEP_1)
	v_pk_add_f32 v[38:39], v[36:37], 0 neg_lo:[1,1] neg_hi:[1,1]
	v_dual_mov_b32 v36, v39 :: v_dual_mov_b32 v37, v38
.LBB155_109:                            ;   in Loop: Header=BB155_3 Depth=1
	s_or_b32 exec_lo, exec_lo, s13
	s_and_saveexec_b32 s13, s96
	s_cbranch_execz .LBB155_111
; %bb.110:                              ;   in Loop: Header=BB155_3 Depth=1
	ds_load_b64 v[38:39], v5 offset:2080
	v_dual_mov_b32 v40, v37 :: v_dual_mov_b32 v41, v36
	s_wait_dscnt 0x0
	s_delay_alu instid0(VALU_DEP_1) | instskip(NEXT) | instid1(VALU_DEP_1)
	v_dual_mul_f32 v42, v40, v38 :: v_dual_mul_f32 v98, v37, v39
	v_pk_fma_f32 v[40:41], v[40:41], v[38:39], v[42:43] op_sel_hi:[1,1,0]
	s_delay_alu instid0(VALU_DEP_2) | instskip(NEXT) | instid1(VALU_DEP_2)
	v_pk_fma_f32 v[36:37], v[36:37], v[38:39], v[98:99] op_sel_hi:[1,1,0] neg_lo:[0,0,1] neg_hi:[0,0,1]
	v_mov_b32_e32 v37, v41
	ds_store_b64 v51, v[36:37]
.LBB155_111:                            ;   in Loop: Header=BB155_3 Depth=1
	s_or_b32 exec_lo, exec_lo, s13
	s_wait_dscnt 0x0
	s_barrier_signal -1
	s_barrier_wait -1
	s_and_saveexec_b32 s13, s97
	s_cbranch_execz .LBB155_113
; %bb.112:                              ;   in Loop: Header=BB155_3 Depth=1
	ds_load_b64 v[38:39], v49 offset:2080
	ds_load_b64 v[40:41], v51
	s_wait_dscnt 0x0
	v_dual_mul_f32 v42, v41, v39 :: v_dual_mul_f32 v43, v40, v39
	s_delay_alu instid0(VALU_DEP_1) | instskip(NEXT) | instid1(VALU_DEP_1)
	v_dual_fma_f32 v42, v40, v38, -v42 :: v_dual_fmac_f32 v43, v41, v38
	v_pk_add_f32 v[36:37], v[36:37], v[42:43]
.LBB155_113:                            ;   in Loop: Header=BB155_3 Depth=1
	s_or_b32 exec_lo, exec_lo, s13
	s_barrier_signal -1
	s_barrier_wait -1
	s_and_saveexec_b32 s13, s98
	s_cbranch_execz .LBB155_115
; %bb.114:                              ;   in Loop: Header=BB155_3 Depth=1
	ds_load_b64 v[38:39], v5 offset:2600
	s_wait_dscnt 0x0
	v_pk_mul_f32 v[40:41], v[36:37], v[38:39] op_sel:[1,1] op_sel_hi:[1,0]
	s_delay_alu instid0(VALU_DEP_1) | instskip(SKIP_1) | instid1(VALU_DEP_2)
	v_pk_fma_f32 v[42:43], v[36:37], v[38:39], v[40:41] op_sel_hi:[0,1,1]
	v_pk_fma_f32 v[38:39], v[36:37], v[38:39], v[40:41] neg_lo:[0,0,1] neg_hi:[0,0,1]
	v_mov_b32_e32 v39, v43
	s_delay_alu instid0(VALU_DEP_1)
	v_mov_b64_e32 v[36:37], v[38:39]
	ds_store_b64 v51, v[38:39]
.LBB155_115:                            ;   in Loop: Header=BB155_3 Depth=1
	s_or_b32 exec_lo, exec_lo, s13
	s_wait_dscnt 0x0
	s_barrier_signal -1
	s_barrier_wait -1
	s_and_saveexec_b32 s13, s99
	s_cbranch_execz .LBB155_117
; %bb.116:                              ;   in Loop: Header=BB155_3 Depth=1
	ds_load_b64 v[38:39], v49 offset:2592
	ds_load_b64 v[40:41], v51
	s_wait_dscnt 0x0
	v_pk_mul_f32 v[42:43], v[40:41], v[38:39] op_sel:[1,1] op_sel_hi:[0,1]
	s_delay_alu instid0(VALU_DEP_1) | instskip(SKIP_1) | instid1(VALU_DEP_2)
	v_pk_fma_f32 v[98:99], v[40:41], v[38:39], v[42:43] op_sel_hi:[1,0,1]
	v_pk_fma_f32 v[38:39], v[40:41], v[38:39], v[42:43] neg_lo:[0,0,1] neg_hi:[0,0,1]
	v_mov_b32_e32 v39, v99
	s_delay_alu instid0(VALU_DEP_1)
	v_pk_add_f32 v[36:37], v[36:37], v[38:39]
.LBB155_117:                            ;   in Loop: Header=BB155_3 Depth=1
	s_or_b32 exec_lo, exec_lo, s13
	s_barrier_signal -1
	s_barrier_wait -1
	s_and_saveexec_b32 s13, s100
	s_cbranch_execz .LBB155_119
; %bb.118:                              ;   in Loop: Header=BB155_3 Depth=1
	ds_load_b64 v[38:39], v5 offset:3120
	s_wait_dscnt 0x0
	v_pk_mul_f32 v[40:41], v[36:37], v[38:39] op_sel:[1,1] op_sel_hi:[1,0]
	s_delay_alu instid0(VALU_DEP_1) | instskip(SKIP_1) | instid1(VALU_DEP_2)
	v_pk_fma_f32 v[42:43], v[36:37], v[38:39], v[40:41] op_sel_hi:[0,1,1]
	v_pk_fma_f32 v[38:39], v[36:37], v[38:39], v[40:41] neg_lo:[0,0,1] neg_hi:[0,0,1]
	v_mov_b32_e32 v39, v43
	s_delay_alu instid0(VALU_DEP_1)
	v_mov_b64_e32 v[36:37], v[38:39]
	ds_store_b64 v51, v[38:39]
.LBB155_119:                            ;   in Loop: Header=BB155_3 Depth=1
	s_or_b32 exec_lo, exec_lo, s13
	s_wait_dscnt 0x0
	s_barrier_signal -1
	s_barrier_wait -1
	s_and_saveexec_b32 s13, s101
	s_cbranch_execz .LBB155_121
; %bb.120:                              ;   in Loop: Header=BB155_3 Depth=1
	ds_load_b64 v[38:39], v5 offset:3128
	ds_load_b64 v[40:41], v51
	s_wait_dscnt 0x0
	v_pk_mul_f32 v[42:43], v[40:41], v[38:39] op_sel:[1,1] op_sel_hi:[0,1]
	s_delay_alu instid0(VALU_DEP_1) | instskip(SKIP_1) | instid1(VALU_DEP_2)
	v_pk_fma_f32 v[98:99], v[40:41], v[38:39], v[42:43] op_sel_hi:[1,0,1]
	v_pk_fma_f32 v[38:39], v[40:41], v[38:39], v[42:43] neg_lo:[0,0,1] neg_hi:[0,0,1]
	v_mov_b32_e32 v39, v99
	s_delay_alu instid0(VALU_DEP_1)
	v_pk_add_f32 v[36:37], v[36:37], v[38:39]
.LBB155_121:                            ;   in Loop: Header=BB155_3 Depth=1
	s_or_b32 exec_lo, exec_lo, s13
	s_barrier_signal -1
	s_barrier_wait -1
	s_and_saveexec_b32 s13, s101
	s_cbranch_execz .LBB155_123
; %bb.122:                              ;   in Loop: Header=BB155_3 Depth=1
	ds_load_b64 v[38:39], v5 offset:3640
	s_wait_dscnt 0x0
	v_pk_mul_f32 v[40:41], v[36:37], v[38:39] op_sel:[1,1] op_sel_hi:[1,0]
	s_delay_alu instid0(VALU_DEP_1) | instskip(SKIP_1) | instid1(VALU_DEP_2)
	v_pk_fma_f32 v[42:43], v[36:37], v[38:39], v[40:41] op_sel_hi:[0,1,1]
	v_pk_fma_f32 v[38:39], v[36:37], v[38:39], v[40:41] neg_lo:[0,0,1] neg_hi:[0,0,1]
	v_mov_b32_e32 v39, v43
	s_delay_alu instid0(VALU_DEP_1)
	v_mov_b64_e32 v[36:37], v[38:39]
	ds_store_b64 v51, v[38:39]
.LBB155_123:                            ;   in Loop: Header=BB155_3 Depth=1
	s_or_b32 exec_lo, exec_lo, s13
	s_wait_dscnt 0x0
	s_barrier_signal -1
	s_barrier_wait -1
	s_barrier_signal -1
	s_barrier_wait -1
	s_and_saveexec_b32 s13, s3
; %bb.124:                              ;   in Loop: Header=BB155_3 Depth=1
	v_pk_add_f32 v[36:37], v[36:37], 0 neg_lo:[1,1] neg_hi:[1,1]
	ds_store_b64 v52, v[36:37] offset:32
; %bb.125:                              ;   in Loop: Header=BB155_3 Depth=1
	s_or_b32 exec_lo, exec_lo, s13
	s_wait_dscnt 0x0
	s_barrier_signal -1
	s_barrier_wait -1
	s_barrier_signal -1
	s_barrier_wait -1
	s_and_saveexec_b32 s13, s102
	s_cbranch_execz .LBB155_127
; %bb.126:                              ;   in Loop: Header=BB155_3 Depth=1
	ds_load_b64 v[36:37], v57 offset:32
	s_wait_dscnt 0x0
	ds_store_b64 v70, v[36:37] offset:2048
	ds_load_b64 v[36:37], v57 offset:40
	s_wait_dscnt 0x0
	ds_store_b64 v70, v[36:37] offset:2560
	;; [unrolled: 3-line block ×4, first 2 shown]
.LBB155_127:                            ;   in Loop: Header=BB155_3 Depth=1
	s_or_b32 exec_lo, exec_lo, s13
	s_wait_dscnt 0x0
	s_barrier_signal -1
	s_barrier_wait -1
	s_and_saveexec_b32 s13, s14
	s_cbranch_execz .LBB155_129
; %bb.128:                              ;   in Loop: Header=BB155_3 Depth=1
	ds_load_b128 v[36:39], v5 offset:2080
	ds_load_b64 v[40:41], v5 offset:2600
	s_wait_dscnt 0x1
	v_dual_mov_b32 v98, v39 :: v_dual_mov_b32 v99, v38
	s_wait_dscnt 0x0
	v_dual_mul_f32 v43, v41, v37 :: v_dual_mul_f32 v42, v40, v37
	s_delay_alu instid0(VALU_DEP_1) | instskip(NEXT) | instid1(VALU_DEP_1)
	v_xor_b32_e32 v100, 0x80000000, v43
	v_dual_fmac_f32 v42, v41, v36 :: v_dual_fmac_f32 v100, v40, v36
	s_delay_alu instid0(VALU_DEP_1) | instskip(NEXT) | instid1(VALU_DEP_1)
	v_pk_mul_f32 v[36:37], v[42:43], v[98:99] op_sel_hi:[0,1]
	v_pk_fma_f32 v[40:41], v[100:101], v[38:39], v[36:37] op_sel_hi:[0,1,1]
	v_pk_fma_f32 v[36:37], v[100:101], v[38:39], v[36:37] neg_lo:[0,0,1] neg_hi:[0,0,1]
	v_add_nc_u32_e64 v38, 0x800, 0
	s_delay_alu instid0(VALU_DEP_3)
	v_mov_b32_e32 v37, v41
	ds_store_2addr_b64 v38, v[36:37], v[36:37] offset0:5 offset1:68
.LBB155_129:                            ;   in Loop: Header=BB155_3 Depth=1
	s_or_b32 exec_lo, exec_lo, s13
	v_mov_b32_e32 v37, 0
	s_wait_dscnt 0x0
	s_barrier_signal -1
	s_barrier_wait -1
	s_delay_alu instid0(VALU_DEP_1)
	v_mov_b32_e32 v36, v37
	s_and_saveexec_b32 s13, s1
	s_cbranch_execz .LBB155_133
; %bb.130:                              ;   in Loop: Header=BB155_3 Depth=1
	ds_load_b64 v[36:37], v45 offset:2096
	ds_load_b64 v[38:39], v46 offset:2080
	s_wait_dscnt 0x0
	v_dual_mul_f32 v40, v39, v37 :: v_dual_mul_f32 v41, v38, v37
	s_delay_alu instid0(VALU_DEP_1) | instskip(NEXT) | instid1(VALU_DEP_1)
	v_dual_fma_f32 v40, v38, v36, -v40 :: v_dual_fmac_f32 v41, v39, v36
	v_pk_add_f32 v[36:37], v[40:41], 0 op_sel_hi:[1,0]
	s_and_saveexec_b32 s56, s15
	s_cbranch_execz .LBB155_132
; %bb.131:                              ;   in Loop: Header=BB155_3 Depth=1
	ds_load_b64 v[38:39], v70 offset:2608
	ds_load_b64 v[40:41], v5 offset:2088
	s_wait_dscnt 0x0
	v_pk_mul_f32 v[42:43], v[40:41], v[38:39] op_sel:[1,1] op_sel_hi:[0,1]
	s_delay_alu instid0(VALU_DEP_1) | instskip(SKIP_1) | instid1(VALU_DEP_2)
	v_pk_fma_f32 v[98:99], v[40:41], v[38:39], v[42:43] op_sel_hi:[1,0,1]
	v_pk_fma_f32 v[38:39], v[40:41], v[38:39], v[42:43] neg_lo:[0,0,1] neg_hi:[0,0,1]
	v_mov_b32_e32 v39, v99
	s_delay_alu instid0(VALU_DEP_1)
	v_pk_add_f32 v[36:37], v[36:37], v[38:39]
.LBB155_132:                            ;   in Loop: Header=BB155_3 Depth=1
	s_or_b32 exec_lo, exec_lo, s56
	s_delay_alu instid0(VALU_DEP_1)
	v_pk_add_f32 v[36:37], v[36:37], 0 neg_lo:[1,1] neg_hi:[1,1]
.LBB155_133:                            ;   in Loop: Header=BB155_3 Depth=1
	s_or_b32 exec_lo, exec_lo, s13
	s_and_saveexec_b32 s13, s93
	s_cbranch_execz .LBB155_135
; %bb.134:                              ;   in Loop: Header=BB155_3 Depth=1
	ds_load_b64 v[38:39], v5 offset:3120
	s_wait_dscnt 0x0
	v_pk_mul_f32 v[40:41], v[36:37], v[38:39] op_sel:[1,1] op_sel_hi:[1,0]
	s_delay_alu instid0(VALU_DEP_1) | instskip(SKIP_1) | instid1(VALU_DEP_2)
	v_pk_fma_f32 v[42:43], v[36:37], v[38:39], v[40:41] op_sel_hi:[0,1,1]
	v_pk_fma_f32 v[38:39], v[36:37], v[38:39], v[40:41] neg_lo:[0,0,1] neg_hi:[0,0,1]
	v_mov_b32_e32 v39, v43
	s_delay_alu instid0(VALU_DEP_1)
	v_mov_b64_e32 v[36:37], v[38:39]
	ds_store_b64 v3, v[38:39]
.LBB155_135:                            ;   in Loop: Header=BB155_3 Depth=1
	s_or_b32 exec_lo, exec_lo, s13
	s_wait_dscnt 0x0
	s_barrier_signal -1
	s_barrier_wait -1
	s_and_saveexec_b32 s13, s94
	s_cbranch_execz .LBB155_137
; %bb.136:                              ;   in Loop: Header=BB155_3 Depth=1
	ds_load_b64 v[38:39], v5 offset:3128
	ds_load_b64 v[40:41], v3
	s_wait_dscnt 0x0
	v_pk_mul_f32 v[42:43], v[40:41], v[38:39] op_sel:[1,1] op_sel_hi:[0,1]
	s_delay_alu instid0(VALU_DEP_1) | instskip(SKIP_1) | instid1(VALU_DEP_2)
	v_pk_fma_f32 v[98:99], v[40:41], v[38:39], v[42:43] op_sel_hi:[1,0,1]
	v_pk_fma_f32 v[38:39], v[40:41], v[38:39], v[42:43] neg_lo:[0,0,1] neg_hi:[0,0,1]
	v_mov_b32_e32 v39, v99
	s_delay_alu instid0(VALU_DEP_1)
	v_pk_add_f32 v[36:37], v[36:37], v[38:39]
.LBB155_137:                            ;   in Loop: Header=BB155_3 Depth=1
	s_or_b32 exec_lo, exec_lo, s13
	s_barrier_signal -1
	s_barrier_wait -1
	s_and_saveexec_b32 s13, s94
	s_cbranch_execz .LBB155_139
; %bb.138:                              ;   in Loop: Header=BB155_3 Depth=1
	ds_load_b64 v[38:39], v5 offset:3640
	s_wait_dscnt 0x0
	v_pk_mul_f32 v[40:41], v[36:37], v[38:39] op_sel:[1,1] op_sel_hi:[1,0]
	s_delay_alu instid0(VALU_DEP_1) | instskip(SKIP_1) | instid1(VALU_DEP_2)
	v_pk_fma_f32 v[42:43], v[36:37], v[38:39], v[40:41] op_sel_hi:[0,1,1]
	v_pk_fma_f32 v[38:39], v[36:37], v[38:39], v[40:41] neg_lo:[0,0,1] neg_hi:[0,0,1]
	v_mov_b32_e32 v39, v43
	s_delay_alu instid0(VALU_DEP_1)
	v_mov_b64_e32 v[36:37], v[38:39]
	ds_store_b64 v3, v[38:39]
.LBB155_139:                            ;   in Loop: Header=BB155_3 Depth=1
	s_or_b32 exec_lo, exec_lo, s13
	s_wait_dscnt 0x0
	s_barrier_signal -1
	s_barrier_wait -1
	s_barrier_signal -1
	s_barrier_wait -1
	s_and_saveexec_b32 s13, s1
; %bb.140:                              ;   in Loop: Header=BB155_3 Depth=1
	v_pk_add_f32 v[36:37], v[36:37], 0 neg_lo:[1,1] neg_hi:[1,1]
	ds_store_b64 v45, v[36:37] offset:2096
; %bb.141:                              ;   in Loop: Header=BB155_3 Depth=1
	s_or_b32 exec_lo, exec_lo, s13
	s_wait_dscnt 0x0
	s_barrier_signal -1
	s_barrier_wait -1
	s_barrier_signal -1
	s_barrier_wait -1
	s_and_saveexec_b32 s13, s95
	s_cbranch_execz .LBB155_143
; %bb.142:                              ;   in Loop: Header=BB155_3 Depth=1
	ds_load_b64 v[36:37], v71 offset:2096
	s_wait_dscnt 0x0
	ds_store_b64 v70, v[36:37] offset:3104
	ds_load_b64 v[36:37], v71 offset:2104
	s_wait_dscnt 0x0
	ds_store_b64 v70, v[36:37] offset:3616
.LBB155_143:                            ;   in Loop: Header=BB155_3 Depth=1
	s_or_b32 exec_lo, exec_lo, s13
	s_wait_dscnt 0x0
	s_barrier_signal -1
	s_barrier_wait -1
	s_and_saveexec_b32 s13, s14
	s_cbranch_execz .LBB155_145
; %bb.144:                              ;   in Loop: Header=BB155_3 Depth=1
	ds_load_b128 v[36:39], v5 offset:3120
	ds_load_b64 v[40:41], v5 offset:3640
	s_wait_dscnt 0x1
	v_dual_mov_b32 v98, v39 :: v_dual_mov_b32 v99, v38
	s_wait_dscnt 0x0
	v_dual_mul_f32 v43, v41, v37 :: v_dual_mul_f32 v42, v40, v37
	s_delay_alu instid0(VALU_DEP_1) | instskip(NEXT) | instid1(VALU_DEP_1)
	v_xor_b32_e32 v100, 0x80000000, v43
	v_dual_fmac_f32 v42, v41, v36 :: v_dual_fmac_f32 v100, v40, v36
	s_delay_alu instid0(VALU_DEP_1) | instskip(NEXT) | instid1(VALU_DEP_1)
	v_pk_mul_f32 v[36:37], v[42:43], v[98:99] op_sel_hi:[0,1]
	v_pk_fma_f32 v[40:41], v[100:101], v[38:39], v[36:37] op_sel_hi:[0,1,1]
	v_pk_fma_f32 v[36:37], v[100:101], v[38:39], v[36:37] neg_lo:[0,0,1] neg_hi:[0,0,1]
	v_add_nc_u32_e64 v38, 0x800, 0
	s_delay_alu instid0(VALU_DEP_3)
	v_mov_b32_e32 v37, v41
	ds_store_2addr_b64 v38, v[36:37], v[36:37] offset0:135 offset1:198
.LBB155_145:                            ;   in Loop: Header=BB155_3 Depth=1
	s_or_b32 exec_lo, exec_lo, s13
	v_mov_b32_e32 v36, 0
	s_wait_dscnt 0x0
	s_barrier_signal -1
	s_barrier_wait -1
	s_delay_alu instid0(VALU_DEP_1)
	v_mov_b32_e32 v37, v36
	s_and_saveexec_b32 s13, s4
	s_cbranch_execz .LBB155_155
; %bb.146:                              ;   in Loop: Header=BB155_3 Depth=1
	ds_load_b64 v[36:37], v60 offset:64
	ds_load_b64 v[38:39], v56
	s_wait_dscnt 0x0
	v_dual_mul_f32 v40, v39, v37 :: v_dual_mul_f32 v41, v38, v37
	s_delay_alu instid0(VALU_DEP_1) | instskip(NEXT) | instid1(VALU_DEP_1)
	v_dual_fma_f32 v37, v38, v36, -v40 :: v_dual_fmac_f32 v41, v39, v36
	v_add_f32_e32 v37, 0, v37
	s_delay_alu instid0(VALU_DEP_2)
	v_add_f32_e32 v36, 0, v41
	s_and_saveexec_b32 s56, s18
	s_cbranch_execnz .LBB155_1112
; %bb.147:                              ;   in Loop: Header=BB155_3 Depth=1
	s_or_b32 exec_lo, exec_lo, s56
	s_and_saveexec_b32 s56, s19
	s_cbranch_execnz .LBB155_1113
.LBB155_148:                            ;   in Loop: Header=BB155_3 Depth=1
	s_or_b32 exec_lo, exec_lo, s56
	s_and_saveexec_b32 s56, s20
	s_cbranch_execnz .LBB155_1114
.LBB155_149:                            ;   in Loop: Header=BB155_3 Depth=1
	s_or_b32 exec_lo, exec_lo, s56
	s_and_saveexec_b32 s56, s21
	s_cbranch_execnz .LBB155_1115
.LBB155_150:                            ;   in Loop: Header=BB155_3 Depth=1
	s_or_b32 exec_lo, exec_lo, s56
	s_and_saveexec_b32 s56, s22
	s_cbranch_execnz .LBB155_1116
.LBB155_151:                            ;   in Loop: Header=BB155_3 Depth=1
	s_or_b32 exec_lo, exec_lo, s56
	s_and_saveexec_b32 s56, s3
	s_cbranch_execnz .LBB155_1117
.LBB155_152:                            ;   in Loop: Header=BB155_3 Depth=1
	s_or_b32 exec_lo, exec_lo, s56
	s_and_saveexec_b32 s56, s17
	s_cbranch_execz .LBB155_154
.LBB155_153:                            ;   in Loop: Header=BB155_3 Depth=1
	ds_load_b64 v[38:39], v72 offset:3648
	ds_load_b64 v[40:41], v5 offset:56
	s_wait_dscnt 0x0
	v_pk_mul_f32 v[42:43], v[40:41], v[38:39] op_sel:[0,1]
	s_delay_alu instid0(VALU_DEP_1) | instskip(SKIP_1) | instid1(VALU_DEP_2)
	v_pk_fma_f32 v[98:99], v[40:41], v[38:39], v[42:43] op_sel:[1,0,0] op_sel_hi:[0,0,1] neg_lo:[0,0,1] neg_hi:[0,0,1]
	v_pk_fma_f32 v[38:39], v[40:41], v[38:39], v[42:43] op_sel:[1,0,0] op_sel_hi:[0,1,1]
	v_mov_b32_e32 v39, v99
	s_delay_alu instid0(VALU_DEP_1)
	v_pk_add_f32 v[36:37], v[36:37], v[38:39]
.LBB155_154:                            ;   in Loop: Header=BB155_3 Depth=1
	s_or_b32 exec_lo, exec_lo, s56
	s_delay_alu instid0(VALU_DEP_1) | instskip(NEXT) | instid1(VALU_DEP_1)
	v_pk_add_f32 v[38:39], v[36:37], 0 neg_lo:[1,1] neg_hi:[1,1]
	v_dual_mov_b32 v36, v39 :: v_dual_mov_b32 v37, v38
.LBB155_155:                            ;   in Loop: Header=BB155_3 Depth=1
	s_or_b32 exec_lo, exec_lo, s13
	s_and_saveexec_b32 s13, s103
	s_cbranch_execz .LBB155_157
; %bb.156:                              ;   in Loop: Header=BB155_3 Depth=1
	ds_load_b64 v[38:39], v5 offset:4160
	v_dual_mov_b32 v40, v37 :: v_dual_mov_b32 v41, v36
	s_wait_dscnt 0x0
	s_delay_alu instid0(VALU_DEP_1) | instskip(NEXT) | instid1(VALU_DEP_1)
	v_dual_mul_f32 v42, v40, v38 :: v_dual_mul_f32 v98, v37, v39
	v_pk_fma_f32 v[40:41], v[40:41], v[38:39], v[42:43] op_sel_hi:[1,1,0]
	s_delay_alu instid0(VALU_DEP_2) | instskip(NEXT) | instid1(VALU_DEP_2)
	v_pk_fma_f32 v[36:37], v[36:37], v[38:39], v[98:99] op_sel_hi:[1,1,0] neg_lo:[0,0,1] neg_hi:[0,0,1]
	v_mov_b32_e32 v37, v41
	ds_store_b64 v59, v[36:37]
.LBB155_157:                            ;   in Loop: Header=BB155_3 Depth=1
	s_or_b32 exec_lo, exec_lo, s13
	s_wait_dscnt 0x0
	s_barrier_signal -1
	s_barrier_wait -1
	s_and_saveexec_b32 s13, s104
	s_cbranch_execz .LBB155_159
; %bb.158:                              ;   in Loop: Header=BB155_3 Depth=1
	ds_load_b64 v[38:39], v58 offset:4160
	ds_load_b64 v[40:41], v59
	s_wait_dscnt 0x0
	v_dual_mul_f32 v42, v41, v39 :: v_dual_mul_f32 v43, v40, v39
	s_delay_alu instid0(VALU_DEP_1) | instskip(NEXT) | instid1(VALU_DEP_1)
	v_dual_fma_f32 v42, v40, v38, -v42 :: v_dual_fmac_f32 v43, v41, v38
	v_pk_add_f32 v[36:37], v[36:37], v[42:43]
.LBB155_159:                            ;   in Loop: Header=BB155_3 Depth=1
	s_or_b32 exec_lo, exec_lo, s13
	s_barrier_signal -1
	s_barrier_wait -1
	s_and_saveexec_b32 s13, vcc_hi
	s_cbranch_execz .LBB155_161
; %bb.160:                              ;   in Loop: Header=BB155_3 Depth=1
	ds_load_b64 v[38:39], v5 offset:4680
	s_wait_dscnt 0x0
	v_pk_mul_f32 v[40:41], v[36:37], v[38:39] op_sel:[1,1] op_sel_hi:[1,0]
	s_delay_alu instid0(VALU_DEP_1) | instskip(SKIP_1) | instid1(VALU_DEP_2)
	v_pk_fma_f32 v[42:43], v[36:37], v[38:39], v[40:41] op_sel_hi:[0,1,1]
	v_pk_fma_f32 v[36:37], v[36:37], v[38:39], v[40:41] op_sel_hi:[0,1,1] neg_lo:[0,0,1] neg_hi:[0,0,1]
	v_mov_b32_e32 v37, v43
	ds_store_b64 v59, v[36:37]
.LBB155_161:                            ;   in Loop: Header=BB155_3 Depth=1
	s_or_b32 exec_lo, exec_lo, s13
	s_wait_dscnt 0x0
	s_barrier_signal -1
	s_barrier_wait -1
	s_and_saveexec_b32 s13, s39
	s_cbranch_execz .LBB155_163
; %bb.162:                              ;   in Loop: Header=BB155_3 Depth=1
	ds_load_b64 v[38:39], v58 offset:4672
	ds_load_b64 v[40:41], v59
	s_wait_dscnt 0x0
	v_pk_mul_f32 v[42:43], v[40:41], v[38:39] op_sel:[1,1] op_sel_hi:[0,1]
	s_delay_alu instid0(VALU_DEP_1) | instskip(SKIP_1) | instid1(VALU_DEP_2)
	v_pk_fma_f32 v[98:99], v[40:41], v[38:39], v[42:43] op_sel_hi:[1,0,1]
	v_pk_fma_f32 v[38:39], v[40:41], v[38:39], v[42:43] op_sel_hi:[1,0,1] neg_lo:[0,0,1] neg_hi:[0,0,1]
	v_mov_b32_e32 v39, v99
	s_delay_alu instid0(VALU_DEP_1)
	v_pk_add_f32 v[36:37], v[36:37], v[38:39]
.LBB155_163:                            ;   in Loop: Header=BB155_3 Depth=1
	s_or_b32 exec_lo, exec_lo, s13
	s_barrier_signal -1
	s_barrier_wait -1
	s_and_saveexec_b32 s13, s40
	s_cbranch_execz .LBB155_165
; %bb.164:                              ;   in Loop: Header=BB155_3 Depth=1
	ds_load_b64 v[38:39], v5 offset:5200
	s_wait_dscnt 0x0
	v_pk_mul_f32 v[40:41], v[36:37], v[38:39] op_sel:[1,1] op_sel_hi:[1,0]
	s_delay_alu instid0(VALU_DEP_1) | instskip(SKIP_1) | instid1(VALU_DEP_2)
	v_pk_fma_f32 v[42:43], v[36:37], v[38:39], v[40:41] op_sel_hi:[0,1,1]
	v_pk_fma_f32 v[36:37], v[36:37], v[38:39], v[40:41] op_sel_hi:[0,1,1] neg_lo:[0,0,1] neg_hi:[0,0,1]
	v_mov_b32_e32 v37, v43
	ds_store_b64 v59, v[36:37]
.LBB155_165:                            ;   in Loop: Header=BB155_3 Depth=1
	s_or_b32 exec_lo, exec_lo, s13
	s_wait_dscnt 0x0
	s_barrier_signal -1
	s_barrier_wait -1
	s_and_saveexec_b32 s13, s41
	s_cbranch_execz .LBB155_167
; %bb.166:                              ;   in Loop: Header=BB155_3 Depth=1
	ds_load_b64 v[38:39], v58 offset:5184
	ds_load_b64 v[40:41], v59
	s_wait_dscnt 0x0
	v_pk_mul_f32 v[42:43], v[40:41], v[38:39] op_sel:[1,1] op_sel_hi:[0,1]
	s_delay_alu instid0(VALU_DEP_1) | instskip(SKIP_1) | instid1(VALU_DEP_2)
	v_pk_fma_f32 v[98:99], v[40:41], v[38:39], v[42:43] op_sel_hi:[1,0,1]
	v_pk_fma_f32 v[38:39], v[40:41], v[38:39], v[42:43] op_sel_hi:[1,0,1] neg_lo:[0,0,1] neg_hi:[0,0,1]
	v_mov_b32_e32 v39, v99
	s_delay_alu instid0(VALU_DEP_1)
	v_pk_add_f32 v[36:37], v[36:37], v[38:39]
.LBB155_167:                            ;   in Loop: Header=BB155_3 Depth=1
	s_or_b32 exec_lo, exec_lo, s13
	s_barrier_signal -1
	s_barrier_wait -1
	s_and_saveexec_b32 s13, s42
	;; [unrolled: 33-line block ×3, first 2 shown]
	s_cbranch_execz .LBB155_173
; %bb.172:                              ;   in Loop: Header=BB155_3 Depth=1
	ds_load_b64 v[38:39], v5 offset:6240
	s_wait_dscnt 0x0
	v_dual_mul_f32 v40, v36, v39 :: v_dual_mul_f32 v42, v37, v39
	s_delay_alu instid0(VALU_DEP_1) | instskip(NEXT) | instid1(VALU_DEP_2)
	v_pk_fma_f32 v[40:41], v[36:37], v[38:39], v[40:41] op_sel:[0,1,0] op_sel_hi:[1,0,0]
	v_pk_fma_f32 v[38:39], v[36:37], v[38:39], v[42:43] op_sel_hi:[1,1,0] neg_lo:[0,0,1] neg_hi:[0,0,1]
	s_delay_alu instid0(VALU_DEP_2) | instskip(NEXT) | instid1(VALU_DEP_1)
	v_mov_b32_e32 v39, v41
	v_mov_b64_e32 v[36:37], v[38:39]
	ds_store_b64 v59, v[38:39]
.LBB155_173:                            ;   in Loop: Header=BB155_3 Depth=1
	s_or_b32 exec_lo, exec_lo, s13
	s_wait_dscnt 0x0
	s_barrier_signal -1
	s_barrier_wait -1
	s_and_saveexec_b32 s13, s45
	s_cbranch_execz .LBB155_175
; %bb.174:                              ;   in Loop: Header=BB155_3 Depth=1
	ds_load_b64 v[38:39], v58 offset:6208
	ds_load_b64 v[40:41], v59
	s_wait_dscnt 0x0
	v_dual_mul_f32 v42, v41, v39 :: v_dual_mul_f32 v43, v40, v39
	s_delay_alu instid0(VALU_DEP_1) | instskip(NEXT) | instid1(VALU_DEP_1)
	v_dual_fma_f32 v42, v40, v38, -v42 :: v_dual_fmac_f32 v43, v41, v38
	v_pk_add_f32 v[36:37], v[36:37], v[42:43]
.LBB155_175:                            ;   in Loop: Header=BB155_3 Depth=1
	s_or_b32 exec_lo, exec_lo, s13
	s_barrier_signal -1
	s_barrier_wait -1
	s_and_saveexec_b32 s13, s46
	s_cbranch_execz .LBB155_177
; %bb.176:                              ;   in Loop: Header=BB155_3 Depth=1
	ds_load_b64 v[38:39], v5 offset:6760
	s_wait_dscnt 0x0
	v_pk_mul_f32 v[40:41], v[36:37], v[38:39] op_sel:[1,1] op_sel_hi:[1,0]
	s_delay_alu instid0(VALU_DEP_1) | instskip(SKIP_1) | instid1(VALU_DEP_2)
	v_pk_fma_f32 v[42:43], v[36:37], v[38:39], v[40:41] op_sel_hi:[0,1,1]
	v_pk_fma_f32 v[38:39], v[36:37], v[38:39], v[40:41] neg_lo:[0,0,1] neg_hi:[0,0,1]
	v_mov_b32_e32 v39, v43
	s_delay_alu instid0(VALU_DEP_1)
	v_mov_b64_e32 v[36:37], v[38:39]
	ds_store_b64 v59, v[38:39]
.LBB155_177:                            ;   in Loop: Header=BB155_3 Depth=1
	s_or_b32 exec_lo, exec_lo, s13
	s_wait_dscnt 0x0
	s_barrier_signal -1
	s_barrier_wait -1
	s_and_saveexec_b32 s13, s47
	s_cbranch_execz .LBB155_179
; %bb.178:                              ;   in Loop: Header=BB155_3 Depth=1
	ds_load_b64 v[38:39], v58 offset:6720
	ds_load_b64 v[40:41], v59
	s_wait_dscnt 0x0
	v_pk_mul_f32 v[42:43], v[40:41], v[38:39] op_sel:[1,1] op_sel_hi:[0,1]
	s_delay_alu instid0(VALU_DEP_1) | instskip(SKIP_1) | instid1(VALU_DEP_2)
	v_pk_fma_f32 v[98:99], v[40:41], v[38:39], v[42:43] op_sel_hi:[1,0,1]
	v_pk_fma_f32 v[38:39], v[40:41], v[38:39], v[42:43] neg_lo:[0,0,1] neg_hi:[0,0,1]
	v_mov_b32_e32 v39, v99
	s_delay_alu instid0(VALU_DEP_1)
	v_pk_add_f32 v[36:37], v[36:37], v[38:39]
.LBB155_179:                            ;   in Loop: Header=BB155_3 Depth=1
	s_or_b32 exec_lo, exec_lo, s13
	s_barrier_signal -1
	s_barrier_wait -1
	s_and_saveexec_b32 s13, s48
	s_cbranch_execz .LBB155_181
; %bb.180:                              ;   in Loop: Header=BB155_3 Depth=1
	ds_load_b64 v[38:39], v5 offset:7280
	s_wait_dscnt 0x0
	v_pk_mul_f32 v[40:41], v[36:37], v[38:39] op_sel:[1,1] op_sel_hi:[1,0]
	s_delay_alu instid0(VALU_DEP_1) | instskip(SKIP_1) | instid1(VALU_DEP_2)
	v_pk_fma_f32 v[42:43], v[36:37], v[38:39], v[40:41] op_sel_hi:[0,1,1]
	v_pk_fma_f32 v[38:39], v[36:37], v[38:39], v[40:41] neg_lo:[0,0,1] neg_hi:[0,0,1]
	v_mov_b32_e32 v39, v43
	s_delay_alu instid0(VALU_DEP_1)
	v_mov_b64_e32 v[36:37], v[38:39]
	ds_store_b64 v59, v[38:39]
.LBB155_181:                            ;   in Loop: Header=BB155_3 Depth=1
	s_or_b32 exec_lo, exec_lo, s13
	s_wait_dscnt 0x0
	s_barrier_signal -1
	s_barrier_wait -1
	s_and_saveexec_b32 s13, s49
	s_cbranch_execz .LBB155_183
; %bb.182:                              ;   in Loop: Header=BB155_3 Depth=1
	ds_load_b64 v[38:39], v5 offset:7288
	ds_load_b64 v[40:41], v59
	s_wait_dscnt 0x0
	v_pk_mul_f32 v[42:43], v[40:41], v[38:39] op_sel:[1,1] op_sel_hi:[0,1]
	s_delay_alu instid0(VALU_DEP_1) | instskip(SKIP_1) | instid1(VALU_DEP_2)
	v_pk_fma_f32 v[98:99], v[40:41], v[38:39], v[42:43] op_sel_hi:[1,0,1]
	v_pk_fma_f32 v[38:39], v[40:41], v[38:39], v[42:43] neg_lo:[0,0,1] neg_hi:[0,0,1]
	v_mov_b32_e32 v39, v99
	s_delay_alu instid0(VALU_DEP_1)
	v_pk_add_f32 v[36:37], v[36:37], v[38:39]
.LBB155_183:                            ;   in Loop: Header=BB155_3 Depth=1
	s_or_b32 exec_lo, exec_lo, s13
	s_barrier_signal -1
	s_barrier_wait -1
	s_and_saveexec_b32 s13, s49
	s_cbranch_execz .LBB155_185
; %bb.184:                              ;   in Loop: Header=BB155_3 Depth=1
	ds_load_b64 v[38:39], v5 offset:7800
	s_wait_dscnt 0x0
	v_pk_mul_f32 v[40:41], v[36:37], v[38:39] op_sel:[1,1] op_sel_hi:[1,0]
	s_delay_alu instid0(VALU_DEP_1) | instskip(SKIP_1) | instid1(VALU_DEP_2)
	v_pk_fma_f32 v[42:43], v[36:37], v[38:39], v[40:41] op_sel_hi:[0,1,1]
	v_pk_fma_f32 v[38:39], v[36:37], v[38:39], v[40:41] neg_lo:[0,0,1] neg_hi:[0,0,1]
	v_mov_b32_e32 v39, v43
	s_delay_alu instid0(VALU_DEP_1)
	v_mov_b64_e32 v[36:37], v[38:39]
	ds_store_b64 v59, v[38:39]
.LBB155_185:                            ;   in Loop: Header=BB155_3 Depth=1
	s_or_b32 exec_lo, exec_lo, s13
	s_wait_dscnt 0x0
	s_barrier_signal -1
	s_barrier_wait -1
	s_barrier_signal -1
	s_barrier_wait -1
	s_and_saveexec_b32 s13, s4
; %bb.186:                              ;   in Loop: Header=BB155_3 Depth=1
	v_pk_add_f32 v[36:37], v[36:37], 0 neg_lo:[1,1] neg_hi:[1,1]
	ds_store_b64 v60, v[36:37] offset:64
; %bb.187:                              ;   in Loop: Header=BB155_3 Depth=1
	s_or_b32 exec_lo, exec_lo, s13
	s_wait_dscnt 0x0
	s_barrier_signal -1
	s_barrier_wait -1
	s_barrier_signal -1
	s_barrier_wait -1
	s_and_saveexec_b32 s13, s50
	s_cbranch_execz .LBB155_189
; %bb.188:                              ;   in Loop: Header=BB155_3 Depth=1
	ds_load_b64 v[36:37], v73 offset:64
	s_wait_dscnt 0x0
	ds_store_b64 v74, v[36:37] offset:4096
	ds_load_b64 v[36:37], v73 offset:72
	s_wait_dscnt 0x0
	ds_store_b64 v74, v[36:37] offset:4608
	;; [unrolled: 3-line block ×8, first 2 shown]
.LBB155_189:                            ;   in Loop: Header=BB155_3 Depth=1
	s_or_b32 exec_lo, exec_lo, s13
	s_wait_dscnt 0x0
	s_barrier_signal -1
	s_barrier_wait -1
	s_and_saveexec_b32 s13, s14
	s_cbranch_execz .LBB155_191
; %bb.190:                              ;   in Loop: Header=BB155_3 Depth=1
	ds_load_b128 v[36:39], v5 offset:4160
	ds_load_b64 v[40:41], v5 offset:4680
	s_wait_dscnt 0x1
	v_dual_mov_b32 v98, v39 :: v_dual_mov_b32 v99, v38
	s_wait_dscnt 0x0
	v_dual_mul_f32 v43, v41, v37 :: v_dual_mul_f32 v42, v40, v37
	s_delay_alu instid0(VALU_DEP_1) | instskip(NEXT) | instid1(VALU_DEP_1)
	v_xor_b32_e32 v100, 0x80000000, v43
	v_dual_fmac_f32 v42, v41, v36 :: v_dual_fmac_f32 v100, v40, v36
	s_delay_alu instid0(VALU_DEP_1) | instskip(NEXT) | instid1(VALU_DEP_1)
	v_pk_mul_f32 v[36:37], v[42:43], v[98:99] op_sel_hi:[0,1]
	v_pk_fma_f32 v[40:41], v[100:101], v[38:39], v[36:37] op_sel_hi:[0,1,1]
	v_pk_fma_f32 v[36:37], v[100:101], v[38:39], v[36:37] neg_lo:[0,0,1] neg_hi:[0,0,1]
	v_add_nc_u32_e64 v38, 0x1000, 0
	s_delay_alu instid0(VALU_DEP_3)
	v_mov_b32_e32 v37, v41
	ds_store_2addr_b64 v38, v[36:37], v[36:37] offset0:9 offset1:72
.LBB155_191:                            ;   in Loop: Header=BB155_3 Depth=1
	s_or_b32 exec_lo, exec_lo, s13
	v_mov_b32_e32 v37, 0
	s_wait_dscnt 0x0
	s_barrier_signal -1
	s_barrier_wait -1
	s_delay_alu instid0(VALU_DEP_1)
	v_mov_b32_e32 v36, v37
	s_and_saveexec_b32 s13, s1
	s_cbranch_execz .LBB155_195
; %bb.192:                              ;   in Loop: Header=BB155_3 Depth=1
	ds_load_b64 v[36:37], v45 offset:4176
	ds_load_b64 v[38:39], v46 offset:4160
	s_wait_dscnt 0x0
	v_dual_mul_f32 v40, v39, v37 :: v_dual_mul_f32 v41, v38, v37
	s_delay_alu instid0(VALU_DEP_1) | instskip(NEXT) | instid1(VALU_DEP_1)
	v_dual_fma_f32 v40, v38, v36, -v40 :: v_dual_fmac_f32 v41, v39, v36
	v_pk_add_f32 v[36:37], v[40:41], 0 op_sel_hi:[1,0]
	s_and_saveexec_b32 s56, s15
	s_cbranch_execz .LBB155_194
; %bb.193:                              ;   in Loop: Header=BB155_3 Depth=1
	ds_load_b64 v[38:39], v74 offset:4688
	ds_load_b64 v[40:41], v5 offset:4168
	s_wait_dscnt 0x0
	v_pk_mul_f32 v[42:43], v[40:41], v[38:39] op_sel:[1,1] op_sel_hi:[0,1]
	s_delay_alu instid0(VALU_DEP_1) | instskip(SKIP_1) | instid1(VALU_DEP_2)
	v_pk_fma_f32 v[98:99], v[40:41], v[38:39], v[42:43] op_sel_hi:[1,0,1]
	v_pk_fma_f32 v[38:39], v[40:41], v[38:39], v[42:43] neg_lo:[0,0,1] neg_hi:[0,0,1]
	v_mov_b32_e32 v39, v99
	s_delay_alu instid0(VALU_DEP_1)
	v_pk_add_f32 v[36:37], v[36:37], v[38:39]
.LBB155_194:                            ;   in Loop: Header=BB155_3 Depth=1
	s_or_b32 exec_lo, exec_lo, s56
	s_delay_alu instid0(VALU_DEP_1)
	v_pk_add_f32 v[36:37], v[36:37], 0 neg_lo:[1,1] neg_hi:[1,1]
.LBB155_195:                            ;   in Loop: Header=BB155_3 Depth=1
	s_or_b32 exec_lo, exec_lo, s13
	s_and_saveexec_b32 s13, s93
	s_cbranch_execz .LBB155_197
; %bb.196:                              ;   in Loop: Header=BB155_3 Depth=1
	ds_load_b64 v[38:39], v5 offset:5200
	s_wait_dscnt 0x0
	v_pk_mul_f32 v[40:41], v[36:37], v[38:39] op_sel:[1,1] op_sel_hi:[1,0]
	s_delay_alu instid0(VALU_DEP_1) | instskip(SKIP_1) | instid1(VALU_DEP_2)
	v_pk_fma_f32 v[42:43], v[36:37], v[38:39], v[40:41] op_sel_hi:[0,1,1]
	v_pk_fma_f32 v[38:39], v[36:37], v[38:39], v[40:41] neg_lo:[0,0,1] neg_hi:[0,0,1]
	v_mov_b32_e32 v39, v43
	s_delay_alu instid0(VALU_DEP_1)
	v_mov_b64_e32 v[36:37], v[38:39]
	ds_store_b64 v3, v[38:39]
.LBB155_197:                            ;   in Loop: Header=BB155_3 Depth=1
	s_or_b32 exec_lo, exec_lo, s13
	s_wait_dscnt 0x0
	s_barrier_signal -1
	s_barrier_wait -1
	s_and_saveexec_b32 s13, s94
	s_cbranch_execz .LBB155_199
; %bb.198:                              ;   in Loop: Header=BB155_3 Depth=1
	ds_load_b64 v[38:39], v5 offset:5208
	ds_load_b64 v[40:41], v3
	s_wait_dscnt 0x0
	v_pk_mul_f32 v[42:43], v[40:41], v[38:39] op_sel:[1,1] op_sel_hi:[0,1]
	s_delay_alu instid0(VALU_DEP_1) | instskip(SKIP_1) | instid1(VALU_DEP_2)
	v_pk_fma_f32 v[98:99], v[40:41], v[38:39], v[42:43] op_sel_hi:[1,0,1]
	v_pk_fma_f32 v[38:39], v[40:41], v[38:39], v[42:43] neg_lo:[0,0,1] neg_hi:[0,0,1]
	v_mov_b32_e32 v39, v99
	s_delay_alu instid0(VALU_DEP_1)
	v_pk_add_f32 v[36:37], v[36:37], v[38:39]
.LBB155_199:                            ;   in Loop: Header=BB155_3 Depth=1
	s_or_b32 exec_lo, exec_lo, s13
	s_barrier_signal -1
	s_barrier_wait -1
	s_and_saveexec_b32 s13, s94
	s_cbranch_execz .LBB155_201
; %bb.200:                              ;   in Loop: Header=BB155_3 Depth=1
	ds_load_b64 v[38:39], v5 offset:5720
	s_wait_dscnt 0x0
	v_pk_mul_f32 v[40:41], v[36:37], v[38:39] op_sel:[1,1] op_sel_hi:[1,0]
	s_delay_alu instid0(VALU_DEP_1) | instskip(SKIP_1) | instid1(VALU_DEP_2)
	v_pk_fma_f32 v[42:43], v[36:37], v[38:39], v[40:41] op_sel_hi:[0,1,1]
	v_pk_fma_f32 v[38:39], v[36:37], v[38:39], v[40:41] neg_lo:[0,0,1] neg_hi:[0,0,1]
	v_mov_b32_e32 v39, v43
	s_delay_alu instid0(VALU_DEP_1)
	v_mov_b64_e32 v[36:37], v[38:39]
	ds_store_b64 v3, v[38:39]
.LBB155_201:                            ;   in Loop: Header=BB155_3 Depth=1
	s_or_b32 exec_lo, exec_lo, s13
	s_wait_dscnt 0x0
	s_barrier_signal -1
	s_barrier_wait -1
	s_barrier_signal -1
	s_barrier_wait -1
	s_and_saveexec_b32 s13, s1
; %bb.202:                              ;   in Loop: Header=BB155_3 Depth=1
	v_pk_add_f32 v[36:37], v[36:37], 0 neg_lo:[1,1] neg_hi:[1,1]
	ds_store_b64 v45, v[36:37] offset:4176
; %bb.203:                              ;   in Loop: Header=BB155_3 Depth=1
	s_or_b32 exec_lo, exec_lo, s13
	s_wait_dscnt 0x0
	s_barrier_signal -1
	s_barrier_wait -1
	s_barrier_signal -1
	s_barrier_wait -1
	s_and_saveexec_b32 s13, s95
	s_cbranch_execz .LBB155_205
; %bb.204:                              ;   in Loop: Header=BB155_3 Depth=1
	ds_load_b64 v[36:37], v75 offset:4176
	s_wait_dscnt 0x0
	ds_store_b64 v74, v[36:37] offset:5184
	ds_load_b64 v[36:37], v75 offset:4184
	s_wait_dscnt 0x0
	ds_store_b64 v74, v[36:37] offset:5696
.LBB155_205:                            ;   in Loop: Header=BB155_3 Depth=1
	s_or_b32 exec_lo, exec_lo, s13
	s_wait_dscnt 0x0
	s_barrier_signal -1
	s_barrier_wait -1
	s_and_saveexec_b32 s13, s14
	s_cbranch_execz .LBB155_207
; %bb.206:                              ;   in Loop: Header=BB155_3 Depth=1
	ds_load_b128 v[36:39], v5 offset:5200
	ds_load_b64 v[40:41], v5 offset:5720
	s_wait_dscnt 0x1
	v_dual_mov_b32 v98, v39 :: v_dual_mov_b32 v99, v38
	s_wait_dscnt 0x0
	v_dual_mul_f32 v43, v41, v37 :: v_dual_mul_f32 v42, v40, v37
	s_delay_alu instid0(VALU_DEP_1) | instskip(NEXT) | instid1(VALU_DEP_1)
	v_xor_b32_e32 v100, 0x80000000, v43
	v_dual_fmac_f32 v42, v41, v36 :: v_dual_fmac_f32 v100, v40, v36
	s_delay_alu instid0(VALU_DEP_1) | instskip(NEXT) | instid1(VALU_DEP_1)
	v_pk_mul_f32 v[36:37], v[42:43], v[98:99] op_sel_hi:[0,1]
	v_pk_fma_f32 v[40:41], v[100:101], v[38:39], v[36:37] op_sel_hi:[0,1,1]
	v_pk_fma_f32 v[36:37], v[100:101], v[38:39], v[36:37] neg_lo:[0,0,1] neg_hi:[0,0,1]
	v_add_nc_u32_e64 v38, 0x1000, 0
	s_delay_alu instid0(VALU_DEP_3)
	v_mov_b32_e32 v37, v41
	ds_store_2addr_b64 v38, v[36:37], v[36:37] offset0:139 offset1:202
.LBB155_207:                            ;   in Loop: Header=BB155_3 Depth=1
	s_or_b32 exec_lo, exec_lo, s13
	v_mov_b32_e32 v36, 0
	s_wait_dscnt 0x0
	s_barrier_signal -1
	s_barrier_wait -1
	s_delay_alu instid0(VALU_DEP_1)
	v_mov_b32_e32 v37, v36
	s_and_saveexec_b32 s13, s3
	s_cbranch_execz .LBB155_213
; %bb.208:                              ;   in Loop: Header=BB155_3 Depth=1
	ds_load_b64 v[36:37], v52 offset:4192
	ds_load_b64 v[38:39], v48 offset:4160
	s_wait_dscnt 0x0
	v_pk_mul_f32 v[40:41], v[38:39], v[36:37] op_sel:[0,1]
	s_delay_alu instid0(VALU_DEP_1) | instskip(SKIP_1) | instid1(VALU_DEP_2)
	v_pk_fma_f32 v[42:43], v[38:39], v[36:37], v[40:41] op_sel:[1,0,0] op_sel_hi:[0,0,1] neg_lo:[0,0,1] neg_hi:[0,0,1]
	v_pk_fma_f32 v[36:37], v[38:39], v[36:37], v[40:41] op_sel:[1,0,0] op_sel_hi:[0,1,1]
	v_mov_b32_e32 v37, v43
	s_delay_alu instid0(VALU_DEP_1)
	v_pk_add_f32 v[36:37], v[36:37], 0 op_sel_hi:[1,0]
	s_and_saveexec_b32 s56, s16
	s_cbranch_execnz .LBB155_1118
; %bb.209:                              ;   in Loop: Header=BB155_3 Depth=1
	s_or_b32 exec_lo, exec_lo, s56
	s_and_saveexec_b32 s56, s17
	s_cbranch_execnz .LBB155_1119
.LBB155_210:                            ;   in Loop: Header=BB155_3 Depth=1
	s_or_b32 exec_lo, exec_lo, s56
	s_and_saveexec_b32 s56, s1
	s_cbranch_execz .LBB155_212
.LBB155_211:                            ;   in Loop: Header=BB155_3 Depth=1
	ds_load_b64 v[38:39], v77 offset:5728
	ds_load_b64 v[40:41], v5 offset:4184
	s_wait_dscnt 0x0
	v_pk_mul_f32 v[42:43], v[40:41], v[38:39] op_sel:[0,1]
	s_delay_alu instid0(VALU_DEP_1) | instskip(SKIP_1) | instid1(VALU_DEP_2)
	v_pk_fma_f32 v[98:99], v[40:41], v[38:39], v[42:43] op_sel:[1,0,0] op_sel_hi:[0,0,1] neg_lo:[0,0,1] neg_hi:[0,0,1]
	v_pk_fma_f32 v[38:39], v[40:41], v[38:39], v[42:43] op_sel:[1,0,0] op_sel_hi:[0,1,1]
	v_mov_b32_e32 v39, v99
	s_delay_alu instid0(VALU_DEP_1)
	v_pk_add_f32 v[36:37], v[36:37], v[38:39]
.LBB155_212:                            ;   in Loop: Header=BB155_3 Depth=1
	s_or_b32 exec_lo, exec_lo, s56
	s_delay_alu instid0(VALU_DEP_1) | instskip(NEXT) | instid1(VALU_DEP_1)
	v_pk_add_f32 v[38:39], v[36:37], 0 neg_lo:[1,1] neg_hi:[1,1]
	v_dual_mov_b32 v36, v39 :: v_dual_mov_b32 v37, v38
.LBB155_213:                            ;   in Loop: Header=BB155_3 Depth=1
	s_or_b32 exec_lo, exec_lo, s13
	s_and_saveexec_b32 s13, s96
	s_cbranch_execz .LBB155_215
; %bb.214:                              ;   in Loop: Header=BB155_3 Depth=1
	ds_load_b64 v[38:39], v5 offset:6240
	v_dual_mov_b32 v40, v37 :: v_dual_mov_b32 v41, v36
	s_wait_dscnt 0x0
	s_delay_alu instid0(VALU_DEP_1) | instskip(NEXT) | instid1(VALU_DEP_1)
	v_dual_mul_f32 v42, v40, v38 :: v_dual_mul_f32 v98, v37, v39
	v_pk_fma_f32 v[40:41], v[40:41], v[38:39], v[42:43] op_sel_hi:[1,1,0]
	s_delay_alu instid0(VALU_DEP_2) | instskip(NEXT) | instid1(VALU_DEP_2)
	v_pk_fma_f32 v[36:37], v[36:37], v[38:39], v[98:99] op_sel_hi:[1,1,0] neg_lo:[0,0,1] neg_hi:[0,0,1]
	v_mov_b32_e32 v37, v41
	ds_store_b64 v51, v[36:37]
.LBB155_215:                            ;   in Loop: Header=BB155_3 Depth=1
	s_or_b32 exec_lo, exec_lo, s13
	s_wait_dscnt 0x0
	s_barrier_signal -1
	s_barrier_wait -1
	s_and_saveexec_b32 s13, s97
	s_cbranch_execz .LBB155_217
; %bb.216:                              ;   in Loop: Header=BB155_3 Depth=1
	ds_load_b64 v[38:39], v49 offset:6240
	ds_load_b64 v[40:41], v51
	s_wait_dscnt 0x0
	v_dual_mul_f32 v42, v41, v39 :: v_dual_mul_f32 v43, v40, v39
	s_delay_alu instid0(VALU_DEP_1) | instskip(NEXT) | instid1(VALU_DEP_1)
	v_dual_fma_f32 v42, v40, v38, -v42 :: v_dual_fmac_f32 v43, v41, v38
	v_pk_add_f32 v[36:37], v[36:37], v[42:43]
.LBB155_217:                            ;   in Loop: Header=BB155_3 Depth=1
	s_or_b32 exec_lo, exec_lo, s13
	s_barrier_signal -1
	s_barrier_wait -1
	s_and_saveexec_b32 s13, s98
	s_cbranch_execz .LBB155_219
; %bb.218:                              ;   in Loop: Header=BB155_3 Depth=1
	ds_load_b64 v[38:39], v5 offset:6760
	s_wait_dscnt 0x0
	v_pk_mul_f32 v[40:41], v[36:37], v[38:39] op_sel:[1,1] op_sel_hi:[1,0]
	s_delay_alu instid0(VALU_DEP_1) | instskip(SKIP_1) | instid1(VALU_DEP_2)
	v_pk_fma_f32 v[42:43], v[36:37], v[38:39], v[40:41] op_sel_hi:[0,1,1]
	v_pk_fma_f32 v[38:39], v[36:37], v[38:39], v[40:41] neg_lo:[0,0,1] neg_hi:[0,0,1]
	v_mov_b32_e32 v39, v43
	s_delay_alu instid0(VALU_DEP_1)
	v_mov_b64_e32 v[36:37], v[38:39]
	ds_store_b64 v51, v[38:39]
.LBB155_219:                            ;   in Loop: Header=BB155_3 Depth=1
	s_or_b32 exec_lo, exec_lo, s13
	s_wait_dscnt 0x0
	s_barrier_signal -1
	s_barrier_wait -1
	s_and_saveexec_b32 s13, s99
	s_cbranch_execz .LBB155_221
; %bb.220:                              ;   in Loop: Header=BB155_3 Depth=1
	ds_load_b64 v[38:39], v49 offset:6752
	ds_load_b64 v[40:41], v51
	s_wait_dscnt 0x0
	v_pk_mul_f32 v[42:43], v[40:41], v[38:39] op_sel:[1,1] op_sel_hi:[0,1]
	s_delay_alu instid0(VALU_DEP_1) | instskip(SKIP_1) | instid1(VALU_DEP_2)
	v_pk_fma_f32 v[98:99], v[40:41], v[38:39], v[42:43] op_sel_hi:[1,0,1]
	v_pk_fma_f32 v[38:39], v[40:41], v[38:39], v[42:43] neg_lo:[0,0,1] neg_hi:[0,0,1]
	v_mov_b32_e32 v39, v99
	s_delay_alu instid0(VALU_DEP_1)
	v_pk_add_f32 v[36:37], v[36:37], v[38:39]
.LBB155_221:                            ;   in Loop: Header=BB155_3 Depth=1
	s_or_b32 exec_lo, exec_lo, s13
	s_barrier_signal -1
	s_barrier_wait -1
	s_and_saveexec_b32 s13, s100
	s_cbranch_execz .LBB155_223
; %bb.222:                              ;   in Loop: Header=BB155_3 Depth=1
	ds_load_b64 v[38:39], v5 offset:7280
	s_wait_dscnt 0x0
	v_pk_mul_f32 v[40:41], v[36:37], v[38:39] op_sel:[1,1] op_sel_hi:[1,0]
	s_delay_alu instid0(VALU_DEP_1) | instskip(SKIP_1) | instid1(VALU_DEP_2)
	v_pk_fma_f32 v[42:43], v[36:37], v[38:39], v[40:41] op_sel_hi:[0,1,1]
	v_pk_fma_f32 v[38:39], v[36:37], v[38:39], v[40:41] neg_lo:[0,0,1] neg_hi:[0,0,1]
	v_mov_b32_e32 v39, v43
	s_delay_alu instid0(VALU_DEP_1)
	v_mov_b64_e32 v[36:37], v[38:39]
	ds_store_b64 v51, v[38:39]
.LBB155_223:                            ;   in Loop: Header=BB155_3 Depth=1
	s_or_b32 exec_lo, exec_lo, s13
	s_wait_dscnt 0x0
	s_barrier_signal -1
	s_barrier_wait -1
	s_and_saveexec_b32 s13, s101
	s_cbranch_execz .LBB155_225
; %bb.224:                              ;   in Loop: Header=BB155_3 Depth=1
	ds_load_b64 v[38:39], v5 offset:7288
	ds_load_b64 v[40:41], v51
	s_wait_dscnt 0x0
	v_pk_mul_f32 v[42:43], v[40:41], v[38:39] op_sel:[1,1] op_sel_hi:[0,1]
	s_delay_alu instid0(VALU_DEP_1) | instskip(SKIP_1) | instid1(VALU_DEP_2)
	v_pk_fma_f32 v[98:99], v[40:41], v[38:39], v[42:43] op_sel_hi:[1,0,1]
	v_pk_fma_f32 v[38:39], v[40:41], v[38:39], v[42:43] neg_lo:[0,0,1] neg_hi:[0,0,1]
	v_mov_b32_e32 v39, v99
	s_delay_alu instid0(VALU_DEP_1)
	v_pk_add_f32 v[36:37], v[36:37], v[38:39]
.LBB155_225:                            ;   in Loop: Header=BB155_3 Depth=1
	s_or_b32 exec_lo, exec_lo, s13
	s_barrier_signal -1
	s_barrier_wait -1
	s_and_saveexec_b32 s13, s101
	s_cbranch_execz .LBB155_227
; %bb.226:                              ;   in Loop: Header=BB155_3 Depth=1
	ds_load_b64 v[38:39], v5 offset:7800
	s_wait_dscnt 0x0
	v_pk_mul_f32 v[40:41], v[36:37], v[38:39] op_sel:[1,1] op_sel_hi:[1,0]
	s_delay_alu instid0(VALU_DEP_1) | instskip(SKIP_1) | instid1(VALU_DEP_2)
	v_pk_fma_f32 v[42:43], v[36:37], v[38:39], v[40:41] op_sel_hi:[0,1,1]
	v_pk_fma_f32 v[38:39], v[36:37], v[38:39], v[40:41] neg_lo:[0,0,1] neg_hi:[0,0,1]
	v_mov_b32_e32 v39, v43
	s_delay_alu instid0(VALU_DEP_1)
	v_mov_b64_e32 v[36:37], v[38:39]
	ds_store_b64 v51, v[38:39]
.LBB155_227:                            ;   in Loop: Header=BB155_3 Depth=1
	s_or_b32 exec_lo, exec_lo, s13
	s_wait_dscnt 0x0
	s_barrier_signal -1
	s_barrier_wait -1
	s_barrier_signal -1
	s_barrier_wait -1
	s_and_saveexec_b32 s13, s3
; %bb.228:                              ;   in Loop: Header=BB155_3 Depth=1
	v_pk_add_f32 v[36:37], v[36:37], 0 neg_lo:[1,1] neg_hi:[1,1]
	ds_store_b64 v52, v[36:37] offset:4192
; %bb.229:                              ;   in Loop: Header=BB155_3 Depth=1
	s_or_b32 exec_lo, exec_lo, s13
	s_wait_dscnt 0x0
	s_barrier_signal -1
	s_barrier_wait -1
	s_barrier_signal -1
	s_barrier_wait -1
	s_and_saveexec_b32 s13, s102
	s_cbranch_execz .LBB155_231
; %bb.230:                              ;   in Loop: Header=BB155_3 Depth=1
	ds_load_b64 v[36:37], v79 offset:4192
	s_wait_dscnt 0x0
	ds_store_b64 v81, v[36:37] offset:6208
	ds_load_b64 v[36:37], v79 offset:4200
	s_wait_dscnt 0x0
	ds_store_b64 v81, v[36:37] offset:6720
	;; [unrolled: 3-line block ×4, first 2 shown]
.LBB155_231:                            ;   in Loop: Header=BB155_3 Depth=1
	s_or_b32 exec_lo, exec_lo, s13
	s_wait_dscnt 0x0
	s_barrier_signal -1
	s_barrier_wait -1
	s_and_saveexec_b32 s13, s14
	s_cbranch_execz .LBB155_233
; %bb.232:                              ;   in Loop: Header=BB155_3 Depth=1
	ds_load_b128 v[36:39], v5 offset:6240
	ds_load_b64 v[40:41], v5 offset:6760
	s_wait_dscnt 0x1
	v_dual_mov_b32 v98, v39 :: v_dual_mov_b32 v99, v38
	s_wait_dscnt 0x0
	v_dual_mul_f32 v43, v41, v37 :: v_dual_mul_f32 v42, v40, v37
	s_delay_alu instid0(VALU_DEP_1) | instskip(NEXT) | instid1(VALU_DEP_1)
	v_xor_b32_e32 v100, 0x80000000, v43
	v_dual_fmac_f32 v42, v41, v36 :: v_dual_fmac_f32 v100, v40, v36
	s_delay_alu instid0(VALU_DEP_1) | instskip(NEXT) | instid1(VALU_DEP_1)
	v_pk_mul_f32 v[36:37], v[42:43], v[98:99] op_sel_hi:[0,1]
	v_pk_fma_f32 v[40:41], v[100:101], v[38:39], v[36:37] op_sel_hi:[0,1,1]
	v_pk_fma_f32 v[36:37], v[100:101], v[38:39], v[36:37] neg_lo:[0,0,1] neg_hi:[0,0,1]
	v_add_nc_u32_e64 v38, 0x1800, 0
	s_delay_alu instid0(VALU_DEP_3)
	v_mov_b32_e32 v37, v41
	ds_store_2addr_b64 v38, v[36:37], v[36:37] offset0:13 offset1:76
.LBB155_233:                            ;   in Loop: Header=BB155_3 Depth=1
	s_or_b32 exec_lo, exec_lo, s13
	v_mov_b32_e32 v37, 0
	s_wait_dscnt 0x0
	s_barrier_signal -1
	s_barrier_wait -1
	s_delay_alu instid0(VALU_DEP_1)
	v_mov_b32_e32 v36, v37
	s_and_saveexec_b32 s13, s1
	s_cbranch_execz .LBB155_237
; %bb.234:                              ;   in Loop: Header=BB155_3 Depth=1
	ds_load_b64 v[36:37], v45 offset:6256
	ds_load_b64 v[38:39], v46 offset:6240
	s_wait_dscnt 0x0
	v_dual_mul_f32 v40, v39, v37 :: v_dual_mul_f32 v41, v38, v37
	s_delay_alu instid0(VALU_DEP_1) | instskip(NEXT) | instid1(VALU_DEP_1)
	v_dual_fma_f32 v40, v38, v36, -v40 :: v_dual_fmac_f32 v41, v39, v36
	v_pk_add_f32 v[36:37], v[40:41], 0 op_sel_hi:[1,0]
	s_and_saveexec_b32 s56, s15
	s_cbranch_execz .LBB155_236
; %bb.235:                              ;   in Loop: Header=BB155_3 Depth=1
	ds_load_b64 v[38:39], v81 offset:6768
	ds_load_b64 v[40:41], v5 offset:6248
	s_wait_dscnt 0x0
	v_pk_mul_f32 v[42:43], v[40:41], v[38:39] op_sel:[1,1] op_sel_hi:[0,1]
	s_delay_alu instid0(VALU_DEP_1) | instskip(SKIP_1) | instid1(VALU_DEP_2)
	v_pk_fma_f32 v[98:99], v[40:41], v[38:39], v[42:43] op_sel_hi:[1,0,1]
	v_pk_fma_f32 v[38:39], v[40:41], v[38:39], v[42:43] neg_lo:[0,0,1] neg_hi:[0,0,1]
	v_mov_b32_e32 v39, v99
	s_delay_alu instid0(VALU_DEP_1)
	v_pk_add_f32 v[36:37], v[36:37], v[38:39]
.LBB155_236:                            ;   in Loop: Header=BB155_3 Depth=1
	s_or_b32 exec_lo, exec_lo, s56
	s_delay_alu instid0(VALU_DEP_1)
	v_pk_add_f32 v[36:37], v[36:37], 0 neg_lo:[1,1] neg_hi:[1,1]
.LBB155_237:                            ;   in Loop: Header=BB155_3 Depth=1
	s_or_b32 exec_lo, exec_lo, s13
	s_and_saveexec_b32 s13, s93
	s_cbranch_execz .LBB155_239
; %bb.238:                              ;   in Loop: Header=BB155_3 Depth=1
	ds_load_b64 v[38:39], v5 offset:7280
	s_wait_dscnt 0x0
	v_pk_mul_f32 v[40:41], v[36:37], v[38:39] op_sel:[1,1] op_sel_hi:[1,0]
	s_delay_alu instid0(VALU_DEP_1) | instskip(SKIP_1) | instid1(VALU_DEP_2)
	v_pk_fma_f32 v[42:43], v[36:37], v[38:39], v[40:41] op_sel_hi:[0,1,1]
	v_pk_fma_f32 v[38:39], v[36:37], v[38:39], v[40:41] neg_lo:[0,0,1] neg_hi:[0,0,1]
	v_mov_b32_e32 v39, v43
	s_delay_alu instid0(VALU_DEP_1)
	v_mov_b64_e32 v[36:37], v[38:39]
	ds_store_b64 v3, v[38:39]
.LBB155_239:                            ;   in Loop: Header=BB155_3 Depth=1
	s_or_b32 exec_lo, exec_lo, s13
	s_wait_dscnt 0x0
	s_barrier_signal -1
	s_barrier_wait -1
	s_and_saveexec_b32 s13, s94
	s_cbranch_execz .LBB155_241
; %bb.240:                              ;   in Loop: Header=BB155_3 Depth=1
	ds_load_b64 v[38:39], v5 offset:7288
	ds_load_b64 v[40:41], v3
	s_wait_dscnt 0x0
	v_pk_mul_f32 v[42:43], v[40:41], v[38:39] op_sel:[1,1] op_sel_hi:[0,1]
	s_delay_alu instid0(VALU_DEP_1) | instskip(SKIP_1) | instid1(VALU_DEP_2)
	v_pk_fma_f32 v[98:99], v[40:41], v[38:39], v[42:43] op_sel_hi:[1,0,1]
	v_pk_fma_f32 v[38:39], v[40:41], v[38:39], v[42:43] neg_lo:[0,0,1] neg_hi:[0,0,1]
	v_mov_b32_e32 v39, v99
	s_delay_alu instid0(VALU_DEP_1)
	v_pk_add_f32 v[36:37], v[36:37], v[38:39]
.LBB155_241:                            ;   in Loop: Header=BB155_3 Depth=1
	s_or_b32 exec_lo, exec_lo, s13
	s_barrier_signal -1
	s_barrier_wait -1
	s_and_saveexec_b32 s13, s94
	s_cbranch_execz .LBB155_243
; %bb.242:                              ;   in Loop: Header=BB155_3 Depth=1
	ds_load_b64 v[38:39], v5 offset:7800
	s_wait_dscnt 0x0
	v_pk_mul_f32 v[40:41], v[36:37], v[38:39] op_sel:[1,1] op_sel_hi:[1,0]
	s_delay_alu instid0(VALU_DEP_1) | instskip(SKIP_1) | instid1(VALU_DEP_2)
	v_pk_fma_f32 v[42:43], v[36:37], v[38:39], v[40:41] op_sel_hi:[0,1,1]
	v_pk_fma_f32 v[38:39], v[36:37], v[38:39], v[40:41] neg_lo:[0,0,1] neg_hi:[0,0,1]
	v_mov_b32_e32 v39, v43
	s_delay_alu instid0(VALU_DEP_1)
	v_mov_b64_e32 v[36:37], v[38:39]
	ds_store_b64 v3, v[38:39]
.LBB155_243:                            ;   in Loop: Header=BB155_3 Depth=1
	s_or_b32 exec_lo, exec_lo, s13
	s_wait_dscnt 0x0
	s_barrier_signal -1
	s_barrier_wait -1
	s_barrier_signal -1
	s_barrier_wait -1
	s_and_saveexec_b32 s13, s1
; %bb.244:                              ;   in Loop: Header=BB155_3 Depth=1
	v_pk_add_f32 v[36:37], v[36:37], 0 neg_lo:[1,1] neg_hi:[1,1]
	ds_store_b64 v45, v[36:37] offset:6256
; %bb.245:                              ;   in Loop: Header=BB155_3 Depth=1
	s_or_b32 exec_lo, exec_lo, s13
	s_wait_dscnt 0x0
	s_barrier_signal -1
	s_barrier_wait -1
	s_barrier_signal -1
	s_barrier_wait -1
	s_and_saveexec_b32 s13, s95
	s_cbranch_execz .LBB155_247
; %bb.246:                              ;   in Loop: Header=BB155_3 Depth=1
	ds_load_b64 v[36:37], v83 offset:6256
	s_wait_dscnt 0x0
	ds_store_b64 v81, v[36:37] offset:7264
	ds_load_b64 v[36:37], v83 offset:6264
	s_wait_dscnt 0x0
	ds_store_b64 v81, v[36:37] offset:7776
.LBB155_247:                            ;   in Loop: Header=BB155_3 Depth=1
	s_or_b32 exec_lo, exec_lo, s13
	s_wait_dscnt 0x0
	s_barrier_signal -1
	s_barrier_wait -1
	s_and_saveexec_b32 s13, s14
	s_cbranch_execz .LBB155_249
; %bb.248:                              ;   in Loop: Header=BB155_3 Depth=1
	ds_load_b128 v[36:39], v5 offset:7280
	ds_load_b64 v[40:41], v5 offset:7800
	s_wait_dscnt 0x1
	v_dual_mov_b32 v98, v39 :: v_dual_mov_b32 v99, v38
	s_wait_dscnt 0x0
	v_dual_mul_f32 v43, v41, v37 :: v_dual_mul_f32 v42, v40, v37
	s_delay_alu instid0(VALU_DEP_1) | instskip(NEXT) | instid1(VALU_DEP_1)
	v_xor_b32_e32 v100, 0x80000000, v43
	v_dual_fmac_f32 v42, v41, v36 :: v_dual_fmac_f32 v100, v40, v36
	s_delay_alu instid0(VALU_DEP_1) | instskip(NEXT) | instid1(VALU_DEP_1)
	v_pk_mul_f32 v[36:37], v[42:43], v[98:99] op_sel_hi:[0,1]
	v_pk_fma_f32 v[40:41], v[100:101], v[38:39], v[36:37] op_sel_hi:[0,1,1]
	v_pk_fma_f32 v[36:37], v[100:101], v[38:39], v[36:37] neg_lo:[0,0,1] neg_hi:[0,0,1]
	v_add_nc_u32_e64 v38, 0x1800, 0
	s_delay_alu instid0(VALU_DEP_3)
	v_mov_b32_e32 v37, v41
	ds_store_2addr_b64 v38, v[36:37], v[36:37] offset0:143 offset1:206
.LBB155_249:                            ;   in Loop: Header=BB155_3 Depth=1
	s_or_b32 exec_lo, exec_lo, s13
	v_mov_b32_e32 v36, 0
	s_wait_dscnt 0x0
	s_barrier_signal -1
	s_barrier_wait -1
	s_delay_alu instid0(VALU_DEP_1)
	v_mov_b32_e32 v37, v36
	s_and_saveexec_b32 s66, s5
	s_cbranch_execz .LBB155_277
; %bb.250:                              ;   in Loop: Header=BB155_3 Depth=1
	ds_load_b64 v[36:37], v65 offset:128
	ds_load_b64 v[38:39], v62
	s_wait_dscnt 0x0
	v_dual_mul_f32 v40, v39, v37 :: v_dual_mul_f32 v41, v38, v37
	s_delay_alu instid0(VALU_DEP_1) | instskip(NEXT) | instid1(VALU_DEP_1)
	v_dual_fma_f32 v37, v38, v36, -v40 :: v_dual_fmac_f32 v41, v39, v36
	v_add_f32_e32 v37, 0, v37
	s_delay_alu instid0(VALU_DEP_2) | instskip(SKIP_3) | instid1(SALU_CYCLE_1)
	v_add_f32_e32 v36, 0, v41
	s_mov_b32 s13, exec_lo
	v_readlane_b32 s56, v108, 27
	s_and_b32 s56, s13, s56
	s_mov_b32 exec_lo, s56
	s_cbranch_execz .LBB155_252
; %bb.251:                              ;   in Loop: Header=BB155_3 Depth=1
	ds_load_b64 v[38:39], v66 offset:640
	ds_load_b64 v[40:41], v62 offset:8
	s_wait_dscnt 0x0
	v_dual_mul_f32 v42, v41, v39 :: v_dual_mul_f32 v39, v40, v39
	s_delay_alu instid0(VALU_DEP_1) | instskip(NEXT) | instid1(VALU_DEP_1)
	v_dual_fma_f32 v40, v40, v38, -v42 :: v_dual_fmac_f32 v39, v41, v38
	v_dual_add_f32 v37, v37, v40 :: v_dual_add_f32 v36, v36, v39
.LBB155_252:                            ;   in Loop: Header=BB155_3 Depth=1
	s_or_b32 exec_lo, exec_lo, s13
	s_delay_alu instid0(SALU_CYCLE_1) | instskip(SKIP_2) | instid1(SALU_CYCLE_1)
	s_mov_b32 s13, exec_lo
	v_readlane_b32 s56, v108, 28
	s_and_b32 s56, s13, s56
	s_mov_b32 exec_lo, s56
	s_cbranch_execz .LBB155_254
; %bb.253:                              ;   in Loop: Header=BB155_3 Depth=1
	ds_load_b64 v[38:39], v66 offset:1152
	ds_load_b64 v[40:41], v62 offset:16
	s_wait_dscnt 0x0
	v_dual_mul_f32 v42, v41, v39 :: v_dual_mul_f32 v39, v40, v39
	s_delay_alu instid0(VALU_DEP_1) | instskip(NEXT) | instid1(VALU_DEP_1)
	v_dual_fma_f32 v40, v40, v38, -v42 :: v_dual_fmac_f32 v39, v41, v38
	v_dual_add_f32 v37, v37, v40 :: v_dual_add_f32 v36, v36, v39
.LBB155_254:                            ;   in Loop: Header=BB155_3 Depth=1
	s_or_b32 exec_lo, exec_lo, s13
	s_delay_alu instid0(SALU_CYCLE_1) | instskip(SKIP_2) | instid1(SALU_CYCLE_1)
	;; [unrolled: 16-line block ×10, first 2 shown]
	s_mov_b32 s13, exec_lo
	v_readlane_b32 s56, v107, 5
	s_and_b32 s56, s13, s56
	s_mov_b32 exec_lo, s56
	s_cbranch_execnz .LBB155_1120
; %bb.271:                              ;   in Loop: Header=BB155_3 Depth=1
	s_or_b32 exec_lo, exec_lo, s13
	s_and_saveexec_b32 s13, s4
	s_cbranch_execnz .LBB155_1121
.LBB155_272:                            ;   in Loop: Header=BB155_3 Depth=1
	s_or_b32 exec_lo, exec_lo, s13
	s_and_saveexec_b32 s13, s19
	s_cbranch_execnz .LBB155_1122
.LBB155_273:                            ;   in Loop: Header=BB155_3 Depth=1
	s_or_b32 exec_lo, exec_lo, s13
	s_and_saveexec_b32 s13, s21
	s_cbranch_execnz .LBB155_1123
.LBB155_274:                            ;   in Loop: Header=BB155_3 Depth=1
	s_or_b32 exec_lo, exec_lo, s13
	s_and_saveexec_b32 s13, s3
	s_cbranch_execz .LBB155_276
.LBB155_275:                            ;   in Loop: Header=BB155_3 Depth=1
	ds_load_b64 v[38:39], v47 offset:7808
	ds_load_b64 v[40:41], v5 offset:120
	s_wait_dscnt 0x0
	v_pk_mul_f32 v[42:43], v[40:41], v[38:39] op_sel:[0,1]
	s_delay_alu instid0(VALU_DEP_1) | instskip(SKIP_1) | instid1(VALU_DEP_2)
	v_pk_fma_f32 v[98:99], v[40:41], v[38:39], v[42:43] op_sel:[1,0,0] op_sel_hi:[0,0,1] neg_lo:[0,0,1] neg_hi:[0,0,1]
	v_pk_fma_f32 v[38:39], v[40:41], v[38:39], v[42:43] op_sel:[1,0,0] op_sel_hi:[0,1,1]
	v_mov_b32_e32 v39, v99
	s_delay_alu instid0(VALU_DEP_1)
	v_pk_add_f32 v[36:37], v[36:37], v[38:39]
.LBB155_276:                            ;   in Loop: Header=BB155_3 Depth=1
	s_or_b32 exec_lo, exec_lo, s13
	s_delay_alu instid0(VALU_DEP_1) | instskip(NEXT) | instid1(VALU_DEP_1)
	v_pk_add_f32 v[38:39], v[36:37], 0 neg_lo:[1,1] neg_hi:[1,1]
	v_dual_mov_b32 v36, v39 :: v_dual_mov_b32 v37, v38
.LBB155_277:                            ;   in Loop: Header=BB155_3 Depth=1
	s_or_b32 exec_lo, exec_lo, s66
	s_delay_alu instid0(SALU_CYCLE_1) | instskip(SKIP_2) | instid1(SALU_CYCLE_1)
	s_mov_b32 s13, exec_lo
	v_readlane_b32 s56, v108, 1
	s_and_b32 s56, s13, s56
	s_mov_b32 exec_lo, s56
	s_cbranch_execz .LBB155_279
; %bb.278:                              ;   in Loop: Header=BB155_3 Depth=1
	ds_load_b64 v[38:39], v5 offset:8320
	v_dual_mov_b32 v40, v37 :: v_dual_mov_b32 v41, v36
	s_wait_dscnt 0x0
	s_delay_alu instid0(VALU_DEP_1) | instskip(NEXT) | instid1(VALU_DEP_1)
	v_dual_mul_f32 v42, v40, v38 :: v_dual_mul_f32 v98, v37, v39
	v_pk_fma_f32 v[40:41], v[40:41], v[38:39], v[42:43] op_sel_hi:[1,1,0]
	s_delay_alu instid0(VALU_DEP_2) | instskip(NEXT) | instid1(VALU_DEP_2)
	v_pk_fma_f32 v[36:37], v[36:37], v[38:39], v[98:99] op_sel_hi:[1,1,0] neg_lo:[0,0,1] neg_hi:[0,0,1]
	v_mov_b32_e32 v37, v41
	ds_store_b64 v64, v[36:37]
.LBB155_279:                            ;   in Loop: Header=BB155_3 Depth=1
	s_or_b32 exec_lo, exec_lo, s13
	s_wait_dscnt 0x0
	s_barrier_signal -1
	s_barrier_wait -1
	s_mov_b32 s13, exec_lo
	v_readlane_b32 s56, v108, 2
	s_and_b32 s56, s13, s56
	s_delay_alu instid0(SALU_CYCLE_1)
	s_mov_b32 exec_lo, s56
	s_cbranch_execz .LBB155_281
; %bb.280:                              ;   in Loop: Header=BB155_3 Depth=1
	ds_load_b64 v[38:39], v63 offset:8320
	ds_load_b64 v[40:41], v64
	s_wait_dscnt 0x0
	v_dual_mul_f32 v42, v41, v39 :: v_dual_mul_f32 v43, v40, v39
	s_delay_alu instid0(VALU_DEP_1) | instskip(NEXT) | instid1(VALU_DEP_1)
	v_dual_fma_f32 v42, v40, v38, -v42 :: v_dual_fmac_f32 v43, v41, v38
	v_pk_add_f32 v[36:37], v[36:37], v[42:43]
.LBB155_281:                            ;   in Loop: Header=BB155_3 Depth=1
	s_or_b32 exec_lo, exec_lo, s13
	s_barrier_signal -1
	s_barrier_wait -1
	s_mov_b32 s13, exec_lo
	v_readlane_b32 s56, v108, 3
	s_and_b32 s56, s13, s56
	s_delay_alu instid0(SALU_CYCLE_1)
	s_mov_b32 exec_lo, s56
	s_cbranch_execz .LBB155_283
; %bb.282:                              ;   in Loop: Header=BB155_3 Depth=1
	ds_load_b64 v[38:39], v5 offset:8840
	s_wait_dscnt 0x0
	v_pk_mul_f32 v[40:41], v[36:37], v[38:39] op_sel:[1,1] op_sel_hi:[1,0]
	s_delay_alu instid0(VALU_DEP_1) | instskip(SKIP_1) | instid1(VALU_DEP_2)
	v_pk_fma_f32 v[42:43], v[36:37], v[38:39], v[40:41] op_sel_hi:[0,1,1]
	v_pk_fma_f32 v[36:37], v[36:37], v[38:39], v[40:41] op_sel_hi:[0,1,1] neg_lo:[0,0,1] neg_hi:[0,0,1]
	v_mov_b32_e32 v37, v43
	ds_store_b64 v64, v[36:37]
.LBB155_283:                            ;   in Loop: Header=BB155_3 Depth=1
	s_or_b32 exec_lo, exec_lo, s13
	s_wait_dscnt 0x0
	s_barrier_signal -1
	s_barrier_wait -1
	s_mov_b32 s13, exec_lo
	v_readlane_b32 s56, v108, 4
	s_and_b32 s56, s13, s56
	s_delay_alu instid0(SALU_CYCLE_1)
	s_mov_b32 exec_lo, s56
	s_cbranch_execz .LBB155_285
; %bb.284:                              ;   in Loop: Header=BB155_3 Depth=1
	ds_load_b64 v[38:39], v63 offset:8832
	ds_load_b64 v[40:41], v64
	s_wait_dscnt 0x0
	v_pk_mul_f32 v[42:43], v[40:41], v[38:39] op_sel:[1,1] op_sel_hi:[0,1]
	s_delay_alu instid0(VALU_DEP_1) | instskip(SKIP_1) | instid1(VALU_DEP_2)
	v_pk_fma_f32 v[98:99], v[40:41], v[38:39], v[42:43] op_sel_hi:[1,0,1]
	v_pk_fma_f32 v[38:39], v[40:41], v[38:39], v[42:43] op_sel_hi:[1,0,1] neg_lo:[0,0,1] neg_hi:[0,0,1]
	v_mov_b32_e32 v39, v99
	s_delay_alu instid0(VALU_DEP_1)
	v_pk_add_f32 v[36:37], v[36:37], v[38:39]
.LBB155_285:                            ;   in Loop: Header=BB155_3 Depth=1
	s_or_b32 exec_lo, exec_lo, s13
	s_barrier_signal -1
	s_barrier_wait -1
	s_mov_b32 s13, exec_lo
	v_readlane_b32 s56, v108, 5
	s_and_b32 s56, s13, s56
	s_delay_alu instid0(SALU_CYCLE_1)
	s_mov_b32 exec_lo, s56
	s_cbranch_execz .LBB155_287
; %bb.286:                              ;   in Loop: Header=BB155_3 Depth=1
	ds_load_b64 v[38:39], v5 offset:9360
	s_wait_dscnt 0x0
	v_pk_mul_f32 v[40:41], v[36:37], v[38:39] op_sel:[1,1] op_sel_hi:[1,0]
	s_delay_alu instid0(VALU_DEP_1) | instskip(SKIP_1) | instid1(VALU_DEP_2)
	v_pk_fma_f32 v[42:43], v[36:37], v[38:39], v[40:41] op_sel_hi:[0,1,1]
	v_pk_fma_f32 v[36:37], v[36:37], v[38:39], v[40:41] op_sel_hi:[0,1,1] neg_lo:[0,0,1] neg_hi:[0,0,1]
	v_mov_b32_e32 v37, v43
	ds_store_b64 v64, v[36:37]
.LBB155_287:                            ;   in Loop: Header=BB155_3 Depth=1
	s_or_b32 exec_lo, exec_lo, s13
	s_wait_dscnt 0x0
	s_barrier_signal -1
	s_barrier_wait -1
	s_mov_b32 s13, exec_lo
	v_readlane_b32 s56, v108, 6
	s_and_b32 s56, s13, s56
	s_delay_alu instid0(SALU_CYCLE_1)
	s_mov_b32 exec_lo, s56
	s_cbranch_execz .LBB155_289
; %bb.288:                              ;   in Loop: Header=BB155_3 Depth=1
	ds_load_b64 v[38:39], v63 offset:9344
	ds_load_b64 v[40:41], v64
	s_wait_dscnt 0x0
	v_pk_mul_f32 v[42:43], v[40:41], v[38:39] op_sel:[1,1] op_sel_hi:[0,1]
	s_delay_alu instid0(VALU_DEP_1) | instskip(SKIP_1) | instid1(VALU_DEP_2)
	v_pk_fma_f32 v[98:99], v[40:41], v[38:39], v[42:43] op_sel_hi:[1,0,1]
	v_pk_fma_f32 v[38:39], v[40:41], v[38:39], v[42:43] op_sel_hi:[1,0,1] neg_lo:[0,0,1] neg_hi:[0,0,1]
	v_mov_b32_e32 v39, v99
	s_delay_alu instid0(VALU_DEP_1)
	v_pk_add_f32 v[36:37], v[36:37], v[38:39]
.LBB155_289:                            ;   in Loop: Header=BB155_3 Depth=1
	;; [unrolled: 41-line block ×3, first 2 shown]
	s_or_b32 exec_lo, exec_lo, s13
	s_barrier_signal -1
	s_barrier_wait -1
	s_mov_b32 s13, exec_lo
	v_readlane_b32 s56, v108, 9
	s_and_b32 s56, s13, s56
	s_delay_alu instid0(SALU_CYCLE_1)
	s_mov_b32 exec_lo, s56
	s_cbranch_execz .LBB155_295
; %bb.294:                              ;   in Loop: Header=BB155_3 Depth=1
	ds_load_b64 v[38:39], v5 offset:10400
	s_wait_dscnt 0x0
	v_dual_mul_f32 v40, v36, v39 :: v_dual_mul_f32 v42, v37, v39
	s_delay_alu instid0(VALU_DEP_1) | instskip(NEXT) | instid1(VALU_DEP_2)
	v_pk_fma_f32 v[40:41], v[36:37], v[38:39], v[40:41] op_sel:[0,1,0] op_sel_hi:[1,0,0]
	v_pk_fma_f32 v[38:39], v[36:37], v[38:39], v[42:43] op_sel_hi:[1,1,0] neg_lo:[0,0,1] neg_hi:[0,0,1]
	s_delay_alu instid0(VALU_DEP_2) | instskip(NEXT) | instid1(VALU_DEP_1)
	v_mov_b32_e32 v39, v41
	v_mov_b64_e32 v[36:37], v[38:39]
	ds_store_b64 v64, v[38:39]
.LBB155_295:                            ;   in Loop: Header=BB155_3 Depth=1
	s_or_b32 exec_lo, exec_lo, s13
	s_wait_dscnt 0x0
	s_barrier_signal -1
	s_barrier_wait -1
	s_and_saveexec_b32 s13, s60
	s_cbranch_execz .LBB155_297
; %bb.296:                              ;   in Loop: Header=BB155_3 Depth=1
	ds_load_b64 v[38:39], v63 offset:10368
	ds_load_b64 v[40:41], v64
	s_wait_dscnt 0x0
	v_dual_mul_f32 v42, v41, v39 :: v_dual_mul_f32 v43, v40, v39
	s_delay_alu instid0(VALU_DEP_1) | instskip(NEXT) | instid1(VALU_DEP_1)
	v_dual_fma_f32 v42, v40, v38, -v42 :: v_dual_fmac_f32 v43, v41, v38
	v_pk_add_f32 v[36:37], v[36:37], v[42:43]
.LBB155_297:                            ;   in Loop: Header=BB155_3 Depth=1
	s_or_b32 exec_lo, exec_lo, s13
	s_barrier_signal -1
	s_barrier_wait -1
	s_and_saveexec_b32 s13, s61
	s_cbranch_execz .LBB155_299
; %bb.298:                              ;   in Loop: Header=BB155_3 Depth=1
	ds_load_b64 v[38:39], v5 offset:10920
	s_wait_dscnt 0x0
	v_pk_mul_f32 v[40:41], v[36:37], v[38:39] op_sel:[1,1] op_sel_hi:[1,0]
	s_delay_alu instid0(VALU_DEP_1) | instskip(SKIP_1) | instid1(VALU_DEP_2)
	v_pk_fma_f32 v[42:43], v[36:37], v[38:39], v[40:41] op_sel_hi:[0,1,1]
	v_pk_fma_f32 v[36:37], v[36:37], v[38:39], v[40:41] op_sel_hi:[0,1,1] neg_lo:[0,0,1] neg_hi:[0,0,1]
	v_mov_b32_e32 v37, v43
	ds_store_b64 v64, v[36:37]
.LBB155_299:                            ;   in Loop: Header=BB155_3 Depth=1
	s_or_b32 exec_lo, exec_lo, s13
	s_wait_dscnt 0x0
	s_barrier_signal -1
	s_barrier_wait -1
	s_and_saveexec_b32 s13, s62
	s_cbranch_execz .LBB155_301
; %bb.300:                              ;   in Loop: Header=BB155_3 Depth=1
	ds_load_b64 v[38:39], v63 offset:10880
	ds_load_b64 v[40:41], v64
	s_wait_dscnt 0x0
	v_pk_mul_f32 v[42:43], v[40:41], v[38:39] op_sel:[1,1] op_sel_hi:[0,1]
	s_delay_alu instid0(VALU_DEP_1) | instskip(SKIP_1) | instid1(VALU_DEP_2)
	v_pk_fma_f32 v[98:99], v[40:41], v[38:39], v[42:43] op_sel_hi:[1,0,1]
	v_pk_fma_f32 v[38:39], v[40:41], v[38:39], v[42:43] op_sel_hi:[1,0,1] neg_lo:[0,0,1] neg_hi:[0,0,1]
	v_mov_b32_e32 v39, v99
	s_delay_alu instid0(VALU_DEP_1)
	v_pk_add_f32 v[36:37], v[36:37], v[38:39]
.LBB155_301:                            ;   in Loop: Header=BB155_3 Depth=1
	s_or_b32 exec_lo, exec_lo, s13
	s_barrier_signal -1
	s_barrier_wait -1
	s_and_saveexec_b32 s13, s63
	s_cbranch_execz .LBB155_303
; %bb.302:                              ;   in Loop: Header=BB155_3 Depth=1
	ds_load_b64 v[38:39], v5 offset:11440
	s_wait_dscnt 0x0
	v_pk_mul_f32 v[40:41], v[36:37], v[38:39] op_sel:[1,1] op_sel_hi:[1,0]
	s_delay_alu instid0(VALU_DEP_1) | instskip(SKIP_1) | instid1(VALU_DEP_2)
	v_pk_fma_f32 v[42:43], v[36:37], v[38:39], v[40:41] op_sel_hi:[0,1,1]
	v_pk_fma_f32 v[36:37], v[36:37], v[38:39], v[40:41] op_sel_hi:[0,1,1] neg_lo:[0,0,1] neg_hi:[0,0,1]
	v_mov_b32_e32 v37, v43
	ds_store_b64 v64, v[36:37]
.LBB155_303:                            ;   in Loop: Header=BB155_3 Depth=1
	s_or_b32 exec_lo, exec_lo, s13
	s_wait_dscnt 0x0
	s_barrier_signal -1
	s_barrier_wait -1
	s_and_saveexec_b32 s13, s64
	s_cbranch_execz .LBB155_305
; %bb.304:                              ;   in Loop: Header=BB155_3 Depth=1
	ds_load_b64 v[38:39], v63 offset:11392
	ds_load_b64 v[40:41], v64
	s_wait_dscnt 0x0
	v_pk_mul_f32 v[42:43], v[40:41], v[38:39] op_sel:[1,1] op_sel_hi:[0,1]
	s_delay_alu instid0(VALU_DEP_1) | instskip(SKIP_1) | instid1(VALU_DEP_2)
	v_pk_fma_f32 v[98:99], v[40:41], v[38:39], v[42:43] op_sel_hi:[1,0,1]
	v_pk_fma_f32 v[38:39], v[40:41], v[38:39], v[42:43] op_sel_hi:[1,0,1] neg_lo:[0,0,1] neg_hi:[0,0,1]
	v_mov_b32_e32 v39, v99
	s_delay_alu instid0(VALU_DEP_1)
	v_pk_add_f32 v[36:37], v[36:37], v[38:39]
.LBB155_305:                            ;   in Loop: Header=BB155_3 Depth=1
	;; [unrolled: 33-line block ×3, first 2 shown]
	s_or_b32 exec_lo, exec_lo, s13
	s_barrier_signal -1
	s_barrier_wait -1
	s_and_saveexec_b32 s13, s23
	s_cbranch_execz .LBB155_311
; %bb.310:                              ;   in Loop: Header=BB155_3 Depth=1
	ds_load_b64 v[38:39], v5 offset:12480
	s_wait_dscnt 0x0
	v_dual_mul_f32 v40, v36, v39 :: v_dual_mul_f32 v42, v37, v39
	s_delay_alu instid0(VALU_DEP_1) | instskip(NEXT) | instid1(VALU_DEP_2)
	v_pk_fma_f32 v[40:41], v[36:37], v[38:39], v[40:41] op_sel:[0,1,0] op_sel_hi:[1,0,0]
	v_pk_fma_f32 v[38:39], v[36:37], v[38:39], v[42:43] op_sel_hi:[1,1,0] neg_lo:[0,0,1] neg_hi:[0,0,1]
	s_delay_alu instid0(VALU_DEP_2) | instskip(NEXT) | instid1(VALU_DEP_1)
	v_mov_b32_e32 v39, v41
	v_mov_b64_e32 v[36:37], v[38:39]
	ds_store_b64 v64, v[38:39]
.LBB155_311:                            ;   in Loop: Header=BB155_3 Depth=1
	s_or_b32 exec_lo, exec_lo, s13
	s_wait_dscnt 0x0
	s_barrier_signal -1
	s_barrier_wait -1
	s_and_saveexec_b32 s13, s25
	s_cbranch_execz .LBB155_313
; %bb.312:                              ;   in Loop: Header=BB155_3 Depth=1
	ds_load_b64 v[38:39], v63 offset:12416
	ds_load_b64 v[40:41], v64
	s_wait_dscnt 0x0
	v_dual_mul_f32 v42, v41, v39 :: v_dual_mul_f32 v43, v40, v39
	s_delay_alu instid0(VALU_DEP_1) | instskip(NEXT) | instid1(VALU_DEP_1)
	v_dual_fma_f32 v42, v40, v38, -v42 :: v_dual_fmac_f32 v43, v41, v38
	v_pk_add_f32 v[36:37], v[36:37], v[42:43]
.LBB155_313:                            ;   in Loop: Header=BB155_3 Depth=1
	s_or_b32 exec_lo, exec_lo, s13
	s_barrier_signal -1
	s_barrier_wait -1
	s_and_saveexec_b32 s13, s27
	s_cbranch_execz .LBB155_315
; %bb.314:                              ;   in Loop: Header=BB155_3 Depth=1
	ds_load_b64 v[38:39], v5 offset:13000
	s_wait_dscnt 0x0
	v_pk_mul_f32 v[40:41], v[36:37], v[38:39] op_sel:[1,1] op_sel_hi:[1,0]
	s_delay_alu instid0(VALU_DEP_1) | instskip(SKIP_1) | instid1(VALU_DEP_2)
	v_pk_fma_f32 v[42:43], v[36:37], v[38:39], v[40:41] op_sel_hi:[0,1,1]
	v_pk_fma_f32 v[36:37], v[36:37], v[38:39], v[40:41] op_sel_hi:[0,1,1] neg_lo:[0,0,1] neg_hi:[0,0,1]
	v_mov_b32_e32 v37, v43
	ds_store_b64 v64, v[36:37]
.LBB155_315:                            ;   in Loop: Header=BB155_3 Depth=1
	s_or_b32 exec_lo, exec_lo, s13
	s_wait_dscnt 0x0
	s_barrier_signal -1
	s_barrier_wait -1
	s_and_saveexec_b32 s13, s29
	s_cbranch_execz .LBB155_317
; %bb.316:                              ;   in Loop: Header=BB155_3 Depth=1
	ds_load_b64 v[38:39], v63 offset:12928
	ds_load_b64 v[40:41], v64
	s_wait_dscnt 0x0
	v_pk_mul_f32 v[42:43], v[40:41], v[38:39] op_sel:[1,1] op_sel_hi:[0,1]
	s_delay_alu instid0(VALU_DEP_1) | instskip(SKIP_1) | instid1(VALU_DEP_2)
	v_pk_fma_f32 v[98:99], v[40:41], v[38:39], v[42:43] op_sel_hi:[1,0,1]
	v_pk_fma_f32 v[38:39], v[40:41], v[38:39], v[42:43] op_sel_hi:[1,0,1] neg_lo:[0,0,1] neg_hi:[0,0,1]
	v_mov_b32_e32 v39, v99
	s_delay_alu instid0(VALU_DEP_1)
	v_pk_add_f32 v[36:37], v[36:37], v[38:39]
.LBB155_317:                            ;   in Loop: Header=BB155_3 Depth=1
	s_or_b32 exec_lo, exec_lo, s13
	s_barrier_signal -1
	s_barrier_wait -1
	s_and_saveexec_b32 s13, s31
	s_cbranch_execz .LBB155_319
; %bb.318:                              ;   in Loop: Header=BB155_3 Depth=1
	ds_load_b64 v[38:39], v5 offset:13520
	s_wait_dscnt 0x0
	v_pk_mul_f32 v[40:41], v[36:37], v[38:39] op_sel:[1,1] op_sel_hi:[1,0]
	s_delay_alu instid0(VALU_DEP_1) | instskip(SKIP_1) | instid1(VALU_DEP_2)
	v_pk_fma_f32 v[42:43], v[36:37], v[38:39], v[40:41] op_sel_hi:[0,1,1]
	v_pk_fma_f32 v[36:37], v[36:37], v[38:39], v[40:41] op_sel_hi:[0,1,1] neg_lo:[0,0,1] neg_hi:[0,0,1]
	v_mov_b32_e32 v37, v43
	ds_store_b64 v64, v[36:37]
.LBB155_319:                            ;   in Loop: Header=BB155_3 Depth=1
	s_or_b32 exec_lo, exec_lo, s13
	s_wait_dscnt 0x0
	s_barrier_signal -1
	s_barrier_wait -1
	s_and_saveexec_b32 s13, s34
	s_cbranch_execz .LBB155_321
; %bb.320:                              ;   in Loop: Header=BB155_3 Depth=1
	ds_load_b64 v[38:39], v63 offset:13440
	ds_load_b64 v[40:41], v64
	s_wait_dscnt 0x0
	v_pk_mul_f32 v[42:43], v[40:41], v[38:39] op_sel:[1,1] op_sel_hi:[0,1]
	s_delay_alu instid0(VALU_DEP_1) | instskip(SKIP_1) | instid1(VALU_DEP_2)
	v_pk_fma_f32 v[98:99], v[40:41], v[38:39], v[42:43] op_sel_hi:[1,0,1]
	v_pk_fma_f32 v[38:39], v[40:41], v[38:39], v[42:43] op_sel_hi:[1,0,1] neg_lo:[0,0,1] neg_hi:[0,0,1]
	v_mov_b32_e32 v39, v99
	s_delay_alu instid0(VALU_DEP_1)
	v_pk_add_f32 v[36:37], v[36:37], v[38:39]
.LBB155_321:                            ;   in Loop: Header=BB155_3 Depth=1
	s_or_b32 exec_lo, exec_lo, s13
	s_barrier_signal -1
	s_barrier_wait -1
	s_and_saveexec_b32 s13, s38
	s_cbranch_execz .LBB155_323
; %bb.322:                              ;   in Loop: Header=BB155_3 Depth=1
	ds_load_b64 v[38:39], v5 offset:14040
	s_wait_dscnt 0x0
	v_pk_mul_f32 v[40:41], v[36:37], v[38:39] op_sel:[1,1] op_sel_hi:[1,0]
	s_delay_alu instid0(VALU_DEP_1) | instskip(SKIP_1) | instid1(VALU_DEP_2)
	v_pk_fma_f32 v[42:43], v[36:37], v[38:39], v[40:41] op_sel_hi:[0,1,1]
	v_pk_fma_f32 v[36:37], v[36:37], v[38:39], v[40:41] op_sel_hi:[0,1,1] neg_lo:[0,0,1] neg_hi:[0,0,1]
	v_mov_b32_e32 v37, v43
	ds_store_b64 v64, v[36:37]
.LBB155_323:                            ;   in Loop: Header=BB155_3 Depth=1
	s_or_b32 exec_lo, exec_lo, s13
	s_wait_dscnt 0x0
	s_barrier_signal -1
	s_barrier_wait -1
	s_and_saveexec_b32 s13, s24
	s_cbranch_execz .LBB155_325
; %bb.324:                              ;   in Loop: Header=BB155_3 Depth=1
	ds_load_b64 v[38:39], v63 offset:13952
	ds_load_b64 v[40:41], v64
	s_wait_dscnt 0x0
	v_pk_mul_f32 v[42:43], v[40:41], v[38:39] op_sel:[1,1] op_sel_hi:[0,1]
	s_delay_alu instid0(VALU_DEP_1) | instskip(SKIP_1) | instid1(VALU_DEP_2)
	v_pk_fma_f32 v[98:99], v[40:41], v[38:39], v[42:43] op_sel_hi:[1,0,1]
	v_pk_fma_f32 v[38:39], v[40:41], v[38:39], v[42:43] op_sel_hi:[1,0,1] neg_lo:[0,0,1] neg_hi:[0,0,1]
	v_mov_b32_e32 v39, v99
	s_delay_alu instid0(VALU_DEP_1)
	v_pk_add_f32 v[36:37], v[36:37], v[38:39]
.LBB155_325:                            ;   in Loop: Header=BB155_3 Depth=1
	s_or_b32 exec_lo, exec_lo, s13
	s_barrier_signal -1
	s_barrier_wait -1
	s_and_saveexec_b32 s13, s26
	s_cbranch_execz .LBB155_327
; %bb.326:                              ;   in Loop: Header=BB155_3 Depth=1
	ds_load_b64 v[38:39], v5 offset:14560
	s_wait_dscnt 0x0
	v_dual_mul_f32 v40, v36, v39 :: v_dual_mul_f32 v42, v37, v39
	s_delay_alu instid0(VALU_DEP_1) | instskip(NEXT) | instid1(VALU_DEP_2)
	v_pk_fma_f32 v[40:41], v[36:37], v[38:39], v[40:41] op_sel:[0,1,0] op_sel_hi:[1,0,0]
	v_pk_fma_f32 v[38:39], v[36:37], v[38:39], v[42:43] op_sel_hi:[1,1,0] neg_lo:[0,0,1] neg_hi:[0,0,1]
	s_delay_alu instid0(VALU_DEP_2) | instskip(NEXT) | instid1(VALU_DEP_1)
	v_mov_b32_e32 v39, v41
	v_mov_b64_e32 v[36:37], v[38:39]
	ds_store_b64 v64, v[38:39]
.LBB155_327:                            ;   in Loop: Header=BB155_3 Depth=1
	s_or_b32 exec_lo, exec_lo, s13
	s_wait_dscnt 0x0
	s_barrier_signal -1
	s_barrier_wait -1
	s_and_saveexec_b32 s13, s28
	s_cbranch_execz .LBB155_329
; %bb.328:                              ;   in Loop: Header=BB155_3 Depth=1
	ds_load_b64 v[38:39], v63 offset:14464
	ds_load_b64 v[40:41], v64
	s_wait_dscnt 0x0
	v_dual_mul_f32 v42, v41, v39 :: v_dual_mul_f32 v43, v40, v39
	s_delay_alu instid0(VALU_DEP_1) | instskip(NEXT) | instid1(VALU_DEP_1)
	v_dual_fma_f32 v42, v40, v38, -v42 :: v_dual_fmac_f32 v43, v41, v38
	v_pk_add_f32 v[36:37], v[36:37], v[42:43]
.LBB155_329:                            ;   in Loop: Header=BB155_3 Depth=1
	s_or_b32 exec_lo, exec_lo, s13
	s_barrier_signal -1
	s_barrier_wait -1
	s_and_saveexec_b32 s13, s30
	s_cbranch_execz .LBB155_331
; %bb.330:                              ;   in Loop: Header=BB155_3 Depth=1
	ds_load_b64 v[38:39], v5 offset:15080
	s_wait_dscnt 0x0
	v_pk_mul_f32 v[40:41], v[36:37], v[38:39] op_sel:[1,1] op_sel_hi:[1,0]
	s_delay_alu instid0(VALU_DEP_1) | instskip(SKIP_1) | instid1(VALU_DEP_2)
	v_pk_fma_f32 v[42:43], v[36:37], v[38:39], v[40:41] op_sel_hi:[0,1,1]
	v_pk_fma_f32 v[38:39], v[36:37], v[38:39], v[40:41] neg_lo:[0,0,1] neg_hi:[0,0,1]
	v_mov_b32_e32 v39, v43
	s_delay_alu instid0(VALU_DEP_1)
	v_mov_b64_e32 v[36:37], v[38:39]
	ds_store_b64 v64, v[38:39]
.LBB155_331:                            ;   in Loop: Header=BB155_3 Depth=1
	s_or_b32 exec_lo, exec_lo, s13
	s_wait_dscnt 0x0
	s_barrier_signal -1
	s_barrier_wait -1
	s_and_saveexec_b32 s13, s33
	s_cbranch_execz .LBB155_333
; %bb.332:                              ;   in Loop: Header=BB155_3 Depth=1
	ds_load_b64 v[38:39], v63 offset:14976
	ds_load_b64 v[40:41], v64
	s_wait_dscnt 0x0
	v_pk_mul_f32 v[42:43], v[40:41], v[38:39] op_sel:[1,1] op_sel_hi:[0,1]
	s_delay_alu instid0(VALU_DEP_1) | instskip(SKIP_1) | instid1(VALU_DEP_2)
	v_pk_fma_f32 v[98:99], v[40:41], v[38:39], v[42:43] op_sel_hi:[1,0,1]
	v_pk_fma_f32 v[38:39], v[40:41], v[38:39], v[42:43] neg_lo:[0,0,1] neg_hi:[0,0,1]
	v_mov_b32_e32 v39, v99
	s_delay_alu instid0(VALU_DEP_1)
	v_pk_add_f32 v[36:37], v[36:37], v[38:39]
.LBB155_333:                            ;   in Loop: Header=BB155_3 Depth=1
	s_or_b32 exec_lo, exec_lo, s13
	s_barrier_signal -1
	s_barrier_wait -1
	s_and_saveexec_b32 s13, s91
	s_cbranch_execz .LBB155_335
; %bb.334:                              ;   in Loop: Header=BB155_3 Depth=1
	ds_load_b64 v[38:39], v5 offset:15600
	s_wait_dscnt 0x0
	v_pk_mul_f32 v[40:41], v[36:37], v[38:39] op_sel:[1,1] op_sel_hi:[1,0]
	s_delay_alu instid0(VALU_DEP_1) | instskip(SKIP_1) | instid1(VALU_DEP_2)
	v_pk_fma_f32 v[42:43], v[36:37], v[38:39], v[40:41] op_sel_hi:[0,1,1]
	v_pk_fma_f32 v[38:39], v[36:37], v[38:39], v[40:41] neg_lo:[0,0,1] neg_hi:[0,0,1]
	v_mov_b32_e32 v39, v43
	s_delay_alu instid0(VALU_DEP_1)
	v_mov_b64_e32 v[36:37], v[38:39]
	ds_store_b64 v64, v[38:39]
.LBB155_335:                            ;   in Loop: Header=BB155_3 Depth=1
	s_or_b32 exec_lo, exec_lo, s13
	s_wait_dscnt 0x0
	s_barrier_signal -1
	s_barrier_wait -1
	s_and_saveexec_b32 s13, s10
	s_cbranch_execz .LBB155_337
; %bb.336:                              ;   in Loop: Header=BB155_3 Depth=1
	ds_load_b64 v[38:39], v5 offset:15608
	ds_load_b64 v[40:41], v64
	s_wait_dscnt 0x0
	v_pk_mul_f32 v[42:43], v[40:41], v[38:39] op_sel:[1,1] op_sel_hi:[0,1]
	s_delay_alu instid0(VALU_DEP_1) | instskip(SKIP_1) | instid1(VALU_DEP_2)
	v_pk_fma_f32 v[98:99], v[40:41], v[38:39], v[42:43] op_sel_hi:[1,0,1]
	v_pk_fma_f32 v[38:39], v[40:41], v[38:39], v[42:43] neg_lo:[0,0,1] neg_hi:[0,0,1]
	v_mov_b32_e32 v39, v99
	s_delay_alu instid0(VALU_DEP_1)
	v_pk_add_f32 v[36:37], v[36:37], v[38:39]
.LBB155_337:                            ;   in Loop: Header=BB155_3 Depth=1
	s_or_b32 exec_lo, exec_lo, s13
	s_barrier_signal -1
	s_barrier_wait -1
	s_and_saveexec_b32 s13, s10
	s_cbranch_execz .LBB155_339
; %bb.338:                              ;   in Loop: Header=BB155_3 Depth=1
	ds_load_b64 v[38:39], v5 offset:16120
	s_wait_dscnt 0x0
	v_pk_mul_f32 v[40:41], v[36:37], v[38:39] op_sel:[1,1] op_sel_hi:[1,0]
	s_delay_alu instid0(VALU_DEP_1) | instskip(SKIP_1) | instid1(VALU_DEP_2)
	v_pk_fma_f32 v[42:43], v[36:37], v[38:39], v[40:41] op_sel_hi:[0,1,1]
	v_pk_fma_f32 v[38:39], v[36:37], v[38:39], v[40:41] neg_lo:[0,0,1] neg_hi:[0,0,1]
	v_mov_b32_e32 v39, v43
	s_delay_alu instid0(VALU_DEP_1)
	v_mov_b64_e32 v[36:37], v[38:39]
	ds_store_b64 v64, v[38:39]
.LBB155_339:                            ;   in Loop: Header=BB155_3 Depth=1
	s_or_b32 exec_lo, exec_lo, s13
	s_wait_dscnt 0x0
	s_barrier_signal -1
	s_barrier_wait -1
	s_barrier_signal -1
	s_barrier_wait -1
	s_and_saveexec_b32 s13, s5
; %bb.340:                              ;   in Loop: Header=BB155_3 Depth=1
	v_pk_add_f32 v[36:37], v[36:37], 0 neg_lo:[1,1] neg_hi:[1,1]
	ds_store_b64 v65, v[36:37] offset:128
; %bb.341:                              ;   in Loop: Header=BB155_3 Depth=1
	s_or_b32 exec_lo, exec_lo, s13
	s_wait_dscnt 0x0
	s_barrier_signal -1
	s_barrier_wait -1
	s_barrier_signal -1
	s_barrier_wait -1
	s_and_saveexec_b32 s13, s51
	s_cbranch_execz .LBB155_343
; %bb.342:                              ;   in Loop: Header=BB155_3 Depth=1
	ds_load_b64 v[36:37], v50 offset:128
	s_wait_dscnt 0x0
	ds_store_b64 v55, v[36:37] offset:8192
	ds_load_b64 v[36:37], v50 offset:136
	s_wait_dscnt 0x0
	ds_store_b64 v55, v[36:37] offset:8704
	;; [unrolled: 3-line block ×16, first 2 shown]
.LBB155_343:                            ;   in Loop: Header=BB155_3 Depth=1
	s_or_b32 exec_lo, exec_lo, s13
	s_wait_dscnt 0x0
	s_barrier_signal -1
	s_barrier_wait -1
	s_and_saveexec_b32 s13, s14
	s_cbranch_execz .LBB155_345
; %bb.344:                              ;   in Loop: Header=BB155_3 Depth=1
	ds_load_b128 v[36:39], v5 offset:8320
	ds_load_b64 v[40:41], v5 offset:8840
	s_wait_dscnt 0x1
	v_dual_mov_b32 v98, v39 :: v_dual_mov_b32 v99, v38
	s_wait_dscnt 0x0
	v_dual_mul_f32 v43, v41, v37 :: v_dual_mul_f32 v42, v40, v37
	s_delay_alu instid0(VALU_DEP_1) | instskip(NEXT) | instid1(VALU_DEP_1)
	v_xor_b32_e32 v100, 0x80000000, v43
	v_dual_fmac_f32 v42, v41, v36 :: v_dual_fmac_f32 v100, v40, v36
	s_delay_alu instid0(VALU_DEP_1) | instskip(NEXT) | instid1(VALU_DEP_1)
	v_pk_mul_f32 v[36:37], v[42:43], v[98:99] op_sel_hi:[0,1]
	v_pk_fma_f32 v[40:41], v[100:101], v[38:39], v[36:37] op_sel_hi:[0,1,1]
	v_pk_fma_f32 v[36:37], v[100:101], v[38:39], v[36:37] neg_lo:[0,0,1] neg_hi:[0,0,1]
	v_add_nc_u32_e64 v38, 0x2000, 0
	s_delay_alu instid0(VALU_DEP_3)
	v_mov_b32_e32 v37, v41
	ds_store_2addr_b64 v38, v[36:37], v[36:37] offset0:17 offset1:80
.LBB155_345:                            ;   in Loop: Header=BB155_3 Depth=1
	s_or_b32 exec_lo, exec_lo, s13
	v_mov_b32_e32 v37, 0
	s_wait_dscnt 0x0
	s_barrier_signal -1
	s_barrier_wait -1
	s_delay_alu instid0(VALU_DEP_1)
	v_mov_b32_e32 v36, v37
	s_and_saveexec_b32 s13, s1
	s_cbranch_execz .LBB155_349
; %bb.346:                              ;   in Loop: Header=BB155_3 Depth=1
	ds_load_b64 v[36:37], v45 offset:8336
	ds_load_b64 v[38:39], v46 offset:8320
	s_wait_dscnt 0x0
	v_dual_mul_f32 v40, v39, v37 :: v_dual_mul_f32 v41, v38, v37
	s_delay_alu instid0(VALU_DEP_1) | instskip(NEXT) | instid1(VALU_DEP_1)
	v_dual_fma_f32 v40, v38, v36, -v40 :: v_dual_fmac_f32 v41, v39, v36
	v_pk_add_f32 v[36:37], v[40:41], 0 op_sel_hi:[1,0]
	s_and_saveexec_b32 s56, s15
	s_cbranch_execz .LBB155_348
; %bb.347:                              ;   in Loop: Header=BB155_3 Depth=1
	ds_load_b64 v[38:39], v47 offset:8848
	ds_load_b64 v[40:41], v5 offset:8328
	s_wait_dscnt 0x0
	v_pk_mul_f32 v[42:43], v[40:41], v[38:39] op_sel:[1,1] op_sel_hi:[0,1]
	s_delay_alu instid0(VALU_DEP_1) | instskip(SKIP_1) | instid1(VALU_DEP_2)
	v_pk_fma_f32 v[98:99], v[40:41], v[38:39], v[42:43] op_sel_hi:[1,0,1]
	v_pk_fma_f32 v[38:39], v[40:41], v[38:39], v[42:43] neg_lo:[0,0,1] neg_hi:[0,0,1]
	v_mov_b32_e32 v39, v99
	s_delay_alu instid0(VALU_DEP_1)
	v_pk_add_f32 v[36:37], v[36:37], v[38:39]
.LBB155_348:                            ;   in Loop: Header=BB155_3 Depth=1
	s_or_b32 exec_lo, exec_lo, s56
	s_delay_alu instid0(VALU_DEP_1)
	v_pk_add_f32 v[36:37], v[36:37], 0 neg_lo:[1,1] neg_hi:[1,1]
.LBB155_349:                            ;   in Loop: Header=BB155_3 Depth=1
	s_or_b32 exec_lo, exec_lo, s13
	s_and_saveexec_b32 s13, s93
	s_cbranch_execz .LBB155_351
; %bb.350:                              ;   in Loop: Header=BB155_3 Depth=1
	ds_load_b64 v[38:39], v5 offset:9360
	s_wait_dscnt 0x0
	v_pk_mul_f32 v[40:41], v[36:37], v[38:39] op_sel:[1,1] op_sel_hi:[1,0]
	s_delay_alu instid0(VALU_DEP_1) | instskip(SKIP_1) | instid1(VALU_DEP_2)
	v_pk_fma_f32 v[42:43], v[36:37], v[38:39], v[40:41] op_sel_hi:[0,1,1]
	v_pk_fma_f32 v[38:39], v[36:37], v[38:39], v[40:41] neg_lo:[0,0,1] neg_hi:[0,0,1]
	v_mov_b32_e32 v39, v43
	s_delay_alu instid0(VALU_DEP_1)
	v_mov_b64_e32 v[36:37], v[38:39]
	ds_store_b64 v3, v[38:39]
.LBB155_351:                            ;   in Loop: Header=BB155_3 Depth=1
	s_or_b32 exec_lo, exec_lo, s13
	s_wait_dscnt 0x0
	s_barrier_signal -1
	s_barrier_wait -1
	s_and_saveexec_b32 s13, s94
	s_cbranch_execz .LBB155_353
; %bb.352:                              ;   in Loop: Header=BB155_3 Depth=1
	ds_load_b64 v[38:39], v5 offset:9368
	ds_load_b64 v[40:41], v3
	s_wait_dscnt 0x0
	v_pk_mul_f32 v[42:43], v[40:41], v[38:39] op_sel:[1,1] op_sel_hi:[0,1]
	s_delay_alu instid0(VALU_DEP_1) | instskip(SKIP_1) | instid1(VALU_DEP_2)
	v_pk_fma_f32 v[98:99], v[40:41], v[38:39], v[42:43] op_sel_hi:[1,0,1]
	v_pk_fma_f32 v[38:39], v[40:41], v[38:39], v[42:43] neg_lo:[0,0,1] neg_hi:[0,0,1]
	v_mov_b32_e32 v39, v99
	s_delay_alu instid0(VALU_DEP_1)
	v_pk_add_f32 v[36:37], v[36:37], v[38:39]
.LBB155_353:                            ;   in Loop: Header=BB155_3 Depth=1
	s_or_b32 exec_lo, exec_lo, s13
	s_barrier_signal -1
	s_barrier_wait -1
	s_and_saveexec_b32 s13, s94
	s_cbranch_execz .LBB155_355
; %bb.354:                              ;   in Loop: Header=BB155_3 Depth=1
	ds_load_b64 v[38:39], v5 offset:9880
	s_wait_dscnt 0x0
	v_pk_mul_f32 v[40:41], v[36:37], v[38:39] op_sel:[1,1] op_sel_hi:[1,0]
	s_delay_alu instid0(VALU_DEP_1) | instskip(SKIP_1) | instid1(VALU_DEP_2)
	v_pk_fma_f32 v[42:43], v[36:37], v[38:39], v[40:41] op_sel_hi:[0,1,1]
	v_pk_fma_f32 v[38:39], v[36:37], v[38:39], v[40:41] neg_lo:[0,0,1] neg_hi:[0,0,1]
	v_mov_b32_e32 v39, v43
	s_delay_alu instid0(VALU_DEP_1)
	v_mov_b64_e32 v[36:37], v[38:39]
	ds_store_b64 v3, v[38:39]
.LBB155_355:                            ;   in Loop: Header=BB155_3 Depth=1
	s_or_b32 exec_lo, exec_lo, s13
	s_wait_dscnt 0x0
	s_barrier_signal -1
	s_barrier_wait -1
	s_barrier_signal -1
	s_barrier_wait -1
	s_and_saveexec_b32 s13, s1
; %bb.356:                              ;   in Loop: Header=BB155_3 Depth=1
	v_pk_add_f32 v[36:37], v[36:37], 0 neg_lo:[1,1] neg_hi:[1,1]
	ds_store_b64 v45, v[36:37] offset:8336
; %bb.357:                              ;   in Loop: Header=BB155_3 Depth=1
	s_or_b32 exec_lo, exec_lo, s13
	s_wait_dscnt 0x0
	s_barrier_signal -1
	s_barrier_wait -1
	s_barrier_signal -1
	s_barrier_wait -1
	s_and_saveexec_b32 s13, s95
	s_cbranch_execz .LBB155_359
; %bb.358:                              ;   in Loop: Header=BB155_3 Depth=1
	ds_load_b64 v[36:37], v50 offset:8336
	s_wait_dscnt 0x0
	ds_store_b64 v47, v[36:37] offset:9344
	ds_load_b64 v[36:37], v50 offset:8344
	s_wait_dscnt 0x0
	ds_store_b64 v47, v[36:37] offset:9856
.LBB155_359:                            ;   in Loop: Header=BB155_3 Depth=1
	s_or_b32 exec_lo, exec_lo, s13
	s_wait_dscnt 0x0
	s_barrier_signal -1
	s_barrier_wait -1
	s_and_saveexec_b32 s13, s14
	s_cbranch_execz .LBB155_361
; %bb.360:                              ;   in Loop: Header=BB155_3 Depth=1
	ds_load_b128 v[36:39], v5 offset:9360
	ds_load_b64 v[40:41], v5 offset:9880
	s_wait_dscnt 0x1
	v_dual_mov_b32 v98, v39 :: v_dual_mov_b32 v99, v38
	s_wait_dscnt 0x0
	v_dual_mul_f32 v43, v41, v37 :: v_dual_mul_f32 v42, v40, v37
	s_delay_alu instid0(VALU_DEP_1) | instskip(NEXT) | instid1(VALU_DEP_1)
	v_xor_b32_e32 v100, 0x80000000, v43
	v_dual_fmac_f32 v42, v41, v36 :: v_dual_fmac_f32 v100, v40, v36
	s_delay_alu instid0(VALU_DEP_1) | instskip(NEXT) | instid1(VALU_DEP_1)
	v_pk_mul_f32 v[36:37], v[42:43], v[98:99] op_sel_hi:[0,1]
	v_pk_fma_f32 v[40:41], v[100:101], v[38:39], v[36:37] op_sel_hi:[0,1,1]
	v_pk_fma_f32 v[36:37], v[100:101], v[38:39], v[36:37] neg_lo:[0,0,1] neg_hi:[0,0,1]
	v_add_nc_u32_e64 v38, 0x2000, 0
	s_delay_alu instid0(VALU_DEP_3)
	v_mov_b32_e32 v37, v41
	ds_store_2addr_b64 v38, v[36:37], v[36:37] offset0:147 offset1:210
.LBB155_361:                            ;   in Loop: Header=BB155_3 Depth=1
	s_or_b32 exec_lo, exec_lo, s13
	v_mov_b32_e32 v36, 0
	s_wait_dscnt 0x0
	s_barrier_signal -1
	s_barrier_wait -1
	s_delay_alu instid0(VALU_DEP_1)
	v_mov_b32_e32 v37, v36
	s_and_saveexec_b32 s13, s3
	s_cbranch_execz .LBB155_367
; %bb.362:                              ;   in Loop: Header=BB155_3 Depth=1
	ds_load_b64 v[36:37], v52 offset:8352
	ds_load_b64 v[38:39], v48 offset:8320
	s_wait_dscnt 0x0
	v_pk_mul_f32 v[40:41], v[38:39], v[36:37] op_sel:[0,1]
	s_delay_alu instid0(VALU_DEP_1) | instskip(SKIP_1) | instid1(VALU_DEP_2)
	v_pk_fma_f32 v[42:43], v[38:39], v[36:37], v[40:41] op_sel:[1,0,0] op_sel_hi:[0,0,1] neg_lo:[0,0,1] neg_hi:[0,0,1]
	v_pk_fma_f32 v[36:37], v[38:39], v[36:37], v[40:41] op_sel:[1,0,0] op_sel_hi:[0,1,1]
	v_mov_b32_e32 v37, v43
	s_delay_alu instid0(VALU_DEP_1)
	v_pk_add_f32 v[36:37], v[36:37], 0 op_sel_hi:[1,0]
	s_and_saveexec_b32 s56, s16
	s_cbranch_execnz .LBB155_1124
; %bb.363:                              ;   in Loop: Header=BB155_3 Depth=1
	s_or_b32 exec_lo, exec_lo, s56
	s_and_saveexec_b32 s56, s17
	s_cbranch_execnz .LBB155_1125
.LBB155_364:                            ;   in Loop: Header=BB155_3 Depth=1
	s_or_b32 exec_lo, exec_lo, s56
	s_and_saveexec_b32 s56, s1
	s_cbranch_execz .LBB155_366
.LBB155_365:                            ;   in Loop: Header=BB155_3 Depth=1
	ds_load_b64 v[38:39], v55 offset:9888
	ds_load_b64 v[40:41], v5 offset:8344
	s_wait_dscnt 0x0
	v_pk_mul_f32 v[42:43], v[40:41], v[38:39] op_sel:[0,1]
	s_delay_alu instid0(VALU_DEP_1) | instskip(SKIP_1) | instid1(VALU_DEP_2)
	v_pk_fma_f32 v[98:99], v[40:41], v[38:39], v[42:43] op_sel:[1,0,0] op_sel_hi:[0,0,1] neg_lo:[0,0,1] neg_hi:[0,0,1]
	v_pk_fma_f32 v[38:39], v[40:41], v[38:39], v[42:43] op_sel:[1,0,0] op_sel_hi:[0,1,1]
	v_mov_b32_e32 v39, v99
	s_delay_alu instid0(VALU_DEP_1)
	v_pk_add_f32 v[36:37], v[36:37], v[38:39]
.LBB155_366:                            ;   in Loop: Header=BB155_3 Depth=1
	s_or_b32 exec_lo, exec_lo, s56
	s_delay_alu instid0(VALU_DEP_1) | instskip(NEXT) | instid1(VALU_DEP_1)
	v_pk_add_f32 v[38:39], v[36:37], 0 neg_lo:[1,1] neg_hi:[1,1]
	v_dual_mov_b32 v36, v39 :: v_dual_mov_b32 v37, v38
.LBB155_367:                            ;   in Loop: Header=BB155_3 Depth=1
	s_or_b32 exec_lo, exec_lo, s13
	s_and_saveexec_b32 s13, s96
	s_cbranch_execz .LBB155_369
; %bb.368:                              ;   in Loop: Header=BB155_3 Depth=1
	ds_load_b64 v[38:39], v5 offset:10400
	v_dual_mov_b32 v40, v37 :: v_dual_mov_b32 v41, v36
	s_wait_dscnt 0x0
	s_delay_alu instid0(VALU_DEP_1) | instskip(NEXT) | instid1(VALU_DEP_1)
	v_dual_mul_f32 v42, v40, v38 :: v_dual_mul_f32 v98, v37, v39
	v_pk_fma_f32 v[40:41], v[40:41], v[38:39], v[42:43] op_sel_hi:[1,1,0]
	s_delay_alu instid0(VALU_DEP_2) | instskip(NEXT) | instid1(VALU_DEP_2)
	v_pk_fma_f32 v[36:37], v[36:37], v[38:39], v[98:99] op_sel_hi:[1,1,0] neg_lo:[0,0,1] neg_hi:[0,0,1]
	v_mov_b32_e32 v37, v41
	ds_store_b64 v51, v[36:37]
.LBB155_369:                            ;   in Loop: Header=BB155_3 Depth=1
	s_or_b32 exec_lo, exec_lo, s13
	s_wait_dscnt 0x0
	s_barrier_signal -1
	s_barrier_wait -1
	s_and_saveexec_b32 s13, s97
	s_cbranch_execz .LBB155_371
; %bb.370:                              ;   in Loop: Header=BB155_3 Depth=1
	ds_load_b64 v[38:39], v49 offset:10400
	ds_load_b64 v[40:41], v51
	s_wait_dscnt 0x0
	v_dual_mul_f32 v42, v41, v39 :: v_dual_mul_f32 v43, v40, v39
	s_delay_alu instid0(VALU_DEP_1) | instskip(NEXT) | instid1(VALU_DEP_1)
	v_dual_fma_f32 v42, v40, v38, -v42 :: v_dual_fmac_f32 v43, v41, v38
	v_pk_add_f32 v[36:37], v[36:37], v[42:43]
.LBB155_371:                            ;   in Loop: Header=BB155_3 Depth=1
	s_or_b32 exec_lo, exec_lo, s13
	s_barrier_signal -1
	s_barrier_wait -1
	s_and_saveexec_b32 s13, s98
	s_cbranch_execz .LBB155_373
; %bb.372:                              ;   in Loop: Header=BB155_3 Depth=1
	ds_load_b64 v[38:39], v5 offset:10920
	s_wait_dscnt 0x0
	v_pk_mul_f32 v[40:41], v[36:37], v[38:39] op_sel:[1,1] op_sel_hi:[1,0]
	s_delay_alu instid0(VALU_DEP_1) | instskip(SKIP_1) | instid1(VALU_DEP_2)
	v_pk_fma_f32 v[42:43], v[36:37], v[38:39], v[40:41] op_sel_hi:[0,1,1]
	v_pk_fma_f32 v[38:39], v[36:37], v[38:39], v[40:41] neg_lo:[0,0,1] neg_hi:[0,0,1]
	v_mov_b32_e32 v39, v43
	s_delay_alu instid0(VALU_DEP_1)
	v_mov_b64_e32 v[36:37], v[38:39]
	ds_store_b64 v51, v[38:39]
.LBB155_373:                            ;   in Loop: Header=BB155_3 Depth=1
	s_or_b32 exec_lo, exec_lo, s13
	s_wait_dscnt 0x0
	s_barrier_signal -1
	s_barrier_wait -1
	s_and_saveexec_b32 s13, s99
	s_cbranch_execz .LBB155_375
; %bb.374:                              ;   in Loop: Header=BB155_3 Depth=1
	ds_load_b64 v[38:39], v49 offset:10912
	ds_load_b64 v[40:41], v51
	s_wait_dscnt 0x0
	v_pk_mul_f32 v[42:43], v[40:41], v[38:39] op_sel:[1,1] op_sel_hi:[0,1]
	s_delay_alu instid0(VALU_DEP_1) | instskip(SKIP_1) | instid1(VALU_DEP_2)
	v_pk_fma_f32 v[98:99], v[40:41], v[38:39], v[42:43] op_sel_hi:[1,0,1]
	v_pk_fma_f32 v[38:39], v[40:41], v[38:39], v[42:43] neg_lo:[0,0,1] neg_hi:[0,0,1]
	v_mov_b32_e32 v39, v99
	s_delay_alu instid0(VALU_DEP_1)
	v_pk_add_f32 v[36:37], v[36:37], v[38:39]
.LBB155_375:                            ;   in Loop: Header=BB155_3 Depth=1
	s_or_b32 exec_lo, exec_lo, s13
	s_barrier_signal -1
	s_barrier_wait -1
	s_and_saveexec_b32 s13, s100
	s_cbranch_execz .LBB155_377
; %bb.376:                              ;   in Loop: Header=BB155_3 Depth=1
	ds_load_b64 v[38:39], v5 offset:11440
	s_wait_dscnt 0x0
	v_pk_mul_f32 v[40:41], v[36:37], v[38:39] op_sel:[1,1] op_sel_hi:[1,0]
	s_delay_alu instid0(VALU_DEP_1) | instskip(SKIP_1) | instid1(VALU_DEP_2)
	v_pk_fma_f32 v[42:43], v[36:37], v[38:39], v[40:41] op_sel_hi:[0,1,1]
	v_pk_fma_f32 v[38:39], v[36:37], v[38:39], v[40:41] neg_lo:[0,0,1] neg_hi:[0,0,1]
	v_mov_b32_e32 v39, v43
	s_delay_alu instid0(VALU_DEP_1)
	v_mov_b64_e32 v[36:37], v[38:39]
	ds_store_b64 v51, v[38:39]
.LBB155_377:                            ;   in Loop: Header=BB155_3 Depth=1
	s_or_b32 exec_lo, exec_lo, s13
	s_wait_dscnt 0x0
	s_barrier_signal -1
	s_barrier_wait -1
	s_and_saveexec_b32 s13, s101
	s_cbranch_execz .LBB155_379
; %bb.378:                              ;   in Loop: Header=BB155_3 Depth=1
	ds_load_b64 v[38:39], v5 offset:11448
	ds_load_b64 v[40:41], v51
	s_wait_dscnt 0x0
	v_pk_mul_f32 v[42:43], v[40:41], v[38:39] op_sel:[1,1] op_sel_hi:[0,1]
	s_delay_alu instid0(VALU_DEP_1) | instskip(SKIP_1) | instid1(VALU_DEP_2)
	v_pk_fma_f32 v[98:99], v[40:41], v[38:39], v[42:43] op_sel_hi:[1,0,1]
	v_pk_fma_f32 v[38:39], v[40:41], v[38:39], v[42:43] neg_lo:[0,0,1] neg_hi:[0,0,1]
	v_mov_b32_e32 v39, v99
	s_delay_alu instid0(VALU_DEP_1)
	v_pk_add_f32 v[36:37], v[36:37], v[38:39]
.LBB155_379:                            ;   in Loop: Header=BB155_3 Depth=1
	s_or_b32 exec_lo, exec_lo, s13
	s_barrier_signal -1
	s_barrier_wait -1
	s_and_saveexec_b32 s13, s101
	s_cbranch_execz .LBB155_381
; %bb.380:                              ;   in Loop: Header=BB155_3 Depth=1
	ds_load_b64 v[38:39], v5 offset:11960
	s_wait_dscnt 0x0
	v_pk_mul_f32 v[40:41], v[36:37], v[38:39] op_sel:[1,1] op_sel_hi:[1,0]
	s_delay_alu instid0(VALU_DEP_1) | instskip(SKIP_1) | instid1(VALU_DEP_2)
	v_pk_fma_f32 v[42:43], v[36:37], v[38:39], v[40:41] op_sel_hi:[0,1,1]
	v_pk_fma_f32 v[38:39], v[36:37], v[38:39], v[40:41] neg_lo:[0,0,1] neg_hi:[0,0,1]
	v_mov_b32_e32 v39, v43
	s_delay_alu instid0(VALU_DEP_1)
	v_mov_b64_e32 v[36:37], v[38:39]
	ds_store_b64 v51, v[38:39]
.LBB155_381:                            ;   in Loop: Header=BB155_3 Depth=1
	s_or_b32 exec_lo, exec_lo, s13
	s_wait_dscnt 0x0
	s_barrier_signal -1
	s_barrier_wait -1
	s_barrier_signal -1
	s_barrier_wait -1
	s_and_saveexec_b32 s13, s3
; %bb.382:                              ;   in Loop: Header=BB155_3 Depth=1
	v_pk_add_f32 v[36:37], v[36:37], 0 neg_lo:[1,1] neg_hi:[1,1]
	ds_store_b64 v52, v[36:37] offset:8352
; %bb.383:                              ;   in Loop: Header=BB155_3 Depth=1
	s_or_b32 exec_lo, exec_lo, s13
	s_wait_dscnt 0x0
	s_barrier_signal -1
	s_barrier_wait -1
	s_barrier_signal -1
	s_barrier_wait -1
	s_and_saveexec_b32 s13, s102
	s_cbranch_execz .LBB155_385
; %bb.384:                              ;   in Loop: Header=BB155_3 Depth=1
	ds_load_b64 v[36:37], v57 offset:8352
	s_wait_dscnt 0x0
	ds_store_b64 v70, v[36:37] offset:10368
	ds_load_b64 v[36:37], v57 offset:8360
	s_wait_dscnt 0x0
	ds_store_b64 v70, v[36:37] offset:10880
	;; [unrolled: 3-line block ×4, first 2 shown]
.LBB155_385:                            ;   in Loop: Header=BB155_3 Depth=1
	s_or_b32 exec_lo, exec_lo, s13
	s_wait_dscnt 0x0
	s_barrier_signal -1
	s_barrier_wait -1
	s_and_saveexec_b32 s13, s14
	s_cbranch_execz .LBB155_387
; %bb.386:                              ;   in Loop: Header=BB155_3 Depth=1
	ds_load_b128 v[36:39], v5 offset:10400
	ds_load_b64 v[40:41], v5 offset:10920
	s_wait_dscnt 0x1
	v_dual_mov_b32 v98, v39 :: v_dual_mov_b32 v99, v38
	s_wait_dscnt 0x0
	v_dual_mul_f32 v43, v41, v37 :: v_dual_mul_f32 v42, v40, v37
	s_delay_alu instid0(VALU_DEP_1) | instskip(NEXT) | instid1(VALU_DEP_1)
	v_xor_b32_e32 v100, 0x80000000, v43
	v_dual_fmac_f32 v42, v41, v36 :: v_dual_fmac_f32 v100, v40, v36
	s_delay_alu instid0(VALU_DEP_1) | instskip(NEXT) | instid1(VALU_DEP_1)
	v_pk_mul_f32 v[36:37], v[42:43], v[98:99] op_sel_hi:[0,1]
	v_pk_fma_f32 v[40:41], v[100:101], v[38:39], v[36:37] op_sel_hi:[0,1,1]
	v_pk_fma_f32 v[36:37], v[100:101], v[38:39], v[36:37] neg_lo:[0,0,1] neg_hi:[0,0,1]
	v_add_nc_u32_e64 v38, 0x2800, 0
	s_delay_alu instid0(VALU_DEP_3)
	v_mov_b32_e32 v37, v41
	ds_store_2addr_b64 v38, v[36:37], v[36:37] offset0:21 offset1:84
.LBB155_387:                            ;   in Loop: Header=BB155_3 Depth=1
	s_or_b32 exec_lo, exec_lo, s13
	v_mov_b32_e32 v37, 0
	s_wait_dscnt 0x0
	s_barrier_signal -1
	s_barrier_wait -1
	s_delay_alu instid0(VALU_DEP_1)
	v_mov_b32_e32 v36, v37
	s_and_saveexec_b32 s13, s1
	s_cbranch_execz .LBB155_391
; %bb.388:                              ;   in Loop: Header=BB155_3 Depth=1
	ds_load_b64 v[36:37], v45 offset:10416
	ds_load_b64 v[38:39], v46 offset:10400
	s_wait_dscnt 0x0
	v_dual_mul_f32 v40, v39, v37 :: v_dual_mul_f32 v41, v38, v37
	s_delay_alu instid0(VALU_DEP_1) | instskip(NEXT) | instid1(VALU_DEP_1)
	v_dual_fma_f32 v40, v38, v36, -v40 :: v_dual_fmac_f32 v41, v39, v36
	v_pk_add_f32 v[36:37], v[40:41], 0 op_sel_hi:[1,0]
	s_and_saveexec_b32 s56, s15
	s_cbranch_execz .LBB155_390
; %bb.389:                              ;   in Loop: Header=BB155_3 Depth=1
	ds_load_b64 v[38:39], v70 offset:10928
	ds_load_b64 v[40:41], v5 offset:10408
	s_wait_dscnt 0x0
	v_pk_mul_f32 v[42:43], v[40:41], v[38:39] op_sel:[1,1] op_sel_hi:[0,1]
	s_delay_alu instid0(VALU_DEP_1) | instskip(SKIP_1) | instid1(VALU_DEP_2)
	v_pk_fma_f32 v[98:99], v[40:41], v[38:39], v[42:43] op_sel_hi:[1,0,1]
	v_pk_fma_f32 v[38:39], v[40:41], v[38:39], v[42:43] neg_lo:[0,0,1] neg_hi:[0,0,1]
	v_mov_b32_e32 v39, v99
	s_delay_alu instid0(VALU_DEP_1)
	v_pk_add_f32 v[36:37], v[36:37], v[38:39]
.LBB155_390:                            ;   in Loop: Header=BB155_3 Depth=1
	s_or_b32 exec_lo, exec_lo, s56
	s_delay_alu instid0(VALU_DEP_1)
	v_pk_add_f32 v[36:37], v[36:37], 0 neg_lo:[1,1] neg_hi:[1,1]
.LBB155_391:                            ;   in Loop: Header=BB155_3 Depth=1
	s_or_b32 exec_lo, exec_lo, s13
	s_and_saveexec_b32 s13, s93
	s_cbranch_execz .LBB155_393
; %bb.392:                              ;   in Loop: Header=BB155_3 Depth=1
	ds_load_b64 v[38:39], v5 offset:11440
	s_wait_dscnt 0x0
	v_pk_mul_f32 v[40:41], v[36:37], v[38:39] op_sel:[1,1] op_sel_hi:[1,0]
	s_delay_alu instid0(VALU_DEP_1) | instskip(SKIP_1) | instid1(VALU_DEP_2)
	v_pk_fma_f32 v[42:43], v[36:37], v[38:39], v[40:41] op_sel_hi:[0,1,1]
	v_pk_fma_f32 v[38:39], v[36:37], v[38:39], v[40:41] neg_lo:[0,0,1] neg_hi:[0,0,1]
	v_mov_b32_e32 v39, v43
	s_delay_alu instid0(VALU_DEP_1)
	v_mov_b64_e32 v[36:37], v[38:39]
	ds_store_b64 v3, v[38:39]
.LBB155_393:                            ;   in Loop: Header=BB155_3 Depth=1
	s_or_b32 exec_lo, exec_lo, s13
	s_wait_dscnt 0x0
	s_barrier_signal -1
	s_barrier_wait -1
	s_and_saveexec_b32 s13, s94
	s_cbranch_execz .LBB155_395
; %bb.394:                              ;   in Loop: Header=BB155_3 Depth=1
	ds_load_b64 v[38:39], v5 offset:11448
	ds_load_b64 v[40:41], v3
	s_wait_dscnt 0x0
	v_pk_mul_f32 v[42:43], v[40:41], v[38:39] op_sel:[1,1] op_sel_hi:[0,1]
	s_delay_alu instid0(VALU_DEP_1) | instskip(SKIP_1) | instid1(VALU_DEP_2)
	v_pk_fma_f32 v[98:99], v[40:41], v[38:39], v[42:43] op_sel_hi:[1,0,1]
	v_pk_fma_f32 v[38:39], v[40:41], v[38:39], v[42:43] neg_lo:[0,0,1] neg_hi:[0,0,1]
	v_mov_b32_e32 v39, v99
	s_delay_alu instid0(VALU_DEP_1)
	v_pk_add_f32 v[36:37], v[36:37], v[38:39]
.LBB155_395:                            ;   in Loop: Header=BB155_3 Depth=1
	s_or_b32 exec_lo, exec_lo, s13
	s_barrier_signal -1
	s_barrier_wait -1
	s_and_saveexec_b32 s13, s94
	s_cbranch_execz .LBB155_397
; %bb.396:                              ;   in Loop: Header=BB155_3 Depth=1
	ds_load_b64 v[38:39], v5 offset:11960
	s_wait_dscnt 0x0
	v_pk_mul_f32 v[40:41], v[36:37], v[38:39] op_sel:[1,1] op_sel_hi:[1,0]
	s_delay_alu instid0(VALU_DEP_1) | instskip(SKIP_1) | instid1(VALU_DEP_2)
	v_pk_fma_f32 v[42:43], v[36:37], v[38:39], v[40:41] op_sel_hi:[0,1,1]
	v_pk_fma_f32 v[38:39], v[36:37], v[38:39], v[40:41] neg_lo:[0,0,1] neg_hi:[0,0,1]
	v_mov_b32_e32 v39, v43
	s_delay_alu instid0(VALU_DEP_1)
	v_mov_b64_e32 v[36:37], v[38:39]
	ds_store_b64 v3, v[38:39]
.LBB155_397:                            ;   in Loop: Header=BB155_3 Depth=1
	s_or_b32 exec_lo, exec_lo, s13
	s_wait_dscnt 0x0
	s_barrier_signal -1
	s_barrier_wait -1
	s_barrier_signal -1
	s_barrier_wait -1
	s_and_saveexec_b32 s13, s1
; %bb.398:                              ;   in Loop: Header=BB155_3 Depth=1
	v_pk_add_f32 v[36:37], v[36:37], 0 neg_lo:[1,1] neg_hi:[1,1]
	ds_store_b64 v45, v[36:37] offset:10416
; %bb.399:                              ;   in Loop: Header=BB155_3 Depth=1
	s_or_b32 exec_lo, exec_lo, s13
	s_wait_dscnt 0x0
	s_barrier_signal -1
	s_barrier_wait -1
	s_barrier_signal -1
	s_barrier_wait -1
	s_and_saveexec_b32 s13, s95
	s_cbranch_execz .LBB155_401
; %bb.400:                              ;   in Loop: Header=BB155_3 Depth=1
	ds_load_b64 v[36:37], v71 offset:10416
	s_wait_dscnt 0x0
	ds_store_b64 v70, v[36:37] offset:11424
	ds_load_b64 v[36:37], v71 offset:10424
	s_wait_dscnt 0x0
	ds_store_b64 v70, v[36:37] offset:11936
.LBB155_401:                            ;   in Loop: Header=BB155_3 Depth=1
	s_or_b32 exec_lo, exec_lo, s13
	s_wait_dscnt 0x0
	s_barrier_signal -1
	s_barrier_wait -1
	s_and_saveexec_b32 s13, s14
	s_cbranch_execz .LBB155_403
; %bb.402:                              ;   in Loop: Header=BB155_3 Depth=1
	ds_load_b128 v[36:39], v5 offset:11440
	ds_load_b64 v[40:41], v5 offset:11960
	s_wait_dscnt 0x1
	v_dual_mov_b32 v98, v39 :: v_dual_mov_b32 v99, v38
	s_wait_dscnt 0x0
	v_dual_mul_f32 v43, v41, v37 :: v_dual_mul_f32 v42, v40, v37
	s_delay_alu instid0(VALU_DEP_1) | instskip(NEXT) | instid1(VALU_DEP_1)
	v_xor_b32_e32 v100, 0x80000000, v43
	v_dual_fmac_f32 v42, v41, v36 :: v_dual_fmac_f32 v100, v40, v36
	s_delay_alu instid0(VALU_DEP_1) | instskip(NEXT) | instid1(VALU_DEP_1)
	v_pk_mul_f32 v[36:37], v[42:43], v[98:99] op_sel_hi:[0,1]
	v_pk_fma_f32 v[40:41], v[100:101], v[38:39], v[36:37] op_sel_hi:[0,1,1]
	v_pk_fma_f32 v[36:37], v[100:101], v[38:39], v[36:37] neg_lo:[0,0,1] neg_hi:[0,0,1]
	v_add_nc_u32_e64 v38, 0x2800, 0
	s_delay_alu instid0(VALU_DEP_3)
	v_mov_b32_e32 v37, v41
	ds_store_2addr_b64 v38, v[36:37], v[36:37] offset0:151 offset1:214
.LBB155_403:                            ;   in Loop: Header=BB155_3 Depth=1
	s_or_b32 exec_lo, exec_lo, s13
	v_mov_b32_e32 v36, 0
	s_wait_dscnt 0x0
	s_barrier_signal -1
	s_barrier_wait -1
	s_delay_alu instid0(VALU_DEP_1)
	v_mov_b32_e32 v37, v36
	s_and_saveexec_b32 s13, s4
	s_cbranch_execz .LBB155_413
; %bb.404:                              ;   in Loop: Header=BB155_3 Depth=1
	ds_load_b64 v[36:37], v60 offset:8384
	ds_load_b64 v[38:39], v56 offset:8320
	s_wait_dscnt 0x0
	v_dual_mul_f32 v40, v39, v37 :: v_dual_mul_f32 v41, v38, v37
	s_delay_alu instid0(VALU_DEP_1) | instskip(NEXT) | instid1(VALU_DEP_1)
	v_dual_fma_f32 v37, v38, v36, -v40 :: v_dual_fmac_f32 v41, v39, v36
	v_add_f32_e32 v37, 0, v37
	s_delay_alu instid0(VALU_DEP_2)
	v_add_f32_e32 v36, 0, v41
	s_and_saveexec_b32 s56, s18
	s_cbranch_execnz .LBB155_1126
; %bb.405:                              ;   in Loop: Header=BB155_3 Depth=1
	s_or_b32 exec_lo, exec_lo, s56
	s_and_saveexec_b32 s56, s19
	s_cbranch_execnz .LBB155_1127
.LBB155_406:                            ;   in Loop: Header=BB155_3 Depth=1
	s_or_b32 exec_lo, exec_lo, s56
	s_and_saveexec_b32 s56, s20
	s_cbranch_execnz .LBB155_1128
.LBB155_407:                            ;   in Loop: Header=BB155_3 Depth=1
	s_or_b32 exec_lo, exec_lo, s56
	s_and_saveexec_b32 s56, s21
	s_cbranch_execnz .LBB155_1129
.LBB155_408:                            ;   in Loop: Header=BB155_3 Depth=1
	s_or_b32 exec_lo, exec_lo, s56
	s_and_saveexec_b32 s56, s22
	s_cbranch_execnz .LBB155_1130
.LBB155_409:                            ;   in Loop: Header=BB155_3 Depth=1
	s_or_b32 exec_lo, exec_lo, s56
	s_and_saveexec_b32 s56, s3
	s_cbranch_execnz .LBB155_1131
.LBB155_410:                            ;   in Loop: Header=BB155_3 Depth=1
	s_or_b32 exec_lo, exec_lo, s56
	s_and_saveexec_b32 s56, s17
	s_cbranch_execz .LBB155_412
.LBB155_411:                            ;   in Loop: Header=BB155_3 Depth=1
	ds_load_b64 v[38:39], v72 offset:11968
	ds_load_b64 v[40:41], v5 offset:8376
	s_wait_dscnt 0x0
	v_pk_mul_f32 v[42:43], v[40:41], v[38:39] op_sel:[0,1]
	s_delay_alu instid0(VALU_DEP_1) | instskip(SKIP_1) | instid1(VALU_DEP_2)
	v_pk_fma_f32 v[98:99], v[40:41], v[38:39], v[42:43] op_sel:[1,0,0] op_sel_hi:[0,0,1] neg_lo:[0,0,1] neg_hi:[0,0,1]
	v_pk_fma_f32 v[38:39], v[40:41], v[38:39], v[42:43] op_sel:[1,0,0] op_sel_hi:[0,1,1]
	v_mov_b32_e32 v39, v99
	s_delay_alu instid0(VALU_DEP_1)
	v_pk_add_f32 v[36:37], v[36:37], v[38:39]
.LBB155_412:                            ;   in Loop: Header=BB155_3 Depth=1
	s_or_b32 exec_lo, exec_lo, s56
	s_delay_alu instid0(VALU_DEP_1) | instskip(NEXT) | instid1(VALU_DEP_1)
	v_pk_add_f32 v[38:39], v[36:37], 0 neg_lo:[1,1] neg_hi:[1,1]
	v_dual_mov_b32 v36, v39 :: v_dual_mov_b32 v37, v38
.LBB155_413:                            ;   in Loop: Header=BB155_3 Depth=1
	s_or_b32 exec_lo, exec_lo, s13
	s_and_saveexec_b32 s13, s103
	s_cbranch_execz .LBB155_415
; %bb.414:                              ;   in Loop: Header=BB155_3 Depth=1
	ds_load_b64 v[38:39], v5 offset:12480
	v_dual_mov_b32 v40, v37 :: v_dual_mov_b32 v41, v36
	s_wait_dscnt 0x0
	s_delay_alu instid0(VALU_DEP_1) | instskip(NEXT) | instid1(VALU_DEP_1)
	v_dual_mul_f32 v42, v40, v38 :: v_dual_mul_f32 v98, v37, v39
	v_pk_fma_f32 v[40:41], v[40:41], v[38:39], v[42:43] op_sel_hi:[1,1,0]
	s_delay_alu instid0(VALU_DEP_2) | instskip(NEXT) | instid1(VALU_DEP_2)
	v_pk_fma_f32 v[36:37], v[36:37], v[38:39], v[98:99] op_sel_hi:[1,1,0] neg_lo:[0,0,1] neg_hi:[0,0,1]
	v_mov_b32_e32 v37, v41
	ds_store_b64 v59, v[36:37]
.LBB155_415:                            ;   in Loop: Header=BB155_3 Depth=1
	s_or_b32 exec_lo, exec_lo, s13
	s_wait_dscnt 0x0
	s_barrier_signal -1
	s_barrier_wait -1
	s_and_saveexec_b32 s13, s104
	s_cbranch_execz .LBB155_417
; %bb.416:                              ;   in Loop: Header=BB155_3 Depth=1
	ds_load_b64 v[38:39], v58 offset:12480
	ds_load_b64 v[40:41], v59
	s_wait_dscnt 0x0
	v_dual_mul_f32 v42, v41, v39 :: v_dual_mul_f32 v43, v40, v39
	s_delay_alu instid0(VALU_DEP_1) | instskip(NEXT) | instid1(VALU_DEP_1)
	v_dual_fma_f32 v42, v40, v38, -v42 :: v_dual_fmac_f32 v43, v41, v38
	v_pk_add_f32 v[36:37], v[36:37], v[42:43]
.LBB155_417:                            ;   in Loop: Header=BB155_3 Depth=1
	s_or_b32 exec_lo, exec_lo, s13
	s_barrier_signal -1
	s_barrier_wait -1
	s_and_saveexec_b32 s13, vcc_hi
	s_cbranch_execz .LBB155_419
; %bb.418:                              ;   in Loop: Header=BB155_3 Depth=1
	ds_load_b64 v[38:39], v5 offset:13000
	s_wait_dscnt 0x0
	v_pk_mul_f32 v[40:41], v[36:37], v[38:39] op_sel:[1,1] op_sel_hi:[1,0]
	s_delay_alu instid0(VALU_DEP_1) | instskip(SKIP_1) | instid1(VALU_DEP_2)
	v_pk_fma_f32 v[42:43], v[36:37], v[38:39], v[40:41] op_sel_hi:[0,1,1]
	v_pk_fma_f32 v[36:37], v[36:37], v[38:39], v[40:41] op_sel_hi:[0,1,1] neg_lo:[0,0,1] neg_hi:[0,0,1]
	v_mov_b32_e32 v37, v43
	ds_store_b64 v59, v[36:37]
.LBB155_419:                            ;   in Loop: Header=BB155_3 Depth=1
	s_or_b32 exec_lo, exec_lo, s13
	s_wait_dscnt 0x0
	s_barrier_signal -1
	s_barrier_wait -1
	s_and_saveexec_b32 s13, s39
	s_cbranch_execz .LBB155_421
; %bb.420:                              ;   in Loop: Header=BB155_3 Depth=1
	ds_load_b64 v[38:39], v58 offset:12992
	ds_load_b64 v[40:41], v59
	s_wait_dscnt 0x0
	v_pk_mul_f32 v[42:43], v[40:41], v[38:39] op_sel:[1,1] op_sel_hi:[0,1]
	s_delay_alu instid0(VALU_DEP_1) | instskip(SKIP_1) | instid1(VALU_DEP_2)
	v_pk_fma_f32 v[98:99], v[40:41], v[38:39], v[42:43] op_sel_hi:[1,0,1]
	v_pk_fma_f32 v[38:39], v[40:41], v[38:39], v[42:43] op_sel_hi:[1,0,1] neg_lo:[0,0,1] neg_hi:[0,0,1]
	v_mov_b32_e32 v39, v99
	s_delay_alu instid0(VALU_DEP_1)
	v_pk_add_f32 v[36:37], v[36:37], v[38:39]
.LBB155_421:                            ;   in Loop: Header=BB155_3 Depth=1
	s_or_b32 exec_lo, exec_lo, s13
	s_barrier_signal -1
	s_barrier_wait -1
	s_and_saveexec_b32 s13, s40
	s_cbranch_execz .LBB155_423
; %bb.422:                              ;   in Loop: Header=BB155_3 Depth=1
	ds_load_b64 v[38:39], v5 offset:13520
	s_wait_dscnt 0x0
	v_pk_mul_f32 v[40:41], v[36:37], v[38:39] op_sel:[1,1] op_sel_hi:[1,0]
	s_delay_alu instid0(VALU_DEP_1) | instskip(SKIP_1) | instid1(VALU_DEP_2)
	v_pk_fma_f32 v[42:43], v[36:37], v[38:39], v[40:41] op_sel_hi:[0,1,1]
	v_pk_fma_f32 v[36:37], v[36:37], v[38:39], v[40:41] op_sel_hi:[0,1,1] neg_lo:[0,0,1] neg_hi:[0,0,1]
	v_mov_b32_e32 v37, v43
	ds_store_b64 v59, v[36:37]
.LBB155_423:                            ;   in Loop: Header=BB155_3 Depth=1
	s_or_b32 exec_lo, exec_lo, s13
	s_wait_dscnt 0x0
	s_barrier_signal -1
	s_barrier_wait -1
	s_and_saveexec_b32 s13, s41
	s_cbranch_execz .LBB155_425
; %bb.424:                              ;   in Loop: Header=BB155_3 Depth=1
	ds_load_b64 v[38:39], v58 offset:13504
	ds_load_b64 v[40:41], v59
	s_wait_dscnt 0x0
	v_pk_mul_f32 v[42:43], v[40:41], v[38:39] op_sel:[1,1] op_sel_hi:[0,1]
	s_delay_alu instid0(VALU_DEP_1) | instskip(SKIP_1) | instid1(VALU_DEP_2)
	v_pk_fma_f32 v[98:99], v[40:41], v[38:39], v[42:43] op_sel_hi:[1,0,1]
	v_pk_fma_f32 v[38:39], v[40:41], v[38:39], v[42:43] op_sel_hi:[1,0,1] neg_lo:[0,0,1] neg_hi:[0,0,1]
	v_mov_b32_e32 v39, v99
	s_delay_alu instid0(VALU_DEP_1)
	v_pk_add_f32 v[36:37], v[36:37], v[38:39]
.LBB155_425:                            ;   in Loop: Header=BB155_3 Depth=1
	s_or_b32 exec_lo, exec_lo, s13
	s_barrier_signal -1
	s_barrier_wait -1
	s_and_saveexec_b32 s13, s42
	;; [unrolled: 33-line block ×3, first 2 shown]
	s_cbranch_execz .LBB155_431
; %bb.430:                              ;   in Loop: Header=BB155_3 Depth=1
	ds_load_b64 v[38:39], v5 offset:14560
	s_wait_dscnt 0x0
	v_dual_mul_f32 v40, v36, v39 :: v_dual_mul_f32 v42, v37, v39
	s_delay_alu instid0(VALU_DEP_1) | instskip(NEXT) | instid1(VALU_DEP_2)
	v_pk_fma_f32 v[40:41], v[36:37], v[38:39], v[40:41] op_sel:[0,1,0] op_sel_hi:[1,0,0]
	v_pk_fma_f32 v[38:39], v[36:37], v[38:39], v[42:43] op_sel_hi:[1,1,0] neg_lo:[0,0,1] neg_hi:[0,0,1]
	s_delay_alu instid0(VALU_DEP_2) | instskip(NEXT) | instid1(VALU_DEP_1)
	v_mov_b32_e32 v39, v41
	v_mov_b64_e32 v[36:37], v[38:39]
	ds_store_b64 v59, v[38:39]
.LBB155_431:                            ;   in Loop: Header=BB155_3 Depth=1
	s_or_b32 exec_lo, exec_lo, s13
	s_wait_dscnt 0x0
	s_barrier_signal -1
	s_barrier_wait -1
	s_and_saveexec_b32 s13, s45
	s_cbranch_execz .LBB155_433
; %bb.432:                              ;   in Loop: Header=BB155_3 Depth=1
	ds_load_b64 v[38:39], v58 offset:14528
	ds_load_b64 v[40:41], v59
	s_wait_dscnt 0x0
	v_dual_mul_f32 v42, v41, v39 :: v_dual_mul_f32 v43, v40, v39
	s_delay_alu instid0(VALU_DEP_1) | instskip(NEXT) | instid1(VALU_DEP_1)
	v_dual_fma_f32 v42, v40, v38, -v42 :: v_dual_fmac_f32 v43, v41, v38
	v_pk_add_f32 v[36:37], v[36:37], v[42:43]
.LBB155_433:                            ;   in Loop: Header=BB155_3 Depth=1
	s_or_b32 exec_lo, exec_lo, s13
	s_barrier_signal -1
	s_barrier_wait -1
	s_and_saveexec_b32 s13, s46
	s_cbranch_execz .LBB155_435
; %bb.434:                              ;   in Loop: Header=BB155_3 Depth=1
	ds_load_b64 v[38:39], v5 offset:15080
	s_wait_dscnt 0x0
	v_pk_mul_f32 v[40:41], v[36:37], v[38:39] op_sel:[1,1] op_sel_hi:[1,0]
	s_delay_alu instid0(VALU_DEP_1) | instskip(SKIP_1) | instid1(VALU_DEP_2)
	v_pk_fma_f32 v[42:43], v[36:37], v[38:39], v[40:41] op_sel_hi:[0,1,1]
	v_pk_fma_f32 v[38:39], v[36:37], v[38:39], v[40:41] neg_lo:[0,0,1] neg_hi:[0,0,1]
	v_mov_b32_e32 v39, v43
	s_delay_alu instid0(VALU_DEP_1)
	v_mov_b64_e32 v[36:37], v[38:39]
	ds_store_b64 v59, v[38:39]
.LBB155_435:                            ;   in Loop: Header=BB155_3 Depth=1
	s_or_b32 exec_lo, exec_lo, s13
	s_wait_dscnt 0x0
	s_barrier_signal -1
	s_barrier_wait -1
	s_and_saveexec_b32 s13, s47
	s_cbranch_execz .LBB155_437
; %bb.436:                              ;   in Loop: Header=BB155_3 Depth=1
	ds_load_b64 v[38:39], v58 offset:15040
	ds_load_b64 v[40:41], v59
	s_wait_dscnt 0x0
	v_pk_mul_f32 v[42:43], v[40:41], v[38:39] op_sel:[1,1] op_sel_hi:[0,1]
	s_delay_alu instid0(VALU_DEP_1) | instskip(SKIP_1) | instid1(VALU_DEP_2)
	v_pk_fma_f32 v[98:99], v[40:41], v[38:39], v[42:43] op_sel_hi:[1,0,1]
	v_pk_fma_f32 v[38:39], v[40:41], v[38:39], v[42:43] neg_lo:[0,0,1] neg_hi:[0,0,1]
	v_mov_b32_e32 v39, v99
	s_delay_alu instid0(VALU_DEP_1)
	v_pk_add_f32 v[36:37], v[36:37], v[38:39]
.LBB155_437:                            ;   in Loop: Header=BB155_3 Depth=1
	s_or_b32 exec_lo, exec_lo, s13
	s_barrier_signal -1
	s_barrier_wait -1
	s_and_saveexec_b32 s13, s48
	s_cbranch_execz .LBB155_439
; %bb.438:                              ;   in Loop: Header=BB155_3 Depth=1
	ds_load_b64 v[38:39], v5 offset:15600
	s_wait_dscnt 0x0
	v_pk_mul_f32 v[40:41], v[36:37], v[38:39] op_sel:[1,1] op_sel_hi:[1,0]
	s_delay_alu instid0(VALU_DEP_1) | instskip(SKIP_1) | instid1(VALU_DEP_2)
	v_pk_fma_f32 v[42:43], v[36:37], v[38:39], v[40:41] op_sel_hi:[0,1,1]
	v_pk_fma_f32 v[38:39], v[36:37], v[38:39], v[40:41] neg_lo:[0,0,1] neg_hi:[0,0,1]
	v_mov_b32_e32 v39, v43
	s_delay_alu instid0(VALU_DEP_1)
	v_mov_b64_e32 v[36:37], v[38:39]
	ds_store_b64 v59, v[38:39]
.LBB155_439:                            ;   in Loop: Header=BB155_3 Depth=1
	s_or_b32 exec_lo, exec_lo, s13
	s_wait_dscnt 0x0
	s_barrier_signal -1
	s_barrier_wait -1
	s_and_saveexec_b32 s13, s49
	s_cbranch_execz .LBB155_441
; %bb.440:                              ;   in Loop: Header=BB155_3 Depth=1
	ds_load_b64 v[38:39], v5 offset:15608
	ds_load_b64 v[40:41], v59
	s_wait_dscnt 0x0
	v_pk_mul_f32 v[42:43], v[40:41], v[38:39] op_sel:[1,1] op_sel_hi:[0,1]
	s_delay_alu instid0(VALU_DEP_1) | instskip(SKIP_1) | instid1(VALU_DEP_2)
	v_pk_fma_f32 v[98:99], v[40:41], v[38:39], v[42:43] op_sel_hi:[1,0,1]
	v_pk_fma_f32 v[38:39], v[40:41], v[38:39], v[42:43] neg_lo:[0,0,1] neg_hi:[0,0,1]
	v_mov_b32_e32 v39, v99
	s_delay_alu instid0(VALU_DEP_1)
	v_pk_add_f32 v[36:37], v[36:37], v[38:39]
.LBB155_441:                            ;   in Loop: Header=BB155_3 Depth=1
	s_or_b32 exec_lo, exec_lo, s13
	s_barrier_signal -1
	s_barrier_wait -1
	s_and_saveexec_b32 s13, s49
	s_cbranch_execz .LBB155_443
; %bb.442:                              ;   in Loop: Header=BB155_3 Depth=1
	ds_load_b64 v[38:39], v5 offset:16120
	s_wait_dscnt 0x0
	v_pk_mul_f32 v[40:41], v[36:37], v[38:39] op_sel:[1,1] op_sel_hi:[1,0]
	s_delay_alu instid0(VALU_DEP_1) | instskip(SKIP_1) | instid1(VALU_DEP_2)
	v_pk_fma_f32 v[42:43], v[36:37], v[38:39], v[40:41] op_sel_hi:[0,1,1]
	v_pk_fma_f32 v[38:39], v[36:37], v[38:39], v[40:41] neg_lo:[0,0,1] neg_hi:[0,0,1]
	v_mov_b32_e32 v39, v43
	s_delay_alu instid0(VALU_DEP_1)
	v_mov_b64_e32 v[36:37], v[38:39]
	ds_store_b64 v59, v[38:39]
.LBB155_443:                            ;   in Loop: Header=BB155_3 Depth=1
	s_or_b32 exec_lo, exec_lo, s13
	s_wait_dscnt 0x0
	s_barrier_signal -1
	s_barrier_wait -1
	s_barrier_signal -1
	s_barrier_wait -1
	s_and_saveexec_b32 s13, s4
; %bb.444:                              ;   in Loop: Header=BB155_3 Depth=1
	v_pk_add_f32 v[36:37], v[36:37], 0 neg_lo:[1,1] neg_hi:[1,1]
	ds_store_b64 v60, v[36:37] offset:8384
; %bb.445:                              ;   in Loop: Header=BB155_3 Depth=1
	s_or_b32 exec_lo, exec_lo, s13
	s_wait_dscnt 0x0
	s_barrier_signal -1
	s_barrier_wait -1
	s_barrier_signal -1
	s_barrier_wait -1
	s_and_saveexec_b32 s13, s50
	s_cbranch_execz .LBB155_447
; %bb.446:                              ;   in Loop: Header=BB155_3 Depth=1
	ds_load_b64 v[36:37], v73 offset:8384
	s_wait_dscnt 0x0
	ds_store_b64 v74, v[36:37] offset:12416
	ds_load_b64 v[36:37], v73 offset:8392
	s_wait_dscnt 0x0
	ds_store_b64 v74, v[36:37] offset:12928
	ds_load_b64 v[36:37], v73 offset:8400
	s_wait_dscnt 0x0
	ds_store_b64 v74, v[36:37] offset:13440
	ds_load_b64 v[36:37], v73 offset:8408
	s_wait_dscnt 0x0
	ds_store_b64 v74, v[36:37] offset:13952
	ds_load_b64 v[36:37], v73 offset:8416
	s_wait_dscnt 0x0
	ds_store_b64 v74, v[36:37] offset:14464
	ds_load_b64 v[36:37], v73 offset:8424
	s_wait_dscnt 0x0
	ds_store_b64 v74, v[36:37] offset:14976
	ds_load_b64 v[36:37], v73 offset:8432
	s_wait_dscnt 0x0
	ds_store_b64 v74, v[36:37] offset:15488
	ds_load_b64 v[36:37], v73 offset:8440
	s_wait_dscnt 0x0
	ds_store_b64 v74, v[36:37] offset:16000
.LBB155_447:                            ;   in Loop: Header=BB155_3 Depth=1
	s_or_b32 exec_lo, exec_lo, s13
	s_wait_dscnt 0x0
	s_barrier_signal -1
	s_barrier_wait -1
	s_and_saveexec_b32 s13, s14
	s_cbranch_execz .LBB155_449
; %bb.448:                              ;   in Loop: Header=BB155_3 Depth=1
	ds_load_b128 v[36:39], v5 offset:12480
	ds_load_b64 v[40:41], v5 offset:13000
	s_wait_dscnt 0x1
	v_dual_mov_b32 v98, v39 :: v_dual_mov_b32 v99, v38
	s_wait_dscnt 0x0
	v_dual_mul_f32 v43, v41, v37 :: v_dual_mul_f32 v42, v40, v37
	s_delay_alu instid0(VALU_DEP_1) | instskip(NEXT) | instid1(VALU_DEP_1)
	v_xor_b32_e32 v100, 0x80000000, v43
	v_dual_fmac_f32 v42, v41, v36 :: v_dual_fmac_f32 v100, v40, v36
	s_delay_alu instid0(VALU_DEP_1) | instskip(NEXT) | instid1(VALU_DEP_1)
	v_pk_mul_f32 v[36:37], v[42:43], v[98:99] op_sel_hi:[0,1]
	v_pk_fma_f32 v[40:41], v[100:101], v[38:39], v[36:37] op_sel_hi:[0,1,1]
	v_pk_fma_f32 v[36:37], v[100:101], v[38:39], v[36:37] neg_lo:[0,0,1] neg_hi:[0,0,1]
	v_add_nc_u32_e64 v38, 0x3000, 0
	s_delay_alu instid0(VALU_DEP_3)
	v_mov_b32_e32 v37, v41
	ds_store_2addr_b64 v38, v[36:37], v[36:37] offset0:25 offset1:88
.LBB155_449:                            ;   in Loop: Header=BB155_3 Depth=1
	s_or_b32 exec_lo, exec_lo, s13
	v_mov_b32_e32 v37, 0
	s_wait_dscnt 0x0
	s_barrier_signal -1
	s_barrier_wait -1
	s_delay_alu instid0(VALU_DEP_1)
	v_mov_b32_e32 v36, v37
	s_and_saveexec_b32 s13, s1
	s_cbranch_execz .LBB155_453
; %bb.450:                              ;   in Loop: Header=BB155_3 Depth=1
	ds_load_b64 v[36:37], v45 offset:12496
	ds_load_b64 v[38:39], v46 offset:12480
	s_wait_dscnt 0x0
	v_dual_mul_f32 v40, v39, v37 :: v_dual_mul_f32 v41, v38, v37
	s_delay_alu instid0(VALU_DEP_1) | instskip(NEXT) | instid1(VALU_DEP_1)
	v_dual_fma_f32 v40, v38, v36, -v40 :: v_dual_fmac_f32 v41, v39, v36
	v_pk_add_f32 v[36:37], v[40:41], 0 op_sel_hi:[1,0]
	s_and_saveexec_b32 s56, s15
	s_cbranch_execz .LBB155_452
; %bb.451:                              ;   in Loop: Header=BB155_3 Depth=1
	ds_load_b64 v[38:39], v74 offset:13008
	ds_load_b64 v[40:41], v5 offset:12488
	s_wait_dscnt 0x0
	v_pk_mul_f32 v[42:43], v[40:41], v[38:39] op_sel:[1,1] op_sel_hi:[0,1]
	s_delay_alu instid0(VALU_DEP_1) | instskip(SKIP_1) | instid1(VALU_DEP_2)
	v_pk_fma_f32 v[98:99], v[40:41], v[38:39], v[42:43] op_sel_hi:[1,0,1]
	v_pk_fma_f32 v[38:39], v[40:41], v[38:39], v[42:43] neg_lo:[0,0,1] neg_hi:[0,0,1]
	v_mov_b32_e32 v39, v99
	s_delay_alu instid0(VALU_DEP_1)
	v_pk_add_f32 v[36:37], v[36:37], v[38:39]
.LBB155_452:                            ;   in Loop: Header=BB155_3 Depth=1
	s_or_b32 exec_lo, exec_lo, s56
	s_delay_alu instid0(VALU_DEP_1)
	v_pk_add_f32 v[36:37], v[36:37], 0 neg_lo:[1,1] neg_hi:[1,1]
.LBB155_453:                            ;   in Loop: Header=BB155_3 Depth=1
	s_or_b32 exec_lo, exec_lo, s13
	s_and_saveexec_b32 s13, s93
	s_cbranch_execz .LBB155_455
; %bb.454:                              ;   in Loop: Header=BB155_3 Depth=1
	ds_load_b64 v[38:39], v5 offset:13520
	s_wait_dscnt 0x0
	v_pk_mul_f32 v[40:41], v[36:37], v[38:39] op_sel:[1,1] op_sel_hi:[1,0]
	s_delay_alu instid0(VALU_DEP_1) | instskip(SKIP_1) | instid1(VALU_DEP_2)
	v_pk_fma_f32 v[42:43], v[36:37], v[38:39], v[40:41] op_sel_hi:[0,1,1]
	v_pk_fma_f32 v[38:39], v[36:37], v[38:39], v[40:41] neg_lo:[0,0,1] neg_hi:[0,0,1]
	v_mov_b32_e32 v39, v43
	s_delay_alu instid0(VALU_DEP_1)
	v_mov_b64_e32 v[36:37], v[38:39]
	ds_store_b64 v3, v[38:39]
.LBB155_455:                            ;   in Loop: Header=BB155_3 Depth=1
	s_or_b32 exec_lo, exec_lo, s13
	s_wait_dscnt 0x0
	s_barrier_signal -1
	s_barrier_wait -1
	s_and_saveexec_b32 s13, s94
	s_cbranch_execz .LBB155_457
; %bb.456:                              ;   in Loop: Header=BB155_3 Depth=1
	ds_load_b64 v[38:39], v5 offset:13528
	ds_load_b64 v[40:41], v3
	s_wait_dscnt 0x0
	v_pk_mul_f32 v[42:43], v[40:41], v[38:39] op_sel:[1,1] op_sel_hi:[0,1]
	s_delay_alu instid0(VALU_DEP_1) | instskip(SKIP_1) | instid1(VALU_DEP_2)
	v_pk_fma_f32 v[98:99], v[40:41], v[38:39], v[42:43] op_sel_hi:[1,0,1]
	v_pk_fma_f32 v[38:39], v[40:41], v[38:39], v[42:43] neg_lo:[0,0,1] neg_hi:[0,0,1]
	v_mov_b32_e32 v39, v99
	s_delay_alu instid0(VALU_DEP_1)
	v_pk_add_f32 v[36:37], v[36:37], v[38:39]
.LBB155_457:                            ;   in Loop: Header=BB155_3 Depth=1
	s_or_b32 exec_lo, exec_lo, s13
	s_barrier_signal -1
	s_barrier_wait -1
	s_and_saveexec_b32 s13, s94
	s_cbranch_execz .LBB155_459
; %bb.458:                              ;   in Loop: Header=BB155_3 Depth=1
	ds_load_b64 v[38:39], v5 offset:14040
	s_wait_dscnt 0x0
	v_pk_mul_f32 v[40:41], v[36:37], v[38:39] op_sel:[1,1] op_sel_hi:[1,0]
	s_delay_alu instid0(VALU_DEP_1) | instskip(SKIP_1) | instid1(VALU_DEP_2)
	v_pk_fma_f32 v[42:43], v[36:37], v[38:39], v[40:41] op_sel_hi:[0,1,1]
	v_pk_fma_f32 v[38:39], v[36:37], v[38:39], v[40:41] neg_lo:[0,0,1] neg_hi:[0,0,1]
	v_mov_b32_e32 v39, v43
	s_delay_alu instid0(VALU_DEP_1)
	v_mov_b64_e32 v[36:37], v[38:39]
	ds_store_b64 v3, v[38:39]
.LBB155_459:                            ;   in Loop: Header=BB155_3 Depth=1
	s_or_b32 exec_lo, exec_lo, s13
	s_wait_dscnt 0x0
	s_barrier_signal -1
	s_barrier_wait -1
	s_barrier_signal -1
	s_barrier_wait -1
	s_and_saveexec_b32 s13, s1
; %bb.460:                              ;   in Loop: Header=BB155_3 Depth=1
	v_pk_add_f32 v[36:37], v[36:37], 0 neg_lo:[1,1] neg_hi:[1,1]
	ds_store_b64 v45, v[36:37] offset:12496
; %bb.461:                              ;   in Loop: Header=BB155_3 Depth=1
	s_or_b32 exec_lo, exec_lo, s13
	s_wait_dscnt 0x0
	s_barrier_signal -1
	s_barrier_wait -1
	s_barrier_signal -1
	s_barrier_wait -1
	s_and_saveexec_b32 s13, s95
	s_cbranch_execz .LBB155_463
; %bb.462:                              ;   in Loop: Header=BB155_3 Depth=1
	ds_load_b64 v[36:37], v75 offset:12496
	s_wait_dscnt 0x0
	ds_store_b64 v74, v[36:37] offset:13504
	ds_load_b64 v[36:37], v75 offset:12504
	s_wait_dscnt 0x0
	ds_store_b64 v74, v[36:37] offset:14016
.LBB155_463:                            ;   in Loop: Header=BB155_3 Depth=1
	s_or_b32 exec_lo, exec_lo, s13
	s_wait_dscnt 0x0
	s_barrier_signal -1
	s_barrier_wait -1
	s_and_saveexec_b32 s13, s14
	s_cbranch_execz .LBB155_465
; %bb.464:                              ;   in Loop: Header=BB155_3 Depth=1
	ds_load_b128 v[36:39], v5 offset:13520
	ds_load_b64 v[40:41], v5 offset:14040
	s_wait_dscnt 0x1
	v_dual_mov_b32 v98, v39 :: v_dual_mov_b32 v99, v38
	s_wait_dscnt 0x0
	v_dual_mul_f32 v43, v41, v37 :: v_dual_mul_f32 v42, v40, v37
	s_delay_alu instid0(VALU_DEP_1) | instskip(NEXT) | instid1(VALU_DEP_1)
	v_xor_b32_e32 v100, 0x80000000, v43
	v_dual_fmac_f32 v42, v41, v36 :: v_dual_fmac_f32 v100, v40, v36
	s_delay_alu instid0(VALU_DEP_1) | instskip(NEXT) | instid1(VALU_DEP_1)
	v_pk_mul_f32 v[36:37], v[42:43], v[98:99] op_sel_hi:[0,1]
	v_pk_fma_f32 v[40:41], v[100:101], v[38:39], v[36:37] op_sel_hi:[0,1,1]
	v_pk_fma_f32 v[36:37], v[100:101], v[38:39], v[36:37] neg_lo:[0,0,1] neg_hi:[0,0,1]
	v_add_nc_u32_e64 v38, 0x3000, 0
	s_delay_alu instid0(VALU_DEP_3)
	v_mov_b32_e32 v37, v41
	ds_store_2addr_b64 v38, v[36:37], v[36:37] offset0:155 offset1:218
.LBB155_465:                            ;   in Loop: Header=BB155_3 Depth=1
	s_or_b32 exec_lo, exec_lo, s13
	v_mov_b32_e32 v36, 0
	s_wait_dscnt 0x0
	s_barrier_signal -1
	s_barrier_wait -1
	s_delay_alu instid0(VALU_DEP_1)
	v_mov_b32_e32 v37, v36
	s_and_saveexec_b32 s13, s3
	s_cbranch_execz .LBB155_471
; %bb.466:                              ;   in Loop: Header=BB155_3 Depth=1
	ds_load_b64 v[36:37], v52 offset:12512
	ds_load_b64 v[38:39], v48 offset:12480
	s_wait_dscnt 0x0
	v_pk_mul_f32 v[40:41], v[38:39], v[36:37] op_sel:[0,1]
	s_delay_alu instid0(VALU_DEP_1) | instskip(SKIP_1) | instid1(VALU_DEP_2)
	v_pk_fma_f32 v[42:43], v[38:39], v[36:37], v[40:41] op_sel:[1,0,0] op_sel_hi:[0,0,1] neg_lo:[0,0,1] neg_hi:[0,0,1]
	v_pk_fma_f32 v[36:37], v[38:39], v[36:37], v[40:41] op_sel:[1,0,0] op_sel_hi:[0,1,1]
	v_mov_b32_e32 v37, v43
	s_delay_alu instid0(VALU_DEP_1)
	v_pk_add_f32 v[36:37], v[36:37], 0 op_sel_hi:[1,0]
	s_and_saveexec_b32 s56, s16
	s_cbranch_execnz .LBB155_1132
; %bb.467:                              ;   in Loop: Header=BB155_3 Depth=1
	s_or_b32 exec_lo, exec_lo, s56
	s_and_saveexec_b32 s56, s17
	s_cbranch_execnz .LBB155_1133
.LBB155_468:                            ;   in Loop: Header=BB155_3 Depth=1
	s_or_b32 exec_lo, exec_lo, s56
	s_and_saveexec_b32 s56, s1
	s_cbranch_execz .LBB155_470
.LBB155_469:                            ;   in Loop: Header=BB155_3 Depth=1
	ds_load_b64 v[38:39], v77 offset:14048
	ds_load_b64 v[40:41], v5 offset:12504
	s_wait_dscnt 0x0
	v_pk_mul_f32 v[42:43], v[40:41], v[38:39] op_sel:[0,1]
	s_delay_alu instid0(VALU_DEP_1) | instskip(SKIP_1) | instid1(VALU_DEP_2)
	v_pk_fma_f32 v[98:99], v[40:41], v[38:39], v[42:43] op_sel:[1,0,0] op_sel_hi:[0,0,1] neg_lo:[0,0,1] neg_hi:[0,0,1]
	v_pk_fma_f32 v[38:39], v[40:41], v[38:39], v[42:43] op_sel:[1,0,0] op_sel_hi:[0,1,1]
	v_mov_b32_e32 v39, v99
	s_delay_alu instid0(VALU_DEP_1)
	v_pk_add_f32 v[36:37], v[36:37], v[38:39]
.LBB155_470:                            ;   in Loop: Header=BB155_3 Depth=1
	s_or_b32 exec_lo, exec_lo, s56
	s_delay_alu instid0(VALU_DEP_1) | instskip(NEXT) | instid1(VALU_DEP_1)
	v_pk_add_f32 v[38:39], v[36:37], 0 neg_lo:[1,1] neg_hi:[1,1]
	v_dual_mov_b32 v36, v39 :: v_dual_mov_b32 v37, v38
.LBB155_471:                            ;   in Loop: Header=BB155_3 Depth=1
	s_or_b32 exec_lo, exec_lo, s13
	s_and_saveexec_b32 s13, s96
	s_cbranch_execz .LBB155_473
; %bb.472:                              ;   in Loop: Header=BB155_3 Depth=1
	ds_load_b64 v[38:39], v5 offset:14560
	v_dual_mov_b32 v40, v37 :: v_dual_mov_b32 v41, v36
	s_wait_dscnt 0x0
	s_delay_alu instid0(VALU_DEP_1) | instskip(NEXT) | instid1(VALU_DEP_1)
	v_dual_mul_f32 v42, v40, v38 :: v_dual_mul_f32 v98, v37, v39
	v_pk_fma_f32 v[40:41], v[40:41], v[38:39], v[42:43] op_sel_hi:[1,1,0]
	s_delay_alu instid0(VALU_DEP_2) | instskip(NEXT) | instid1(VALU_DEP_2)
	v_pk_fma_f32 v[36:37], v[36:37], v[38:39], v[98:99] op_sel_hi:[1,1,0] neg_lo:[0,0,1] neg_hi:[0,0,1]
	v_mov_b32_e32 v37, v41
	ds_store_b64 v51, v[36:37]
.LBB155_473:                            ;   in Loop: Header=BB155_3 Depth=1
	s_or_b32 exec_lo, exec_lo, s13
	s_wait_dscnt 0x0
	s_barrier_signal -1
	s_barrier_wait -1
	s_and_saveexec_b32 s13, s97
	s_cbranch_execz .LBB155_475
; %bb.474:                              ;   in Loop: Header=BB155_3 Depth=1
	ds_load_b64 v[38:39], v49 offset:14560
	ds_load_b64 v[40:41], v51
	s_wait_dscnt 0x0
	v_dual_mul_f32 v42, v41, v39 :: v_dual_mul_f32 v43, v40, v39
	s_delay_alu instid0(VALU_DEP_1) | instskip(NEXT) | instid1(VALU_DEP_1)
	v_dual_fma_f32 v42, v40, v38, -v42 :: v_dual_fmac_f32 v43, v41, v38
	v_pk_add_f32 v[36:37], v[36:37], v[42:43]
.LBB155_475:                            ;   in Loop: Header=BB155_3 Depth=1
	s_or_b32 exec_lo, exec_lo, s13
	s_barrier_signal -1
	s_barrier_wait -1
	s_and_saveexec_b32 s13, s98
	s_cbranch_execz .LBB155_477
; %bb.476:                              ;   in Loop: Header=BB155_3 Depth=1
	ds_load_b64 v[38:39], v5 offset:15080
	s_wait_dscnt 0x0
	v_pk_mul_f32 v[40:41], v[36:37], v[38:39] op_sel:[1,1] op_sel_hi:[1,0]
	s_delay_alu instid0(VALU_DEP_1) | instskip(SKIP_1) | instid1(VALU_DEP_2)
	v_pk_fma_f32 v[42:43], v[36:37], v[38:39], v[40:41] op_sel_hi:[0,1,1]
	v_pk_fma_f32 v[38:39], v[36:37], v[38:39], v[40:41] neg_lo:[0,0,1] neg_hi:[0,0,1]
	v_mov_b32_e32 v39, v43
	s_delay_alu instid0(VALU_DEP_1)
	v_mov_b64_e32 v[36:37], v[38:39]
	ds_store_b64 v51, v[38:39]
.LBB155_477:                            ;   in Loop: Header=BB155_3 Depth=1
	s_or_b32 exec_lo, exec_lo, s13
	s_wait_dscnt 0x0
	s_barrier_signal -1
	s_barrier_wait -1
	s_and_saveexec_b32 s13, s99
	s_cbranch_execz .LBB155_479
; %bb.478:                              ;   in Loop: Header=BB155_3 Depth=1
	ds_load_b64 v[38:39], v49 offset:15072
	ds_load_b64 v[40:41], v51
	s_wait_dscnt 0x0
	v_pk_mul_f32 v[42:43], v[40:41], v[38:39] op_sel:[1,1] op_sel_hi:[0,1]
	s_delay_alu instid0(VALU_DEP_1) | instskip(SKIP_1) | instid1(VALU_DEP_2)
	v_pk_fma_f32 v[98:99], v[40:41], v[38:39], v[42:43] op_sel_hi:[1,0,1]
	v_pk_fma_f32 v[38:39], v[40:41], v[38:39], v[42:43] neg_lo:[0,0,1] neg_hi:[0,0,1]
	v_mov_b32_e32 v39, v99
	s_delay_alu instid0(VALU_DEP_1)
	v_pk_add_f32 v[36:37], v[36:37], v[38:39]
.LBB155_479:                            ;   in Loop: Header=BB155_3 Depth=1
	s_or_b32 exec_lo, exec_lo, s13
	s_barrier_signal -1
	s_barrier_wait -1
	s_and_saveexec_b32 s13, s100
	s_cbranch_execz .LBB155_481
; %bb.480:                              ;   in Loop: Header=BB155_3 Depth=1
	ds_load_b64 v[38:39], v5 offset:15600
	s_wait_dscnt 0x0
	v_pk_mul_f32 v[40:41], v[36:37], v[38:39] op_sel:[1,1] op_sel_hi:[1,0]
	s_delay_alu instid0(VALU_DEP_1) | instskip(SKIP_1) | instid1(VALU_DEP_2)
	v_pk_fma_f32 v[42:43], v[36:37], v[38:39], v[40:41] op_sel_hi:[0,1,1]
	v_pk_fma_f32 v[38:39], v[36:37], v[38:39], v[40:41] neg_lo:[0,0,1] neg_hi:[0,0,1]
	v_mov_b32_e32 v39, v43
	s_delay_alu instid0(VALU_DEP_1)
	v_mov_b64_e32 v[36:37], v[38:39]
	ds_store_b64 v51, v[38:39]
.LBB155_481:                            ;   in Loop: Header=BB155_3 Depth=1
	s_or_b32 exec_lo, exec_lo, s13
	s_wait_dscnt 0x0
	s_barrier_signal -1
	s_barrier_wait -1
	s_and_saveexec_b32 s13, s101
	s_cbranch_execz .LBB155_483
; %bb.482:                              ;   in Loop: Header=BB155_3 Depth=1
	ds_load_b64 v[38:39], v5 offset:15608
	ds_load_b64 v[40:41], v51
	s_wait_dscnt 0x0
	v_pk_mul_f32 v[42:43], v[40:41], v[38:39] op_sel:[1,1] op_sel_hi:[0,1]
	s_delay_alu instid0(VALU_DEP_1) | instskip(SKIP_1) | instid1(VALU_DEP_2)
	v_pk_fma_f32 v[98:99], v[40:41], v[38:39], v[42:43] op_sel_hi:[1,0,1]
	v_pk_fma_f32 v[38:39], v[40:41], v[38:39], v[42:43] neg_lo:[0,0,1] neg_hi:[0,0,1]
	v_mov_b32_e32 v39, v99
	s_delay_alu instid0(VALU_DEP_1)
	v_pk_add_f32 v[36:37], v[36:37], v[38:39]
.LBB155_483:                            ;   in Loop: Header=BB155_3 Depth=1
	s_or_b32 exec_lo, exec_lo, s13
	s_barrier_signal -1
	s_barrier_wait -1
	s_and_saveexec_b32 s13, s101
	s_cbranch_execz .LBB155_485
; %bb.484:                              ;   in Loop: Header=BB155_3 Depth=1
	ds_load_b64 v[38:39], v5 offset:16120
	s_wait_dscnt 0x0
	v_pk_mul_f32 v[40:41], v[36:37], v[38:39] op_sel:[1,1] op_sel_hi:[1,0]
	s_delay_alu instid0(VALU_DEP_1) | instskip(SKIP_1) | instid1(VALU_DEP_2)
	v_pk_fma_f32 v[42:43], v[36:37], v[38:39], v[40:41] op_sel_hi:[0,1,1]
	v_pk_fma_f32 v[38:39], v[36:37], v[38:39], v[40:41] neg_lo:[0,0,1] neg_hi:[0,0,1]
	v_mov_b32_e32 v39, v43
	s_delay_alu instid0(VALU_DEP_1)
	v_mov_b64_e32 v[36:37], v[38:39]
	ds_store_b64 v51, v[38:39]
.LBB155_485:                            ;   in Loop: Header=BB155_3 Depth=1
	s_or_b32 exec_lo, exec_lo, s13
	s_wait_dscnt 0x0
	s_barrier_signal -1
	s_barrier_wait -1
	s_barrier_signal -1
	s_barrier_wait -1
	s_and_saveexec_b32 s13, s3
; %bb.486:                              ;   in Loop: Header=BB155_3 Depth=1
	v_pk_add_f32 v[36:37], v[36:37], 0 neg_lo:[1,1] neg_hi:[1,1]
	ds_store_b64 v52, v[36:37] offset:12512
; %bb.487:                              ;   in Loop: Header=BB155_3 Depth=1
	s_or_b32 exec_lo, exec_lo, s13
	s_wait_dscnt 0x0
	s_barrier_signal -1
	s_barrier_wait -1
	s_barrier_signal -1
	s_barrier_wait -1
	s_and_saveexec_b32 s13, s102
	s_cbranch_execz .LBB155_489
; %bb.488:                              ;   in Loop: Header=BB155_3 Depth=1
	ds_load_b64 v[36:37], v79 offset:12512
	s_wait_dscnt 0x0
	ds_store_b64 v81, v[36:37] offset:14528
	ds_load_b64 v[36:37], v79 offset:12520
	s_wait_dscnt 0x0
	ds_store_b64 v81, v[36:37] offset:15040
	;; [unrolled: 3-line block ×4, first 2 shown]
.LBB155_489:                            ;   in Loop: Header=BB155_3 Depth=1
	s_or_b32 exec_lo, exec_lo, s13
	s_wait_dscnt 0x0
	s_barrier_signal -1
	s_barrier_wait -1
	s_and_saveexec_b32 s13, s14
	s_cbranch_execz .LBB155_491
; %bb.490:                              ;   in Loop: Header=BB155_3 Depth=1
	ds_load_b128 v[36:39], v5 offset:14560
	ds_load_b64 v[40:41], v5 offset:15080
	s_wait_dscnt 0x1
	v_dual_mov_b32 v98, v39 :: v_dual_mov_b32 v99, v38
	s_wait_dscnt 0x0
	v_dual_mul_f32 v43, v41, v37 :: v_dual_mul_f32 v42, v40, v37
	s_delay_alu instid0(VALU_DEP_1) | instskip(NEXT) | instid1(VALU_DEP_1)
	v_xor_b32_e32 v100, 0x80000000, v43
	v_dual_fmac_f32 v42, v41, v36 :: v_dual_fmac_f32 v100, v40, v36
	s_delay_alu instid0(VALU_DEP_1) | instskip(NEXT) | instid1(VALU_DEP_1)
	v_pk_mul_f32 v[36:37], v[42:43], v[98:99] op_sel_hi:[0,1]
	v_pk_fma_f32 v[40:41], v[100:101], v[38:39], v[36:37] op_sel_hi:[0,1,1]
	v_pk_fma_f32 v[36:37], v[100:101], v[38:39], v[36:37] neg_lo:[0,0,1] neg_hi:[0,0,1]
	v_add_nc_u32_e64 v38, 0x3800, 0
	s_delay_alu instid0(VALU_DEP_3)
	v_mov_b32_e32 v37, v41
	ds_store_2addr_b64 v38, v[36:37], v[36:37] offset0:29 offset1:92
.LBB155_491:                            ;   in Loop: Header=BB155_3 Depth=1
	s_or_b32 exec_lo, exec_lo, s13
	v_mov_b32_e32 v37, 0
	s_wait_dscnt 0x0
	s_barrier_signal -1
	s_barrier_wait -1
	s_delay_alu instid0(VALU_DEP_1)
	v_mov_b32_e32 v36, v37
	s_and_saveexec_b32 s13, s1
	s_cbranch_execz .LBB155_495
; %bb.492:                              ;   in Loop: Header=BB155_3 Depth=1
	ds_load_b64 v[36:37], v45 offset:14576
	ds_load_b64 v[38:39], v46 offset:14560
	s_wait_dscnt 0x0
	v_dual_mul_f32 v40, v39, v37 :: v_dual_mul_f32 v41, v38, v37
	s_delay_alu instid0(VALU_DEP_1) | instskip(NEXT) | instid1(VALU_DEP_1)
	v_dual_fma_f32 v40, v38, v36, -v40 :: v_dual_fmac_f32 v41, v39, v36
	v_pk_add_f32 v[36:37], v[40:41], 0 op_sel_hi:[1,0]
	s_and_saveexec_b32 s56, s15
	s_cbranch_execz .LBB155_494
; %bb.493:                              ;   in Loop: Header=BB155_3 Depth=1
	ds_load_b64 v[38:39], v81 offset:15088
	ds_load_b64 v[40:41], v5 offset:14568
	s_wait_dscnt 0x0
	v_pk_mul_f32 v[42:43], v[40:41], v[38:39] op_sel:[1,1] op_sel_hi:[0,1]
	s_delay_alu instid0(VALU_DEP_1) | instskip(SKIP_1) | instid1(VALU_DEP_2)
	v_pk_fma_f32 v[98:99], v[40:41], v[38:39], v[42:43] op_sel_hi:[1,0,1]
	v_pk_fma_f32 v[38:39], v[40:41], v[38:39], v[42:43] neg_lo:[0,0,1] neg_hi:[0,0,1]
	v_mov_b32_e32 v39, v99
	s_delay_alu instid0(VALU_DEP_1)
	v_pk_add_f32 v[36:37], v[36:37], v[38:39]
.LBB155_494:                            ;   in Loop: Header=BB155_3 Depth=1
	s_or_b32 exec_lo, exec_lo, s56
	s_delay_alu instid0(VALU_DEP_1)
	v_pk_add_f32 v[36:37], v[36:37], 0 neg_lo:[1,1] neg_hi:[1,1]
.LBB155_495:                            ;   in Loop: Header=BB155_3 Depth=1
	s_or_b32 exec_lo, exec_lo, s13
	s_and_saveexec_b32 s13, s93
	s_cbranch_execz .LBB155_497
; %bb.496:                              ;   in Loop: Header=BB155_3 Depth=1
	ds_load_b64 v[38:39], v5 offset:15600
	s_wait_dscnt 0x0
	v_pk_mul_f32 v[40:41], v[36:37], v[38:39] op_sel:[1,1] op_sel_hi:[1,0]
	s_delay_alu instid0(VALU_DEP_1) | instskip(SKIP_1) | instid1(VALU_DEP_2)
	v_pk_fma_f32 v[42:43], v[36:37], v[38:39], v[40:41] op_sel_hi:[0,1,1]
	v_pk_fma_f32 v[38:39], v[36:37], v[38:39], v[40:41] neg_lo:[0,0,1] neg_hi:[0,0,1]
	v_mov_b32_e32 v39, v43
	s_delay_alu instid0(VALU_DEP_1)
	v_mov_b64_e32 v[36:37], v[38:39]
	ds_store_b64 v3, v[38:39]
.LBB155_497:                            ;   in Loop: Header=BB155_3 Depth=1
	s_or_b32 exec_lo, exec_lo, s13
	s_wait_dscnt 0x0
	s_barrier_signal -1
	s_barrier_wait -1
	s_and_saveexec_b32 s13, s94
	s_cbranch_execz .LBB155_499
; %bb.498:                              ;   in Loop: Header=BB155_3 Depth=1
	ds_load_b64 v[38:39], v5 offset:15608
	ds_load_b64 v[40:41], v3
	s_wait_dscnt 0x0
	v_pk_mul_f32 v[42:43], v[40:41], v[38:39] op_sel:[1,1] op_sel_hi:[0,1]
	s_delay_alu instid0(VALU_DEP_1) | instskip(SKIP_1) | instid1(VALU_DEP_2)
	v_pk_fma_f32 v[98:99], v[40:41], v[38:39], v[42:43] op_sel_hi:[1,0,1]
	v_pk_fma_f32 v[38:39], v[40:41], v[38:39], v[42:43] neg_lo:[0,0,1] neg_hi:[0,0,1]
	v_mov_b32_e32 v39, v99
	s_delay_alu instid0(VALU_DEP_1)
	v_pk_add_f32 v[36:37], v[36:37], v[38:39]
.LBB155_499:                            ;   in Loop: Header=BB155_3 Depth=1
	s_or_b32 exec_lo, exec_lo, s13
	s_barrier_signal -1
	s_barrier_wait -1
	s_and_saveexec_b32 s13, s94
	s_cbranch_execz .LBB155_501
; %bb.500:                              ;   in Loop: Header=BB155_3 Depth=1
	ds_load_b64 v[38:39], v5 offset:16120
	s_wait_dscnt 0x0
	v_pk_mul_f32 v[40:41], v[36:37], v[38:39] op_sel:[1,1] op_sel_hi:[1,0]
	s_delay_alu instid0(VALU_DEP_1) | instskip(SKIP_1) | instid1(VALU_DEP_2)
	v_pk_fma_f32 v[42:43], v[36:37], v[38:39], v[40:41] op_sel_hi:[0,1,1]
	v_pk_fma_f32 v[38:39], v[36:37], v[38:39], v[40:41] neg_lo:[0,0,1] neg_hi:[0,0,1]
	v_mov_b32_e32 v39, v43
	s_delay_alu instid0(VALU_DEP_1)
	v_mov_b64_e32 v[36:37], v[38:39]
	ds_store_b64 v3, v[38:39]
.LBB155_501:                            ;   in Loop: Header=BB155_3 Depth=1
	s_or_b32 exec_lo, exec_lo, s13
	s_wait_dscnt 0x0
	s_barrier_signal -1
	s_barrier_wait -1
	s_barrier_signal -1
	s_barrier_wait -1
	s_and_saveexec_b32 s13, s1
; %bb.502:                              ;   in Loop: Header=BB155_3 Depth=1
	v_pk_add_f32 v[36:37], v[36:37], 0 neg_lo:[1,1] neg_hi:[1,1]
	ds_store_b64 v45, v[36:37] offset:14576
; %bb.503:                              ;   in Loop: Header=BB155_3 Depth=1
	s_or_b32 exec_lo, exec_lo, s13
	s_wait_dscnt 0x0
	s_barrier_signal -1
	s_barrier_wait -1
	s_barrier_signal -1
	s_barrier_wait -1
	s_and_saveexec_b32 s13, s95
	s_cbranch_execz .LBB155_505
; %bb.504:                              ;   in Loop: Header=BB155_3 Depth=1
	ds_load_b64 v[36:37], v83 offset:14576
	s_wait_dscnt 0x0
	ds_store_b64 v81, v[36:37] offset:15584
	ds_load_b64 v[36:37], v83 offset:14584
	s_wait_dscnt 0x0
	ds_store_b64 v81, v[36:37] offset:16096
.LBB155_505:                            ;   in Loop: Header=BB155_3 Depth=1
	s_or_b32 exec_lo, exec_lo, s13
	s_wait_dscnt 0x0
	s_barrier_signal -1
	s_barrier_wait -1
	s_and_saveexec_b32 s13, s14
	s_cbranch_execz .LBB155_507
; %bb.506:                              ;   in Loop: Header=BB155_3 Depth=1
	ds_load_b128 v[36:39], v5 offset:15600
	ds_load_b64 v[40:41], v5 offset:16120
	s_wait_dscnt 0x1
	v_dual_mov_b32 v98, v39 :: v_dual_mov_b32 v99, v38
	s_wait_dscnt 0x0
	v_dual_mul_f32 v43, v41, v37 :: v_dual_mul_f32 v42, v40, v37
	s_delay_alu instid0(VALU_DEP_1) | instskip(NEXT) | instid1(VALU_DEP_1)
	v_xor_b32_e32 v100, 0x80000000, v43
	v_dual_fmac_f32 v42, v41, v36 :: v_dual_fmac_f32 v100, v40, v36
	s_delay_alu instid0(VALU_DEP_1) | instskip(NEXT) | instid1(VALU_DEP_1)
	v_pk_mul_f32 v[36:37], v[42:43], v[98:99] op_sel_hi:[0,1]
	v_pk_fma_f32 v[40:41], v[100:101], v[38:39], v[36:37] op_sel_hi:[0,1,1]
	v_pk_fma_f32 v[36:37], v[100:101], v[38:39], v[36:37] neg_lo:[0,0,1] neg_hi:[0,0,1]
	v_add_nc_u32_e64 v38, 0x3800, 0
	s_delay_alu instid0(VALU_DEP_3)
	v_mov_b32_e32 v37, v41
	ds_store_2addr_b64 v38, v[36:37], v[36:37] offset0:159 offset1:222
.LBB155_507:                            ;   in Loop: Header=BB155_3 Depth=1
	s_or_b32 exec_lo, exec_lo, s13
	v_mov_b64_e32 v[36:37], 0
	s_wait_dscnt 0x0
	s_barrier_signal -1
	s_barrier_wait -1
	s_and_saveexec_b32 s66, s35
	s_cbranch_execz .LBB155_569
; %bb.508:                              ;   in Loop: Header=BB155_3 Depth=1
	v_dual_add_nc_u32 v39, v87, v69 :: v_dual_add_nc_u32 v38, v69, v68
	ds_load_b64 v[36:37], v39 offset:256
	ds_load_b64 v[40:41], v38
	s_wait_dscnt 0x0
	v_pk_mul_f32 v[42:43], v[40:41], v[36:37] op_sel:[1,1] op_sel_hi:[0,1]
	s_delay_alu instid0(VALU_DEP_1) | instskip(SKIP_1) | instid1(VALU_DEP_2)
	v_pk_fma_f32 v[98:99], v[40:41], v[36:37], v[42:43] op_sel_hi:[1,0,1]
	v_pk_fma_f32 v[36:37], v[40:41], v[36:37], v[42:43] neg_lo:[0,0,1] neg_hi:[0,0,1]
	v_mov_b32_e32 v37, v99
	s_delay_alu instid0(VALU_DEP_1) | instskip(SKIP_3) | instid1(SALU_CYCLE_1)
	v_pk_add_f32 v[36:37], v[36:37], 0 op_sel_hi:[1,0]
	s_mov_b32 s13, exec_lo
	v_readlane_b32 s56, v107, 11
	s_and_b32 s56, s13, s56
	s_mov_b32 exec_lo, s56
	s_cbranch_execz .LBB155_510
; %bb.509:                              ;   in Loop: Header=BB155_3 Depth=1
	ds_load_b64 v[40:41], v39 offset:768
	ds_load_b64 v[42:43], v38 offset:8
	s_wait_dscnt 0x0
	v_pk_mul_f32 v[98:99], v[42:43], v[40:41] op_sel:[1,1] op_sel_hi:[0,1]
	s_delay_alu instid0(VALU_DEP_1) | instskip(SKIP_1) | instid1(VALU_DEP_2)
	v_pk_fma_f32 v[100:101], v[42:43], v[40:41], v[98:99] op_sel_hi:[1,0,1]
	v_pk_fma_f32 v[40:41], v[42:43], v[40:41], v[98:99] neg_lo:[0,0,1] neg_hi:[0,0,1]
	v_mov_b32_e32 v41, v101
	s_delay_alu instid0(VALU_DEP_1)
	v_pk_add_f32 v[36:37], v[36:37], v[40:41]
.LBB155_510:                            ;   in Loop: Header=BB155_3 Depth=1
	s_or_b32 exec_lo, exec_lo, s13
	s_delay_alu instid0(SALU_CYCLE_1) | instskip(SKIP_2) | instid1(SALU_CYCLE_1)
	s_mov_b32 s13, exec_lo
	v_readlane_b32 s56, v107, 12
	s_and_b32 s56, s13, s56
	s_mov_b32 exec_lo, s56
	s_cbranch_execz .LBB155_512
; %bb.511:                              ;   in Loop: Header=BB155_3 Depth=1
	ds_load_b64 v[40:41], v39 offset:1280
	ds_load_b64 v[42:43], v38 offset:16
	s_wait_dscnt 0x0
	v_pk_mul_f32 v[98:99], v[42:43], v[40:41] op_sel:[1,1] op_sel_hi:[0,1]
	s_delay_alu instid0(VALU_DEP_1) | instskip(SKIP_1) | instid1(VALU_DEP_2)
	v_pk_fma_f32 v[100:101], v[42:43], v[40:41], v[98:99] op_sel_hi:[1,0,1]
	v_pk_fma_f32 v[40:41], v[42:43], v[40:41], v[98:99] neg_lo:[0,0,1] neg_hi:[0,0,1]
	v_mov_b32_e32 v41, v101
	s_delay_alu instid0(VALU_DEP_1)
	v_pk_add_f32 v[36:37], v[36:37], v[40:41]
.LBB155_512:                            ;   in Loop: Header=BB155_3 Depth=1
	s_or_b32 exec_lo, exec_lo, s13
	s_delay_alu instid0(SALU_CYCLE_1) | instskip(SKIP_2) | instid1(SALU_CYCLE_1)
	;; [unrolled: 19-line block ×22, first 2 shown]
	s_mov_b32 s13, exec_lo
	v_readlane_b32 s56, v106, 1
	s_and_b32 s56, s13, s56
	s_mov_b32 exec_lo, s56
	s_cbranch_execz .LBB155_554
; %bb.553:                              ;   in Loop: Header=BB155_3 Depth=1
	ds_load_b64 v[40:41], v39 offset:12032
	ds_load_b64 v[42:43], v38 offset:184
	s_wait_dscnt 0x0
	v_pk_mul_f32 v[98:99], v[42:43], v[40:41] op_sel:[1,1] op_sel_hi:[0,1]
	s_delay_alu instid0(VALU_DEP_1) | instskip(SKIP_1) | instid1(VALU_DEP_2)
	v_pk_fma_f32 v[100:101], v[42:43], v[40:41], v[98:99] op_sel_hi:[1,0,1]
	v_pk_fma_f32 v[40:41], v[42:43], v[40:41], v[98:99] neg_lo:[0,0,1] neg_hi:[0,0,1]
	v_mov_b32_e32 v41, v101
	s_delay_alu instid0(VALU_DEP_1)
	v_pk_add_f32 v[36:37], v[36:37], v[40:41]
.LBB155_554:                            ;   in Loop: Header=BB155_3 Depth=1
	s_or_b32 exec_lo, exec_lo, s13
	s_and_saveexec_b32 s13, s5
	s_cbranch_execz .LBB155_556
; %bb.555:                              ;   in Loop: Header=BB155_3 Depth=1
	ds_load_b64 v[40:41], v39 offset:12544
	ds_load_b64 v[42:43], v38 offset:192
	s_wait_dscnt 0x0
	v_pk_mul_f32 v[98:99], v[42:43], v[40:41] op_sel:[1,1] op_sel_hi:[0,1]
	s_delay_alu instid0(VALU_DEP_1) | instskip(SKIP_1) | instid1(VALU_DEP_2)
	v_pk_fma_f32 v[100:101], v[42:43], v[40:41], v[98:99] op_sel_hi:[1,0,1]
	v_pk_fma_f32 v[40:41], v[42:43], v[40:41], v[98:99] neg_lo:[0,0,1] neg_hi:[0,0,1]
	v_mov_b32_e32 v41, v101
	s_delay_alu instid0(VALU_DEP_1)
	v_pk_add_f32 v[36:37], v[36:37], v[40:41]
.LBB155_556:                            ;   in Loop: Header=BB155_3 Depth=1
	s_or_b32 exec_lo, exec_lo, s13
	s_delay_alu instid0(SALU_CYCLE_1) | instskip(SKIP_2) | instid1(SALU_CYCLE_1)
	s_mov_b32 s13, exec_lo
	v_readlane_b32 s56, v108, 28
	s_and_b32 s56, s13, s56
	s_mov_b32 exec_lo, s56
	s_cbranch_execz .LBB155_558
; %bb.557:                              ;   in Loop: Header=BB155_3 Depth=1
	ds_load_b64 v[40:41], v39 offset:13056
	ds_load_b64 v[42:43], v38 offset:200
	s_wait_dscnt 0x0
	v_pk_mul_f32 v[98:99], v[42:43], v[40:41] op_sel:[1,1] op_sel_hi:[0,1]
	s_delay_alu instid0(VALU_DEP_1) | instskip(SKIP_1) | instid1(VALU_DEP_2)
	v_pk_fma_f32 v[100:101], v[42:43], v[40:41], v[98:99] op_sel_hi:[1,0,1]
	v_pk_fma_f32 v[40:41], v[42:43], v[40:41], v[98:99] neg_lo:[0,0,1] neg_hi:[0,0,1]
	v_mov_b32_e32 v41, v101
	s_delay_alu instid0(VALU_DEP_1)
	v_pk_add_f32 v[36:37], v[36:37], v[40:41]
.LBB155_558:                            ;   in Loop: Header=BB155_3 Depth=1
	s_or_b32 exec_lo, exec_lo, s13
	s_delay_alu instid0(SALU_CYCLE_1) | instskip(SKIP_2) | instid1(SALU_CYCLE_1)
	s_mov_b32 s13, exec_lo
	v_readlane_b32 s56, v108, 30
	s_and_b32 s56, s13, s56
	s_mov_b32 exec_lo, s56
	;; [unrolled: 19-line block ×5, first 2 shown]
	s_cbranch_execnz .LBB155_1134
; %bb.565:                              ;   in Loop: Header=BB155_3 Depth=1
	s_or_b32 exec_lo, exec_lo, s13
	s_and_saveexec_b32 s13, s4
	s_cbranch_execnz .LBB155_1135
.LBB155_566:                            ;   in Loop: Header=BB155_3 Depth=1
	s_or_b32 exec_lo, exec_lo, s13
	s_and_saveexec_b32 s13, s21
	s_cbranch_execz .LBB155_568
.LBB155_567:                            ;   in Loop: Header=BB155_3 Depth=1
	ds_load_b64 v[40:41], v87 offset:16128
	ds_load_b64 v[38:39], v38 offset:248
	s_wait_dscnt 0x0
	v_pk_mul_f32 v[42:43], v[38:39], v[40:41] op_sel:[1,1] op_sel_hi:[0,1]
	s_delay_alu instid0(VALU_DEP_1) | instskip(SKIP_1) | instid1(VALU_DEP_2)
	v_pk_fma_f32 v[98:99], v[38:39], v[40:41], v[42:43] op_sel_hi:[1,0,1]
	v_pk_fma_f32 v[38:39], v[38:39], v[40:41], v[42:43] neg_lo:[0,0,1] neg_hi:[0,0,1]
	v_mov_b32_e32 v39, v99
	s_delay_alu instid0(VALU_DEP_1)
	v_pk_add_f32 v[36:37], v[36:37], v[38:39]
.LBB155_568:                            ;   in Loop: Header=BB155_3 Depth=1
	s_or_b32 exec_lo, exec_lo, s13
	s_delay_alu instid0(VALU_DEP_1)
	v_pk_add_f32 v[36:37], v[36:37], 0 neg_lo:[1,1] neg_hi:[1,1]
.LBB155_569:                            ;   in Loop: Header=BB155_3 Depth=1
	s_or_b32 exec_lo, exec_lo, s66
	v_dual_mov_b32 v38, v67 :: v_dual_mov_b32 v39, v96
	s_mov_b32 s13, 0
	s_branch .LBB155_571
.LBB155_570:                            ;   in Loop: Header=BB155_571 Depth=2
	s_or_b32 exec_lo, exec_lo, s56
	v_add_nc_u32_e32 v39, 0x400, v39
	v_add_nc_u32_e32 v38, -2, v38
	s_add_co_i32 s13, s13, 2
	s_delay_alu instid0(SALU_CYCLE_1)
	s_cmp_eq_u32 s13, 32
	s_barrier_signal -1
	s_barrier_wait -1
	s_cbranch_scc1 .LBB155_579
.LBB155_571:                            ;   Parent Loop BB155_3 Depth=1
                                        ; =>  This Inner Loop Header: Depth=2
	s_delay_alu instid0(VALU_DEP_1) | instskip(SKIP_1) | instid1(SALU_CYCLE_1)
	v_cmp_eq_u32_e32 vcc_lo, 0, v38
	s_and_b32 s57, s12, vcc_lo
	s_and_saveexec_b32 s56, s57
	s_cbranch_execz .LBB155_573
; %bb.572:                              ;   in Loop: Header=BB155_571 Depth=2
	ds_load_b64 v[40:41], v88 offset:16640
	s_wait_dscnt 0x0
	v_pk_mul_f32 v[42:43], v[36:37], v[40:41] op_sel:[1,1] op_sel_hi:[1,0]
	s_delay_alu instid0(VALU_DEP_1) | instskip(SKIP_1) | instid1(VALU_DEP_2)
	v_pk_fma_f32 v[98:99], v[36:37], v[40:41], v[42:43] op_sel_hi:[0,1,1]
	v_pk_fma_f32 v[40:41], v[36:37], v[40:41], v[42:43] neg_lo:[0,0,1] neg_hi:[0,0,1]
	v_mov_b32_e32 v41, v99
	s_delay_alu instid0(VALU_DEP_1)
	v_mov_b64_e32 v[36:37], v[40:41]
	ds_store_b64 v89, v[40:41]
.LBB155_573:                            ;   in Loop: Header=BB155_571 Depth=2
	s_or_b32 exec_lo, exec_lo, s56
	v_cmp_lt_u32_e32 vcc_lo, s13, v67
	s_wait_dscnt 0x0
	s_barrier_signal -1
	s_barrier_wait -1
	s_and_b32 s57, s12, vcc_lo
	s_delay_alu instid0(SALU_CYCLE_1)
	s_and_saveexec_b32 s56, s57
	s_cbranch_execz .LBB155_575
; %bb.574:                              ;   in Loop: Header=BB155_571 Depth=2
	ds_load_b64 v[40:41], v39
	ds_load_b64 v[42:43], v89
	s_wait_dscnt 0x0
	v_pk_mul_f32 v[98:99], v[42:43], v[40:41] op_sel:[1,1] op_sel_hi:[0,1]
	s_delay_alu instid0(VALU_DEP_1) | instskip(SKIP_1) | instid1(VALU_DEP_2)
	v_pk_fma_f32 v[100:101], v[42:43], v[40:41], v[98:99] op_sel_hi:[1,0,1]
	v_pk_fma_f32 v[40:41], v[42:43], v[40:41], v[98:99] neg_lo:[0,0,1] neg_hi:[0,0,1]
	v_mov_b32_e32 v41, v101
	s_delay_alu instid0(VALU_DEP_1)
	v_pk_add_f32 v[36:37], v[36:37], v[40:41]
.LBB155_575:                            ;   in Loop: Header=BB155_571 Depth=2
	s_or_b32 exec_lo, exec_lo, s56
	s_or_b32 s56, s13, 1
	s_delay_alu instid0(SALU_CYCLE_1) | instskip(SKIP_3) | instid1(SALU_CYCLE_1)
	v_cmp_eq_u32_e32 vcc_lo, s56, v67
	s_barrier_signal -1
	s_barrier_wait -1
	s_and_b32 s66, s12, vcc_lo
	s_and_saveexec_b32 s57, s66
	s_cbranch_execz .LBB155_577
; %bb.576:                              ;   in Loop: Header=BB155_571 Depth=2
	ds_load_b64 v[40:41], v88 offset:16640
	s_wait_dscnt 0x0
	v_pk_mul_f32 v[42:43], v[36:37], v[40:41] op_sel:[1,1] op_sel_hi:[1,0]
	s_delay_alu instid0(VALU_DEP_1) | instskip(SKIP_1) | instid1(VALU_DEP_2)
	v_pk_fma_f32 v[98:99], v[36:37], v[40:41], v[42:43] op_sel_hi:[0,1,1]
	v_pk_fma_f32 v[40:41], v[36:37], v[40:41], v[42:43] neg_lo:[0,0,1] neg_hi:[0,0,1]
	v_mov_b32_e32 v41, v99
	s_delay_alu instid0(VALU_DEP_1)
	v_mov_b64_e32 v[36:37], v[40:41]
	ds_store_b64 v89, v[40:41]
.LBB155_577:                            ;   in Loop: Header=BB155_571 Depth=2
	s_or_b32 exec_lo, exec_lo, s57
	v_cmp_lt_u32_e32 vcc_lo, s56, v67
	s_wait_dscnt 0x0
	s_barrier_signal -1
	s_barrier_wait -1
	s_and_b32 s57, s12, vcc_lo
	s_delay_alu instid0(SALU_CYCLE_1)
	s_and_saveexec_b32 s56, s57
	s_cbranch_execz .LBB155_570
; %bb.578:                              ;   in Loop: Header=BB155_571 Depth=2
	ds_load_b64 v[40:41], v39 offset:512
	ds_load_b64 v[42:43], v89
	s_wait_dscnt 0x0
	v_pk_mul_f32 v[98:99], v[42:43], v[40:41] op_sel:[1,1] op_sel_hi:[0,1]
	s_delay_alu instid0(VALU_DEP_1) | instskip(SKIP_1) | instid1(VALU_DEP_2)
	v_pk_fma_f32 v[100:101], v[42:43], v[40:41], v[98:99] op_sel_hi:[1,0,1]
	v_pk_fma_f32 v[40:41], v[42:43], v[40:41], v[98:99] neg_lo:[0,0,1] neg_hi:[0,0,1]
	v_mov_b32_e32 v41, v101
	s_delay_alu instid0(VALU_DEP_1)
	v_pk_add_f32 v[36:37], v[36:37], v[40:41]
	s_branch .LBB155_570
.LBB155_579:                            ;   in Loop: Header=BB155_3 Depth=1
	s_and_saveexec_b32 s13, s35
; %bb.580:                              ;   in Loop: Header=BB155_3 Depth=1
	v_pk_add_f32 v[36:37], v[36:37], 0 neg_lo:[1,1] neg_hi:[1,1]
	ds_store_b64 v90, v[36:37] offset:256
; %bb.581:                              ;   in Loop: Header=BB155_3 Depth=1
	s_or_b32 exec_lo, exec_lo, s13
	s_wait_dscnt 0x0
	s_barrier_signal -1
	s_barrier_wait -1
	s_barrier_signal -1
	s_barrier_wait -1
	s_mov_b32 s13, exec_lo
	v_readlane_b32 s56, v108, 10
	s_and_b32 s56, s13, s56
	s_delay_alu instid0(SALU_CYCLE_1)
	s_mov_b32 exec_lo, s56
	s_cbranch_execz .LBB155_583
; %bb.582:                              ;   in Loop: Header=BB155_3 Depth=1
	ds_load_b64 v[36:37], v83 offset:256
	v_add_nc_u32_e32 v38, v83, v54
	s_wait_dscnt 0x0
	ds_store_b64 v38, v[36:37] offset:16384
	ds_load_b64 v[36:37], v83 offset:264
	s_wait_dscnt 0x0
	ds_store_b64 v38, v[36:37] offset:16896
	ds_load_b64 v[36:37], v83 offset:272
	;; [unrolled: 3-line block ×31, first 2 shown]
	s_wait_dscnt 0x0
	ds_store_b64 v38, v[36:37] offset:32256
.LBB155_583:                            ;   in Loop: Header=BB155_3 Depth=1
	s_or_b32 exec_lo, exec_lo, s13
	s_wait_dscnt 0x0
	s_barrier_signal -1
	s_barrier_wait -1
	s_and_saveexec_b32 s13, s14
	s_cbranch_execz .LBB155_585
; %bb.584:                              ;   in Loop: Header=BB155_3 Depth=1
	ds_load_b128 v[36:39], v5 offset:16640
	ds_load_b64 v[40:41], v5 offset:17160
	s_wait_dscnt 0x1
	v_dual_mov_b32 v98, v39 :: v_dual_mov_b32 v99, v38
	s_wait_dscnt 0x0
	v_dual_mul_f32 v43, v41, v37 :: v_dual_mul_f32 v42, v40, v37
	s_delay_alu instid0(VALU_DEP_1) | instskip(NEXT) | instid1(VALU_DEP_1)
	v_xor_b32_e32 v100, 0x80000000, v43
	v_dual_fmac_f32 v42, v41, v36 :: v_dual_fmac_f32 v100, v40, v36
	s_delay_alu instid0(VALU_DEP_1) | instskip(NEXT) | instid1(VALU_DEP_1)
	v_pk_mul_f32 v[36:37], v[42:43], v[98:99] op_sel_hi:[0,1]
	v_pk_fma_f32 v[40:41], v[100:101], v[38:39], v[36:37] op_sel_hi:[0,1,1]
	v_pk_fma_f32 v[36:37], v[100:101], v[38:39], v[36:37] neg_lo:[0,0,1] neg_hi:[0,0,1]
	v_add_nc_u32_e64 v38, 0x4000, 0
	s_delay_alu instid0(VALU_DEP_3)
	v_mov_b32_e32 v37, v41
	ds_store_2addr_b64 v38, v[36:37], v[36:37] offset0:33 offset1:96
.LBB155_585:                            ;   in Loop: Header=BB155_3 Depth=1
	s_or_b32 exec_lo, exec_lo, s13
	v_mov_b32_e32 v37, 0
	s_wait_dscnt 0x0
	s_barrier_signal -1
	s_barrier_wait -1
	s_delay_alu instid0(VALU_DEP_1)
	v_mov_b32_e32 v36, v37
	s_and_saveexec_b32 s13, s1
	s_cbranch_execz .LBB155_589
; %bb.586:                              ;   in Loop: Header=BB155_3 Depth=1
	ds_load_b64 v[36:37], v45 offset:16656
	ds_load_b64 v[38:39], v46 offset:16640
	s_wait_dscnt 0x0
	v_dual_mul_f32 v40, v39, v37 :: v_dual_mul_f32 v41, v38, v37
	s_delay_alu instid0(VALU_DEP_1) | instskip(NEXT) | instid1(VALU_DEP_1)
	v_dual_fma_f32 v40, v38, v36, -v40 :: v_dual_fmac_f32 v41, v39, v36
	v_pk_add_f32 v[36:37], v[40:41], 0 op_sel_hi:[1,0]
	s_and_saveexec_b32 s56, s15
	s_cbranch_execz .LBB155_588
; %bb.587:                              ;   in Loop: Header=BB155_3 Depth=1
	ds_load_b64 v[38:39], v47 offset:17168
	ds_load_b64 v[40:41], v5 offset:16648
	s_wait_dscnt 0x0
	v_pk_mul_f32 v[42:43], v[40:41], v[38:39] op_sel:[1,1] op_sel_hi:[0,1]
	s_delay_alu instid0(VALU_DEP_1) | instskip(SKIP_1) | instid1(VALU_DEP_2)
	v_pk_fma_f32 v[98:99], v[40:41], v[38:39], v[42:43] op_sel_hi:[1,0,1]
	v_pk_fma_f32 v[38:39], v[40:41], v[38:39], v[42:43] neg_lo:[0,0,1] neg_hi:[0,0,1]
	v_mov_b32_e32 v39, v99
	s_delay_alu instid0(VALU_DEP_1)
	v_pk_add_f32 v[36:37], v[36:37], v[38:39]
.LBB155_588:                            ;   in Loop: Header=BB155_3 Depth=1
	s_or_b32 exec_lo, exec_lo, s56
	s_delay_alu instid0(VALU_DEP_1)
	v_pk_add_f32 v[36:37], v[36:37], 0 neg_lo:[1,1] neg_hi:[1,1]
.LBB155_589:                            ;   in Loop: Header=BB155_3 Depth=1
	s_or_b32 exec_lo, exec_lo, s13
	s_and_saveexec_b32 s13, s93
	s_cbranch_execz .LBB155_591
; %bb.590:                              ;   in Loop: Header=BB155_3 Depth=1
	ds_load_b64 v[38:39], v5 offset:17680
	s_wait_dscnt 0x0
	v_pk_mul_f32 v[40:41], v[36:37], v[38:39] op_sel:[1,1] op_sel_hi:[1,0]
	s_delay_alu instid0(VALU_DEP_1) | instskip(SKIP_1) | instid1(VALU_DEP_2)
	v_pk_fma_f32 v[42:43], v[36:37], v[38:39], v[40:41] op_sel_hi:[0,1,1]
	v_pk_fma_f32 v[38:39], v[36:37], v[38:39], v[40:41] neg_lo:[0,0,1] neg_hi:[0,0,1]
	v_mov_b32_e32 v39, v43
	s_delay_alu instid0(VALU_DEP_1)
	v_mov_b64_e32 v[36:37], v[38:39]
	ds_store_b64 v3, v[38:39]
.LBB155_591:                            ;   in Loop: Header=BB155_3 Depth=1
	s_or_b32 exec_lo, exec_lo, s13
	s_wait_dscnt 0x0
	s_barrier_signal -1
	s_barrier_wait -1
	s_and_saveexec_b32 s13, s94
	s_cbranch_execz .LBB155_593
; %bb.592:                              ;   in Loop: Header=BB155_3 Depth=1
	ds_load_b64 v[38:39], v5 offset:17688
	ds_load_b64 v[40:41], v3
	s_wait_dscnt 0x0
	v_pk_mul_f32 v[42:43], v[40:41], v[38:39] op_sel:[1,1] op_sel_hi:[0,1]
	s_delay_alu instid0(VALU_DEP_1) | instskip(SKIP_1) | instid1(VALU_DEP_2)
	v_pk_fma_f32 v[98:99], v[40:41], v[38:39], v[42:43] op_sel_hi:[1,0,1]
	v_pk_fma_f32 v[38:39], v[40:41], v[38:39], v[42:43] neg_lo:[0,0,1] neg_hi:[0,0,1]
	v_mov_b32_e32 v39, v99
	s_delay_alu instid0(VALU_DEP_1)
	v_pk_add_f32 v[36:37], v[36:37], v[38:39]
.LBB155_593:                            ;   in Loop: Header=BB155_3 Depth=1
	s_or_b32 exec_lo, exec_lo, s13
	s_barrier_signal -1
	s_barrier_wait -1
	s_and_saveexec_b32 s13, s94
	s_cbranch_execz .LBB155_595
; %bb.594:                              ;   in Loop: Header=BB155_3 Depth=1
	ds_load_b64 v[38:39], v5 offset:18200
	s_wait_dscnt 0x0
	v_pk_mul_f32 v[40:41], v[36:37], v[38:39] op_sel:[1,1] op_sel_hi:[1,0]
	s_delay_alu instid0(VALU_DEP_1) | instskip(SKIP_1) | instid1(VALU_DEP_2)
	v_pk_fma_f32 v[42:43], v[36:37], v[38:39], v[40:41] op_sel_hi:[0,1,1]
	v_pk_fma_f32 v[38:39], v[36:37], v[38:39], v[40:41] neg_lo:[0,0,1] neg_hi:[0,0,1]
	v_mov_b32_e32 v39, v43
	s_delay_alu instid0(VALU_DEP_1)
	v_mov_b64_e32 v[36:37], v[38:39]
	ds_store_b64 v3, v[38:39]
.LBB155_595:                            ;   in Loop: Header=BB155_3 Depth=1
	s_or_b32 exec_lo, exec_lo, s13
	s_wait_dscnt 0x0
	s_barrier_signal -1
	s_barrier_wait -1
	s_barrier_signal -1
	s_barrier_wait -1
	s_and_saveexec_b32 s13, s1
; %bb.596:                              ;   in Loop: Header=BB155_3 Depth=1
	v_pk_add_f32 v[36:37], v[36:37], 0 neg_lo:[1,1] neg_hi:[1,1]
	ds_store_b64 v45, v[36:37] offset:16656
; %bb.597:                              ;   in Loop: Header=BB155_3 Depth=1
	s_or_b32 exec_lo, exec_lo, s13
	s_wait_dscnt 0x0
	s_barrier_signal -1
	s_barrier_wait -1
	s_barrier_signal -1
	s_barrier_wait -1
	s_and_saveexec_b32 s13, s95
	s_cbranch_execz .LBB155_599
; %bb.598:                              ;   in Loop: Header=BB155_3 Depth=1
	ds_load_b64 v[36:37], v50 offset:16656
	s_wait_dscnt 0x0
	ds_store_b64 v47, v[36:37] offset:17664
	ds_load_b64 v[36:37], v50 offset:16664
	s_wait_dscnt 0x0
	ds_store_b64 v47, v[36:37] offset:18176
.LBB155_599:                            ;   in Loop: Header=BB155_3 Depth=1
	s_or_b32 exec_lo, exec_lo, s13
	s_wait_dscnt 0x0
	s_barrier_signal -1
	s_barrier_wait -1
	s_and_saveexec_b32 s13, s14
	s_cbranch_execz .LBB155_601
; %bb.600:                              ;   in Loop: Header=BB155_3 Depth=1
	ds_load_b128 v[36:39], v5 offset:17680
	ds_load_b64 v[40:41], v5 offset:18200
	s_wait_dscnt 0x1
	v_dual_mov_b32 v98, v39 :: v_dual_mov_b32 v99, v38
	s_wait_dscnt 0x0
	v_dual_mul_f32 v43, v41, v37 :: v_dual_mul_f32 v42, v40, v37
	s_delay_alu instid0(VALU_DEP_1) | instskip(NEXT) | instid1(VALU_DEP_1)
	v_xor_b32_e32 v100, 0x80000000, v43
	v_dual_fmac_f32 v42, v41, v36 :: v_dual_fmac_f32 v100, v40, v36
	s_delay_alu instid0(VALU_DEP_1) | instskip(NEXT) | instid1(VALU_DEP_1)
	v_pk_mul_f32 v[36:37], v[42:43], v[98:99] op_sel_hi:[0,1]
	v_pk_fma_f32 v[40:41], v[100:101], v[38:39], v[36:37] op_sel_hi:[0,1,1]
	v_pk_fma_f32 v[36:37], v[100:101], v[38:39], v[36:37] neg_lo:[0,0,1] neg_hi:[0,0,1]
	v_add_nc_u32_e64 v38, 0x4000, 0
	s_delay_alu instid0(VALU_DEP_3)
	v_mov_b32_e32 v37, v41
	ds_store_2addr_b64 v38, v[36:37], v[36:37] offset0:163 offset1:226
.LBB155_601:                            ;   in Loop: Header=BB155_3 Depth=1
	s_or_b32 exec_lo, exec_lo, s13
	v_mov_b32_e32 v36, 0
	s_wait_dscnt 0x0
	s_barrier_signal -1
	s_barrier_wait -1
	s_delay_alu instid0(VALU_DEP_1)
	v_mov_b32_e32 v37, v36
	s_and_saveexec_b32 s13, s3
	s_cbranch_execz .LBB155_607
; %bb.602:                              ;   in Loop: Header=BB155_3 Depth=1
	ds_load_b64 v[36:37], v52 offset:16672
	ds_load_b64 v[38:39], v48 offset:16640
	s_wait_dscnt 0x0
	v_pk_mul_f32 v[40:41], v[38:39], v[36:37] op_sel:[0,1]
	s_delay_alu instid0(VALU_DEP_1) | instskip(SKIP_1) | instid1(VALU_DEP_2)
	v_pk_fma_f32 v[42:43], v[38:39], v[36:37], v[40:41] op_sel:[1,0,0] op_sel_hi:[0,0,1] neg_lo:[0,0,1] neg_hi:[0,0,1]
	v_pk_fma_f32 v[36:37], v[38:39], v[36:37], v[40:41] op_sel:[1,0,0] op_sel_hi:[0,1,1]
	v_mov_b32_e32 v37, v43
	s_delay_alu instid0(VALU_DEP_1)
	v_pk_add_f32 v[36:37], v[36:37], 0 op_sel_hi:[1,0]
	s_and_saveexec_b32 s56, s16
	s_cbranch_execnz .LBB155_1136
; %bb.603:                              ;   in Loop: Header=BB155_3 Depth=1
	s_or_b32 exec_lo, exec_lo, s56
	s_and_saveexec_b32 s56, s17
	s_cbranch_execnz .LBB155_1137
.LBB155_604:                            ;   in Loop: Header=BB155_3 Depth=1
	s_or_b32 exec_lo, exec_lo, s56
	s_and_saveexec_b32 s56, s1
	s_cbranch_execz .LBB155_606
.LBB155_605:                            ;   in Loop: Header=BB155_3 Depth=1
	ds_load_b64 v[38:39], v55 offset:18208
	ds_load_b64 v[40:41], v5 offset:16664
	s_wait_dscnt 0x0
	v_pk_mul_f32 v[42:43], v[40:41], v[38:39] op_sel:[0,1]
	s_delay_alu instid0(VALU_DEP_1) | instskip(SKIP_1) | instid1(VALU_DEP_2)
	v_pk_fma_f32 v[98:99], v[40:41], v[38:39], v[42:43] op_sel:[1,0,0] op_sel_hi:[0,0,1] neg_lo:[0,0,1] neg_hi:[0,0,1]
	v_pk_fma_f32 v[38:39], v[40:41], v[38:39], v[42:43] op_sel:[1,0,0] op_sel_hi:[0,1,1]
	v_mov_b32_e32 v39, v99
	s_delay_alu instid0(VALU_DEP_1)
	v_pk_add_f32 v[36:37], v[36:37], v[38:39]
.LBB155_606:                            ;   in Loop: Header=BB155_3 Depth=1
	s_or_b32 exec_lo, exec_lo, s56
	s_delay_alu instid0(VALU_DEP_1) | instskip(NEXT) | instid1(VALU_DEP_1)
	v_pk_add_f32 v[38:39], v[36:37], 0 neg_lo:[1,1] neg_hi:[1,1]
	v_dual_mov_b32 v36, v39 :: v_dual_mov_b32 v37, v38
.LBB155_607:                            ;   in Loop: Header=BB155_3 Depth=1
	s_or_b32 exec_lo, exec_lo, s13
	s_and_saveexec_b32 s13, s96
	s_cbranch_execz .LBB155_609
; %bb.608:                              ;   in Loop: Header=BB155_3 Depth=1
	ds_load_b64 v[38:39], v5 offset:18720
	v_dual_mov_b32 v40, v37 :: v_dual_mov_b32 v41, v36
	s_wait_dscnt 0x0
	s_delay_alu instid0(VALU_DEP_1) | instskip(NEXT) | instid1(VALU_DEP_1)
	v_dual_mul_f32 v42, v40, v38 :: v_dual_mul_f32 v98, v37, v39
	v_pk_fma_f32 v[40:41], v[40:41], v[38:39], v[42:43] op_sel_hi:[1,1,0]
	s_delay_alu instid0(VALU_DEP_2) | instskip(NEXT) | instid1(VALU_DEP_2)
	v_pk_fma_f32 v[36:37], v[36:37], v[38:39], v[98:99] op_sel_hi:[1,1,0] neg_lo:[0,0,1] neg_hi:[0,0,1]
	v_mov_b32_e32 v37, v41
	ds_store_b64 v51, v[36:37]
.LBB155_609:                            ;   in Loop: Header=BB155_3 Depth=1
	s_or_b32 exec_lo, exec_lo, s13
	s_wait_dscnt 0x0
	s_barrier_signal -1
	s_barrier_wait -1
	s_and_saveexec_b32 s13, s97
	s_cbranch_execz .LBB155_611
; %bb.610:                              ;   in Loop: Header=BB155_3 Depth=1
	ds_load_b64 v[38:39], v49 offset:18720
	ds_load_b64 v[40:41], v51
	s_wait_dscnt 0x0
	v_dual_mul_f32 v42, v41, v39 :: v_dual_mul_f32 v43, v40, v39
	s_delay_alu instid0(VALU_DEP_1) | instskip(NEXT) | instid1(VALU_DEP_1)
	v_dual_fma_f32 v42, v40, v38, -v42 :: v_dual_fmac_f32 v43, v41, v38
	v_pk_add_f32 v[36:37], v[36:37], v[42:43]
.LBB155_611:                            ;   in Loop: Header=BB155_3 Depth=1
	s_or_b32 exec_lo, exec_lo, s13
	s_barrier_signal -1
	s_barrier_wait -1
	s_and_saveexec_b32 s13, s98
	s_cbranch_execz .LBB155_613
; %bb.612:                              ;   in Loop: Header=BB155_3 Depth=1
	ds_load_b64 v[38:39], v5 offset:19240
	s_wait_dscnt 0x0
	v_pk_mul_f32 v[40:41], v[36:37], v[38:39] op_sel:[1,1] op_sel_hi:[1,0]
	s_delay_alu instid0(VALU_DEP_1) | instskip(SKIP_1) | instid1(VALU_DEP_2)
	v_pk_fma_f32 v[42:43], v[36:37], v[38:39], v[40:41] op_sel_hi:[0,1,1]
	v_pk_fma_f32 v[38:39], v[36:37], v[38:39], v[40:41] neg_lo:[0,0,1] neg_hi:[0,0,1]
	v_mov_b32_e32 v39, v43
	s_delay_alu instid0(VALU_DEP_1)
	v_mov_b64_e32 v[36:37], v[38:39]
	ds_store_b64 v51, v[38:39]
.LBB155_613:                            ;   in Loop: Header=BB155_3 Depth=1
	s_or_b32 exec_lo, exec_lo, s13
	s_wait_dscnt 0x0
	s_barrier_signal -1
	s_barrier_wait -1
	s_and_saveexec_b32 s13, s99
	s_cbranch_execz .LBB155_615
; %bb.614:                              ;   in Loop: Header=BB155_3 Depth=1
	ds_load_b64 v[38:39], v49 offset:19232
	ds_load_b64 v[40:41], v51
	s_wait_dscnt 0x0
	v_pk_mul_f32 v[42:43], v[40:41], v[38:39] op_sel:[1,1] op_sel_hi:[0,1]
	s_delay_alu instid0(VALU_DEP_1) | instskip(SKIP_1) | instid1(VALU_DEP_2)
	v_pk_fma_f32 v[98:99], v[40:41], v[38:39], v[42:43] op_sel_hi:[1,0,1]
	v_pk_fma_f32 v[38:39], v[40:41], v[38:39], v[42:43] neg_lo:[0,0,1] neg_hi:[0,0,1]
	v_mov_b32_e32 v39, v99
	s_delay_alu instid0(VALU_DEP_1)
	v_pk_add_f32 v[36:37], v[36:37], v[38:39]
.LBB155_615:                            ;   in Loop: Header=BB155_3 Depth=1
	s_or_b32 exec_lo, exec_lo, s13
	s_barrier_signal -1
	s_barrier_wait -1
	s_and_saveexec_b32 s13, s100
	s_cbranch_execz .LBB155_617
; %bb.616:                              ;   in Loop: Header=BB155_3 Depth=1
	ds_load_b64 v[38:39], v5 offset:19760
	s_wait_dscnt 0x0
	v_pk_mul_f32 v[40:41], v[36:37], v[38:39] op_sel:[1,1] op_sel_hi:[1,0]
	s_delay_alu instid0(VALU_DEP_1) | instskip(SKIP_1) | instid1(VALU_DEP_2)
	v_pk_fma_f32 v[42:43], v[36:37], v[38:39], v[40:41] op_sel_hi:[0,1,1]
	v_pk_fma_f32 v[38:39], v[36:37], v[38:39], v[40:41] neg_lo:[0,0,1] neg_hi:[0,0,1]
	v_mov_b32_e32 v39, v43
	s_delay_alu instid0(VALU_DEP_1)
	v_mov_b64_e32 v[36:37], v[38:39]
	ds_store_b64 v51, v[38:39]
.LBB155_617:                            ;   in Loop: Header=BB155_3 Depth=1
	s_or_b32 exec_lo, exec_lo, s13
	s_wait_dscnt 0x0
	s_barrier_signal -1
	s_barrier_wait -1
	s_and_saveexec_b32 s13, s101
	s_cbranch_execz .LBB155_619
; %bb.618:                              ;   in Loop: Header=BB155_3 Depth=1
	ds_load_b64 v[38:39], v5 offset:19768
	ds_load_b64 v[40:41], v51
	s_wait_dscnt 0x0
	v_pk_mul_f32 v[42:43], v[40:41], v[38:39] op_sel:[1,1] op_sel_hi:[0,1]
	s_delay_alu instid0(VALU_DEP_1) | instskip(SKIP_1) | instid1(VALU_DEP_2)
	v_pk_fma_f32 v[98:99], v[40:41], v[38:39], v[42:43] op_sel_hi:[1,0,1]
	v_pk_fma_f32 v[38:39], v[40:41], v[38:39], v[42:43] neg_lo:[0,0,1] neg_hi:[0,0,1]
	v_mov_b32_e32 v39, v99
	s_delay_alu instid0(VALU_DEP_1)
	v_pk_add_f32 v[36:37], v[36:37], v[38:39]
.LBB155_619:                            ;   in Loop: Header=BB155_3 Depth=1
	s_or_b32 exec_lo, exec_lo, s13
	s_barrier_signal -1
	s_barrier_wait -1
	s_and_saveexec_b32 s13, s101
	s_cbranch_execz .LBB155_621
; %bb.620:                              ;   in Loop: Header=BB155_3 Depth=1
	ds_load_b64 v[38:39], v5 offset:20280
	s_wait_dscnt 0x0
	v_pk_mul_f32 v[40:41], v[36:37], v[38:39] op_sel:[1,1] op_sel_hi:[1,0]
	s_delay_alu instid0(VALU_DEP_1) | instskip(SKIP_1) | instid1(VALU_DEP_2)
	v_pk_fma_f32 v[42:43], v[36:37], v[38:39], v[40:41] op_sel_hi:[0,1,1]
	v_pk_fma_f32 v[38:39], v[36:37], v[38:39], v[40:41] neg_lo:[0,0,1] neg_hi:[0,0,1]
	v_mov_b32_e32 v39, v43
	s_delay_alu instid0(VALU_DEP_1)
	v_mov_b64_e32 v[36:37], v[38:39]
	ds_store_b64 v51, v[38:39]
.LBB155_621:                            ;   in Loop: Header=BB155_3 Depth=1
	s_or_b32 exec_lo, exec_lo, s13
	s_wait_dscnt 0x0
	s_barrier_signal -1
	s_barrier_wait -1
	s_barrier_signal -1
	s_barrier_wait -1
	s_and_saveexec_b32 s13, s3
; %bb.622:                              ;   in Loop: Header=BB155_3 Depth=1
	v_pk_add_f32 v[36:37], v[36:37], 0 neg_lo:[1,1] neg_hi:[1,1]
	ds_store_b64 v52, v[36:37] offset:16672
; %bb.623:                              ;   in Loop: Header=BB155_3 Depth=1
	s_or_b32 exec_lo, exec_lo, s13
	s_wait_dscnt 0x0
	s_barrier_signal -1
	s_barrier_wait -1
	s_barrier_signal -1
	s_barrier_wait -1
	s_and_saveexec_b32 s13, s102
	s_cbranch_execz .LBB155_625
; %bb.624:                              ;   in Loop: Header=BB155_3 Depth=1
	ds_load_b64 v[36:37], v57 offset:16672
	s_wait_dscnt 0x0
	ds_store_b64 v70, v[36:37] offset:18688
	ds_load_b64 v[36:37], v57 offset:16680
	s_wait_dscnt 0x0
	ds_store_b64 v70, v[36:37] offset:19200
	ds_load_b64 v[36:37], v57 offset:16688
	s_wait_dscnt 0x0
	ds_store_b64 v70, v[36:37] offset:19712
	ds_load_b64 v[36:37], v57 offset:16696
	s_wait_dscnt 0x0
	ds_store_b64 v70, v[36:37] offset:20224
.LBB155_625:                            ;   in Loop: Header=BB155_3 Depth=1
	s_or_b32 exec_lo, exec_lo, s13
	s_wait_dscnt 0x0
	s_barrier_signal -1
	s_barrier_wait -1
	s_and_saveexec_b32 s13, s14
	s_cbranch_execz .LBB155_627
; %bb.626:                              ;   in Loop: Header=BB155_3 Depth=1
	ds_load_b128 v[36:39], v5 offset:18720
	ds_load_b64 v[40:41], v5 offset:19240
	s_wait_dscnt 0x1
	v_dual_mov_b32 v98, v39 :: v_dual_mov_b32 v99, v38
	s_wait_dscnt 0x0
	v_dual_mul_f32 v43, v41, v37 :: v_dual_mul_f32 v42, v40, v37
	s_delay_alu instid0(VALU_DEP_1) | instskip(NEXT) | instid1(VALU_DEP_1)
	v_xor_b32_e32 v100, 0x80000000, v43
	v_dual_fmac_f32 v42, v41, v36 :: v_dual_fmac_f32 v100, v40, v36
	s_delay_alu instid0(VALU_DEP_1) | instskip(NEXT) | instid1(VALU_DEP_1)
	v_pk_mul_f32 v[36:37], v[42:43], v[98:99] op_sel_hi:[0,1]
	v_pk_fma_f32 v[40:41], v[100:101], v[38:39], v[36:37] op_sel_hi:[0,1,1]
	v_pk_fma_f32 v[36:37], v[100:101], v[38:39], v[36:37] neg_lo:[0,0,1] neg_hi:[0,0,1]
	v_add_nc_u32_e64 v38, 0x4800, 0
	s_delay_alu instid0(VALU_DEP_3)
	v_mov_b32_e32 v37, v41
	ds_store_2addr_b64 v38, v[36:37], v[36:37] offset0:37 offset1:100
.LBB155_627:                            ;   in Loop: Header=BB155_3 Depth=1
	s_or_b32 exec_lo, exec_lo, s13
	v_mov_b32_e32 v37, 0
	s_wait_dscnt 0x0
	s_barrier_signal -1
	s_barrier_wait -1
	s_delay_alu instid0(VALU_DEP_1)
	v_mov_b32_e32 v36, v37
	s_and_saveexec_b32 s13, s1
	s_cbranch_execz .LBB155_631
; %bb.628:                              ;   in Loop: Header=BB155_3 Depth=1
	ds_load_b64 v[36:37], v45 offset:18736
	ds_load_b64 v[38:39], v46 offset:18720
	s_wait_dscnt 0x0
	v_dual_mul_f32 v40, v39, v37 :: v_dual_mul_f32 v41, v38, v37
	s_delay_alu instid0(VALU_DEP_1) | instskip(NEXT) | instid1(VALU_DEP_1)
	v_dual_fma_f32 v40, v38, v36, -v40 :: v_dual_fmac_f32 v41, v39, v36
	v_pk_add_f32 v[36:37], v[40:41], 0 op_sel_hi:[1,0]
	s_and_saveexec_b32 s56, s15
	s_cbranch_execz .LBB155_630
; %bb.629:                              ;   in Loop: Header=BB155_3 Depth=1
	ds_load_b64 v[38:39], v70 offset:19248
	ds_load_b64 v[40:41], v5 offset:18728
	s_wait_dscnt 0x0
	v_pk_mul_f32 v[42:43], v[40:41], v[38:39] op_sel:[1,1] op_sel_hi:[0,1]
	s_delay_alu instid0(VALU_DEP_1) | instskip(SKIP_1) | instid1(VALU_DEP_2)
	v_pk_fma_f32 v[98:99], v[40:41], v[38:39], v[42:43] op_sel_hi:[1,0,1]
	v_pk_fma_f32 v[38:39], v[40:41], v[38:39], v[42:43] neg_lo:[0,0,1] neg_hi:[0,0,1]
	v_mov_b32_e32 v39, v99
	s_delay_alu instid0(VALU_DEP_1)
	v_pk_add_f32 v[36:37], v[36:37], v[38:39]
.LBB155_630:                            ;   in Loop: Header=BB155_3 Depth=1
	s_or_b32 exec_lo, exec_lo, s56
	s_delay_alu instid0(VALU_DEP_1)
	v_pk_add_f32 v[36:37], v[36:37], 0 neg_lo:[1,1] neg_hi:[1,1]
.LBB155_631:                            ;   in Loop: Header=BB155_3 Depth=1
	s_or_b32 exec_lo, exec_lo, s13
	s_and_saveexec_b32 s13, s93
	s_cbranch_execz .LBB155_633
; %bb.632:                              ;   in Loop: Header=BB155_3 Depth=1
	ds_load_b64 v[38:39], v5 offset:19760
	s_wait_dscnt 0x0
	v_pk_mul_f32 v[40:41], v[36:37], v[38:39] op_sel:[1,1] op_sel_hi:[1,0]
	s_delay_alu instid0(VALU_DEP_1) | instskip(SKIP_1) | instid1(VALU_DEP_2)
	v_pk_fma_f32 v[42:43], v[36:37], v[38:39], v[40:41] op_sel_hi:[0,1,1]
	v_pk_fma_f32 v[38:39], v[36:37], v[38:39], v[40:41] neg_lo:[0,0,1] neg_hi:[0,0,1]
	v_mov_b32_e32 v39, v43
	s_delay_alu instid0(VALU_DEP_1)
	v_mov_b64_e32 v[36:37], v[38:39]
	ds_store_b64 v3, v[38:39]
.LBB155_633:                            ;   in Loop: Header=BB155_3 Depth=1
	s_or_b32 exec_lo, exec_lo, s13
	s_wait_dscnt 0x0
	s_barrier_signal -1
	s_barrier_wait -1
	s_and_saveexec_b32 s13, s94
	s_cbranch_execz .LBB155_635
; %bb.634:                              ;   in Loop: Header=BB155_3 Depth=1
	ds_load_b64 v[38:39], v5 offset:19768
	ds_load_b64 v[40:41], v3
	s_wait_dscnt 0x0
	v_pk_mul_f32 v[42:43], v[40:41], v[38:39] op_sel:[1,1] op_sel_hi:[0,1]
	s_delay_alu instid0(VALU_DEP_1) | instskip(SKIP_1) | instid1(VALU_DEP_2)
	v_pk_fma_f32 v[98:99], v[40:41], v[38:39], v[42:43] op_sel_hi:[1,0,1]
	v_pk_fma_f32 v[38:39], v[40:41], v[38:39], v[42:43] neg_lo:[0,0,1] neg_hi:[0,0,1]
	v_mov_b32_e32 v39, v99
	s_delay_alu instid0(VALU_DEP_1)
	v_pk_add_f32 v[36:37], v[36:37], v[38:39]
.LBB155_635:                            ;   in Loop: Header=BB155_3 Depth=1
	s_or_b32 exec_lo, exec_lo, s13
	s_barrier_signal -1
	s_barrier_wait -1
	s_and_saveexec_b32 s13, s94
	s_cbranch_execz .LBB155_637
; %bb.636:                              ;   in Loop: Header=BB155_3 Depth=1
	ds_load_b64 v[38:39], v5 offset:20280
	s_wait_dscnt 0x0
	v_pk_mul_f32 v[40:41], v[36:37], v[38:39] op_sel:[1,1] op_sel_hi:[1,0]
	s_delay_alu instid0(VALU_DEP_1) | instskip(SKIP_1) | instid1(VALU_DEP_2)
	v_pk_fma_f32 v[42:43], v[36:37], v[38:39], v[40:41] op_sel_hi:[0,1,1]
	v_pk_fma_f32 v[38:39], v[36:37], v[38:39], v[40:41] neg_lo:[0,0,1] neg_hi:[0,0,1]
	v_mov_b32_e32 v39, v43
	s_delay_alu instid0(VALU_DEP_1)
	v_mov_b64_e32 v[36:37], v[38:39]
	ds_store_b64 v3, v[38:39]
.LBB155_637:                            ;   in Loop: Header=BB155_3 Depth=1
	s_or_b32 exec_lo, exec_lo, s13
	s_wait_dscnt 0x0
	s_barrier_signal -1
	s_barrier_wait -1
	s_barrier_signal -1
	s_barrier_wait -1
	s_and_saveexec_b32 s13, s1
; %bb.638:                              ;   in Loop: Header=BB155_3 Depth=1
	v_pk_add_f32 v[36:37], v[36:37], 0 neg_lo:[1,1] neg_hi:[1,1]
	ds_store_b64 v45, v[36:37] offset:18736
; %bb.639:                              ;   in Loop: Header=BB155_3 Depth=1
	s_or_b32 exec_lo, exec_lo, s13
	s_wait_dscnt 0x0
	s_barrier_signal -1
	s_barrier_wait -1
	s_barrier_signal -1
	s_barrier_wait -1
	s_and_saveexec_b32 s13, s95
	s_cbranch_execz .LBB155_641
; %bb.640:                              ;   in Loop: Header=BB155_3 Depth=1
	ds_load_b64 v[36:37], v71 offset:18736
	s_wait_dscnt 0x0
	ds_store_b64 v70, v[36:37] offset:19744
	ds_load_b64 v[36:37], v71 offset:18744
	s_wait_dscnt 0x0
	ds_store_b64 v70, v[36:37] offset:20256
.LBB155_641:                            ;   in Loop: Header=BB155_3 Depth=1
	s_or_b32 exec_lo, exec_lo, s13
	s_wait_dscnt 0x0
	s_barrier_signal -1
	s_barrier_wait -1
	s_and_saveexec_b32 s13, s14
	s_cbranch_execz .LBB155_643
; %bb.642:                              ;   in Loop: Header=BB155_3 Depth=1
	ds_load_b128 v[36:39], v5 offset:19760
	ds_load_b64 v[40:41], v5 offset:20280
	s_wait_dscnt 0x1
	v_dual_mov_b32 v98, v39 :: v_dual_mov_b32 v99, v38
	s_wait_dscnt 0x0
	v_dual_mul_f32 v43, v41, v37 :: v_dual_mul_f32 v42, v40, v37
	s_delay_alu instid0(VALU_DEP_1) | instskip(NEXT) | instid1(VALU_DEP_1)
	v_xor_b32_e32 v100, 0x80000000, v43
	v_dual_fmac_f32 v42, v41, v36 :: v_dual_fmac_f32 v100, v40, v36
	s_delay_alu instid0(VALU_DEP_1) | instskip(NEXT) | instid1(VALU_DEP_1)
	v_pk_mul_f32 v[36:37], v[42:43], v[98:99] op_sel_hi:[0,1]
	v_pk_fma_f32 v[40:41], v[100:101], v[38:39], v[36:37] op_sel_hi:[0,1,1]
	v_pk_fma_f32 v[36:37], v[100:101], v[38:39], v[36:37] neg_lo:[0,0,1] neg_hi:[0,0,1]
	v_add_nc_u32_e64 v38, 0x4800, 0
	s_delay_alu instid0(VALU_DEP_3)
	v_mov_b32_e32 v37, v41
	ds_store_2addr_b64 v38, v[36:37], v[36:37] offset0:167 offset1:230
.LBB155_643:                            ;   in Loop: Header=BB155_3 Depth=1
	s_or_b32 exec_lo, exec_lo, s13
	v_mov_b32_e32 v36, 0
	s_wait_dscnt 0x0
	s_barrier_signal -1
	s_barrier_wait -1
	s_delay_alu instid0(VALU_DEP_1)
	v_mov_b32_e32 v37, v36
	s_and_saveexec_b32 s13, s4
	s_cbranch_execz .LBB155_653
; %bb.644:                              ;   in Loop: Header=BB155_3 Depth=1
	ds_load_b64 v[36:37], v60 offset:16704
	ds_load_b64 v[38:39], v56 offset:16640
	s_wait_dscnt 0x0
	v_dual_mul_f32 v40, v39, v37 :: v_dual_mul_f32 v41, v38, v37
	s_delay_alu instid0(VALU_DEP_1) | instskip(NEXT) | instid1(VALU_DEP_1)
	v_dual_fma_f32 v37, v38, v36, -v40 :: v_dual_fmac_f32 v41, v39, v36
	v_add_f32_e32 v37, 0, v37
	s_delay_alu instid0(VALU_DEP_2)
	v_add_f32_e32 v36, 0, v41
	s_and_saveexec_b32 s56, s18
	s_cbranch_execnz .LBB155_1138
; %bb.645:                              ;   in Loop: Header=BB155_3 Depth=1
	s_or_b32 exec_lo, exec_lo, s56
	s_and_saveexec_b32 s56, s19
	s_cbranch_execnz .LBB155_1139
.LBB155_646:                            ;   in Loop: Header=BB155_3 Depth=1
	s_or_b32 exec_lo, exec_lo, s56
	s_and_saveexec_b32 s56, s20
	s_cbranch_execnz .LBB155_1140
.LBB155_647:                            ;   in Loop: Header=BB155_3 Depth=1
	s_or_b32 exec_lo, exec_lo, s56
	s_and_saveexec_b32 s56, s21
	s_cbranch_execnz .LBB155_1141
.LBB155_648:                            ;   in Loop: Header=BB155_3 Depth=1
	s_or_b32 exec_lo, exec_lo, s56
	s_and_saveexec_b32 s56, s22
	s_cbranch_execnz .LBB155_1142
.LBB155_649:                            ;   in Loop: Header=BB155_3 Depth=1
	s_or_b32 exec_lo, exec_lo, s56
	s_and_saveexec_b32 s56, s3
	s_cbranch_execnz .LBB155_1143
.LBB155_650:                            ;   in Loop: Header=BB155_3 Depth=1
	s_or_b32 exec_lo, exec_lo, s56
	s_and_saveexec_b32 s56, s17
	s_cbranch_execz .LBB155_652
.LBB155_651:                            ;   in Loop: Header=BB155_3 Depth=1
	ds_load_b64 v[38:39], v72 offset:20288
	ds_load_b64 v[40:41], v5 offset:16696
	s_wait_dscnt 0x0
	v_pk_mul_f32 v[42:43], v[40:41], v[38:39] op_sel:[0,1]
	s_delay_alu instid0(VALU_DEP_1) | instskip(SKIP_1) | instid1(VALU_DEP_2)
	v_pk_fma_f32 v[98:99], v[40:41], v[38:39], v[42:43] op_sel:[1,0,0] op_sel_hi:[0,0,1] neg_lo:[0,0,1] neg_hi:[0,0,1]
	v_pk_fma_f32 v[38:39], v[40:41], v[38:39], v[42:43] op_sel:[1,0,0] op_sel_hi:[0,1,1]
	v_mov_b32_e32 v39, v99
	s_delay_alu instid0(VALU_DEP_1)
	v_pk_add_f32 v[36:37], v[36:37], v[38:39]
.LBB155_652:                            ;   in Loop: Header=BB155_3 Depth=1
	s_or_b32 exec_lo, exec_lo, s56
	s_delay_alu instid0(VALU_DEP_1) | instskip(NEXT) | instid1(VALU_DEP_1)
	v_pk_add_f32 v[38:39], v[36:37], 0 neg_lo:[1,1] neg_hi:[1,1]
	v_dual_mov_b32 v36, v39 :: v_dual_mov_b32 v37, v38
.LBB155_653:                            ;   in Loop: Header=BB155_3 Depth=1
	s_or_b32 exec_lo, exec_lo, s13
	s_and_saveexec_b32 s13, s103
	s_cbranch_execz .LBB155_655
; %bb.654:                              ;   in Loop: Header=BB155_3 Depth=1
	ds_load_b64 v[38:39], v5 offset:20800
	v_dual_mov_b32 v40, v37 :: v_dual_mov_b32 v41, v36
	s_wait_dscnt 0x0
	s_delay_alu instid0(VALU_DEP_1) | instskip(NEXT) | instid1(VALU_DEP_1)
	v_dual_mul_f32 v42, v40, v38 :: v_dual_mul_f32 v98, v37, v39
	v_pk_fma_f32 v[40:41], v[40:41], v[38:39], v[42:43] op_sel_hi:[1,1,0]
	s_delay_alu instid0(VALU_DEP_2) | instskip(NEXT) | instid1(VALU_DEP_2)
	v_pk_fma_f32 v[36:37], v[36:37], v[38:39], v[98:99] op_sel_hi:[1,1,0] neg_lo:[0,0,1] neg_hi:[0,0,1]
	v_mov_b32_e32 v37, v41
	ds_store_b64 v59, v[36:37]
.LBB155_655:                            ;   in Loop: Header=BB155_3 Depth=1
	s_or_b32 exec_lo, exec_lo, s13
	s_wait_dscnt 0x0
	s_barrier_signal -1
	s_barrier_wait -1
	s_and_saveexec_b32 s13, s104
	s_cbranch_execz .LBB155_657
; %bb.656:                              ;   in Loop: Header=BB155_3 Depth=1
	ds_load_b64 v[38:39], v58 offset:20800
	ds_load_b64 v[40:41], v59
	s_wait_dscnt 0x0
	v_dual_mul_f32 v42, v41, v39 :: v_dual_mul_f32 v43, v40, v39
	s_delay_alu instid0(VALU_DEP_1) | instskip(NEXT) | instid1(VALU_DEP_1)
	v_dual_fma_f32 v42, v40, v38, -v42 :: v_dual_fmac_f32 v43, v41, v38
	v_pk_add_f32 v[36:37], v[36:37], v[42:43]
.LBB155_657:                            ;   in Loop: Header=BB155_3 Depth=1
	s_or_b32 exec_lo, exec_lo, s13
	s_barrier_signal -1
	s_barrier_wait -1
	s_and_saveexec_b32 s13, vcc_hi
	s_cbranch_execz .LBB155_659
; %bb.658:                              ;   in Loop: Header=BB155_3 Depth=1
	ds_load_b64 v[38:39], v5 offset:21320
	s_wait_dscnt 0x0
	v_pk_mul_f32 v[40:41], v[36:37], v[38:39] op_sel:[1,1] op_sel_hi:[1,0]
	s_delay_alu instid0(VALU_DEP_1) | instskip(SKIP_1) | instid1(VALU_DEP_2)
	v_pk_fma_f32 v[42:43], v[36:37], v[38:39], v[40:41] op_sel_hi:[0,1,1]
	v_pk_fma_f32 v[36:37], v[36:37], v[38:39], v[40:41] op_sel_hi:[0,1,1] neg_lo:[0,0,1] neg_hi:[0,0,1]
	v_mov_b32_e32 v37, v43
	ds_store_b64 v59, v[36:37]
.LBB155_659:                            ;   in Loop: Header=BB155_3 Depth=1
	s_or_b32 exec_lo, exec_lo, s13
	s_wait_dscnt 0x0
	s_barrier_signal -1
	s_barrier_wait -1
	s_and_saveexec_b32 s13, s39
	s_cbranch_execz .LBB155_661
; %bb.660:                              ;   in Loop: Header=BB155_3 Depth=1
	ds_load_b64 v[38:39], v58 offset:21312
	ds_load_b64 v[40:41], v59
	s_wait_dscnt 0x0
	v_pk_mul_f32 v[42:43], v[40:41], v[38:39] op_sel:[1,1] op_sel_hi:[0,1]
	s_delay_alu instid0(VALU_DEP_1) | instskip(SKIP_1) | instid1(VALU_DEP_2)
	v_pk_fma_f32 v[98:99], v[40:41], v[38:39], v[42:43] op_sel_hi:[1,0,1]
	v_pk_fma_f32 v[38:39], v[40:41], v[38:39], v[42:43] op_sel_hi:[1,0,1] neg_lo:[0,0,1] neg_hi:[0,0,1]
	v_mov_b32_e32 v39, v99
	s_delay_alu instid0(VALU_DEP_1)
	v_pk_add_f32 v[36:37], v[36:37], v[38:39]
.LBB155_661:                            ;   in Loop: Header=BB155_3 Depth=1
	s_or_b32 exec_lo, exec_lo, s13
	s_barrier_signal -1
	s_barrier_wait -1
	s_and_saveexec_b32 s13, s40
	s_cbranch_execz .LBB155_663
; %bb.662:                              ;   in Loop: Header=BB155_3 Depth=1
	ds_load_b64 v[38:39], v5 offset:21840
	s_wait_dscnt 0x0
	v_pk_mul_f32 v[40:41], v[36:37], v[38:39] op_sel:[1,1] op_sel_hi:[1,0]
	s_delay_alu instid0(VALU_DEP_1) | instskip(SKIP_1) | instid1(VALU_DEP_2)
	v_pk_fma_f32 v[42:43], v[36:37], v[38:39], v[40:41] op_sel_hi:[0,1,1]
	v_pk_fma_f32 v[36:37], v[36:37], v[38:39], v[40:41] op_sel_hi:[0,1,1] neg_lo:[0,0,1] neg_hi:[0,0,1]
	v_mov_b32_e32 v37, v43
	ds_store_b64 v59, v[36:37]
.LBB155_663:                            ;   in Loop: Header=BB155_3 Depth=1
	s_or_b32 exec_lo, exec_lo, s13
	s_wait_dscnt 0x0
	s_barrier_signal -1
	s_barrier_wait -1
	s_and_saveexec_b32 s13, s41
	s_cbranch_execz .LBB155_665
; %bb.664:                              ;   in Loop: Header=BB155_3 Depth=1
	ds_load_b64 v[38:39], v58 offset:21824
	ds_load_b64 v[40:41], v59
	s_wait_dscnt 0x0
	v_pk_mul_f32 v[42:43], v[40:41], v[38:39] op_sel:[1,1] op_sel_hi:[0,1]
	s_delay_alu instid0(VALU_DEP_1) | instskip(SKIP_1) | instid1(VALU_DEP_2)
	v_pk_fma_f32 v[98:99], v[40:41], v[38:39], v[42:43] op_sel_hi:[1,0,1]
	v_pk_fma_f32 v[38:39], v[40:41], v[38:39], v[42:43] op_sel_hi:[1,0,1] neg_lo:[0,0,1] neg_hi:[0,0,1]
	v_mov_b32_e32 v39, v99
	s_delay_alu instid0(VALU_DEP_1)
	v_pk_add_f32 v[36:37], v[36:37], v[38:39]
.LBB155_665:                            ;   in Loop: Header=BB155_3 Depth=1
	s_or_b32 exec_lo, exec_lo, s13
	s_barrier_signal -1
	s_barrier_wait -1
	s_and_saveexec_b32 s13, s42
	;; [unrolled: 33-line block ×3, first 2 shown]
	s_cbranch_execz .LBB155_671
; %bb.670:                              ;   in Loop: Header=BB155_3 Depth=1
	ds_load_b64 v[38:39], v5 offset:22880
	s_wait_dscnt 0x0
	v_dual_mul_f32 v40, v36, v39 :: v_dual_mul_f32 v42, v37, v39
	s_delay_alu instid0(VALU_DEP_1) | instskip(NEXT) | instid1(VALU_DEP_2)
	v_pk_fma_f32 v[40:41], v[36:37], v[38:39], v[40:41] op_sel:[0,1,0] op_sel_hi:[1,0,0]
	v_pk_fma_f32 v[38:39], v[36:37], v[38:39], v[42:43] op_sel_hi:[1,1,0] neg_lo:[0,0,1] neg_hi:[0,0,1]
	s_delay_alu instid0(VALU_DEP_2) | instskip(NEXT) | instid1(VALU_DEP_1)
	v_mov_b32_e32 v39, v41
	v_mov_b64_e32 v[36:37], v[38:39]
	ds_store_b64 v59, v[38:39]
.LBB155_671:                            ;   in Loop: Header=BB155_3 Depth=1
	s_or_b32 exec_lo, exec_lo, s13
	s_wait_dscnt 0x0
	s_barrier_signal -1
	s_barrier_wait -1
	s_and_saveexec_b32 s13, s45
	s_cbranch_execz .LBB155_673
; %bb.672:                              ;   in Loop: Header=BB155_3 Depth=1
	ds_load_b64 v[38:39], v58 offset:22848
	ds_load_b64 v[40:41], v59
	s_wait_dscnt 0x0
	v_dual_mul_f32 v42, v41, v39 :: v_dual_mul_f32 v43, v40, v39
	s_delay_alu instid0(VALU_DEP_1) | instskip(NEXT) | instid1(VALU_DEP_1)
	v_dual_fma_f32 v42, v40, v38, -v42 :: v_dual_fmac_f32 v43, v41, v38
	v_pk_add_f32 v[36:37], v[36:37], v[42:43]
.LBB155_673:                            ;   in Loop: Header=BB155_3 Depth=1
	s_or_b32 exec_lo, exec_lo, s13
	s_barrier_signal -1
	s_barrier_wait -1
	s_and_saveexec_b32 s13, s46
	s_cbranch_execz .LBB155_675
; %bb.674:                              ;   in Loop: Header=BB155_3 Depth=1
	ds_load_b64 v[38:39], v5 offset:23400
	s_wait_dscnt 0x0
	v_pk_mul_f32 v[40:41], v[36:37], v[38:39] op_sel:[1,1] op_sel_hi:[1,0]
	s_delay_alu instid0(VALU_DEP_1) | instskip(SKIP_1) | instid1(VALU_DEP_2)
	v_pk_fma_f32 v[42:43], v[36:37], v[38:39], v[40:41] op_sel_hi:[0,1,1]
	v_pk_fma_f32 v[38:39], v[36:37], v[38:39], v[40:41] neg_lo:[0,0,1] neg_hi:[0,0,1]
	v_mov_b32_e32 v39, v43
	s_delay_alu instid0(VALU_DEP_1)
	v_mov_b64_e32 v[36:37], v[38:39]
	ds_store_b64 v59, v[38:39]
.LBB155_675:                            ;   in Loop: Header=BB155_3 Depth=1
	s_or_b32 exec_lo, exec_lo, s13
	s_wait_dscnt 0x0
	s_barrier_signal -1
	s_barrier_wait -1
	s_and_saveexec_b32 s13, s47
	s_cbranch_execz .LBB155_677
; %bb.676:                              ;   in Loop: Header=BB155_3 Depth=1
	ds_load_b64 v[38:39], v58 offset:23360
	ds_load_b64 v[40:41], v59
	s_wait_dscnt 0x0
	v_pk_mul_f32 v[42:43], v[40:41], v[38:39] op_sel:[1,1] op_sel_hi:[0,1]
	s_delay_alu instid0(VALU_DEP_1) | instskip(SKIP_1) | instid1(VALU_DEP_2)
	v_pk_fma_f32 v[98:99], v[40:41], v[38:39], v[42:43] op_sel_hi:[1,0,1]
	v_pk_fma_f32 v[38:39], v[40:41], v[38:39], v[42:43] neg_lo:[0,0,1] neg_hi:[0,0,1]
	v_mov_b32_e32 v39, v99
	s_delay_alu instid0(VALU_DEP_1)
	v_pk_add_f32 v[36:37], v[36:37], v[38:39]
.LBB155_677:                            ;   in Loop: Header=BB155_3 Depth=1
	s_or_b32 exec_lo, exec_lo, s13
	s_barrier_signal -1
	s_barrier_wait -1
	s_and_saveexec_b32 s13, s48
	s_cbranch_execz .LBB155_679
; %bb.678:                              ;   in Loop: Header=BB155_3 Depth=1
	ds_load_b64 v[38:39], v5 offset:23920
	s_wait_dscnt 0x0
	v_pk_mul_f32 v[40:41], v[36:37], v[38:39] op_sel:[1,1] op_sel_hi:[1,0]
	s_delay_alu instid0(VALU_DEP_1) | instskip(SKIP_1) | instid1(VALU_DEP_2)
	v_pk_fma_f32 v[42:43], v[36:37], v[38:39], v[40:41] op_sel_hi:[0,1,1]
	v_pk_fma_f32 v[38:39], v[36:37], v[38:39], v[40:41] neg_lo:[0,0,1] neg_hi:[0,0,1]
	v_mov_b32_e32 v39, v43
	s_delay_alu instid0(VALU_DEP_1)
	v_mov_b64_e32 v[36:37], v[38:39]
	ds_store_b64 v59, v[38:39]
.LBB155_679:                            ;   in Loop: Header=BB155_3 Depth=1
	s_or_b32 exec_lo, exec_lo, s13
	s_wait_dscnt 0x0
	s_barrier_signal -1
	s_barrier_wait -1
	s_and_saveexec_b32 s13, s49
	s_cbranch_execz .LBB155_681
; %bb.680:                              ;   in Loop: Header=BB155_3 Depth=1
	ds_load_b64 v[38:39], v5 offset:23928
	ds_load_b64 v[40:41], v59
	s_wait_dscnt 0x0
	v_pk_mul_f32 v[42:43], v[40:41], v[38:39] op_sel:[1,1] op_sel_hi:[0,1]
	s_delay_alu instid0(VALU_DEP_1) | instskip(SKIP_1) | instid1(VALU_DEP_2)
	v_pk_fma_f32 v[98:99], v[40:41], v[38:39], v[42:43] op_sel_hi:[1,0,1]
	v_pk_fma_f32 v[38:39], v[40:41], v[38:39], v[42:43] neg_lo:[0,0,1] neg_hi:[0,0,1]
	v_mov_b32_e32 v39, v99
	s_delay_alu instid0(VALU_DEP_1)
	v_pk_add_f32 v[36:37], v[36:37], v[38:39]
.LBB155_681:                            ;   in Loop: Header=BB155_3 Depth=1
	s_or_b32 exec_lo, exec_lo, s13
	s_barrier_signal -1
	s_barrier_wait -1
	s_and_saveexec_b32 s13, s49
	s_cbranch_execz .LBB155_683
; %bb.682:                              ;   in Loop: Header=BB155_3 Depth=1
	ds_load_b64 v[38:39], v5 offset:24440
	s_wait_dscnt 0x0
	v_pk_mul_f32 v[40:41], v[36:37], v[38:39] op_sel:[1,1] op_sel_hi:[1,0]
	s_delay_alu instid0(VALU_DEP_1) | instskip(SKIP_1) | instid1(VALU_DEP_2)
	v_pk_fma_f32 v[42:43], v[36:37], v[38:39], v[40:41] op_sel_hi:[0,1,1]
	v_pk_fma_f32 v[38:39], v[36:37], v[38:39], v[40:41] neg_lo:[0,0,1] neg_hi:[0,0,1]
	v_mov_b32_e32 v39, v43
	s_delay_alu instid0(VALU_DEP_1)
	v_mov_b64_e32 v[36:37], v[38:39]
	ds_store_b64 v59, v[38:39]
.LBB155_683:                            ;   in Loop: Header=BB155_3 Depth=1
	s_or_b32 exec_lo, exec_lo, s13
	s_wait_dscnt 0x0
	s_barrier_signal -1
	s_barrier_wait -1
	s_barrier_signal -1
	s_barrier_wait -1
	s_and_saveexec_b32 s13, s4
; %bb.684:                              ;   in Loop: Header=BB155_3 Depth=1
	v_pk_add_f32 v[36:37], v[36:37], 0 neg_lo:[1,1] neg_hi:[1,1]
	ds_store_b64 v60, v[36:37] offset:16704
; %bb.685:                              ;   in Loop: Header=BB155_3 Depth=1
	s_or_b32 exec_lo, exec_lo, s13
	s_wait_dscnt 0x0
	s_barrier_signal -1
	s_barrier_wait -1
	s_barrier_signal -1
	s_barrier_wait -1
	s_and_saveexec_b32 s13, s50
	s_cbranch_execz .LBB155_687
; %bb.686:                              ;   in Loop: Header=BB155_3 Depth=1
	ds_load_b64 v[36:37], v73 offset:16704
	s_wait_dscnt 0x0
	ds_store_b64 v74, v[36:37] offset:20736
	ds_load_b64 v[36:37], v73 offset:16712
	s_wait_dscnt 0x0
	ds_store_b64 v74, v[36:37] offset:21248
	;; [unrolled: 3-line block ×8, first 2 shown]
.LBB155_687:                            ;   in Loop: Header=BB155_3 Depth=1
	s_or_b32 exec_lo, exec_lo, s13
	s_wait_dscnt 0x0
	s_barrier_signal -1
	s_barrier_wait -1
	s_and_saveexec_b32 s13, s14
	s_cbranch_execz .LBB155_689
; %bb.688:                              ;   in Loop: Header=BB155_3 Depth=1
	ds_load_b128 v[36:39], v5 offset:20800
	ds_load_b64 v[40:41], v5 offset:21320
	s_wait_dscnt 0x1
	v_dual_mov_b32 v98, v39 :: v_dual_mov_b32 v99, v38
	s_wait_dscnt 0x0
	v_dual_mul_f32 v43, v41, v37 :: v_dual_mul_f32 v42, v40, v37
	s_delay_alu instid0(VALU_DEP_1) | instskip(NEXT) | instid1(VALU_DEP_1)
	v_xor_b32_e32 v100, 0x80000000, v43
	v_dual_fmac_f32 v42, v41, v36 :: v_dual_fmac_f32 v100, v40, v36
	s_delay_alu instid0(VALU_DEP_1) | instskip(NEXT) | instid1(VALU_DEP_1)
	v_pk_mul_f32 v[36:37], v[42:43], v[98:99] op_sel_hi:[0,1]
	v_pk_fma_f32 v[40:41], v[100:101], v[38:39], v[36:37] op_sel_hi:[0,1,1]
	v_pk_fma_f32 v[36:37], v[100:101], v[38:39], v[36:37] neg_lo:[0,0,1] neg_hi:[0,0,1]
	v_add_nc_u32_e64 v38, 0x5000, 0
	s_delay_alu instid0(VALU_DEP_3)
	v_mov_b32_e32 v37, v41
	ds_store_2addr_b64 v38, v[36:37], v[36:37] offset0:41 offset1:104
.LBB155_689:                            ;   in Loop: Header=BB155_3 Depth=1
	s_or_b32 exec_lo, exec_lo, s13
	v_mov_b32_e32 v37, 0
	s_wait_dscnt 0x0
	s_barrier_signal -1
	s_barrier_wait -1
	s_delay_alu instid0(VALU_DEP_1)
	v_mov_b32_e32 v36, v37
	s_and_saveexec_b32 s13, s1
	s_cbranch_execz .LBB155_693
; %bb.690:                              ;   in Loop: Header=BB155_3 Depth=1
	ds_load_b64 v[36:37], v45 offset:20816
	ds_load_b64 v[38:39], v46 offset:20800
	s_wait_dscnt 0x0
	v_dual_mul_f32 v40, v39, v37 :: v_dual_mul_f32 v41, v38, v37
	s_delay_alu instid0(VALU_DEP_1) | instskip(NEXT) | instid1(VALU_DEP_1)
	v_dual_fma_f32 v40, v38, v36, -v40 :: v_dual_fmac_f32 v41, v39, v36
	v_pk_add_f32 v[36:37], v[40:41], 0 op_sel_hi:[1,0]
	s_and_saveexec_b32 s56, s15
	s_cbranch_execz .LBB155_692
; %bb.691:                              ;   in Loop: Header=BB155_3 Depth=1
	ds_load_b64 v[38:39], v74 offset:21328
	ds_load_b64 v[40:41], v5 offset:20808
	s_wait_dscnt 0x0
	v_pk_mul_f32 v[42:43], v[40:41], v[38:39] op_sel:[1,1] op_sel_hi:[0,1]
	s_delay_alu instid0(VALU_DEP_1) | instskip(SKIP_1) | instid1(VALU_DEP_2)
	v_pk_fma_f32 v[98:99], v[40:41], v[38:39], v[42:43] op_sel_hi:[1,0,1]
	v_pk_fma_f32 v[38:39], v[40:41], v[38:39], v[42:43] neg_lo:[0,0,1] neg_hi:[0,0,1]
	v_mov_b32_e32 v39, v99
	s_delay_alu instid0(VALU_DEP_1)
	v_pk_add_f32 v[36:37], v[36:37], v[38:39]
.LBB155_692:                            ;   in Loop: Header=BB155_3 Depth=1
	s_or_b32 exec_lo, exec_lo, s56
	s_delay_alu instid0(VALU_DEP_1)
	v_pk_add_f32 v[36:37], v[36:37], 0 neg_lo:[1,1] neg_hi:[1,1]
.LBB155_693:                            ;   in Loop: Header=BB155_3 Depth=1
	s_or_b32 exec_lo, exec_lo, s13
	s_and_saveexec_b32 s13, s93
	s_cbranch_execz .LBB155_695
; %bb.694:                              ;   in Loop: Header=BB155_3 Depth=1
	ds_load_b64 v[38:39], v5 offset:21840
	s_wait_dscnt 0x0
	v_pk_mul_f32 v[40:41], v[36:37], v[38:39] op_sel:[1,1] op_sel_hi:[1,0]
	s_delay_alu instid0(VALU_DEP_1) | instskip(SKIP_1) | instid1(VALU_DEP_2)
	v_pk_fma_f32 v[42:43], v[36:37], v[38:39], v[40:41] op_sel_hi:[0,1,1]
	v_pk_fma_f32 v[38:39], v[36:37], v[38:39], v[40:41] neg_lo:[0,0,1] neg_hi:[0,0,1]
	v_mov_b32_e32 v39, v43
	s_delay_alu instid0(VALU_DEP_1)
	v_mov_b64_e32 v[36:37], v[38:39]
	ds_store_b64 v3, v[38:39]
.LBB155_695:                            ;   in Loop: Header=BB155_3 Depth=1
	s_or_b32 exec_lo, exec_lo, s13
	s_wait_dscnt 0x0
	s_barrier_signal -1
	s_barrier_wait -1
	s_and_saveexec_b32 s13, s94
	s_cbranch_execz .LBB155_697
; %bb.696:                              ;   in Loop: Header=BB155_3 Depth=1
	ds_load_b64 v[38:39], v5 offset:21848
	ds_load_b64 v[40:41], v3
	s_wait_dscnt 0x0
	v_pk_mul_f32 v[42:43], v[40:41], v[38:39] op_sel:[1,1] op_sel_hi:[0,1]
	s_delay_alu instid0(VALU_DEP_1) | instskip(SKIP_1) | instid1(VALU_DEP_2)
	v_pk_fma_f32 v[98:99], v[40:41], v[38:39], v[42:43] op_sel_hi:[1,0,1]
	v_pk_fma_f32 v[38:39], v[40:41], v[38:39], v[42:43] neg_lo:[0,0,1] neg_hi:[0,0,1]
	v_mov_b32_e32 v39, v99
	s_delay_alu instid0(VALU_DEP_1)
	v_pk_add_f32 v[36:37], v[36:37], v[38:39]
.LBB155_697:                            ;   in Loop: Header=BB155_3 Depth=1
	s_or_b32 exec_lo, exec_lo, s13
	s_barrier_signal -1
	s_barrier_wait -1
	s_and_saveexec_b32 s13, s94
	s_cbranch_execz .LBB155_699
; %bb.698:                              ;   in Loop: Header=BB155_3 Depth=1
	ds_load_b64 v[38:39], v5 offset:22360
	s_wait_dscnt 0x0
	v_pk_mul_f32 v[40:41], v[36:37], v[38:39] op_sel:[1,1] op_sel_hi:[1,0]
	s_delay_alu instid0(VALU_DEP_1) | instskip(SKIP_1) | instid1(VALU_DEP_2)
	v_pk_fma_f32 v[42:43], v[36:37], v[38:39], v[40:41] op_sel_hi:[0,1,1]
	v_pk_fma_f32 v[38:39], v[36:37], v[38:39], v[40:41] neg_lo:[0,0,1] neg_hi:[0,0,1]
	v_mov_b32_e32 v39, v43
	s_delay_alu instid0(VALU_DEP_1)
	v_mov_b64_e32 v[36:37], v[38:39]
	ds_store_b64 v3, v[38:39]
.LBB155_699:                            ;   in Loop: Header=BB155_3 Depth=1
	s_or_b32 exec_lo, exec_lo, s13
	s_wait_dscnt 0x0
	s_barrier_signal -1
	s_barrier_wait -1
	s_barrier_signal -1
	s_barrier_wait -1
	s_and_saveexec_b32 s13, s1
; %bb.700:                              ;   in Loop: Header=BB155_3 Depth=1
	v_pk_add_f32 v[36:37], v[36:37], 0 neg_lo:[1,1] neg_hi:[1,1]
	ds_store_b64 v45, v[36:37] offset:20816
; %bb.701:                              ;   in Loop: Header=BB155_3 Depth=1
	s_or_b32 exec_lo, exec_lo, s13
	s_wait_dscnt 0x0
	s_barrier_signal -1
	s_barrier_wait -1
	s_barrier_signal -1
	s_barrier_wait -1
	s_and_saveexec_b32 s13, s95
	s_cbranch_execz .LBB155_703
; %bb.702:                              ;   in Loop: Header=BB155_3 Depth=1
	ds_load_b64 v[36:37], v75 offset:20816
	s_wait_dscnt 0x0
	ds_store_b64 v74, v[36:37] offset:21824
	ds_load_b64 v[36:37], v75 offset:20824
	s_wait_dscnt 0x0
	ds_store_b64 v74, v[36:37] offset:22336
.LBB155_703:                            ;   in Loop: Header=BB155_3 Depth=1
	s_or_b32 exec_lo, exec_lo, s13
	s_wait_dscnt 0x0
	s_barrier_signal -1
	s_barrier_wait -1
	s_and_saveexec_b32 s13, s14
	s_cbranch_execz .LBB155_705
; %bb.704:                              ;   in Loop: Header=BB155_3 Depth=1
	ds_load_b128 v[36:39], v5 offset:21840
	ds_load_b64 v[40:41], v5 offset:22360
	s_wait_dscnt 0x1
	v_dual_mov_b32 v98, v39 :: v_dual_mov_b32 v99, v38
	s_wait_dscnt 0x0
	v_dual_mul_f32 v43, v41, v37 :: v_dual_mul_f32 v42, v40, v37
	s_delay_alu instid0(VALU_DEP_1) | instskip(NEXT) | instid1(VALU_DEP_1)
	v_xor_b32_e32 v100, 0x80000000, v43
	v_dual_fmac_f32 v42, v41, v36 :: v_dual_fmac_f32 v100, v40, v36
	s_delay_alu instid0(VALU_DEP_1) | instskip(NEXT) | instid1(VALU_DEP_1)
	v_pk_mul_f32 v[36:37], v[42:43], v[98:99] op_sel_hi:[0,1]
	v_pk_fma_f32 v[40:41], v[100:101], v[38:39], v[36:37] op_sel_hi:[0,1,1]
	v_pk_fma_f32 v[36:37], v[100:101], v[38:39], v[36:37] neg_lo:[0,0,1] neg_hi:[0,0,1]
	v_add_nc_u32_e64 v38, 0x5000, 0
	s_delay_alu instid0(VALU_DEP_3)
	v_mov_b32_e32 v37, v41
	ds_store_2addr_b64 v38, v[36:37], v[36:37] offset0:171 offset1:234
.LBB155_705:                            ;   in Loop: Header=BB155_3 Depth=1
	s_or_b32 exec_lo, exec_lo, s13
	v_mov_b32_e32 v36, 0
	s_wait_dscnt 0x0
	s_barrier_signal -1
	s_barrier_wait -1
	s_delay_alu instid0(VALU_DEP_1)
	v_mov_b32_e32 v37, v36
	s_and_saveexec_b32 s13, s3
	s_cbranch_execz .LBB155_711
; %bb.706:                              ;   in Loop: Header=BB155_3 Depth=1
	ds_load_b64 v[36:37], v52 offset:20832
	ds_load_b64 v[38:39], v48 offset:20800
	s_wait_dscnt 0x0
	v_pk_mul_f32 v[40:41], v[38:39], v[36:37] op_sel:[0,1]
	s_delay_alu instid0(VALU_DEP_1) | instskip(SKIP_1) | instid1(VALU_DEP_2)
	v_pk_fma_f32 v[42:43], v[38:39], v[36:37], v[40:41] op_sel:[1,0,0] op_sel_hi:[0,0,1] neg_lo:[0,0,1] neg_hi:[0,0,1]
	v_pk_fma_f32 v[36:37], v[38:39], v[36:37], v[40:41] op_sel:[1,0,0] op_sel_hi:[0,1,1]
	v_mov_b32_e32 v37, v43
	s_delay_alu instid0(VALU_DEP_1)
	v_pk_add_f32 v[36:37], v[36:37], 0 op_sel_hi:[1,0]
	s_and_saveexec_b32 s56, s16
	s_cbranch_execnz .LBB155_1144
; %bb.707:                              ;   in Loop: Header=BB155_3 Depth=1
	s_or_b32 exec_lo, exec_lo, s56
	s_and_saveexec_b32 s56, s17
	s_cbranch_execnz .LBB155_1145
.LBB155_708:                            ;   in Loop: Header=BB155_3 Depth=1
	s_or_b32 exec_lo, exec_lo, s56
	s_and_saveexec_b32 s56, s1
	s_cbranch_execz .LBB155_710
.LBB155_709:                            ;   in Loop: Header=BB155_3 Depth=1
	ds_load_b64 v[38:39], v77 offset:22368
	ds_load_b64 v[40:41], v5 offset:20824
	s_wait_dscnt 0x0
	v_pk_mul_f32 v[42:43], v[40:41], v[38:39] op_sel:[0,1]
	s_delay_alu instid0(VALU_DEP_1) | instskip(SKIP_1) | instid1(VALU_DEP_2)
	v_pk_fma_f32 v[98:99], v[40:41], v[38:39], v[42:43] op_sel:[1,0,0] op_sel_hi:[0,0,1] neg_lo:[0,0,1] neg_hi:[0,0,1]
	v_pk_fma_f32 v[38:39], v[40:41], v[38:39], v[42:43] op_sel:[1,0,0] op_sel_hi:[0,1,1]
	v_mov_b32_e32 v39, v99
	s_delay_alu instid0(VALU_DEP_1)
	v_pk_add_f32 v[36:37], v[36:37], v[38:39]
.LBB155_710:                            ;   in Loop: Header=BB155_3 Depth=1
	s_or_b32 exec_lo, exec_lo, s56
	s_delay_alu instid0(VALU_DEP_1) | instskip(NEXT) | instid1(VALU_DEP_1)
	v_pk_add_f32 v[38:39], v[36:37], 0 neg_lo:[1,1] neg_hi:[1,1]
	v_dual_mov_b32 v36, v39 :: v_dual_mov_b32 v37, v38
.LBB155_711:                            ;   in Loop: Header=BB155_3 Depth=1
	s_or_b32 exec_lo, exec_lo, s13
	s_and_saveexec_b32 s13, s96
	s_cbranch_execz .LBB155_713
; %bb.712:                              ;   in Loop: Header=BB155_3 Depth=1
	ds_load_b64 v[38:39], v5 offset:22880
	v_dual_mov_b32 v40, v37 :: v_dual_mov_b32 v41, v36
	s_wait_dscnt 0x0
	s_delay_alu instid0(VALU_DEP_1) | instskip(NEXT) | instid1(VALU_DEP_1)
	v_dual_mul_f32 v42, v40, v38 :: v_dual_mul_f32 v98, v37, v39
	v_pk_fma_f32 v[40:41], v[40:41], v[38:39], v[42:43] op_sel_hi:[1,1,0]
	s_delay_alu instid0(VALU_DEP_2) | instskip(NEXT) | instid1(VALU_DEP_2)
	v_pk_fma_f32 v[36:37], v[36:37], v[38:39], v[98:99] op_sel_hi:[1,1,0] neg_lo:[0,0,1] neg_hi:[0,0,1]
	v_mov_b32_e32 v37, v41
	ds_store_b64 v51, v[36:37]
.LBB155_713:                            ;   in Loop: Header=BB155_3 Depth=1
	s_or_b32 exec_lo, exec_lo, s13
	s_wait_dscnt 0x0
	s_barrier_signal -1
	s_barrier_wait -1
	s_and_saveexec_b32 s13, s97
	s_cbranch_execz .LBB155_715
; %bb.714:                              ;   in Loop: Header=BB155_3 Depth=1
	ds_load_b64 v[38:39], v49 offset:22880
	ds_load_b64 v[40:41], v51
	s_wait_dscnt 0x0
	v_dual_mul_f32 v42, v41, v39 :: v_dual_mul_f32 v43, v40, v39
	s_delay_alu instid0(VALU_DEP_1) | instskip(NEXT) | instid1(VALU_DEP_1)
	v_dual_fma_f32 v42, v40, v38, -v42 :: v_dual_fmac_f32 v43, v41, v38
	v_pk_add_f32 v[36:37], v[36:37], v[42:43]
.LBB155_715:                            ;   in Loop: Header=BB155_3 Depth=1
	s_or_b32 exec_lo, exec_lo, s13
	s_barrier_signal -1
	s_barrier_wait -1
	s_and_saveexec_b32 s13, s98
	s_cbranch_execz .LBB155_717
; %bb.716:                              ;   in Loop: Header=BB155_3 Depth=1
	ds_load_b64 v[38:39], v5 offset:23400
	s_wait_dscnt 0x0
	v_pk_mul_f32 v[40:41], v[36:37], v[38:39] op_sel:[1,1] op_sel_hi:[1,0]
	s_delay_alu instid0(VALU_DEP_1) | instskip(SKIP_1) | instid1(VALU_DEP_2)
	v_pk_fma_f32 v[42:43], v[36:37], v[38:39], v[40:41] op_sel_hi:[0,1,1]
	v_pk_fma_f32 v[38:39], v[36:37], v[38:39], v[40:41] neg_lo:[0,0,1] neg_hi:[0,0,1]
	v_mov_b32_e32 v39, v43
	s_delay_alu instid0(VALU_DEP_1)
	v_mov_b64_e32 v[36:37], v[38:39]
	ds_store_b64 v51, v[38:39]
.LBB155_717:                            ;   in Loop: Header=BB155_3 Depth=1
	s_or_b32 exec_lo, exec_lo, s13
	s_wait_dscnt 0x0
	s_barrier_signal -1
	s_barrier_wait -1
	s_and_saveexec_b32 s13, s99
	s_cbranch_execz .LBB155_719
; %bb.718:                              ;   in Loop: Header=BB155_3 Depth=1
	ds_load_b64 v[38:39], v49 offset:23392
	ds_load_b64 v[40:41], v51
	s_wait_dscnt 0x0
	v_pk_mul_f32 v[42:43], v[40:41], v[38:39] op_sel:[1,1] op_sel_hi:[0,1]
	s_delay_alu instid0(VALU_DEP_1) | instskip(SKIP_1) | instid1(VALU_DEP_2)
	v_pk_fma_f32 v[98:99], v[40:41], v[38:39], v[42:43] op_sel_hi:[1,0,1]
	v_pk_fma_f32 v[38:39], v[40:41], v[38:39], v[42:43] neg_lo:[0,0,1] neg_hi:[0,0,1]
	v_mov_b32_e32 v39, v99
	s_delay_alu instid0(VALU_DEP_1)
	v_pk_add_f32 v[36:37], v[36:37], v[38:39]
.LBB155_719:                            ;   in Loop: Header=BB155_3 Depth=1
	s_or_b32 exec_lo, exec_lo, s13
	s_barrier_signal -1
	s_barrier_wait -1
	s_and_saveexec_b32 s13, s100
	s_cbranch_execz .LBB155_721
; %bb.720:                              ;   in Loop: Header=BB155_3 Depth=1
	ds_load_b64 v[38:39], v5 offset:23920
	s_wait_dscnt 0x0
	v_pk_mul_f32 v[40:41], v[36:37], v[38:39] op_sel:[1,1] op_sel_hi:[1,0]
	s_delay_alu instid0(VALU_DEP_1) | instskip(SKIP_1) | instid1(VALU_DEP_2)
	v_pk_fma_f32 v[42:43], v[36:37], v[38:39], v[40:41] op_sel_hi:[0,1,1]
	v_pk_fma_f32 v[38:39], v[36:37], v[38:39], v[40:41] neg_lo:[0,0,1] neg_hi:[0,0,1]
	v_mov_b32_e32 v39, v43
	s_delay_alu instid0(VALU_DEP_1)
	v_mov_b64_e32 v[36:37], v[38:39]
	ds_store_b64 v51, v[38:39]
.LBB155_721:                            ;   in Loop: Header=BB155_3 Depth=1
	s_or_b32 exec_lo, exec_lo, s13
	s_wait_dscnt 0x0
	s_barrier_signal -1
	s_barrier_wait -1
	s_and_saveexec_b32 s13, s101
	s_cbranch_execz .LBB155_723
; %bb.722:                              ;   in Loop: Header=BB155_3 Depth=1
	ds_load_b64 v[38:39], v5 offset:23928
	ds_load_b64 v[40:41], v51
	s_wait_dscnt 0x0
	v_pk_mul_f32 v[42:43], v[40:41], v[38:39] op_sel:[1,1] op_sel_hi:[0,1]
	s_delay_alu instid0(VALU_DEP_1) | instskip(SKIP_1) | instid1(VALU_DEP_2)
	v_pk_fma_f32 v[98:99], v[40:41], v[38:39], v[42:43] op_sel_hi:[1,0,1]
	v_pk_fma_f32 v[38:39], v[40:41], v[38:39], v[42:43] neg_lo:[0,0,1] neg_hi:[0,0,1]
	v_mov_b32_e32 v39, v99
	s_delay_alu instid0(VALU_DEP_1)
	v_pk_add_f32 v[36:37], v[36:37], v[38:39]
.LBB155_723:                            ;   in Loop: Header=BB155_3 Depth=1
	s_or_b32 exec_lo, exec_lo, s13
	s_barrier_signal -1
	s_barrier_wait -1
	s_and_saveexec_b32 s13, s101
	s_cbranch_execz .LBB155_725
; %bb.724:                              ;   in Loop: Header=BB155_3 Depth=1
	ds_load_b64 v[38:39], v5 offset:24440
	s_wait_dscnt 0x0
	v_pk_mul_f32 v[40:41], v[36:37], v[38:39] op_sel:[1,1] op_sel_hi:[1,0]
	s_delay_alu instid0(VALU_DEP_1) | instskip(SKIP_1) | instid1(VALU_DEP_2)
	v_pk_fma_f32 v[42:43], v[36:37], v[38:39], v[40:41] op_sel_hi:[0,1,1]
	v_pk_fma_f32 v[38:39], v[36:37], v[38:39], v[40:41] neg_lo:[0,0,1] neg_hi:[0,0,1]
	v_mov_b32_e32 v39, v43
	s_delay_alu instid0(VALU_DEP_1)
	v_mov_b64_e32 v[36:37], v[38:39]
	ds_store_b64 v51, v[38:39]
.LBB155_725:                            ;   in Loop: Header=BB155_3 Depth=1
	s_or_b32 exec_lo, exec_lo, s13
	s_wait_dscnt 0x0
	s_barrier_signal -1
	s_barrier_wait -1
	s_barrier_signal -1
	s_barrier_wait -1
	s_and_saveexec_b32 s13, s3
; %bb.726:                              ;   in Loop: Header=BB155_3 Depth=1
	v_pk_add_f32 v[36:37], v[36:37], 0 neg_lo:[1,1] neg_hi:[1,1]
	ds_store_b64 v52, v[36:37] offset:20832
; %bb.727:                              ;   in Loop: Header=BB155_3 Depth=1
	s_or_b32 exec_lo, exec_lo, s13
	s_wait_dscnt 0x0
	s_barrier_signal -1
	s_barrier_wait -1
	s_barrier_signal -1
	s_barrier_wait -1
	s_and_saveexec_b32 s13, s102
	s_cbranch_execz .LBB155_729
; %bb.728:                              ;   in Loop: Header=BB155_3 Depth=1
	ds_load_b64 v[36:37], v79 offset:20832
	s_wait_dscnt 0x0
	ds_store_b64 v81, v[36:37] offset:22848
	ds_load_b64 v[36:37], v79 offset:20840
	s_wait_dscnt 0x0
	ds_store_b64 v81, v[36:37] offset:23360
	;; [unrolled: 3-line block ×4, first 2 shown]
.LBB155_729:                            ;   in Loop: Header=BB155_3 Depth=1
	s_or_b32 exec_lo, exec_lo, s13
	s_wait_dscnt 0x0
	s_barrier_signal -1
	s_barrier_wait -1
	s_and_saveexec_b32 s13, s14
	s_cbranch_execz .LBB155_731
; %bb.730:                              ;   in Loop: Header=BB155_3 Depth=1
	ds_load_b128 v[36:39], v5 offset:22880
	ds_load_b64 v[40:41], v5 offset:23400
	s_wait_dscnt 0x1
	v_dual_mov_b32 v98, v39 :: v_dual_mov_b32 v99, v38
	s_wait_dscnt 0x0
	v_dual_mul_f32 v43, v41, v37 :: v_dual_mul_f32 v42, v40, v37
	s_delay_alu instid0(VALU_DEP_1) | instskip(NEXT) | instid1(VALU_DEP_1)
	v_xor_b32_e32 v100, 0x80000000, v43
	v_dual_fmac_f32 v42, v41, v36 :: v_dual_fmac_f32 v100, v40, v36
	s_delay_alu instid0(VALU_DEP_1) | instskip(NEXT) | instid1(VALU_DEP_1)
	v_pk_mul_f32 v[36:37], v[42:43], v[98:99] op_sel_hi:[0,1]
	v_pk_fma_f32 v[40:41], v[100:101], v[38:39], v[36:37] op_sel_hi:[0,1,1]
	v_pk_fma_f32 v[36:37], v[100:101], v[38:39], v[36:37] neg_lo:[0,0,1] neg_hi:[0,0,1]
	v_add_nc_u32_e64 v38, 0x5800, 0
	s_delay_alu instid0(VALU_DEP_3)
	v_mov_b32_e32 v37, v41
	ds_store_2addr_b64 v38, v[36:37], v[36:37] offset0:45 offset1:108
.LBB155_731:                            ;   in Loop: Header=BB155_3 Depth=1
	s_or_b32 exec_lo, exec_lo, s13
	v_mov_b32_e32 v37, 0
	s_wait_dscnt 0x0
	s_barrier_signal -1
	s_barrier_wait -1
	s_delay_alu instid0(VALU_DEP_1)
	v_mov_b32_e32 v36, v37
	s_and_saveexec_b32 s13, s1
	s_cbranch_execz .LBB155_735
; %bb.732:                              ;   in Loop: Header=BB155_3 Depth=1
	ds_load_b64 v[36:37], v45 offset:22896
	ds_load_b64 v[38:39], v46 offset:22880
	s_wait_dscnt 0x0
	v_dual_mul_f32 v40, v39, v37 :: v_dual_mul_f32 v41, v38, v37
	s_delay_alu instid0(VALU_DEP_1) | instskip(NEXT) | instid1(VALU_DEP_1)
	v_dual_fma_f32 v40, v38, v36, -v40 :: v_dual_fmac_f32 v41, v39, v36
	v_pk_add_f32 v[36:37], v[40:41], 0 op_sel_hi:[1,0]
	s_and_saveexec_b32 s56, s15
	s_cbranch_execz .LBB155_734
; %bb.733:                              ;   in Loop: Header=BB155_3 Depth=1
	ds_load_b64 v[38:39], v81 offset:23408
	ds_load_b64 v[40:41], v5 offset:22888
	s_wait_dscnt 0x0
	v_pk_mul_f32 v[42:43], v[40:41], v[38:39] op_sel:[1,1] op_sel_hi:[0,1]
	s_delay_alu instid0(VALU_DEP_1) | instskip(SKIP_1) | instid1(VALU_DEP_2)
	v_pk_fma_f32 v[98:99], v[40:41], v[38:39], v[42:43] op_sel_hi:[1,0,1]
	v_pk_fma_f32 v[38:39], v[40:41], v[38:39], v[42:43] neg_lo:[0,0,1] neg_hi:[0,0,1]
	v_mov_b32_e32 v39, v99
	s_delay_alu instid0(VALU_DEP_1)
	v_pk_add_f32 v[36:37], v[36:37], v[38:39]
.LBB155_734:                            ;   in Loop: Header=BB155_3 Depth=1
	s_or_b32 exec_lo, exec_lo, s56
	s_delay_alu instid0(VALU_DEP_1)
	v_pk_add_f32 v[36:37], v[36:37], 0 neg_lo:[1,1] neg_hi:[1,1]
.LBB155_735:                            ;   in Loop: Header=BB155_3 Depth=1
	s_or_b32 exec_lo, exec_lo, s13
	s_and_saveexec_b32 s13, s93
	s_cbranch_execz .LBB155_737
; %bb.736:                              ;   in Loop: Header=BB155_3 Depth=1
	ds_load_b64 v[38:39], v5 offset:23920
	s_wait_dscnt 0x0
	v_pk_mul_f32 v[40:41], v[36:37], v[38:39] op_sel:[1,1] op_sel_hi:[1,0]
	s_delay_alu instid0(VALU_DEP_1) | instskip(SKIP_1) | instid1(VALU_DEP_2)
	v_pk_fma_f32 v[42:43], v[36:37], v[38:39], v[40:41] op_sel_hi:[0,1,1]
	v_pk_fma_f32 v[38:39], v[36:37], v[38:39], v[40:41] neg_lo:[0,0,1] neg_hi:[0,0,1]
	v_mov_b32_e32 v39, v43
	s_delay_alu instid0(VALU_DEP_1)
	v_mov_b64_e32 v[36:37], v[38:39]
	ds_store_b64 v3, v[38:39]
.LBB155_737:                            ;   in Loop: Header=BB155_3 Depth=1
	s_or_b32 exec_lo, exec_lo, s13
	s_wait_dscnt 0x0
	s_barrier_signal -1
	s_barrier_wait -1
	s_and_saveexec_b32 s13, s94
	s_cbranch_execz .LBB155_739
; %bb.738:                              ;   in Loop: Header=BB155_3 Depth=1
	ds_load_b64 v[38:39], v5 offset:23928
	ds_load_b64 v[40:41], v3
	s_wait_dscnt 0x0
	v_pk_mul_f32 v[42:43], v[40:41], v[38:39] op_sel:[1,1] op_sel_hi:[0,1]
	s_delay_alu instid0(VALU_DEP_1) | instskip(SKIP_1) | instid1(VALU_DEP_2)
	v_pk_fma_f32 v[98:99], v[40:41], v[38:39], v[42:43] op_sel_hi:[1,0,1]
	v_pk_fma_f32 v[38:39], v[40:41], v[38:39], v[42:43] neg_lo:[0,0,1] neg_hi:[0,0,1]
	v_mov_b32_e32 v39, v99
	s_delay_alu instid0(VALU_DEP_1)
	v_pk_add_f32 v[36:37], v[36:37], v[38:39]
.LBB155_739:                            ;   in Loop: Header=BB155_3 Depth=1
	s_or_b32 exec_lo, exec_lo, s13
	s_barrier_signal -1
	s_barrier_wait -1
	s_and_saveexec_b32 s13, s94
	s_cbranch_execz .LBB155_741
; %bb.740:                              ;   in Loop: Header=BB155_3 Depth=1
	ds_load_b64 v[38:39], v5 offset:24440
	s_wait_dscnt 0x0
	v_pk_mul_f32 v[40:41], v[36:37], v[38:39] op_sel:[1,1] op_sel_hi:[1,0]
	s_delay_alu instid0(VALU_DEP_1) | instskip(SKIP_1) | instid1(VALU_DEP_2)
	v_pk_fma_f32 v[42:43], v[36:37], v[38:39], v[40:41] op_sel_hi:[0,1,1]
	v_pk_fma_f32 v[38:39], v[36:37], v[38:39], v[40:41] neg_lo:[0,0,1] neg_hi:[0,0,1]
	v_mov_b32_e32 v39, v43
	s_delay_alu instid0(VALU_DEP_1)
	v_mov_b64_e32 v[36:37], v[38:39]
	ds_store_b64 v3, v[38:39]
.LBB155_741:                            ;   in Loop: Header=BB155_3 Depth=1
	s_or_b32 exec_lo, exec_lo, s13
	s_wait_dscnt 0x0
	s_barrier_signal -1
	s_barrier_wait -1
	s_barrier_signal -1
	s_barrier_wait -1
	s_and_saveexec_b32 s13, s1
; %bb.742:                              ;   in Loop: Header=BB155_3 Depth=1
	v_pk_add_f32 v[36:37], v[36:37], 0 neg_lo:[1,1] neg_hi:[1,1]
	ds_store_b64 v45, v[36:37] offset:22896
; %bb.743:                              ;   in Loop: Header=BB155_3 Depth=1
	s_or_b32 exec_lo, exec_lo, s13
	s_wait_dscnt 0x0
	s_barrier_signal -1
	s_barrier_wait -1
	s_barrier_signal -1
	s_barrier_wait -1
	s_and_saveexec_b32 s13, s95
	s_cbranch_execz .LBB155_745
; %bb.744:                              ;   in Loop: Header=BB155_3 Depth=1
	ds_load_b64 v[36:37], v83 offset:22896
	s_wait_dscnt 0x0
	ds_store_b64 v81, v[36:37] offset:23904
	ds_load_b64 v[36:37], v83 offset:22904
	s_wait_dscnt 0x0
	ds_store_b64 v81, v[36:37] offset:24416
.LBB155_745:                            ;   in Loop: Header=BB155_3 Depth=1
	s_or_b32 exec_lo, exec_lo, s13
	s_wait_dscnt 0x0
	s_barrier_signal -1
	s_barrier_wait -1
	s_and_saveexec_b32 s13, s14
	s_cbranch_execz .LBB155_747
; %bb.746:                              ;   in Loop: Header=BB155_3 Depth=1
	ds_load_b128 v[36:39], v5 offset:23920
	ds_load_b64 v[40:41], v5 offset:24440
	s_wait_dscnt 0x1
	v_dual_mov_b32 v98, v39 :: v_dual_mov_b32 v99, v38
	s_wait_dscnt 0x0
	v_dual_mul_f32 v43, v41, v37 :: v_dual_mul_f32 v42, v40, v37
	s_delay_alu instid0(VALU_DEP_1) | instskip(NEXT) | instid1(VALU_DEP_1)
	v_xor_b32_e32 v100, 0x80000000, v43
	v_dual_fmac_f32 v42, v41, v36 :: v_dual_fmac_f32 v100, v40, v36
	s_delay_alu instid0(VALU_DEP_1) | instskip(NEXT) | instid1(VALU_DEP_1)
	v_pk_mul_f32 v[36:37], v[42:43], v[98:99] op_sel_hi:[0,1]
	v_pk_fma_f32 v[40:41], v[100:101], v[38:39], v[36:37] op_sel_hi:[0,1,1]
	v_pk_fma_f32 v[36:37], v[100:101], v[38:39], v[36:37] neg_lo:[0,0,1] neg_hi:[0,0,1]
	v_add_nc_u32_e64 v38, 0x5800, 0
	s_delay_alu instid0(VALU_DEP_3)
	v_mov_b32_e32 v37, v41
	ds_store_2addr_b64 v38, v[36:37], v[36:37] offset0:175 offset1:238
.LBB155_747:                            ;   in Loop: Header=BB155_3 Depth=1
	s_or_b32 exec_lo, exec_lo, s13
	v_mov_b32_e32 v36, 0
	s_wait_dscnt 0x0
	s_barrier_signal -1
	s_barrier_wait -1
	s_delay_alu instid0(VALU_DEP_1)
	v_mov_b32_e32 v37, v36
	s_and_saveexec_b32 s66, s5
	s_cbranch_execz .LBB155_775
; %bb.748:                              ;   in Loop: Header=BB155_3 Depth=1
	ds_load_b64 v[36:37], v65 offset:16768
	ds_load_b64 v[38:39], v62 offset:16640
	s_wait_dscnt 0x0
	v_dual_mul_f32 v40, v39, v37 :: v_dual_mul_f32 v41, v38, v37
	s_delay_alu instid0(VALU_DEP_1) | instskip(NEXT) | instid1(VALU_DEP_1)
	v_dual_fma_f32 v37, v38, v36, -v40 :: v_dual_fmac_f32 v41, v39, v36
	v_add_f32_e32 v37, 0, v37
	s_delay_alu instid0(VALU_DEP_2) | instskip(SKIP_3) | instid1(SALU_CYCLE_1)
	v_add_f32_e32 v36, 0, v41
	s_mov_b32 s13, exec_lo
	v_readlane_b32 s56, v108, 27
	s_and_b32 s56, s13, s56
	s_mov_b32 exec_lo, s56
	s_cbranch_execz .LBB155_750
; %bb.749:                              ;   in Loop: Header=BB155_3 Depth=1
	ds_load_b64 v[38:39], v66 offset:17280
	ds_load_b64 v[40:41], v62 offset:16648
	s_wait_dscnt 0x0
	v_dual_mul_f32 v42, v41, v39 :: v_dual_mul_f32 v39, v40, v39
	s_delay_alu instid0(VALU_DEP_1) | instskip(NEXT) | instid1(VALU_DEP_1)
	v_dual_fma_f32 v40, v40, v38, -v42 :: v_dual_fmac_f32 v39, v41, v38
	v_dual_add_f32 v37, v37, v40 :: v_dual_add_f32 v36, v36, v39
.LBB155_750:                            ;   in Loop: Header=BB155_3 Depth=1
	s_or_b32 exec_lo, exec_lo, s13
	s_delay_alu instid0(SALU_CYCLE_1) | instskip(SKIP_2) | instid1(SALU_CYCLE_1)
	s_mov_b32 s13, exec_lo
	v_readlane_b32 s56, v108, 28
	s_and_b32 s56, s13, s56
	s_mov_b32 exec_lo, s56
	s_cbranch_execz .LBB155_752
; %bb.751:                              ;   in Loop: Header=BB155_3 Depth=1
	ds_load_b64 v[38:39], v66 offset:17792
	ds_load_b64 v[40:41], v62 offset:16656
	s_wait_dscnt 0x0
	v_dual_mul_f32 v42, v41, v39 :: v_dual_mul_f32 v39, v40, v39
	s_delay_alu instid0(VALU_DEP_1) | instskip(NEXT) | instid1(VALU_DEP_1)
	v_dual_fma_f32 v40, v40, v38, -v42 :: v_dual_fmac_f32 v39, v41, v38
	v_dual_add_f32 v37, v37, v40 :: v_dual_add_f32 v36, v36, v39
.LBB155_752:                            ;   in Loop: Header=BB155_3 Depth=1
	s_or_b32 exec_lo, exec_lo, s13
	s_delay_alu instid0(SALU_CYCLE_1) | instskip(SKIP_2) | instid1(SALU_CYCLE_1)
	;; [unrolled: 16-line block ×10, first 2 shown]
	s_mov_b32 s13, exec_lo
	v_readlane_b32 s56, v107, 5
	s_and_b32 s56, s13, s56
	s_mov_b32 exec_lo, s56
	s_cbranch_execnz .LBB155_1146
; %bb.769:                              ;   in Loop: Header=BB155_3 Depth=1
	s_or_b32 exec_lo, exec_lo, s13
	s_and_saveexec_b32 s13, s4
	s_cbranch_execnz .LBB155_1147
.LBB155_770:                            ;   in Loop: Header=BB155_3 Depth=1
	s_or_b32 exec_lo, exec_lo, s13
	s_and_saveexec_b32 s13, s19
	s_cbranch_execnz .LBB155_1148
.LBB155_771:                            ;   in Loop: Header=BB155_3 Depth=1
	s_or_b32 exec_lo, exec_lo, s13
	s_and_saveexec_b32 s13, s21
	s_cbranch_execnz .LBB155_1149
.LBB155_772:                            ;   in Loop: Header=BB155_3 Depth=1
	s_or_b32 exec_lo, exec_lo, s13
	s_and_saveexec_b32 s13, s3
	s_cbranch_execz .LBB155_774
.LBB155_773:                            ;   in Loop: Header=BB155_3 Depth=1
	ds_load_b64 v[38:39], v47 offset:24448
	ds_load_b64 v[40:41], v5 offset:16760
	s_wait_dscnt 0x0
	v_pk_mul_f32 v[42:43], v[40:41], v[38:39] op_sel:[0,1]
	s_delay_alu instid0(VALU_DEP_1) | instskip(SKIP_1) | instid1(VALU_DEP_2)
	v_pk_fma_f32 v[98:99], v[40:41], v[38:39], v[42:43] op_sel:[1,0,0] op_sel_hi:[0,0,1] neg_lo:[0,0,1] neg_hi:[0,0,1]
	v_pk_fma_f32 v[38:39], v[40:41], v[38:39], v[42:43] op_sel:[1,0,0] op_sel_hi:[0,1,1]
	v_mov_b32_e32 v39, v99
	s_delay_alu instid0(VALU_DEP_1)
	v_pk_add_f32 v[36:37], v[36:37], v[38:39]
.LBB155_774:                            ;   in Loop: Header=BB155_3 Depth=1
	s_or_b32 exec_lo, exec_lo, s13
	s_delay_alu instid0(VALU_DEP_1) | instskip(NEXT) | instid1(VALU_DEP_1)
	v_pk_add_f32 v[38:39], v[36:37], 0 neg_lo:[1,1] neg_hi:[1,1]
	v_dual_mov_b32 v36, v39 :: v_dual_mov_b32 v37, v38
.LBB155_775:                            ;   in Loop: Header=BB155_3 Depth=1
	s_or_b32 exec_lo, exec_lo, s66
	s_delay_alu instid0(SALU_CYCLE_1) | instskip(SKIP_2) | instid1(SALU_CYCLE_1)
	s_mov_b32 s13, exec_lo
	v_readlane_b32 s56, v108, 1
	s_and_b32 s56, s13, s56
	s_mov_b32 exec_lo, s56
	s_cbranch_execz .LBB155_777
; %bb.776:                              ;   in Loop: Header=BB155_3 Depth=1
	ds_load_b64 v[38:39], v5 offset:24960
	v_dual_mov_b32 v40, v37 :: v_dual_mov_b32 v41, v36
	s_wait_dscnt 0x0
	s_delay_alu instid0(VALU_DEP_1) | instskip(NEXT) | instid1(VALU_DEP_1)
	v_dual_mul_f32 v42, v40, v38 :: v_dual_mul_f32 v98, v37, v39
	v_pk_fma_f32 v[40:41], v[40:41], v[38:39], v[42:43] op_sel_hi:[1,1,0]
	s_delay_alu instid0(VALU_DEP_2) | instskip(NEXT) | instid1(VALU_DEP_2)
	v_pk_fma_f32 v[36:37], v[36:37], v[38:39], v[98:99] op_sel_hi:[1,1,0] neg_lo:[0,0,1] neg_hi:[0,0,1]
	v_mov_b32_e32 v37, v41
	ds_store_b64 v64, v[36:37]
.LBB155_777:                            ;   in Loop: Header=BB155_3 Depth=1
	s_or_b32 exec_lo, exec_lo, s13
	s_wait_dscnt 0x0
	s_barrier_signal -1
	s_barrier_wait -1
	s_mov_b32 s13, exec_lo
	v_readlane_b32 s56, v108, 2
	s_and_b32 s56, s13, s56
	s_delay_alu instid0(SALU_CYCLE_1)
	s_mov_b32 exec_lo, s56
	s_cbranch_execz .LBB155_779
; %bb.778:                              ;   in Loop: Header=BB155_3 Depth=1
	ds_load_b64 v[38:39], v63 offset:24960
	ds_load_b64 v[40:41], v64
	s_wait_dscnt 0x0
	v_dual_mul_f32 v42, v41, v39 :: v_dual_mul_f32 v43, v40, v39
	s_delay_alu instid0(VALU_DEP_1) | instskip(NEXT) | instid1(VALU_DEP_1)
	v_dual_fma_f32 v42, v40, v38, -v42 :: v_dual_fmac_f32 v43, v41, v38
	v_pk_add_f32 v[36:37], v[36:37], v[42:43]
.LBB155_779:                            ;   in Loop: Header=BB155_3 Depth=1
	s_or_b32 exec_lo, exec_lo, s13
	s_barrier_signal -1
	s_barrier_wait -1
	s_mov_b32 s13, exec_lo
	v_readlane_b32 s56, v108, 3
	s_and_b32 s56, s13, s56
	s_delay_alu instid0(SALU_CYCLE_1)
	s_mov_b32 exec_lo, s56
	s_cbranch_execz .LBB155_781
; %bb.780:                              ;   in Loop: Header=BB155_3 Depth=1
	ds_load_b64 v[38:39], v5 offset:25480
	s_wait_dscnt 0x0
	v_pk_mul_f32 v[40:41], v[36:37], v[38:39] op_sel:[1,1] op_sel_hi:[1,0]
	s_delay_alu instid0(VALU_DEP_1) | instskip(SKIP_1) | instid1(VALU_DEP_2)
	v_pk_fma_f32 v[42:43], v[36:37], v[38:39], v[40:41] op_sel_hi:[0,1,1]
	v_pk_fma_f32 v[36:37], v[36:37], v[38:39], v[40:41] op_sel_hi:[0,1,1] neg_lo:[0,0,1] neg_hi:[0,0,1]
	v_mov_b32_e32 v37, v43
	ds_store_b64 v64, v[36:37]
.LBB155_781:                            ;   in Loop: Header=BB155_3 Depth=1
	s_or_b32 exec_lo, exec_lo, s13
	s_wait_dscnt 0x0
	s_barrier_signal -1
	s_barrier_wait -1
	s_mov_b32 s13, exec_lo
	v_readlane_b32 s56, v108, 4
	s_and_b32 s56, s13, s56
	s_delay_alu instid0(SALU_CYCLE_1)
	s_mov_b32 exec_lo, s56
	s_cbranch_execz .LBB155_783
; %bb.782:                              ;   in Loop: Header=BB155_3 Depth=1
	ds_load_b64 v[38:39], v63 offset:25472
	ds_load_b64 v[40:41], v64
	s_wait_dscnt 0x0
	v_pk_mul_f32 v[42:43], v[40:41], v[38:39] op_sel:[1,1] op_sel_hi:[0,1]
	s_delay_alu instid0(VALU_DEP_1) | instskip(SKIP_1) | instid1(VALU_DEP_2)
	v_pk_fma_f32 v[98:99], v[40:41], v[38:39], v[42:43] op_sel_hi:[1,0,1]
	v_pk_fma_f32 v[38:39], v[40:41], v[38:39], v[42:43] op_sel_hi:[1,0,1] neg_lo:[0,0,1] neg_hi:[0,0,1]
	v_mov_b32_e32 v39, v99
	s_delay_alu instid0(VALU_DEP_1)
	v_pk_add_f32 v[36:37], v[36:37], v[38:39]
.LBB155_783:                            ;   in Loop: Header=BB155_3 Depth=1
	s_or_b32 exec_lo, exec_lo, s13
	s_barrier_signal -1
	s_barrier_wait -1
	s_mov_b32 s13, exec_lo
	v_readlane_b32 s56, v108, 5
	s_and_b32 s56, s13, s56
	s_delay_alu instid0(SALU_CYCLE_1)
	s_mov_b32 exec_lo, s56
	s_cbranch_execz .LBB155_785
; %bb.784:                              ;   in Loop: Header=BB155_3 Depth=1
	ds_load_b64 v[38:39], v5 offset:26000
	s_wait_dscnt 0x0
	v_pk_mul_f32 v[40:41], v[36:37], v[38:39] op_sel:[1,1] op_sel_hi:[1,0]
	s_delay_alu instid0(VALU_DEP_1) | instskip(SKIP_1) | instid1(VALU_DEP_2)
	v_pk_fma_f32 v[42:43], v[36:37], v[38:39], v[40:41] op_sel_hi:[0,1,1]
	v_pk_fma_f32 v[36:37], v[36:37], v[38:39], v[40:41] op_sel_hi:[0,1,1] neg_lo:[0,0,1] neg_hi:[0,0,1]
	v_mov_b32_e32 v37, v43
	ds_store_b64 v64, v[36:37]
.LBB155_785:                            ;   in Loop: Header=BB155_3 Depth=1
	s_or_b32 exec_lo, exec_lo, s13
	s_wait_dscnt 0x0
	s_barrier_signal -1
	s_barrier_wait -1
	s_mov_b32 s13, exec_lo
	v_readlane_b32 s56, v108, 6
	s_and_b32 s56, s13, s56
	s_delay_alu instid0(SALU_CYCLE_1)
	s_mov_b32 exec_lo, s56
	s_cbranch_execz .LBB155_787
; %bb.786:                              ;   in Loop: Header=BB155_3 Depth=1
	ds_load_b64 v[38:39], v63 offset:25984
	ds_load_b64 v[40:41], v64
	s_wait_dscnt 0x0
	v_pk_mul_f32 v[42:43], v[40:41], v[38:39] op_sel:[1,1] op_sel_hi:[0,1]
	s_delay_alu instid0(VALU_DEP_1) | instskip(SKIP_1) | instid1(VALU_DEP_2)
	v_pk_fma_f32 v[98:99], v[40:41], v[38:39], v[42:43] op_sel_hi:[1,0,1]
	v_pk_fma_f32 v[38:39], v[40:41], v[38:39], v[42:43] op_sel_hi:[1,0,1] neg_lo:[0,0,1] neg_hi:[0,0,1]
	v_mov_b32_e32 v39, v99
	s_delay_alu instid0(VALU_DEP_1)
	v_pk_add_f32 v[36:37], v[36:37], v[38:39]
.LBB155_787:                            ;   in Loop: Header=BB155_3 Depth=1
	;; [unrolled: 41-line block ×3, first 2 shown]
	s_or_b32 exec_lo, exec_lo, s13
	s_barrier_signal -1
	s_barrier_wait -1
	s_mov_b32 s13, exec_lo
	v_readlane_b32 s56, v108, 9
	s_and_b32 s56, s13, s56
	s_delay_alu instid0(SALU_CYCLE_1)
	s_mov_b32 exec_lo, s56
	s_cbranch_execz .LBB155_793
; %bb.792:                              ;   in Loop: Header=BB155_3 Depth=1
	ds_load_b64 v[38:39], v5 offset:27040
	s_wait_dscnt 0x0
	v_dual_mul_f32 v40, v36, v39 :: v_dual_mul_f32 v42, v37, v39
	s_delay_alu instid0(VALU_DEP_1) | instskip(NEXT) | instid1(VALU_DEP_2)
	v_pk_fma_f32 v[40:41], v[36:37], v[38:39], v[40:41] op_sel:[0,1,0] op_sel_hi:[1,0,0]
	v_pk_fma_f32 v[38:39], v[36:37], v[38:39], v[42:43] op_sel_hi:[1,1,0] neg_lo:[0,0,1] neg_hi:[0,0,1]
	s_delay_alu instid0(VALU_DEP_2) | instskip(NEXT) | instid1(VALU_DEP_1)
	v_mov_b32_e32 v39, v41
	v_mov_b64_e32 v[36:37], v[38:39]
	ds_store_b64 v64, v[38:39]
.LBB155_793:                            ;   in Loop: Header=BB155_3 Depth=1
	s_or_b32 exec_lo, exec_lo, s13
	s_wait_dscnt 0x0
	s_barrier_signal -1
	s_barrier_wait -1
	s_and_saveexec_b32 s13, s60
	s_cbranch_execz .LBB155_795
; %bb.794:                              ;   in Loop: Header=BB155_3 Depth=1
	ds_load_b64 v[38:39], v63 offset:27008
	ds_load_b64 v[40:41], v64
	s_wait_dscnt 0x0
	v_dual_mul_f32 v42, v41, v39 :: v_dual_mul_f32 v43, v40, v39
	s_delay_alu instid0(VALU_DEP_1) | instskip(NEXT) | instid1(VALU_DEP_1)
	v_dual_fma_f32 v42, v40, v38, -v42 :: v_dual_fmac_f32 v43, v41, v38
	v_pk_add_f32 v[36:37], v[36:37], v[42:43]
.LBB155_795:                            ;   in Loop: Header=BB155_3 Depth=1
	s_or_b32 exec_lo, exec_lo, s13
	s_barrier_signal -1
	s_barrier_wait -1
	s_and_saveexec_b32 s13, s61
	s_cbranch_execz .LBB155_797
; %bb.796:                              ;   in Loop: Header=BB155_3 Depth=1
	ds_load_b64 v[38:39], v5 offset:27560
	s_wait_dscnt 0x0
	v_pk_mul_f32 v[40:41], v[36:37], v[38:39] op_sel:[1,1] op_sel_hi:[1,0]
	s_delay_alu instid0(VALU_DEP_1) | instskip(SKIP_1) | instid1(VALU_DEP_2)
	v_pk_fma_f32 v[42:43], v[36:37], v[38:39], v[40:41] op_sel_hi:[0,1,1]
	v_pk_fma_f32 v[36:37], v[36:37], v[38:39], v[40:41] op_sel_hi:[0,1,1] neg_lo:[0,0,1] neg_hi:[0,0,1]
	v_mov_b32_e32 v37, v43
	ds_store_b64 v64, v[36:37]
.LBB155_797:                            ;   in Loop: Header=BB155_3 Depth=1
	s_or_b32 exec_lo, exec_lo, s13
	s_wait_dscnt 0x0
	s_barrier_signal -1
	s_barrier_wait -1
	s_and_saveexec_b32 s13, s62
	s_cbranch_execz .LBB155_799
; %bb.798:                              ;   in Loop: Header=BB155_3 Depth=1
	ds_load_b64 v[38:39], v63 offset:27520
	ds_load_b64 v[40:41], v64
	s_wait_dscnt 0x0
	v_pk_mul_f32 v[42:43], v[40:41], v[38:39] op_sel:[1,1] op_sel_hi:[0,1]
	s_delay_alu instid0(VALU_DEP_1) | instskip(SKIP_1) | instid1(VALU_DEP_2)
	v_pk_fma_f32 v[98:99], v[40:41], v[38:39], v[42:43] op_sel_hi:[1,0,1]
	v_pk_fma_f32 v[38:39], v[40:41], v[38:39], v[42:43] op_sel_hi:[1,0,1] neg_lo:[0,0,1] neg_hi:[0,0,1]
	v_mov_b32_e32 v39, v99
	s_delay_alu instid0(VALU_DEP_1)
	v_pk_add_f32 v[36:37], v[36:37], v[38:39]
.LBB155_799:                            ;   in Loop: Header=BB155_3 Depth=1
	s_or_b32 exec_lo, exec_lo, s13
	s_barrier_signal -1
	s_barrier_wait -1
	s_and_saveexec_b32 s13, s63
	s_cbranch_execz .LBB155_801
; %bb.800:                              ;   in Loop: Header=BB155_3 Depth=1
	ds_load_b64 v[38:39], v5 offset:28080
	s_wait_dscnt 0x0
	v_pk_mul_f32 v[40:41], v[36:37], v[38:39] op_sel:[1,1] op_sel_hi:[1,0]
	s_delay_alu instid0(VALU_DEP_1) | instskip(SKIP_1) | instid1(VALU_DEP_2)
	v_pk_fma_f32 v[42:43], v[36:37], v[38:39], v[40:41] op_sel_hi:[0,1,1]
	v_pk_fma_f32 v[36:37], v[36:37], v[38:39], v[40:41] op_sel_hi:[0,1,1] neg_lo:[0,0,1] neg_hi:[0,0,1]
	v_mov_b32_e32 v37, v43
	ds_store_b64 v64, v[36:37]
.LBB155_801:                            ;   in Loop: Header=BB155_3 Depth=1
	s_or_b32 exec_lo, exec_lo, s13
	s_wait_dscnt 0x0
	s_barrier_signal -1
	s_barrier_wait -1
	s_and_saveexec_b32 s13, s64
	s_cbranch_execz .LBB155_803
; %bb.802:                              ;   in Loop: Header=BB155_3 Depth=1
	ds_load_b64 v[38:39], v63 offset:28032
	ds_load_b64 v[40:41], v64
	s_wait_dscnt 0x0
	v_pk_mul_f32 v[42:43], v[40:41], v[38:39] op_sel:[1,1] op_sel_hi:[0,1]
	s_delay_alu instid0(VALU_DEP_1) | instskip(SKIP_1) | instid1(VALU_DEP_2)
	v_pk_fma_f32 v[98:99], v[40:41], v[38:39], v[42:43] op_sel_hi:[1,0,1]
	v_pk_fma_f32 v[38:39], v[40:41], v[38:39], v[42:43] op_sel_hi:[1,0,1] neg_lo:[0,0,1] neg_hi:[0,0,1]
	v_mov_b32_e32 v39, v99
	s_delay_alu instid0(VALU_DEP_1)
	v_pk_add_f32 v[36:37], v[36:37], v[38:39]
.LBB155_803:                            ;   in Loop: Header=BB155_3 Depth=1
	;; [unrolled: 33-line block ×3, first 2 shown]
	s_or_b32 exec_lo, exec_lo, s13
	s_barrier_signal -1
	s_barrier_wait -1
	s_and_saveexec_b32 s13, s23
	s_cbranch_execz .LBB155_809
; %bb.808:                              ;   in Loop: Header=BB155_3 Depth=1
	ds_load_b64 v[38:39], v5 offset:29120
	s_wait_dscnt 0x0
	v_dual_mul_f32 v40, v36, v39 :: v_dual_mul_f32 v42, v37, v39
	s_delay_alu instid0(VALU_DEP_1) | instskip(NEXT) | instid1(VALU_DEP_2)
	v_pk_fma_f32 v[40:41], v[36:37], v[38:39], v[40:41] op_sel:[0,1,0] op_sel_hi:[1,0,0]
	v_pk_fma_f32 v[38:39], v[36:37], v[38:39], v[42:43] op_sel_hi:[1,1,0] neg_lo:[0,0,1] neg_hi:[0,0,1]
	s_delay_alu instid0(VALU_DEP_2) | instskip(NEXT) | instid1(VALU_DEP_1)
	v_mov_b32_e32 v39, v41
	v_mov_b64_e32 v[36:37], v[38:39]
	ds_store_b64 v64, v[38:39]
.LBB155_809:                            ;   in Loop: Header=BB155_3 Depth=1
	s_or_b32 exec_lo, exec_lo, s13
	s_wait_dscnt 0x0
	s_barrier_signal -1
	s_barrier_wait -1
	s_and_saveexec_b32 s13, s25
	s_cbranch_execz .LBB155_811
; %bb.810:                              ;   in Loop: Header=BB155_3 Depth=1
	ds_load_b64 v[38:39], v63 offset:29056
	ds_load_b64 v[40:41], v64
	s_wait_dscnt 0x0
	v_dual_mul_f32 v42, v41, v39 :: v_dual_mul_f32 v43, v40, v39
	s_delay_alu instid0(VALU_DEP_1) | instskip(NEXT) | instid1(VALU_DEP_1)
	v_dual_fma_f32 v42, v40, v38, -v42 :: v_dual_fmac_f32 v43, v41, v38
	v_pk_add_f32 v[36:37], v[36:37], v[42:43]
.LBB155_811:                            ;   in Loop: Header=BB155_3 Depth=1
	s_or_b32 exec_lo, exec_lo, s13
	s_barrier_signal -1
	s_barrier_wait -1
	s_and_saveexec_b32 s13, s27
	s_cbranch_execz .LBB155_813
; %bb.812:                              ;   in Loop: Header=BB155_3 Depth=1
	ds_load_b64 v[38:39], v5 offset:29640
	s_wait_dscnt 0x0
	v_pk_mul_f32 v[40:41], v[36:37], v[38:39] op_sel:[1,1] op_sel_hi:[1,0]
	s_delay_alu instid0(VALU_DEP_1) | instskip(SKIP_1) | instid1(VALU_DEP_2)
	v_pk_fma_f32 v[42:43], v[36:37], v[38:39], v[40:41] op_sel_hi:[0,1,1]
	v_pk_fma_f32 v[36:37], v[36:37], v[38:39], v[40:41] op_sel_hi:[0,1,1] neg_lo:[0,0,1] neg_hi:[0,0,1]
	v_mov_b32_e32 v37, v43
	ds_store_b64 v64, v[36:37]
.LBB155_813:                            ;   in Loop: Header=BB155_3 Depth=1
	s_or_b32 exec_lo, exec_lo, s13
	s_wait_dscnt 0x0
	s_barrier_signal -1
	s_barrier_wait -1
	s_and_saveexec_b32 s13, s29
	s_cbranch_execz .LBB155_815
; %bb.814:                              ;   in Loop: Header=BB155_3 Depth=1
	ds_load_b64 v[38:39], v63 offset:29568
	ds_load_b64 v[40:41], v64
	s_wait_dscnt 0x0
	v_pk_mul_f32 v[42:43], v[40:41], v[38:39] op_sel:[1,1] op_sel_hi:[0,1]
	s_delay_alu instid0(VALU_DEP_1) | instskip(SKIP_1) | instid1(VALU_DEP_2)
	v_pk_fma_f32 v[98:99], v[40:41], v[38:39], v[42:43] op_sel_hi:[1,0,1]
	v_pk_fma_f32 v[38:39], v[40:41], v[38:39], v[42:43] op_sel_hi:[1,0,1] neg_lo:[0,0,1] neg_hi:[0,0,1]
	v_mov_b32_e32 v39, v99
	s_delay_alu instid0(VALU_DEP_1)
	v_pk_add_f32 v[36:37], v[36:37], v[38:39]
.LBB155_815:                            ;   in Loop: Header=BB155_3 Depth=1
	s_or_b32 exec_lo, exec_lo, s13
	s_barrier_signal -1
	s_barrier_wait -1
	s_and_saveexec_b32 s13, s31
	s_cbranch_execz .LBB155_817
; %bb.816:                              ;   in Loop: Header=BB155_3 Depth=1
	ds_load_b64 v[38:39], v5 offset:30160
	s_wait_dscnt 0x0
	v_pk_mul_f32 v[40:41], v[36:37], v[38:39] op_sel:[1,1] op_sel_hi:[1,0]
	s_delay_alu instid0(VALU_DEP_1) | instskip(SKIP_1) | instid1(VALU_DEP_2)
	v_pk_fma_f32 v[42:43], v[36:37], v[38:39], v[40:41] op_sel_hi:[0,1,1]
	v_pk_fma_f32 v[36:37], v[36:37], v[38:39], v[40:41] op_sel_hi:[0,1,1] neg_lo:[0,0,1] neg_hi:[0,0,1]
	v_mov_b32_e32 v37, v43
	ds_store_b64 v64, v[36:37]
.LBB155_817:                            ;   in Loop: Header=BB155_3 Depth=1
	s_or_b32 exec_lo, exec_lo, s13
	s_wait_dscnt 0x0
	s_barrier_signal -1
	s_barrier_wait -1
	s_and_saveexec_b32 s13, s34
	s_cbranch_execz .LBB155_819
; %bb.818:                              ;   in Loop: Header=BB155_3 Depth=1
	ds_load_b64 v[38:39], v63 offset:30080
	ds_load_b64 v[40:41], v64
	s_wait_dscnt 0x0
	v_pk_mul_f32 v[42:43], v[40:41], v[38:39] op_sel:[1,1] op_sel_hi:[0,1]
	s_delay_alu instid0(VALU_DEP_1) | instskip(SKIP_1) | instid1(VALU_DEP_2)
	v_pk_fma_f32 v[98:99], v[40:41], v[38:39], v[42:43] op_sel_hi:[1,0,1]
	v_pk_fma_f32 v[38:39], v[40:41], v[38:39], v[42:43] op_sel_hi:[1,0,1] neg_lo:[0,0,1] neg_hi:[0,0,1]
	v_mov_b32_e32 v39, v99
	s_delay_alu instid0(VALU_DEP_1)
	v_pk_add_f32 v[36:37], v[36:37], v[38:39]
.LBB155_819:                            ;   in Loop: Header=BB155_3 Depth=1
	;; [unrolled: 33-line block ×3, first 2 shown]
	s_or_b32 exec_lo, exec_lo, s13
	s_barrier_signal -1
	s_barrier_wait -1
	s_and_saveexec_b32 s13, s26
	s_cbranch_execz .LBB155_825
; %bb.824:                              ;   in Loop: Header=BB155_3 Depth=1
	ds_load_b64 v[38:39], v5 offset:31200
	s_wait_dscnt 0x0
	v_dual_mul_f32 v40, v36, v39 :: v_dual_mul_f32 v42, v37, v39
	s_delay_alu instid0(VALU_DEP_1) | instskip(NEXT) | instid1(VALU_DEP_2)
	v_pk_fma_f32 v[40:41], v[36:37], v[38:39], v[40:41] op_sel:[0,1,0] op_sel_hi:[1,0,0]
	v_pk_fma_f32 v[38:39], v[36:37], v[38:39], v[42:43] op_sel_hi:[1,1,0] neg_lo:[0,0,1] neg_hi:[0,0,1]
	s_delay_alu instid0(VALU_DEP_2) | instskip(NEXT) | instid1(VALU_DEP_1)
	v_mov_b32_e32 v39, v41
	v_mov_b64_e32 v[36:37], v[38:39]
	ds_store_b64 v64, v[38:39]
.LBB155_825:                            ;   in Loop: Header=BB155_3 Depth=1
	s_or_b32 exec_lo, exec_lo, s13
	s_wait_dscnt 0x0
	s_barrier_signal -1
	s_barrier_wait -1
	s_and_saveexec_b32 s13, s28
	s_cbranch_execz .LBB155_827
; %bb.826:                              ;   in Loop: Header=BB155_3 Depth=1
	ds_load_b64 v[38:39], v63 offset:31104
	ds_load_b64 v[40:41], v64
	s_wait_dscnt 0x0
	v_dual_mul_f32 v42, v41, v39 :: v_dual_mul_f32 v43, v40, v39
	s_delay_alu instid0(VALU_DEP_1) | instskip(NEXT) | instid1(VALU_DEP_1)
	v_dual_fma_f32 v42, v40, v38, -v42 :: v_dual_fmac_f32 v43, v41, v38
	v_pk_add_f32 v[36:37], v[36:37], v[42:43]
.LBB155_827:                            ;   in Loop: Header=BB155_3 Depth=1
	s_or_b32 exec_lo, exec_lo, s13
	s_barrier_signal -1
	s_barrier_wait -1
	s_and_saveexec_b32 s13, s30
	s_cbranch_execz .LBB155_829
; %bb.828:                              ;   in Loop: Header=BB155_3 Depth=1
	ds_load_b64 v[38:39], v5 offset:31720
	s_wait_dscnt 0x0
	v_pk_mul_f32 v[40:41], v[36:37], v[38:39] op_sel:[1,1] op_sel_hi:[1,0]
	s_delay_alu instid0(VALU_DEP_1) | instskip(SKIP_1) | instid1(VALU_DEP_2)
	v_pk_fma_f32 v[42:43], v[36:37], v[38:39], v[40:41] op_sel_hi:[0,1,1]
	v_pk_fma_f32 v[38:39], v[36:37], v[38:39], v[40:41] neg_lo:[0,0,1] neg_hi:[0,0,1]
	v_mov_b32_e32 v39, v43
	s_delay_alu instid0(VALU_DEP_1)
	v_mov_b64_e32 v[36:37], v[38:39]
	ds_store_b64 v64, v[38:39]
.LBB155_829:                            ;   in Loop: Header=BB155_3 Depth=1
	s_or_b32 exec_lo, exec_lo, s13
	s_wait_dscnt 0x0
	s_barrier_signal -1
	s_barrier_wait -1
	s_and_saveexec_b32 s13, s33
	s_cbranch_execz .LBB155_831
; %bb.830:                              ;   in Loop: Header=BB155_3 Depth=1
	ds_load_b64 v[38:39], v63 offset:31616
	ds_load_b64 v[40:41], v64
	s_wait_dscnt 0x0
	v_pk_mul_f32 v[42:43], v[40:41], v[38:39] op_sel:[1,1] op_sel_hi:[0,1]
	s_delay_alu instid0(VALU_DEP_1) | instskip(SKIP_1) | instid1(VALU_DEP_2)
	v_pk_fma_f32 v[98:99], v[40:41], v[38:39], v[42:43] op_sel_hi:[1,0,1]
	v_pk_fma_f32 v[38:39], v[40:41], v[38:39], v[42:43] neg_lo:[0,0,1] neg_hi:[0,0,1]
	v_mov_b32_e32 v39, v99
	s_delay_alu instid0(VALU_DEP_1)
	v_pk_add_f32 v[36:37], v[36:37], v[38:39]
.LBB155_831:                            ;   in Loop: Header=BB155_3 Depth=1
	s_or_b32 exec_lo, exec_lo, s13
	s_barrier_signal -1
	s_barrier_wait -1
	s_and_saveexec_b32 s13, s91
	s_cbranch_execz .LBB155_833
; %bb.832:                              ;   in Loop: Header=BB155_3 Depth=1
	ds_load_b64 v[38:39], v5 offset:32240
	s_wait_dscnt 0x0
	v_pk_mul_f32 v[40:41], v[36:37], v[38:39] op_sel:[1,1] op_sel_hi:[1,0]
	s_delay_alu instid0(VALU_DEP_1) | instskip(SKIP_1) | instid1(VALU_DEP_2)
	v_pk_fma_f32 v[42:43], v[36:37], v[38:39], v[40:41] op_sel_hi:[0,1,1]
	v_pk_fma_f32 v[38:39], v[36:37], v[38:39], v[40:41] neg_lo:[0,0,1] neg_hi:[0,0,1]
	v_mov_b32_e32 v39, v43
	s_delay_alu instid0(VALU_DEP_1)
	v_mov_b64_e32 v[36:37], v[38:39]
	ds_store_b64 v64, v[38:39]
.LBB155_833:                            ;   in Loop: Header=BB155_3 Depth=1
	s_or_b32 exec_lo, exec_lo, s13
	s_wait_dscnt 0x0
	s_barrier_signal -1
	s_barrier_wait -1
	s_and_saveexec_b32 s13, s10
	s_cbranch_execz .LBB155_835
; %bb.834:                              ;   in Loop: Header=BB155_3 Depth=1
	ds_load_b64 v[38:39], v5 offset:32248
	ds_load_b64 v[40:41], v64
	s_wait_dscnt 0x0
	v_pk_mul_f32 v[42:43], v[40:41], v[38:39] op_sel:[1,1] op_sel_hi:[0,1]
	s_delay_alu instid0(VALU_DEP_1) | instskip(SKIP_1) | instid1(VALU_DEP_2)
	v_pk_fma_f32 v[98:99], v[40:41], v[38:39], v[42:43] op_sel_hi:[1,0,1]
	v_pk_fma_f32 v[38:39], v[40:41], v[38:39], v[42:43] neg_lo:[0,0,1] neg_hi:[0,0,1]
	v_mov_b32_e32 v39, v99
	s_delay_alu instid0(VALU_DEP_1)
	v_pk_add_f32 v[36:37], v[36:37], v[38:39]
.LBB155_835:                            ;   in Loop: Header=BB155_3 Depth=1
	s_or_b32 exec_lo, exec_lo, s13
	s_barrier_signal -1
	s_barrier_wait -1
	s_and_saveexec_b32 s13, s10
	s_cbranch_execz .LBB155_837
; %bb.836:                              ;   in Loop: Header=BB155_3 Depth=1
	ds_load_b64 v[38:39], v5 offset:32760
	s_wait_dscnt 0x0
	v_pk_mul_f32 v[40:41], v[36:37], v[38:39] op_sel:[1,1] op_sel_hi:[1,0]
	s_delay_alu instid0(VALU_DEP_1) | instskip(SKIP_1) | instid1(VALU_DEP_2)
	v_pk_fma_f32 v[42:43], v[36:37], v[38:39], v[40:41] op_sel_hi:[0,1,1]
	v_pk_fma_f32 v[38:39], v[36:37], v[38:39], v[40:41] neg_lo:[0,0,1] neg_hi:[0,0,1]
	v_mov_b32_e32 v39, v43
	s_delay_alu instid0(VALU_DEP_1)
	v_mov_b64_e32 v[36:37], v[38:39]
	ds_store_b64 v64, v[38:39]
.LBB155_837:                            ;   in Loop: Header=BB155_3 Depth=1
	s_or_b32 exec_lo, exec_lo, s13
	s_wait_dscnt 0x0
	s_barrier_signal -1
	s_barrier_wait -1
	s_barrier_signal -1
	s_barrier_wait -1
	s_and_saveexec_b32 s13, s5
; %bb.838:                              ;   in Loop: Header=BB155_3 Depth=1
	v_pk_add_f32 v[36:37], v[36:37], 0 neg_lo:[1,1] neg_hi:[1,1]
	ds_store_b64 v65, v[36:37] offset:16768
; %bb.839:                              ;   in Loop: Header=BB155_3 Depth=1
	s_or_b32 exec_lo, exec_lo, s13
	s_wait_dscnt 0x0
	s_barrier_signal -1
	s_barrier_wait -1
	s_barrier_signal -1
	s_barrier_wait -1
	s_and_saveexec_b32 s13, s51
	s_cbranch_execz .LBB155_841
; %bb.840:                              ;   in Loop: Header=BB155_3 Depth=1
	ds_load_b64 v[36:37], v50 offset:16768
	s_wait_dscnt 0x0
	ds_store_b64 v55, v[36:37] offset:24832
	ds_load_b64 v[36:37], v50 offset:16776
	s_wait_dscnt 0x0
	ds_store_b64 v55, v[36:37] offset:25344
	;; [unrolled: 3-line block ×16, first 2 shown]
.LBB155_841:                            ;   in Loop: Header=BB155_3 Depth=1
	s_or_b32 exec_lo, exec_lo, s13
	s_wait_dscnt 0x0
	s_barrier_signal -1
	s_barrier_wait -1
	s_and_saveexec_b32 s13, s14
	s_cbranch_execz .LBB155_843
; %bb.842:                              ;   in Loop: Header=BB155_3 Depth=1
	ds_load_b128 v[36:39], v5 offset:24960
	ds_load_b64 v[40:41], v5 offset:25480
	s_wait_dscnt 0x1
	v_dual_mov_b32 v98, v39 :: v_dual_mov_b32 v99, v38
	s_wait_dscnt 0x0
	v_dual_mul_f32 v43, v41, v37 :: v_dual_mul_f32 v42, v40, v37
	s_delay_alu instid0(VALU_DEP_1) | instskip(NEXT) | instid1(VALU_DEP_1)
	v_xor_b32_e32 v100, 0x80000000, v43
	v_dual_fmac_f32 v42, v41, v36 :: v_dual_fmac_f32 v100, v40, v36
	s_delay_alu instid0(VALU_DEP_1) | instskip(NEXT) | instid1(VALU_DEP_1)
	v_pk_mul_f32 v[36:37], v[42:43], v[98:99] op_sel_hi:[0,1]
	v_pk_fma_f32 v[40:41], v[100:101], v[38:39], v[36:37] op_sel_hi:[0,1,1]
	v_pk_fma_f32 v[36:37], v[100:101], v[38:39], v[36:37] neg_lo:[0,0,1] neg_hi:[0,0,1]
	v_add_nc_u32_e64 v38, 0x6000, 0
	s_delay_alu instid0(VALU_DEP_3)
	v_mov_b32_e32 v37, v41
	ds_store_2addr_b64 v38, v[36:37], v[36:37] offset0:49 offset1:112
.LBB155_843:                            ;   in Loop: Header=BB155_3 Depth=1
	s_or_b32 exec_lo, exec_lo, s13
	v_mov_b32_e32 v37, 0
	s_wait_dscnt 0x0
	s_barrier_signal -1
	s_barrier_wait -1
	s_delay_alu instid0(VALU_DEP_1)
	v_mov_b32_e32 v36, v37
	s_and_saveexec_b32 s13, s1
	s_cbranch_execz .LBB155_847
; %bb.844:                              ;   in Loop: Header=BB155_3 Depth=1
	ds_load_b64 v[36:37], v45 offset:24976
	ds_load_b64 v[38:39], v46 offset:24960
	s_wait_dscnt 0x0
	v_dual_mul_f32 v40, v39, v37 :: v_dual_mul_f32 v41, v38, v37
	s_delay_alu instid0(VALU_DEP_1) | instskip(NEXT) | instid1(VALU_DEP_1)
	v_dual_fma_f32 v40, v38, v36, -v40 :: v_dual_fmac_f32 v41, v39, v36
	v_pk_add_f32 v[36:37], v[40:41], 0 op_sel_hi:[1,0]
	s_and_saveexec_b32 s56, s15
	s_cbranch_execz .LBB155_846
; %bb.845:                              ;   in Loop: Header=BB155_3 Depth=1
	ds_load_b64 v[38:39], v47 offset:25488
	ds_load_b64 v[40:41], v5 offset:24968
	s_wait_dscnt 0x0
	v_pk_mul_f32 v[42:43], v[40:41], v[38:39] op_sel:[1,1] op_sel_hi:[0,1]
	s_delay_alu instid0(VALU_DEP_1) | instskip(SKIP_1) | instid1(VALU_DEP_2)
	v_pk_fma_f32 v[98:99], v[40:41], v[38:39], v[42:43] op_sel_hi:[1,0,1]
	v_pk_fma_f32 v[38:39], v[40:41], v[38:39], v[42:43] neg_lo:[0,0,1] neg_hi:[0,0,1]
	v_mov_b32_e32 v39, v99
	s_delay_alu instid0(VALU_DEP_1)
	v_pk_add_f32 v[36:37], v[36:37], v[38:39]
.LBB155_846:                            ;   in Loop: Header=BB155_3 Depth=1
	s_or_b32 exec_lo, exec_lo, s56
	s_delay_alu instid0(VALU_DEP_1)
	v_pk_add_f32 v[36:37], v[36:37], 0 neg_lo:[1,1] neg_hi:[1,1]
.LBB155_847:                            ;   in Loop: Header=BB155_3 Depth=1
	s_or_b32 exec_lo, exec_lo, s13
	s_and_saveexec_b32 s13, s93
	s_cbranch_execz .LBB155_849
; %bb.848:                              ;   in Loop: Header=BB155_3 Depth=1
	ds_load_b64 v[38:39], v5 offset:26000
	s_wait_dscnt 0x0
	v_pk_mul_f32 v[40:41], v[36:37], v[38:39] op_sel:[1,1] op_sel_hi:[1,0]
	s_delay_alu instid0(VALU_DEP_1) | instskip(SKIP_1) | instid1(VALU_DEP_2)
	v_pk_fma_f32 v[42:43], v[36:37], v[38:39], v[40:41] op_sel_hi:[0,1,1]
	v_pk_fma_f32 v[38:39], v[36:37], v[38:39], v[40:41] neg_lo:[0,0,1] neg_hi:[0,0,1]
	v_mov_b32_e32 v39, v43
	s_delay_alu instid0(VALU_DEP_1)
	v_mov_b64_e32 v[36:37], v[38:39]
	ds_store_b64 v3, v[38:39]
.LBB155_849:                            ;   in Loop: Header=BB155_3 Depth=1
	s_or_b32 exec_lo, exec_lo, s13
	s_wait_dscnt 0x0
	s_barrier_signal -1
	s_barrier_wait -1
	s_and_saveexec_b32 s13, s94
	s_cbranch_execz .LBB155_851
; %bb.850:                              ;   in Loop: Header=BB155_3 Depth=1
	ds_load_b64 v[38:39], v5 offset:26008
	ds_load_b64 v[40:41], v3
	s_wait_dscnt 0x0
	v_pk_mul_f32 v[42:43], v[40:41], v[38:39] op_sel:[1,1] op_sel_hi:[0,1]
	s_delay_alu instid0(VALU_DEP_1) | instskip(SKIP_1) | instid1(VALU_DEP_2)
	v_pk_fma_f32 v[98:99], v[40:41], v[38:39], v[42:43] op_sel_hi:[1,0,1]
	v_pk_fma_f32 v[38:39], v[40:41], v[38:39], v[42:43] neg_lo:[0,0,1] neg_hi:[0,0,1]
	v_mov_b32_e32 v39, v99
	s_delay_alu instid0(VALU_DEP_1)
	v_pk_add_f32 v[36:37], v[36:37], v[38:39]
.LBB155_851:                            ;   in Loop: Header=BB155_3 Depth=1
	s_or_b32 exec_lo, exec_lo, s13
	s_barrier_signal -1
	s_barrier_wait -1
	s_and_saveexec_b32 s13, s94
	s_cbranch_execz .LBB155_853
; %bb.852:                              ;   in Loop: Header=BB155_3 Depth=1
	ds_load_b64 v[38:39], v5 offset:26520
	s_wait_dscnt 0x0
	v_pk_mul_f32 v[40:41], v[36:37], v[38:39] op_sel:[1,1] op_sel_hi:[1,0]
	s_delay_alu instid0(VALU_DEP_1) | instskip(SKIP_1) | instid1(VALU_DEP_2)
	v_pk_fma_f32 v[42:43], v[36:37], v[38:39], v[40:41] op_sel_hi:[0,1,1]
	v_pk_fma_f32 v[38:39], v[36:37], v[38:39], v[40:41] neg_lo:[0,0,1] neg_hi:[0,0,1]
	v_mov_b32_e32 v39, v43
	s_delay_alu instid0(VALU_DEP_1)
	v_mov_b64_e32 v[36:37], v[38:39]
	ds_store_b64 v3, v[38:39]
.LBB155_853:                            ;   in Loop: Header=BB155_3 Depth=1
	s_or_b32 exec_lo, exec_lo, s13
	s_wait_dscnt 0x0
	s_barrier_signal -1
	s_barrier_wait -1
	s_barrier_signal -1
	s_barrier_wait -1
	s_and_saveexec_b32 s13, s1
; %bb.854:                              ;   in Loop: Header=BB155_3 Depth=1
	v_pk_add_f32 v[36:37], v[36:37], 0 neg_lo:[1,1] neg_hi:[1,1]
	ds_store_b64 v45, v[36:37] offset:24976
; %bb.855:                              ;   in Loop: Header=BB155_3 Depth=1
	s_or_b32 exec_lo, exec_lo, s13
	s_wait_dscnt 0x0
	s_barrier_signal -1
	s_barrier_wait -1
	s_barrier_signal -1
	s_barrier_wait -1
	s_and_saveexec_b32 s13, s95
	s_cbranch_execz .LBB155_857
; %bb.856:                              ;   in Loop: Header=BB155_3 Depth=1
	ds_load_b64 v[36:37], v50 offset:24976
	s_wait_dscnt 0x0
	ds_store_b64 v47, v[36:37] offset:25984
	ds_load_b64 v[36:37], v50 offset:24984
	s_wait_dscnt 0x0
	ds_store_b64 v47, v[36:37] offset:26496
.LBB155_857:                            ;   in Loop: Header=BB155_3 Depth=1
	s_or_b32 exec_lo, exec_lo, s13
	s_wait_dscnt 0x0
	s_barrier_signal -1
	s_barrier_wait -1
	s_and_saveexec_b32 s13, s14
	s_cbranch_execz .LBB155_859
; %bb.858:                              ;   in Loop: Header=BB155_3 Depth=1
	ds_load_b128 v[36:39], v5 offset:26000
	ds_load_b64 v[40:41], v5 offset:26520
	s_wait_dscnt 0x1
	v_dual_mov_b32 v98, v39 :: v_dual_mov_b32 v99, v38
	s_wait_dscnt 0x0
	v_dual_mul_f32 v43, v41, v37 :: v_dual_mul_f32 v42, v40, v37
	s_delay_alu instid0(VALU_DEP_1) | instskip(NEXT) | instid1(VALU_DEP_1)
	v_xor_b32_e32 v100, 0x80000000, v43
	v_dual_fmac_f32 v42, v41, v36 :: v_dual_fmac_f32 v100, v40, v36
	s_delay_alu instid0(VALU_DEP_1) | instskip(NEXT) | instid1(VALU_DEP_1)
	v_pk_mul_f32 v[36:37], v[42:43], v[98:99] op_sel_hi:[0,1]
	v_pk_fma_f32 v[40:41], v[100:101], v[38:39], v[36:37] op_sel_hi:[0,1,1]
	v_pk_fma_f32 v[36:37], v[100:101], v[38:39], v[36:37] neg_lo:[0,0,1] neg_hi:[0,0,1]
	v_add_nc_u32_e64 v38, 0x6000, 0
	s_delay_alu instid0(VALU_DEP_3)
	v_mov_b32_e32 v37, v41
	ds_store_2addr_b64 v38, v[36:37], v[36:37] offset0:179 offset1:242
.LBB155_859:                            ;   in Loop: Header=BB155_3 Depth=1
	s_or_b32 exec_lo, exec_lo, s13
	v_mov_b32_e32 v36, 0
	s_wait_dscnt 0x0
	s_barrier_signal -1
	s_barrier_wait -1
	s_delay_alu instid0(VALU_DEP_1)
	v_mov_b32_e32 v37, v36
	s_and_saveexec_b32 s13, s3
	s_cbranch_execz .LBB155_865
; %bb.860:                              ;   in Loop: Header=BB155_3 Depth=1
	ds_load_b64 v[36:37], v52 offset:24992
	ds_load_b64 v[38:39], v48 offset:24960
	s_wait_dscnt 0x0
	v_pk_mul_f32 v[40:41], v[38:39], v[36:37] op_sel:[0,1]
	s_delay_alu instid0(VALU_DEP_1) | instskip(SKIP_1) | instid1(VALU_DEP_2)
	v_pk_fma_f32 v[42:43], v[38:39], v[36:37], v[40:41] op_sel:[1,0,0] op_sel_hi:[0,0,1] neg_lo:[0,0,1] neg_hi:[0,0,1]
	v_pk_fma_f32 v[36:37], v[38:39], v[36:37], v[40:41] op_sel:[1,0,0] op_sel_hi:[0,1,1]
	v_mov_b32_e32 v37, v43
	s_delay_alu instid0(VALU_DEP_1)
	v_pk_add_f32 v[36:37], v[36:37], 0 op_sel_hi:[1,0]
	s_and_saveexec_b32 s56, s16
	s_cbranch_execnz .LBB155_1150
; %bb.861:                              ;   in Loop: Header=BB155_3 Depth=1
	s_or_b32 exec_lo, exec_lo, s56
	s_and_saveexec_b32 s56, s17
	s_cbranch_execnz .LBB155_1151
.LBB155_862:                            ;   in Loop: Header=BB155_3 Depth=1
	s_or_b32 exec_lo, exec_lo, s56
	s_and_saveexec_b32 s56, s1
	s_cbranch_execz .LBB155_864
.LBB155_863:                            ;   in Loop: Header=BB155_3 Depth=1
	ds_load_b64 v[38:39], v55 offset:26528
	ds_load_b64 v[40:41], v5 offset:24984
	s_wait_dscnt 0x0
	v_pk_mul_f32 v[42:43], v[40:41], v[38:39] op_sel:[0,1]
	s_delay_alu instid0(VALU_DEP_1) | instskip(SKIP_1) | instid1(VALU_DEP_2)
	v_pk_fma_f32 v[98:99], v[40:41], v[38:39], v[42:43] op_sel:[1,0,0] op_sel_hi:[0,0,1] neg_lo:[0,0,1] neg_hi:[0,0,1]
	v_pk_fma_f32 v[38:39], v[40:41], v[38:39], v[42:43] op_sel:[1,0,0] op_sel_hi:[0,1,1]
	v_mov_b32_e32 v39, v99
	s_delay_alu instid0(VALU_DEP_1)
	v_pk_add_f32 v[36:37], v[36:37], v[38:39]
.LBB155_864:                            ;   in Loop: Header=BB155_3 Depth=1
	s_or_b32 exec_lo, exec_lo, s56
	s_delay_alu instid0(VALU_DEP_1) | instskip(NEXT) | instid1(VALU_DEP_1)
	v_pk_add_f32 v[38:39], v[36:37], 0 neg_lo:[1,1] neg_hi:[1,1]
	v_dual_mov_b32 v36, v39 :: v_dual_mov_b32 v37, v38
.LBB155_865:                            ;   in Loop: Header=BB155_3 Depth=1
	s_or_b32 exec_lo, exec_lo, s13
	s_and_saveexec_b32 s13, s96
	s_cbranch_execz .LBB155_867
; %bb.866:                              ;   in Loop: Header=BB155_3 Depth=1
	ds_load_b64 v[38:39], v5 offset:27040
	v_dual_mov_b32 v40, v37 :: v_dual_mov_b32 v41, v36
	s_wait_dscnt 0x0
	s_delay_alu instid0(VALU_DEP_1) | instskip(NEXT) | instid1(VALU_DEP_1)
	v_dual_mul_f32 v42, v40, v38 :: v_dual_mul_f32 v98, v37, v39
	v_pk_fma_f32 v[40:41], v[40:41], v[38:39], v[42:43] op_sel_hi:[1,1,0]
	s_delay_alu instid0(VALU_DEP_2) | instskip(NEXT) | instid1(VALU_DEP_2)
	v_pk_fma_f32 v[36:37], v[36:37], v[38:39], v[98:99] op_sel_hi:[1,1,0] neg_lo:[0,0,1] neg_hi:[0,0,1]
	v_mov_b32_e32 v37, v41
	ds_store_b64 v51, v[36:37]
.LBB155_867:                            ;   in Loop: Header=BB155_3 Depth=1
	s_or_b32 exec_lo, exec_lo, s13
	s_wait_dscnt 0x0
	s_barrier_signal -1
	s_barrier_wait -1
	s_and_saveexec_b32 s13, s97
	s_cbranch_execz .LBB155_869
; %bb.868:                              ;   in Loop: Header=BB155_3 Depth=1
	ds_load_b64 v[38:39], v49 offset:27040
	ds_load_b64 v[40:41], v51
	s_wait_dscnt 0x0
	v_dual_mul_f32 v42, v41, v39 :: v_dual_mul_f32 v43, v40, v39
	s_delay_alu instid0(VALU_DEP_1) | instskip(NEXT) | instid1(VALU_DEP_1)
	v_dual_fma_f32 v42, v40, v38, -v42 :: v_dual_fmac_f32 v43, v41, v38
	v_pk_add_f32 v[36:37], v[36:37], v[42:43]
.LBB155_869:                            ;   in Loop: Header=BB155_3 Depth=1
	s_or_b32 exec_lo, exec_lo, s13
	s_barrier_signal -1
	s_barrier_wait -1
	s_and_saveexec_b32 s13, s98
	s_cbranch_execz .LBB155_871
; %bb.870:                              ;   in Loop: Header=BB155_3 Depth=1
	ds_load_b64 v[38:39], v5 offset:27560
	s_wait_dscnt 0x0
	v_pk_mul_f32 v[40:41], v[36:37], v[38:39] op_sel:[1,1] op_sel_hi:[1,0]
	s_delay_alu instid0(VALU_DEP_1) | instskip(SKIP_1) | instid1(VALU_DEP_2)
	v_pk_fma_f32 v[42:43], v[36:37], v[38:39], v[40:41] op_sel_hi:[0,1,1]
	v_pk_fma_f32 v[38:39], v[36:37], v[38:39], v[40:41] neg_lo:[0,0,1] neg_hi:[0,0,1]
	v_mov_b32_e32 v39, v43
	s_delay_alu instid0(VALU_DEP_1)
	v_mov_b64_e32 v[36:37], v[38:39]
	ds_store_b64 v51, v[38:39]
.LBB155_871:                            ;   in Loop: Header=BB155_3 Depth=1
	s_or_b32 exec_lo, exec_lo, s13
	s_wait_dscnt 0x0
	s_barrier_signal -1
	s_barrier_wait -1
	s_and_saveexec_b32 s13, s99
	s_cbranch_execz .LBB155_873
; %bb.872:                              ;   in Loop: Header=BB155_3 Depth=1
	ds_load_b64 v[38:39], v49 offset:27552
	ds_load_b64 v[40:41], v51
	s_wait_dscnt 0x0
	v_pk_mul_f32 v[42:43], v[40:41], v[38:39] op_sel:[1,1] op_sel_hi:[0,1]
	s_delay_alu instid0(VALU_DEP_1) | instskip(SKIP_1) | instid1(VALU_DEP_2)
	v_pk_fma_f32 v[98:99], v[40:41], v[38:39], v[42:43] op_sel_hi:[1,0,1]
	v_pk_fma_f32 v[38:39], v[40:41], v[38:39], v[42:43] neg_lo:[0,0,1] neg_hi:[0,0,1]
	v_mov_b32_e32 v39, v99
	s_delay_alu instid0(VALU_DEP_1)
	v_pk_add_f32 v[36:37], v[36:37], v[38:39]
.LBB155_873:                            ;   in Loop: Header=BB155_3 Depth=1
	s_or_b32 exec_lo, exec_lo, s13
	s_barrier_signal -1
	s_barrier_wait -1
	s_and_saveexec_b32 s13, s100
	s_cbranch_execz .LBB155_875
; %bb.874:                              ;   in Loop: Header=BB155_3 Depth=1
	ds_load_b64 v[38:39], v5 offset:28080
	s_wait_dscnt 0x0
	v_pk_mul_f32 v[40:41], v[36:37], v[38:39] op_sel:[1,1] op_sel_hi:[1,0]
	s_delay_alu instid0(VALU_DEP_1) | instskip(SKIP_1) | instid1(VALU_DEP_2)
	v_pk_fma_f32 v[42:43], v[36:37], v[38:39], v[40:41] op_sel_hi:[0,1,1]
	v_pk_fma_f32 v[38:39], v[36:37], v[38:39], v[40:41] neg_lo:[0,0,1] neg_hi:[0,0,1]
	v_mov_b32_e32 v39, v43
	s_delay_alu instid0(VALU_DEP_1)
	v_mov_b64_e32 v[36:37], v[38:39]
	ds_store_b64 v51, v[38:39]
.LBB155_875:                            ;   in Loop: Header=BB155_3 Depth=1
	s_or_b32 exec_lo, exec_lo, s13
	s_wait_dscnt 0x0
	s_barrier_signal -1
	s_barrier_wait -1
	s_and_saveexec_b32 s13, s101
	s_cbranch_execz .LBB155_877
; %bb.876:                              ;   in Loop: Header=BB155_3 Depth=1
	ds_load_b64 v[38:39], v5 offset:28088
	ds_load_b64 v[40:41], v51
	s_wait_dscnt 0x0
	v_pk_mul_f32 v[42:43], v[40:41], v[38:39] op_sel:[1,1] op_sel_hi:[0,1]
	s_delay_alu instid0(VALU_DEP_1) | instskip(SKIP_1) | instid1(VALU_DEP_2)
	v_pk_fma_f32 v[98:99], v[40:41], v[38:39], v[42:43] op_sel_hi:[1,0,1]
	v_pk_fma_f32 v[38:39], v[40:41], v[38:39], v[42:43] neg_lo:[0,0,1] neg_hi:[0,0,1]
	v_mov_b32_e32 v39, v99
	s_delay_alu instid0(VALU_DEP_1)
	v_pk_add_f32 v[36:37], v[36:37], v[38:39]
.LBB155_877:                            ;   in Loop: Header=BB155_3 Depth=1
	s_or_b32 exec_lo, exec_lo, s13
	s_barrier_signal -1
	s_barrier_wait -1
	s_and_saveexec_b32 s13, s101
	s_cbranch_execz .LBB155_879
; %bb.878:                              ;   in Loop: Header=BB155_3 Depth=1
	ds_load_b64 v[38:39], v5 offset:28600
	s_wait_dscnt 0x0
	v_pk_mul_f32 v[40:41], v[36:37], v[38:39] op_sel:[1,1] op_sel_hi:[1,0]
	s_delay_alu instid0(VALU_DEP_1) | instskip(SKIP_1) | instid1(VALU_DEP_2)
	v_pk_fma_f32 v[42:43], v[36:37], v[38:39], v[40:41] op_sel_hi:[0,1,1]
	v_pk_fma_f32 v[38:39], v[36:37], v[38:39], v[40:41] neg_lo:[0,0,1] neg_hi:[0,0,1]
	v_mov_b32_e32 v39, v43
	s_delay_alu instid0(VALU_DEP_1)
	v_mov_b64_e32 v[36:37], v[38:39]
	ds_store_b64 v51, v[38:39]
.LBB155_879:                            ;   in Loop: Header=BB155_3 Depth=1
	s_or_b32 exec_lo, exec_lo, s13
	s_wait_dscnt 0x0
	s_barrier_signal -1
	s_barrier_wait -1
	s_barrier_signal -1
	s_barrier_wait -1
	s_and_saveexec_b32 s13, s3
; %bb.880:                              ;   in Loop: Header=BB155_3 Depth=1
	v_pk_add_f32 v[36:37], v[36:37], 0 neg_lo:[1,1] neg_hi:[1,1]
	ds_store_b64 v52, v[36:37] offset:24992
; %bb.881:                              ;   in Loop: Header=BB155_3 Depth=1
	s_or_b32 exec_lo, exec_lo, s13
	s_wait_dscnt 0x0
	s_barrier_signal -1
	s_barrier_wait -1
	s_barrier_signal -1
	s_barrier_wait -1
	s_and_saveexec_b32 s13, s102
	s_cbranch_execz .LBB155_883
; %bb.882:                              ;   in Loop: Header=BB155_3 Depth=1
	ds_load_b64 v[36:37], v57 offset:24992
	s_wait_dscnt 0x0
	ds_store_b64 v70, v[36:37] offset:27008
	ds_load_b64 v[36:37], v57 offset:25000
	s_wait_dscnt 0x0
	ds_store_b64 v70, v[36:37] offset:27520
	;; [unrolled: 3-line block ×4, first 2 shown]
.LBB155_883:                            ;   in Loop: Header=BB155_3 Depth=1
	s_or_b32 exec_lo, exec_lo, s13
	s_wait_dscnt 0x0
	s_barrier_signal -1
	s_barrier_wait -1
	s_and_saveexec_b32 s13, s14
	s_cbranch_execz .LBB155_885
; %bb.884:                              ;   in Loop: Header=BB155_3 Depth=1
	ds_load_b128 v[36:39], v5 offset:27040
	ds_load_b64 v[40:41], v5 offset:27560
	s_wait_dscnt 0x1
	v_dual_mov_b32 v98, v39 :: v_dual_mov_b32 v99, v38
	s_wait_dscnt 0x0
	v_dual_mul_f32 v43, v41, v37 :: v_dual_mul_f32 v42, v40, v37
	s_delay_alu instid0(VALU_DEP_1) | instskip(NEXT) | instid1(VALU_DEP_1)
	v_xor_b32_e32 v100, 0x80000000, v43
	v_dual_fmac_f32 v42, v41, v36 :: v_dual_fmac_f32 v100, v40, v36
	s_delay_alu instid0(VALU_DEP_1) | instskip(NEXT) | instid1(VALU_DEP_1)
	v_pk_mul_f32 v[36:37], v[42:43], v[98:99] op_sel_hi:[0,1]
	v_pk_fma_f32 v[40:41], v[100:101], v[38:39], v[36:37] op_sel_hi:[0,1,1]
	v_pk_fma_f32 v[36:37], v[100:101], v[38:39], v[36:37] neg_lo:[0,0,1] neg_hi:[0,0,1]
	v_add_nc_u32_e64 v38, 0x6800, 0
	s_delay_alu instid0(VALU_DEP_3)
	v_mov_b32_e32 v37, v41
	ds_store_2addr_b64 v38, v[36:37], v[36:37] offset0:53 offset1:116
.LBB155_885:                            ;   in Loop: Header=BB155_3 Depth=1
	s_or_b32 exec_lo, exec_lo, s13
	v_mov_b32_e32 v37, 0
	s_wait_dscnt 0x0
	s_barrier_signal -1
	s_barrier_wait -1
	s_delay_alu instid0(VALU_DEP_1)
	v_mov_b32_e32 v36, v37
	s_and_saveexec_b32 s13, s1
	s_cbranch_execz .LBB155_889
; %bb.886:                              ;   in Loop: Header=BB155_3 Depth=1
	ds_load_b64 v[36:37], v45 offset:27056
	ds_load_b64 v[38:39], v46 offset:27040
	s_wait_dscnt 0x0
	v_dual_mul_f32 v40, v39, v37 :: v_dual_mul_f32 v41, v38, v37
	s_delay_alu instid0(VALU_DEP_1) | instskip(NEXT) | instid1(VALU_DEP_1)
	v_dual_fma_f32 v40, v38, v36, -v40 :: v_dual_fmac_f32 v41, v39, v36
	v_pk_add_f32 v[36:37], v[40:41], 0 op_sel_hi:[1,0]
	s_and_saveexec_b32 s56, s15
	s_cbranch_execz .LBB155_888
; %bb.887:                              ;   in Loop: Header=BB155_3 Depth=1
	ds_load_b64 v[38:39], v70 offset:27568
	ds_load_b64 v[40:41], v5 offset:27048
	s_wait_dscnt 0x0
	v_pk_mul_f32 v[42:43], v[40:41], v[38:39] op_sel:[1,1] op_sel_hi:[0,1]
	s_delay_alu instid0(VALU_DEP_1) | instskip(SKIP_1) | instid1(VALU_DEP_2)
	v_pk_fma_f32 v[98:99], v[40:41], v[38:39], v[42:43] op_sel_hi:[1,0,1]
	v_pk_fma_f32 v[38:39], v[40:41], v[38:39], v[42:43] neg_lo:[0,0,1] neg_hi:[0,0,1]
	v_mov_b32_e32 v39, v99
	s_delay_alu instid0(VALU_DEP_1)
	v_pk_add_f32 v[36:37], v[36:37], v[38:39]
.LBB155_888:                            ;   in Loop: Header=BB155_3 Depth=1
	s_or_b32 exec_lo, exec_lo, s56
	s_delay_alu instid0(VALU_DEP_1)
	v_pk_add_f32 v[36:37], v[36:37], 0 neg_lo:[1,1] neg_hi:[1,1]
.LBB155_889:                            ;   in Loop: Header=BB155_3 Depth=1
	s_or_b32 exec_lo, exec_lo, s13
	s_and_saveexec_b32 s13, s93
	s_cbranch_execz .LBB155_891
; %bb.890:                              ;   in Loop: Header=BB155_3 Depth=1
	ds_load_b64 v[38:39], v5 offset:28080
	s_wait_dscnt 0x0
	v_pk_mul_f32 v[40:41], v[36:37], v[38:39] op_sel:[1,1] op_sel_hi:[1,0]
	s_delay_alu instid0(VALU_DEP_1) | instskip(SKIP_1) | instid1(VALU_DEP_2)
	v_pk_fma_f32 v[42:43], v[36:37], v[38:39], v[40:41] op_sel_hi:[0,1,1]
	v_pk_fma_f32 v[38:39], v[36:37], v[38:39], v[40:41] neg_lo:[0,0,1] neg_hi:[0,0,1]
	v_mov_b32_e32 v39, v43
	s_delay_alu instid0(VALU_DEP_1)
	v_mov_b64_e32 v[36:37], v[38:39]
	ds_store_b64 v3, v[38:39]
.LBB155_891:                            ;   in Loop: Header=BB155_3 Depth=1
	s_or_b32 exec_lo, exec_lo, s13
	s_wait_dscnt 0x0
	s_barrier_signal -1
	s_barrier_wait -1
	s_and_saveexec_b32 s13, s94
	s_cbranch_execz .LBB155_893
; %bb.892:                              ;   in Loop: Header=BB155_3 Depth=1
	ds_load_b64 v[38:39], v5 offset:28088
	ds_load_b64 v[40:41], v3
	s_wait_dscnt 0x0
	v_pk_mul_f32 v[42:43], v[40:41], v[38:39] op_sel:[1,1] op_sel_hi:[0,1]
	s_delay_alu instid0(VALU_DEP_1) | instskip(SKIP_1) | instid1(VALU_DEP_2)
	v_pk_fma_f32 v[98:99], v[40:41], v[38:39], v[42:43] op_sel_hi:[1,0,1]
	v_pk_fma_f32 v[38:39], v[40:41], v[38:39], v[42:43] neg_lo:[0,0,1] neg_hi:[0,0,1]
	v_mov_b32_e32 v39, v99
	s_delay_alu instid0(VALU_DEP_1)
	v_pk_add_f32 v[36:37], v[36:37], v[38:39]
.LBB155_893:                            ;   in Loop: Header=BB155_3 Depth=1
	s_or_b32 exec_lo, exec_lo, s13
	s_barrier_signal -1
	s_barrier_wait -1
	s_and_saveexec_b32 s13, s94
	s_cbranch_execz .LBB155_895
; %bb.894:                              ;   in Loop: Header=BB155_3 Depth=1
	ds_load_b64 v[38:39], v5 offset:28600
	s_wait_dscnt 0x0
	v_pk_mul_f32 v[40:41], v[36:37], v[38:39] op_sel:[1,1] op_sel_hi:[1,0]
	s_delay_alu instid0(VALU_DEP_1) | instskip(SKIP_1) | instid1(VALU_DEP_2)
	v_pk_fma_f32 v[42:43], v[36:37], v[38:39], v[40:41] op_sel_hi:[0,1,1]
	v_pk_fma_f32 v[38:39], v[36:37], v[38:39], v[40:41] neg_lo:[0,0,1] neg_hi:[0,0,1]
	v_mov_b32_e32 v39, v43
	s_delay_alu instid0(VALU_DEP_1)
	v_mov_b64_e32 v[36:37], v[38:39]
	ds_store_b64 v3, v[38:39]
.LBB155_895:                            ;   in Loop: Header=BB155_3 Depth=1
	s_or_b32 exec_lo, exec_lo, s13
	s_wait_dscnt 0x0
	s_barrier_signal -1
	s_barrier_wait -1
	s_barrier_signal -1
	s_barrier_wait -1
	s_and_saveexec_b32 s13, s1
; %bb.896:                              ;   in Loop: Header=BB155_3 Depth=1
	v_pk_add_f32 v[36:37], v[36:37], 0 neg_lo:[1,1] neg_hi:[1,1]
	ds_store_b64 v45, v[36:37] offset:27056
; %bb.897:                              ;   in Loop: Header=BB155_3 Depth=1
	s_or_b32 exec_lo, exec_lo, s13
	s_wait_dscnt 0x0
	s_barrier_signal -1
	s_barrier_wait -1
	s_barrier_signal -1
	s_barrier_wait -1
	s_and_saveexec_b32 s13, s95
	s_cbranch_execz .LBB155_899
; %bb.898:                              ;   in Loop: Header=BB155_3 Depth=1
	ds_load_b64 v[36:37], v71 offset:27056
	s_wait_dscnt 0x0
	ds_store_b64 v70, v[36:37] offset:28064
	ds_load_b64 v[36:37], v71 offset:27064
	s_wait_dscnt 0x0
	ds_store_b64 v70, v[36:37] offset:28576
.LBB155_899:                            ;   in Loop: Header=BB155_3 Depth=1
	s_or_b32 exec_lo, exec_lo, s13
	s_wait_dscnt 0x0
	s_barrier_signal -1
	s_barrier_wait -1
	s_and_saveexec_b32 s13, s14
	s_cbranch_execz .LBB155_901
; %bb.900:                              ;   in Loop: Header=BB155_3 Depth=1
	ds_load_b128 v[36:39], v5 offset:28080
	ds_load_b64 v[40:41], v5 offset:28600
	s_wait_dscnt 0x1
	v_dual_mov_b32 v98, v39 :: v_dual_mov_b32 v99, v38
	s_wait_dscnt 0x0
	v_dual_mul_f32 v43, v41, v37 :: v_dual_mul_f32 v42, v40, v37
	s_delay_alu instid0(VALU_DEP_1) | instskip(NEXT) | instid1(VALU_DEP_1)
	v_xor_b32_e32 v100, 0x80000000, v43
	v_dual_fmac_f32 v42, v41, v36 :: v_dual_fmac_f32 v100, v40, v36
	s_delay_alu instid0(VALU_DEP_1) | instskip(NEXT) | instid1(VALU_DEP_1)
	v_pk_mul_f32 v[36:37], v[42:43], v[98:99] op_sel_hi:[0,1]
	v_pk_fma_f32 v[40:41], v[100:101], v[38:39], v[36:37] op_sel_hi:[0,1,1]
	v_pk_fma_f32 v[36:37], v[100:101], v[38:39], v[36:37] neg_lo:[0,0,1] neg_hi:[0,0,1]
	v_add_nc_u32_e64 v38, 0x6800, 0
	s_delay_alu instid0(VALU_DEP_3)
	v_mov_b32_e32 v37, v41
	ds_store_2addr_b64 v38, v[36:37], v[36:37] offset0:183 offset1:246
.LBB155_901:                            ;   in Loop: Header=BB155_3 Depth=1
	s_or_b32 exec_lo, exec_lo, s13
	v_mov_b32_e32 v36, 0
	s_wait_dscnt 0x0
	s_barrier_signal -1
	s_barrier_wait -1
	s_delay_alu instid0(VALU_DEP_1)
	v_mov_b32_e32 v37, v36
	s_and_saveexec_b32 s13, s4
	s_cbranch_execz .LBB155_911
; %bb.902:                              ;   in Loop: Header=BB155_3 Depth=1
	ds_load_b64 v[36:37], v60 offset:25024
	ds_load_b64 v[38:39], v56 offset:24960
	s_wait_dscnt 0x0
	v_dual_mul_f32 v40, v39, v37 :: v_dual_mul_f32 v41, v38, v37
	s_delay_alu instid0(VALU_DEP_1) | instskip(NEXT) | instid1(VALU_DEP_1)
	v_dual_fma_f32 v37, v38, v36, -v40 :: v_dual_fmac_f32 v41, v39, v36
	v_add_f32_e32 v37, 0, v37
	s_delay_alu instid0(VALU_DEP_2)
	v_add_f32_e32 v36, 0, v41
	s_and_saveexec_b32 s56, s18
	s_cbranch_execnz .LBB155_1152
; %bb.903:                              ;   in Loop: Header=BB155_3 Depth=1
	s_or_b32 exec_lo, exec_lo, s56
	s_and_saveexec_b32 s56, s19
	s_cbranch_execnz .LBB155_1153
.LBB155_904:                            ;   in Loop: Header=BB155_3 Depth=1
	s_or_b32 exec_lo, exec_lo, s56
	s_and_saveexec_b32 s56, s20
	s_cbranch_execnz .LBB155_1154
.LBB155_905:                            ;   in Loop: Header=BB155_3 Depth=1
	s_or_b32 exec_lo, exec_lo, s56
	s_and_saveexec_b32 s56, s21
	s_cbranch_execnz .LBB155_1155
.LBB155_906:                            ;   in Loop: Header=BB155_3 Depth=1
	s_or_b32 exec_lo, exec_lo, s56
	s_and_saveexec_b32 s56, s22
	s_cbranch_execnz .LBB155_1156
.LBB155_907:                            ;   in Loop: Header=BB155_3 Depth=1
	s_or_b32 exec_lo, exec_lo, s56
	s_and_saveexec_b32 s56, s3
	s_cbranch_execnz .LBB155_1157
.LBB155_908:                            ;   in Loop: Header=BB155_3 Depth=1
	s_or_b32 exec_lo, exec_lo, s56
	s_and_saveexec_b32 s56, s17
	s_cbranch_execz .LBB155_910
.LBB155_909:                            ;   in Loop: Header=BB155_3 Depth=1
	ds_load_b64 v[38:39], v72 offset:28608
	ds_load_b64 v[40:41], v5 offset:25016
	s_wait_dscnt 0x0
	v_pk_mul_f32 v[42:43], v[40:41], v[38:39] op_sel:[0,1]
	s_delay_alu instid0(VALU_DEP_1) | instskip(SKIP_1) | instid1(VALU_DEP_2)
	v_pk_fma_f32 v[98:99], v[40:41], v[38:39], v[42:43] op_sel:[1,0,0] op_sel_hi:[0,0,1] neg_lo:[0,0,1] neg_hi:[0,0,1]
	v_pk_fma_f32 v[38:39], v[40:41], v[38:39], v[42:43] op_sel:[1,0,0] op_sel_hi:[0,1,1]
	v_mov_b32_e32 v39, v99
	s_delay_alu instid0(VALU_DEP_1)
	v_pk_add_f32 v[36:37], v[36:37], v[38:39]
.LBB155_910:                            ;   in Loop: Header=BB155_3 Depth=1
	s_or_b32 exec_lo, exec_lo, s56
	s_delay_alu instid0(VALU_DEP_1) | instskip(NEXT) | instid1(VALU_DEP_1)
	v_pk_add_f32 v[38:39], v[36:37], 0 neg_lo:[1,1] neg_hi:[1,1]
	v_dual_mov_b32 v36, v39 :: v_dual_mov_b32 v37, v38
.LBB155_911:                            ;   in Loop: Header=BB155_3 Depth=1
	s_or_b32 exec_lo, exec_lo, s13
	s_and_saveexec_b32 s13, s103
	s_cbranch_execz .LBB155_913
; %bb.912:                              ;   in Loop: Header=BB155_3 Depth=1
	ds_load_b64 v[38:39], v5 offset:29120
	v_dual_mov_b32 v40, v37 :: v_dual_mov_b32 v41, v36
	s_wait_dscnt 0x0
	s_delay_alu instid0(VALU_DEP_1) | instskip(NEXT) | instid1(VALU_DEP_1)
	v_dual_mul_f32 v42, v40, v38 :: v_dual_mul_f32 v98, v37, v39
	v_pk_fma_f32 v[40:41], v[40:41], v[38:39], v[42:43] op_sel_hi:[1,1,0]
	s_delay_alu instid0(VALU_DEP_2) | instskip(NEXT) | instid1(VALU_DEP_2)
	v_pk_fma_f32 v[36:37], v[36:37], v[38:39], v[98:99] op_sel_hi:[1,1,0] neg_lo:[0,0,1] neg_hi:[0,0,1]
	v_mov_b32_e32 v37, v41
	ds_store_b64 v59, v[36:37]
.LBB155_913:                            ;   in Loop: Header=BB155_3 Depth=1
	s_or_b32 exec_lo, exec_lo, s13
	s_wait_dscnt 0x0
	s_barrier_signal -1
	s_barrier_wait -1
	s_and_saveexec_b32 s13, s104
	s_cbranch_execz .LBB155_915
; %bb.914:                              ;   in Loop: Header=BB155_3 Depth=1
	ds_load_b64 v[38:39], v58 offset:29120
	ds_load_b64 v[40:41], v59
	s_wait_dscnt 0x0
	v_dual_mul_f32 v42, v41, v39 :: v_dual_mul_f32 v43, v40, v39
	s_delay_alu instid0(VALU_DEP_1) | instskip(NEXT) | instid1(VALU_DEP_1)
	v_dual_fma_f32 v42, v40, v38, -v42 :: v_dual_fmac_f32 v43, v41, v38
	v_pk_add_f32 v[36:37], v[36:37], v[42:43]
.LBB155_915:                            ;   in Loop: Header=BB155_3 Depth=1
	s_or_b32 exec_lo, exec_lo, s13
	s_barrier_signal -1
	s_barrier_wait -1
	s_and_saveexec_b32 s13, vcc_hi
	s_cbranch_execz .LBB155_917
; %bb.916:                              ;   in Loop: Header=BB155_3 Depth=1
	ds_load_b64 v[38:39], v5 offset:29640
	s_wait_dscnt 0x0
	v_pk_mul_f32 v[40:41], v[36:37], v[38:39] op_sel:[1,1] op_sel_hi:[1,0]
	s_delay_alu instid0(VALU_DEP_1) | instskip(SKIP_1) | instid1(VALU_DEP_2)
	v_pk_fma_f32 v[42:43], v[36:37], v[38:39], v[40:41] op_sel_hi:[0,1,1]
	v_pk_fma_f32 v[36:37], v[36:37], v[38:39], v[40:41] op_sel_hi:[0,1,1] neg_lo:[0,0,1] neg_hi:[0,0,1]
	v_mov_b32_e32 v37, v43
	ds_store_b64 v59, v[36:37]
.LBB155_917:                            ;   in Loop: Header=BB155_3 Depth=1
	s_or_b32 exec_lo, exec_lo, s13
	s_wait_dscnt 0x0
	s_barrier_signal -1
	s_barrier_wait -1
	s_and_saveexec_b32 s13, s39
	s_cbranch_execz .LBB155_919
; %bb.918:                              ;   in Loop: Header=BB155_3 Depth=1
	ds_load_b64 v[38:39], v58 offset:29632
	ds_load_b64 v[40:41], v59
	s_wait_dscnt 0x0
	v_pk_mul_f32 v[42:43], v[40:41], v[38:39] op_sel:[1,1] op_sel_hi:[0,1]
	s_delay_alu instid0(VALU_DEP_1) | instskip(SKIP_1) | instid1(VALU_DEP_2)
	v_pk_fma_f32 v[98:99], v[40:41], v[38:39], v[42:43] op_sel_hi:[1,0,1]
	v_pk_fma_f32 v[38:39], v[40:41], v[38:39], v[42:43] op_sel_hi:[1,0,1] neg_lo:[0,0,1] neg_hi:[0,0,1]
	v_mov_b32_e32 v39, v99
	s_delay_alu instid0(VALU_DEP_1)
	v_pk_add_f32 v[36:37], v[36:37], v[38:39]
.LBB155_919:                            ;   in Loop: Header=BB155_3 Depth=1
	s_or_b32 exec_lo, exec_lo, s13
	s_barrier_signal -1
	s_barrier_wait -1
	s_and_saveexec_b32 s13, s40
	s_cbranch_execz .LBB155_921
; %bb.920:                              ;   in Loop: Header=BB155_3 Depth=1
	ds_load_b64 v[38:39], v5 offset:30160
	s_wait_dscnt 0x0
	v_pk_mul_f32 v[40:41], v[36:37], v[38:39] op_sel:[1,1] op_sel_hi:[1,0]
	s_delay_alu instid0(VALU_DEP_1) | instskip(SKIP_1) | instid1(VALU_DEP_2)
	v_pk_fma_f32 v[42:43], v[36:37], v[38:39], v[40:41] op_sel_hi:[0,1,1]
	v_pk_fma_f32 v[36:37], v[36:37], v[38:39], v[40:41] op_sel_hi:[0,1,1] neg_lo:[0,0,1] neg_hi:[0,0,1]
	v_mov_b32_e32 v37, v43
	ds_store_b64 v59, v[36:37]
.LBB155_921:                            ;   in Loop: Header=BB155_3 Depth=1
	s_or_b32 exec_lo, exec_lo, s13
	s_wait_dscnt 0x0
	s_barrier_signal -1
	s_barrier_wait -1
	s_and_saveexec_b32 s13, s41
	s_cbranch_execz .LBB155_923
; %bb.922:                              ;   in Loop: Header=BB155_3 Depth=1
	ds_load_b64 v[38:39], v58 offset:30144
	ds_load_b64 v[40:41], v59
	s_wait_dscnt 0x0
	v_pk_mul_f32 v[42:43], v[40:41], v[38:39] op_sel:[1,1] op_sel_hi:[0,1]
	s_delay_alu instid0(VALU_DEP_1) | instskip(SKIP_1) | instid1(VALU_DEP_2)
	v_pk_fma_f32 v[98:99], v[40:41], v[38:39], v[42:43] op_sel_hi:[1,0,1]
	v_pk_fma_f32 v[38:39], v[40:41], v[38:39], v[42:43] op_sel_hi:[1,0,1] neg_lo:[0,0,1] neg_hi:[0,0,1]
	v_mov_b32_e32 v39, v99
	s_delay_alu instid0(VALU_DEP_1)
	v_pk_add_f32 v[36:37], v[36:37], v[38:39]
.LBB155_923:                            ;   in Loop: Header=BB155_3 Depth=1
	s_or_b32 exec_lo, exec_lo, s13
	s_barrier_signal -1
	s_barrier_wait -1
	s_and_saveexec_b32 s13, s42
	;; [unrolled: 33-line block ×3, first 2 shown]
	s_cbranch_execz .LBB155_929
; %bb.928:                              ;   in Loop: Header=BB155_3 Depth=1
	ds_load_b64 v[38:39], v5 offset:31200
	s_wait_dscnt 0x0
	v_dual_mul_f32 v40, v36, v39 :: v_dual_mul_f32 v42, v37, v39
	s_delay_alu instid0(VALU_DEP_1) | instskip(NEXT) | instid1(VALU_DEP_2)
	v_pk_fma_f32 v[40:41], v[36:37], v[38:39], v[40:41] op_sel:[0,1,0] op_sel_hi:[1,0,0]
	v_pk_fma_f32 v[38:39], v[36:37], v[38:39], v[42:43] op_sel_hi:[1,1,0] neg_lo:[0,0,1] neg_hi:[0,0,1]
	s_delay_alu instid0(VALU_DEP_2) | instskip(NEXT) | instid1(VALU_DEP_1)
	v_mov_b32_e32 v39, v41
	v_mov_b64_e32 v[36:37], v[38:39]
	ds_store_b64 v59, v[38:39]
.LBB155_929:                            ;   in Loop: Header=BB155_3 Depth=1
	s_or_b32 exec_lo, exec_lo, s13
	s_wait_dscnt 0x0
	s_barrier_signal -1
	s_barrier_wait -1
	s_and_saveexec_b32 s13, s45
	s_cbranch_execz .LBB155_931
; %bb.930:                              ;   in Loop: Header=BB155_3 Depth=1
	ds_load_b64 v[38:39], v58 offset:31168
	ds_load_b64 v[40:41], v59
	s_wait_dscnt 0x0
	v_dual_mul_f32 v42, v41, v39 :: v_dual_mul_f32 v43, v40, v39
	s_delay_alu instid0(VALU_DEP_1) | instskip(NEXT) | instid1(VALU_DEP_1)
	v_dual_fma_f32 v42, v40, v38, -v42 :: v_dual_fmac_f32 v43, v41, v38
	v_pk_add_f32 v[36:37], v[36:37], v[42:43]
.LBB155_931:                            ;   in Loop: Header=BB155_3 Depth=1
	s_or_b32 exec_lo, exec_lo, s13
	s_barrier_signal -1
	s_barrier_wait -1
	s_and_saveexec_b32 s13, s46
	s_cbranch_execz .LBB155_933
; %bb.932:                              ;   in Loop: Header=BB155_3 Depth=1
	ds_load_b64 v[38:39], v5 offset:31720
	s_wait_dscnt 0x0
	v_pk_mul_f32 v[40:41], v[36:37], v[38:39] op_sel:[1,1] op_sel_hi:[1,0]
	s_delay_alu instid0(VALU_DEP_1) | instskip(SKIP_1) | instid1(VALU_DEP_2)
	v_pk_fma_f32 v[42:43], v[36:37], v[38:39], v[40:41] op_sel_hi:[0,1,1]
	v_pk_fma_f32 v[38:39], v[36:37], v[38:39], v[40:41] neg_lo:[0,0,1] neg_hi:[0,0,1]
	v_mov_b32_e32 v39, v43
	s_delay_alu instid0(VALU_DEP_1)
	v_mov_b64_e32 v[36:37], v[38:39]
	ds_store_b64 v59, v[38:39]
.LBB155_933:                            ;   in Loop: Header=BB155_3 Depth=1
	s_or_b32 exec_lo, exec_lo, s13
	s_wait_dscnt 0x0
	s_barrier_signal -1
	s_barrier_wait -1
	s_and_saveexec_b32 s13, s47
	s_cbranch_execz .LBB155_935
; %bb.934:                              ;   in Loop: Header=BB155_3 Depth=1
	ds_load_b64 v[38:39], v58 offset:31680
	ds_load_b64 v[40:41], v59
	s_wait_dscnt 0x0
	v_pk_mul_f32 v[42:43], v[40:41], v[38:39] op_sel:[1,1] op_sel_hi:[0,1]
	s_delay_alu instid0(VALU_DEP_1) | instskip(SKIP_1) | instid1(VALU_DEP_2)
	v_pk_fma_f32 v[98:99], v[40:41], v[38:39], v[42:43] op_sel_hi:[1,0,1]
	v_pk_fma_f32 v[38:39], v[40:41], v[38:39], v[42:43] neg_lo:[0,0,1] neg_hi:[0,0,1]
	v_mov_b32_e32 v39, v99
	s_delay_alu instid0(VALU_DEP_1)
	v_pk_add_f32 v[36:37], v[36:37], v[38:39]
.LBB155_935:                            ;   in Loop: Header=BB155_3 Depth=1
	s_or_b32 exec_lo, exec_lo, s13
	s_barrier_signal -1
	s_barrier_wait -1
	s_and_saveexec_b32 s13, s48
	s_cbranch_execz .LBB155_937
; %bb.936:                              ;   in Loop: Header=BB155_3 Depth=1
	ds_load_b64 v[38:39], v5 offset:32240
	s_wait_dscnt 0x0
	v_pk_mul_f32 v[40:41], v[36:37], v[38:39] op_sel:[1,1] op_sel_hi:[1,0]
	s_delay_alu instid0(VALU_DEP_1) | instskip(SKIP_1) | instid1(VALU_DEP_2)
	v_pk_fma_f32 v[42:43], v[36:37], v[38:39], v[40:41] op_sel_hi:[0,1,1]
	v_pk_fma_f32 v[38:39], v[36:37], v[38:39], v[40:41] neg_lo:[0,0,1] neg_hi:[0,0,1]
	v_mov_b32_e32 v39, v43
	s_delay_alu instid0(VALU_DEP_1)
	v_mov_b64_e32 v[36:37], v[38:39]
	ds_store_b64 v59, v[38:39]
.LBB155_937:                            ;   in Loop: Header=BB155_3 Depth=1
	s_or_b32 exec_lo, exec_lo, s13
	s_wait_dscnt 0x0
	s_barrier_signal -1
	s_barrier_wait -1
	s_and_saveexec_b32 s13, s49
	s_cbranch_execz .LBB155_939
; %bb.938:                              ;   in Loop: Header=BB155_3 Depth=1
	ds_load_b64 v[38:39], v5 offset:32248
	ds_load_b64 v[40:41], v59
	s_wait_dscnt 0x0
	v_pk_mul_f32 v[42:43], v[40:41], v[38:39] op_sel:[1,1] op_sel_hi:[0,1]
	s_delay_alu instid0(VALU_DEP_1) | instskip(SKIP_1) | instid1(VALU_DEP_2)
	v_pk_fma_f32 v[98:99], v[40:41], v[38:39], v[42:43] op_sel_hi:[1,0,1]
	v_pk_fma_f32 v[38:39], v[40:41], v[38:39], v[42:43] neg_lo:[0,0,1] neg_hi:[0,0,1]
	v_mov_b32_e32 v39, v99
	s_delay_alu instid0(VALU_DEP_1)
	v_pk_add_f32 v[36:37], v[36:37], v[38:39]
.LBB155_939:                            ;   in Loop: Header=BB155_3 Depth=1
	s_or_b32 exec_lo, exec_lo, s13
	s_barrier_signal -1
	s_barrier_wait -1
	s_and_saveexec_b32 s13, s49
	s_cbranch_execz .LBB155_941
; %bb.940:                              ;   in Loop: Header=BB155_3 Depth=1
	ds_load_b64 v[38:39], v5 offset:32760
	s_wait_dscnt 0x0
	v_pk_mul_f32 v[40:41], v[36:37], v[38:39] op_sel:[1,1] op_sel_hi:[1,0]
	s_delay_alu instid0(VALU_DEP_1) | instskip(SKIP_1) | instid1(VALU_DEP_2)
	v_pk_fma_f32 v[42:43], v[36:37], v[38:39], v[40:41] op_sel_hi:[0,1,1]
	v_pk_fma_f32 v[38:39], v[36:37], v[38:39], v[40:41] neg_lo:[0,0,1] neg_hi:[0,0,1]
	v_mov_b32_e32 v39, v43
	s_delay_alu instid0(VALU_DEP_1)
	v_mov_b64_e32 v[36:37], v[38:39]
	ds_store_b64 v59, v[38:39]
.LBB155_941:                            ;   in Loop: Header=BB155_3 Depth=1
	s_or_b32 exec_lo, exec_lo, s13
	s_wait_dscnt 0x0
	s_barrier_signal -1
	s_barrier_wait -1
	s_barrier_signal -1
	s_barrier_wait -1
	s_and_saveexec_b32 s13, s4
; %bb.942:                              ;   in Loop: Header=BB155_3 Depth=1
	v_pk_add_f32 v[36:37], v[36:37], 0 neg_lo:[1,1] neg_hi:[1,1]
	ds_store_b64 v60, v[36:37] offset:25024
; %bb.943:                              ;   in Loop: Header=BB155_3 Depth=1
	s_or_b32 exec_lo, exec_lo, s13
	s_wait_dscnt 0x0
	s_barrier_signal -1
	s_barrier_wait -1
	s_barrier_signal -1
	s_barrier_wait -1
	s_and_saveexec_b32 s13, s50
	s_cbranch_execz .LBB155_945
; %bb.944:                              ;   in Loop: Header=BB155_3 Depth=1
	ds_load_b64 v[36:37], v73 offset:25024
	s_wait_dscnt 0x0
	ds_store_b64 v74, v[36:37] offset:29056
	ds_load_b64 v[36:37], v73 offset:25032
	s_wait_dscnt 0x0
	ds_store_b64 v74, v[36:37] offset:29568
	;; [unrolled: 3-line block ×8, first 2 shown]
.LBB155_945:                            ;   in Loop: Header=BB155_3 Depth=1
	s_or_b32 exec_lo, exec_lo, s13
	s_wait_dscnt 0x0
	s_barrier_signal -1
	s_barrier_wait -1
	s_and_saveexec_b32 s13, s14
	s_cbranch_execz .LBB155_947
; %bb.946:                              ;   in Loop: Header=BB155_3 Depth=1
	ds_load_b128 v[36:39], v5 offset:29120
	ds_load_b64 v[40:41], v5 offset:29640
	s_wait_dscnt 0x1
	v_dual_mov_b32 v98, v39 :: v_dual_mov_b32 v99, v38
	s_wait_dscnt 0x0
	v_dual_mul_f32 v43, v41, v37 :: v_dual_mul_f32 v42, v40, v37
	s_delay_alu instid0(VALU_DEP_1) | instskip(NEXT) | instid1(VALU_DEP_1)
	v_xor_b32_e32 v100, 0x80000000, v43
	v_dual_fmac_f32 v42, v41, v36 :: v_dual_fmac_f32 v100, v40, v36
	s_delay_alu instid0(VALU_DEP_1) | instskip(NEXT) | instid1(VALU_DEP_1)
	v_pk_mul_f32 v[36:37], v[42:43], v[98:99] op_sel_hi:[0,1]
	v_pk_fma_f32 v[40:41], v[100:101], v[38:39], v[36:37] op_sel_hi:[0,1,1]
	v_pk_fma_f32 v[36:37], v[100:101], v[38:39], v[36:37] neg_lo:[0,0,1] neg_hi:[0,0,1]
	v_add_nc_u32_e64 v38, 0x7000, 0
	s_delay_alu instid0(VALU_DEP_3)
	v_mov_b32_e32 v37, v41
	ds_store_2addr_b64 v38, v[36:37], v[36:37] offset0:57 offset1:120
.LBB155_947:                            ;   in Loop: Header=BB155_3 Depth=1
	s_or_b32 exec_lo, exec_lo, s13
	v_mov_b32_e32 v37, 0
	s_wait_dscnt 0x0
	s_barrier_signal -1
	s_barrier_wait -1
	s_delay_alu instid0(VALU_DEP_1)
	v_mov_b32_e32 v36, v37
	s_and_saveexec_b32 s13, s1
	s_cbranch_execz .LBB155_951
; %bb.948:                              ;   in Loop: Header=BB155_3 Depth=1
	ds_load_b64 v[36:37], v45 offset:29136
	ds_load_b64 v[38:39], v46 offset:29120
	s_wait_dscnt 0x0
	v_dual_mul_f32 v40, v39, v37 :: v_dual_mul_f32 v41, v38, v37
	s_delay_alu instid0(VALU_DEP_1) | instskip(NEXT) | instid1(VALU_DEP_1)
	v_dual_fma_f32 v40, v38, v36, -v40 :: v_dual_fmac_f32 v41, v39, v36
	v_pk_add_f32 v[36:37], v[40:41], 0 op_sel_hi:[1,0]
	s_and_saveexec_b32 s56, s15
	s_cbranch_execz .LBB155_950
; %bb.949:                              ;   in Loop: Header=BB155_3 Depth=1
	ds_load_b64 v[38:39], v74 offset:29648
	ds_load_b64 v[40:41], v5 offset:29128
	s_wait_dscnt 0x0
	v_pk_mul_f32 v[42:43], v[40:41], v[38:39] op_sel:[1,1] op_sel_hi:[0,1]
	s_delay_alu instid0(VALU_DEP_1) | instskip(SKIP_1) | instid1(VALU_DEP_2)
	v_pk_fma_f32 v[98:99], v[40:41], v[38:39], v[42:43] op_sel_hi:[1,0,1]
	v_pk_fma_f32 v[38:39], v[40:41], v[38:39], v[42:43] neg_lo:[0,0,1] neg_hi:[0,0,1]
	v_mov_b32_e32 v39, v99
	s_delay_alu instid0(VALU_DEP_1)
	v_pk_add_f32 v[36:37], v[36:37], v[38:39]
.LBB155_950:                            ;   in Loop: Header=BB155_3 Depth=1
	s_or_b32 exec_lo, exec_lo, s56
	s_delay_alu instid0(VALU_DEP_1)
	v_pk_add_f32 v[36:37], v[36:37], 0 neg_lo:[1,1] neg_hi:[1,1]
.LBB155_951:                            ;   in Loop: Header=BB155_3 Depth=1
	s_or_b32 exec_lo, exec_lo, s13
	s_and_saveexec_b32 s13, s93
	s_cbranch_execz .LBB155_953
; %bb.952:                              ;   in Loop: Header=BB155_3 Depth=1
	ds_load_b64 v[38:39], v5 offset:30160
	s_wait_dscnt 0x0
	v_pk_mul_f32 v[40:41], v[36:37], v[38:39] op_sel:[1,1] op_sel_hi:[1,0]
	s_delay_alu instid0(VALU_DEP_1) | instskip(SKIP_1) | instid1(VALU_DEP_2)
	v_pk_fma_f32 v[42:43], v[36:37], v[38:39], v[40:41] op_sel_hi:[0,1,1]
	v_pk_fma_f32 v[38:39], v[36:37], v[38:39], v[40:41] neg_lo:[0,0,1] neg_hi:[0,0,1]
	v_mov_b32_e32 v39, v43
	s_delay_alu instid0(VALU_DEP_1)
	v_mov_b64_e32 v[36:37], v[38:39]
	ds_store_b64 v3, v[38:39]
.LBB155_953:                            ;   in Loop: Header=BB155_3 Depth=1
	s_or_b32 exec_lo, exec_lo, s13
	s_wait_dscnt 0x0
	s_barrier_signal -1
	s_barrier_wait -1
	s_and_saveexec_b32 s13, s94
	s_cbranch_execz .LBB155_955
; %bb.954:                              ;   in Loop: Header=BB155_3 Depth=1
	ds_load_b64 v[38:39], v5 offset:30168
	ds_load_b64 v[40:41], v3
	s_wait_dscnt 0x0
	v_pk_mul_f32 v[42:43], v[40:41], v[38:39] op_sel:[1,1] op_sel_hi:[0,1]
	s_delay_alu instid0(VALU_DEP_1) | instskip(SKIP_1) | instid1(VALU_DEP_2)
	v_pk_fma_f32 v[98:99], v[40:41], v[38:39], v[42:43] op_sel_hi:[1,0,1]
	v_pk_fma_f32 v[38:39], v[40:41], v[38:39], v[42:43] neg_lo:[0,0,1] neg_hi:[0,0,1]
	v_mov_b32_e32 v39, v99
	s_delay_alu instid0(VALU_DEP_1)
	v_pk_add_f32 v[36:37], v[36:37], v[38:39]
.LBB155_955:                            ;   in Loop: Header=BB155_3 Depth=1
	s_or_b32 exec_lo, exec_lo, s13
	s_barrier_signal -1
	s_barrier_wait -1
	s_and_saveexec_b32 s13, s94
	s_cbranch_execz .LBB155_957
; %bb.956:                              ;   in Loop: Header=BB155_3 Depth=1
	ds_load_b64 v[38:39], v5 offset:30680
	s_wait_dscnt 0x0
	v_pk_mul_f32 v[40:41], v[36:37], v[38:39] op_sel:[1,1] op_sel_hi:[1,0]
	s_delay_alu instid0(VALU_DEP_1) | instskip(SKIP_1) | instid1(VALU_DEP_2)
	v_pk_fma_f32 v[42:43], v[36:37], v[38:39], v[40:41] op_sel_hi:[0,1,1]
	v_pk_fma_f32 v[38:39], v[36:37], v[38:39], v[40:41] neg_lo:[0,0,1] neg_hi:[0,0,1]
	v_mov_b32_e32 v39, v43
	s_delay_alu instid0(VALU_DEP_1)
	v_mov_b64_e32 v[36:37], v[38:39]
	ds_store_b64 v3, v[38:39]
.LBB155_957:                            ;   in Loop: Header=BB155_3 Depth=1
	s_or_b32 exec_lo, exec_lo, s13
	s_wait_dscnt 0x0
	s_barrier_signal -1
	s_barrier_wait -1
	s_barrier_signal -1
	s_barrier_wait -1
	s_and_saveexec_b32 s13, s1
; %bb.958:                              ;   in Loop: Header=BB155_3 Depth=1
	v_pk_add_f32 v[36:37], v[36:37], 0 neg_lo:[1,1] neg_hi:[1,1]
	ds_store_b64 v45, v[36:37] offset:29136
; %bb.959:                              ;   in Loop: Header=BB155_3 Depth=1
	s_or_b32 exec_lo, exec_lo, s13
	s_wait_dscnt 0x0
	s_barrier_signal -1
	s_barrier_wait -1
	s_barrier_signal -1
	s_barrier_wait -1
	s_and_saveexec_b32 s13, s95
	s_cbranch_execz .LBB155_961
; %bb.960:                              ;   in Loop: Header=BB155_3 Depth=1
	ds_load_b64 v[36:37], v75 offset:29136
	s_wait_dscnt 0x0
	ds_store_b64 v74, v[36:37] offset:30144
	ds_load_b64 v[36:37], v75 offset:29144
	s_wait_dscnt 0x0
	ds_store_b64 v74, v[36:37] offset:30656
.LBB155_961:                            ;   in Loop: Header=BB155_3 Depth=1
	s_or_b32 exec_lo, exec_lo, s13
	s_wait_dscnt 0x0
	s_barrier_signal -1
	s_barrier_wait -1
	s_and_saveexec_b32 s13, s14
	s_cbranch_execz .LBB155_963
; %bb.962:                              ;   in Loop: Header=BB155_3 Depth=1
	ds_load_b128 v[36:39], v5 offset:30160
	ds_load_b64 v[40:41], v5 offset:30680
	s_wait_dscnt 0x1
	v_dual_mov_b32 v98, v39 :: v_dual_mov_b32 v99, v38
	s_wait_dscnt 0x0
	v_dual_mul_f32 v43, v41, v37 :: v_dual_mul_f32 v42, v40, v37
	s_delay_alu instid0(VALU_DEP_1) | instskip(NEXT) | instid1(VALU_DEP_1)
	v_xor_b32_e32 v100, 0x80000000, v43
	v_dual_fmac_f32 v42, v41, v36 :: v_dual_fmac_f32 v100, v40, v36
	s_delay_alu instid0(VALU_DEP_1) | instskip(NEXT) | instid1(VALU_DEP_1)
	v_pk_mul_f32 v[36:37], v[42:43], v[98:99] op_sel_hi:[0,1]
	v_pk_fma_f32 v[40:41], v[100:101], v[38:39], v[36:37] op_sel_hi:[0,1,1]
	v_pk_fma_f32 v[36:37], v[100:101], v[38:39], v[36:37] neg_lo:[0,0,1] neg_hi:[0,0,1]
	v_add_nc_u32_e64 v38, 0x7000, 0
	s_delay_alu instid0(VALU_DEP_3)
	v_mov_b32_e32 v37, v41
	ds_store_2addr_b64 v38, v[36:37], v[36:37] offset0:187 offset1:250
.LBB155_963:                            ;   in Loop: Header=BB155_3 Depth=1
	s_or_b32 exec_lo, exec_lo, s13
	v_mov_b32_e32 v36, 0
	s_wait_dscnt 0x0
	s_barrier_signal -1
	s_barrier_wait -1
	s_delay_alu instid0(VALU_DEP_1)
	v_mov_b32_e32 v37, v36
	s_and_saveexec_b32 s13, s3
	s_cbranch_execz .LBB155_969
; %bb.964:                              ;   in Loop: Header=BB155_3 Depth=1
	ds_load_b64 v[36:37], v52 offset:29152
	ds_load_b64 v[38:39], v48 offset:29120
	s_wait_dscnt 0x0
	v_pk_mul_f32 v[40:41], v[38:39], v[36:37] op_sel:[0,1]
	s_delay_alu instid0(VALU_DEP_1) | instskip(SKIP_1) | instid1(VALU_DEP_2)
	v_pk_fma_f32 v[42:43], v[38:39], v[36:37], v[40:41] op_sel:[1,0,0] op_sel_hi:[0,0,1] neg_lo:[0,0,1] neg_hi:[0,0,1]
	v_pk_fma_f32 v[36:37], v[38:39], v[36:37], v[40:41] op_sel:[1,0,0] op_sel_hi:[0,1,1]
	v_mov_b32_e32 v37, v43
	s_delay_alu instid0(VALU_DEP_1)
	v_pk_add_f32 v[36:37], v[36:37], 0 op_sel_hi:[1,0]
	s_and_saveexec_b32 s56, s16
	s_cbranch_execnz .LBB155_1158
; %bb.965:                              ;   in Loop: Header=BB155_3 Depth=1
	s_or_b32 exec_lo, exec_lo, s56
	s_and_saveexec_b32 s56, s17
	s_cbranch_execnz .LBB155_1159
.LBB155_966:                            ;   in Loop: Header=BB155_3 Depth=1
	s_or_b32 exec_lo, exec_lo, s56
	s_and_saveexec_b32 s56, s1
	s_cbranch_execz .LBB155_968
.LBB155_967:                            ;   in Loop: Header=BB155_3 Depth=1
	ds_load_b64 v[38:39], v77 offset:30688
	ds_load_b64 v[40:41], v5 offset:29144
	s_wait_dscnt 0x0
	v_pk_mul_f32 v[42:43], v[40:41], v[38:39] op_sel:[0,1]
	s_delay_alu instid0(VALU_DEP_1) | instskip(SKIP_1) | instid1(VALU_DEP_2)
	v_pk_fma_f32 v[98:99], v[40:41], v[38:39], v[42:43] op_sel:[1,0,0] op_sel_hi:[0,0,1] neg_lo:[0,0,1] neg_hi:[0,0,1]
	v_pk_fma_f32 v[38:39], v[40:41], v[38:39], v[42:43] op_sel:[1,0,0] op_sel_hi:[0,1,1]
	v_mov_b32_e32 v39, v99
	s_delay_alu instid0(VALU_DEP_1)
	v_pk_add_f32 v[36:37], v[36:37], v[38:39]
.LBB155_968:                            ;   in Loop: Header=BB155_3 Depth=1
	s_or_b32 exec_lo, exec_lo, s56
	s_delay_alu instid0(VALU_DEP_1) | instskip(NEXT) | instid1(VALU_DEP_1)
	v_pk_add_f32 v[38:39], v[36:37], 0 neg_lo:[1,1] neg_hi:[1,1]
	v_dual_mov_b32 v36, v39 :: v_dual_mov_b32 v37, v38
.LBB155_969:                            ;   in Loop: Header=BB155_3 Depth=1
	s_or_b32 exec_lo, exec_lo, s13
	s_and_saveexec_b32 s13, s96
	s_cbranch_execz .LBB155_971
; %bb.970:                              ;   in Loop: Header=BB155_3 Depth=1
	ds_load_b64 v[38:39], v5 offset:31200
	v_dual_mov_b32 v40, v37 :: v_dual_mov_b32 v41, v36
	s_wait_dscnt 0x0
	s_delay_alu instid0(VALU_DEP_1) | instskip(NEXT) | instid1(VALU_DEP_1)
	v_dual_mul_f32 v42, v40, v38 :: v_dual_mul_f32 v98, v37, v39
	v_pk_fma_f32 v[40:41], v[40:41], v[38:39], v[42:43] op_sel_hi:[1,1,0]
	s_delay_alu instid0(VALU_DEP_2) | instskip(NEXT) | instid1(VALU_DEP_2)
	v_pk_fma_f32 v[36:37], v[36:37], v[38:39], v[98:99] op_sel_hi:[1,1,0] neg_lo:[0,0,1] neg_hi:[0,0,1]
	v_mov_b32_e32 v37, v41
	ds_store_b64 v51, v[36:37]
.LBB155_971:                            ;   in Loop: Header=BB155_3 Depth=1
	s_or_b32 exec_lo, exec_lo, s13
	s_wait_dscnt 0x0
	s_barrier_signal -1
	s_barrier_wait -1
	s_and_saveexec_b32 s13, s97
	s_cbranch_execz .LBB155_973
; %bb.972:                              ;   in Loop: Header=BB155_3 Depth=1
	ds_load_b64 v[38:39], v49 offset:31200
	ds_load_b64 v[40:41], v51
	s_wait_dscnt 0x0
	v_dual_mul_f32 v42, v41, v39 :: v_dual_mul_f32 v43, v40, v39
	s_delay_alu instid0(VALU_DEP_1) | instskip(NEXT) | instid1(VALU_DEP_1)
	v_dual_fma_f32 v42, v40, v38, -v42 :: v_dual_fmac_f32 v43, v41, v38
	v_pk_add_f32 v[36:37], v[36:37], v[42:43]
.LBB155_973:                            ;   in Loop: Header=BB155_3 Depth=1
	s_or_b32 exec_lo, exec_lo, s13
	s_barrier_signal -1
	s_barrier_wait -1
	s_and_saveexec_b32 s13, s98
	s_cbranch_execz .LBB155_975
; %bb.974:                              ;   in Loop: Header=BB155_3 Depth=1
	ds_load_b64 v[38:39], v5 offset:31720
	s_wait_dscnt 0x0
	v_pk_mul_f32 v[40:41], v[36:37], v[38:39] op_sel:[1,1] op_sel_hi:[1,0]
	s_delay_alu instid0(VALU_DEP_1) | instskip(SKIP_1) | instid1(VALU_DEP_2)
	v_pk_fma_f32 v[42:43], v[36:37], v[38:39], v[40:41] op_sel_hi:[0,1,1]
	v_pk_fma_f32 v[38:39], v[36:37], v[38:39], v[40:41] neg_lo:[0,0,1] neg_hi:[0,0,1]
	v_mov_b32_e32 v39, v43
	s_delay_alu instid0(VALU_DEP_1)
	v_mov_b64_e32 v[36:37], v[38:39]
	ds_store_b64 v51, v[38:39]
.LBB155_975:                            ;   in Loop: Header=BB155_3 Depth=1
	s_or_b32 exec_lo, exec_lo, s13
	s_wait_dscnt 0x0
	s_barrier_signal -1
	s_barrier_wait -1
	s_and_saveexec_b32 s13, s99
	s_cbranch_execz .LBB155_977
; %bb.976:                              ;   in Loop: Header=BB155_3 Depth=1
	ds_load_b64 v[38:39], v49 offset:31712
	ds_load_b64 v[40:41], v51
	s_wait_dscnt 0x0
	v_pk_mul_f32 v[42:43], v[40:41], v[38:39] op_sel:[1,1] op_sel_hi:[0,1]
	s_delay_alu instid0(VALU_DEP_1) | instskip(SKIP_1) | instid1(VALU_DEP_2)
	v_pk_fma_f32 v[98:99], v[40:41], v[38:39], v[42:43] op_sel_hi:[1,0,1]
	v_pk_fma_f32 v[38:39], v[40:41], v[38:39], v[42:43] neg_lo:[0,0,1] neg_hi:[0,0,1]
	v_mov_b32_e32 v39, v99
	s_delay_alu instid0(VALU_DEP_1)
	v_pk_add_f32 v[36:37], v[36:37], v[38:39]
.LBB155_977:                            ;   in Loop: Header=BB155_3 Depth=1
	s_or_b32 exec_lo, exec_lo, s13
	s_barrier_signal -1
	s_barrier_wait -1
	s_and_saveexec_b32 s13, s100
	s_cbranch_execz .LBB155_979
; %bb.978:                              ;   in Loop: Header=BB155_3 Depth=1
	ds_load_b64 v[38:39], v5 offset:32240
	s_wait_dscnt 0x0
	v_pk_mul_f32 v[40:41], v[36:37], v[38:39] op_sel:[1,1] op_sel_hi:[1,0]
	s_delay_alu instid0(VALU_DEP_1) | instskip(SKIP_1) | instid1(VALU_DEP_2)
	v_pk_fma_f32 v[42:43], v[36:37], v[38:39], v[40:41] op_sel_hi:[0,1,1]
	v_pk_fma_f32 v[38:39], v[36:37], v[38:39], v[40:41] neg_lo:[0,0,1] neg_hi:[0,0,1]
	v_mov_b32_e32 v39, v43
	s_delay_alu instid0(VALU_DEP_1)
	v_mov_b64_e32 v[36:37], v[38:39]
	ds_store_b64 v51, v[38:39]
.LBB155_979:                            ;   in Loop: Header=BB155_3 Depth=1
	s_or_b32 exec_lo, exec_lo, s13
	s_wait_dscnt 0x0
	s_barrier_signal -1
	s_barrier_wait -1
	s_and_saveexec_b32 s13, s101
	s_cbranch_execz .LBB155_981
; %bb.980:                              ;   in Loop: Header=BB155_3 Depth=1
	ds_load_b64 v[38:39], v5 offset:32248
	ds_load_b64 v[40:41], v51
	s_wait_dscnt 0x0
	v_pk_mul_f32 v[42:43], v[40:41], v[38:39] op_sel:[1,1] op_sel_hi:[0,1]
	s_delay_alu instid0(VALU_DEP_1) | instskip(SKIP_1) | instid1(VALU_DEP_2)
	v_pk_fma_f32 v[98:99], v[40:41], v[38:39], v[42:43] op_sel_hi:[1,0,1]
	v_pk_fma_f32 v[38:39], v[40:41], v[38:39], v[42:43] neg_lo:[0,0,1] neg_hi:[0,0,1]
	v_mov_b32_e32 v39, v99
	s_delay_alu instid0(VALU_DEP_1)
	v_pk_add_f32 v[36:37], v[36:37], v[38:39]
.LBB155_981:                            ;   in Loop: Header=BB155_3 Depth=1
	s_or_b32 exec_lo, exec_lo, s13
	s_barrier_signal -1
	s_barrier_wait -1
	s_and_saveexec_b32 s13, s101
	s_cbranch_execz .LBB155_983
; %bb.982:                              ;   in Loop: Header=BB155_3 Depth=1
	ds_load_b64 v[38:39], v5 offset:32760
	s_wait_dscnt 0x0
	v_pk_mul_f32 v[40:41], v[36:37], v[38:39] op_sel:[1,1] op_sel_hi:[1,0]
	s_delay_alu instid0(VALU_DEP_1) | instskip(SKIP_1) | instid1(VALU_DEP_2)
	v_pk_fma_f32 v[42:43], v[36:37], v[38:39], v[40:41] op_sel_hi:[0,1,1]
	v_pk_fma_f32 v[38:39], v[36:37], v[38:39], v[40:41] neg_lo:[0,0,1] neg_hi:[0,0,1]
	v_mov_b32_e32 v39, v43
	s_delay_alu instid0(VALU_DEP_1)
	v_mov_b64_e32 v[36:37], v[38:39]
	ds_store_b64 v51, v[38:39]
.LBB155_983:                            ;   in Loop: Header=BB155_3 Depth=1
	s_or_b32 exec_lo, exec_lo, s13
	s_wait_dscnt 0x0
	s_barrier_signal -1
	s_barrier_wait -1
	s_barrier_signal -1
	s_barrier_wait -1
	s_and_saveexec_b32 s13, s3
; %bb.984:                              ;   in Loop: Header=BB155_3 Depth=1
	v_pk_add_f32 v[36:37], v[36:37], 0 neg_lo:[1,1] neg_hi:[1,1]
	ds_store_b64 v52, v[36:37] offset:29152
; %bb.985:                              ;   in Loop: Header=BB155_3 Depth=1
	s_or_b32 exec_lo, exec_lo, s13
	s_wait_dscnt 0x0
	s_barrier_signal -1
	s_barrier_wait -1
	s_barrier_signal -1
	s_barrier_wait -1
	s_and_saveexec_b32 s13, s102
	s_cbranch_execz .LBB155_987
; %bb.986:                              ;   in Loop: Header=BB155_3 Depth=1
	ds_load_b64 v[36:37], v79 offset:29152
	s_wait_dscnt 0x0
	ds_store_b64 v81, v[36:37] offset:31168
	ds_load_b64 v[36:37], v79 offset:29160
	s_wait_dscnt 0x0
	ds_store_b64 v81, v[36:37] offset:31680
	;; [unrolled: 3-line block ×4, first 2 shown]
.LBB155_987:                            ;   in Loop: Header=BB155_3 Depth=1
	s_or_b32 exec_lo, exec_lo, s13
	s_wait_dscnt 0x0
	s_barrier_signal -1
	s_barrier_wait -1
	s_and_saveexec_b32 s13, s14
	s_cbranch_execz .LBB155_989
; %bb.988:                              ;   in Loop: Header=BB155_3 Depth=1
	ds_load_b128 v[36:39], v5 offset:31200
	ds_load_b64 v[40:41], v5 offset:31720
	s_wait_dscnt 0x1
	v_dual_mov_b32 v98, v39 :: v_dual_mov_b32 v99, v38
	s_wait_dscnt 0x0
	v_dual_mul_f32 v43, v41, v37 :: v_dual_mul_f32 v42, v40, v37
	s_delay_alu instid0(VALU_DEP_1) | instskip(NEXT) | instid1(VALU_DEP_1)
	v_xor_b32_e32 v100, 0x80000000, v43
	v_dual_fmac_f32 v42, v41, v36 :: v_dual_fmac_f32 v100, v40, v36
	s_delay_alu instid0(VALU_DEP_1) | instskip(NEXT) | instid1(VALU_DEP_1)
	v_pk_mul_f32 v[36:37], v[42:43], v[98:99] op_sel_hi:[0,1]
	v_pk_fma_f32 v[40:41], v[100:101], v[38:39], v[36:37] op_sel_hi:[0,1,1]
	v_pk_fma_f32 v[36:37], v[100:101], v[38:39], v[36:37] neg_lo:[0,0,1] neg_hi:[0,0,1]
	v_add_nc_u32_e64 v38, 0x7800, 0
	s_delay_alu instid0(VALU_DEP_3)
	v_mov_b32_e32 v37, v41
	ds_store_2addr_b64 v38, v[36:37], v[36:37] offset0:61 offset1:124
.LBB155_989:                            ;   in Loop: Header=BB155_3 Depth=1
	s_or_b32 exec_lo, exec_lo, s13
	v_mov_b32_e32 v37, 0
	s_wait_dscnt 0x0
	s_barrier_signal -1
	s_barrier_wait -1
	s_delay_alu instid0(VALU_DEP_1)
	v_mov_b32_e32 v36, v37
	s_and_saveexec_b32 s13, s1
	s_cbranch_execz .LBB155_993
; %bb.990:                              ;   in Loop: Header=BB155_3 Depth=1
	ds_load_b64 v[36:37], v45 offset:31216
	ds_load_b64 v[38:39], v46 offset:31200
	s_wait_dscnt 0x0
	v_dual_mul_f32 v40, v39, v37 :: v_dual_mul_f32 v41, v38, v37
	s_delay_alu instid0(VALU_DEP_1) | instskip(NEXT) | instid1(VALU_DEP_1)
	v_dual_fma_f32 v40, v38, v36, -v40 :: v_dual_fmac_f32 v41, v39, v36
	v_pk_add_f32 v[36:37], v[40:41], 0 op_sel_hi:[1,0]
	s_and_saveexec_b32 s56, s15
	s_cbranch_execz .LBB155_992
; %bb.991:                              ;   in Loop: Header=BB155_3 Depth=1
	ds_load_b64 v[38:39], v81 offset:31728
	ds_load_b64 v[40:41], v5 offset:31208
	s_wait_dscnt 0x0
	v_pk_mul_f32 v[42:43], v[40:41], v[38:39] op_sel:[1,1] op_sel_hi:[0,1]
	s_delay_alu instid0(VALU_DEP_1) | instskip(SKIP_1) | instid1(VALU_DEP_2)
	v_pk_fma_f32 v[98:99], v[40:41], v[38:39], v[42:43] op_sel_hi:[1,0,1]
	v_pk_fma_f32 v[38:39], v[40:41], v[38:39], v[42:43] neg_lo:[0,0,1] neg_hi:[0,0,1]
	v_mov_b32_e32 v39, v99
	s_delay_alu instid0(VALU_DEP_1)
	v_pk_add_f32 v[36:37], v[36:37], v[38:39]
.LBB155_992:                            ;   in Loop: Header=BB155_3 Depth=1
	s_or_b32 exec_lo, exec_lo, s56
	s_delay_alu instid0(VALU_DEP_1)
	v_pk_add_f32 v[36:37], v[36:37], 0 neg_lo:[1,1] neg_hi:[1,1]
.LBB155_993:                            ;   in Loop: Header=BB155_3 Depth=1
	s_or_b32 exec_lo, exec_lo, s13
	s_and_saveexec_b32 s13, s93
	s_cbranch_execz .LBB155_995
; %bb.994:                              ;   in Loop: Header=BB155_3 Depth=1
	ds_load_b64 v[38:39], v5 offset:32240
	s_wait_dscnt 0x0
	v_pk_mul_f32 v[40:41], v[36:37], v[38:39] op_sel:[1,1] op_sel_hi:[1,0]
	s_delay_alu instid0(VALU_DEP_1) | instskip(SKIP_1) | instid1(VALU_DEP_2)
	v_pk_fma_f32 v[42:43], v[36:37], v[38:39], v[40:41] op_sel_hi:[0,1,1]
	v_pk_fma_f32 v[38:39], v[36:37], v[38:39], v[40:41] neg_lo:[0,0,1] neg_hi:[0,0,1]
	v_mov_b32_e32 v39, v43
	s_delay_alu instid0(VALU_DEP_1)
	v_mov_b64_e32 v[36:37], v[38:39]
	ds_store_b64 v3, v[38:39]
.LBB155_995:                            ;   in Loop: Header=BB155_3 Depth=1
	s_or_b32 exec_lo, exec_lo, s13
	s_wait_dscnt 0x0
	s_barrier_signal -1
	s_barrier_wait -1
	s_and_saveexec_b32 s13, s94
	s_cbranch_execz .LBB155_997
; %bb.996:                              ;   in Loop: Header=BB155_3 Depth=1
	ds_load_b64 v[38:39], v5 offset:32248
	ds_load_b64 v[40:41], v3
	s_wait_dscnt 0x0
	v_pk_mul_f32 v[42:43], v[40:41], v[38:39] op_sel:[1,1] op_sel_hi:[0,1]
	s_delay_alu instid0(VALU_DEP_1) | instskip(SKIP_1) | instid1(VALU_DEP_2)
	v_pk_fma_f32 v[98:99], v[40:41], v[38:39], v[42:43] op_sel_hi:[1,0,1]
	v_pk_fma_f32 v[38:39], v[40:41], v[38:39], v[42:43] neg_lo:[0,0,1] neg_hi:[0,0,1]
	v_mov_b32_e32 v39, v99
	s_delay_alu instid0(VALU_DEP_1)
	v_pk_add_f32 v[36:37], v[36:37], v[38:39]
.LBB155_997:                            ;   in Loop: Header=BB155_3 Depth=1
	s_or_b32 exec_lo, exec_lo, s13
	s_barrier_signal -1
	s_barrier_wait -1
	s_and_saveexec_b32 s13, s94
	s_cbranch_execz .LBB155_999
; %bb.998:                              ;   in Loop: Header=BB155_3 Depth=1
	ds_load_b64 v[38:39], v5 offset:32760
	s_wait_dscnt 0x0
	v_pk_mul_f32 v[40:41], v[36:37], v[38:39] op_sel:[1,1] op_sel_hi:[1,0]
	s_delay_alu instid0(VALU_DEP_1) | instskip(SKIP_1) | instid1(VALU_DEP_2)
	v_pk_fma_f32 v[42:43], v[36:37], v[38:39], v[40:41] op_sel_hi:[0,1,1]
	v_pk_fma_f32 v[38:39], v[36:37], v[38:39], v[40:41] neg_lo:[0,0,1] neg_hi:[0,0,1]
	v_mov_b32_e32 v39, v43
	s_delay_alu instid0(VALU_DEP_1)
	v_mov_b64_e32 v[36:37], v[38:39]
	ds_store_b64 v3, v[38:39]
.LBB155_999:                            ;   in Loop: Header=BB155_3 Depth=1
	s_or_b32 exec_lo, exec_lo, s13
	s_wait_dscnt 0x0
	s_barrier_signal -1
	s_barrier_wait -1
	s_barrier_signal -1
	s_barrier_wait -1
	s_and_saveexec_b32 s13, s1
; %bb.1000:                             ;   in Loop: Header=BB155_3 Depth=1
	v_pk_add_f32 v[36:37], v[36:37], 0 neg_lo:[1,1] neg_hi:[1,1]
	ds_store_b64 v45, v[36:37] offset:31216
; %bb.1001:                             ;   in Loop: Header=BB155_3 Depth=1
	s_or_b32 exec_lo, exec_lo, s13
	s_wait_dscnt 0x0
	s_barrier_signal -1
	s_barrier_wait -1
	s_barrier_signal -1
	s_barrier_wait -1
	s_and_saveexec_b32 s13, s95
	s_cbranch_execz .LBB155_1003
; %bb.1002:                             ;   in Loop: Header=BB155_3 Depth=1
	ds_load_b64 v[36:37], v83 offset:31216
	s_wait_dscnt 0x0
	ds_store_b64 v81, v[36:37] offset:32224
	ds_load_b64 v[36:37], v83 offset:31224
	s_wait_dscnt 0x0
	ds_store_b64 v81, v[36:37] offset:32736
.LBB155_1003:                           ;   in Loop: Header=BB155_3 Depth=1
	s_or_b32 exec_lo, exec_lo, s13
	s_wait_dscnt 0x0
	s_barrier_signal -1
	s_barrier_wait -1
	s_and_saveexec_b32 s13, s14
	s_cbranch_execz .LBB155_1005
; %bb.1004:                             ;   in Loop: Header=BB155_3 Depth=1
	ds_load_b128 v[36:39], v5 offset:32240
	ds_load_b64 v[40:41], v5 offset:32760
	s_wait_dscnt 0x1
	v_dual_mov_b32 v98, v39 :: v_dual_mov_b32 v99, v38
	s_wait_dscnt 0x0
	v_dual_mul_f32 v43, v41, v37 :: v_dual_mul_f32 v42, v40, v37
	s_delay_alu instid0(VALU_DEP_1) | instskip(NEXT) | instid1(VALU_DEP_1)
	v_xor_b32_e32 v100, 0x80000000, v43
	v_dual_fmac_f32 v42, v41, v36 :: v_dual_fmac_f32 v100, v40, v36
	s_delay_alu instid0(VALU_DEP_1) | instskip(NEXT) | instid1(VALU_DEP_1)
	v_pk_mul_f32 v[36:37], v[42:43], v[98:99] op_sel_hi:[0,1]
	v_pk_fma_f32 v[40:41], v[100:101], v[38:39], v[36:37] op_sel_hi:[0,1,1]
	v_pk_fma_f32 v[36:37], v[100:101], v[38:39], v[36:37] neg_lo:[0,0,1] neg_hi:[0,0,1]
	v_add_nc_u32_e64 v38, 0x7800, 0
	s_delay_alu instid0(VALU_DEP_3)
	v_mov_b32_e32 v37, v41
	ds_store_2addr_b64 v38, v[36:37], v[36:37] offset0:191 offset1:254
.LBB155_1005:                           ;   in Loop: Header=BB155_3 Depth=1
	s_or_b32 exec_lo, exec_lo, s13
.LBB155_1006:                           ;   in Loop: Header=BB155_3 Depth=1
	v_add_nc_u64_e32 v[34:35], s[72:73], v[34:35]
	v_mov_b64_e32 v[36:37], 0
	s_wait_dscnt 0x0
	s_barrier_signal -1
	s_barrier_wait -1
	s_and_saveexec_b32 s13, s53
	s_cbranch_execz .LBB155_1008
; %bb.1007:                             ;   in Loop: Header=BB155_3 Depth=1
	v_lshl_add_u64 v[36:37], v[0:1], 3, v[34:35]
	flat_load_b64 v[36:37], v[36:37]
	s_wait_loadcnt_dscnt 0x0
	v_pk_mul_f32 v[38:39], v[32:33], v[36:37] op_sel:[1,0] neg_lo:[1,0]
	s_delay_alu instid0(VALU_DEP_1)
	v_pk_fma_f32 v[36:37], v[32:33], v[36:37], v[38:39] op_sel:[0,0,1] op_sel_hi:[0,1,0] neg_lo:[1,0,0] neg_hi:[1,0,0]
.LBB155_1008:                           ;   in Loop: Header=BB155_3 Depth=1
	s_or_b32 exec_lo, exec_lo, s13
	s_delay_alu instid0(SALU_CYCLE_1)
	s_and_not1_b32 vcc_lo, exec_lo, s54
	s_cbranch_vccnz .LBB155_1027
; %bb.1009:                             ;   in Loop: Header=BB155_3 Depth=1
	v_mov_b32_e32 v40, -1
	s_lshl_b64 s[56:57], s[80:81], 2
	s_mov_b32 s13, 0
	s_add_nc_u64 s[86:87], s[84:85], s[56:57]
	s_branch .LBB155_1011
.LBB155_1010:                           ;   in Loop: Header=BB155_1011 Depth=2
	s_or_b32 exec_lo, exec_lo, s56
	s_add_co_i32 s13, s13, 1
	s_delay_alu instid0(SALU_CYCLE_1)
	s_cmp_eq_u32 s13, s88
	s_cbranch_scc1 .LBB155_1027
.LBB155_1011:                           ;   Parent Loop BB155_3 Depth=1
                                        ; =>  This Loop Header: Depth=2
                                        ;       Child Loop BB155_1013 Depth 3
	v_cmp_gt_i32_e32 vcc_lo, s13, v40
	s_and_b32 s57, s36, vcc_lo
	s_delay_alu instid0(SALU_CYCLE_1)
	s_and_saveexec_b32 s56, s57
	s_cbranch_execz .LBB155_1014
; %bb.1012:                             ;   in Loop: Header=BB155_1011 Depth=2
	global_load_b32 v40, v5, s[86:87]
	s_wait_loadcnt 0x0
	v_cmp_le_i32_e32 vcc_lo, s13, v40
	s_cbranch_vccnz .LBB155_1014
.LBB155_1013:                           ;   Parent Loop BB155_3 Depth=1
                                        ;     Parent Loop BB155_1011 Depth=2
                                        ; =>    This Inner Loop Header: Depth=3
	global_wb scope:SCOPE_DEV
	s_wait_storecnt 0x0
	global_inv scope:SCOPE_DEV
	global_load_b32 v40, v5, s[86:87]
	s_wait_loadcnt 0x0
	v_cmp_gt_i32_e32 vcc_lo, s13, v40
	s_cbranch_vccnz .LBB155_1013
.LBB155_1014:                           ;   in Loop: Header=BB155_1011 Depth=2
	s_or_b32 exec_lo, exec_lo, s56
	s_sub_co_i32 s56, s89, s13
	global_wb scope:SCOPE_DEV
	s_wait_storecnt 0x0
	global_inv scope:SCOPE_DEV
	s_lshl_b32 s66, s56, 6
	s_wait_loadcnt 0x0
	s_barrier_signal -1
	s_barrier_wait -1
	s_and_saveexec_b32 s57, s37
	s_cbranch_execz .LBB155_1019
; %bb.1015:                             ;   in Loop: Header=BB155_1011 Depth=2
	s_ashr_i32 vcc_lo, s66, 31
	s_delay_alu instid0(SALU_CYCLE_1) | instskip(NEXT) | instid1(VALU_DEP_1)
	v_dual_mov_b32 v33, vcc_lo :: v_dual_bitop2_b32 v32, s66, v4 bitop3:0x54
	v_cmp_le_i64_e32 vcc_lo, s[82:83], v[32:33]
	s_and_saveexec_b32 s58, vcc_lo
	s_delay_alu instid0(SALU_CYCLE_1)
	s_xor_b32 vcc_lo, exec_lo, s58
; %bb.1016:                             ;   in Loop: Header=BB155_1011 Depth=2
	ds_store_b64 v91, v[28:29]
                                        ; implicit-def: $vgpr32_vgpr33
; %bb.1017:                             ;   in Loop: Header=BB155_1011 Depth=2
	s_and_not1_saveexec_b32 s58, vcc_lo
	s_cbranch_execz .LBB155_1019
; %bb.1018:                             ;   in Loop: Header=BB155_1011 Depth=2
	v_mul_u64_e32 v[32:33], s[74:75], v[32:33]
	s_delay_alu instid0(VALU_DEP_1)
	v_lshl_add_u64 v[32:33], v[32:33], 3, v[34:35]
	flat_load_b64 v[32:33], v[32:33]
	s_wait_loadcnt_dscnt 0x0
	ds_store_b64 v91, v[32:33]
.LBB155_1019:                           ;   in Loop: Header=BB155_1011 Depth=2
	s_or_b32 exec_lo, exec_lo, s57
	v_add_nc_u32_e32 v32, s66, v44
	s_cmp_eq_u32 s56, s55
	s_wait_dscnt 0x0
	s_cselect_b32 vcc_lo, -1, 0
	s_barrier_signal -1
	v_ashrrev_i32_e32 v33, 31, v32
	v_cmp_gt_i32_e64 s66, s82, v32
	s_barrier_wait -1
	s_delay_alu instid0(VALU_DEP_2) | instskip(SKIP_1) | instid1(SALU_CYCLE_1)
	v_lshl_add_u64 v[38:39], v[32:33], 3, v[30:31]
	s_and_b32 s57, s66, s0
	s_and_saveexec_b32 s56, s57
	s_cbranch_execz .LBB155_1021
; %bb.1020:                             ;   in Loop: Header=BB155_1011 Depth=2
	s_delay_alu instid0(VALU_DEP_1) | instskip(SKIP_4) | instid1(VALU_DEP_1)
	v_dual_cndmask_b32 v43, v39, v21 :: v_dual_cndmask_b32 v42, v38, v20
	ds_load_b64 v[98:99], v84
	flat_load_b64 v[42:43], v[42:43]
	s_wait_loadcnt_dscnt 0x0
	v_dual_mul_f32 v33, v99, v43 :: v_dual_mul_f32 v41, v98, v43
	v_fmac_f32_e32 v41, v99, v42
	s_delay_alu instid0(VALU_DEP_1) | instskip(NEXT) | instid1(VALU_DEP_1)
	v_dual_fma_f32 v33, v98, v42, -v33 :: v_dual_add_f32 v37, v37, v41
	v_add_f32_e32 v36, v36, v33
.LBB155_1021:                           ;   in Loop: Header=BB155_1011 Depth=2
	s_or_b32 exec_lo, exec_lo, s56
	v_add_nc_u32_e32 v33, 16, v32
	s_delay_alu instid0(VALU_DEP_1) | instskip(SKIP_1) | instid1(SALU_CYCLE_1)
	v_cmp_gt_i32_e64 s66, s82, v33
	s_and_b32 s57, s66, s0
	s_and_saveexec_b32 s56, s57
	s_cbranch_execz .LBB155_1023
; %bb.1022:                             ;   in Loop: Header=BB155_1011 Depth=2
	v_add_nc_u64_e32 v[42:43], 0x80, v[38:39]
	ds_load_b64 v[98:99], v84 offset:128
	v_dual_cndmask_b32 v43, v43, v23 :: v_dual_cndmask_b32 v42, v42, v22
	flat_load_b64 v[42:43], v[42:43]
	s_wait_loadcnt_dscnt 0x0
	v_dual_mul_f32 v33, v99, v43 :: v_dual_mul_f32 v41, v98, v43
	s_delay_alu instid0(VALU_DEP_1) | instskip(NEXT) | instid1(VALU_DEP_1)
	v_fmac_f32_e32 v41, v99, v42
	v_dual_fma_f32 v33, v98, v42, -v33 :: v_dual_add_f32 v37, v37, v41
	s_delay_alu instid0(VALU_DEP_1)
	v_add_f32_e32 v36, v36, v33
.LBB155_1023:                           ;   in Loop: Header=BB155_1011 Depth=2
	s_or_b32 exec_lo, exec_lo, s56
	v_add_nc_u32_e32 v33, 32, v32
	s_delay_alu instid0(VALU_DEP_1) | instskip(SKIP_1) | instid1(SALU_CYCLE_1)
	v_cmp_gt_i32_e64 s66, s82, v33
	s_and_b32 s57, s66, s0
	s_and_saveexec_b32 s56, s57
	s_cbranch_execz .LBB155_1025
; %bb.1024:                             ;   in Loop: Header=BB155_1011 Depth=2
	v_add_nc_u64_e32 v[42:43], 0x100, v[38:39]
	ds_load_b64 v[98:99], v84 offset:256
	v_dual_cndmask_b32 v43, v43, v25 :: v_dual_cndmask_b32 v42, v42, v24
	flat_load_b64 v[42:43], v[42:43]
	s_wait_loadcnt_dscnt 0x0
	v_dual_mul_f32 v33, v99, v43 :: v_dual_mul_f32 v101, v98, v43
	s_delay_alu instid0(VALU_DEP_1) | instskip(NEXT) | instid1(VALU_DEP_2)
	v_fma_f32 v100, v98, v42, -v33
	v_fmac_f32_e32 v101, v99, v42
	s_delay_alu instid0(VALU_DEP_1)
	v_pk_add_f32 v[36:37], v[36:37], v[100:101]
.LBB155_1025:                           ;   in Loop: Header=BB155_1011 Depth=2
	s_or_b32 exec_lo, exec_lo, s56
	v_add_nc_u32_e32 v32, 48, v32
	s_delay_alu instid0(VALU_DEP_1) | instskip(SKIP_1) | instid1(SALU_CYCLE_1)
	v_cmp_gt_i32_e64 s66, s82, v32
	s_and_b32 s57, s66, s0
	s_and_saveexec_b32 s56, s57
	s_cbranch_execz .LBB155_1010
; %bb.1026:                             ;   in Loop: Header=BB155_1011 Depth=2
	v_add_nc_u64_e32 v[32:33], 0x180, v[38:39]
	ds_load_b64 v[38:39], v84 offset:384
	v_dual_cndmask_b32 v33, v33, v27 :: v_dual_cndmask_b32 v32, v32, v26
	flat_load_b64 v[32:33], v[32:33]
	s_wait_loadcnt_dscnt 0x0
	v_pk_mul_f32 v[42:43], v[38:39], v[32:33] op_sel:[1,1] op_sel_hi:[0,1]
	s_delay_alu instid0(VALU_DEP_1) | instskip(SKIP_1) | instid1(VALU_DEP_2)
	v_pk_fma_f32 v[98:99], v[38:39], v[32:33], v[42:43] op_sel_hi:[1,0,1]
	v_pk_fma_f32 v[32:33], v[38:39], v[32:33], v[42:43] neg_lo:[0,0,1] neg_hi:[0,0,1]
	v_mov_b32_e32 v33, v99
	s_delay_alu instid0(VALU_DEP_1)
	v_pk_add_f32 v[36:37], v[36:37], v[32:33]
	s_branch .LBB155_1010
.LBB155_1027:                           ;   in Loop: Header=BB155_3 Depth=1
	ds_store_b64 v92, v[36:37]
	s_wait_dscnt 0x0
	s_barrier_signal -1
	s_barrier_wait -1
	s_and_saveexec_b32 s13, s2
	s_cbranch_execz .LBB155_1029
; %bb.1028:                             ;   in Loop: Header=BB155_3 Depth=1
	ds_load_2addr_stride64_b64 v[30:33], v93 offset0:1 offset1:2
	ds_load_2addr_stride64_b64 v[38:41], v93 offset0:3 offset1:4
	ds_load_2addr_stride64_b64 v[98:101], v93 offset0:5 offset1:6
	s_wait_dscnt 0x2
	v_pk_add_f32 v[30:31], v[36:37], v[30:31]
	s_delay_alu instid0(VALU_DEP_1) | instskip(SKIP_3) | instid1(VALU_DEP_1)
	v_pk_add_f32 v[36:37], v[30:31], v[32:33]
	ds_load_2addr_stride64_b64 v[30:33], v93 offset0:7 offset1:8
	s_wait_dscnt 0x2
	v_pk_add_f32 v[36:37], v[36:37], v[38:39]
	v_pk_add_f32 v[40:41], v[36:37], v[40:41]
	ds_load_2addr_stride64_b64 v[36:39], v93 offset0:9 offset1:10
	s_wait_dscnt 0x2
	v_pk_add_f32 v[40:41], v[40:41], v[98:99]
	s_delay_alu instid0(VALU_DEP_1) | instskip(SKIP_3) | instid1(VALU_DEP_1)
	v_pk_add_f32 v[98:99], v[40:41], v[100:101]
	ds_load_2addr_stride64_b64 v[40:43], v93 offset0:11 offset1:12
	s_wait_dscnt 0x2
	v_pk_add_f32 v[30:31], v[98:99], v[30:31]
	v_pk_add_f32 v[98:99], v[30:31], v[32:33]
	ds_load_2addr_stride64_b64 v[30:33], v93 offset0:13 offset1:14
	s_wait_dscnt 0x2
	v_pk_add_f32 v[36:37], v[98:99], v[36:37]
	s_delay_alu instid0(VALU_DEP_1) | instskip(SKIP_3) | instid1(VALU_DEP_1)
	v_pk_add_f32 v[36:37], v[36:37], v[38:39]
	ds_load_b64 v[38:39], v93 offset:7680
	s_wait_dscnt 0x2
	v_pk_add_f32 v[36:37], v[36:37], v[40:41]
	v_pk_add_f32 v[36:37], v[36:37], v[42:43]
	s_wait_dscnt 0x1
	s_delay_alu instid0(VALU_DEP_1) | instskip(NEXT) | instid1(VALU_DEP_1)
	v_pk_add_f32 v[30:31], v[36:37], v[30:31]
	v_pk_add_f32 v[30:31], v[30:31], v[32:33]
	s_wait_dscnt 0x0
	s_delay_alu instid0(VALU_DEP_1) | instskip(NEXT) | instid1(VALU_DEP_1)
	v_pk_add_f32 v[30:31], v[30:31], v[38:39]
	v_cndmask_b32_e64 v37, -v31, 0, s52
	s_delay_alu instid0(VALU_DEP_2)
	v_cndmask_b32_e64 v36, -v30, 0, s52
.LBB155_1029:                           ;   in Loop: Header=BB155_3 Depth=1
	s_or_b32 exec_lo, exec_lo, s13
	s_delay_alu instid0(SALU_CYCLE_1)
	s_and_not1_b32 vcc_lo, exec_lo, s92
	s_cbranch_vccnz .LBB155_1039
; %bb.1030:                             ;   in Loop: Header=BB155_3 Depth=1
	s_and_saveexec_b32 s13, s2
; %bb.1031:                             ;   in Loop: Header=BB155_3 Depth=1
	ds_store_b64 v95, v[36:37]
; %bb.1032:                             ;   in Loop: Header=BB155_3 Depth=1
	s_or_b32 exec_lo, exec_lo, s13
	v_mov_b64_e32 v[30:31], 0
	s_wait_dscnt 0x0
	s_barrier_signal -1
	s_barrier_wait -1
	s_and_saveexec_b32 s13, s6
	s_cbranch_execnz .LBB155_1103
; %bb.1033:                             ;   in Loop: Header=BB155_3 Depth=1
	s_or_b32 exec_lo, exec_lo, s13
	s_and_saveexec_b32 s13, s7
	s_cbranch_execnz .LBB155_1104
.LBB155_1034:                           ;   in Loop: Header=BB155_3 Depth=1
	s_or_b32 exec_lo, exec_lo, s13
	s_and_saveexec_b32 s13, s8
	s_cbranch_execnz .LBB155_1105
.LBB155_1035:                           ;   in Loop: Header=BB155_3 Depth=1
	s_or_b32 exec_lo, exec_lo, s13
	s_and_saveexec_b32 s13, s9
	s_cbranch_execz .LBB155_1037
.LBB155_1036:                           ;   in Loop: Header=BB155_3 Depth=1
	ds_load_b64 v[32:33], v94 offset:24576
	ds_load_b64 v[38:39], v84 offset:384
	s_wait_dscnt 0x0
	v_pk_mul_f32 v[40:41], v[38:39], v[32:33] op_sel:[1,1] op_sel_hi:[0,1]
	s_delay_alu instid0(VALU_DEP_1) | instskip(SKIP_1) | instid1(VALU_DEP_2)
	v_pk_fma_f32 v[42:43], v[38:39], v[32:33], v[40:41] op_sel_hi:[1,0,1]
	v_pk_fma_f32 v[32:33], v[38:39], v[32:33], v[40:41] neg_lo:[0,0,1] neg_hi:[0,0,1]
	v_mov_b32_e32 v33, v43
	s_delay_alu instid0(VALU_DEP_1)
	v_pk_add_f32 v[30:31], v[30:31], v[32:33]
.LBB155_1037:                           ;   in Loop: Header=BB155_3 Depth=1
	s_or_b32 exec_lo, exec_lo, s13
	s_mov_b32 s13, 0
	s_mov_b32 s66, 0
	ds_store_b64 v92, v[30:31]
	s_wait_dscnt 0x0
	s_barrier_signal -1
	s_barrier_wait -1
                                        ; implicit-def: $vgpr32_vgpr33
	s_and_saveexec_b32 s56, s2
	s_cbranch_execz .LBB155_1106
; %bb.1038:                             ;   in Loop: Header=BB155_3 Depth=1
	ds_load_2addr_stride64_b64 v[38:41], v93 offset0:1 offset1:2
	ds_load_2addr_stride64_b64 v[98:101], v93 offset0:3 offset1:4
	;; [unrolled: 1-line block ×3, first 2 shown]
	s_mov_b32 s66, exec_lo
	s_wait_dscnt 0x2
	v_pk_add_f32 v[30:31], v[30:31], v[38:39]
	s_delay_alu instid0(VALU_DEP_1) | instskip(SKIP_3) | instid1(VALU_DEP_1)
	v_pk_add_f32 v[38:39], v[30:31], v[40:41]
	ds_load_2addr_stride64_b64 v[30:33], v93 offset0:7 offset1:8
	s_wait_dscnt 0x2
	v_pk_add_f32 v[38:39], v[38:39], v[98:99]
	v_pk_add_f32 v[42:43], v[38:39], v[100:101]
	ds_load_2addr_stride64_b64 v[38:41], v93 offset0:9 offset1:10
	ds_load_2addr_stride64_b64 v[98:101], v93 offset0:11 offset1:12
	s_wait_dscnt 0x3
	v_pk_add_f32 v[42:43], v[42:43], v[102:103]
	s_delay_alu instid0(VALU_DEP_1) | instskip(SKIP_1) | instid1(VALU_DEP_1)
	v_pk_add_f32 v[42:43], v[42:43], v[104:105]
	s_wait_dscnt 0x2
	v_pk_add_f32 v[30:31], v[42:43], v[30:31]
	s_delay_alu instid0(VALU_DEP_1) | instskip(SKIP_1) | instid1(VALU_DEP_1)
	v_pk_add_f32 v[30:31], v[30:31], v[32:33]
	s_wait_dscnt 0x1
	v_pk_add_f32 v[38:39], v[30:31], v[38:39]
	ds_load_2addr_stride64_b64 v[30:33], v93 offset0:13 offset1:14
	v_pk_add_f32 v[38:39], v[38:39], v[40:41]
	ds_load_b64 v[40:41], v93 offset:7680
	s_wait_dscnt 0x2
	v_pk_add_f32 v[38:39], v[38:39], v[98:99]
	s_delay_alu instid0(VALU_DEP_1) | instskip(SKIP_1) | instid1(VALU_DEP_1)
	v_pk_add_f32 v[38:39], v[38:39], v[100:101]
	s_wait_dscnt 0x1
	v_pk_add_f32 v[30:31], v[38:39], v[30:31]
	s_delay_alu instid0(VALU_DEP_1) | instskip(SKIP_1) | instid1(VALU_DEP_1)
	v_pk_add_f32 v[30:31], v[30:31], v[32:33]
	s_wait_dscnt 0x0
	v_pk_add_f32 v[32:33], v[30:31], v[40:41]
	s_or_b32 exec_lo, exec_lo, s56
	s_delay_alu instid0(SALU_CYCLE_1)
	s_and_b32 vcc_lo, exec_lo, s13
	s_cbranch_vccnz .LBB155_1040
	s_branch .LBB155_1107
.LBB155_1039:                           ;   in Loop: Header=BB155_3 Depth=1
	s_mov_b32 s66, 0
                                        ; implicit-def: $vgpr32_vgpr33
	s_cbranch_execz .LBB155_1107
.LBB155_1040:                           ;   in Loop: Header=BB155_3 Depth=1
	v_dual_mov_b32 v30, v97 :: v_dual_mov_b32 v31, v86
	s_mov_b32 s13, 63
	s_branch .LBB155_1042
.LBB155_1041:                           ;   in Loop: Header=BB155_1042 Depth=2
	s_or_b32 exec_lo, exec_lo, s56
	v_add_nc_u32_e32 v31, 0xfffffc00, v31
	v_add_nc_u32_e32 v30, 2, v30
	s_add_co_i32 s13, s13, -2
	s_cmp_lg_u32 s86, 0
	s_barrier_signal -1
	s_barrier_wait -1
	s_cbranch_scc0 .LBB155_1050
.LBB155_1042:                           ;   Parent Loop BB155_3 Depth=1
                                        ; =>  This Inner Loop Header: Depth=2
	s_delay_alu instid0(VALU_DEP_1) | instskip(SKIP_2) | instid1(SALU_CYCLE_1)
	v_cmp_eq_u32_e32 vcc_lo, 0, v30
	v_add_nc_u32_e32 v32, v83, v47
	s_and_b32 s57, s2, vcc_lo
	s_and_saveexec_b32 s56, s57
	s_cbranch_execz .LBB155_1044
; %bb.1043:                             ;   in Loop: Header=BB155_1042 Depth=2
	ds_load_b64 v[38:39], v32
	s_wait_dscnt 0x0
	v_pk_mul_f32 v[40:41], v[36:37], v[38:39] op_sel:[1,1] op_sel_hi:[1,0]
	s_delay_alu instid0(VALU_DEP_1) | instskip(SKIP_1) | instid1(VALU_DEP_2)
	v_pk_fma_f32 v[42:43], v[36:37], v[38:39], v[40:41] op_sel_hi:[0,1,1]
	v_pk_fma_f32 v[38:39], v[36:37], v[38:39], v[40:41] neg_lo:[0,0,1] neg_hi:[0,0,1]
	v_mov_b32_e32 v39, v43
	s_delay_alu instid0(VALU_DEP_1)
	v_mov_b64_e32 v[36:37], v[38:39]
	ds_store_b64 v5, v[38:39] offset:41472
.LBB155_1044:                           ;   in Loop: Header=BB155_1042 Depth=2
	s_or_b32 exec_lo, exec_lo, s56
	v_cmp_gt_u32_e32 vcc_lo, s13, v2
	s_wait_dscnt 0x0
	s_barrier_signal -1
	s_barrier_wait -1
	s_and_b32 s57, s2, vcc_lo
	s_delay_alu instid0(SALU_CYCLE_1)
	s_and_saveexec_b32 s56, s57
	s_cbranch_execz .LBB155_1046
; %bb.1045:                             ;   in Loop: Header=BB155_1042 Depth=2
	ds_load_b64 v[38:39], v31 offset:512
	ds_load_b64 v[40:41], v5 offset:41472
	s_wait_dscnt 0x0
	v_pk_mul_f32 v[42:43], v[40:41], v[38:39] op_sel:[1,1] op_sel_hi:[0,1]
	s_delay_alu instid0(VALU_DEP_1) | instskip(SKIP_1) | instid1(VALU_DEP_2)
	v_pk_fma_f32 v[98:99], v[40:41], v[38:39], v[42:43] op_sel_hi:[1,0,1]
	v_pk_fma_f32 v[38:39], v[40:41], v[38:39], v[42:43] neg_lo:[0,0,1] neg_hi:[0,0,1]
	v_mov_b32_e32 v39, v99
	s_delay_alu instid0(VALU_DEP_1)
	v_pk_add_f32 v[36:37], v[36:37], v[38:39]
.LBB155_1046:                           ;   in Loop: Header=BB155_1042 Depth=2
	s_or_b32 exec_lo, exec_lo, s56
	s_add_co_i32 s86, s13, -1
	s_delay_alu instid0(SALU_CYCLE_1) | instskip(SKIP_3) | instid1(SALU_CYCLE_1)
	v_cmp_eq_u32_e32 vcc_lo, s86, v2
	s_barrier_signal -1
	s_barrier_wait -1
	s_and_b32 s57, s2, vcc_lo
	s_and_saveexec_b32 s56, s57
	s_cbranch_execz .LBB155_1048
; %bb.1047:                             ;   in Loop: Header=BB155_1042 Depth=2
	ds_load_b64 v[32:33], v32
	s_wait_dscnt 0x0
	v_pk_mul_f32 v[38:39], v[36:37], v[32:33] op_sel:[1,1] op_sel_hi:[1,0]
	s_delay_alu instid0(VALU_DEP_1) | instskip(SKIP_1) | instid1(VALU_DEP_2)
	v_pk_fma_f32 v[40:41], v[36:37], v[32:33], v[38:39] op_sel_hi:[0,1,1]
	v_pk_fma_f32 v[32:33], v[36:37], v[32:33], v[38:39] neg_lo:[0,0,1] neg_hi:[0,0,1]
	v_mov_b32_e32 v33, v41
	s_delay_alu instid0(VALU_DEP_1)
	v_mov_b64_e32 v[36:37], v[32:33]
	ds_store_b64 v5, v[32:33] offset:41472
.LBB155_1048:                           ;   in Loop: Header=BB155_1042 Depth=2
	s_or_b32 exec_lo, exec_lo, s56
	v_cmp_gt_u32_e32 vcc_lo, s86, v2
	s_wait_dscnt 0x0
	s_barrier_signal -1
	s_barrier_wait -1
	s_and_b32 s57, s2, vcc_lo
	s_delay_alu instid0(SALU_CYCLE_1)
	s_and_saveexec_b32 s56, s57
	s_cbranch_execz .LBB155_1041
; %bb.1049:                             ;   in Loop: Header=BB155_1042 Depth=2
	ds_load_b64 v[32:33], v31
	ds_load_b64 v[38:39], v5 offset:41472
	s_wait_dscnt 0x0
	v_pk_mul_f32 v[40:41], v[38:39], v[32:33] op_sel:[1,1] op_sel_hi:[0,1]
	s_delay_alu instid0(VALU_DEP_1) | instskip(SKIP_1) | instid1(VALU_DEP_2)
	v_pk_fma_f32 v[42:43], v[38:39], v[32:33], v[40:41] op_sel_hi:[1,0,1]
	v_pk_fma_f32 v[32:33], v[38:39], v[32:33], v[40:41] neg_lo:[0,0,1] neg_hi:[0,0,1]
	v_mov_b32_e32 v33, v43
	s_delay_alu instid0(VALU_DEP_1)
	v_pk_add_f32 v[36:37], v[36:37], v[32:33]
	s_branch .LBB155_1041
.LBB155_1050:                           ;   in Loop: Header=BB155_3 Depth=1
	s_and_b32 vcc_lo, exec_lo, s90
	s_mov_b32 s13, -1
	s_cbranch_vccnz .LBB155_1108
; %bb.1051:                             ;   in Loop: Header=BB155_3 Depth=1
	s_and_not1_b32 vcc_lo, exec_lo, s13
	s_cbranch_vccz .LBB155_1109
.LBB155_1052:                           ;   in Loop: Header=BB155_3 Depth=1
	s_and_saveexec_b32 s13, s66
	s_cbranch_execz .LBB155_1054
.LBB155_1053:                           ;   in Loop: Header=BB155_3 Depth=1
	v_lshl_add_u64 v[30:31], v[10:11], 3, v[34:35]
	flat_store_b64 v[30:31], v[36:37]
.LBB155_1054:                           ;   in Loop: Header=BB155_3 Depth=1
	s_wait_xcnt 0x0
	s_or_b32 exec_lo, exec_lo, s13
	global_wb scope:SCOPE_DEV
	s_wait_storecnt_dscnt 0x0
	global_inv scope:SCOPE_DEV
	s_wait_loadcnt 0x0
	s_barrier_signal -1
	s_barrier_wait -1
	s_and_saveexec_b32 s13, s36
	s_cbranch_execz .LBB155_2
; %bb.1055:                             ;   in Loop: Header=BB155_3 Depth=1
	s_lshl_b64 s[56:57], s[80:81], 2
	s_delay_alu instid0(SALU_CYCLE_1)
	s_add_nc_u64 s[56:57], s[84:85], s[56:57]
	global_load_b32 v30, v5, s[56:57]
	s_wait_loadcnt 0x0
	v_add_nc_u32_e32 v30, 1, v30
	global_store_b32 v5, v30, s[56:57]
	s_branch .LBB155_2
.LBB155_1056:                           ;   in Loop: Header=BB155_3 Depth=1
	s_mov_b32 s56, exec_lo
	v_readlane_b32 s57, v108, 19
	s_and_b32 s57, s56, s57
	s_delay_alu instid0(SALU_CYCLE_1)
	s_xor_b32 s56, s57, s56
	s_mov_b32 exec_lo, s57
	s_cbranch_execz .LBB155_1060
; %bb.1057:                             ;   in Loop: Header=BB155_3 Depth=1
	v_readlane_b32 s58, v107, 7
	s_and_saveexec_b32 s57, s58
; %bb.1058:                             ;   in Loop: Header=BB155_3 Depth=1
	ds_store_b64 v76, v[28:29]
; %bb.1059:                             ;   in Loop: Header=BB155_3 Depth=1
	s_or_b32 exec_lo, exec_lo, s57
.LBB155_1060:                           ;   in Loop: Header=BB155_3 Depth=1
	s_and_not1_saveexec_b32 s66, s56
	s_cbranch_execz .LBB155_1066
; %bb.1061:                             ;   in Loop: Header=BB155_3 Depth=1
	v_lshl_add_u64 v[38:39], v[12:13], 3, v[36:37]
                                        ; implicit-def: $vgpr40_vgpr41
	flat_load_b64 v[38:39], v[38:39]
	s_wait_loadcnt_dscnt 0x0
	v_cmp_ngt_f32_e64 s56, |v38|, |v39|
	s_wait_xcnt 0x0
	s_and_saveexec_b32 s57, s56
	s_delay_alu instid0(SALU_CYCLE_1)
	s_xor_b32 s56, exec_lo, s57
	s_cbranch_execz .LBB155_1063
; %bb.1062:                             ;   in Loop: Header=BB155_3 Depth=1
	v_div_scale_f32 v40, null, v39, v39, v38
	v_div_scale_f32 v43, vcc_lo, v38, v39, v38
	s_delay_alu instid0(VALU_DEP_2) | instskip(SKIP_1) | instid1(TRANS32_DEP_1)
	v_rcp_f32_e32 v41, v40
	v_nop
	v_fma_f32 v42, -v40, v41, 1.0
	s_delay_alu instid0(VALU_DEP_1) | instskip(NEXT) | instid1(VALU_DEP_1)
	v_fmac_f32_e32 v41, v42, v41
	v_mul_f32_e32 v42, v43, v41
	s_delay_alu instid0(VALU_DEP_1) | instskip(NEXT) | instid1(VALU_DEP_1)
	v_fma_f32 v98, -v40, v42, v43
	v_fmac_f32_e32 v42, v98, v41
	s_delay_alu instid0(VALU_DEP_1) | instskip(NEXT) | instid1(VALU_DEP_1)
	v_fma_f32 v40, -v40, v42, v43
	v_div_fmas_f32 v40, v40, v41, v42
	s_delay_alu instid0(VALU_DEP_1) | instskip(NEXT) | instid1(VALU_DEP_1)
	v_div_fixup_f32 v40, v40, v39, v38
	v_fmac_f32_e32 v39, v38, v40
	s_delay_alu instid0(VALU_DEP_1) | instskip(SKIP_1) | instid1(VALU_DEP_2)
	v_div_scale_f32 v38, null, v39, v39, 1.0
	v_div_scale_f32 v43, vcc_lo, 1.0, v39, 1.0
	v_rcp_f32_e32 v41, v38
	v_nop
	s_delay_alu instid0(TRANS32_DEP_1) | instskip(NEXT) | instid1(VALU_DEP_1)
	v_fma_f32 v42, -v38, v41, 1.0
	v_fmac_f32_e32 v41, v42, v41
	s_delay_alu instid0(VALU_DEP_1) | instskip(NEXT) | instid1(VALU_DEP_1)
	v_mul_f32_e32 v42, v43, v41
	v_fma_f32 v98, -v38, v42, v43
	s_delay_alu instid0(VALU_DEP_1) | instskip(NEXT) | instid1(VALU_DEP_1)
	v_fmac_f32_e32 v42, v98, v41
	v_fma_f32 v38, -v38, v42, v43
	s_delay_alu instid0(VALU_DEP_1) | instskip(NEXT) | instid1(VALU_DEP_1)
	v_div_fmas_f32 v38, v38, v41, v42
	v_div_fixup_f32 v38, v38, v39, 1.0
	s_delay_alu instid0(VALU_DEP_1)
	v_mul_f32_e32 v40, v40, v38
	v_xor_b32_e32 v41, 0x80000000, v38
                                        ; implicit-def: $vgpr38_vgpr39
.LBB155_1063:                           ;   in Loop: Header=BB155_3 Depth=1
	s_and_not1_saveexec_b32 s56, s56
	s_cbranch_execz .LBB155_1065
; %bb.1064:                             ;   in Loop: Header=BB155_3 Depth=1
	v_div_scale_f32 v40, null, v38, v38, v39
	v_div_scale_f32 v43, vcc_lo, v39, v38, v39
	s_delay_alu instid0(VALU_DEP_2) | instskip(SKIP_1) | instid1(TRANS32_DEP_1)
	v_rcp_f32_e32 v41, v40
	v_nop
	v_fma_f32 v42, -v40, v41, 1.0
	s_delay_alu instid0(VALU_DEP_1) | instskip(NEXT) | instid1(VALU_DEP_1)
	v_fmac_f32_e32 v41, v42, v41
	v_mul_f32_e32 v42, v43, v41
	s_delay_alu instid0(VALU_DEP_1) | instskip(NEXT) | instid1(VALU_DEP_1)
	v_fma_f32 v98, -v40, v42, v43
	v_fmac_f32_e32 v42, v98, v41
	s_delay_alu instid0(VALU_DEP_1) | instskip(NEXT) | instid1(VALU_DEP_1)
	v_fma_f32 v40, -v40, v42, v43
	v_div_fmas_f32 v40, v40, v41, v42
	s_delay_alu instid0(VALU_DEP_1) | instskip(NEXT) | instid1(VALU_DEP_1)
	v_div_fixup_f32 v41, v40, v38, v39
	v_fmac_f32_e32 v38, v39, v41
	s_delay_alu instid0(VALU_DEP_1) | instskip(NEXT) | instid1(VALU_DEP_1)
	v_div_scale_f32 v39, null, v38, v38, 1.0
	v_rcp_f32_e32 v40, v39
	v_nop
	s_delay_alu instid0(TRANS32_DEP_1) | instskip(NEXT) | instid1(VALU_DEP_1)
	v_fma_f32 v42, -v39, v40, 1.0
	v_fmac_f32_e32 v40, v42, v40
	v_div_scale_f32 v42, vcc_lo, 1.0, v38, 1.0
	s_delay_alu instid0(VALU_DEP_1) | instskip(NEXT) | instid1(VALU_DEP_1)
	v_mul_f32_e32 v43, v42, v40
	v_fma_f32 v98, -v39, v43, v42
	s_delay_alu instid0(VALU_DEP_1) | instskip(NEXT) | instid1(VALU_DEP_1)
	v_fmac_f32_e32 v43, v98, v40
	v_fma_f32 v39, -v39, v43, v42
	s_delay_alu instid0(VALU_DEP_1) | instskip(NEXT) | instid1(VALU_DEP_1)
	v_div_fmas_f32 v39, v39, v40, v43
	v_div_fixup_f32 v40, v39, v38, 1.0
	s_delay_alu instid0(VALU_DEP_1)
	v_mul_f32_e64 v41, v41, -v40
.LBB155_1065:                           ;   in Loop: Header=BB155_3 Depth=1
	s_or_b32 exec_lo, exec_lo, s56
	ds_store_b64 v76, v[40:41]
.LBB155_1066:                           ;   in Loop: Header=BB155_3 Depth=1
	s_or_b32 exec_lo, exec_lo, s66
	s_and_not1_saveexec_b32 s13, s13
	s_cbranch_execz .LBB155_18
.LBB155_1067:                           ;   in Loop: Header=BB155_3 Depth=1
	v_lshl_add_u64 v[38:39], v[12:13], 3, v[36:37]
	flat_load_b64 v[38:39], v[38:39]
	s_wait_loadcnt_dscnt 0x0
	v_pk_add_f32 v[38:39], v[38:39], 0 neg_lo:[1,1] neg_hi:[1,1]
	ds_store_b64 v76, v[38:39]
	s_or_b32 exec_lo, exec_lo, s13
	s_and_saveexec_b32 s13, s7
	s_delay_alu instid0(SALU_CYCLE_1)
	s_xor_b32 s13, exec_lo, s13
	s_cbranch_execz .LBB155_19
.LBB155_1068:                           ;   in Loop: Header=BB155_3 Depth=1
	s_mov_b32 s56, exec_lo
	v_readlane_b32 s57, v108, 21
	s_and_b32 s57, s56, s57
	s_delay_alu instid0(SALU_CYCLE_1)
	s_xor_b32 s56, s57, s56
	s_mov_b32 exec_lo, s57
	s_cbranch_execz .LBB155_1072
; %bb.1069:                             ;   in Loop: Header=BB155_3 Depth=1
	v_readlane_b32 s58, v107, 8
	s_and_saveexec_b32 s57, s58
; %bb.1070:                             ;   in Loop: Header=BB155_3 Depth=1
	ds_store_b64 v78, v[28:29]
; %bb.1071:                             ;   in Loop: Header=BB155_3 Depth=1
	s_or_b32 exec_lo, exec_lo, s57
.LBB155_1072:                           ;   in Loop: Header=BB155_3 Depth=1
	s_and_not1_saveexec_b32 s66, s56
	s_cbranch_execz .LBB155_1078
; %bb.1073:                             ;   in Loop: Header=BB155_3 Depth=1
	v_lshl_add_u64 v[38:39], v[14:15], 3, v[36:37]
                                        ; implicit-def: $vgpr40_vgpr41
	flat_load_b64 v[38:39], v[38:39]
	s_wait_loadcnt_dscnt 0x0
	v_cmp_ngt_f32_e64 s56, |v38|, |v39|
	s_wait_xcnt 0x0
	s_and_saveexec_b32 s57, s56
	s_delay_alu instid0(SALU_CYCLE_1)
	s_xor_b32 s56, exec_lo, s57
	s_cbranch_execz .LBB155_1075
; %bb.1074:                             ;   in Loop: Header=BB155_3 Depth=1
	v_div_scale_f32 v40, null, v39, v39, v38
	v_div_scale_f32 v43, vcc_lo, v38, v39, v38
	s_delay_alu instid0(VALU_DEP_2) | instskip(SKIP_1) | instid1(TRANS32_DEP_1)
	v_rcp_f32_e32 v41, v40
	v_nop
	v_fma_f32 v42, -v40, v41, 1.0
	s_delay_alu instid0(VALU_DEP_1) | instskip(NEXT) | instid1(VALU_DEP_1)
	v_fmac_f32_e32 v41, v42, v41
	v_mul_f32_e32 v42, v43, v41
	s_delay_alu instid0(VALU_DEP_1) | instskip(NEXT) | instid1(VALU_DEP_1)
	v_fma_f32 v98, -v40, v42, v43
	v_fmac_f32_e32 v42, v98, v41
	s_delay_alu instid0(VALU_DEP_1) | instskip(NEXT) | instid1(VALU_DEP_1)
	v_fma_f32 v40, -v40, v42, v43
	v_div_fmas_f32 v40, v40, v41, v42
	s_delay_alu instid0(VALU_DEP_1) | instskip(NEXT) | instid1(VALU_DEP_1)
	v_div_fixup_f32 v40, v40, v39, v38
	v_fmac_f32_e32 v39, v38, v40
	s_delay_alu instid0(VALU_DEP_1) | instskip(SKIP_1) | instid1(VALU_DEP_2)
	v_div_scale_f32 v38, null, v39, v39, 1.0
	v_div_scale_f32 v43, vcc_lo, 1.0, v39, 1.0
	v_rcp_f32_e32 v41, v38
	v_nop
	s_delay_alu instid0(TRANS32_DEP_1) | instskip(NEXT) | instid1(VALU_DEP_1)
	v_fma_f32 v42, -v38, v41, 1.0
	v_fmac_f32_e32 v41, v42, v41
	s_delay_alu instid0(VALU_DEP_1) | instskip(NEXT) | instid1(VALU_DEP_1)
	v_mul_f32_e32 v42, v43, v41
	v_fma_f32 v98, -v38, v42, v43
	s_delay_alu instid0(VALU_DEP_1) | instskip(NEXT) | instid1(VALU_DEP_1)
	v_fmac_f32_e32 v42, v98, v41
	v_fma_f32 v38, -v38, v42, v43
	s_delay_alu instid0(VALU_DEP_1) | instskip(NEXT) | instid1(VALU_DEP_1)
	v_div_fmas_f32 v38, v38, v41, v42
	v_div_fixup_f32 v38, v38, v39, 1.0
	s_delay_alu instid0(VALU_DEP_1)
	v_mul_f32_e32 v40, v40, v38
	v_xor_b32_e32 v41, 0x80000000, v38
                                        ; implicit-def: $vgpr38_vgpr39
.LBB155_1075:                           ;   in Loop: Header=BB155_3 Depth=1
	s_and_not1_saveexec_b32 s56, s56
	s_cbranch_execz .LBB155_1077
; %bb.1076:                             ;   in Loop: Header=BB155_3 Depth=1
	v_div_scale_f32 v40, null, v38, v38, v39
	v_div_scale_f32 v43, vcc_lo, v39, v38, v39
	s_delay_alu instid0(VALU_DEP_2) | instskip(SKIP_1) | instid1(TRANS32_DEP_1)
	v_rcp_f32_e32 v41, v40
	v_nop
	v_fma_f32 v42, -v40, v41, 1.0
	s_delay_alu instid0(VALU_DEP_1) | instskip(NEXT) | instid1(VALU_DEP_1)
	v_fmac_f32_e32 v41, v42, v41
	v_mul_f32_e32 v42, v43, v41
	s_delay_alu instid0(VALU_DEP_1) | instskip(NEXT) | instid1(VALU_DEP_1)
	v_fma_f32 v98, -v40, v42, v43
	v_fmac_f32_e32 v42, v98, v41
	s_delay_alu instid0(VALU_DEP_1) | instskip(NEXT) | instid1(VALU_DEP_1)
	v_fma_f32 v40, -v40, v42, v43
	v_div_fmas_f32 v40, v40, v41, v42
	s_delay_alu instid0(VALU_DEP_1) | instskip(NEXT) | instid1(VALU_DEP_1)
	v_div_fixup_f32 v41, v40, v38, v39
	v_fmac_f32_e32 v38, v39, v41
	s_delay_alu instid0(VALU_DEP_1) | instskip(NEXT) | instid1(VALU_DEP_1)
	v_div_scale_f32 v39, null, v38, v38, 1.0
	v_rcp_f32_e32 v40, v39
	v_nop
	s_delay_alu instid0(TRANS32_DEP_1) | instskip(NEXT) | instid1(VALU_DEP_1)
	v_fma_f32 v42, -v39, v40, 1.0
	v_fmac_f32_e32 v40, v42, v40
	v_div_scale_f32 v42, vcc_lo, 1.0, v38, 1.0
	s_delay_alu instid0(VALU_DEP_1) | instskip(NEXT) | instid1(VALU_DEP_1)
	v_mul_f32_e32 v43, v42, v40
	v_fma_f32 v98, -v39, v43, v42
	s_delay_alu instid0(VALU_DEP_1) | instskip(NEXT) | instid1(VALU_DEP_1)
	v_fmac_f32_e32 v43, v98, v40
	v_fma_f32 v39, -v39, v43, v42
	s_delay_alu instid0(VALU_DEP_1) | instskip(NEXT) | instid1(VALU_DEP_1)
	v_div_fmas_f32 v39, v39, v40, v43
	v_div_fixup_f32 v40, v39, v38, 1.0
	s_delay_alu instid0(VALU_DEP_1)
	v_mul_f32_e64 v41, v41, -v40
.LBB155_1077:                           ;   in Loop: Header=BB155_3 Depth=1
	s_or_b32 exec_lo, exec_lo, s56
	ds_store_b64 v78, v[40:41]
.LBB155_1078:                           ;   in Loop: Header=BB155_3 Depth=1
	s_or_b32 exec_lo, exec_lo, s66
	s_and_not1_saveexec_b32 s13, s13
	s_cbranch_execz .LBB155_20
.LBB155_1079:                           ;   in Loop: Header=BB155_3 Depth=1
	v_lshl_add_u64 v[38:39], v[14:15], 3, v[36:37]
	flat_load_b64 v[38:39], v[38:39]
	s_wait_loadcnt_dscnt 0x0
	v_pk_add_f32 v[38:39], v[38:39], 0 neg_lo:[1,1] neg_hi:[1,1]
	ds_store_b64 v78, v[38:39]
	s_or_b32 exec_lo, exec_lo, s13
	s_and_saveexec_b32 s13, s8
	s_delay_alu instid0(SALU_CYCLE_1)
	s_xor_b32 s13, exec_lo, s13
	s_cbranch_execz .LBB155_21
.LBB155_1080:                           ;   in Loop: Header=BB155_3 Depth=1
	s_mov_b32 s56, exec_lo
	v_readlane_b32 s57, v108, 23
	s_and_b32 s57, s56, s57
	s_delay_alu instid0(SALU_CYCLE_1)
	s_xor_b32 s56, s57, s56
	s_mov_b32 exec_lo, s57
	s_cbranch_execz .LBB155_1084
; %bb.1081:                             ;   in Loop: Header=BB155_3 Depth=1
	v_readlane_b32 s58, v107, 9
	s_and_saveexec_b32 s57, s58
; %bb.1082:                             ;   in Loop: Header=BB155_3 Depth=1
	ds_store_b64 v80, v[28:29]
; %bb.1083:                             ;   in Loop: Header=BB155_3 Depth=1
	s_or_b32 exec_lo, exec_lo, s57
.LBB155_1084:                           ;   in Loop: Header=BB155_3 Depth=1
	s_and_not1_saveexec_b32 s66, s56
	s_cbranch_execz .LBB155_1090
; %bb.1085:                             ;   in Loop: Header=BB155_3 Depth=1
	v_lshl_add_u64 v[38:39], v[16:17], 3, v[36:37]
                                        ; implicit-def: $vgpr40_vgpr41
	flat_load_b64 v[38:39], v[38:39]
	s_wait_loadcnt_dscnt 0x0
	v_cmp_ngt_f32_e64 s56, |v38|, |v39|
	s_wait_xcnt 0x0
	s_and_saveexec_b32 s57, s56
	s_delay_alu instid0(SALU_CYCLE_1)
	s_xor_b32 s56, exec_lo, s57
	s_cbranch_execz .LBB155_1087
; %bb.1086:                             ;   in Loop: Header=BB155_3 Depth=1
	v_div_scale_f32 v40, null, v39, v39, v38
	v_div_scale_f32 v43, vcc_lo, v38, v39, v38
	s_delay_alu instid0(VALU_DEP_2) | instskip(SKIP_1) | instid1(TRANS32_DEP_1)
	v_rcp_f32_e32 v41, v40
	v_nop
	v_fma_f32 v42, -v40, v41, 1.0
	s_delay_alu instid0(VALU_DEP_1) | instskip(NEXT) | instid1(VALU_DEP_1)
	v_fmac_f32_e32 v41, v42, v41
	v_mul_f32_e32 v42, v43, v41
	s_delay_alu instid0(VALU_DEP_1) | instskip(NEXT) | instid1(VALU_DEP_1)
	v_fma_f32 v98, -v40, v42, v43
	v_fmac_f32_e32 v42, v98, v41
	s_delay_alu instid0(VALU_DEP_1) | instskip(NEXT) | instid1(VALU_DEP_1)
	v_fma_f32 v40, -v40, v42, v43
	v_div_fmas_f32 v40, v40, v41, v42
	s_delay_alu instid0(VALU_DEP_1) | instskip(NEXT) | instid1(VALU_DEP_1)
	v_div_fixup_f32 v40, v40, v39, v38
	v_fmac_f32_e32 v39, v38, v40
	s_delay_alu instid0(VALU_DEP_1) | instskip(SKIP_1) | instid1(VALU_DEP_2)
	v_div_scale_f32 v38, null, v39, v39, 1.0
	v_div_scale_f32 v43, vcc_lo, 1.0, v39, 1.0
	v_rcp_f32_e32 v41, v38
	v_nop
	s_delay_alu instid0(TRANS32_DEP_1) | instskip(NEXT) | instid1(VALU_DEP_1)
	v_fma_f32 v42, -v38, v41, 1.0
	v_fmac_f32_e32 v41, v42, v41
	s_delay_alu instid0(VALU_DEP_1) | instskip(NEXT) | instid1(VALU_DEP_1)
	v_mul_f32_e32 v42, v43, v41
	v_fma_f32 v98, -v38, v42, v43
	s_delay_alu instid0(VALU_DEP_1) | instskip(NEXT) | instid1(VALU_DEP_1)
	v_fmac_f32_e32 v42, v98, v41
	v_fma_f32 v38, -v38, v42, v43
	s_delay_alu instid0(VALU_DEP_1) | instskip(NEXT) | instid1(VALU_DEP_1)
	v_div_fmas_f32 v38, v38, v41, v42
	v_div_fixup_f32 v38, v38, v39, 1.0
	s_delay_alu instid0(VALU_DEP_1)
	v_mul_f32_e32 v40, v40, v38
	v_xor_b32_e32 v41, 0x80000000, v38
                                        ; implicit-def: $vgpr38_vgpr39
.LBB155_1087:                           ;   in Loop: Header=BB155_3 Depth=1
	s_and_not1_saveexec_b32 s56, s56
	s_cbranch_execz .LBB155_1089
; %bb.1088:                             ;   in Loop: Header=BB155_3 Depth=1
	v_div_scale_f32 v40, null, v38, v38, v39
	v_div_scale_f32 v43, vcc_lo, v39, v38, v39
	s_delay_alu instid0(VALU_DEP_2) | instskip(SKIP_1) | instid1(TRANS32_DEP_1)
	v_rcp_f32_e32 v41, v40
	v_nop
	v_fma_f32 v42, -v40, v41, 1.0
	s_delay_alu instid0(VALU_DEP_1) | instskip(NEXT) | instid1(VALU_DEP_1)
	v_fmac_f32_e32 v41, v42, v41
	v_mul_f32_e32 v42, v43, v41
	s_delay_alu instid0(VALU_DEP_1) | instskip(NEXT) | instid1(VALU_DEP_1)
	v_fma_f32 v98, -v40, v42, v43
	v_fmac_f32_e32 v42, v98, v41
	s_delay_alu instid0(VALU_DEP_1) | instskip(NEXT) | instid1(VALU_DEP_1)
	v_fma_f32 v40, -v40, v42, v43
	v_div_fmas_f32 v40, v40, v41, v42
	s_delay_alu instid0(VALU_DEP_1) | instskip(NEXT) | instid1(VALU_DEP_1)
	v_div_fixup_f32 v41, v40, v38, v39
	v_fmac_f32_e32 v38, v39, v41
	s_delay_alu instid0(VALU_DEP_1) | instskip(NEXT) | instid1(VALU_DEP_1)
	v_div_scale_f32 v39, null, v38, v38, 1.0
	v_rcp_f32_e32 v40, v39
	v_nop
	s_delay_alu instid0(TRANS32_DEP_1) | instskip(NEXT) | instid1(VALU_DEP_1)
	v_fma_f32 v42, -v39, v40, 1.0
	v_fmac_f32_e32 v40, v42, v40
	v_div_scale_f32 v42, vcc_lo, 1.0, v38, 1.0
	s_delay_alu instid0(VALU_DEP_1) | instskip(NEXT) | instid1(VALU_DEP_1)
	v_mul_f32_e32 v43, v42, v40
	v_fma_f32 v98, -v39, v43, v42
	s_delay_alu instid0(VALU_DEP_1) | instskip(NEXT) | instid1(VALU_DEP_1)
	v_fmac_f32_e32 v43, v98, v40
	v_fma_f32 v39, -v39, v43, v42
	s_delay_alu instid0(VALU_DEP_1) | instskip(NEXT) | instid1(VALU_DEP_1)
	v_div_fmas_f32 v39, v39, v40, v43
	v_div_fixup_f32 v40, v39, v38, 1.0
	s_delay_alu instid0(VALU_DEP_1)
	v_mul_f32_e64 v41, v41, -v40
.LBB155_1089:                           ;   in Loop: Header=BB155_3 Depth=1
	s_or_b32 exec_lo, exec_lo, s56
	ds_store_b64 v80, v[40:41]
.LBB155_1090:                           ;   in Loop: Header=BB155_3 Depth=1
	s_or_b32 exec_lo, exec_lo, s66
	s_and_not1_saveexec_b32 s13, s13
	s_cbranch_execz .LBB155_22
.LBB155_1091:                           ;   in Loop: Header=BB155_3 Depth=1
	v_lshl_add_u64 v[38:39], v[16:17], 3, v[36:37]
	flat_load_b64 v[38:39], v[38:39]
	s_wait_loadcnt_dscnt 0x0
	v_pk_add_f32 v[38:39], v[38:39], 0 neg_lo:[1,1] neg_hi:[1,1]
	ds_store_b64 v80, v[38:39]
	s_or_b32 exec_lo, exec_lo, s13
	s_and_saveexec_b32 s13, s9
	s_delay_alu instid0(SALU_CYCLE_1)
	s_xor_b32 s13, exec_lo, s13
	s_cbranch_execz .LBB155_23
.LBB155_1092:                           ;   in Loop: Header=BB155_3 Depth=1
	s_mov_b32 s56, exec_lo
	v_readlane_b32 s57, v108, 25
	s_and_b32 s57, s56, s57
	s_delay_alu instid0(SALU_CYCLE_1)
	s_xor_b32 s56, s57, s56
	s_mov_b32 exec_lo, s57
	s_cbranch_execz .LBB155_1096
; %bb.1093:                             ;   in Loop: Header=BB155_3 Depth=1
	v_readlane_b32 s58, v107, 10
	s_and_saveexec_b32 s57, s58
; %bb.1094:                             ;   in Loop: Header=BB155_3 Depth=1
	ds_store_b64 v82, v[28:29]
; %bb.1095:                             ;   in Loop: Header=BB155_3 Depth=1
	s_or_b32 exec_lo, exec_lo, s57
.LBB155_1096:                           ;   in Loop: Header=BB155_3 Depth=1
	s_and_not1_saveexec_b32 s66, s56
	s_cbranch_execz .LBB155_1102
; %bb.1097:                             ;   in Loop: Header=BB155_3 Depth=1
	v_lshl_add_u64 v[38:39], v[18:19], 3, v[36:37]
                                        ; implicit-def: $vgpr40_vgpr41
	flat_load_b64 v[38:39], v[38:39]
	s_wait_loadcnt_dscnt 0x0
	v_cmp_ngt_f32_e64 s56, |v38|, |v39|
	s_wait_xcnt 0x0
	s_and_saveexec_b32 s57, s56
	s_delay_alu instid0(SALU_CYCLE_1)
	s_xor_b32 s56, exec_lo, s57
	s_cbranch_execz .LBB155_1099
; %bb.1098:                             ;   in Loop: Header=BB155_3 Depth=1
	v_div_scale_f32 v40, null, v39, v39, v38
	v_div_scale_f32 v43, vcc_lo, v38, v39, v38
	s_delay_alu instid0(VALU_DEP_2) | instskip(SKIP_1) | instid1(TRANS32_DEP_1)
	v_rcp_f32_e32 v41, v40
	v_nop
	v_fma_f32 v42, -v40, v41, 1.0
	s_delay_alu instid0(VALU_DEP_1) | instskip(NEXT) | instid1(VALU_DEP_1)
	v_fmac_f32_e32 v41, v42, v41
	v_mul_f32_e32 v42, v43, v41
	s_delay_alu instid0(VALU_DEP_1) | instskip(NEXT) | instid1(VALU_DEP_1)
	v_fma_f32 v98, -v40, v42, v43
	v_fmac_f32_e32 v42, v98, v41
	s_delay_alu instid0(VALU_DEP_1) | instskip(NEXT) | instid1(VALU_DEP_1)
	v_fma_f32 v40, -v40, v42, v43
	v_div_fmas_f32 v40, v40, v41, v42
	s_delay_alu instid0(VALU_DEP_1) | instskip(NEXT) | instid1(VALU_DEP_1)
	v_div_fixup_f32 v40, v40, v39, v38
	v_fmac_f32_e32 v39, v38, v40
	s_delay_alu instid0(VALU_DEP_1) | instskip(SKIP_1) | instid1(VALU_DEP_2)
	v_div_scale_f32 v38, null, v39, v39, 1.0
	v_div_scale_f32 v43, vcc_lo, 1.0, v39, 1.0
	v_rcp_f32_e32 v41, v38
	v_nop
	s_delay_alu instid0(TRANS32_DEP_1) | instskip(NEXT) | instid1(VALU_DEP_1)
	v_fma_f32 v42, -v38, v41, 1.0
	v_fmac_f32_e32 v41, v42, v41
	s_delay_alu instid0(VALU_DEP_1) | instskip(NEXT) | instid1(VALU_DEP_1)
	v_mul_f32_e32 v42, v43, v41
	v_fma_f32 v98, -v38, v42, v43
	s_delay_alu instid0(VALU_DEP_1) | instskip(NEXT) | instid1(VALU_DEP_1)
	v_fmac_f32_e32 v42, v98, v41
	v_fma_f32 v38, -v38, v42, v43
	s_delay_alu instid0(VALU_DEP_1) | instskip(NEXT) | instid1(VALU_DEP_1)
	v_div_fmas_f32 v38, v38, v41, v42
	v_div_fixup_f32 v38, v38, v39, 1.0
	s_delay_alu instid0(VALU_DEP_1)
	v_mul_f32_e32 v40, v40, v38
	v_xor_b32_e32 v41, 0x80000000, v38
                                        ; implicit-def: $vgpr38_vgpr39
.LBB155_1099:                           ;   in Loop: Header=BB155_3 Depth=1
	s_and_not1_saveexec_b32 s56, s56
	s_cbranch_execz .LBB155_1101
; %bb.1100:                             ;   in Loop: Header=BB155_3 Depth=1
	v_div_scale_f32 v40, null, v38, v38, v39
	v_div_scale_f32 v43, vcc_lo, v39, v38, v39
	s_delay_alu instid0(VALU_DEP_2) | instskip(SKIP_1) | instid1(TRANS32_DEP_1)
	v_rcp_f32_e32 v41, v40
	v_nop
	v_fma_f32 v42, -v40, v41, 1.0
	s_delay_alu instid0(VALU_DEP_1) | instskip(NEXT) | instid1(VALU_DEP_1)
	v_fmac_f32_e32 v41, v42, v41
	v_mul_f32_e32 v42, v43, v41
	s_delay_alu instid0(VALU_DEP_1) | instskip(NEXT) | instid1(VALU_DEP_1)
	v_fma_f32 v98, -v40, v42, v43
	v_fmac_f32_e32 v42, v98, v41
	s_delay_alu instid0(VALU_DEP_1) | instskip(NEXT) | instid1(VALU_DEP_1)
	v_fma_f32 v40, -v40, v42, v43
	v_div_fmas_f32 v40, v40, v41, v42
	s_delay_alu instid0(VALU_DEP_1) | instskip(NEXT) | instid1(VALU_DEP_1)
	v_div_fixup_f32 v41, v40, v38, v39
	v_fmac_f32_e32 v38, v39, v41
	s_delay_alu instid0(VALU_DEP_1) | instskip(NEXT) | instid1(VALU_DEP_1)
	v_div_scale_f32 v39, null, v38, v38, 1.0
	v_rcp_f32_e32 v40, v39
	v_nop
	s_delay_alu instid0(TRANS32_DEP_1) | instskip(NEXT) | instid1(VALU_DEP_1)
	v_fma_f32 v42, -v39, v40, 1.0
	v_fmac_f32_e32 v40, v42, v40
	v_div_scale_f32 v42, vcc_lo, 1.0, v38, 1.0
	s_delay_alu instid0(VALU_DEP_1) | instskip(NEXT) | instid1(VALU_DEP_1)
	v_mul_f32_e32 v43, v42, v40
	v_fma_f32 v98, -v39, v43, v42
	s_delay_alu instid0(VALU_DEP_1) | instskip(NEXT) | instid1(VALU_DEP_1)
	v_fmac_f32_e32 v43, v98, v40
	v_fma_f32 v39, -v39, v43, v42
	s_delay_alu instid0(VALU_DEP_1) | instskip(NEXT) | instid1(VALU_DEP_1)
	v_div_fmas_f32 v39, v39, v40, v43
	v_div_fixup_f32 v40, v39, v38, 1.0
	s_delay_alu instid0(VALU_DEP_1)
	v_mul_f32_e64 v41, v41, -v40
.LBB155_1101:                           ;   in Loop: Header=BB155_3 Depth=1
	s_or_b32 exec_lo, exec_lo, s56
	ds_store_b64 v82, v[40:41]
.LBB155_1102:                           ;   in Loop: Header=BB155_3 Depth=1
	s_or_b32 exec_lo, exec_lo, s66
	s_and_not1_saveexec_b32 s13, s13
	s_cbranch_execnz .LBB155_24
	s_branch .LBB155_25
.LBB155_1103:                           ;   in Loop: Header=BB155_3 Depth=1
	ds_load_b64 v[30:31], v94
	ds_load_b64 v[32:33], v84
	s_wait_dscnt 0x0
	v_dual_mul_f32 v38, v33, v31 :: v_dual_mul_f32 v31, v32, v31
	s_delay_alu instid0(VALU_DEP_1) | instskip(NEXT) | instid1(VALU_DEP_1)
	v_dual_fma_f32 v32, v32, v30, -v38 :: v_dual_fmac_f32 v31, v33, v30
	v_dual_add_f32 v30, 0, v32 :: v_dual_add_f32 v31, 0, v31
	s_or_b32 exec_lo, exec_lo, s13
	s_and_saveexec_b32 s13, s7
	s_cbranch_execz .LBB155_1034
.LBB155_1104:                           ;   in Loop: Header=BB155_3 Depth=1
	ds_load_b64 v[32:33], v94 offset:8192
	ds_load_b64 v[38:39], v84 offset:128
	s_wait_dscnt 0x0
	v_dual_mul_f32 v40, v39, v33 :: v_dual_mul_f32 v41, v38, v33
	s_delay_alu instid0(VALU_DEP_1) | instskip(NEXT) | instid1(VALU_DEP_1)
	v_dual_fma_f32 v40, v38, v32, -v40 :: v_dual_fmac_f32 v41, v39, v32
	v_pk_add_f32 v[30:31], v[30:31], v[40:41]
	s_or_b32 exec_lo, exec_lo, s13
	s_and_saveexec_b32 s13, s8
	s_cbranch_execz .LBB155_1035
.LBB155_1105:                           ;   in Loop: Header=BB155_3 Depth=1
	ds_load_b64 v[32:33], v94 offset:16384
	ds_load_b64 v[38:39], v84 offset:256
	s_wait_dscnt 0x0
	v_pk_mul_f32 v[40:41], v[38:39], v[32:33] op_sel:[1,1] op_sel_hi:[0,1]
	s_delay_alu instid0(VALU_DEP_1) | instskip(SKIP_1) | instid1(VALU_DEP_2)
	v_pk_fma_f32 v[42:43], v[38:39], v[32:33], v[40:41] op_sel_hi:[1,0,1]
	v_pk_fma_f32 v[32:33], v[38:39], v[32:33], v[40:41] neg_lo:[0,0,1] neg_hi:[0,0,1]
	v_mov_b32_e32 v33, v43
	s_delay_alu instid0(VALU_DEP_1)
	v_pk_add_f32 v[30:31], v[30:31], v[32:33]
	s_or_b32 exec_lo, exec_lo, s13
	s_and_saveexec_b32 s13, s9
	s_cbranch_execnz .LBB155_1036
	s_branch .LBB155_1037
.LBB155_1106:                           ;   in Loop: Header=BB155_3 Depth=1
	s_or_b32 exec_lo, exec_lo, s56
	s_delay_alu instid0(SALU_CYCLE_1)
	s_and_b32 vcc_lo, exec_lo, s13
	s_cbranch_vccnz .LBB155_1040
.LBB155_1107:                           ;   in Loop: Header=BB155_3 Depth=1
	v_mov_b64_e32 v[36:37], v[32:33]
	s_and_saveexec_b32 s13, s66
	s_cbranch_execnz .LBB155_1053
	s_branch .LBB155_1054
.LBB155_1108:                           ;   in Loop: Header=BB155_3 Depth=1
	s_and_not1_b32 s56, s66, exec_lo
	s_and_b32 s57, s2, exec_lo
	s_delay_alu instid0(SALU_CYCLE_1)
	s_or_b32 s66, s56, s57
	s_cbranch_execnz .LBB155_1052
.LBB155_1109:                           ;   in Loop: Header=BB155_3 Depth=1
	v_readlane_b32 s56, v108, 11
	s_and_not1_b32 s13, s66, exec_lo
	s_and_b32 s56, s56, exec_lo
	s_delay_alu instid0(SALU_CYCLE_1) | instskip(NEXT) | instid1(SALU_CYCLE_1)
	s_or_b32 s66, s13, s56
	s_and_saveexec_b32 s13, s66
	s_cbranch_execnz .LBB155_1053
	s_branch .LBB155_1054
.LBB155_1110:                           ;   in Loop: Header=BB155_3 Depth=1
	ds_load_b64 v[38:39], v53 offset:544
	ds_load_b64 v[40:41], v48 offset:8
	s_wait_dscnt 0x0
	v_pk_mul_f32 v[42:43], v[40:41], v[38:39] op_sel:[0,1]
	s_delay_alu instid0(VALU_DEP_1) | instskip(SKIP_1) | instid1(VALU_DEP_2)
	v_pk_fma_f32 v[98:99], v[40:41], v[38:39], v[42:43] op_sel:[1,0,0] op_sel_hi:[0,0,1] neg_lo:[0,0,1] neg_hi:[0,0,1]
	v_pk_fma_f32 v[38:39], v[40:41], v[38:39], v[42:43] op_sel:[1,0,0] op_sel_hi:[0,1,1]
	v_mov_b32_e32 v39, v99
	s_delay_alu instid0(VALU_DEP_1)
	v_pk_add_f32 v[36:37], v[36:37], v[38:39]
	s_or_b32 exec_lo, exec_lo, s56
	s_and_saveexec_b32 s56, s17
	s_cbranch_execz .LBB155_106
.LBB155_1111:                           ;   in Loop: Header=BB155_3 Depth=1
	ds_load_b64 v[38:39], v52 offset:1056
	ds_load_b64 v[40:41], v48 offset:16
	s_wait_dscnt 0x0
	v_pk_mul_f32 v[42:43], v[40:41], v[38:39] op_sel:[0,1]
	s_delay_alu instid0(VALU_DEP_1) | instskip(SKIP_1) | instid1(VALU_DEP_2)
	v_pk_fma_f32 v[98:99], v[40:41], v[38:39], v[42:43] op_sel:[1,0,0] op_sel_hi:[0,0,1] neg_lo:[0,0,1] neg_hi:[0,0,1]
	v_pk_fma_f32 v[38:39], v[40:41], v[38:39], v[42:43] op_sel:[1,0,0] op_sel_hi:[0,1,1]
	v_mov_b32_e32 v39, v99
	s_delay_alu instid0(VALU_DEP_1)
	v_pk_add_f32 v[36:37], v[36:37], v[38:39]
	s_or_b32 exec_lo, exec_lo, s56
	s_and_saveexec_b32 s56, s1
	s_cbranch_execnz .LBB155_107
	s_branch .LBB155_108
.LBB155_1112:                           ;   in Loop: Header=BB155_3 Depth=1
	ds_load_b64 v[38:39], v61 offset:576
	ds_load_b64 v[40:41], v56 offset:8
	s_wait_dscnt 0x0
	v_dual_mul_f32 v42, v41, v39 :: v_dual_mul_f32 v39, v40, v39
	s_delay_alu instid0(VALU_DEP_1) | instskip(NEXT) | instid1(VALU_DEP_1)
	v_dual_fma_f32 v40, v40, v38, -v42 :: v_dual_fmac_f32 v39, v41, v38
	v_dual_add_f32 v37, v37, v40 :: v_dual_add_f32 v36, v36, v39
	s_or_b32 exec_lo, exec_lo, s56
	s_and_saveexec_b32 s56, s19
	s_cbranch_execz .LBB155_148
.LBB155_1113:                           ;   in Loop: Header=BB155_3 Depth=1
	ds_load_b64 v[38:39], v61 offset:1088
	ds_load_b64 v[40:41], v56 offset:16
	s_wait_dscnt 0x0
	v_dual_mul_f32 v42, v41, v39 :: v_dual_mul_f32 v39, v40, v39
	s_delay_alu instid0(VALU_DEP_1) | instskip(NEXT) | instid1(VALU_DEP_1)
	v_dual_fma_f32 v40, v40, v38, -v42 :: v_dual_fmac_f32 v39, v41, v38
	v_dual_add_f32 v37, v37, v40 :: v_dual_add_f32 v36, v36, v39
	s_or_b32 exec_lo, exec_lo, s56
	s_and_saveexec_b32 s56, s20
	s_cbranch_execz .LBB155_149
.LBB155_1114:                           ;   in Loop: Header=BB155_3 Depth=1
	ds_load_b64 v[38:39], v61 offset:1600
	ds_load_b64 v[40:41], v56 offset:24
	s_wait_dscnt 0x0
	v_dual_mul_f32 v42, v41, v39 :: v_dual_mul_f32 v39, v40, v39
	s_delay_alu instid0(VALU_DEP_1) | instskip(NEXT) | instid1(VALU_DEP_1)
	v_dual_fma_f32 v40, v40, v38, -v42 :: v_dual_fmac_f32 v39, v41, v38
	v_dual_add_f32 v37, v37, v40 :: v_dual_add_f32 v36, v36, v39
	s_or_b32 exec_lo, exec_lo, s56
	s_and_saveexec_b32 s56, s21
	s_cbranch_execz .LBB155_150
.LBB155_1115:                           ;   in Loop: Header=BB155_3 Depth=1
	ds_load_b64 v[38:39], v60 offset:2112
	ds_load_b64 v[40:41], v56 offset:32
	s_wait_dscnt 0x0
	v_dual_mul_f32 v43, v41, v39 :: v_dual_mul_f32 v42, v40, v39
	s_delay_alu instid0(VALU_DEP_1) | instskip(NEXT) | instid1(VALU_DEP_1)
	v_dual_fma_f32 v43, v40, v38, -v43 :: v_dual_fmac_f32 v42, v41, v38
	v_pk_add_f32 v[36:37], v[36:37], v[42:43]
	s_or_b32 exec_lo, exec_lo, s56
	s_and_saveexec_b32 s56, s22
	s_cbranch_execz .LBB155_151
.LBB155_1116:                           ;   in Loop: Header=BB155_3 Depth=1
	ds_load_b64 v[38:39], v61 offset:2624
	ds_load_b64 v[40:41], v56 offset:40
	s_wait_dscnt 0x0
	v_pk_mul_f32 v[42:43], v[40:41], v[38:39] op_sel:[0,1]
	s_delay_alu instid0(VALU_DEP_1) | instskip(SKIP_1) | instid1(VALU_DEP_2)
	v_pk_fma_f32 v[98:99], v[40:41], v[38:39], v[42:43] op_sel:[1,0,0] op_sel_hi:[0,0,1] neg_lo:[0,0,1] neg_hi:[0,0,1]
	v_pk_fma_f32 v[38:39], v[40:41], v[38:39], v[42:43] op_sel:[1,0,0] op_sel_hi:[0,1,1]
	v_mov_b32_e32 v39, v99
	s_delay_alu instid0(VALU_DEP_1)
	v_pk_add_f32 v[36:37], v[36:37], v[38:39]
	s_or_b32 exec_lo, exec_lo, s56
	s_and_saveexec_b32 s56, s3
	s_cbranch_execz .LBB155_152
.LBB155_1117:                           ;   in Loop: Header=BB155_3 Depth=1
	ds_load_b64 v[38:39], v60 offset:3136
	ds_load_b64 v[40:41], v56 offset:48
	s_wait_dscnt 0x0
	v_pk_mul_f32 v[42:43], v[40:41], v[38:39] op_sel:[0,1]
	s_delay_alu instid0(VALU_DEP_1) | instskip(SKIP_1) | instid1(VALU_DEP_2)
	v_pk_fma_f32 v[98:99], v[40:41], v[38:39], v[42:43] op_sel:[1,0,0] op_sel_hi:[0,0,1] neg_lo:[0,0,1] neg_hi:[0,0,1]
	v_pk_fma_f32 v[38:39], v[40:41], v[38:39], v[42:43] op_sel:[1,0,0] op_sel_hi:[0,1,1]
	v_mov_b32_e32 v39, v99
	s_delay_alu instid0(VALU_DEP_1)
	v_pk_add_f32 v[36:37], v[36:37], v[38:39]
	s_or_b32 exec_lo, exec_lo, s56
	s_and_saveexec_b32 s56, s17
	s_cbranch_execnz .LBB155_153
	s_branch .LBB155_154
.LBB155_1118:                           ;   in Loop: Header=BB155_3 Depth=1
	ds_load_b64 v[38:39], v53 offset:4704
	ds_load_b64 v[40:41], v48 offset:4168
	s_wait_dscnt 0x0
	v_pk_mul_f32 v[42:43], v[40:41], v[38:39] op_sel:[0,1]
	s_delay_alu instid0(VALU_DEP_1) | instskip(SKIP_1) | instid1(VALU_DEP_2)
	v_pk_fma_f32 v[98:99], v[40:41], v[38:39], v[42:43] op_sel:[1,0,0] op_sel_hi:[0,0,1] neg_lo:[0,0,1] neg_hi:[0,0,1]
	v_pk_fma_f32 v[38:39], v[40:41], v[38:39], v[42:43] op_sel:[1,0,0] op_sel_hi:[0,1,1]
	v_mov_b32_e32 v39, v99
	s_delay_alu instid0(VALU_DEP_1)
	v_pk_add_f32 v[36:37], v[36:37], v[38:39]
	s_or_b32 exec_lo, exec_lo, s56
	s_and_saveexec_b32 s56, s17
	s_cbranch_execz .LBB155_210
.LBB155_1119:                           ;   in Loop: Header=BB155_3 Depth=1
	ds_load_b64 v[38:39], v52 offset:5216
	ds_load_b64 v[40:41], v48 offset:4176
	s_wait_dscnt 0x0
	v_pk_mul_f32 v[42:43], v[40:41], v[38:39] op_sel:[0,1]
	s_delay_alu instid0(VALU_DEP_1) | instskip(SKIP_1) | instid1(VALU_DEP_2)
	v_pk_fma_f32 v[98:99], v[40:41], v[38:39], v[42:43] op_sel:[1,0,0] op_sel_hi:[0,0,1] neg_lo:[0,0,1] neg_hi:[0,0,1]
	v_pk_fma_f32 v[38:39], v[40:41], v[38:39], v[42:43] op_sel:[1,0,0] op_sel_hi:[0,1,1]
	v_mov_b32_e32 v39, v99
	s_delay_alu instid0(VALU_DEP_1)
	v_pk_add_f32 v[36:37], v[36:37], v[38:39]
	s_or_b32 exec_lo, exec_lo, s56
	s_and_saveexec_b32 s56, s1
	s_cbranch_execnz .LBB155_211
	s_branch .LBB155_212
.LBB155_1120:                           ;   in Loop: Header=BB155_3 Depth=1
	ds_load_b64 v[38:39], v66 offset:5760
	ds_load_b64 v[40:41], v62 offset:88
	s_wait_dscnt 0x0
	v_dual_mul_f32 v42, v41, v39 :: v_dual_mul_f32 v39, v40, v39
	s_delay_alu instid0(VALU_DEP_1) | instskip(NEXT) | instid1(VALU_DEP_1)
	v_dual_fma_f32 v40, v40, v38, -v42 :: v_dual_fmac_f32 v39, v41, v38
	v_dual_add_f32 v37, v37, v40 :: v_dual_add_f32 v36, v36, v39
	s_or_b32 exec_lo, exec_lo, s13
	s_and_saveexec_b32 s13, s4
	s_cbranch_execz .LBB155_272
.LBB155_1121:                           ;   in Loop: Header=BB155_3 Depth=1
	ds_load_b64 v[38:39], v65 offset:6272
	ds_load_b64 v[40:41], v62 offset:96
	s_wait_dscnt 0x0
	v_dual_mul_f32 v43, v41, v39 :: v_dual_mul_f32 v42, v40, v39
	s_delay_alu instid0(VALU_DEP_1) | instskip(NEXT) | instid1(VALU_DEP_1)
	v_dual_fma_f32 v43, v40, v38, -v43 :: v_dual_fmac_f32 v42, v41, v38
	v_pk_add_f32 v[36:37], v[36:37], v[42:43]
	s_or_b32 exec_lo, exec_lo, s13
	s_and_saveexec_b32 s13, s19
	s_cbranch_execz .LBB155_273
.LBB155_1122:                           ;   in Loop: Header=BB155_3 Depth=1
	ds_load_b64 v[38:39], v66 offset:6784
	ds_load_b64 v[40:41], v62 offset:104
	s_wait_dscnt 0x0
	v_pk_mul_f32 v[42:43], v[40:41], v[38:39] op_sel:[0,1]
	s_delay_alu instid0(VALU_DEP_1) | instskip(SKIP_1) | instid1(VALU_DEP_2)
	v_pk_fma_f32 v[98:99], v[40:41], v[38:39], v[42:43] op_sel:[1,0,0] op_sel_hi:[0,0,1] neg_lo:[0,0,1] neg_hi:[0,0,1]
	v_pk_fma_f32 v[38:39], v[40:41], v[38:39], v[42:43] op_sel:[1,0,0] op_sel_hi:[0,1,1]
	v_mov_b32_e32 v39, v99
	s_delay_alu instid0(VALU_DEP_1)
	v_pk_add_f32 v[36:37], v[36:37], v[38:39]
	s_or_b32 exec_lo, exec_lo, s13
	s_and_saveexec_b32 s13, s21
	s_cbranch_execz .LBB155_274
.LBB155_1123:                           ;   in Loop: Header=BB155_3 Depth=1
	ds_load_b64 v[38:39], v65 offset:7296
	ds_load_b64 v[40:41], v62 offset:112
	s_wait_dscnt 0x0
	v_pk_mul_f32 v[42:43], v[40:41], v[38:39] op_sel:[0,1]
	s_delay_alu instid0(VALU_DEP_1) | instskip(SKIP_1) | instid1(VALU_DEP_2)
	v_pk_fma_f32 v[98:99], v[40:41], v[38:39], v[42:43] op_sel:[1,0,0] op_sel_hi:[0,0,1] neg_lo:[0,0,1] neg_hi:[0,0,1]
	v_pk_fma_f32 v[38:39], v[40:41], v[38:39], v[42:43] op_sel:[1,0,0] op_sel_hi:[0,1,1]
	v_mov_b32_e32 v39, v99
	s_delay_alu instid0(VALU_DEP_1)
	v_pk_add_f32 v[36:37], v[36:37], v[38:39]
	s_or_b32 exec_lo, exec_lo, s13
	s_and_saveexec_b32 s13, s3
	s_cbranch_execnz .LBB155_275
	s_branch .LBB155_276
.LBB155_1124:                           ;   in Loop: Header=BB155_3 Depth=1
	ds_load_b64 v[38:39], v53 offset:8864
	ds_load_b64 v[40:41], v48 offset:8328
	s_wait_dscnt 0x0
	v_pk_mul_f32 v[42:43], v[40:41], v[38:39] op_sel:[0,1]
	s_delay_alu instid0(VALU_DEP_1) | instskip(SKIP_1) | instid1(VALU_DEP_2)
	v_pk_fma_f32 v[98:99], v[40:41], v[38:39], v[42:43] op_sel:[1,0,0] op_sel_hi:[0,0,1] neg_lo:[0,0,1] neg_hi:[0,0,1]
	v_pk_fma_f32 v[38:39], v[40:41], v[38:39], v[42:43] op_sel:[1,0,0] op_sel_hi:[0,1,1]
	v_mov_b32_e32 v39, v99
	s_delay_alu instid0(VALU_DEP_1)
	v_pk_add_f32 v[36:37], v[36:37], v[38:39]
	s_or_b32 exec_lo, exec_lo, s56
	s_and_saveexec_b32 s56, s17
	s_cbranch_execz .LBB155_364
.LBB155_1125:                           ;   in Loop: Header=BB155_3 Depth=1
	ds_load_b64 v[38:39], v52 offset:9376
	ds_load_b64 v[40:41], v48 offset:8336
	s_wait_dscnt 0x0
	v_pk_mul_f32 v[42:43], v[40:41], v[38:39] op_sel:[0,1]
	s_delay_alu instid0(VALU_DEP_1) | instskip(SKIP_1) | instid1(VALU_DEP_2)
	v_pk_fma_f32 v[98:99], v[40:41], v[38:39], v[42:43] op_sel:[1,0,0] op_sel_hi:[0,0,1] neg_lo:[0,0,1] neg_hi:[0,0,1]
	v_pk_fma_f32 v[38:39], v[40:41], v[38:39], v[42:43] op_sel:[1,0,0] op_sel_hi:[0,1,1]
	v_mov_b32_e32 v39, v99
	s_delay_alu instid0(VALU_DEP_1)
	v_pk_add_f32 v[36:37], v[36:37], v[38:39]
	s_or_b32 exec_lo, exec_lo, s56
	s_and_saveexec_b32 s56, s1
	s_cbranch_execnz .LBB155_365
	s_branch .LBB155_366
.LBB155_1126:                           ;   in Loop: Header=BB155_3 Depth=1
	ds_load_b64 v[38:39], v61 offset:8896
	ds_load_b64 v[40:41], v56 offset:8328
	s_wait_dscnt 0x0
	v_dual_mul_f32 v42, v41, v39 :: v_dual_mul_f32 v39, v40, v39
	s_delay_alu instid0(VALU_DEP_1) | instskip(NEXT) | instid1(VALU_DEP_1)
	v_dual_fma_f32 v40, v40, v38, -v42 :: v_dual_fmac_f32 v39, v41, v38
	v_dual_add_f32 v37, v37, v40 :: v_dual_add_f32 v36, v36, v39
	s_or_b32 exec_lo, exec_lo, s56
	s_and_saveexec_b32 s56, s19
	s_cbranch_execz .LBB155_406
.LBB155_1127:                           ;   in Loop: Header=BB155_3 Depth=1
	ds_load_b64 v[38:39], v61 offset:9408
	ds_load_b64 v[40:41], v56 offset:8336
	s_wait_dscnt 0x0
	v_dual_mul_f32 v42, v41, v39 :: v_dual_mul_f32 v39, v40, v39
	s_delay_alu instid0(VALU_DEP_1) | instskip(NEXT) | instid1(VALU_DEP_1)
	v_dual_fma_f32 v40, v40, v38, -v42 :: v_dual_fmac_f32 v39, v41, v38
	v_dual_add_f32 v37, v37, v40 :: v_dual_add_f32 v36, v36, v39
	s_or_b32 exec_lo, exec_lo, s56
	s_and_saveexec_b32 s56, s20
	s_cbranch_execz .LBB155_407
.LBB155_1128:                           ;   in Loop: Header=BB155_3 Depth=1
	ds_load_b64 v[38:39], v61 offset:9920
	ds_load_b64 v[40:41], v56 offset:8344
	s_wait_dscnt 0x0
	v_dual_mul_f32 v42, v41, v39 :: v_dual_mul_f32 v39, v40, v39
	s_delay_alu instid0(VALU_DEP_1) | instskip(NEXT) | instid1(VALU_DEP_1)
	v_dual_fma_f32 v40, v40, v38, -v42 :: v_dual_fmac_f32 v39, v41, v38
	v_dual_add_f32 v37, v37, v40 :: v_dual_add_f32 v36, v36, v39
	s_or_b32 exec_lo, exec_lo, s56
	s_and_saveexec_b32 s56, s21
	s_cbranch_execz .LBB155_408
.LBB155_1129:                           ;   in Loop: Header=BB155_3 Depth=1
	ds_load_b64 v[38:39], v60 offset:10432
	ds_load_b64 v[40:41], v56 offset:8352
	s_wait_dscnt 0x0
	v_dual_mul_f32 v43, v41, v39 :: v_dual_mul_f32 v42, v40, v39
	s_delay_alu instid0(VALU_DEP_1) | instskip(NEXT) | instid1(VALU_DEP_1)
	v_dual_fma_f32 v43, v40, v38, -v43 :: v_dual_fmac_f32 v42, v41, v38
	v_pk_add_f32 v[36:37], v[36:37], v[42:43]
	s_or_b32 exec_lo, exec_lo, s56
	s_and_saveexec_b32 s56, s22
	s_cbranch_execz .LBB155_409
.LBB155_1130:                           ;   in Loop: Header=BB155_3 Depth=1
	ds_load_b64 v[38:39], v61 offset:10944
	ds_load_b64 v[40:41], v56 offset:8360
	s_wait_dscnt 0x0
	v_pk_mul_f32 v[42:43], v[40:41], v[38:39] op_sel:[0,1]
	s_delay_alu instid0(VALU_DEP_1) | instskip(SKIP_1) | instid1(VALU_DEP_2)
	v_pk_fma_f32 v[98:99], v[40:41], v[38:39], v[42:43] op_sel:[1,0,0] op_sel_hi:[0,0,1] neg_lo:[0,0,1] neg_hi:[0,0,1]
	v_pk_fma_f32 v[38:39], v[40:41], v[38:39], v[42:43] op_sel:[1,0,0] op_sel_hi:[0,1,1]
	v_mov_b32_e32 v39, v99
	s_delay_alu instid0(VALU_DEP_1)
	v_pk_add_f32 v[36:37], v[36:37], v[38:39]
	s_or_b32 exec_lo, exec_lo, s56
	s_and_saveexec_b32 s56, s3
	s_cbranch_execz .LBB155_410
.LBB155_1131:                           ;   in Loop: Header=BB155_3 Depth=1
	ds_load_b64 v[38:39], v60 offset:11456
	ds_load_b64 v[40:41], v56 offset:8368
	s_wait_dscnt 0x0
	v_pk_mul_f32 v[42:43], v[40:41], v[38:39] op_sel:[0,1]
	s_delay_alu instid0(VALU_DEP_1) | instskip(SKIP_1) | instid1(VALU_DEP_2)
	v_pk_fma_f32 v[98:99], v[40:41], v[38:39], v[42:43] op_sel:[1,0,0] op_sel_hi:[0,0,1] neg_lo:[0,0,1] neg_hi:[0,0,1]
	v_pk_fma_f32 v[38:39], v[40:41], v[38:39], v[42:43] op_sel:[1,0,0] op_sel_hi:[0,1,1]
	v_mov_b32_e32 v39, v99
	s_delay_alu instid0(VALU_DEP_1)
	v_pk_add_f32 v[36:37], v[36:37], v[38:39]
	s_or_b32 exec_lo, exec_lo, s56
	s_and_saveexec_b32 s56, s17
	s_cbranch_execnz .LBB155_411
	s_branch .LBB155_412
.LBB155_1132:                           ;   in Loop: Header=BB155_3 Depth=1
	ds_load_b64 v[38:39], v53 offset:13024
	ds_load_b64 v[40:41], v48 offset:12488
	s_wait_dscnt 0x0
	v_pk_mul_f32 v[42:43], v[40:41], v[38:39] op_sel:[0,1]
	s_delay_alu instid0(VALU_DEP_1) | instskip(SKIP_1) | instid1(VALU_DEP_2)
	v_pk_fma_f32 v[98:99], v[40:41], v[38:39], v[42:43] op_sel:[1,0,0] op_sel_hi:[0,0,1] neg_lo:[0,0,1] neg_hi:[0,0,1]
	v_pk_fma_f32 v[38:39], v[40:41], v[38:39], v[42:43] op_sel:[1,0,0] op_sel_hi:[0,1,1]
	v_mov_b32_e32 v39, v99
	s_delay_alu instid0(VALU_DEP_1)
	v_pk_add_f32 v[36:37], v[36:37], v[38:39]
	s_or_b32 exec_lo, exec_lo, s56
	s_and_saveexec_b32 s56, s17
	s_cbranch_execz .LBB155_468
.LBB155_1133:                           ;   in Loop: Header=BB155_3 Depth=1
	ds_load_b64 v[38:39], v52 offset:13536
	ds_load_b64 v[40:41], v48 offset:12496
	s_wait_dscnt 0x0
	v_pk_mul_f32 v[42:43], v[40:41], v[38:39] op_sel:[0,1]
	s_delay_alu instid0(VALU_DEP_1) | instskip(SKIP_1) | instid1(VALU_DEP_2)
	v_pk_fma_f32 v[98:99], v[40:41], v[38:39], v[42:43] op_sel:[1,0,0] op_sel_hi:[0,0,1] neg_lo:[0,0,1] neg_hi:[0,0,1]
	v_pk_fma_f32 v[38:39], v[40:41], v[38:39], v[42:43] op_sel:[1,0,0] op_sel_hi:[0,1,1]
	v_mov_b32_e32 v39, v99
	s_delay_alu instid0(VALU_DEP_1)
	v_pk_add_f32 v[36:37], v[36:37], v[38:39]
	s_or_b32 exec_lo, exec_lo, s56
	s_and_saveexec_b32 s56, s1
	s_cbranch_execnz .LBB155_469
	s_branch .LBB155_470
.LBB155_1134:                           ;   in Loop: Header=BB155_3 Depth=1
	ds_load_b64 v[40:41], v39 offset:15104
	ds_load_b64 v[42:43], v38 offset:232
	s_wait_dscnt 0x0
	v_pk_mul_f32 v[98:99], v[42:43], v[40:41] op_sel:[1,1] op_sel_hi:[0,1]
	s_delay_alu instid0(VALU_DEP_1) | instskip(SKIP_1) | instid1(VALU_DEP_2)
	v_pk_fma_f32 v[100:101], v[42:43], v[40:41], v[98:99] op_sel_hi:[1,0,1]
	v_pk_fma_f32 v[40:41], v[42:43], v[40:41], v[98:99] neg_lo:[0,0,1] neg_hi:[0,0,1]
	v_mov_b32_e32 v41, v101
	s_delay_alu instid0(VALU_DEP_1)
	v_pk_add_f32 v[36:37], v[36:37], v[40:41]
	s_or_b32 exec_lo, exec_lo, s13
	s_and_saveexec_b32 s13, s4
	s_cbranch_execz .LBB155_566
.LBB155_1135:                           ;   in Loop: Header=BB155_3 Depth=1
	ds_load_b64 v[40:41], v39 offset:15616
	ds_load_b64 v[42:43], v38 offset:240
	s_wait_dscnt 0x0
	v_pk_mul_f32 v[98:99], v[42:43], v[40:41] op_sel:[1,1] op_sel_hi:[0,1]
	s_delay_alu instid0(VALU_DEP_1) | instskip(SKIP_1) | instid1(VALU_DEP_2)
	v_pk_fma_f32 v[100:101], v[42:43], v[40:41], v[98:99] op_sel_hi:[1,0,1]
	v_pk_fma_f32 v[40:41], v[42:43], v[40:41], v[98:99] neg_lo:[0,0,1] neg_hi:[0,0,1]
	v_mov_b32_e32 v41, v101
	s_delay_alu instid0(VALU_DEP_1)
	v_pk_add_f32 v[36:37], v[36:37], v[40:41]
	s_or_b32 exec_lo, exec_lo, s13
	s_and_saveexec_b32 s13, s21
	s_cbranch_execnz .LBB155_567
	s_branch .LBB155_568
.LBB155_1136:                           ;   in Loop: Header=BB155_3 Depth=1
	ds_load_b64 v[38:39], v53 offset:17184
	ds_load_b64 v[40:41], v48 offset:16648
	s_wait_dscnt 0x0
	v_pk_mul_f32 v[42:43], v[40:41], v[38:39] op_sel:[0,1]
	s_delay_alu instid0(VALU_DEP_1) | instskip(SKIP_1) | instid1(VALU_DEP_2)
	v_pk_fma_f32 v[98:99], v[40:41], v[38:39], v[42:43] op_sel:[1,0,0] op_sel_hi:[0,0,1] neg_lo:[0,0,1] neg_hi:[0,0,1]
	v_pk_fma_f32 v[38:39], v[40:41], v[38:39], v[42:43] op_sel:[1,0,0] op_sel_hi:[0,1,1]
	v_mov_b32_e32 v39, v99
	s_delay_alu instid0(VALU_DEP_1)
	v_pk_add_f32 v[36:37], v[36:37], v[38:39]
	s_or_b32 exec_lo, exec_lo, s56
	s_and_saveexec_b32 s56, s17
	s_cbranch_execz .LBB155_604
.LBB155_1137:                           ;   in Loop: Header=BB155_3 Depth=1
	ds_load_b64 v[38:39], v52 offset:17696
	ds_load_b64 v[40:41], v48 offset:16656
	s_wait_dscnt 0x0
	v_pk_mul_f32 v[42:43], v[40:41], v[38:39] op_sel:[0,1]
	s_delay_alu instid0(VALU_DEP_1) | instskip(SKIP_1) | instid1(VALU_DEP_2)
	v_pk_fma_f32 v[98:99], v[40:41], v[38:39], v[42:43] op_sel:[1,0,0] op_sel_hi:[0,0,1] neg_lo:[0,0,1] neg_hi:[0,0,1]
	v_pk_fma_f32 v[38:39], v[40:41], v[38:39], v[42:43] op_sel:[1,0,0] op_sel_hi:[0,1,1]
	v_mov_b32_e32 v39, v99
	s_delay_alu instid0(VALU_DEP_1)
	v_pk_add_f32 v[36:37], v[36:37], v[38:39]
	s_or_b32 exec_lo, exec_lo, s56
	s_and_saveexec_b32 s56, s1
	s_cbranch_execnz .LBB155_605
	s_branch .LBB155_606
.LBB155_1138:                           ;   in Loop: Header=BB155_3 Depth=1
	ds_load_b64 v[38:39], v61 offset:17216
	ds_load_b64 v[40:41], v56 offset:16648
	s_wait_dscnt 0x0
	v_dual_mul_f32 v42, v41, v39 :: v_dual_mul_f32 v39, v40, v39
	s_delay_alu instid0(VALU_DEP_1) | instskip(NEXT) | instid1(VALU_DEP_1)
	v_dual_fma_f32 v40, v40, v38, -v42 :: v_dual_fmac_f32 v39, v41, v38
	v_dual_add_f32 v37, v37, v40 :: v_dual_add_f32 v36, v36, v39
	s_or_b32 exec_lo, exec_lo, s56
	s_and_saveexec_b32 s56, s19
	s_cbranch_execz .LBB155_646
.LBB155_1139:                           ;   in Loop: Header=BB155_3 Depth=1
	ds_load_b64 v[38:39], v61 offset:17728
	ds_load_b64 v[40:41], v56 offset:16656
	s_wait_dscnt 0x0
	v_dual_mul_f32 v42, v41, v39 :: v_dual_mul_f32 v39, v40, v39
	s_delay_alu instid0(VALU_DEP_1) | instskip(NEXT) | instid1(VALU_DEP_1)
	v_dual_fma_f32 v40, v40, v38, -v42 :: v_dual_fmac_f32 v39, v41, v38
	v_dual_add_f32 v37, v37, v40 :: v_dual_add_f32 v36, v36, v39
	s_or_b32 exec_lo, exec_lo, s56
	s_and_saveexec_b32 s56, s20
	s_cbranch_execz .LBB155_647
.LBB155_1140:                           ;   in Loop: Header=BB155_3 Depth=1
	ds_load_b64 v[38:39], v61 offset:18240
	ds_load_b64 v[40:41], v56 offset:16664
	s_wait_dscnt 0x0
	v_dual_mul_f32 v42, v41, v39 :: v_dual_mul_f32 v39, v40, v39
	s_delay_alu instid0(VALU_DEP_1) | instskip(NEXT) | instid1(VALU_DEP_1)
	v_dual_fma_f32 v40, v40, v38, -v42 :: v_dual_fmac_f32 v39, v41, v38
	v_dual_add_f32 v37, v37, v40 :: v_dual_add_f32 v36, v36, v39
	s_or_b32 exec_lo, exec_lo, s56
	s_and_saveexec_b32 s56, s21
	s_cbranch_execz .LBB155_648
.LBB155_1141:                           ;   in Loop: Header=BB155_3 Depth=1
	ds_load_b64 v[38:39], v60 offset:18752
	ds_load_b64 v[40:41], v56 offset:16672
	s_wait_dscnt 0x0
	v_dual_mul_f32 v43, v41, v39 :: v_dual_mul_f32 v42, v40, v39
	s_delay_alu instid0(VALU_DEP_1) | instskip(NEXT) | instid1(VALU_DEP_1)
	v_dual_fma_f32 v43, v40, v38, -v43 :: v_dual_fmac_f32 v42, v41, v38
	v_pk_add_f32 v[36:37], v[36:37], v[42:43]
	s_or_b32 exec_lo, exec_lo, s56
	s_and_saveexec_b32 s56, s22
	s_cbranch_execz .LBB155_649
.LBB155_1142:                           ;   in Loop: Header=BB155_3 Depth=1
	ds_load_b64 v[38:39], v61 offset:19264
	ds_load_b64 v[40:41], v56 offset:16680
	s_wait_dscnt 0x0
	v_pk_mul_f32 v[42:43], v[40:41], v[38:39] op_sel:[0,1]
	s_delay_alu instid0(VALU_DEP_1) | instskip(SKIP_1) | instid1(VALU_DEP_2)
	v_pk_fma_f32 v[98:99], v[40:41], v[38:39], v[42:43] op_sel:[1,0,0] op_sel_hi:[0,0,1] neg_lo:[0,0,1] neg_hi:[0,0,1]
	v_pk_fma_f32 v[38:39], v[40:41], v[38:39], v[42:43] op_sel:[1,0,0] op_sel_hi:[0,1,1]
	v_mov_b32_e32 v39, v99
	s_delay_alu instid0(VALU_DEP_1)
	v_pk_add_f32 v[36:37], v[36:37], v[38:39]
	s_or_b32 exec_lo, exec_lo, s56
	s_and_saveexec_b32 s56, s3
	s_cbranch_execz .LBB155_650
.LBB155_1143:                           ;   in Loop: Header=BB155_3 Depth=1
	ds_load_b64 v[38:39], v60 offset:19776
	ds_load_b64 v[40:41], v56 offset:16688
	s_wait_dscnt 0x0
	v_pk_mul_f32 v[42:43], v[40:41], v[38:39] op_sel:[0,1]
	s_delay_alu instid0(VALU_DEP_1) | instskip(SKIP_1) | instid1(VALU_DEP_2)
	v_pk_fma_f32 v[98:99], v[40:41], v[38:39], v[42:43] op_sel:[1,0,0] op_sel_hi:[0,0,1] neg_lo:[0,0,1] neg_hi:[0,0,1]
	v_pk_fma_f32 v[38:39], v[40:41], v[38:39], v[42:43] op_sel:[1,0,0] op_sel_hi:[0,1,1]
	v_mov_b32_e32 v39, v99
	s_delay_alu instid0(VALU_DEP_1)
	v_pk_add_f32 v[36:37], v[36:37], v[38:39]
	s_or_b32 exec_lo, exec_lo, s56
	s_and_saveexec_b32 s56, s17
	s_cbranch_execnz .LBB155_651
	s_branch .LBB155_652
.LBB155_1144:                           ;   in Loop: Header=BB155_3 Depth=1
	ds_load_b64 v[38:39], v53 offset:21344
	ds_load_b64 v[40:41], v48 offset:20808
	s_wait_dscnt 0x0
	v_pk_mul_f32 v[42:43], v[40:41], v[38:39] op_sel:[0,1]
	s_delay_alu instid0(VALU_DEP_1) | instskip(SKIP_1) | instid1(VALU_DEP_2)
	v_pk_fma_f32 v[98:99], v[40:41], v[38:39], v[42:43] op_sel:[1,0,0] op_sel_hi:[0,0,1] neg_lo:[0,0,1] neg_hi:[0,0,1]
	v_pk_fma_f32 v[38:39], v[40:41], v[38:39], v[42:43] op_sel:[1,0,0] op_sel_hi:[0,1,1]
	v_mov_b32_e32 v39, v99
	s_delay_alu instid0(VALU_DEP_1)
	v_pk_add_f32 v[36:37], v[36:37], v[38:39]
	s_or_b32 exec_lo, exec_lo, s56
	s_and_saveexec_b32 s56, s17
	s_cbranch_execz .LBB155_708
.LBB155_1145:                           ;   in Loop: Header=BB155_3 Depth=1
	ds_load_b64 v[38:39], v52 offset:21856
	ds_load_b64 v[40:41], v48 offset:20816
	s_wait_dscnt 0x0
	v_pk_mul_f32 v[42:43], v[40:41], v[38:39] op_sel:[0,1]
	s_delay_alu instid0(VALU_DEP_1) | instskip(SKIP_1) | instid1(VALU_DEP_2)
	v_pk_fma_f32 v[98:99], v[40:41], v[38:39], v[42:43] op_sel:[1,0,0] op_sel_hi:[0,0,1] neg_lo:[0,0,1] neg_hi:[0,0,1]
	v_pk_fma_f32 v[38:39], v[40:41], v[38:39], v[42:43] op_sel:[1,0,0] op_sel_hi:[0,1,1]
	v_mov_b32_e32 v39, v99
	s_delay_alu instid0(VALU_DEP_1)
	v_pk_add_f32 v[36:37], v[36:37], v[38:39]
	s_or_b32 exec_lo, exec_lo, s56
	s_and_saveexec_b32 s56, s1
	s_cbranch_execnz .LBB155_709
	s_branch .LBB155_710
.LBB155_1146:                           ;   in Loop: Header=BB155_3 Depth=1
	ds_load_b64 v[38:39], v66 offset:22400
	ds_load_b64 v[40:41], v62 offset:16728
	s_wait_dscnt 0x0
	v_dual_mul_f32 v42, v41, v39 :: v_dual_mul_f32 v39, v40, v39
	s_delay_alu instid0(VALU_DEP_1) | instskip(NEXT) | instid1(VALU_DEP_1)
	v_dual_fma_f32 v40, v40, v38, -v42 :: v_dual_fmac_f32 v39, v41, v38
	v_dual_add_f32 v37, v37, v40 :: v_dual_add_f32 v36, v36, v39
	s_or_b32 exec_lo, exec_lo, s13
	s_and_saveexec_b32 s13, s4
	s_cbranch_execz .LBB155_770
.LBB155_1147:                           ;   in Loop: Header=BB155_3 Depth=1
	ds_load_b64 v[38:39], v65 offset:22912
	ds_load_b64 v[40:41], v62 offset:16736
	s_wait_dscnt 0x0
	v_dual_mul_f32 v43, v41, v39 :: v_dual_mul_f32 v42, v40, v39
	s_delay_alu instid0(VALU_DEP_1) | instskip(NEXT) | instid1(VALU_DEP_1)
	v_dual_fma_f32 v43, v40, v38, -v43 :: v_dual_fmac_f32 v42, v41, v38
	v_pk_add_f32 v[36:37], v[36:37], v[42:43]
	s_or_b32 exec_lo, exec_lo, s13
	s_and_saveexec_b32 s13, s19
	s_cbranch_execz .LBB155_771
.LBB155_1148:                           ;   in Loop: Header=BB155_3 Depth=1
	ds_load_b64 v[38:39], v66 offset:23424
	ds_load_b64 v[40:41], v62 offset:16744
	s_wait_dscnt 0x0
	v_pk_mul_f32 v[42:43], v[40:41], v[38:39] op_sel:[0,1]
	s_delay_alu instid0(VALU_DEP_1) | instskip(SKIP_1) | instid1(VALU_DEP_2)
	v_pk_fma_f32 v[98:99], v[40:41], v[38:39], v[42:43] op_sel:[1,0,0] op_sel_hi:[0,0,1] neg_lo:[0,0,1] neg_hi:[0,0,1]
	v_pk_fma_f32 v[38:39], v[40:41], v[38:39], v[42:43] op_sel:[1,0,0] op_sel_hi:[0,1,1]
	v_mov_b32_e32 v39, v99
	s_delay_alu instid0(VALU_DEP_1)
	v_pk_add_f32 v[36:37], v[36:37], v[38:39]
	s_or_b32 exec_lo, exec_lo, s13
	s_and_saveexec_b32 s13, s21
	s_cbranch_execz .LBB155_772
.LBB155_1149:                           ;   in Loop: Header=BB155_3 Depth=1
	ds_load_b64 v[38:39], v65 offset:23936
	ds_load_b64 v[40:41], v62 offset:16752
	s_wait_dscnt 0x0
	v_pk_mul_f32 v[42:43], v[40:41], v[38:39] op_sel:[0,1]
	s_delay_alu instid0(VALU_DEP_1) | instskip(SKIP_1) | instid1(VALU_DEP_2)
	v_pk_fma_f32 v[98:99], v[40:41], v[38:39], v[42:43] op_sel:[1,0,0] op_sel_hi:[0,0,1] neg_lo:[0,0,1] neg_hi:[0,0,1]
	v_pk_fma_f32 v[38:39], v[40:41], v[38:39], v[42:43] op_sel:[1,0,0] op_sel_hi:[0,1,1]
	v_mov_b32_e32 v39, v99
	s_delay_alu instid0(VALU_DEP_1)
	v_pk_add_f32 v[36:37], v[36:37], v[38:39]
	s_or_b32 exec_lo, exec_lo, s13
	s_and_saveexec_b32 s13, s3
	s_cbranch_execnz .LBB155_773
	s_branch .LBB155_774
.LBB155_1150:                           ;   in Loop: Header=BB155_3 Depth=1
	ds_load_b64 v[38:39], v53 offset:25504
	ds_load_b64 v[40:41], v48 offset:24968
	s_wait_dscnt 0x0
	v_pk_mul_f32 v[42:43], v[40:41], v[38:39] op_sel:[0,1]
	s_delay_alu instid0(VALU_DEP_1) | instskip(SKIP_1) | instid1(VALU_DEP_2)
	v_pk_fma_f32 v[98:99], v[40:41], v[38:39], v[42:43] op_sel:[1,0,0] op_sel_hi:[0,0,1] neg_lo:[0,0,1] neg_hi:[0,0,1]
	v_pk_fma_f32 v[38:39], v[40:41], v[38:39], v[42:43] op_sel:[1,0,0] op_sel_hi:[0,1,1]
	v_mov_b32_e32 v39, v99
	s_delay_alu instid0(VALU_DEP_1)
	v_pk_add_f32 v[36:37], v[36:37], v[38:39]
	s_or_b32 exec_lo, exec_lo, s56
	s_and_saveexec_b32 s56, s17
	s_cbranch_execz .LBB155_862
.LBB155_1151:                           ;   in Loop: Header=BB155_3 Depth=1
	ds_load_b64 v[38:39], v52 offset:26016
	ds_load_b64 v[40:41], v48 offset:24976
	s_wait_dscnt 0x0
	v_pk_mul_f32 v[42:43], v[40:41], v[38:39] op_sel:[0,1]
	s_delay_alu instid0(VALU_DEP_1) | instskip(SKIP_1) | instid1(VALU_DEP_2)
	v_pk_fma_f32 v[98:99], v[40:41], v[38:39], v[42:43] op_sel:[1,0,0] op_sel_hi:[0,0,1] neg_lo:[0,0,1] neg_hi:[0,0,1]
	v_pk_fma_f32 v[38:39], v[40:41], v[38:39], v[42:43] op_sel:[1,0,0] op_sel_hi:[0,1,1]
	v_mov_b32_e32 v39, v99
	s_delay_alu instid0(VALU_DEP_1)
	v_pk_add_f32 v[36:37], v[36:37], v[38:39]
	s_or_b32 exec_lo, exec_lo, s56
	s_and_saveexec_b32 s56, s1
	s_cbranch_execnz .LBB155_863
	s_branch .LBB155_864
.LBB155_1152:                           ;   in Loop: Header=BB155_3 Depth=1
	ds_load_b64 v[38:39], v61 offset:25536
	ds_load_b64 v[40:41], v56 offset:24968
	s_wait_dscnt 0x0
	v_dual_mul_f32 v42, v41, v39 :: v_dual_mul_f32 v39, v40, v39
	s_delay_alu instid0(VALU_DEP_1) | instskip(NEXT) | instid1(VALU_DEP_1)
	v_dual_fma_f32 v40, v40, v38, -v42 :: v_dual_fmac_f32 v39, v41, v38
	v_dual_add_f32 v37, v37, v40 :: v_dual_add_f32 v36, v36, v39
	s_or_b32 exec_lo, exec_lo, s56
	s_and_saveexec_b32 s56, s19
	s_cbranch_execz .LBB155_904
.LBB155_1153:                           ;   in Loop: Header=BB155_3 Depth=1
	ds_load_b64 v[38:39], v61 offset:26048
	ds_load_b64 v[40:41], v56 offset:24976
	s_wait_dscnt 0x0
	v_dual_mul_f32 v42, v41, v39 :: v_dual_mul_f32 v39, v40, v39
	s_delay_alu instid0(VALU_DEP_1) | instskip(NEXT) | instid1(VALU_DEP_1)
	v_dual_fma_f32 v40, v40, v38, -v42 :: v_dual_fmac_f32 v39, v41, v38
	v_dual_add_f32 v37, v37, v40 :: v_dual_add_f32 v36, v36, v39
	s_or_b32 exec_lo, exec_lo, s56
	s_and_saveexec_b32 s56, s20
	s_cbranch_execz .LBB155_905
.LBB155_1154:                           ;   in Loop: Header=BB155_3 Depth=1
	ds_load_b64 v[38:39], v61 offset:26560
	ds_load_b64 v[40:41], v56 offset:24984
	s_wait_dscnt 0x0
	v_dual_mul_f32 v42, v41, v39 :: v_dual_mul_f32 v39, v40, v39
	s_delay_alu instid0(VALU_DEP_1) | instskip(NEXT) | instid1(VALU_DEP_1)
	v_dual_fma_f32 v40, v40, v38, -v42 :: v_dual_fmac_f32 v39, v41, v38
	v_dual_add_f32 v37, v37, v40 :: v_dual_add_f32 v36, v36, v39
	s_or_b32 exec_lo, exec_lo, s56
	s_and_saveexec_b32 s56, s21
	s_cbranch_execz .LBB155_906
.LBB155_1155:                           ;   in Loop: Header=BB155_3 Depth=1
	ds_load_b64 v[38:39], v60 offset:27072
	ds_load_b64 v[40:41], v56 offset:24992
	s_wait_dscnt 0x0
	v_dual_mul_f32 v43, v41, v39 :: v_dual_mul_f32 v42, v40, v39
	s_delay_alu instid0(VALU_DEP_1) | instskip(NEXT) | instid1(VALU_DEP_1)
	v_dual_fma_f32 v43, v40, v38, -v43 :: v_dual_fmac_f32 v42, v41, v38
	v_pk_add_f32 v[36:37], v[36:37], v[42:43]
	s_or_b32 exec_lo, exec_lo, s56
	s_and_saveexec_b32 s56, s22
	s_cbranch_execz .LBB155_907
.LBB155_1156:                           ;   in Loop: Header=BB155_3 Depth=1
	ds_load_b64 v[38:39], v61 offset:27584
	ds_load_b64 v[40:41], v56 offset:25000
	s_wait_dscnt 0x0
	v_pk_mul_f32 v[42:43], v[40:41], v[38:39] op_sel:[0,1]
	s_delay_alu instid0(VALU_DEP_1) | instskip(SKIP_1) | instid1(VALU_DEP_2)
	v_pk_fma_f32 v[98:99], v[40:41], v[38:39], v[42:43] op_sel:[1,0,0] op_sel_hi:[0,0,1] neg_lo:[0,0,1] neg_hi:[0,0,1]
	v_pk_fma_f32 v[38:39], v[40:41], v[38:39], v[42:43] op_sel:[1,0,0] op_sel_hi:[0,1,1]
	v_mov_b32_e32 v39, v99
	s_delay_alu instid0(VALU_DEP_1)
	v_pk_add_f32 v[36:37], v[36:37], v[38:39]
	s_or_b32 exec_lo, exec_lo, s56
	s_and_saveexec_b32 s56, s3
	s_cbranch_execz .LBB155_908
.LBB155_1157:                           ;   in Loop: Header=BB155_3 Depth=1
	ds_load_b64 v[38:39], v60 offset:28096
	ds_load_b64 v[40:41], v56 offset:25008
	s_wait_dscnt 0x0
	v_pk_mul_f32 v[42:43], v[40:41], v[38:39] op_sel:[0,1]
	s_delay_alu instid0(VALU_DEP_1) | instskip(SKIP_1) | instid1(VALU_DEP_2)
	v_pk_fma_f32 v[98:99], v[40:41], v[38:39], v[42:43] op_sel:[1,0,0] op_sel_hi:[0,0,1] neg_lo:[0,0,1] neg_hi:[0,0,1]
	v_pk_fma_f32 v[38:39], v[40:41], v[38:39], v[42:43] op_sel:[1,0,0] op_sel_hi:[0,1,1]
	v_mov_b32_e32 v39, v99
	s_delay_alu instid0(VALU_DEP_1)
	v_pk_add_f32 v[36:37], v[36:37], v[38:39]
	s_or_b32 exec_lo, exec_lo, s56
	s_and_saveexec_b32 s56, s17
	s_cbranch_execnz .LBB155_909
	s_branch .LBB155_910
.LBB155_1158:                           ;   in Loop: Header=BB155_3 Depth=1
	ds_load_b64 v[38:39], v53 offset:29664
	ds_load_b64 v[40:41], v48 offset:29128
	s_wait_dscnt 0x0
	v_pk_mul_f32 v[42:43], v[40:41], v[38:39] op_sel:[0,1]
	s_delay_alu instid0(VALU_DEP_1) | instskip(SKIP_1) | instid1(VALU_DEP_2)
	v_pk_fma_f32 v[98:99], v[40:41], v[38:39], v[42:43] op_sel:[1,0,0] op_sel_hi:[0,0,1] neg_lo:[0,0,1] neg_hi:[0,0,1]
	v_pk_fma_f32 v[38:39], v[40:41], v[38:39], v[42:43] op_sel:[1,0,0] op_sel_hi:[0,1,1]
	v_mov_b32_e32 v39, v99
	s_delay_alu instid0(VALU_DEP_1)
	v_pk_add_f32 v[36:37], v[36:37], v[38:39]
	s_or_b32 exec_lo, exec_lo, s56
	s_and_saveexec_b32 s56, s17
	s_cbranch_execz .LBB155_966
.LBB155_1159:                           ;   in Loop: Header=BB155_3 Depth=1
	ds_load_b64 v[38:39], v52 offset:30176
	ds_load_b64 v[40:41], v48 offset:29136
	s_wait_dscnt 0x0
	v_pk_mul_f32 v[42:43], v[40:41], v[38:39] op_sel:[0,1]
	s_delay_alu instid0(VALU_DEP_1) | instskip(SKIP_1) | instid1(VALU_DEP_2)
	v_pk_fma_f32 v[98:99], v[40:41], v[38:39], v[42:43] op_sel:[1,0,0] op_sel_hi:[0,0,1] neg_lo:[0,0,1] neg_hi:[0,0,1]
	v_pk_fma_f32 v[38:39], v[40:41], v[38:39], v[42:43] op_sel:[1,0,0] op_sel_hi:[0,1,1]
	v_mov_b32_e32 v39, v99
	s_delay_alu instid0(VALU_DEP_1)
	v_pk_add_f32 v[36:37], v[36:37], v[38:39]
	s_or_b32 exec_lo, exec_lo, s56
	s_and_saveexec_b32 s56, s1
	s_cbranch_execnz .LBB155_967
	s_branch .LBB155_968
.LBB155_1160:
	s_endpgm
	.section	.rodata,"a",@progbits
	.p2align	6, 0x0
	.amdhsa_kernel _ZL19rocblas_trsv_deviceILi64ELi16ELb1ELb1ELb0ELb0E19rocblas_complex_numIfEPKS1_PKS3_PKPS1_EviT7_lllT6_T8_lllPii
		.amdhsa_group_segment_fixed_size 41480
		.amdhsa_private_segment_fixed_size 48
		.amdhsa_kernarg_size 352
		.amdhsa_user_sgpr_count 2
		.amdhsa_user_sgpr_dispatch_ptr 0
		.amdhsa_user_sgpr_queue_ptr 0
		.amdhsa_user_sgpr_kernarg_segment_ptr 1
		.amdhsa_user_sgpr_dispatch_id 0
		.amdhsa_user_sgpr_kernarg_preload_length 0
		.amdhsa_user_sgpr_kernarg_preload_offset 0
		.amdhsa_user_sgpr_private_segment_size 0
		.amdhsa_wavefront_size32 1
		.amdhsa_uses_dynamic_stack 0
		.amdhsa_enable_private_segment 1
		.amdhsa_system_sgpr_workgroup_id_x 1
		.amdhsa_system_sgpr_workgroup_id_y 0
		.amdhsa_system_sgpr_workgroup_id_z 1
		.amdhsa_system_sgpr_workgroup_info 0
		.amdhsa_system_vgpr_workitem_id 1
		.amdhsa_next_free_vgpr 109
		.amdhsa_next_free_sgpr 105
		.amdhsa_named_barrier_count 0
		.amdhsa_reserve_vcc 1
		.amdhsa_float_round_mode_32 0
		.amdhsa_float_round_mode_16_64 0
		.amdhsa_float_denorm_mode_32 3
		.amdhsa_float_denorm_mode_16_64 3
		.amdhsa_fp16_overflow 0
		.amdhsa_memory_ordered 1
		.amdhsa_forward_progress 1
		.amdhsa_inst_pref_size 255
		.amdhsa_round_robin_scheduling 0
		.amdhsa_exception_fp_ieee_invalid_op 0
		.amdhsa_exception_fp_denorm_src 0
		.amdhsa_exception_fp_ieee_div_zero 0
		.amdhsa_exception_fp_ieee_overflow 0
		.amdhsa_exception_fp_ieee_underflow 0
		.amdhsa_exception_fp_ieee_inexact 0
		.amdhsa_exception_int_div_zero 0
	.end_amdhsa_kernel
	.section	.text._ZL19rocblas_trsv_deviceILi64ELi16ELb1ELb1ELb0ELb0E19rocblas_complex_numIfEPKS1_PKS3_PKPS1_EviT7_lllT6_T8_lllPii,"axG",@progbits,_ZL19rocblas_trsv_deviceILi64ELi16ELb1ELb1ELb0ELb0E19rocblas_complex_numIfEPKS1_PKS3_PKPS1_EviT7_lllT6_T8_lllPii,comdat
.Lfunc_end155:
	.size	_ZL19rocblas_trsv_deviceILi64ELi16ELb1ELb1ELb0ELb0E19rocblas_complex_numIfEPKS1_PKS3_PKPS1_EviT7_lllT6_T8_lllPii, .Lfunc_end155-_ZL19rocblas_trsv_deviceILi64ELi16ELb1ELb1ELb0ELb0E19rocblas_complex_numIfEPKS1_PKS3_PKPS1_EviT7_lllT6_T8_lllPii
                                        ; -- End function
	.set _ZL19rocblas_trsv_deviceILi64ELi16ELb1ELb1ELb0ELb0E19rocblas_complex_numIfEPKS1_PKS3_PKPS1_EviT7_lllT6_T8_lllPii.num_vgpr, 109
	.set _ZL19rocblas_trsv_deviceILi64ELi16ELb1ELb1ELb0ELb0E19rocblas_complex_numIfEPKS1_PKS3_PKPS1_EviT7_lllT6_T8_lllPii.num_agpr, 0
	.set _ZL19rocblas_trsv_deviceILi64ELi16ELb1ELb1ELb0ELb0E19rocblas_complex_numIfEPKS1_PKS3_PKPS1_EviT7_lllT6_T8_lllPii.numbered_sgpr, 105
	.set _ZL19rocblas_trsv_deviceILi64ELi16ELb1ELb1ELb0ELb0E19rocblas_complex_numIfEPKS1_PKS3_PKPS1_EviT7_lllT6_T8_lllPii.num_named_barrier, 0
	.set _ZL19rocblas_trsv_deviceILi64ELi16ELb1ELb1ELb0ELb0E19rocblas_complex_numIfEPKS1_PKS3_PKPS1_EviT7_lllT6_T8_lllPii.private_seg_size, 48
	.set _ZL19rocblas_trsv_deviceILi64ELi16ELb1ELb1ELb0ELb0E19rocblas_complex_numIfEPKS1_PKS3_PKPS1_EviT7_lllT6_T8_lllPii.uses_vcc, 1
	.set _ZL19rocblas_trsv_deviceILi64ELi16ELb1ELb1ELb0ELb0E19rocblas_complex_numIfEPKS1_PKS3_PKPS1_EviT7_lllT6_T8_lllPii.uses_flat_scratch, 0
	.set _ZL19rocblas_trsv_deviceILi64ELi16ELb1ELb1ELb0ELb0E19rocblas_complex_numIfEPKS1_PKS3_PKPS1_EviT7_lllT6_T8_lllPii.has_dyn_sized_stack, 0
	.set _ZL19rocblas_trsv_deviceILi64ELi16ELb1ELb1ELb0ELb0E19rocblas_complex_numIfEPKS1_PKS3_PKPS1_EviT7_lllT6_T8_lllPii.has_recursion, 0
	.set _ZL19rocblas_trsv_deviceILi64ELi16ELb1ELb1ELb0ELb0E19rocblas_complex_numIfEPKS1_PKS3_PKPS1_EviT7_lllT6_T8_lllPii.has_indirect_call, 0
	.section	.AMDGPU.csdata,"",@progbits
; Kernel info:
; codeLenInByte = 55128
; TotalNumSgprs: 107
; NumVgprs: 109
; ScratchSize: 48
; MemoryBound: 0
; FloatMode: 240
; IeeeMode: 1
; LDSByteSize: 41480 bytes/workgroup (compile time only)
; SGPRBlocks: 0
; VGPRBlocks: 6
; NumSGPRsForWavesPerEU: 107
; NumVGPRsForWavesPerEU: 109
; NamedBarCnt: 0
; Occupancy: 9
; WaveLimiterHint : 1
; COMPUTE_PGM_RSRC2:SCRATCH_EN: 1
; COMPUTE_PGM_RSRC2:USER_SGPR: 2
; COMPUTE_PGM_RSRC2:TRAP_HANDLER: 0
; COMPUTE_PGM_RSRC2:TGID_X_EN: 1
; COMPUTE_PGM_RSRC2:TGID_Y_EN: 0
; COMPUTE_PGM_RSRC2:TGID_Z_EN: 1
; COMPUTE_PGM_RSRC2:TIDIG_COMP_CNT: 1
	.section	.text._ZL19rocblas_trsv_deviceILi64ELi16ELb1ELb1ELb1ELb0E19rocblas_complex_numIfEPKS1_PKS3_PKPS1_EviT7_lllT6_T8_lllPii,"axG",@progbits,_ZL19rocblas_trsv_deviceILi64ELi16ELb1ELb1ELb1ELb0E19rocblas_complex_numIfEPKS1_PKS3_PKPS1_EviT7_lllT6_T8_lllPii,comdat
	.globl	_ZL19rocblas_trsv_deviceILi64ELi16ELb1ELb1ELb1ELb0E19rocblas_complex_numIfEPKS1_PKS3_PKPS1_EviT7_lllT6_T8_lllPii ; -- Begin function _ZL19rocblas_trsv_deviceILi64ELi16ELb1ELb1ELb1ELb0E19rocblas_complex_numIfEPKS1_PKS3_PKPS1_EviT7_lllT6_T8_lllPii
	.p2align	8
	.type	_ZL19rocblas_trsv_deviceILi64ELi16ELb1ELb1ELb1ELb0E19rocblas_complex_numIfEPKS1_PKS3_PKPS1_EviT7_lllT6_T8_lllPii,@function
_ZL19rocblas_trsv_deviceILi64ELi16ELb1ELb1ELb1ELb0E19rocblas_complex_numIfEPKS1_PKS3_PKPS1_EviT7_lllT6_T8_lllPii: ; @_ZL19rocblas_trsv_deviceILi64ELi16ELb1ELb1ELb1ELb0E19rocblas_complex_numIfEPKS1_PKS3_PKPS1_EviT7_lllT6_T8_lllPii
; %bb.0:
	s_load_b32 s65, s[0:1], 0x58
	s_bfe_u32 s2, ttmp6, 0x40014
	s_lshr_b32 s3, ttmp7, 16
	s_add_co_i32 s2, s2, 1
	s_bfe_u32 s5, ttmp6, 0x40008
	s_mul_i32 s4, s3, s2
	s_getreg_b32 s2, hwreg(HW_REG_IB_STS2, 6, 4)
	s_add_co_i32 s5, s5, s4
	s_cmp_eq_u32 s2, 0
	s_mov_b32 s67, 0
	s_cselect_b32 s66, s3, s5
	s_wait_kmcnt 0x0
	s_cmp_ge_u32 s66, s65
	s_cbranch_scc1 .LBB156_1174
; %bb.1:
	s_clause 0x2
	s_load_b32 s3, s[0:1], 0x6c
	s_load_b32 s87, s[0:1], 0x60
	;; [unrolled: 1-line block ×3, first 2 shown]
	s_bfe_u32 s5, ttmp6, 0x4000c
	s_and_b32 s4, ttmp6, 15
	s_add_co_i32 s5, s5, 1
	s_clause 0x1
	s_load_b64 s[12:13], s[0:1], 0x18
	s_load_b256 s[68:75], s[0:1], 0x28
	s_mul_i32 s5, ttmp9, s5
	s_clause 0x1
	s_load_b64 s[82:83], s[0:1], 0x50
	s_load_b128 s[76:79], s[0:1], 0x8
	s_add_co_i32 s4, s4, s5
	s_cmp_eq_u32 s2, 0
	v_and_b32_e32 v2, 0x3ff, v0
	s_cselect_b32 s86, ttmp9, s4
	v_bfe_u32 v43, v0, 10, 10
	v_mov_b32_e32 v5, 0
                                        ; implicit-def: $vgpr108 : SGPR spill to VGPR lane
                                        ; implicit-def: $vgpr107 : SGPR spill to VGPR lane
                                        ; implicit-def: $vgpr106 : SGPR spill to VGPR lane
	s_delay_alu instid0(VALU_DEP_3) | instskip(SKIP_1) | instid1(VALU_DEP_4)
	v_dual_lshlrev_b32 v21, 6, v2 :: v_dual_bitop2_b32 v69, 31, v0 bitop3:0x40
	v_lshlrev_b32_e32 v46, 3, v2
	v_lshl_add_u32 v23, v43, 6, v2
	s_wait_kmcnt 0x0
	s_and_b32 s0, s3, 0xffff
	s_add_co_i32 s87, s87, -1
	s_add_co_i32 s1, s80, -1
	s_ashr_i32 s81, s80, 31
	s_ashr_i32 s2, s1, 31
	s_lshr_b32 s3, s81, 26
	s_lshr_b32 s2, s2, 26
	s_add_co_i32 s3, s80, s3
	s_add_co_i32 s1, s1, s2
	s_and_not1_b32 s3, s3, 63
	s_sub_co_i32 s52, s87, s86
	s_ashr_i32 s1, s1, 6
	s_sub_co_i32 s15, s80, s3
	s_cmp_eq_u32 s1, s52
	v_dual_mov_b32 v3, v5 :: v_dual_add_nc_u32 v20, 16, v43
	s_cselect_b32 s1, -1, 0
	s_cmp_lg_u32 s15, 0
	v_cmp_gt_u32_e64 s4, 2, v2
	s_cselect_b32 s2, -1, 0
	v_add_nc_u32_e32 v12, v20, v21
	s_and_b32 s18, s2, s1
	s_add_nc_u64 s[2:3], s[12:13], 1
	s_xor_b32 s88, s18, -1
	s_cmp_lg_u32 s86, 0
	v_cmp_le_i32_e64 s14, s15, v2
	s_cselect_b32 s1, -1, 0
	s_lshl_b32 s16, s52, 6
	s_delay_alu instid0(SALU_CYCLE_1)
	v_dual_add_nc_u32 v1, v43, v21 :: v_dual_add_nc_u32 v22, s16, v43
	s_cmp_lt_i32 s86, 5
	v_mad_nc_u64_u32 v[18:19], s2, s16, v[2:3]
	s_cselect_b32 vcc_lo, -1, 0
	v_add_nc_u32_e32 v10, s16, v2
	v_dual_add_nc_u32 v6, 64, v22 :: v_dual_cndmask_b32 v24, v23, v1, vcc_lo
	v_and_b32_e32 v1, 1, v0
	v_lshl_add_u32 v3, v20, 6, v2
	s_ashr_i32 s17, s16, 31
	s_delay_alu instid0(VALU_DEP_3)
	v_ashrrev_i32_e32 v7, 31, v6
	v_writelane_b32 v108, s1, 0
	s_or_b32 vcc_lo, vcc_lo, s18
	s_mul_i32 s1, s2, s17
	s_mul_i32 s2, s3, s16
	v_cmp_eq_u32_e64 s3, 1, v1
	v_dual_cndmask_b32 v26, v3, v12 :: v_dual_ashrrev_i32 v11, 31, v10
	v_dual_lshrrev_b32 v3, 10, v0 :: v_dual_lshrrev_b32 v12, 1, v23
	v_add3_u32 v19, s1, s2, v19
	v_lshlrev_b32_e32 v13, 3, v1
	v_cmp_gt_u32_e64 s1, 4, v23
	s_xor_b32 s2, s3, -1
	v_bitop3_b32 v25, v0, v3, 0x3ff bitop3:0xa8
	v_lshl_add_u32 v3, v12, 3, 0x8000
	v_lshl_or_b32 v44, v12, 9, v13
	v_mul_u32_u24_e32 v45, 0x208, v12
	s_and_b32 s91, s2, s1
	v_dual_lshrrev_b32 v1, 2, v23 :: v_dual_bitop2_b32 v12, 3, v0 bitop3:0x40
	v_cmp_eq_u32_e64 s2, 0, v43
	s_and_b32 s92, s3, s1
	v_cmp_gt_u32_e64 s3, 16, v23
	v_dual_lshlrev_b32 v13, 3, v1 :: v_dual_lshlrev_b32 v48, 3, v12
	v_mul_u32_u24_e32 v47, 0x208, v1
	s_and_b32 s93, s2, s4
	v_cmp_eq_u32_e64 s4, 0, v12
	v_cmp_ne_u32_e64 s5, 0, v12
	v_lshl_or_b32 v51, v1, 9, v48
	v_dual_sub_nc_u32 v14, v47, v13 :: v_dual_lshrrev_b32 v1, 3, v23
	s_and_b32 s94, s4, s3
	v_cmp_eq_u32_e64 s4, 1, v12
	v_add_nc_u32_e32 v50, 0x8000, v13
	s_delay_alu instid0(VALU_DEP_3)
	v_dual_add_nc_u32 v52, v14, v48 :: v_dual_bitop2_b32 v13, -8, v23 bitop3:0x40
	v_cmp_lt_u32_e64 s6, 1, v12
	s_and_b32 s95, s5, s3
	v_cmp_eq_u32_e64 s5, 2, v12
	v_cmp_eq_u32_e64 s8, 3, v12
	s_and_b32 s96, s4, s3
	v_cmp_gt_u32_e64 s4, 4, v2
	v_mul_u32_u24_e32 v57, 0x208, v1
	v_and_b32_e32 v12, 7, v0
	s_and_b32 s97, s6, s3
	s_and_b32 s98, s5, s3
	;; [unrolled: 1-line block ×3, first 2 shown]
	v_cmp_gt_u32_e64 s4, 64, v23
	v_sub_nc_u32_e32 v14, v57, v13
	v_cmp_eq_u32_e64 s5, 0, v12
	v_cmp_ne_u32_e64 s6, 0, v12
	s_and_b32 s99, s8, s3
	v_lshlrev_b32_e32 v59, 3, v12
	v_cmp_eq_u32_e64 s8, 2, v12
	s_and_b32 s101, s5, s4
	s_and_b32 s102, s6, s4
	v_cmp_eq_u32_e64 s5, 1, v12
	v_cmp_lt_u32_e64 s6, 1, v12
	v_cmp_lt_u32_e64 s9, 2, v12
	v_cmp_eq_u32_e64 s10, 3, v12
	v_lshl_or_b32 v61, v1, 9, v59
	s_and_b32 s103, s5, s4
	s_and_b32 s104, s6, s4
	v_cmp_lt_u32_e64 s5, 3, v12
	v_cmp_eq_u32_e64 s6, 4, v12
	s_and_b32 vcc_hi, s8, s4
	s_and_b32 s38, s9, s4
	s_and_b32 s39, s10, s4
	v_cmp_lt_u32_e64 s8, 4, v12
	v_cmp_eq_u32_e64 s9, 5, v12
	v_cmp_lt_u32_e64 s10, 5, v12
	s_and_b32 s40, s5, s4
	s_and_b32 s41, s6, s4
	v_lshrrev_b32_e32 v1, 4, v23
	v_add_nc_u32_e32 v62, v14, v59
	v_cmp_eq_u32_e64 s5, 6, v12
	v_cmp_eq_u32_e64 s6, 7, v12
	v_and_b32_e32 v12, 15, v0
	s_and_b32 s42, s8, s4
	v_cmp_gt_u32_e64 s8, 8, v2
	s_and_b32 s45, s5, s4
	s_and_b32 s46, s6, s4
	v_cmp_gt_u32_e64 s5, 0x100, v23
	v_cmp_eq_u32_e64 s6, 0, v12
	s_and_b32 s47, s2, s8
	v_cmp_ne_u32_e64 s8, 0, v12
	s_and_b32 s43, s9, s4
	v_cmp_eq_u32_e64 s9, 1, v12
	s_and_b32 s6, s6, s5
	s_and_b32 s44, s10, s4
	v_writelane_b32 v108, s6, 1
	s_and_b32 s8, s8, s5
	v_cmp_lt_u32_e64 s6, 1, v12
	v_cmp_eq_u32_e64 s10, 2, v12
	s_and_b32 s49, s14, s18
	v_writelane_b32 v108, s8, 2
	s_and_b32 s8, s9, s5
	s_and_b32 s6, s6, s5
	v_cmp_lt_u32_e64 s9, 3, v12
	v_cmp_gt_i32_e64 s7, s15, v2
	v_writelane_b32 v108, s8, 3
	v_cmp_lt_u32_e64 s8, 2, v12
	v_mul_i32_i24_e32 v53, 0xfffffe08, v2
	s_xor_b32 s90, vcc_lo, -1
	v_mad_u32_u24 v4, v43, s0, v2
	v_writelane_b32 v108, s6, 4
	s_and_b32 s6, s10, s5
	s_and_b32 s8, s8, s5
	v_cmp_lt_u32_e64 s10, 4, v12
	v_mul_lo_u32 v28, v53, 6
	v_writelane_b32 v108, s6, 5
	v_cmp_eq_u32_e64 s6, 3, v12
	v_cmp_gt_i32_e64 s0, s80, v10
	s_and_b32 s57, s10, s5
	v_cmp_eq_u32_e64 s10, 7, v12
	v_writelane_b32 v108, s8, 6
	s_and_b32 s6, s6, s5
	v_cmp_eq_u32_e64 s8, 4, v12
	v_add_nc_u32_e32 v31, 0x50, v22
	s_and_b32 s62, s10, s5
	v_writelane_b32 v108, s6, 7
	s_and_b32 s6, s9, s5
	s_and_b32 s8, s8, s5
	v_cmp_eq_u32_e64 s9, 6, v12
	v_cmp_lt_u32_e64 s10, 9, v12
	v_writelane_b32 v108, s6, 8
	v_cmp_eq_u32_e64 s6, 5, v12
	v_mul_u32_u24_e32 v27, 0x1f8, v2
	s_and_b32 s60, s9, s5
	v_cmp_lt_u32_e64 s9, 8, v12
	v_writelane_b32 v108, s8, 9
	s_and_b32 s58, s6, s5
	v_cmp_lt_u32_e64 s6, 6, v12
	v_cmp_lt_u32_e64 s8, 5, v12
	s_and_b32 s11, s9, s5
	s_and_b32 s25, s10, s5
	v_cmp_eq_u32_e64 s9, 11, v12
	s_and_b32 s61, s6, s5
	v_cmp_eq_u32_e64 s6, 8, v12
	s_and_b32 s59, s8, s5
	v_cmp_lt_u32_e64 s8, 7, v12
	v_cmp_eq_u32_e64 s10, 12, v12
	s_and_b32 s31, s9, s5
	s_and_b32 s64, s6, s5
	v_cmp_eq_u32_e64 s6, 10, v12
	s_and_b32 s63, s8, s5
	v_cmp_eq_u32_e64 s8, 9, v12
	s_and_b32 s24, s10, s5
	v_cmp_lt_u32_e64 s9, 13, v12
	s_and_b32 s27, s6, s5
	v_cmp_lt_u32_e64 s6, 11, v12
	;; [unrolled: 2-line block ×3, first 2 shown]
	v_cmp_eq_u32_e64 s10, 15, v12
	s_and_b32 s30, s9, s5
	s_and_b32 s34, s6, s5
	v_cmp_eq_u32_e64 s6, 13, v12
	s_and_b32 s29, s8, s5
	v_cmp_lt_u32_e64 s8, 12, v12
	s_and_b32 s89, s10, s5
	v_dual_add_nc_u32 v29, 32, v43 :: v_dual_add_nc_u32 v30, 48, v43
	s_and_b32 s28, s6, s5
	v_cmp_gt_u32_e64 s6, 16, v2
	s_and_b32 s26, s8, s5
	v_cmp_eq_u32_e64 s8, 14, v12
	v_add_nc_u32_e32 v32, 0x60, v22
	v_mad_u32 v27, v27, 7, v28
	s_and_b32 s48, s2, s6
	v_cmp_gt_u32_e64 s6, 32, v2
	s_and_b32 s33, s8, s5
	s_xor_b32 s8, s49, -1
	v_cmp_gt_i32_e64 s9, s80, v32
	s_and_b32 s50, s2, s8
	s_and_b32 s6, s2, s6
	s_cmp_gt_i32 s86, 0
	v_writelane_b32 v108, s6, 10
	s_cselect_b32 s51, -1, 0
	s_and_b32 s7, s2, s7
	v_cmp_gt_i32_e64 s8, s80, v31
	v_dual_add_nc_u32 v28, v29, v21 :: v_dual_add_nc_u32 v21, v30, v21
	v_writelane_b32 v108, s7, 11
	v_cmp_gt_i32_e64 s7, s80, v6
	v_lshl_add_u32 v32, v30, 6, v2
	v_add_nc_u32_e32 v22, 0x70, v22
	v_lshl_add_u32 v31, v29, 6, v2
	v_cmp_le_u32_e64 s6, v2, v43
	s_and_b32 s7, s7, s0
	v_cndmask_b32_e32 v21, v32, v21, vcc_lo
	v_writelane_b32 v108, s7, 12
	s_and_b32 s7, s8, s0
	v_cmp_gt_i32_e64 s10, s80, v22
	v_dual_cndmask_b32 v22, v31, v28, vcc_lo :: v_dual_lshlrev_b32 v78, 3, v26
	v_writelane_b32 v108, s7, 13
	s_and_b32 s7, s9, s0
	v_cmp_le_i32_e32 vcc_lo, s15, v43
	v_add_nc_u32_e32 v60, 0x8000, v13
	v_dual_lshlrev_b32 v13, 3, v1 :: v_dual_lshlrev_b32 v65, 3, v12
	v_writelane_b32 v108, s7, 14
	s_and_b32 s7, s10, s0
	v_mul_u32_u24_e32 v64, 0x208, v1
	s_or_b32 s8, vcc_lo, s14
	v_lshl_or_b32 v67, v1, 9, v65
	v_writelane_b32 v108, s7, 15
	v_cmp_le_i32_e64 s7, s15, v20
	s_or_b32 s8, s8, s6
	v_dual_sub_nc_u32 v14, v64, v13 :: v_dual_lshrrev_b32 v1, 5, v23
	v_writelane_b32 v108, s8, 16
	s_or_b32 s10, s7, s14
	v_cmp_le_u32_e64 s7, v2, v20
	v_cmp_le_i32_e32 vcc_lo, s15, v29
	v_cmp_le_u32_e64 s8, v2, v29
	v_cmp_le_i32_e64 s9, s15, v30
	v_mul_u64_e32 v[8:9], s[12:13], v[10:11]
	s_or_b32 s10, s10, s7
	v_add_nc_u32_e32 v66, 0x8000, v13
	v_writelane_b32 v108, s10, 17
	v_add_nc_u32_e32 v68, v14, v65
	v_dual_lshlrev_b32 v70, 3, v1 :: v_dual_lshlrev_b32 v71, 9, v1
	v_mul_u64_e32 v[0:1], s[74:75], v[10:11]
	v_mad_nc_u64_u32 v[10:11], s12, v43, v[18:19]
	v_mad_nc_u64_u32 v[12:13], s12, v20, v[18:19]
	;; [unrolled: 1-line block ×4, first 2 shown]
	s_or_b32 s12, vcc_lo, s14
	v_cmp_ne_u32_e64 s15, v2, v30
	s_or_b32 s10, s12, s8
	v_cmp_ne_u32_e64 s12, v2, v20
	v_writelane_b32 v108, s10, 18
	s_or_b32 s10, s9, s14
	v_cmp_le_u32_e64 s9, v2, v30
	v_mad_u32 v11, s13, v43, v11
	v_mad_u32 v13, s13, v20, v13
	;; [unrolled: 1-line block ×4, first 2 shown]
	s_or_b32 s10, s10, s9
	v_cmp_ne_u32_e64 s13, v2, v29
	v_writelane_b32 v108, s10, 19
	v_cmp_ne_u32_e64 s10, v2, v43
	v_dual_lshlrev_b32 v86, 3, v69 :: v_dual_bitop2_b32 v31, v20, v2 bitop3:0x54
	v_mul_u32_u24_e32 v33, 0x1f0, v2
	v_dual_lshlrev_b32 v20, 9, v69 :: v_dual_bitop2_b32 v32, v29, v2 bitop3:0x54
	s_delay_alu instid0(VALU_DEP_4) | instskip(SKIP_1) | instid1(VALU_DEP_3)
	v_writelane_b32 v108, s10, 20
	s_or_b32 s10, s14, s10
	v_dual_sub_nc_u32 v27, v27, v33 :: v_dual_lshlrev_b32 v77, 3, v24
	v_or_b32_e32 v33, v30, v2
	v_writelane_b32 v108, s10, 21
	s_or_b32 s10, s14, s12
	v_mad_u32_u24 v49, 0x1f8, v2, v46
	v_add_nc_u64_e32 v[14:15], s[16:17], v[4:5]
	v_dual_lshlrev_b32 v80, 3, v22 :: v_dual_lshlrev_b32 v22, 3, v43
	v_writelane_b32 v108, s12, 22
	s_delay_alu instid0(VALU_DEP_4)
	v_mad_i32_i24 v54, 0xfffffe08, v2, v49
	v_cmp_lt_u32_e32 vcc_lo, 0x3ff, v23
	v_dual_add_nc_u32 v87, v86, v20 :: v_dual_bitop2_b32 v89, v71, v86 bitop3:0x54
	v_writelane_b32 v108, s10, 23
	s_or_b32 s10, s14, s13
	v_mad_u32_u24 v55, 0x1f8, v2, v54
	v_mul_u64_e32 v[14:15], s[74:75], v[14:15]
	v_or_b32_e32 v83, 0xa000, v22
	v_writelane_b32 v108, s13, 24
	v_add_nc_u32_e32 v85, 0x7c00, v27
	v_mad_i32_i24 v56, 0xfffffe08, v2, v55
	v_add_nc_u32_e32 v88, 0x8000, v70
	v_lshl_add_u32 v90, v4, 3, 0xa000
	v_writelane_b32 v108, s10, 25
	s_or_b32 s10, s14, s15
	v_mad_u32_u24 v58, 0x1f8, v2, v56
	v_lshl_add_u32 v91, v23, 3, 0x8000
	v_add_nc_u32_e32 v92, 0x8000, v46
	v_writelane_b32 v108, s15, 26
	v_add_nc_u32_e32 v94, v83, v46
	v_mad_i32_i24 v63, 0xfffffe08, v2, v58
	v_or_b32_e32 v95, 0x4100, v86
	v_subrev_nc_u32_e32 v96, 63, v2
	v_writelane_b32 v108, s10, 27
	v_cmp_gt_u32_e64 s10, 0xf0, v23
	v_mad_u32_u24 v72, 0x1f8, v2, v63
	v_cmp_eq_u32_e64 s14, 0, v25
	v_cmp_gt_u32_e64 s15, 2, v23
	v_cmp_gt_u32_e64 s16, 12, v23
	v_writelane_b32 v108, s10, 28
	v_cmp_gt_u32_e64 s10, 0xe0, v23
	v_mad_i32_i24 v73, 0xfffffe08, v2, v72
	v_cmp_gt_u32_e64 s17, 8, v23
	v_cmp_gt_u32_e64 s18, 56, v23
	;; [unrolled: 1-line block ×3, first 2 shown]
	v_writelane_b32 v108, s10, 29
	v_cmp_gt_u32_e64 s10, 0xd0, v23
	v_mad_u32_u24 v74, 0x1f8, v2, v73
	v_cmp_gt_u32_e64 s20, 40, v23
	v_cmp_gt_u32_e64 s21, 32, v23
	v_cmp_gt_u32_e64 s22, 24, v23
	v_writelane_b32 v108, s10, 30
	v_cmp_gt_u32_e64 s10, 0xc0, v23
	v_mad_i32_i24 v75, 0xfffffe08, v2, v74
	v_cmp_gt_u32_e64 s35, 0x400, v23
	v_cmp_eq_u32_e64 s36, 0, v4
	v_cmp_gt_u32_e64 s37, 64, v4
	v_writelane_b32 v108, s10, 31
	v_cmp_gt_u32_e64 s10, 0xb0, v23
	v_mad_u32_u24 v76, 0x1f8, v2, v75
	v_lshl_add_u32 v93, v43, 9, v75
	s_add_co_i32 s52, s52, 1
	s_xor_b32 s13, vcc_lo, -1
	v_writelane_b32 v107, s10, 0
	v_cmp_gt_u32_e64 s10, 0xa0, v23
	v_mad_i32_i24 v79, 0xfffffe08, v2, v76
	s_lshl_b64 s[78:79], s[78:79], 3
	s_lshl_b64 s[72:73], s[72:73], 3
                                        ; implicit-def: $vgpr24
                                        ; implicit-def: $vgpr26
                                        ; implicit-def: $vgpr28
	v_writelane_b32 v107, s10, 1
	v_cmp_gt_u32_e64 s10, 0x90, v23
	v_mad_u32_u24 v81, 0x1f8, v2, v79
	v_lshlrev_b32_e32 v82, 3, v21
	v_mov_b64_e32 v[20:21], 0
	s_delay_alu instid0(VALU_DEP_4) | instskip(SKIP_2) | instid1(VALU_DEP_2)
	v_writelane_b32 v107, s10, 2
	v_cmp_gt_u32_e64 s10, 0x80, v23
	v_add_nc_u32_e32 v84, v81, v22
                                        ; implicit-def: $vgpr22
	v_writelane_b32 v107, s10, 3
	v_cmp_gt_u32_e64 s10, 0x70, v23
	s_delay_alu instid0(VALU_DEP_1) | instskip(SKIP_1) | instid1(VALU_DEP_1)
	v_writelane_b32 v107, s10, 4
	v_cmp_gt_u32_e64 s10, 0x60, v23
	v_writelane_b32 v107, s10, 5
	v_cmp_gt_u32_e64 s10, 0x50, v23
	s_delay_alu instid0(VALU_DEP_1) | instskip(SKIP_1) | instid1(VALU_DEP_1)
	v_writelane_b32 v107, s10, 6
	v_cmp_gt_u32_e64 s10, 64, v25
	;; [unrolled: 5-line block ×15, first 2 shown]
	v_writelane_b32 v106, s10, 1
	s_branch .LBB156_3
.LBB156_2:                              ;   in Loop: Header=BB156_3 Depth=1
	s_wait_xcnt 0x0
	s_or_b32 exec_lo, exec_lo, s10
	s_add_co_i32 s66, s66, 0x10000
	global_wb scope:SCOPE_DEV
	s_wait_storecnt 0x0
	global_inv scope:SCOPE_DEV
	s_cmp_lt_u32 s66, s65
	s_cbranch_scc0 .LBB156_1174
.LBB156_3:                              ; =>This Loop Header: Depth=1
                                        ;     Child Loop BB156_569 Depth 2
                                        ;     Child Loop BB156_1010 Depth 2
                                        ;       Child Loop BB156_1012 Depth 3
                                        ;     Child Loop BB156_1056 Depth 2
	v_mov_b32_e32 v32, s66
	v_readlane_b32 s10, v108, 0
	s_clause 0x1
	global_load_b64 v[30:31], v32, s[76:77] scale_offset
	global_load_b64 v[34:35], v32, s[70:71] scale_offset
	global_load_b64 v[32:33], v5, s[68:69]
	s_and_not1_b32 vcc_lo, exec_lo, s10
	s_wait_loadcnt 0x2
	v_add_nc_u64_e32 v[36:37], s[78:79], v[30:31]
	s_delay_alu instid0(VALU_DEP_1)
	v_lshl_add_u64 v[30:31], v[8:9], 3, v[36:37]
	s_cbranch_vccnz .LBB156_13
; %bb.4:                                ;   in Loop: Header=BB156_3 Depth=1
	s_delay_alu instid0(VALU_DEP_1)
	v_lshl_add_u64 v[38:39], v[6:7], 3, v[30:31]
	v_dual_mov_b32 v24, 0 :: v_dual_mov_b32 v22, 0
	v_mov_b32_e32 v23, 0
	s_wait_loadcnt 0x0
	s_barrier_signal -1
	s_barrier_wait -1
	s_wait_xcnt 0x0
	s_mov_b32 s10, exec_lo
	v_readlane_b32 s12, v108, 12
	s_and_b32 s12, s10, s12
	s_delay_alu instid0(SALU_CYCLE_1)
	s_mov_b32 exec_lo, s12
	s_cbranch_execz .LBB156_6
; %bb.5:                                ;   in Loop: Header=BB156_3 Depth=1
	flat_load_b64 v[22:23], v[38:39]
.LBB156_6:                              ;   in Loop: Header=BB156_3 Depth=1
	s_wait_xcnt 0x0
	s_or_b32 exec_lo, exec_lo, s10
	v_mov_b32_e32 v25, 0
	s_wait_loadcnt_dscnt 0x0
	s_barrier_signal -1
	s_barrier_wait -1
	s_mov_b32 s10, exec_lo
	v_readlane_b32 s12, v108, 13
	s_and_b32 s12, s10, s12
	s_delay_alu instid0(SALU_CYCLE_1)
	s_mov_b32 exec_lo, s12
	s_cbranch_execz .LBB156_8
; %bb.7:                                ;   in Loop: Header=BB156_3 Depth=1
	flat_load_b64 v[24:25], v[38:39] offset:128
.LBB156_8:                              ;   in Loop: Header=BB156_3 Depth=1
	s_wait_xcnt 0x0
	s_or_b32 exec_lo, exec_lo, s10
	v_dual_mov_b32 v29, 0 :: v_dual_mov_b32 v26, 0
	v_mov_b32_e32 v27, 0
	s_wait_loadcnt_dscnt 0x0
	s_barrier_signal -1
	s_barrier_wait -1
	s_mov_b32 s10, exec_lo
	v_readlane_b32 s12, v108, 14
	s_and_b32 s12, s10, s12
	s_delay_alu instid0(SALU_CYCLE_1)
	s_mov_b32 exec_lo, s12
	s_cbranch_execz .LBB156_10
; %bb.9:                                ;   in Loop: Header=BB156_3 Depth=1
	flat_load_b64 v[26:27], v[38:39] offset:256
.LBB156_10:                             ;   in Loop: Header=BB156_3 Depth=1
	s_wait_xcnt 0x0
	s_or_b32 exec_lo, exec_lo, s10
	v_mov_b32_e32 v28, 0
	s_wait_loadcnt_dscnt 0x0
	s_barrier_signal -1
	s_barrier_wait -1
	s_mov_b32 s10, exec_lo
	v_readlane_b32 s12, v108, 15
	s_and_b32 s12, s10, s12
	s_delay_alu instid0(SALU_CYCLE_1)
	s_mov_b32 exec_lo, s12
	s_cbranch_execz .LBB156_12
; %bb.11:                               ;   in Loop: Header=BB156_3 Depth=1
	flat_load_b64 v[28:29], v[38:39] offset:384
.LBB156_12:                             ;   in Loop: Header=BB156_3 Depth=1
	s_wait_xcnt 0x0
	s_or_b32 exec_lo, exec_lo, s10
.LBB156_13:                             ;   in Loop: Header=BB156_3 Depth=1
	s_delay_alu instid0(SALU_CYCLE_1)
	s_and_not1_b32 vcc_lo, exec_lo, s88
	s_mov_b32 s10, -1
	s_cbranch_vccnz .LBB156_24
; %bb.14:                               ;   in Loop: Header=BB156_3 Depth=1
	s_wait_xcnt 0x0
	s_and_saveexec_b32 s10, s6
	s_delay_alu instid0(SALU_CYCLE_1)
	s_xor_b32 s10, exec_lo, s10
	s_cbranch_execnz .LBB156_1070
; %bb.15:                               ;   in Loop: Header=BB156_3 Depth=1
	s_and_not1_saveexec_b32 s10, s10
	s_cbranch_execnz .LBB156_1081
.LBB156_16:                             ;   in Loop: Header=BB156_3 Depth=1
	s_or_b32 exec_lo, exec_lo, s10
	s_and_saveexec_b32 s10, s7
	s_delay_alu instid0(SALU_CYCLE_1)
	s_xor_b32 s10, exec_lo, s10
	s_cbranch_execnz .LBB156_1082
.LBB156_17:                             ;   in Loop: Header=BB156_3 Depth=1
	s_and_not1_saveexec_b32 s10, s10
	s_cbranch_execnz .LBB156_1093
.LBB156_18:                             ;   in Loop: Header=BB156_3 Depth=1
	s_or_b32 exec_lo, exec_lo, s10
	s_and_saveexec_b32 s10, s8
	s_delay_alu instid0(SALU_CYCLE_1)
	s_xor_b32 s10, exec_lo, s10
	s_cbranch_execnz .LBB156_1094
.LBB156_19:                             ;   in Loop: Header=BB156_3 Depth=1
	s_and_not1_saveexec_b32 s10, s10
	s_cbranch_execnz .LBB156_1105
.LBB156_20:                             ;   in Loop: Header=BB156_3 Depth=1
	s_or_b32 exec_lo, exec_lo, s10
	s_and_saveexec_b32 s10, s9
	s_delay_alu instid0(SALU_CYCLE_1)
	s_xor_b32 s10, exec_lo, s10
	s_cbranch_execnz .LBB156_1106
.LBB156_21:                             ;   in Loop: Header=BB156_3 Depth=1
	s_and_not1_saveexec_b32 s10, s10
	s_cbranch_execz .LBB156_23
.LBB156_22:                             ;   in Loop: Header=BB156_3 Depth=1
	v_lshl_add_u64 v[38:39], v[18:19], 3, v[36:37]
	flat_load_b64 v[38:39], v[38:39]
	s_wait_loadcnt_dscnt 0x0
	v_xor_b32_e32 v38, 0x80000000, v38
	ds_store_b64 v82, v[38:39]
.LBB156_23:                             ;   in Loop: Header=BB156_3 Depth=1
	s_or_b32 exec_lo, exec_lo, s10
	s_mov_b32 s10, 0
.LBB156_24:                             ;   in Loop: Header=BB156_3 Depth=1
	s_delay_alu instid0(SALU_CYCLE_1)
	s_and_b32 vcc_lo, exec_lo, s10
	s_cbranch_vccz .LBB156_82
; %bb.25:                               ;   in Loop: Header=BB156_3 Depth=1
	s_wait_xcnt 0x0
	s_mov_b32 s10, exec_lo
	v_readlane_b32 s12, v108, 16
	s_and_b32 s12, s10, s12
	s_delay_alu instid0(SALU_CYCLE_1)
	s_xor_b32 s10, s12, s10
	s_mov_b32 exec_lo, s12
	s_cbranch_execz .LBB156_37
; %bb.26:                               ;   in Loop: Header=BB156_3 Depth=1
	s_mov_b32 s12, exec_lo
	v_readlane_b32 s53, v108, 21
	s_and_b32 s53, s12, s53
	s_delay_alu instid0(SALU_CYCLE_1)
	s_xor_b32 s12, s53, s12
	s_mov_b32 exec_lo, s53
	s_cbranch_execz .LBB156_30
; %bb.27:                               ;   in Loop: Header=BB156_3 Depth=1
	s_mov_b32 s53, exec_lo
	v_readlane_b32 s54, v107, 7
	s_and_b32 s54, s53, s54
	s_delay_alu instid0(SALU_CYCLE_1)
	s_mov_b32 exec_lo, s54
; %bb.28:                               ;   in Loop: Header=BB156_3 Depth=1
	ds_store_b64 v84, v[20:21]
; %bb.29:                               ;   in Loop: Header=BB156_3 Depth=1
	s_or_b32 exec_lo, exec_lo, s53
.LBB156_30:                             ;   in Loop: Header=BB156_3 Depth=1
	s_and_not1_saveexec_b32 s84, s12
	s_cbranch_execz .LBB156_36
; %bb.31:                               ;   in Loop: Header=BB156_3 Depth=1
	v_lshl_add_u64 v[38:39], v[10:11], 3, v[36:37]
                                        ; implicit-def: $vgpr40_vgpr41
	flat_load_b64 v[38:39], v[38:39]
	s_wait_loadcnt_dscnt 0x0
	v_cmp_ngt_f32_e64 s12, |v38|, |v39|
	s_and_saveexec_b32 s53, s12
	s_delay_alu instid0(SALU_CYCLE_1)
	s_xor_b32 s12, exec_lo, s53
	s_cbranch_execz .LBB156_33
; %bb.32:                               ;   in Loop: Header=BB156_3 Depth=1
	v_div_scale_f32 v40, null, -v39, -v39, v38
	v_div_scale_f32 v97, vcc_lo, v38, -v39, v38
	s_delay_alu instid0(VALU_DEP_2) | instskip(SKIP_1) | instid1(TRANS32_DEP_1)
	v_rcp_f32_e32 v41, v40
	v_nop
	v_fma_f32 v42, -v40, v41, 1.0
	s_delay_alu instid0(VALU_DEP_1) | instskip(NEXT) | instid1(VALU_DEP_1)
	v_fmac_f32_e32 v41, v42, v41
	v_mul_f32_e32 v42, v97, v41
	s_delay_alu instid0(VALU_DEP_1) | instskip(NEXT) | instid1(VALU_DEP_1)
	v_fma_f32 v98, -v40, v42, v97
	v_fmac_f32_e32 v42, v98, v41
	s_delay_alu instid0(VALU_DEP_1) | instskip(NEXT) | instid1(VALU_DEP_1)
	v_fma_f32 v40, -v40, v42, v97
	v_div_fmas_f32 v40, v40, v41, v42
	s_delay_alu instid0(VALU_DEP_1) | instskip(NEXT) | instid1(VALU_DEP_1)
	v_div_fixup_f32 v40, v40, -v39, v38
	v_fma_f32 v38, v38, v40, -v39
	s_delay_alu instid0(VALU_DEP_1) | instskip(SKIP_1) | instid1(VALU_DEP_2)
	v_div_scale_f32 v39, null, v38, v38, 1.0
	v_div_scale_f32 v97, vcc_lo, 1.0, v38, 1.0
	v_rcp_f32_e32 v41, v39
	v_nop
	s_delay_alu instid0(TRANS32_DEP_1) | instskip(NEXT) | instid1(VALU_DEP_1)
	v_fma_f32 v42, -v39, v41, 1.0
	v_fmac_f32_e32 v41, v42, v41
	s_delay_alu instid0(VALU_DEP_1) | instskip(NEXT) | instid1(VALU_DEP_1)
	v_mul_f32_e32 v42, v97, v41
	v_fma_f32 v98, -v39, v42, v97
	s_delay_alu instid0(VALU_DEP_1) | instskip(NEXT) | instid1(VALU_DEP_1)
	v_fmac_f32_e32 v42, v98, v41
	v_fma_f32 v39, -v39, v42, v97
	s_delay_alu instid0(VALU_DEP_1) | instskip(NEXT) | instid1(VALU_DEP_1)
	v_div_fmas_f32 v39, v39, v41, v42
	v_div_fixup_f32 v38, v39, v38, 1.0
	s_delay_alu instid0(VALU_DEP_1)
	v_mul_f32_e32 v40, v40, v38
	v_xor_b32_e32 v41, 0x80000000, v38
                                        ; implicit-def: $vgpr38_vgpr39
.LBB156_33:                             ;   in Loop: Header=BB156_3 Depth=1
	s_and_not1_saveexec_b32 s12, s12
	s_cbranch_execz .LBB156_35
; %bb.34:                               ;   in Loop: Header=BB156_3 Depth=1
	v_div_scale_f32 v40, null, v38, v38, -v39
	v_div_scale_f32 v97, vcc_lo, -v39, v38, -v39
	s_delay_alu instid0(VALU_DEP_2) | instskip(SKIP_1) | instid1(TRANS32_DEP_1)
	v_rcp_f32_e32 v41, v40
	v_nop
	v_fma_f32 v42, -v40, v41, 1.0
	s_delay_alu instid0(VALU_DEP_1) | instskip(NEXT) | instid1(VALU_DEP_1)
	v_fmac_f32_e32 v41, v42, v41
	v_mul_f32_e32 v42, v97, v41
	s_delay_alu instid0(VALU_DEP_1) | instskip(NEXT) | instid1(VALU_DEP_1)
	v_fma_f32 v98, -v40, v42, v97
	v_fmac_f32_e32 v42, v98, v41
	s_delay_alu instid0(VALU_DEP_1) | instskip(NEXT) | instid1(VALU_DEP_1)
	v_fma_f32 v40, -v40, v42, v97
	v_div_fmas_f32 v40, v40, v41, v42
	s_delay_alu instid0(VALU_DEP_1) | instskip(NEXT) | instid1(VALU_DEP_1)
	v_div_fixup_f32 v41, v40, v38, -v39
	v_fma_f32 v38, -v39, v41, v38
	s_delay_alu instid0(VALU_DEP_1) | instskip(NEXT) | instid1(VALU_DEP_1)
	v_div_scale_f32 v39, null, v38, v38, 1.0
	v_rcp_f32_e32 v40, v39
	v_nop
	s_delay_alu instid0(TRANS32_DEP_1) | instskip(NEXT) | instid1(VALU_DEP_1)
	v_fma_f32 v42, -v39, v40, 1.0
	v_fmac_f32_e32 v40, v42, v40
	v_div_scale_f32 v42, vcc_lo, 1.0, v38, 1.0
	s_delay_alu instid0(VALU_DEP_1) | instskip(NEXT) | instid1(VALU_DEP_1)
	v_mul_f32_e32 v97, v42, v40
	v_fma_f32 v98, -v39, v97, v42
	s_delay_alu instid0(VALU_DEP_1) | instskip(NEXT) | instid1(VALU_DEP_1)
	v_fmac_f32_e32 v97, v98, v40
	v_fma_f32 v39, -v39, v97, v42
	s_delay_alu instid0(VALU_DEP_1) | instskip(NEXT) | instid1(VALU_DEP_1)
	v_div_fmas_f32 v39, v39, v40, v97
	v_div_fixup_f32 v40, v39, v38, 1.0
	s_delay_alu instid0(VALU_DEP_1)
	v_mul_f32_e64 v41, v41, -v40
.LBB156_35:                             ;   in Loop: Header=BB156_3 Depth=1
	s_or_b32 exec_lo, exec_lo, s12
	ds_store_b64 v84, v[40:41]
.LBB156_36:                             ;   in Loop: Header=BB156_3 Depth=1
	s_or_b32 exec_lo, exec_lo, s84
.LBB156_37:                             ;   in Loop: Header=BB156_3 Depth=1
	s_and_not1_saveexec_b32 s10, s10
	s_cbranch_execz .LBB156_39
; %bb.38:                               ;   in Loop: Header=BB156_3 Depth=1
	v_lshl_add_u64 v[38:39], v[10:11], 3, v[36:37]
	flat_load_b64 v[38:39], v[38:39]
	s_wait_loadcnt_dscnt 0x0
	v_xor_b32_e32 v38, 0x80000000, v38
	ds_store_b64 v84, v[38:39]
.LBB156_39:                             ;   in Loop: Header=BB156_3 Depth=1
	s_or_b32 exec_lo, exec_lo, s10
	s_delay_alu instid0(SALU_CYCLE_1) | instskip(SKIP_2) | instid1(SALU_CYCLE_1)
	s_mov_b32 s10, exec_lo
	v_readlane_b32 s12, v108, 17
	s_and_b32 s12, s10, s12
	s_xor_b32 s10, s12, s10
	s_mov_b32 exec_lo, s12
	s_cbranch_execz .LBB156_51
; %bb.40:                               ;   in Loop: Header=BB156_3 Depth=1
	s_mov_b32 s12, exec_lo
	v_readlane_b32 s53, v108, 23
	s_and_b32 s53, s12, s53
	s_delay_alu instid0(SALU_CYCLE_1)
	s_xor_b32 s12, s53, s12
	s_mov_b32 exec_lo, s53
	s_cbranch_execz .LBB156_44
; %bb.41:                               ;   in Loop: Header=BB156_3 Depth=1
	s_mov_b32 s53, exec_lo
	v_readlane_b32 s54, v107, 8
	s_and_b32 s54, s53, s54
	s_delay_alu instid0(SALU_CYCLE_1)
	s_mov_b32 exec_lo, s54
; %bb.42:                               ;   in Loop: Header=BB156_3 Depth=1
	ds_store_b64 v78, v[20:21]
; %bb.43:                               ;   in Loop: Header=BB156_3 Depth=1
	s_or_b32 exec_lo, exec_lo, s53
.LBB156_44:                             ;   in Loop: Header=BB156_3 Depth=1
	s_and_not1_saveexec_b32 s84, s12
	s_cbranch_execz .LBB156_50
; %bb.45:                               ;   in Loop: Header=BB156_3 Depth=1
	v_lshl_add_u64 v[38:39], v[12:13], 3, v[36:37]
                                        ; implicit-def: $vgpr40_vgpr41
	flat_load_b64 v[38:39], v[38:39]
	s_wait_loadcnt_dscnt 0x0
	v_cmp_ngt_f32_e64 s12, |v38|, |v39|
	s_and_saveexec_b32 s53, s12
	s_delay_alu instid0(SALU_CYCLE_1)
	s_xor_b32 s12, exec_lo, s53
	s_cbranch_execz .LBB156_47
; %bb.46:                               ;   in Loop: Header=BB156_3 Depth=1
	v_div_scale_f32 v40, null, -v39, -v39, v38
	v_div_scale_f32 v97, vcc_lo, v38, -v39, v38
	s_delay_alu instid0(VALU_DEP_2) | instskip(SKIP_1) | instid1(TRANS32_DEP_1)
	v_rcp_f32_e32 v41, v40
	v_nop
	v_fma_f32 v42, -v40, v41, 1.0
	s_delay_alu instid0(VALU_DEP_1) | instskip(NEXT) | instid1(VALU_DEP_1)
	v_fmac_f32_e32 v41, v42, v41
	v_mul_f32_e32 v42, v97, v41
	s_delay_alu instid0(VALU_DEP_1) | instskip(NEXT) | instid1(VALU_DEP_1)
	v_fma_f32 v98, -v40, v42, v97
	v_fmac_f32_e32 v42, v98, v41
	s_delay_alu instid0(VALU_DEP_1) | instskip(NEXT) | instid1(VALU_DEP_1)
	v_fma_f32 v40, -v40, v42, v97
	v_div_fmas_f32 v40, v40, v41, v42
	s_delay_alu instid0(VALU_DEP_1) | instskip(NEXT) | instid1(VALU_DEP_1)
	v_div_fixup_f32 v40, v40, -v39, v38
	v_fma_f32 v38, v38, v40, -v39
	s_delay_alu instid0(VALU_DEP_1) | instskip(SKIP_1) | instid1(VALU_DEP_2)
	v_div_scale_f32 v39, null, v38, v38, 1.0
	v_div_scale_f32 v97, vcc_lo, 1.0, v38, 1.0
	v_rcp_f32_e32 v41, v39
	v_nop
	s_delay_alu instid0(TRANS32_DEP_1) | instskip(NEXT) | instid1(VALU_DEP_1)
	v_fma_f32 v42, -v39, v41, 1.0
	v_fmac_f32_e32 v41, v42, v41
	s_delay_alu instid0(VALU_DEP_1) | instskip(NEXT) | instid1(VALU_DEP_1)
	v_mul_f32_e32 v42, v97, v41
	v_fma_f32 v98, -v39, v42, v97
	s_delay_alu instid0(VALU_DEP_1) | instskip(NEXT) | instid1(VALU_DEP_1)
	v_fmac_f32_e32 v42, v98, v41
	v_fma_f32 v39, -v39, v42, v97
	s_delay_alu instid0(VALU_DEP_1) | instskip(NEXT) | instid1(VALU_DEP_1)
	v_div_fmas_f32 v39, v39, v41, v42
	v_div_fixup_f32 v38, v39, v38, 1.0
	s_delay_alu instid0(VALU_DEP_1)
	v_mul_f32_e32 v40, v40, v38
	v_xor_b32_e32 v41, 0x80000000, v38
                                        ; implicit-def: $vgpr38_vgpr39
.LBB156_47:                             ;   in Loop: Header=BB156_3 Depth=1
	s_and_not1_saveexec_b32 s12, s12
	s_cbranch_execz .LBB156_49
; %bb.48:                               ;   in Loop: Header=BB156_3 Depth=1
	v_div_scale_f32 v40, null, v38, v38, -v39
	v_div_scale_f32 v97, vcc_lo, -v39, v38, -v39
	s_delay_alu instid0(VALU_DEP_2) | instskip(SKIP_1) | instid1(TRANS32_DEP_1)
	v_rcp_f32_e32 v41, v40
	v_nop
	v_fma_f32 v42, -v40, v41, 1.0
	s_delay_alu instid0(VALU_DEP_1) | instskip(NEXT) | instid1(VALU_DEP_1)
	v_fmac_f32_e32 v41, v42, v41
	v_mul_f32_e32 v42, v97, v41
	s_delay_alu instid0(VALU_DEP_1) | instskip(NEXT) | instid1(VALU_DEP_1)
	v_fma_f32 v98, -v40, v42, v97
	v_fmac_f32_e32 v42, v98, v41
	s_delay_alu instid0(VALU_DEP_1) | instskip(NEXT) | instid1(VALU_DEP_1)
	v_fma_f32 v40, -v40, v42, v97
	v_div_fmas_f32 v40, v40, v41, v42
	s_delay_alu instid0(VALU_DEP_1) | instskip(NEXT) | instid1(VALU_DEP_1)
	v_div_fixup_f32 v41, v40, v38, -v39
	v_fma_f32 v38, -v39, v41, v38
	s_delay_alu instid0(VALU_DEP_1) | instskip(NEXT) | instid1(VALU_DEP_1)
	v_div_scale_f32 v39, null, v38, v38, 1.0
	v_rcp_f32_e32 v40, v39
	v_nop
	s_delay_alu instid0(TRANS32_DEP_1) | instskip(NEXT) | instid1(VALU_DEP_1)
	v_fma_f32 v42, -v39, v40, 1.0
	v_fmac_f32_e32 v40, v42, v40
	v_div_scale_f32 v42, vcc_lo, 1.0, v38, 1.0
	s_delay_alu instid0(VALU_DEP_1) | instskip(NEXT) | instid1(VALU_DEP_1)
	v_mul_f32_e32 v97, v42, v40
	v_fma_f32 v98, -v39, v97, v42
	s_delay_alu instid0(VALU_DEP_1) | instskip(NEXT) | instid1(VALU_DEP_1)
	v_fmac_f32_e32 v97, v98, v40
	v_fma_f32 v39, -v39, v97, v42
	s_delay_alu instid0(VALU_DEP_1) | instskip(NEXT) | instid1(VALU_DEP_1)
	v_div_fmas_f32 v39, v39, v40, v97
	v_div_fixup_f32 v40, v39, v38, 1.0
	s_delay_alu instid0(VALU_DEP_1)
	v_mul_f32_e64 v41, v41, -v40
.LBB156_49:                             ;   in Loop: Header=BB156_3 Depth=1
	s_or_b32 exec_lo, exec_lo, s12
	ds_store_b64 v78, v[40:41]
.LBB156_50:                             ;   in Loop: Header=BB156_3 Depth=1
	s_or_b32 exec_lo, exec_lo, s84
.LBB156_51:                             ;   in Loop: Header=BB156_3 Depth=1
	s_and_not1_saveexec_b32 s10, s10
	s_cbranch_execz .LBB156_53
; %bb.52:                               ;   in Loop: Header=BB156_3 Depth=1
	v_lshl_add_u64 v[38:39], v[12:13], 3, v[36:37]
	flat_load_b64 v[38:39], v[38:39]
	s_wait_loadcnt_dscnt 0x0
	v_xor_b32_e32 v38, 0x80000000, v38
	ds_store_b64 v78, v[38:39]
.LBB156_53:                             ;   in Loop: Header=BB156_3 Depth=1
	s_or_b32 exec_lo, exec_lo, s10
	s_delay_alu instid0(SALU_CYCLE_1) | instskip(SKIP_2) | instid1(SALU_CYCLE_1)
	s_mov_b32 s10, exec_lo
	v_readlane_b32 s12, v108, 18
	s_and_b32 s12, s10, s12
	s_xor_b32 s10, s12, s10
	s_mov_b32 exec_lo, s12
	s_cbranch_execz .LBB156_65
; %bb.54:                               ;   in Loop: Header=BB156_3 Depth=1
	s_mov_b32 s12, exec_lo
	v_readlane_b32 s53, v108, 25
	s_and_b32 s53, s12, s53
	s_delay_alu instid0(SALU_CYCLE_1)
	s_xor_b32 s12, s53, s12
	s_mov_b32 exec_lo, s53
	s_cbranch_execz .LBB156_58
; %bb.55:                               ;   in Loop: Header=BB156_3 Depth=1
	s_mov_b32 s53, exec_lo
	v_readlane_b32 s54, v107, 9
	s_and_b32 s54, s53, s54
	s_delay_alu instid0(SALU_CYCLE_1)
	s_mov_b32 exec_lo, s54
; %bb.56:                               ;   in Loop: Header=BB156_3 Depth=1
	ds_store_b64 v80, v[20:21]
; %bb.57:                               ;   in Loop: Header=BB156_3 Depth=1
	s_or_b32 exec_lo, exec_lo, s53
.LBB156_58:                             ;   in Loop: Header=BB156_3 Depth=1
	s_and_not1_saveexec_b32 s84, s12
	s_cbranch_execz .LBB156_64
; %bb.59:                               ;   in Loop: Header=BB156_3 Depth=1
	v_lshl_add_u64 v[38:39], v[16:17], 3, v[36:37]
                                        ; implicit-def: $vgpr40_vgpr41
	flat_load_b64 v[38:39], v[38:39]
	s_wait_loadcnt_dscnt 0x0
	v_cmp_ngt_f32_e64 s12, |v38|, |v39|
	s_and_saveexec_b32 s53, s12
	s_delay_alu instid0(SALU_CYCLE_1)
	s_xor_b32 s12, exec_lo, s53
	s_cbranch_execz .LBB156_61
; %bb.60:                               ;   in Loop: Header=BB156_3 Depth=1
	v_div_scale_f32 v40, null, -v39, -v39, v38
	v_div_scale_f32 v97, vcc_lo, v38, -v39, v38
	s_delay_alu instid0(VALU_DEP_2) | instskip(SKIP_1) | instid1(TRANS32_DEP_1)
	v_rcp_f32_e32 v41, v40
	v_nop
	v_fma_f32 v42, -v40, v41, 1.0
	s_delay_alu instid0(VALU_DEP_1) | instskip(NEXT) | instid1(VALU_DEP_1)
	v_fmac_f32_e32 v41, v42, v41
	v_mul_f32_e32 v42, v97, v41
	s_delay_alu instid0(VALU_DEP_1) | instskip(NEXT) | instid1(VALU_DEP_1)
	v_fma_f32 v98, -v40, v42, v97
	v_fmac_f32_e32 v42, v98, v41
	s_delay_alu instid0(VALU_DEP_1) | instskip(NEXT) | instid1(VALU_DEP_1)
	v_fma_f32 v40, -v40, v42, v97
	v_div_fmas_f32 v40, v40, v41, v42
	s_delay_alu instid0(VALU_DEP_1) | instskip(NEXT) | instid1(VALU_DEP_1)
	v_div_fixup_f32 v40, v40, -v39, v38
	v_fma_f32 v38, v38, v40, -v39
	s_delay_alu instid0(VALU_DEP_1) | instskip(SKIP_1) | instid1(VALU_DEP_2)
	v_div_scale_f32 v39, null, v38, v38, 1.0
	v_div_scale_f32 v97, vcc_lo, 1.0, v38, 1.0
	v_rcp_f32_e32 v41, v39
	v_nop
	s_delay_alu instid0(TRANS32_DEP_1) | instskip(NEXT) | instid1(VALU_DEP_1)
	v_fma_f32 v42, -v39, v41, 1.0
	v_fmac_f32_e32 v41, v42, v41
	s_delay_alu instid0(VALU_DEP_1) | instskip(NEXT) | instid1(VALU_DEP_1)
	v_mul_f32_e32 v42, v97, v41
	v_fma_f32 v98, -v39, v42, v97
	s_delay_alu instid0(VALU_DEP_1) | instskip(NEXT) | instid1(VALU_DEP_1)
	v_fmac_f32_e32 v42, v98, v41
	v_fma_f32 v39, -v39, v42, v97
	s_delay_alu instid0(VALU_DEP_1) | instskip(NEXT) | instid1(VALU_DEP_1)
	v_div_fmas_f32 v39, v39, v41, v42
	v_div_fixup_f32 v38, v39, v38, 1.0
	s_delay_alu instid0(VALU_DEP_1)
	v_mul_f32_e32 v40, v40, v38
	v_xor_b32_e32 v41, 0x80000000, v38
                                        ; implicit-def: $vgpr38_vgpr39
.LBB156_61:                             ;   in Loop: Header=BB156_3 Depth=1
	s_and_not1_saveexec_b32 s12, s12
	s_cbranch_execz .LBB156_63
; %bb.62:                               ;   in Loop: Header=BB156_3 Depth=1
	v_div_scale_f32 v40, null, v38, v38, -v39
	v_div_scale_f32 v97, vcc_lo, -v39, v38, -v39
	s_delay_alu instid0(VALU_DEP_2) | instskip(SKIP_1) | instid1(TRANS32_DEP_1)
	v_rcp_f32_e32 v41, v40
	v_nop
	v_fma_f32 v42, -v40, v41, 1.0
	s_delay_alu instid0(VALU_DEP_1) | instskip(NEXT) | instid1(VALU_DEP_1)
	v_fmac_f32_e32 v41, v42, v41
	v_mul_f32_e32 v42, v97, v41
	s_delay_alu instid0(VALU_DEP_1) | instskip(NEXT) | instid1(VALU_DEP_1)
	v_fma_f32 v98, -v40, v42, v97
	v_fmac_f32_e32 v42, v98, v41
	s_delay_alu instid0(VALU_DEP_1) | instskip(NEXT) | instid1(VALU_DEP_1)
	v_fma_f32 v40, -v40, v42, v97
	v_div_fmas_f32 v40, v40, v41, v42
	s_delay_alu instid0(VALU_DEP_1) | instskip(NEXT) | instid1(VALU_DEP_1)
	v_div_fixup_f32 v41, v40, v38, -v39
	v_fma_f32 v38, -v39, v41, v38
	s_delay_alu instid0(VALU_DEP_1) | instskip(NEXT) | instid1(VALU_DEP_1)
	v_div_scale_f32 v39, null, v38, v38, 1.0
	v_rcp_f32_e32 v40, v39
	v_nop
	s_delay_alu instid0(TRANS32_DEP_1) | instskip(NEXT) | instid1(VALU_DEP_1)
	v_fma_f32 v42, -v39, v40, 1.0
	v_fmac_f32_e32 v40, v42, v40
	v_div_scale_f32 v42, vcc_lo, 1.0, v38, 1.0
	s_delay_alu instid0(VALU_DEP_1) | instskip(NEXT) | instid1(VALU_DEP_1)
	v_mul_f32_e32 v97, v42, v40
	v_fma_f32 v98, -v39, v97, v42
	s_delay_alu instid0(VALU_DEP_1) | instskip(NEXT) | instid1(VALU_DEP_1)
	v_fmac_f32_e32 v97, v98, v40
	v_fma_f32 v39, -v39, v97, v42
	s_delay_alu instid0(VALU_DEP_1) | instskip(NEXT) | instid1(VALU_DEP_1)
	v_div_fmas_f32 v39, v39, v40, v97
	v_div_fixup_f32 v40, v39, v38, 1.0
	s_delay_alu instid0(VALU_DEP_1)
	v_mul_f32_e64 v41, v41, -v40
.LBB156_63:                             ;   in Loop: Header=BB156_3 Depth=1
	s_or_b32 exec_lo, exec_lo, s12
	ds_store_b64 v80, v[40:41]
.LBB156_64:                             ;   in Loop: Header=BB156_3 Depth=1
	s_or_b32 exec_lo, exec_lo, s84
.LBB156_65:                             ;   in Loop: Header=BB156_3 Depth=1
	s_and_not1_saveexec_b32 s10, s10
	s_cbranch_execz .LBB156_67
; %bb.66:                               ;   in Loop: Header=BB156_3 Depth=1
	v_lshl_add_u64 v[38:39], v[16:17], 3, v[36:37]
	flat_load_b64 v[38:39], v[38:39]
	s_wait_loadcnt_dscnt 0x0
	v_xor_b32_e32 v38, 0x80000000, v38
	ds_store_b64 v80, v[38:39]
.LBB156_67:                             ;   in Loop: Header=BB156_3 Depth=1
	s_or_b32 exec_lo, exec_lo, s10
	s_delay_alu instid0(SALU_CYCLE_1) | instskip(SKIP_2) | instid1(SALU_CYCLE_1)
	s_mov_b32 s10, exec_lo
	v_readlane_b32 s12, v108, 19
	s_and_b32 s12, s10, s12
	s_xor_b32 s10, s12, s10
	s_mov_b32 exec_lo, s12
	s_cbranch_execz .LBB156_79
; %bb.68:                               ;   in Loop: Header=BB156_3 Depth=1
	s_mov_b32 s12, exec_lo
	v_readlane_b32 s53, v108, 27
	s_and_b32 s53, s12, s53
	s_delay_alu instid0(SALU_CYCLE_1)
	s_xor_b32 s12, s53, s12
	s_mov_b32 exec_lo, s53
	s_cbranch_execz .LBB156_72
; %bb.69:                               ;   in Loop: Header=BB156_3 Depth=1
	s_mov_b32 s53, exec_lo
	v_readlane_b32 s54, v107, 10
	s_and_b32 s54, s53, s54
	s_delay_alu instid0(SALU_CYCLE_1)
	s_mov_b32 exec_lo, s54
; %bb.70:                               ;   in Loop: Header=BB156_3 Depth=1
	ds_store_b64 v82, v[20:21]
; %bb.71:                               ;   in Loop: Header=BB156_3 Depth=1
	s_or_b32 exec_lo, exec_lo, s53
                                        ; implicit-def: $vgpr36_vgpr37
.LBB156_72:                             ;   in Loop: Header=BB156_3 Depth=1
	s_and_not1_saveexec_b32 s84, s12
	s_cbranch_execz .LBB156_78
; %bb.73:                               ;   in Loop: Header=BB156_3 Depth=1
	v_lshl_add_u64 v[36:37], v[18:19], 3, v[36:37]
                                        ; implicit-def: $vgpr38_vgpr39
	flat_load_b64 v[36:37], v[36:37]
	s_wait_loadcnt_dscnt 0x0
	v_cmp_ngt_f32_e64 s12, |v36|, |v37|
	s_and_saveexec_b32 s53, s12
	s_delay_alu instid0(SALU_CYCLE_1)
	s_xor_b32 s12, exec_lo, s53
	s_cbranch_execz .LBB156_75
; %bb.74:                               ;   in Loop: Header=BB156_3 Depth=1
	v_div_scale_f32 v38, null, -v37, -v37, v36
	v_div_scale_f32 v41, vcc_lo, v36, -v37, v36
	s_delay_alu instid0(VALU_DEP_2) | instskip(SKIP_1) | instid1(TRANS32_DEP_1)
	v_rcp_f32_e32 v39, v38
	v_nop
	v_fma_f32 v40, -v38, v39, 1.0
	s_delay_alu instid0(VALU_DEP_1) | instskip(NEXT) | instid1(VALU_DEP_1)
	v_fmac_f32_e32 v39, v40, v39
	v_mul_f32_e32 v40, v41, v39
	s_delay_alu instid0(VALU_DEP_1) | instskip(NEXT) | instid1(VALU_DEP_1)
	v_fma_f32 v42, -v38, v40, v41
	v_fmac_f32_e32 v40, v42, v39
	s_delay_alu instid0(VALU_DEP_1) | instskip(NEXT) | instid1(VALU_DEP_1)
	v_fma_f32 v38, -v38, v40, v41
	v_div_fmas_f32 v38, v38, v39, v40
	s_delay_alu instid0(VALU_DEP_1) | instskip(NEXT) | instid1(VALU_DEP_1)
	v_div_fixup_f32 v38, v38, -v37, v36
	v_fma_f32 v36, v36, v38, -v37
	s_delay_alu instid0(VALU_DEP_1) | instskip(SKIP_1) | instid1(VALU_DEP_2)
	v_div_scale_f32 v37, null, v36, v36, 1.0
	v_div_scale_f32 v41, vcc_lo, 1.0, v36, 1.0
	v_rcp_f32_e32 v39, v37
	v_nop
	s_delay_alu instid0(TRANS32_DEP_1) | instskip(NEXT) | instid1(VALU_DEP_1)
	v_fma_f32 v40, -v37, v39, 1.0
	v_fmac_f32_e32 v39, v40, v39
	s_delay_alu instid0(VALU_DEP_1) | instskip(NEXT) | instid1(VALU_DEP_1)
	v_mul_f32_e32 v40, v41, v39
	v_fma_f32 v42, -v37, v40, v41
	s_delay_alu instid0(VALU_DEP_1) | instskip(NEXT) | instid1(VALU_DEP_1)
	v_fmac_f32_e32 v40, v42, v39
	v_fma_f32 v37, -v37, v40, v41
	s_delay_alu instid0(VALU_DEP_1) | instskip(NEXT) | instid1(VALU_DEP_1)
	v_div_fmas_f32 v37, v37, v39, v40
	v_div_fixup_f32 v36, v37, v36, 1.0
	s_delay_alu instid0(VALU_DEP_1)
	v_mul_f32_e32 v38, v38, v36
	v_xor_b32_e32 v39, 0x80000000, v36
                                        ; implicit-def: $vgpr36_vgpr37
.LBB156_75:                             ;   in Loop: Header=BB156_3 Depth=1
	s_and_not1_saveexec_b32 s12, s12
	s_cbranch_execz .LBB156_77
; %bb.76:                               ;   in Loop: Header=BB156_3 Depth=1
	v_div_scale_f32 v38, null, v36, v36, -v37
	v_div_scale_f32 v41, vcc_lo, -v37, v36, -v37
	s_delay_alu instid0(VALU_DEP_2) | instskip(SKIP_1) | instid1(TRANS32_DEP_1)
	v_rcp_f32_e32 v39, v38
	v_nop
	v_fma_f32 v40, -v38, v39, 1.0
	s_delay_alu instid0(VALU_DEP_1) | instskip(NEXT) | instid1(VALU_DEP_1)
	v_fmac_f32_e32 v39, v40, v39
	v_mul_f32_e32 v40, v41, v39
	s_delay_alu instid0(VALU_DEP_1) | instskip(NEXT) | instid1(VALU_DEP_1)
	v_fma_f32 v42, -v38, v40, v41
	v_fmac_f32_e32 v40, v42, v39
	s_delay_alu instid0(VALU_DEP_1) | instskip(NEXT) | instid1(VALU_DEP_1)
	v_fma_f32 v38, -v38, v40, v41
	v_div_fmas_f32 v38, v38, v39, v40
	s_delay_alu instid0(VALU_DEP_1) | instskip(NEXT) | instid1(VALU_DEP_1)
	v_div_fixup_f32 v39, v38, v36, -v37
	v_fma_f32 v36, -v37, v39, v36
	s_delay_alu instid0(VALU_DEP_1) | instskip(NEXT) | instid1(VALU_DEP_1)
	v_div_scale_f32 v37, null, v36, v36, 1.0
	v_rcp_f32_e32 v38, v37
	v_nop
	s_delay_alu instid0(TRANS32_DEP_1) | instskip(NEXT) | instid1(VALU_DEP_1)
	v_fma_f32 v40, -v37, v38, 1.0
	v_fmac_f32_e32 v38, v40, v38
	v_div_scale_f32 v40, vcc_lo, 1.0, v36, 1.0
	s_delay_alu instid0(VALU_DEP_1) | instskip(NEXT) | instid1(VALU_DEP_1)
	v_mul_f32_e32 v41, v40, v38
	v_fma_f32 v42, -v37, v41, v40
	s_delay_alu instid0(VALU_DEP_1) | instskip(NEXT) | instid1(VALU_DEP_1)
	v_fmac_f32_e32 v41, v42, v38
	v_fma_f32 v37, -v37, v41, v40
	s_delay_alu instid0(VALU_DEP_1) | instskip(NEXT) | instid1(VALU_DEP_1)
	v_div_fmas_f32 v37, v37, v38, v41
	v_div_fixup_f32 v38, v37, v36, 1.0
	s_delay_alu instid0(VALU_DEP_1)
	v_mul_f32_e64 v39, v39, -v38
.LBB156_77:                             ;   in Loop: Header=BB156_3 Depth=1
	s_or_b32 exec_lo, exec_lo, s12
	ds_store_b64 v82, v[38:39]
.LBB156_78:                             ;   in Loop: Header=BB156_3 Depth=1
	s_or_b32 exec_lo, exec_lo, s84
                                        ; implicit-def: $vgpr36_vgpr37
.LBB156_79:                             ;   in Loop: Header=BB156_3 Depth=1
	s_and_not1_saveexec_b32 s10, s10
	s_cbranch_execz .LBB156_81
; %bb.80:                               ;   in Loop: Header=BB156_3 Depth=1
	v_lshl_add_u64 v[36:37], v[18:19], 3, v[36:37]
	flat_load_b64 v[36:37], v[36:37]
	s_wait_loadcnt_dscnt 0x0
	v_xor_b32_e32 v36, 0x80000000, v36
	ds_store_b64 v82, v[36:37]
.LBB156_81:                             ;   in Loop: Header=BB156_3 Depth=1
	s_or_b32 exec_lo, exec_lo, s10
.LBB156_82:                             ;   in Loop: Header=BB156_3 Depth=1
	s_delay_alu instid0(SALU_CYCLE_1)
	s_and_not1_b32 vcc_lo, exec_lo, s90
	s_wait_loadcnt_dscnt 0x0
	s_barrier_signal -1
	s_barrier_wait -1
	s_cbranch_vccnz .LBB156_1004
; %bb.83:                               ;   in Loop: Header=BB156_3 Depth=1
	s_and_saveexec_b32 s10, s14
	s_cbranch_execz .LBB156_85
; %bb.84:                               ;   in Loop: Header=BB156_3 Depth=1
	ds_load_b128 v[36:39], v5
	ds_load_b64 v[40:41], v5 offset:520
	s_wait_dscnt 0x1
	v_dual_mov_b32 v98, v39 :: v_dual_mov_b32 v99, v38
	s_wait_dscnt 0x0
	v_dual_mul_f32 v97, v41, v37 :: v_dual_mul_f32 v42, v40, v37
	s_delay_alu instid0(VALU_DEP_1) | instskip(NEXT) | instid1(VALU_DEP_1)
	v_xor_b32_e32 v100, 0x80000000, v97
	v_dual_fmac_f32 v42, v41, v36 :: v_dual_fmac_f32 v100, v40, v36
	s_delay_alu instid0(VALU_DEP_1) | instskip(NEXT) | instid1(VALU_DEP_1)
	v_pk_mul_f32 v[36:37], v[42:43], v[98:99] op_sel_hi:[0,1]
	v_pk_fma_f32 v[40:41], v[100:101], v[38:39], v[36:37] op_sel_hi:[0,1,1]
	v_pk_fma_f32 v[36:37], v[100:101], v[38:39], v[36:37] neg_lo:[0,0,1] neg_hi:[0,0,1]
	s_delay_alu instid0(VALU_DEP_2)
	v_mov_b32_e32 v37, v41
	ds_store_2addr_b64 v5, v[36:37], v[36:37] offset0:1 offset1:64
.LBB156_85:                             ;   in Loop: Header=BB156_3 Depth=1
	s_or_b32 exec_lo, exec_lo, s10
	v_mov_b32_e32 v37, 0
	s_wait_dscnt 0x0
	s_barrier_signal -1
	s_barrier_wait -1
	s_delay_alu instid0(VALU_DEP_1)
	v_mov_b32_e32 v36, v37
	s_and_saveexec_b32 s10, s1
	s_cbranch_execz .LBB156_89
; %bb.86:                               ;   in Loop: Header=BB156_3 Depth=1
	ds_load_b64 v[36:37], v44 offset:16
	ds_load_b64 v[38:39], v45
	s_wait_dscnt 0x0
	v_dual_mul_f32 v40, v39, v37 :: v_dual_mul_f32 v41, v38, v37
	s_delay_alu instid0(VALU_DEP_1) | instskip(NEXT) | instid1(VALU_DEP_1)
	v_dual_fma_f32 v40, v38, v36, -v40 :: v_dual_fmac_f32 v41, v39, v36
	v_pk_add_f32 v[36:37], v[40:41], 0 op_sel_hi:[1,0]
	s_and_saveexec_b32 s12, s15
	s_cbranch_execz .LBB156_88
; %bb.87:                               ;   in Loop: Header=BB156_3 Depth=1
	ds_load_b64 v[38:39], v46 offset:528
	ds_load_b64 v[40:41], v5 offset:8
	s_wait_dscnt 0x0
	v_pk_mul_f32 v[98:99], v[40:41], v[38:39] op_sel:[1,1] op_sel_hi:[0,1]
	s_delay_alu instid0(VALU_DEP_1) | instskip(SKIP_1) | instid1(VALU_DEP_2)
	v_pk_fma_f32 v[100:101], v[40:41], v[38:39], v[98:99] op_sel_hi:[1,0,1]
	v_pk_fma_f32 v[38:39], v[40:41], v[38:39], v[98:99] neg_lo:[0,0,1] neg_hi:[0,0,1]
	v_mov_b32_e32 v39, v101
	s_delay_alu instid0(VALU_DEP_1)
	v_pk_add_f32 v[36:37], v[36:37], v[38:39]
.LBB156_88:                             ;   in Loop: Header=BB156_3 Depth=1
	s_or_b32 exec_lo, exec_lo, s12
	s_delay_alu instid0(VALU_DEP_1)
	v_pk_add_f32 v[36:37], v[36:37], 0 neg_lo:[1,1] neg_hi:[1,1]
.LBB156_89:                             ;   in Loop: Header=BB156_3 Depth=1
	s_or_b32 exec_lo, exec_lo, s10
	s_and_saveexec_b32 s10, s91
	s_cbranch_execz .LBB156_91
; %bb.90:                               ;   in Loop: Header=BB156_3 Depth=1
	ds_load_b64 v[38:39], v5 offset:1040
	s_wait_dscnt 0x0
	v_pk_mul_f32 v[40:41], v[36:37], v[38:39] op_sel:[1,1] op_sel_hi:[1,0]
	s_delay_alu instid0(VALU_DEP_1) | instskip(SKIP_1) | instid1(VALU_DEP_2)
	v_pk_fma_f32 v[98:99], v[36:37], v[38:39], v[40:41] op_sel_hi:[0,1,1]
	v_pk_fma_f32 v[38:39], v[36:37], v[38:39], v[40:41] neg_lo:[0,0,1] neg_hi:[0,0,1]
	v_mov_b32_e32 v39, v99
	s_delay_alu instid0(VALU_DEP_1)
	v_mov_b64_e32 v[36:37], v[38:39]
	ds_store_b64 v3, v[38:39]
.LBB156_91:                             ;   in Loop: Header=BB156_3 Depth=1
	s_or_b32 exec_lo, exec_lo, s10
	s_wait_dscnt 0x0
	s_barrier_signal -1
	s_barrier_wait -1
	s_and_saveexec_b32 s10, s92
	s_cbranch_execz .LBB156_93
; %bb.92:                               ;   in Loop: Header=BB156_3 Depth=1
	ds_load_b64 v[38:39], v5 offset:1048
	ds_load_b64 v[40:41], v3
	s_wait_dscnt 0x0
	v_pk_mul_f32 v[98:99], v[40:41], v[38:39] op_sel:[1,1] op_sel_hi:[0,1]
	s_delay_alu instid0(VALU_DEP_1) | instskip(SKIP_1) | instid1(VALU_DEP_2)
	v_pk_fma_f32 v[100:101], v[40:41], v[38:39], v[98:99] op_sel_hi:[1,0,1]
	v_pk_fma_f32 v[38:39], v[40:41], v[38:39], v[98:99] neg_lo:[0,0,1] neg_hi:[0,0,1]
	v_mov_b32_e32 v39, v101
	s_delay_alu instid0(VALU_DEP_1)
	v_pk_add_f32 v[36:37], v[36:37], v[38:39]
.LBB156_93:                             ;   in Loop: Header=BB156_3 Depth=1
	s_or_b32 exec_lo, exec_lo, s10
	s_barrier_signal -1
	s_barrier_wait -1
	s_and_saveexec_b32 s10, s92
	s_cbranch_execz .LBB156_95
; %bb.94:                               ;   in Loop: Header=BB156_3 Depth=1
	ds_load_b64 v[38:39], v5 offset:1560
	s_wait_dscnt 0x0
	v_pk_mul_f32 v[40:41], v[36:37], v[38:39] op_sel:[1,1] op_sel_hi:[1,0]
	s_delay_alu instid0(VALU_DEP_1) | instskip(SKIP_1) | instid1(VALU_DEP_2)
	v_pk_fma_f32 v[98:99], v[36:37], v[38:39], v[40:41] op_sel_hi:[0,1,1]
	v_pk_fma_f32 v[38:39], v[36:37], v[38:39], v[40:41] neg_lo:[0,0,1] neg_hi:[0,0,1]
	v_mov_b32_e32 v39, v99
	s_delay_alu instid0(VALU_DEP_1)
	v_mov_b64_e32 v[36:37], v[38:39]
	ds_store_b64 v3, v[38:39]
.LBB156_95:                             ;   in Loop: Header=BB156_3 Depth=1
	s_or_b32 exec_lo, exec_lo, s10
	s_wait_dscnt 0x0
	s_barrier_signal -1
	s_barrier_wait -1
	s_barrier_signal -1
	s_barrier_wait -1
	s_and_saveexec_b32 s10, s1
; %bb.96:                               ;   in Loop: Header=BB156_3 Depth=1
	v_pk_add_f32 v[36:37], v[36:37], 0 neg_lo:[1,1] neg_hi:[1,1]
	ds_store_b64 v44, v[36:37] offset:16
; %bb.97:                               ;   in Loop: Header=BB156_3 Depth=1
	s_or_b32 exec_lo, exec_lo, s10
	s_wait_dscnt 0x0
	s_barrier_signal -1
	s_barrier_wait -1
	s_barrier_signal -1
	s_barrier_wait -1
	s_and_saveexec_b32 s10, s93
	s_cbranch_execz .LBB156_99
; %bb.98:                               ;   in Loop: Header=BB156_3 Depth=1
	ds_load_b64 v[36:37], v49 offset:16
	s_wait_dscnt 0x0
	ds_store_b64 v46, v[36:37] offset:1024
	ds_load_b64 v[36:37], v49 offset:24
	s_wait_dscnt 0x0
	ds_store_b64 v46, v[36:37] offset:1536
.LBB156_99:                             ;   in Loop: Header=BB156_3 Depth=1
	s_or_b32 exec_lo, exec_lo, s10
	s_wait_dscnt 0x0
	s_barrier_signal -1
	s_barrier_wait -1
	s_and_saveexec_b32 s10, s14
	s_cbranch_execz .LBB156_101
; %bb.100:                              ;   in Loop: Header=BB156_3 Depth=1
	ds_load_b128 v[36:39], v5 offset:1040
	ds_load_b64 v[40:41], v5 offset:1560
	s_wait_dscnt 0x1
	v_dual_mov_b32 v98, v39 :: v_dual_mov_b32 v99, v38
	s_wait_dscnt 0x0
	v_dual_mul_f32 v97, v41, v37 :: v_dual_mul_f32 v42, v40, v37
	s_delay_alu instid0(VALU_DEP_1) | instskip(NEXT) | instid1(VALU_DEP_1)
	v_xor_b32_e32 v100, 0x80000000, v97
	v_dual_fmac_f32 v42, v41, v36 :: v_dual_fmac_f32 v100, v40, v36
	s_delay_alu instid0(VALU_DEP_1) | instskip(NEXT) | instid1(VALU_DEP_1)
	v_pk_mul_f32 v[36:37], v[42:43], v[98:99] op_sel_hi:[0,1]
	v_pk_fma_f32 v[40:41], v[100:101], v[38:39], v[36:37] op_sel_hi:[0,1,1]
	v_pk_fma_f32 v[36:37], v[100:101], v[38:39], v[36:37] neg_lo:[0,0,1] neg_hi:[0,0,1]
	s_delay_alu instid0(VALU_DEP_2)
	v_mov_b32_e32 v37, v41
	ds_store_2addr_b64 v5, v[36:37], v[36:37] offset0:131 offset1:194
.LBB156_101:                            ;   in Loop: Header=BB156_3 Depth=1
	s_or_b32 exec_lo, exec_lo, s10
	v_mov_b32_e32 v36, 0
	s_wait_dscnt 0x0
	s_barrier_signal -1
	s_barrier_wait -1
	s_delay_alu instid0(VALU_DEP_1)
	v_mov_b32_e32 v37, v36
	s_and_saveexec_b32 s10, s3
	s_cbranch_execz .LBB156_107
; %bb.102:                              ;   in Loop: Header=BB156_3 Depth=1
	ds_load_b64 v[36:37], v51 offset:32
	ds_load_b64 v[38:39], v47
	s_wait_dscnt 0x0
	v_pk_mul_f32 v[40:41], v[38:39], v[36:37] op_sel:[0,1]
	s_delay_alu instid0(VALU_DEP_1) | instskip(SKIP_1) | instid1(VALU_DEP_2)
	v_pk_fma_f32 v[98:99], v[38:39], v[36:37], v[40:41] op_sel:[1,0,0] op_sel_hi:[0,0,1] neg_lo:[0,0,1] neg_hi:[0,0,1]
	v_pk_fma_f32 v[36:37], v[38:39], v[36:37], v[40:41] op_sel:[1,0,0] op_sel_hi:[0,1,1]
	v_mov_b32_e32 v37, v99
	s_delay_alu instid0(VALU_DEP_1)
	v_pk_add_f32 v[36:37], v[36:37], 0 op_sel_hi:[1,0]
	s_and_saveexec_b32 s12, s16
	s_cbranch_execnz .LBB156_1124
; %bb.103:                              ;   in Loop: Header=BB156_3 Depth=1
	s_or_b32 exec_lo, exec_lo, s12
	s_and_saveexec_b32 s12, s17
	s_cbranch_execnz .LBB156_1125
.LBB156_104:                            ;   in Loop: Header=BB156_3 Depth=1
	s_or_b32 exec_lo, exec_lo, s12
	s_and_saveexec_b32 s12, s1
	s_cbranch_execz .LBB156_106
.LBB156_105:                            ;   in Loop: Header=BB156_3 Depth=1
	ds_load_b64 v[38:39], v54 offset:1568
	ds_load_b64 v[40:41], v5 offset:24
	s_wait_dscnt 0x0
	v_pk_mul_f32 v[98:99], v[40:41], v[38:39] op_sel:[0,1]
	s_delay_alu instid0(VALU_DEP_1) | instskip(SKIP_1) | instid1(VALU_DEP_2)
	v_pk_fma_f32 v[100:101], v[40:41], v[38:39], v[98:99] op_sel:[1,0,0] op_sel_hi:[0,0,1] neg_lo:[0,0,1] neg_hi:[0,0,1]
	v_pk_fma_f32 v[38:39], v[40:41], v[38:39], v[98:99] op_sel:[1,0,0] op_sel_hi:[0,1,1]
	v_mov_b32_e32 v39, v101
	s_delay_alu instid0(VALU_DEP_1)
	v_pk_add_f32 v[36:37], v[36:37], v[38:39]
.LBB156_106:                            ;   in Loop: Header=BB156_3 Depth=1
	s_or_b32 exec_lo, exec_lo, s12
	s_delay_alu instid0(VALU_DEP_1) | instskip(NEXT) | instid1(VALU_DEP_1)
	v_pk_add_f32 v[38:39], v[36:37], 0 neg_lo:[1,1] neg_hi:[1,1]
	v_dual_mov_b32 v36, v39 :: v_dual_mov_b32 v37, v38
.LBB156_107:                            ;   in Loop: Header=BB156_3 Depth=1
	s_or_b32 exec_lo, exec_lo, s10
	s_and_saveexec_b32 s10, s94
	s_cbranch_execz .LBB156_109
; %bb.108:                              ;   in Loop: Header=BB156_3 Depth=1
	ds_load_b64 v[38:39], v5 offset:2080
	v_dual_mov_b32 v40, v37 :: v_dual_mov_b32 v41, v36
	s_wait_dscnt 0x0
	s_delay_alu instid0(VALU_DEP_1) | instskip(NEXT) | instid1(VALU_DEP_1)
	v_dual_mul_f32 v42, v40, v38 :: v_dual_mul_f32 v98, v37, v39
	v_pk_fma_f32 v[40:41], v[40:41], v[38:39], v[42:43] op_sel_hi:[1,1,0]
	s_delay_alu instid0(VALU_DEP_2) | instskip(NEXT) | instid1(VALU_DEP_2)
	v_pk_fma_f32 v[36:37], v[36:37], v[38:39], v[98:99] op_sel_hi:[1,1,0] neg_lo:[0,0,1] neg_hi:[0,0,1]
	v_mov_b32_e32 v37, v41
	ds_store_b64 v50, v[36:37]
.LBB156_109:                            ;   in Loop: Header=BB156_3 Depth=1
	s_or_b32 exec_lo, exec_lo, s10
	s_wait_dscnt 0x0
	s_barrier_signal -1
	s_barrier_wait -1
	s_and_saveexec_b32 s10, s95
	s_cbranch_execz .LBB156_111
; %bb.110:                              ;   in Loop: Header=BB156_3 Depth=1
	ds_load_b64 v[38:39], v48 offset:2080
	ds_load_b64 v[40:41], v50
	s_wait_dscnt 0x0
	v_dual_mul_f32 v42, v41, v39 :: v_dual_mul_f32 v99, v40, v39
	s_delay_alu instid0(VALU_DEP_1) | instskip(NEXT) | instid1(VALU_DEP_1)
	v_dual_fma_f32 v98, v40, v38, -v42 :: v_dual_fmac_f32 v99, v41, v38
	v_pk_add_f32 v[36:37], v[36:37], v[98:99]
.LBB156_111:                            ;   in Loop: Header=BB156_3 Depth=1
	s_or_b32 exec_lo, exec_lo, s10
	s_barrier_signal -1
	s_barrier_wait -1
	s_and_saveexec_b32 s10, s96
	s_cbranch_execz .LBB156_113
; %bb.112:                              ;   in Loop: Header=BB156_3 Depth=1
	ds_load_b64 v[38:39], v5 offset:2600
	s_wait_dscnt 0x0
	v_pk_mul_f32 v[40:41], v[36:37], v[38:39] op_sel:[1,1] op_sel_hi:[1,0]
	s_delay_alu instid0(VALU_DEP_1) | instskip(SKIP_1) | instid1(VALU_DEP_2)
	v_pk_fma_f32 v[98:99], v[36:37], v[38:39], v[40:41] op_sel_hi:[0,1,1]
	v_pk_fma_f32 v[38:39], v[36:37], v[38:39], v[40:41] neg_lo:[0,0,1] neg_hi:[0,0,1]
	v_mov_b32_e32 v39, v99
	s_delay_alu instid0(VALU_DEP_1)
	v_mov_b64_e32 v[36:37], v[38:39]
	ds_store_b64 v50, v[38:39]
.LBB156_113:                            ;   in Loop: Header=BB156_3 Depth=1
	s_or_b32 exec_lo, exec_lo, s10
	s_wait_dscnt 0x0
	s_barrier_signal -1
	s_barrier_wait -1
	s_and_saveexec_b32 s10, s97
	s_cbranch_execz .LBB156_115
; %bb.114:                              ;   in Loop: Header=BB156_3 Depth=1
	ds_load_b64 v[38:39], v48 offset:2592
	ds_load_b64 v[40:41], v50
	s_wait_dscnt 0x0
	v_pk_mul_f32 v[98:99], v[40:41], v[38:39] op_sel:[1,1] op_sel_hi:[0,1]
	s_delay_alu instid0(VALU_DEP_1) | instskip(SKIP_1) | instid1(VALU_DEP_2)
	v_pk_fma_f32 v[100:101], v[40:41], v[38:39], v[98:99] op_sel_hi:[1,0,1]
	v_pk_fma_f32 v[38:39], v[40:41], v[38:39], v[98:99] neg_lo:[0,0,1] neg_hi:[0,0,1]
	v_mov_b32_e32 v39, v101
	s_delay_alu instid0(VALU_DEP_1)
	v_pk_add_f32 v[36:37], v[36:37], v[38:39]
.LBB156_115:                            ;   in Loop: Header=BB156_3 Depth=1
	s_or_b32 exec_lo, exec_lo, s10
	s_barrier_signal -1
	s_barrier_wait -1
	s_and_saveexec_b32 s10, s98
	s_cbranch_execz .LBB156_117
; %bb.116:                              ;   in Loop: Header=BB156_3 Depth=1
	ds_load_b64 v[38:39], v5 offset:3120
	s_wait_dscnt 0x0
	v_pk_mul_f32 v[40:41], v[36:37], v[38:39] op_sel:[1,1] op_sel_hi:[1,0]
	s_delay_alu instid0(VALU_DEP_1) | instskip(SKIP_1) | instid1(VALU_DEP_2)
	v_pk_fma_f32 v[98:99], v[36:37], v[38:39], v[40:41] op_sel_hi:[0,1,1]
	v_pk_fma_f32 v[38:39], v[36:37], v[38:39], v[40:41] neg_lo:[0,0,1] neg_hi:[0,0,1]
	v_mov_b32_e32 v39, v99
	s_delay_alu instid0(VALU_DEP_1)
	v_mov_b64_e32 v[36:37], v[38:39]
	ds_store_b64 v50, v[38:39]
.LBB156_117:                            ;   in Loop: Header=BB156_3 Depth=1
	s_or_b32 exec_lo, exec_lo, s10
	s_wait_dscnt 0x0
	s_barrier_signal -1
	s_barrier_wait -1
	s_and_saveexec_b32 s10, s99
	s_cbranch_execz .LBB156_119
; %bb.118:                              ;   in Loop: Header=BB156_3 Depth=1
	ds_load_b64 v[38:39], v5 offset:3128
	ds_load_b64 v[40:41], v50
	s_wait_dscnt 0x0
	v_pk_mul_f32 v[98:99], v[40:41], v[38:39] op_sel:[1,1] op_sel_hi:[0,1]
	s_delay_alu instid0(VALU_DEP_1) | instskip(SKIP_1) | instid1(VALU_DEP_2)
	v_pk_fma_f32 v[100:101], v[40:41], v[38:39], v[98:99] op_sel_hi:[1,0,1]
	v_pk_fma_f32 v[38:39], v[40:41], v[38:39], v[98:99] neg_lo:[0,0,1] neg_hi:[0,0,1]
	v_mov_b32_e32 v39, v101
	s_delay_alu instid0(VALU_DEP_1)
	v_pk_add_f32 v[36:37], v[36:37], v[38:39]
.LBB156_119:                            ;   in Loop: Header=BB156_3 Depth=1
	s_or_b32 exec_lo, exec_lo, s10
	s_barrier_signal -1
	s_barrier_wait -1
	s_and_saveexec_b32 s10, s99
	s_cbranch_execz .LBB156_121
; %bb.120:                              ;   in Loop: Header=BB156_3 Depth=1
	ds_load_b64 v[38:39], v5 offset:3640
	s_wait_dscnt 0x0
	v_pk_mul_f32 v[40:41], v[36:37], v[38:39] op_sel:[1,1] op_sel_hi:[1,0]
	s_delay_alu instid0(VALU_DEP_1) | instskip(SKIP_1) | instid1(VALU_DEP_2)
	v_pk_fma_f32 v[98:99], v[36:37], v[38:39], v[40:41] op_sel_hi:[0,1,1]
	v_pk_fma_f32 v[38:39], v[36:37], v[38:39], v[40:41] neg_lo:[0,0,1] neg_hi:[0,0,1]
	v_mov_b32_e32 v39, v99
	s_delay_alu instid0(VALU_DEP_1)
	v_mov_b64_e32 v[36:37], v[38:39]
	ds_store_b64 v50, v[38:39]
.LBB156_121:                            ;   in Loop: Header=BB156_3 Depth=1
	s_or_b32 exec_lo, exec_lo, s10
	s_wait_dscnt 0x0
	s_barrier_signal -1
	s_barrier_wait -1
	s_barrier_signal -1
	s_barrier_wait -1
	s_and_saveexec_b32 s10, s3
; %bb.122:                              ;   in Loop: Header=BB156_3 Depth=1
	v_pk_add_f32 v[36:37], v[36:37], 0 neg_lo:[1,1] neg_hi:[1,1]
	ds_store_b64 v51, v[36:37] offset:32
; %bb.123:                              ;   in Loop: Header=BB156_3 Depth=1
	s_or_b32 exec_lo, exec_lo, s10
	s_wait_dscnt 0x0
	s_barrier_signal -1
	s_barrier_wait -1
	s_barrier_signal -1
	s_barrier_wait -1
	s_and_saveexec_b32 s10, s100
	s_cbranch_execz .LBB156_125
; %bb.124:                              ;   in Loop: Header=BB156_3 Depth=1
	ds_load_b64 v[36:37], v55 offset:32
	s_wait_dscnt 0x0
	ds_store_b64 v56, v[36:37] offset:2048
	ds_load_b64 v[36:37], v55 offset:40
	s_wait_dscnt 0x0
	ds_store_b64 v56, v[36:37] offset:2560
	;; [unrolled: 3-line block ×4, first 2 shown]
.LBB156_125:                            ;   in Loop: Header=BB156_3 Depth=1
	s_or_b32 exec_lo, exec_lo, s10
	s_wait_dscnt 0x0
	s_barrier_signal -1
	s_barrier_wait -1
	s_and_saveexec_b32 s10, s14
	s_cbranch_execz .LBB156_127
; %bb.126:                              ;   in Loop: Header=BB156_3 Depth=1
	ds_load_b128 v[36:39], v5 offset:2080
	ds_load_b64 v[40:41], v5 offset:2600
	s_wait_dscnt 0x1
	v_dual_mov_b32 v98, v39 :: v_dual_mov_b32 v99, v38
	s_wait_dscnt 0x0
	v_dual_mul_f32 v97, v41, v37 :: v_dual_mul_f32 v42, v40, v37
	s_delay_alu instid0(VALU_DEP_1) | instskip(NEXT) | instid1(VALU_DEP_1)
	v_xor_b32_e32 v100, 0x80000000, v97
	v_dual_fmac_f32 v42, v41, v36 :: v_dual_fmac_f32 v100, v40, v36
	s_delay_alu instid0(VALU_DEP_1) | instskip(NEXT) | instid1(VALU_DEP_1)
	v_pk_mul_f32 v[36:37], v[42:43], v[98:99] op_sel_hi:[0,1]
	v_pk_fma_f32 v[40:41], v[100:101], v[38:39], v[36:37] op_sel_hi:[0,1,1]
	v_pk_fma_f32 v[36:37], v[100:101], v[38:39], v[36:37] neg_lo:[0,0,1] neg_hi:[0,0,1]
	v_add_nc_u32_e64 v38, 0x800, 0
	s_delay_alu instid0(VALU_DEP_3)
	v_mov_b32_e32 v37, v41
	ds_store_2addr_b64 v38, v[36:37], v[36:37] offset0:5 offset1:68
.LBB156_127:                            ;   in Loop: Header=BB156_3 Depth=1
	s_or_b32 exec_lo, exec_lo, s10
	v_mov_b32_e32 v37, 0
	s_wait_dscnt 0x0
	s_barrier_signal -1
	s_barrier_wait -1
	s_delay_alu instid0(VALU_DEP_1)
	v_mov_b32_e32 v36, v37
	s_and_saveexec_b32 s10, s1
	s_cbranch_execz .LBB156_131
; %bb.128:                              ;   in Loop: Header=BB156_3 Depth=1
	ds_load_b64 v[36:37], v44 offset:2096
	ds_load_b64 v[38:39], v45 offset:2080
	s_wait_dscnt 0x0
	v_dual_mul_f32 v40, v39, v37 :: v_dual_mul_f32 v41, v38, v37
	s_delay_alu instid0(VALU_DEP_1) | instskip(NEXT) | instid1(VALU_DEP_1)
	v_dual_fma_f32 v40, v38, v36, -v40 :: v_dual_fmac_f32 v41, v39, v36
	v_pk_add_f32 v[36:37], v[40:41], 0 op_sel_hi:[1,0]
	s_and_saveexec_b32 s12, s15
	s_cbranch_execz .LBB156_130
; %bb.129:                              ;   in Loop: Header=BB156_3 Depth=1
	ds_load_b64 v[38:39], v56 offset:2608
	ds_load_b64 v[40:41], v5 offset:2088
	s_wait_dscnt 0x0
	v_pk_mul_f32 v[98:99], v[40:41], v[38:39] op_sel:[1,1] op_sel_hi:[0,1]
	s_delay_alu instid0(VALU_DEP_1) | instskip(SKIP_1) | instid1(VALU_DEP_2)
	v_pk_fma_f32 v[100:101], v[40:41], v[38:39], v[98:99] op_sel_hi:[1,0,1]
	v_pk_fma_f32 v[38:39], v[40:41], v[38:39], v[98:99] neg_lo:[0,0,1] neg_hi:[0,0,1]
	v_mov_b32_e32 v39, v101
	s_delay_alu instid0(VALU_DEP_1)
	v_pk_add_f32 v[36:37], v[36:37], v[38:39]
.LBB156_130:                            ;   in Loop: Header=BB156_3 Depth=1
	s_or_b32 exec_lo, exec_lo, s12
	s_delay_alu instid0(VALU_DEP_1)
	v_pk_add_f32 v[36:37], v[36:37], 0 neg_lo:[1,1] neg_hi:[1,1]
.LBB156_131:                            ;   in Loop: Header=BB156_3 Depth=1
	s_or_b32 exec_lo, exec_lo, s10
	s_and_saveexec_b32 s10, s91
	s_cbranch_execz .LBB156_133
; %bb.132:                              ;   in Loop: Header=BB156_3 Depth=1
	ds_load_b64 v[38:39], v5 offset:3120
	s_wait_dscnt 0x0
	v_pk_mul_f32 v[40:41], v[36:37], v[38:39] op_sel:[1,1] op_sel_hi:[1,0]
	s_delay_alu instid0(VALU_DEP_1) | instskip(SKIP_1) | instid1(VALU_DEP_2)
	v_pk_fma_f32 v[98:99], v[36:37], v[38:39], v[40:41] op_sel_hi:[0,1,1]
	v_pk_fma_f32 v[38:39], v[36:37], v[38:39], v[40:41] neg_lo:[0,0,1] neg_hi:[0,0,1]
	v_mov_b32_e32 v39, v99
	s_delay_alu instid0(VALU_DEP_1)
	v_mov_b64_e32 v[36:37], v[38:39]
	ds_store_b64 v3, v[38:39]
.LBB156_133:                            ;   in Loop: Header=BB156_3 Depth=1
	s_or_b32 exec_lo, exec_lo, s10
	s_wait_dscnt 0x0
	s_barrier_signal -1
	s_barrier_wait -1
	s_and_saveexec_b32 s10, s92
	s_cbranch_execz .LBB156_135
; %bb.134:                              ;   in Loop: Header=BB156_3 Depth=1
	ds_load_b64 v[38:39], v5 offset:3128
	ds_load_b64 v[40:41], v3
	s_wait_dscnt 0x0
	v_pk_mul_f32 v[98:99], v[40:41], v[38:39] op_sel:[1,1] op_sel_hi:[0,1]
	s_delay_alu instid0(VALU_DEP_1) | instskip(SKIP_1) | instid1(VALU_DEP_2)
	v_pk_fma_f32 v[100:101], v[40:41], v[38:39], v[98:99] op_sel_hi:[1,0,1]
	v_pk_fma_f32 v[38:39], v[40:41], v[38:39], v[98:99] neg_lo:[0,0,1] neg_hi:[0,0,1]
	v_mov_b32_e32 v39, v101
	s_delay_alu instid0(VALU_DEP_1)
	v_pk_add_f32 v[36:37], v[36:37], v[38:39]
.LBB156_135:                            ;   in Loop: Header=BB156_3 Depth=1
	s_or_b32 exec_lo, exec_lo, s10
	s_barrier_signal -1
	s_barrier_wait -1
	s_and_saveexec_b32 s10, s92
	s_cbranch_execz .LBB156_137
; %bb.136:                              ;   in Loop: Header=BB156_3 Depth=1
	ds_load_b64 v[38:39], v5 offset:3640
	s_wait_dscnt 0x0
	v_pk_mul_f32 v[40:41], v[36:37], v[38:39] op_sel:[1,1] op_sel_hi:[1,0]
	s_delay_alu instid0(VALU_DEP_1) | instskip(SKIP_1) | instid1(VALU_DEP_2)
	v_pk_fma_f32 v[98:99], v[36:37], v[38:39], v[40:41] op_sel_hi:[0,1,1]
	v_pk_fma_f32 v[38:39], v[36:37], v[38:39], v[40:41] neg_lo:[0,0,1] neg_hi:[0,0,1]
	v_mov_b32_e32 v39, v99
	s_delay_alu instid0(VALU_DEP_1)
	v_mov_b64_e32 v[36:37], v[38:39]
	ds_store_b64 v3, v[38:39]
.LBB156_137:                            ;   in Loop: Header=BB156_3 Depth=1
	s_or_b32 exec_lo, exec_lo, s10
	s_wait_dscnt 0x0
	s_barrier_signal -1
	s_barrier_wait -1
	s_barrier_signal -1
	s_barrier_wait -1
	s_and_saveexec_b32 s10, s1
; %bb.138:                              ;   in Loop: Header=BB156_3 Depth=1
	v_pk_add_f32 v[36:37], v[36:37], 0 neg_lo:[1,1] neg_hi:[1,1]
	ds_store_b64 v44, v[36:37] offset:2096
; %bb.139:                              ;   in Loop: Header=BB156_3 Depth=1
	s_or_b32 exec_lo, exec_lo, s10
	s_wait_dscnt 0x0
	s_barrier_signal -1
	s_barrier_wait -1
	s_barrier_signal -1
	s_barrier_wait -1
	s_and_saveexec_b32 s10, s93
	s_cbranch_execz .LBB156_141
; %bb.140:                              ;   in Loop: Header=BB156_3 Depth=1
	ds_load_b64 v[36:37], v58 offset:2096
	s_wait_dscnt 0x0
	ds_store_b64 v56, v[36:37] offset:3104
	ds_load_b64 v[36:37], v58 offset:2104
	s_wait_dscnt 0x0
	ds_store_b64 v56, v[36:37] offset:3616
.LBB156_141:                            ;   in Loop: Header=BB156_3 Depth=1
	s_or_b32 exec_lo, exec_lo, s10
	s_wait_dscnt 0x0
	s_barrier_signal -1
	s_barrier_wait -1
	s_and_saveexec_b32 s10, s14
	s_cbranch_execz .LBB156_143
; %bb.142:                              ;   in Loop: Header=BB156_3 Depth=1
	ds_load_b128 v[36:39], v5 offset:3120
	ds_load_b64 v[40:41], v5 offset:3640
	s_wait_dscnt 0x1
	v_dual_mov_b32 v98, v39 :: v_dual_mov_b32 v99, v38
	s_wait_dscnt 0x0
	v_dual_mul_f32 v97, v41, v37 :: v_dual_mul_f32 v42, v40, v37
	s_delay_alu instid0(VALU_DEP_1) | instskip(NEXT) | instid1(VALU_DEP_1)
	v_xor_b32_e32 v100, 0x80000000, v97
	v_dual_fmac_f32 v42, v41, v36 :: v_dual_fmac_f32 v100, v40, v36
	s_delay_alu instid0(VALU_DEP_1) | instskip(NEXT) | instid1(VALU_DEP_1)
	v_pk_mul_f32 v[36:37], v[42:43], v[98:99] op_sel_hi:[0,1]
	v_pk_fma_f32 v[40:41], v[100:101], v[38:39], v[36:37] op_sel_hi:[0,1,1]
	v_pk_fma_f32 v[36:37], v[100:101], v[38:39], v[36:37] neg_lo:[0,0,1] neg_hi:[0,0,1]
	v_add_nc_u32_e64 v38, 0x800, 0
	s_delay_alu instid0(VALU_DEP_3)
	v_mov_b32_e32 v37, v41
	ds_store_2addr_b64 v38, v[36:37], v[36:37] offset0:135 offset1:198
.LBB156_143:                            ;   in Loop: Header=BB156_3 Depth=1
	s_or_b32 exec_lo, exec_lo, s10
	v_mov_b32_e32 v36, 0
	s_wait_dscnt 0x0
	s_barrier_signal -1
	s_barrier_wait -1
	s_delay_alu instid0(VALU_DEP_1)
	v_mov_b32_e32 v37, v36
	s_and_saveexec_b32 s10, s4
	s_cbranch_execz .LBB156_153
; %bb.144:                              ;   in Loop: Header=BB156_3 Depth=1
	ds_load_b64 v[36:37], v61 offset:64
	ds_load_b64 v[38:39], v57
	s_wait_dscnt 0x0
	v_dual_mul_f32 v40, v39, v37 :: v_dual_mul_f32 v41, v38, v37
	s_delay_alu instid0(VALU_DEP_1) | instskip(NEXT) | instid1(VALU_DEP_1)
	v_dual_fma_f32 v37, v38, v36, -v40 :: v_dual_fmac_f32 v41, v39, v36
	v_add_f32_e32 v37, 0, v37
	s_delay_alu instid0(VALU_DEP_2)
	v_add_f32_e32 v36, 0, v41
	s_and_saveexec_b32 s12, s18
	s_cbranch_execnz .LBB156_1126
; %bb.145:                              ;   in Loop: Header=BB156_3 Depth=1
	s_or_b32 exec_lo, exec_lo, s12
	s_and_saveexec_b32 s12, s19
	s_cbranch_execnz .LBB156_1127
.LBB156_146:                            ;   in Loop: Header=BB156_3 Depth=1
	s_or_b32 exec_lo, exec_lo, s12
	s_and_saveexec_b32 s12, s20
	s_cbranch_execnz .LBB156_1128
.LBB156_147:                            ;   in Loop: Header=BB156_3 Depth=1
	s_or_b32 exec_lo, exec_lo, s12
	s_and_saveexec_b32 s12, s21
	s_cbranch_execnz .LBB156_1129
.LBB156_148:                            ;   in Loop: Header=BB156_3 Depth=1
	s_or_b32 exec_lo, exec_lo, s12
	s_and_saveexec_b32 s12, s22
	s_cbranch_execnz .LBB156_1130
.LBB156_149:                            ;   in Loop: Header=BB156_3 Depth=1
	s_or_b32 exec_lo, exec_lo, s12
	s_and_saveexec_b32 s12, s3
	s_cbranch_execnz .LBB156_1131
.LBB156_150:                            ;   in Loop: Header=BB156_3 Depth=1
	s_or_b32 exec_lo, exec_lo, s12
	s_and_saveexec_b32 s12, s17
	s_cbranch_execz .LBB156_152
.LBB156_151:                            ;   in Loop: Header=BB156_3 Depth=1
	ds_load_b64 v[38:39], v63 offset:3648
	ds_load_b64 v[40:41], v5 offset:56
	s_wait_dscnt 0x0
	v_pk_mul_f32 v[98:99], v[40:41], v[38:39] op_sel:[0,1]
	s_delay_alu instid0(VALU_DEP_1) | instskip(SKIP_1) | instid1(VALU_DEP_2)
	v_pk_fma_f32 v[100:101], v[40:41], v[38:39], v[98:99] op_sel:[1,0,0] op_sel_hi:[0,0,1] neg_lo:[0,0,1] neg_hi:[0,0,1]
	v_pk_fma_f32 v[38:39], v[40:41], v[38:39], v[98:99] op_sel:[1,0,0] op_sel_hi:[0,1,1]
	v_mov_b32_e32 v39, v101
	s_delay_alu instid0(VALU_DEP_1)
	v_pk_add_f32 v[36:37], v[36:37], v[38:39]
.LBB156_152:                            ;   in Loop: Header=BB156_3 Depth=1
	s_or_b32 exec_lo, exec_lo, s12
	s_delay_alu instid0(VALU_DEP_1) | instskip(NEXT) | instid1(VALU_DEP_1)
	v_pk_add_f32 v[38:39], v[36:37], 0 neg_lo:[1,1] neg_hi:[1,1]
	v_dual_mov_b32 v36, v39 :: v_dual_mov_b32 v37, v38
.LBB156_153:                            ;   in Loop: Header=BB156_3 Depth=1
	s_or_b32 exec_lo, exec_lo, s10
	s_and_saveexec_b32 s10, s101
	s_cbranch_execz .LBB156_155
; %bb.154:                              ;   in Loop: Header=BB156_3 Depth=1
	ds_load_b64 v[38:39], v5 offset:4160
	v_dual_mov_b32 v40, v37 :: v_dual_mov_b32 v41, v36
	s_wait_dscnt 0x0
	s_delay_alu instid0(VALU_DEP_1) | instskip(NEXT) | instid1(VALU_DEP_1)
	v_dual_mul_f32 v42, v40, v38 :: v_dual_mul_f32 v98, v37, v39
	v_pk_fma_f32 v[40:41], v[40:41], v[38:39], v[42:43] op_sel_hi:[1,1,0]
	s_delay_alu instid0(VALU_DEP_2) | instskip(NEXT) | instid1(VALU_DEP_2)
	v_pk_fma_f32 v[36:37], v[36:37], v[38:39], v[98:99] op_sel_hi:[1,1,0] neg_lo:[0,0,1] neg_hi:[0,0,1]
	v_mov_b32_e32 v37, v41
	ds_store_b64 v60, v[36:37]
.LBB156_155:                            ;   in Loop: Header=BB156_3 Depth=1
	s_or_b32 exec_lo, exec_lo, s10
	s_wait_dscnt 0x0
	s_barrier_signal -1
	s_barrier_wait -1
	s_and_saveexec_b32 s10, s102
	s_cbranch_execz .LBB156_157
; %bb.156:                              ;   in Loop: Header=BB156_3 Depth=1
	ds_load_b64 v[38:39], v59 offset:4160
	ds_load_b64 v[40:41], v60
	s_wait_dscnt 0x0
	v_dual_mul_f32 v42, v41, v39 :: v_dual_mul_f32 v99, v40, v39
	s_delay_alu instid0(VALU_DEP_1) | instskip(NEXT) | instid1(VALU_DEP_1)
	v_dual_fma_f32 v98, v40, v38, -v42 :: v_dual_fmac_f32 v99, v41, v38
	v_pk_add_f32 v[36:37], v[36:37], v[98:99]
.LBB156_157:                            ;   in Loop: Header=BB156_3 Depth=1
	s_or_b32 exec_lo, exec_lo, s10
	s_barrier_signal -1
	s_barrier_wait -1
	s_and_saveexec_b32 s10, s103
	s_cbranch_execz .LBB156_159
; %bb.158:                              ;   in Loop: Header=BB156_3 Depth=1
	ds_load_b64 v[38:39], v5 offset:4680
	s_wait_dscnt 0x0
	v_pk_mul_f32 v[40:41], v[36:37], v[38:39] op_sel:[1,1] op_sel_hi:[1,0]
	s_delay_alu instid0(VALU_DEP_1) | instskip(SKIP_1) | instid1(VALU_DEP_2)
	v_pk_fma_f32 v[98:99], v[36:37], v[38:39], v[40:41] op_sel_hi:[0,1,1]
	v_pk_fma_f32 v[36:37], v[36:37], v[38:39], v[40:41] op_sel_hi:[0,1,1] neg_lo:[0,0,1] neg_hi:[0,0,1]
	v_mov_b32_e32 v37, v99
	ds_store_b64 v60, v[36:37]
.LBB156_159:                            ;   in Loop: Header=BB156_3 Depth=1
	s_or_b32 exec_lo, exec_lo, s10
	s_wait_dscnt 0x0
	s_barrier_signal -1
	s_barrier_wait -1
	s_and_saveexec_b32 s10, s104
	s_cbranch_execz .LBB156_161
; %bb.160:                              ;   in Loop: Header=BB156_3 Depth=1
	ds_load_b64 v[38:39], v59 offset:4672
	ds_load_b64 v[40:41], v60
	s_wait_dscnt 0x0
	v_pk_mul_f32 v[98:99], v[40:41], v[38:39] op_sel:[1,1] op_sel_hi:[0,1]
	s_delay_alu instid0(VALU_DEP_1) | instskip(SKIP_1) | instid1(VALU_DEP_2)
	v_pk_fma_f32 v[100:101], v[40:41], v[38:39], v[98:99] op_sel_hi:[1,0,1]
	v_pk_fma_f32 v[38:39], v[40:41], v[38:39], v[98:99] op_sel_hi:[1,0,1] neg_lo:[0,0,1] neg_hi:[0,0,1]
	v_mov_b32_e32 v39, v101
	s_delay_alu instid0(VALU_DEP_1)
	v_pk_add_f32 v[36:37], v[36:37], v[38:39]
.LBB156_161:                            ;   in Loop: Header=BB156_3 Depth=1
	s_or_b32 exec_lo, exec_lo, s10
	s_barrier_signal -1
	s_barrier_wait -1
	s_and_saveexec_b32 s10, vcc_hi
	s_cbranch_execz .LBB156_163
; %bb.162:                              ;   in Loop: Header=BB156_3 Depth=1
	ds_load_b64 v[38:39], v5 offset:5200
	s_wait_dscnt 0x0
	v_pk_mul_f32 v[40:41], v[36:37], v[38:39] op_sel:[1,1] op_sel_hi:[1,0]
	s_delay_alu instid0(VALU_DEP_1) | instskip(SKIP_1) | instid1(VALU_DEP_2)
	v_pk_fma_f32 v[98:99], v[36:37], v[38:39], v[40:41] op_sel_hi:[0,1,1]
	v_pk_fma_f32 v[36:37], v[36:37], v[38:39], v[40:41] op_sel_hi:[0,1,1] neg_lo:[0,0,1] neg_hi:[0,0,1]
	v_mov_b32_e32 v37, v99
	ds_store_b64 v60, v[36:37]
.LBB156_163:                            ;   in Loop: Header=BB156_3 Depth=1
	s_or_b32 exec_lo, exec_lo, s10
	s_wait_dscnt 0x0
	s_barrier_signal -1
	s_barrier_wait -1
	s_and_saveexec_b32 s10, s38
	s_cbranch_execz .LBB156_165
; %bb.164:                              ;   in Loop: Header=BB156_3 Depth=1
	ds_load_b64 v[38:39], v59 offset:5184
	ds_load_b64 v[40:41], v60
	s_wait_dscnt 0x0
	v_pk_mul_f32 v[98:99], v[40:41], v[38:39] op_sel:[1,1] op_sel_hi:[0,1]
	s_delay_alu instid0(VALU_DEP_1) | instskip(SKIP_1) | instid1(VALU_DEP_2)
	v_pk_fma_f32 v[100:101], v[40:41], v[38:39], v[98:99] op_sel_hi:[1,0,1]
	v_pk_fma_f32 v[38:39], v[40:41], v[38:39], v[98:99] op_sel_hi:[1,0,1] neg_lo:[0,0,1] neg_hi:[0,0,1]
	v_mov_b32_e32 v39, v101
	s_delay_alu instid0(VALU_DEP_1)
	v_pk_add_f32 v[36:37], v[36:37], v[38:39]
.LBB156_165:                            ;   in Loop: Header=BB156_3 Depth=1
	s_or_b32 exec_lo, exec_lo, s10
	s_barrier_signal -1
	s_barrier_wait -1
	s_and_saveexec_b32 s10, s39
	s_cbranch_execz .LBB156_167
; %bb.166:                              ;   in Loop: Header=BB156_3 Depth=1
	ds_load_b64 v[38:39], v5 offset:5720
	s_wait_dscnt 0x0
	v_pk_mul_f32 v[40:41], v[36:37], v[38:39] op_sel:[1,1] op_sel_hi:[1,0]
	s_delay_alu instid0(VALU_DEP_1) | instskip(SKIP_1) | instid1(VALU_DEP_2)
	v_pk_fma_f32 v[98:99], v[36:37], v[38:39], v[40:41] op_sel_hi:[0,1,1]
	v_pk_fma_f32 v[36:37], v[36:37], v[38:39], v[40:41] op_sel_hi:[0,1,1] neg_lo:[0,0,1] neg_hi:[0,0,1]
	v_mov_b32_e32 v37, v99
	ds_store_b64 v60, v[36:37]
.LBB156_167:                            ;   in Loop: Header=BB156_3 Depth=1
	s_or_b32 exec_lo, exec_lo, s10
	s_wait_dscnt 0x0
	s_barrier_signal -1
	s_barrier_wait -1
	s_and_saveexec_b32 s10, s40
	s_cbranch_execz .LBB156_169
; %bb.168:                              ;   in Loop: Header=BB156_3 Depth=1
	ds_load_b64 v[38:39], v59 offset:5696
	ds_load_b64 v[40:41], v60
	s_wait_dscnt 0x0
	v_pk_mul_f32 v[98:99], v[40:41], v[38:39] op_sel:[1,1] op_sel_hi:[0,1]
	s_delay_alu instid0(VALU_DEP_1) | instskip(SKIP_1) | instid1(VALU_DEP_2)
	v_pk_fma_f32 v[100:101], v[40:41], v[38:39], v[98:99] op_sel_hi:[1,0,1]
	v_pk_fma_f32 v[38:39], v[40:41], v[38:39], v[98:99] op_sel_hi:[1,0,1] neg_lo:[0,0,1] neg_hi:[0,0,1]
	v_mov_b32_e32 v39, v101
	s_delay_alu instid0(VALU_DEP_1)
	v_pk_add_f32 v[36:37], v[36:37], v[38:39]
.LBB156_169:                            ;   in Loop: Header=BB156_3 Depth=1
	s_or_b32 exec_lo, exec_lo, s10
	s_barrier_signal -1
	s_barrier_wait -1
	s_and_saveexec_b32 s10, s41
	s_cbranch_execz .LBB156_171
; %bb.170:                              ;   in Loop: Header=BB156_3 Depth=1
	ds_load_b64 v[38:39], v5 offset:6240
	s_wait_dscnt 0x0
	v_dual_mul_f32 v40, v36, v39 :: v_dual_mul_f32 v42, v37, v39
	s_delay_alu instid0(VALU_DEP_1) | instskip(NEXT) | instid1(VALU_DEP_2)
	v_pk_fma_f32 v[40:41], v[36:37], v[38:39], v[40:41] op_sel:[0,1,0] op_sel_hi:[1,0,0]
	v_pk_fma_f32 v[38:39], v[36:37], v[38:39], v[42:43] op_sel_hi:[1,1,0] neg_lo:[0,0,1] neg_hi:[0,0,1]
	s_delay_alu instid0(VALU_DEP_2) | instskip(NEXT) | instid1(VALU_DEP_1)
	v_mov_b32_e32 v39, v41
	v_mov_b64_e32 v[36:37], v[38:39]
	ds_store_b64 v60, v[38:39]
.LBB156_171:                            ;   in Loop: Header=BB156_3 Depth=1
	s_or_b32 exec_lo, exec_lo, s10
	s_wait_dscnt 0x0
	s_barrier_signal -1
	s_barrier_wait -1
	s_and_saveexec_b32 s10, s42
	s_cbranch_execz .LBB156_173
; %bb.172:                              ;   in Loop: Header=BB156_3 Depth=1
	ds_load_b64 v[38:39], v59 offset:6208
	ds_load_b64 v[40:41], v60
	s_wait_dscnt 0x0
	v_dual_mul_f32 v42, v41, v39 :: v_dual_mul_f32 v99, v40, v39
	s_delay_alu instid0(VALU_DEP_1) | instskip(NEXT) | instid1(VALU_DEP_1)
	v_dual_fma_f32 v98, v40, v38, -v42 :: v_dual_fmac_f32 v99, v41, v38
	v_pk_add_f32 v[36:37], v[36:37], v[98:99]
.LBB156_173:                            ;   in Loop: Header=BB156_3 Depth=1
	s_or_b32 exec_lo, exec_lo, s10
	s_barrier_signal -1
	s_barrier_wait -1
	s_and_saveexec_b32 s10, s43
	s_cbranch_execz .LBB156_175
; %bb.174:                              ;   in Loop: Header=BB156_3 Depth=1
	ds_load_b64 v[38:39], v5 offset:6760
	s_wait_dscnt 0x0
	v_pk_mul_f32 v[40:41], v[36:37], v[38:39] op_sel:[1,1] op_sel_hi:[1,0]
	s_delay_alu instid0(VALU_DEP_1) | instskip(SKIP_1) | instid1(VALU_DEP_2)
	v_pk_fma_f32 v[98:99], v[36:37], v[38:39], v[40:41] op_sel_hi:[0,1,1]
	v_pk_fma_f32 v[38:39], v[36:37], v[38:39], v[40:41] neg_lo:[0,0,1] neg_hi:[0,0,1]
	v_mov_b32_e32 v39, v99
	s_delay_alu instid0(VALU_DEP_1)
	v_mov_b64_e32 v[36:37], v[38:39]
	ds_store_b64 v60, v[38:39]
.LBB156_175:                            ;   in Loop: Header=BB156_3 Depth=1
	s_or_b32 exec_lo, exec_lo, s10
	s_wait_dscnt 0x0
	s_barrier_signal -1
	s_barrier_wait -1
	s_and_saveexec_b32 s10, s44
	s_cbranch_execz .LBB156_177
; %bb.176:                              ;   in Loop: Header=BB156_3 Depth=1
	ds_load_b64 v[38:39], v59 offset:6720
	ds_load_b64 v[40:41], v60
	s_wait_dscnt 0x0
	v_pk_mul_f32 v[98:99], v[40:41], v[38:39] op_sel:[1,1] op_sel_hi:[0,1]
	s_delay_alu instid0(VALU_DEP_1) | instskip(SKIP_1) | instid1(VALU_DEP_2)
	v_pk_fma_f32 v[100:101], v[40:41], v[38:39], v[98:99] op_sel_hi:[1,0,1]
	v_pk_fma_f32 v[38:39], v[40:41], v[38:39], v[98:99] neg_lo:[0,0,1] neg_hi:[0,0,1]
	v_mov_b32_e32 v39, v101
	s_delay_alu instid0(VALU_DEP_1)
	v_pk_add_f32 v[36:37], v[36:37], v[38:39]
.LBB156_177:                            ;   in Loop: Header=BB156_3 Depth=1
	s_or_b32 exec_lo, exec_lo, s10
	s_barrier_signal -1
	s_barrier_wait -1
	s_and_saveexec_b32 s10, s45
	s_cbranch_execz .LBB156_179
; %bb.178:                              ;   in Loop: Header=BB156_3 Depth=1
	ds_load_b64 v[38:39], v5 offset:7280
	s_wait_dscnt 0x0
	v_pk_mul_f32 v[40:41], v[36:37], v[38:39] op_sel:[1,1] op_sel_hi:[1,0]
	s_delay_alu instid0(VALU_DEP_1) | instskip(SKIP_1) | instid1(VALU_DEP_2)
	v_pk_fma_f32 v[98:99], v[36:37], v[38:39], v[40:41] op_sel_hi:[0,1,1]
	v_pk_fma_f32 v[38:39], v[36:37], v[38:39], v[40:41] neg_lo:[0,0,1] neg_hi:[0,0,1]
	v_mov_b32_e32 v39, v99
	s_delay_alu instid0(VALU_DEP_1)
	v_mov_b64_e32 v[36:37], v[38:39]
	ds_store_b64 v60, v[38:39]
.LBB156_179:                            ;   in Loop: Header=BB156_3 Depth=1
	s_or_b32 exec_lo, exec_lo, s10
	s_wait_dscnt 0x0
	s_barrier_signal -1
	s_barrier_wait -1
	s_and_saveexec_b32 s10, s46
	s_cbranch_execz .LBB156_181
; %bb.180:                              ;   in Loop: Header=BB156_3 Depth=1
	ds_load_b64 v[38:39], v5 offset:7288
	ds_load_b64 v[40:41], v60
	s_wait_dscnt 0x0
	v_pk_mul_f32 v[98:99], v[40:41], v[38:39] op_sel:[1,1] op_sel_hi:[0,1]
	s_delay_alu instid0(VALU_DEP_1) | instskip(SKIP_1) | instid1(VALU_DEP_2)
	v_pk_fma_f32 v[100:101], v[40:41], v[38:39], v[98:99] op_sel_hi:[1,0,1]
	v_pk_fma_f32 v[38:39], v[40:41], v[38:39], v[98:99] neg_lo:[0,0,1] neg_hi:[0,0,1]
	v_mov_b32_e32 v39, v101
	s_delay_alu instid0(VALU_DEP_1)
	v_pk_add_f32 v[36:37], v[36:37], v[38:39]
.LBB156_181:                            ;   in Loop: Header=BB156_3 Depth=1
	s_or_b32 exec_lo, exec_lo, s10
	s_barrier_signal -1
	s_barrier_wait -1
	s_and_saveexec_b32 s10, s46
	s_cbranch_execz .LBB156_183
; %bb.182:                              ;   in Loop: Header=BB156_3 Depth=1
	ds_load_b64 v[38:39], v5 offset:7800
	s_wait_dscnt 0x0
	v_pk_mul_f32 v[40:41], v[36:37], v[38:39] op_sel:[1,1] op_sel_hi:[1,0]
	s_delay_alu instid0(VALU_DEP_1) | instskip(SKIP_1) | instid1(VALU_DEP_2)
	v_pk_fma_f32 v[98:99], v[36:37], v[38:39], v[40:41] op_sel_hi:[0,1,1]
	v_pk_fma_f32 v[38:39], v[36:37], v[38:39], v[40:41] neg_lo:[0,0,1] neg_hi:[0,0,1]
	v_mov_b32_e32 v39, v99
	s_delay_alu instid0(VALU_DEP_1)
	v_mov_b64_e32 v[36:37], v[38:39]
	ds_store_b64 v60, v[38:39]
.LBB156_183:                            ;   in Loop: Header=BB156_3 Depth=1
	s_or_b32 exec_lo, exec_lo, s10
	s_wait_dscnt 0x0
	s_barrier_signal -1
	s_barrier_wait -1
	s_barrier_signal -1
	s_barrier_wait -1
	s_and_saveexec_b32 s10, s4
; %bb.184:                              ;   in Loop: Header=BB156_3 Depth=1
	v_pk_add_f32 v[36:37], v[36:37], 0 neg_lo:[1,1] neg_hi:[1,1]
	ds_store_b64 v61, v[36:37] offset:64
; %bb.185:                              ;   in Loop: Header=BB156_3 Depth=1
	s_or_b32 exec_lo, exec_lo, s10
	s_wait_dscnt 0x0
	s_barrier_signal -1
	s_barrier_wait -1
	s_barrier_signal -1
	s_barrier_wait -1
	s_and_saveexec_b32 s10, s47
	s_cbranch_execz .LBB156_187
; %bb.186:                              ;   in Loop: Header=BB156_3 Depth=1
	ds_load_b64 v[36:37], v72 offset:64
	s_wait_dscnt 0x0
	ds_store_b64 v73, v[36:37] offset:4096
	ds_load_b64 v[36:37], v72 offset:72
	s_wait_dscnt 0x0
	ds_store_b64 v73, v[36:37] offset:4608
	;; [unrolled: 3-line block ×8, first 2 shown]
.LBB156_187:                            ;   in Loop: Header=BB156_3 Depth=1
	s_or_b32 exec_lo, exec_lo, s10
	s_wait_dscnt 0x0
	s_barrier_signal -1
	s_barrier_wait -1
	s_and_saveexec_b32 s10, s14
	s_cbranch_execz .LBB156_189
; %bb.188:                              ;   in Loop: Header=BB156_3 Depth=1
	ds_load_b128 v[36:39], v5 offset:4160
	ds_load_b64 v[40:41], v5 offset:4680
	s_wait_dscnt 0x1
	v_dual_mov_b32 v98, v39 :: v_dual_mov_b32 v99, v38
	s_wait_dscnt 0x0
	v_dual_mul_f32 v97, v41, v37 :: v_dual_mul_f32 v42, v40, v37
	s_delay_alu instid0(VALU_DEP_1) | instskip(NEXT) | instid1(VALU_DEP_1)
	v_xor_b32_e32 v100, 0x80000000, v97
	v_dual_fmac_f32 v42, v41, v36 :: v_dual_fmac_f32 v100, v40, v36
	s_delay_alu instid0(VALU_DEP_1) | instskip(NEXT) | instid1(VALU_DEP_1)
	v_pk_mul_f32 v[36:37], v[42:43], v[98:99] op_sel_hi:[0,1]
	v_pk_fma_f32 v[40:41], v[100:101], v[38:39], v[36:37] op_sel_hi:[0,1,1]
	v_pk_fma_f32 v[36:37], v[100:101], v[38:39], v[36:37] neg_lo:[0,0,1] neg_hi:[0,0,1]
	v_add_nc_u32_e64 v38, 0x1000, 0
	s_delay_alu instid0(VALU_DEP_3)
	v_mov_b32_e32 v37, v41
	ds_store_2addr_b64 v38, v[36:37], v[36:37] offset0:9 offset1:72
.LBB156_189:                            ;   in Loop: Header=BB156_3 Depth=1
	s_or_b32 exec_lo, exec_lo, s10
	v_mov_b32_e32 v37, 0
	s_wait_dscnt 0x0
	s_barrier_signal -1
	s_barrier_wait -1
	s_delay_alu instid0(VALU_DEP_1)
	v_mov_b32_e32 v36, v37
	s_and_saveexec_b32 s10, s1
	s_cbranch_execz .LBB156_193
; %bb.190:                              ;   in Loop: Header=BB156_3 Depth=1
	ds_load_b64 v[36:37], v44 offset:4176
	ds_load_b64 v[38:39], v45 offset:4160
	s_wait_dscnt 0x0
	v_dual_mul_f32 v40, v39, v37 :: v_dual_mul_f32 v41, v38, v37
	s_delay_alu instid0(VALU_DEP_1) | instskip(NEXT) | instid1(VALU_DEP_1)
	v_dual_fma_f32 v40, v38, v36, -v40 :: v_dual_fmac_f32 v41, v39, v36
	v_pk_add_f32 v[36:37], v[40:41], 0 op_sel_hi:[1,0]
	s_and_saveexec_b32 s12, s15
	s_cbranch_execz .LBB156_192
; %bb.191:                              ;   in Loop: Header=BB156_3 Depth=1
	ds_load_b64 v[38:39], v73 offset:4688
	ds_load_b64 v[40:41], v5 offset:4168
	s_wait_dscnt 0x0
	v_pk_mul_f32 v[98:99], v[40:41], v[38:39] op_sel:[1,1] op_sel_hi:[0,1]
	s_delay_alu instid0(VALU_DEP_1) | instskip(SKIP_1) | instid1(VALU_DEP_2)
	v_pk_fma_f32 v[100:101], v[40:41], v[38:39], v[98:99] op_sel_hi:[1,0,1]
	v_pk_fma_f32 v[38:39], v[40:41], v[38:39], v[98:99] neg_lo:[0,0,1] neg_hi:[0,0,1]
	v_mov_b32_e32 v39, v101
	s_delay_alu instid0(VALU_DEP_1)
	v_pk_add_f32 v[36:37], v[36:37], v[38:39]
.LBB156_192:                            ;   in Loop: Header=BB156_3 Depth=1
	s_or_b32 exec_lo, exec_lo, s12
	s_delay_alu instid0(VALU_DEP_1)
	v_pk_add_f32 v[36:37], v[36:37], 0 neg_lo:[1,1] neg_hi:[1,1]
.LBB156_193:                            ;   in Loop: Header=BB156_3 Depth=1
	s_or_b32 exec_lo, exec_lo, s10
	s_and_saveexec_b32 s10, s91
	s_cbranch_execz .LBB156_195
; %bb.194:                              ;   in Loop: Header=BB156_3 Depth=1
	ds_load_b64 v[38:39], v5 offset:5200
	s_wait_dscnt 0x0
	v_pk_mul_f32 v[40:41], v[36:37], v[38:39] op_sel:[1,1] op_sel_hi:[1,0]
	s_delay_alu instid0(VALU_DEP_1) | instskip(SKIP_1) | instid1(VALU_DEP_2)
	v_pk_fma_f32 v[98:99], v[36:37], v[38:39], v[40:41] op_sel_hi:[0,1,1]
	v_pk_fma_f32 v[38:39], v[36:37], v[38:39], v[40:41] neg_lo:[0,0,1] neg_hi:[0,0,1]
	v_mov_b32_e32 v39, v99
	s_delay_alu instid0(VALU_DEP_1)
	v_mov_b64_e32 v[36:37], v[38:39]
	ds_store_b64 v3, v[38:39]
.LBB156_195:                            ;   in Loop: Header=BB156_3 Depth=1
	s_or_b32 exec_lo, exec_lo, s10
	s_wait_dscnt 0x0
	s_barrier_signal -1
	s_barrier_wait -1
	s_and_saveexec_b32 s10, s92
	s_cbranch_execz .LBB156_197
; %bb.196:                              ;   in Loop: Header=BB156_3 Depth=1
	ds_load_b64 v[38:39], v5 offset:5208
	ds_load_b64 v[40:41], v3
	s_wait_dscnt 0x0
	v_pk_mul_f32 v[98:99], v[40:41], v[38:39] op_sel:[1,1] op_sel_hi:[0,1]
	s_delay_alu instid0(VALU_DEP_1) | instskip(SKIP_1) | instid1(VALU_DEP_2)
	v_pk_fma_f32 v[100:101], v[40:41], v[38:39], v[98:99] op_sel_hi:[1,0,1]
	v_pk_fma_f32 v[38:39], v[40:41], v[38:39], v[98:99] neg_lo:[0,0,1] neg_hi:[0,0,1]
	v_mov_b32_e32 v39, v101
	s_delay_alu instid0(VALU_DEP_1)
	v_pk_add_f32 v[36:37], v[36:37], v[38:39]
.LBB156_197:                            ;   in Loop: Header=BB156_3 Depth=1
	s_or_b32 exec_lo, exec_lo, s10
	s_barrier_signal -1
	s_barrier_wait -1
	s_and_saveexec_b32 s10, s92
	s_cbranch_execz .LBB156_199
; %bb.198:                              ;   in Loop: Header=BB156_3 Depth=1
	ds_load_b64 v[38:39], v5 offset:5720
	s_wait_dscnt 0x0
	v_pk_mul_f32 v[40:41], v[36:37], v[38:39] op_sel:[1,1] op_sel_hi:[1,0]
	s_delay_alu instid0(VALU_DEP_1) | instskip(SKIP_1) | instid1(VALU_DEP_2)
	v_pk_fma_f32 v[98:99], v[36:37], v[38:39], v[40:41] op_sel_hi:[0,1,1]
	v_pk_fma_f32 v[38:39], v[36:37], v[38:39], v[40:41] neg_lo:[0,0,1] neg_hi:[0,0,1]
	v_mov_b32_e32 v39, v99
	s_delay_alu instid0(VALU_DEP_1)
	v_mov_b64_e32 v[36:37], v[38:39]
	ds_store_b64 v3, v[38:39]
.LBB156_199:                            ;   in Loop: Header=BB156_3 Depth=1
	s_or_b32 exec_lo, exec_lo, s10
	s_wait_dscnt 0x0
	s_barrier_signal -1
	s_barrier_wait -1
	s_barrier_signal -1
	s_barrier_wait -1
	s_and_saveexec_b32 s10, s1
; %bb.200:                              ;   in Loop: Header=BB156_3 Depth=1
	v_pk_add_f32 v[36:37], v[36:37], 0 neg_lo:[1,1] neg_hi:[1,1]
	ds_store_b64 v44, v[36:37] offset:4176
; %bb.201:                              ;   in Loop: Header=BB156_3 Depth=1
	s_or_b32 exec_lo, exec_lo, s10
	s_wait_dscnt 0x0
	s_barrier_signal -1
	s_barrier_wait -1
	s_barrier_signal -1
	s_barrier_wait -1
	s_and_saveexec_b32 s10, s93
	s_cbranch_execz .LBB156_203
; %bb.202:                              ;   in Loop: Header=BB156_3 Depth=1
	ds_load_b64 v[36:37], v74 offset:4176
	s_wait_dscnt 0x0
	ds_store_b64 v73, v[36:37] offset:5184
	ds_load_b64 v[36:37], v74 offset:4184
	s_wait_dscnt 0x0
	ds_store_b64 v73, v[36:37] offset:5696
.LBB156_203:                            ;   in Loop: Header=BB156_3 Depth=1
	s_or_b32 exec_lo, exec_lo, s10
	s_wait_dscnt 0x0
	s_barrier_signal -1
	s_barrier_wait -1
	s_and_saveexec_b32 s10, s14
	s_cbranch_execz .LBB156_205
; %bb.204:                              ;   in Loop: Header=BB156_3 Depth=1
	ds_load_b128 v[36:39], v5 offset:5200
	ds_load_b64 v[40:41], v5 offset:5720
	s_wait_dscnt 0x1
	v_dual_mov_b32 v98, v39 :: v_dual_mov_b32 v99, v38
	s_wait_dscnt 0x0
	v_dual_mul_f32 v97, v41, v37 :: v_dual_mul_f32 v42, v40, v37
	s_delay_alu instid0(VALU_DEP_1) | instskip(NEXT) | instid1(VALU_DEP_1)
	v_xor_b32_e32 v100, 0x80000000, v97
	v_dual_fmac_f32 v42, v41, v36 :: v_dual_fmac_f32 v100, v40, v36
	s_delay_alu instid0(VALU_DEP_1) | instskip(NEXT) | instid1(VALU_DEP_1)
	v_pk_mul_f32 v[36:37], v[42:43], v[98:99] op_sel_hi:[0,1]
	v_pk_fma_f32 v[40:41], v[100:101], v[38:39], v[36:37] op_sel_hi:[0,1,1]
	v_pk_fma_f32 v[36:37], v[100:101], v[38:39], v[36:37] neg_lo:[0,0,1] neg_hi:[0,0,1]
	v_add_nc_u32_e64 v38, 0x1000, 0
	s_delay_alu instid0(VALU_DEP_3)
	v_mov_b32_e32 v37, v41
	ds_store_2addr_b64 v38, v[36:37], v[36:37] offset0:139 offset1:202
.LBB156_205:                            ;   in Loop: Header=BB156_3 Depth=1
	s_or_b32 exec_lo, exec_lo, s10
	v_mov_b32_e32 v36, 0
	s_wait_dscnt 0x0
	s_barrier_signal -1
	s_barrier_wait -1
	s_delay_alu instid0(VALU_DEP_1)
	v_mov_b32_e32 v37, v36
	s_and_saveexec_b32 s10, s3
	s_cbranch_execz .LBB156_211
; %bb.206:                              ;   in Loop: Header=BB156_3 Depth=1
	ds_load_b64 v[36:37], v51 offset:4192
	ds_load_b64 v[38:39], v47 offset:4160
	s_wait_dscnt 0x0
	v_pk_mul_f32 v[40:41], v[38:39], v[36:37] op_sel:[0,1]
	s_delay_alu instid0(VALU_DEP_1) | instskip(SKIP_1) | instid1(VALU_DEP_2)
	v_pk_fma_f32 v[98:99], v[38:39], v[36:37], v[40:41] op_sel:[1,0,0] op_sel_hi:[0,0,1] neg_lo:[0,0,1] neg_hi:[0,0,1]
	v_pk_fma_f32 v[36:37], v[38:39], v[36:37], v[40:41] op_sel:[1,0,0] op_sel_hi:[0,1,1]
	v_mov_b32_e32 v37, v99
	s_delay_alu instid0(VALU_DEP_1)
	v_pk_add_f32 v[36:37], v[36:37], 0 op_sel_hi:[1,0]
	s_and_saveexec_b32 s12, s16
	s_cbranch_execnz .LBB156_1132
; %bb.207:                              ;   in Loop: Header=BB156_3 Depth=1
	s_or_b32 exec_lo, exec_lo, s12
	s_and_saveexec_b32 s12, s17
	s_cbranch_execnz .LBB156_1133
.LBB156_208:                            ;   in Loop: Header=BB156_3 Depth=1
	s_or_b32 exec_lo, exec_lo, s12
	s_and_saveexec_b32 s12, s1
	s_cbranch_execz .LBB156_210
.LBB156_209:                            ;   in Loop: Header=BB156_3 Depth=1
	ds_load_b64 v[38:39], v75 offset:5728
	ds_load_b64 v[40:41], v5 offset:4184
	s_wait_dscnt 0x0
	v_pk_mul_f32 v[98:99], v[40:41], v[38:39] op_sel:[0,1]
	s_delay_alu instid0(VALU_DEP_1) | instskip(SKIP_1) | instid1(VALU_DEP_2)
	v_pk_fma_f32 v[100:101], v[40:41], v[38:39], v[98:99] op_sel:[1,0,0] op_sel_hi:[0,0,1] neg_lo:[0,0,1] neg_hi:[0,0,1]
	v_pk_fma_f32 v[38:39], v[40:41], v[38:39], v[98:99] op_sel:[1,0,0] op_sel_hi:[0,1,1]
	v_mov_b32_e32 v39, v101
	s_delay_alu instid0(VALU_DEP_1)
	v_pk_add_f32 v[36:37], v[36:37], v[38:39]
.LBB156_210:                            ;   in Loop: Header=BB156_3 Depth=1
	s_or_b32 exec_lo, exec_lo, s12
	s_delay_alu instid0(VALU_DEP_1) | instskip(NEXT) | instid1(VALU_DEP_1)
	v_pk_add_f32 v[38:39], v[36:37], 0 neg_lo:[1,1] neg_hi:[1,1]
	v_dual_mov_b32 v36, v39 :: v_dual_mov_b32 v37, v38
.LBB156_211:                            ;   in Loop: Header=BB156_3 Depth=1
	s_or_b32 exec_lo, exec_lo, s10
	s_and_saveexec_b32 s10, s94
	s_cbranch_execz .LBB156_213
; %bb.212:                              ;   in Loop: Header=BB156_3 Depth=1
	ds_load_b64 v[38:39], v5 offset:6240
	v_dual_mov_b32 v40, v37 :: v_dual_mov_b32 v41, v36
	s_wait_dscnt 0x0
	s_delay_alu instid0(VALU_DEP_1) | instskip(NEXT) | instid1(VALU_DEP_1)
	v_dual_mul_f32 v42, v40, v38 :: v_dual_mul_f32 v98, v37, v39
	v_pk_fma_f32 v[40:41], v[40:41], v[38:39], v[42:43] op_sel_hi:[1,1,0]
	s_delay_alu instid0(VALU_DEP_2) | instskip(NEXT) | instid1(VALU_DEP_2)
	v_pk_fma_f32 v[36:37], v[36:37], v[38:39], v[98:99] op_sel_hi:[1,1,0] neg_lo:[0,0,1] neg_hi:[0,0,1]
	v_mov_b32_e32 v37, v41
	ds_store_b64 v50, v[36:37]
.LBB156_213:                            ;   in Loop: Header=BB156_3 Depth=1
	s_or_b32 exec_lo, exec_lo, s10
	s_wait_dscnt 0x0
	s_barrier_signal -1
	s_barrier_wait -1
	s_and_saveexec_b32 s10, s95
	s_cbranch_execz .LBB156_215
; %bb.214:                              ;   in Loop: Header=BB156_3 Depth=1
	ds_load_b64 v[38:39], v48 offset:6240
	ds_load_b64 v[40:41], v50
	s_wait_dscnt 0x0
	v_dual_mul_f32 v42, v41, v39 :: v_dual_mul_f32 v99, v40, v39
	s_delay_alu instid0(VALU_DEP_1) | instskip(NEXT) | instid1(VALU_DEP_1)
	v_dual_fma_f32 v98, v40, v38, -v42 :: v_dual_fmac_f32 v99, v41, v38
	v_pk_add_f32 v[36:37], v[36:37], v[98:99]
.LBB156_215:                            ;   in Loop: Header=BB156_3 Depth=1
	s_or_b32 exec_lo, exec_lo, s10
	s_barrier_signal -1
	s_barrier_wait -1
	s_and_saveexec_b32 s10, s96
	s_cbranch_execz .LBB156_217
; %bb.216:                              ;   in Loop: Header=BB156_3 Depth=1
	ds_load_b64 v[38:39], v5 offset:6760
	s_wait_dscnt 0x0
	v_pk_mul_f32 v[40:41], v[36:37], v[38:39] op_sel:[1,1] op_sel_hi:[1,0]
	s_delay_alu instid0(VALU_DEP_1) | instskip(SKIP_1) | instid1(VALU_DEP_2)
	v_pk_fma_f32 v[98:99], v[36:37], v[38:39], v[40:41] op_sel_hi:[0,1,1]
	v_pk_fma_f32 v[38:39], v[36:37], v[38:39], v[40:41] neg_lo:[0,0,1] neg_hi:[0,0,1]
	v_mov_b32_e32 v39, v99
	s_delay_alu instid0(VALU_DEP_1)
	v_mov_b64_e32 v[36:37], v[38:39]
	ds_store_b64 v50, v[38:39]
.LBB156_217:                            ;   in Loop: Header=BB156_3 Depth=1
	s_or_b32 exec_lo, exec_lo, s10
	s_wait_dscnt 0x0
	s_barrier_signal -1
	s_barrier_wait -1
	s_and_saveexec_b32 s10, s97
	s_cbranch_execz .LBB156_219
; %bb.218:                              ;   in Loop: Header=BB156_3 Depth=1
	ds_load_b64 v[38:39], v48 offset:6752
	ds_load_b64 v[40:41], v50
	s_wait_dscnt 0x0
	v_pk_mul_f32 v[98:99], v[40:41], v[38:39] op_sel:[1,1] op_sel_hi:[0,1]
	s_delay_alu instid0(VALU_DEP_1) | instskip(SKIP_1) | instid1(VALU_DEP_2)
	v_pk_fma_f32 v[100:101], v[40:41], v[38:39], v[98:99] op_sel_hi:[1,0,1]
	v_pk_fma_f32 v[38:39], v[40:41], v[38:39], v[98:99] neg_lo:[0,0,1] neg_hi:[0,0,1]
	v_mov_b32_e32 v39, v101
	s_delay_alu instid0(VALU_DEP_1)
	v_pk_add_f32 v[36:37], v[36:37], v[38:39]
.LBB156_219:                            ;   in Loop: Header=BB156_3 Depth=1
	s_or_b32 exec_lo, exec_lo, s10
	s_barrier_signal -1
	s_barrier_wait -1
	s_and_saveexec_b32 s10, s98
	s_cbranch_execz .LBB156_221
; %bb.220:                              ;   in Loop: Header=BB156_3 Depth=1
	ds_load_b64 v[38:39], v5 offset:7280
	s_wait_dscnt 0x0
	v_pk_mul_f32 v[40:41], v[36:37], v[38:39] op_sel:[1,1] op_sel_hi:[1,0]
	s_delay_alu instid0(VALU_DEP_1) | instskip(SKIP_1) | instid1(VALU_DEP_2)
	v_pk_fma_f32 v[98:99], v[36:37], v[38:39], v[40:41] op_sel_hi:[0,1,1]
	v_pk_fma_f32 v[38:39], v[36:37], v[38:39], v[40:41] neg_lo:[0,0,1] neg_hi:[0,0,1]
	v_mov_b32_e32 v39, v99
	s_delay_alu instid0(VALU_DEP_1)
	v_mov_b64_e32 v[36:37], v[38:39]
	ds_store_b64 v50, v[38:39]
.LBB156_221:                            ;   in Loop: Header=BB156_3 Depth=1
	s_or_b32 exec_lo, exec_lo, s10
	s_wait_dscnt 0x0
	s_barrier_signal -1
	s_barrier_wait -1
	s_and_saveexec_b32 s10, s99
	s_cbranch_execz .LBB156_223
; %bb.222:                              ;   in Loop: Header=BB156_3 Depth=1
	ds_load_b64 v[38:39], v5 offset:7288
	ds_load_b64 v[40:41], v50
	s_wait_dscnt 0x0
	v_pk_mul_f32 v[98:99], v[40:41], v[38:39] op_sel:[1,1] op_sel_hi:[0,1]
	s_delay_alu instid0(VALU_DEP_1) | instskip(SKIP_1) | instid1(VALU_DEP_2)
	v_pk_fma_f32 v[100:101], v[40:41], v[38:39], v[98:99] op_sel_hi:[1,0,1]
	v_pk_fma_f32 v[38:39], v[40:41], v[38:39], v[98:99] neg_lo:[0,0,1] neg_hi:[0,0,1]
	v_mov_b32_e32 v39, v101
	s_delay_alu instid0(VALU_DEP_1)
	v_pk_add_f32 v[36:37], v[36:37], v[38:39]
.LBB156_223:                            ;   in Loop: Header=BB156_3 Depth=1
	s_or_b32 exec_lo, exec_lo, s10
	s_barrier_signal -1
	s_barrier_wait -1
	s_and_saveexec_b32 s10, s99
	s_cbranch_execz .LBB156_225
; %bb.224:                              ;   in Loop: Header=BB156_3 Depth=1
	ds_load_b64 v[38:39], v5 offset:7800
	s_wait_dscnt 0x0
	v_pk_mul_f32 v[40:41], v[36:37], v[38:39] op_sel:[1,1] op_sel_hi:[1,0]
	s_delay_alu instid0(VALU_DEP_1) | instskip(SKIP_1) | instid1(VALU_DEP_2)
	v_pk_fma_f32 v[98:99], v[36:37], v[38:39], v[40:41] op_sel_hi:[0,1,1]
	v_pk_fma_f32 v[38:39], v[36:37], v[38:39], v[40:41] neg_lo:[0,0,1] neg_hi:[0,0,1]
	v_mov_b32_e32 v39, v99
	s_delay_alu instid0(VALU_DEP_1)
	v_mov_b64_e32 v[36:37], v[38:39]
	ds_store_b64 v50, v[38:39]
.LBB156_225:                            ;   in Loop: Header=BB156_3 Depth=1
	s_or_b32 exec_lo, exec_lo, s10
	s_wait_dscnt 0x0
	s_barrier_signal -1
	s_barrier_wait -1
	s_barrier_signal -1
	s_barrier_wait -1
	s_and_saveexec_b32 s10, s3
; %bb.226:                              ;   in Loop: Header=BB156_3 Depth=1
	v_pk_add_f32 v[36:37], v[36:37], 0 neg_lo:[1,1] neg_hi:[1,1]
	ds_store_b64 v51, v[36:37] offset:4192
; %bb.227:                              ;   in Loop: Header=BB156_3 Depth=1
	s_or_b32 exec_lo, exec_lo, s10
	s_wait_dscnt 0x0
	s_barrier_signal -1
	s_barrier_wait -1
	s_barrier_signal -1
	s_barrier_wait -1
	s_and_saveexec_b32 s10, s100
	s_cbranch_execz .LBB156_229
; %bb.228:                              ;   in Loop: Header=BB156_3 Depth=1
	ds_load_b64 v[36:37], v76 offset:4192
	s_wait_dscnt 0x0
	ds_store_b64 v79, v[36:37] offset:6208
	ds_load_b64 v[36:37], v76 offset:4200
	s_wait_dscnt 0x0
	ds_store_b64 v79, v[36:37] offset:6720
	;; [unrolled: 3-line block ×4, first 2 shown]
.LBB156_229:                            ;   in Loop: Header=BB156_3 Depth=1
	s_or_b32 exec_lo, exec_lo, s10
	s_wait_dscnt 0x0
	s_barrier_signal -1
	s_barrier_wait -1
	s_and_saveexec_b32 s10, s14
	s_cbranch_execz .LBB156_231
; %bb.230:                              ;   in Loop: Header=BB156_3 Depth=1
	ds_load_b128 v[36:39], v5 offset:6240
	ds_load_b64 v[40:41], v5 offset:6760
	s_wait_dscnt 0x1
	v_dual_mov_b32 v98, v39 :: v_dual_mov_b32 v99, v38
	s_wait_dscnt 0x0
	v_dual_mul_f32 v97, v41, v37 :: v_dual_mul_f32 v42, v40, v37
	s_delay_alu instid0(VALU_DEP_1) | instskip(NEXT) | instid1(VALU_DEP_1)
	v_xor_b32_e32 v100, 0x80000000, v97
	v_dual_fmac_f32 v42, v41, v36 :: v_dual_fmac_f32 v100, v40, v36
	s_delay_alu instid0(VALU_DEP_1) | instskip(NEXT) | instid1(VALU_DEP_1)
	v_pk_mul_f32 v[36:37], v[42:43], v[98:99] op_sel_hi:[0,1]
	v_pk_fma_f32 v[40:41], v[100:101], v[38:39], v[36:37] op_sel_hi:[0,1,1]
	v_pk_fma_f32 v[36:37], v[100:101], v[38:39], v[36:37] neg_lo:[0,0,1] neg_hi:[0,0,1]
	v_add_nc_u32_e64 v38, 0x1800, 0
	s_delay_alu instid0(VALU_DEP_3)
	v_mov_b32_e32 v37, v41
	ds_store_2addr_b64 v38, v[36:37], v[36:37] offset0:13 offset1:76
.LBB156_231:                            ;   in Loop: Header=BB156_3 Depth=1
	s_or_b32 exec_lo, exec_lo, s10
	v_mov_b32_e32 v37, 0
	s_wait_dscnt 0x0
	s_barrier_signal -1
	s_barrier_wait -1
	s_delay_alu instid0(VALU_DEP_1)
	v_mov_b32_e32 v36, v37
	s_and_saveexec_b32 s10, s1
	s_cbranch_execz .LBB156_235
; %bb.232:                              ;   in Loop: Header=BB156_3 Depth=1
	ds_load_b64 v[36:37], v44 offset:6256
	ds_load_b64 v[38:39], v45 offset:6240
	s_wait_dscnt 0x0
	v_dual_mul_f32 v40, v39, v37 :: v_dual_mul_f32 v41, v38, v37
	s_delay_alu instid0(VALU_DEP_1) | instskip(NEXT) | instid1(VALU_DEP_1)
	v_dual_fma_f32 v40, v38, v36, -v40 :: v_dual_fmac_f32 v41, v39, v36
	v_pk_add_f32 v[36:37], v[40:41], 0 op_sel_hi:[1,0]
	s_and_saveexec_b32 s12, s15
	s_cbranch_execz .LBB156_234
; %bb.233:                              ;   in Loop: Header=BB156_3 Depth=1
	ds_load_b64 v[38:39], v79 offset:6768
	ds_load_b64 v[40:41], v5 offset:6248
	s_wait_dscnt 0x0
	v_pk_mul_f32 v[98:99], v[40:41], v[38:39] op_sel:[1,1] op_sel_hi:[0,1]
	s_delay_alu instid0(VALU_DEP_1) | instskip(SKIP_1) | instid1(VALU_DEP_2)
	v_pk_fma_f32 v[100:101], v[40:41], v[38:39], v[98:99] op_sel_hi:[1,0,1]
	v_pk_fma_f32 v[38:39], v[40:41], v[38:39], v[98:99] neg_lo:[0,0,1] neg_hi:[0,0,1]
	v_mov_b32_e32 v39, v101
	s_delay_alu instid0(VALU_DEP_1)
	v_pk_add_f32 v[36:37], v[36:37], v[38:39]
.LBB156_234:                            ;   in Loop: Header=BB156_3 Depth=1
	s_or_b32 exec_lo, exec_lo, s12
	s_delay_alu instid0(VALU_DEP_1)
	v_pk_add_f32 v[36:37], v[36:37], 0 neg_lo:[1,1] neg_hi:[1,1]
.LBB156_235:                            ;   in Loop: Header=BB156_3 Depth=1
	s_or_b32 exec_lo, exec_lo, s10
	s_and_saveexec_b32 s10, s91
	s_cbranch_execz .LBB156_237
; %bb.236:                              ;   in Loop: Header=BB156_3 Depth=1
	ds_load_b64 v[38:39], v5 offset:7280
	s_wait_dscnt 0x0
	v_pk_mul_f32 v[40:41], v[36:37], v[38:39] op_sel:[1,1] op_sel_hi:[1,0]
	s_delay_alu instid0(VALU_DEP_1) | instskip(SKIP_1) | instid1(VALU_DEP_2)
	v_pk_fma_f32 v[98:99], v[36:37], v[38:39], v[40:41] op_sel_hi:[0,1,1]
	v_pk_fma_f32 v[38:39], v[36:37], v[38:39], v[40:41] neg_lo:[0,0,1] neg_hi:[0,0,1]
	v_mov_b32_e32 v39, v99
	s_delay_alu instid0(VALU_DEP_1)
	v_mov_b64_e32 v[36:37], v[38:39]
	ds_store_b64 v3, v[38:39]
.LBB156_237:                            ;   in Loop: Header=BB156_3 Depth=1
	s_or_b32 exec_lo, exec_lo, s10
	s_wait_dscnt 0x0
	s_barrier_signal -1
	s_barrier_wait -1
	s_and_saveexec_b32 s10, s92
	s_cbranch_execz .LBB156_239
; %bb.238:                              ;   in Loop: Header=BB156_3 Depth=1
	ds_load_b64 v[38:39], v5 offset:7288
	ds_load_b64 v[40:41], v3
	s_wait_dscnt 0x0
	v_pk_mul_f32 v[98:99], v[40:41], v[38:39] op_sel:[1,1] op_sel_hi:[0,1]
	s_delay_alu instid0(VALU_DEP_1) | instskip(SKIP_1) | instid1(VALU_DEP_2)
	v_pk_fma_f32 v[100:101], v[40:41], v[38:39], v[98:99] op_sel_hi:[1,0,1]
	v_pk_fma_f32 v[38:39], v[40:41], v[38:39], v[98:99] neg_lo:[0,0,1] neg_hi:[0,0,1]
	v_mov_b32_e32 v39, v101
	s_delay_alu instid0(VALU_DEP_1)
	v_pk_add_f32 v[36:37], v[36:37], v[38:39]
.LBB156_239:                            ;   in Loop: Header=BB156_3 Depth=1
	s_or_b32 exec_lo, exec_lo, s10
	s_barrier_signal -1
	s_barrier_wait -1
	s_and_saveexec_b32 s10, s92
	s_cbranch_execz .LBB156_241
; %bb.240:                              ;   in Loop: Header=BB156_3 Depth=1
	ds_load_b64 v[38:39], v5 offset:7800
	s_wait_dscnt 0x0
	v_pk_mul_f32 v[40:41], v[36:37], v[38:39] op_sel:[1,1] op_sel_hi:[1,0]
	s_delay_alu instid0(VALU_DEP_1) | instskip(SKIP_1) | instid1(VALU_DEP_2)
	v_pk_fma_f32 v[98:99], v[36:37], v[38:39], v[40:41] op_sel_hi:[0,1,1]
	v_pk_fma_f32 v[38:39], v[36:37], v[38:39], v[40:41] neg_lo:[0,0,1] neg_hi:[0,0,1]
	v_mov_b32_e32 v39, v99
	s_delay_alu instid0(VALU_DEP_1)
	v_mov_b64_e32 v[36:37], v[38:39]
	ds_store_b64 v3, v[38:39]
.LBB156_241:                            ;   in Loop: Header=BB156_3 Depth=1
	s_or_b32 exec_lo, exec_lo, s10
	s_wait_dscnt 0x0
	s_barrier_signal -1
	s_barrier_wait -1
	s_barrier_signal -1
	s_barrier_wait -1
	s_and_saveexec_b32 s10, s1
; %bb.242:                              ;   in Loop: Header=BB156_3 Depth=1
	v_pk_add_f32 v[36:37], v[36:37], 0 neg_lo:[1,1] neg_hi:[1,1]
	ds_store_b64 v44, v[36:37] offset:6256
; %bb.243:                              ;   in Loop: Header=BB156_3 Depth=1
	s_or_b32 exec_lo, exec_lo, s10
	s_wait_dscnt 0x0
	s_barrier_signal -1
	s_barrier_wait -1
	s_barrier_signal -1
	s_barrier_wait -1
	s_and_saveexec_b32 s10, s93
	s_cbranch_execz .LBB156_245
; %bb.244:                              ;   in Loop: Header=BB156_3 Depth=1
	ds_load_b64 v[36:37], v81 offset:6256
	s_wait_dscnt 0x0
	ds_store_b64 v79, v[36:37] offset:7264
	ds_load_b64 v[36:37], v81 offset:6264
	s_wait_dscnt 0x0
	ds_store_b64 v79, v[36:37] offset:7776
.LBB156_245:                            ;   in Loop: Header=BB156_3 Depth=1
	s_or_b32 exec_lo, exec_lo, s10
	s_wait_dscnt 0x0
	s_barrier_signal -1
	s_barrier_wait -1
	s_and_saveexec_b32 s10, s14
	s_cbranch_execz .LBB156_247
; %bb.246:                              ;   in Loop: Header=BB156_3 Depth=1
	ds_load_b128 v[36:39], v5 offset:7280
	ds_load_b64 v[40:41], v5 offset:7800
	s_wait_dscnt 0x1
	v_dual_mov_b32 v98, v39 :: v_dual_mov_b32 v99, v38
	s_wait_dscnt 0x0
	v_dual_mul_f32 v97, v41, v37 :: v_dual_mul_f32 v42, v40, v37
	s_delay_alu instid0(VALU_DEP_1) | instskip(NEXT) | instid1(VALU_DEP_1)
	v_xor_b32_e32 v100, 0x80000000, v97
	v_dual_fmac_f32 v42, v41, v36 :: v_dual_fmac_f32 v100, v40, v36
	s_delay_alu instid0(VALU_DEP_1) | instskip(NEXT) | instid1(VALU_DEP_1)
	v_pk_mul_f32 v[36:37], v[42:43], v[98:99] op_sel_hi:[0,1]
	v_pk_fma_f32 v[40:41], v[100:101], v[38:39], v[36:37] op_sel_hi:[0,1,1]
	v_pk_fma_f32 v[36:37], v[100:101], v[38:39], v[36:37] neg_lo:[0,0,1] neg_hi:[0,0,1]
	v_add_nc_u32_e64 v38, 0x1800, 0
	s_delay_alu instid0(VALU_DEP_3)
	v_mov_b32_e32 v37, v41
	ds_store_2addr_b64 v38, v[36:37], v[36:37] offset0:143 offset1:206
.LBB156_247:                            ;   in Loop: Header=BB156_3 Depth=1
	s_or_b32 exec_lo, exec_lo, s10
	v_mov_b32_e32 v36, 0
	s_wait_dscnt 0x0
	s_barrier_signal -1
	s_barrier_wait -1
	s_delay_alu instid0(VALU_DEP_1)
	v_mov_b32_e32 v37, v36
	s_and_saveexec_b32 s84, s5
	s_cbranch_execz .LBB156_275
; %bb.248:                              ;   in Loop: Header=BB156_3 Depth=1
	ds_load_b64 v[36:37], v67 offset:128
	ds_load_b64 v[38:39], v64
	s_wait_dscnt 0x0
	v_dual_mul_f32 v40, v39, v37 :: v_dual_mul_f32 v41, v38, v37
	s_delay_alu instid0(VALU_DEP_1) | instskip(NEXT) | instid1(VALU_DEP_1)
	v_dual_fma_f32 v37, v38, v36, -v40 :: v_dual_fmac_f32 v41, v39, v36
	v_add_f32_e32 v37, 0, v37
	s_delay_alu instid0(VALU_DEP_2) | instskip(SKIP_3) | instid1(SALU_CYCLE_1)
	v_add_f32_e32 v36, 0, v41
	s_mov_b32 s10, exec_lo
	v_readlane_b32 s12, v108, 28
	s_and_b32 s12, s10, s12
	s_mov_b32 exec_lo, s12
	s_cbranch_execz .LBB156_250
; %bb.249:                              ;   in Loop: Header=BB156_3 Depth=1
	ds_load_b64 v[38:39], v68 offset:640
	ds_load_b64 v[40:41], v64 offset:8
	s_wait_dscnt 0x0
	v_dual_mul_f32 v42, v41, v39 :: v_dual_mul_f32 v39, v40, v39
	s_delay_alu instid0(VALU_DEP_1) | instskip(NEXT) | instid1(VALU_DEP_1)
	v_dual_fma_f32 v40, v40, v38, -v42 :: v_dual_fmac_f32 v39, v41, v38
	v_dual_add_f32 v37, v37, v40 :: v_dual_add_f32 v36, v36, v39
.LBB156_250:                            ;   in Loop: Header=BB156_3 Depth=1
	s_or_b32 exec_lo, exec_lo, s10
	s_delay_alu instid0(SALU_CYCLE_1) | instskip(SKIP_2) | instid1(SALU_CYCLE_1)
	s_mov_b32 s10, exec_lo
	v_readlane_b32 s12, v108, 29
	s_and_b32 s12, s10, s12
	s_mov_b32 exec_lo, s12
	s_cbranch_execz .LBB156_252
; %bb.251:                              ;   in Loop: Header=BB156_3 Depth=1
	ds_load_b64 v[38:39], v68 offset:1152
	ds_load_b64 v[40:41], v64 offset:16
	s_wait_dscnt 0x0
	v_dual_mul_f32 v42, v41, v39 :: v_dual_mul_f32 v39, v40, v39
	s_delay_alu instid0(VALU_DEP_1) | instskip(NEXT) | instid1(VALU_DEP_1)
	v_dual_fma_f32 v40, v40, v38, -v42 :: v_dual_fmac_f32 v39, v41, v38
	v_dual_add_f32 v37, v37, v40 :: v_dual_add_f32 v36, v36, v39
.LBB156_252:                            ;   in Loop: Header=BB156_3 Depth=1
	s_or_b32 exec_lo, exec_lo, s10
	s_delay_alu instid0(SALU_CYCLE_1) | instskip(SKIP_2) | instid1(SALU_CYCLE_1)
	;; [unrolled: 16-line block ×10, first 2 shown]
	s_mov_b32 s10, exec_lo
	v_readlane_b32 s12, v107, 6
	s_and_b32 s12, s10, s12
	s_mov_b32 exec_lo, s12
	s_cbranch_execnz .LBB156_1134
; %bb.269:                              ;   in Loop: Header=BB156_3 Depth=1
	s_or_b32 exec_lo, exec_lo, s10
	s_and_saveexec_b32 s10, s4
	s_cbranch_execnz .LBB156_1135
.LBB156_270:                            ;   in Loop: Header=BB156_3 Depth=1
	s_or_b32 exec_lo, exec_lo, s10
	s_and_saveexec_b32 s10, s19
	s_cbranch_execnz .LBB156_1136
.LBB156_271:                            ;   in Loop: Header=BB156_3 Depth=1
	s_or_b32 exec_lo, exec_lo, s10
	s_and_saveexec_b32 s10, s21
	s_cbranch_execnz .LBB156_1137
.LBB156_272:                            ;   in Loop: Header=BB156_3 Depth=1
	s_or_b32 exec_lo, exec_lo, s10
	s_and_saveexec_b32 s10, s3
	s_cbranch_execz .LBB156_274
.LBB156_273:                            ;   in Loop: Header=BB156_3 Depth=1
	ds_load_b64 v[38:39], v46 offset:7808
	ds_load_b64 v[40:41], v5 offset:120
	s_wait_dscnt 0x0
	v_pk_mul_f32 v[98:99], v[40:41], v[38:39] op_sel:[0,1]
	s_delay_alu instid0(VALU_DEP_1) | instskip(SKIP_1) | instid1(VALU_DEP_2)
	v_pk_fma_f32 v[100:101], v[40:41], v[38:39], v[98:99] op_sel:[1,0,0] op_sel_hi:[0,0,1] neg_lo:[0,0,1] neg_hi:[0,0,1]
	v_pk_fma_f32 v[38:39], v[40:41], v[38:39], v[98:99] op_sel:[1,0,0] op_sel_hi:[0,1,1]
	v_mov_b32_e32 v39, v101
	s_delay_alu instid0(VALU_DEP_1)
	v_pk_add_f32 v[36:37], v[36:37], v[38:39]
.LBB156_274:                            ;   in Loop: Header=BB156_3 Depth=1
	s_or_b32 exec_lo, exec_lo, s10
	s_delay_alu instid0(VALU_DEP_1) | instskip(NEXT) | instid1(VALU_DEP_1)
	v_pk_add_f32 v[38:39], v[36:37], 0 neg_lo:[1,1] neg_hi:[1,1]
	v_dual_mov_b32 v36, v39 :: v_dual_mov_b32 v37, v38
.LBB156_275:                            ;   in Loop: Header=BB156_3 Depth=1
	s_or_b32 exec_lo, exec_lo, s84
	s_delay_alu instid0(SALU_CYCLE_1) | instskip(SKIP_2) | instid1(SALU_CYCLE_1)
	s_mov_b32 s10, exec_lo
	v_readlane_b32 s12, v108, 1
	s_and_b32 s12, s10, s12
	s_mov_b32 exec_lo, s12
	s_cbranch_execz .LBB156_277
; %bb.276:                              ;   in Loop: Header=BB156_3 Depth=1
	ds_load_b64 v[38:39], v5 offset:8320
	v_dual_mov_b32 v40, v37 :: v_dual_mov_b32 v41, v36
	s_wait_dscnt 0x0
	s_delay_alu instid0(VALU_DEP_1) | instskip(NEXT) | instid1(VALU_DEP_1)
	v_dual_mul_f32 v42, v40, v38 :: v_dual_mul_f32 v98, v37, v39
	v_pk_fma_f32 v[40:41], v[40:41], v[38:39], v[42:43] op_sel_hi:[1,1,0]
	s_delay_alu instid0(VALU_DEP_2) | instskip(NEXT) | instid1(VALU_DEP_2)
	v_pk_fma_f32 v[36:37], v[36:37], v[38:39], v[98:99] op_sel_hi:[1,1,0] neg_lo:[0,0,1] neg_hi:[0,0,1]
	v_mov_b32_e32 v37, v41
	ds_store_b64 v66, v[36:37]
.LBB156_277:                            ;   in Loop: Header=BB156_3 Depth=1
	s_or_b32 exec_lo, exec_lo, s10
	s_wait_dscnt 0x0
	s_barrier_signal -1
	s_barrier_wait -1
	s_mov_b32 s10, exec_lo
	v_readlane_b32 s12, v108, 2
	s_and_b32 s12, s10, s12
	s_delay_alu instid0(SALU_CYCLE_1)
	s_mov_b32 exec_lo, s12
	s_cbranch_execz .LBB156_279
; %bb.278:                              ;   in Loop: Header=BB156_3 Depth=1
	ds_load_b64 v[38:39], v65 offset:8320
	ds_load_b64 v[40:41], v66
	s_wait_dscnt 0x0
	v_dual_mul_f32 v42, v41, v39 :: v_dual_mul_f32 v99, v40, v39
	s_delay_alu instid0(VALU_DEP_1) | instskip(NEXT) | instid1(VALU_DEP_1)
	v_dual_fma_f32 v98, v40, v38, -v42 :: v_dual_fmac_f32 v99, v41, v38
	v_pk_add_f32 v[36:37], v[36:37], v[98:99]
.LBB156_279:                            ;   in Loop: Header=BB156_3 Depth=1
	s_or_b32 exec_lo, exec_lo, s10
	s_barrier_signal -1
	s_barrier_wait -1
	s_mov_b32 s10, exec_lo
	v_readlane_b32 s12, v108, 3
	s_and_b32 s12, s10, s12
	s_delay_alu instid0(SALU_CYCLE_1)
	s_mov_b32 exec_lo, s12
	s_cbranch_execz .LBB156_281
; %bb.280:                              ;   in Loop: Header=BB156_3 Depth=1
	ds_load_b64 v[38:39], v5 offset:8840
	s_wait_dscnt 0x0
	v_pk_mul_f32 v[40:41], v[36:37], v[38:39] op_sel:[1,1] op_sel_hi:[1,0]
	s_delay_alu instid0(VALU_DEP_1) | instskip(SKIP_1) | instid1(VALU_DEP_2)
	v_pk_fma_f32 v[98:99], v[36:37], v[38:39], v[40:41] op_sel_hi:[0,1,1]
	v_pk_fma_f32 v[36:37], v[36:37], v[38:39], v[40:41] op_sel_hi:[0,1,1] neg_lo:[0,0,1] neg_hi:[0,0,1]
	v_mov_b32_e32 v37, v99
	ds_store_b64 v66, v[36:37]
.LBB156_281:                            ;   in Loop: Header=BB156_3 Depth=1
	s_or_b32 exec_lo, exec_lo, s10
	s_wait_dscnt 0x0
	s_barrier_signal -1
	s_barrier_wait -1
	s_mov_b32 s10, exec_lo
	v_readlane_b32 s12, v108, 4
	s_and_b32 s12, s10, s12
	s_delay_alu instid0(SALU_CYCLE_1)
	s_mov_b32 exec_lo, s12
	s_cbranch_execz .LBB156_283
; %bb.282:                              ;   in Loop: Header=BB156_3 Depth=1
	ds_load_b64 v[38:39], v65 offset:8832
	ds_load_b64 v[40:41], v66
	s_wait_dscnt 0x0
	v_pk_mul_f32 v[98:99], v[40:41], v[38:39] op_sel:[1,1] op_sel_hi:[0,1]
	s_delay_alu instid0(VALU_DEP_1) | instskip(SKIP_1) | instid1(VALU_DEP_2)
	v_pk_fma_f32 v[100:101], v[40:41], v[38:39], v[98:99] op_sel_hi:[1,0,1]
	v_pk_fma_f32 v[38:39], v[40:41], v[38:39], v[98:99] op_sel_hi:[1,0,1] neg_lo:[0,0,1] neg_hi:[0,0,1]
	v_mov_b32_e32 v39, v101
	s_delay_alu instid0(VALU_DEP_1)
	v_pk_add_f32 v[36:37], v[36:37], v[38:39]
.LBB156_283:                            ;   in Loop: Header=BB156_3 Depth=1
	s_or_b32 exec_lo, exec_lo, s10
	s_barrier_signal -1
	s_barrier_wait -1
	s_mov_b32 s10, exec_lo
	v_readlane_b32 s12, v108, 5
	s_and_b32 s12, s10, s12
	s_delay_alu instid0(SALU_CYCLE_1)
	s_mov_b32 exec_lo, s12
	s_cbranch_execz .LBB156_285
; %bb.284:                              ;   in Loop: Header=BB156_3 Depth=1
	ds_load_b64 v[38:39], v5 offset:9360
	s_wait_dscnt 0x0
	v_pk_mul_f32 v[40:41], v[36:37], v[38:39] op_sel:[1,1] op_sel_hi:[1,0]
	s_delay_alu instid0(VALU_DEP_1) | instskip(SKIP_1) | instid1(VALU_DEP_2)
	v_pk_fma_f32 v[98:99], v[36:37], v[38:39], v[40:41] op_sel_hi:[0,1,1]
	v_pk_fma_f32 v[36:37], v[36:37], v[38:39], v[40:41] op_sel_hi:[0,1,1] neg_lo:[0,0,1] neg_hi:[0,0,1]
	v_mov_b32_e32 v37, v99
	ds_store_b64 v66, v[36:37]
.LBB156_285:                            ;   in Loop: Header=BB156_3 Depth=1
	s_or_b32 exec_lo, exec_lo, s10
	s_wait_dscnt 0x0
	s_barrier_signal -1
	s_barrier_wait -1
	s_mov_b32 s10, exec_lo
	v_readlane_b32 s12, v108, 6
	s_and_b32 s12, s10, s12
	s_delay_alu instid0(SALU_CYCLE_1)
	s_mov_b32 exec_lo, s12
	s_cbranch_execz .LBB156_287
; %bb.286:                              ;   in Loop: Header=BB156_3 Depth=1
	ds_load_b64 v[38:39], v65 offset:9344
	ds_load_b64 v[40:41], v66
	s_wait_dscnt 0x0
	v_pk_mul_f32 v[98:99], v[40:41], v[38:39] op_sel:[1,1] op_sel_hi:[0,1]
	s_delay_alu instid0(VALU_DEP_1) | instskip(SKIP_1) | instid1(VALU_DEP_2)
	v_pk_fma_f32 v[100:101], v[40:41], v[38:39], v[98:99] op_sel_hi:[1,0,1]
	v_pk_fma_f32 v[38:39], v[40:41], v[38:39], v[98:99] op_sel_hi:[1,0,1] neg_lo:[0,0,1] neg_hi:[0,0,1]
	v_mov_b32_e32 v39, v101
	s_delay_alu instid0(VALU_DEP_1)
	v_pk_add_f32 v[36:37], v[36:37], v[38:39]
.LBB156_287:                            ;   in Loop: Header=BB156_3 Depth=1
	;; [unrolled: 41-line block ×3, first 2 shown]
	s_or_b32 exec_lo, exec_lo, s10
	s_barrier_signal -1
	s_barrier_wait -1
	s_mov_b32 s10, exec_lo
	v_readlane_b32 s12, v108, 9
	s_and_b32 s12, s10, s12
	s_delay_alu instid0(SALU_CYCLE_1)
	s_mov_b32 exec_lo, s12
	s_cbranch_execz .LBB156_293
; %bb.292:                              ;   in Loop: Header=BB156_3 Depth=1
	ds_load_b64 v[38:39], v5 offset:10400
	s_wait_dscnt 0x0
	v_dual_mul_f32 v40, v36, v39 :: v_dual_mul_f32 v42, v37, v39
	s_delay_alu instid0(VALU_DEP_1) | instskip(NEXT) | instid1(VALU_DEP_2)
	v_pk_fma_f32 v[40:41], v[36:37], v[38:39], v[40:41] op_sel:[0,1,0] op_sel_hi:[1,0,0]
	v_pk_fma_f32 v[38:39], v[36:37], v[38:39], v[42:43] op_sel_hi:[1,1,0] neg_lo:[0,0,1] neg_hi:[0,0,1]
	s_delay_alu instid0(VALU_DEP_2) | instskip(NEXT) | instid1(VALU_DEP_1)
	v_mov_b32_e32 v39, v41
	v_mov_b64_e32 v[36:37], v[38:39]
	ds_store_b64 v66, v[38:39]
.LBB156_293:                            ;   in Loop: Header=BB156_3 Depth=1
	s_or_b32 exec_lo, exec_lo, s10
	s_wait_dscnt 0x0
	s_barrier_signal -1
	s_barrier_wait -1
	s_and_saveexec_b32 s10, s57
	s_cbranch_execz .LBB156_295
; %bb.294:                              ;   in Loop: Header=BB156_3 Depth=1
	ds_load_b64 v[38:39], v65 offset:10368
	ds_load_b64 v[40:41], v66
	s_wait_dscnt 0x0
	v_dual_mul_f32 v42, v41, v39 :: v_dual_mul_f32 v99, v40, v39
	s_delay_alu instid0(VALU_DEP_1) | instskip(NEXT) | instid1(VALU_DEP_1)
	v_dual_fma_f32 v98, v40, v38, -v42 :: v_dual_fmac_f32 v99, v41, v38
	v_pk_add_f32 v[36:37], v[36:37], v[98:99]
.LBB156_295:                            ;   in Loop: Header=BB156_3 Depth=1
	s_or_b32 exec_lo, exec_lo, s10
	s_barrier_signal -1
	s_barrier_wait -1
	s_and_saveexec_b32 s10, s58
	s_cbranch_execz .LBB156_297
; %bb.296:                              ;   in Loop: Header=BB156_3 Depth=1
	ds_load_b64 v[38:39], v5 offset:10920
	s_wait_dscnt 0x0
	v_pk_mul_f32 v[40:41], v[36:37], v[38:39] op_sel:[1,1] op_sel_hi:[1,0]
	s_delay_alu instid0(VALU_DEP_1) | instskip(SKIP_1) | instid1(VALU_DEP_2)
	v_pk_fma_f32 v[98:99], v[36:37], v[38:39], v[40:41] op_sel_hi:[0,1,1]
	v_pk_fma_f32 v[36:37], v[36:37], v[38:39], v[40:41] op_sel_hi:[0,1,1] neg_lo:[0,0,1] neg_hi:[0,0,1]
	v_mov_b32_e32 v37, v99
	ds_store_b64 v66, v[36:37]
.LBB156_297:                            ;   in Loop: Header=BB156_3 Depth=1
	s_or_b32 exec_lo, exec_lo, s10
	s_wait_dscnt 0x0
	s_barrier_signal -1
	s_barrier_wait -1
	s_and_saveexec_b32 s10, s59
	s_cbranch_execz .LBB156_299
; %bb.298:                              ;   in Loop: Header=BB156_3 Depth=1
	ds_load_b64 v[38:39], v65 offset:10880
	ds_load_b64 v[40:41], v66
	s_wait_dscnt 0x0
	v_pk_mul_f32 v[98:99], v[40:41], v[38:39] op_sel:[1,1] op_sel_hi:[0,1]
	s_delay_alu instid0(VALU_DEP_1) | instskip(SKIP_1) | instid1(VALU_DEP_2)
	v_pk_fma_f32 v[100:101], v[40:41], v[38:39], v[98:99] op_sel_hi:[1,0,1]
	v_pk_fma_f32 v[38:39], v[40:41], v[38:39], v[98:99] op_sel_hi:[1,0,1] neg_lo:[0,0,1] neg_hi:[0,0,1]
	v_mov_b32_e32 v39, v101
	s_delay_alu instid0(VALU_DEP_1)
	v_pk_add_f32 v[36:37], v[36:37], v[38:39]
.LBB156_299:                            ;   in Loop: Header=BB156_3 Depth=1
	s_or_b32 exec_lo, exec_lo, s10
	s_barrier_signal -1
	s_barrier_wait -1
	s_and_saveexec_b32 s10, s60
	s_cbranch_execz .LBB156_301
; %bb.300:                              ;   in Loop: Header=BB156_3 Depth=1
	ds_load_b64 v[38:39], v5 offset:11440
	s_wait_dscnt 0x0
	v_pk_mul_f32 v[40:41], v[36:37], v[38:39] op_sel:[1,1] op_sel_hi:[1,0]
	s_delay_alu instid0(VALU_DEP_1) | instskip(SKIP_1) | instid1(VALU_DEP_2)
	v_pk_fma_f32 v[98:99], v[36:37], v[38:39], v[40:41] op_sel_hi:[0,1,1]
	v_pk_fma_f32 v[36:37], v[36:37], v[38:39], v[40:41] op_sel_hi:[0,1,1] neg_lo:[0,0,1] neg_hi:[0,0,1]
	v_mov_b32_e32 v37, v99
	ds_store_b64 v66, v[36:37]
.LBB156_301:                            ;   in Loop: Header=BB156_3 Depth=1
	s_or_b32 exec_lo, exec_lo, s10
	s_wait_dscnt 0x0
	s_barrier_signal -1
	s_barrier_wait -1
	s_and_saveexec_b32 s10, s61
	s_cbranch_execz .LBB156_303
; %bb.302:                              ;   in Loop: Header=BB156_3 Depth=1
	ds_load_b64 v[38:39], v65 offset:11392
	ds_load_b64 v[40:41], v66
	s_wait_dscnt 0x0
	v_pk_mul_f32 v[98:99], v[40:41], v[38:39] op_sel:[1,1] op_sel_hi:[0,1]
	s_delay_alu instid0(VALU_DEP_1) | instskip(SKIP_1) | instid1(VALU_DEP_2)
	v_pk_fma_f32 v[100:101], v[40:41], v[38:39], v[98:99] op_sel_hi:[1,0,1]
	v_pk_fma_f32 v[38:39], v[40:41], v[38:39], v[98:99] op_sel_hi:[1,0,1] neg_lo:[0,0,1] neg_hi:[0,0,1]
	v_mov_b32_e32 v39, v101
	s_delay_alu instid0(VALU_DEP_1)
	v_pk_add_f32 v[36:37], v[36:37], v[38:39]
.LBB156_303:                            ;   in Loop: Header=BB156_3 Depth=1
	;; [unrolled: 33-line block ×3, first 2 shown]
	s_or_b32 exec_lo, exec_lo, s10
	s_barrier_signal -1
	s_barrier_wait -1
	s_and_saveexec_b32 s10, s64
	s_cbranch_execz .LBB156_309
; %bb.308:                              ;   in Loop: Header=BB156_3 Depth=1
	ds_load_b64 v[38:39], v5 offset:12480
	s_wait_dscnt 0x0
	v_dual_mul_f32 v40, v36, v39 :: v_dual_mul_f32 v42, v37, v39
	s_delay_alu instid0(VALU_DEP_1) | instskip(NEXT) | instid1(VALU_DEP_2)
	v_pk_fma_f32 v[40:41], v[36:37], v[38:39], v[40:41] op_sel:[0,1,0] op_sel_hi:[1,0,0]
	v_pk_fma_f32 v[38:39], v[36:37], v[38:39], v[42:43] op_sel_hi:[1,1,0] neg_lo:[0,0,1] neg_hi:[0,0,1]
	s_delay_alu instid0(VALU_DEP_2) | instskip(NEXT) | instid1(VALU_DEP_1)
	v_mov_b32_e32 v39, v41
	v_mov_b64_e32 v[36:37], v[38:39]
	ds_store_b64 v66, v[38:39]
.LBB156_309:                            ;   in Loop: Header=BB156_3 Depth=1
	s_or_b32 exec_lo, exec_lo, s10
	s_wait_dscnt 0x0
	s_barrier_signal -1
	s_barrier_wait -1
	s_and_saveexec_b32 s10, s11
	s_cbranch_execz .LBB156_311
; %bb.310:                              ;   in Loop: Header=BB156_3 Depth=1
	ds_load_b64 v[38:39], v65 offset:12416
	ds_load_b64 v[40:41], v66
	s_wait_dscnt 0x0
	v_dual_mul_f32 v42, v41, v39 :: v_dual_mul_f32 v99, v40, v39
	s_delay_alu instid0(VALU_DEP_1) | instskip(NEXT) | instid1(VALU_DEP_1)
	v_dual_fma_f32 v98, v40, v38, -v42 :: v_dual_fmac_f32 v99, v41, v38
	v_pk_add_f32 v[36:37], v[36:37], v[98:99]
.LBB156_311:                            ;   in Loop: Header=BB156_3 Depth=1
	s_or_b32 exec_lo, exec_lo, s10
	s_barrier_signal -1
	s_barrier_wait -1
	s_and_saveexec_b32 s10, s23
	s_cbranch_execz .LBB156_313
; %bb.312:                              ;   in Loop: Header=BB156_3 Depth=1
	ds_load_b64 v[38:39], v5 offset:13000
	s_wait_dscnt 0x0
	v_pk_mul_f32 v[40:41], v[36:37], v[38:39] op_sel:[1,1] op_sel_hi:[1,0]
	s_delay_alu instid0(VALU_DEP_1) | instskip(SKIP_1) | instid1(VALU_DEP_2)
	v_pk_fma_f32 v[98:99], v[36:37], v[38:39], v[40:41] op_sel_hi:[0,1,1]
	v_pk_fma_f32 v[36:37], v[36:37], v[38:39], v[40:41] op_sel_hi:[0,1,1] neg_lo:[0,0,1] neg_hi:[0,0,1]
	v_mov_b32_e32 v37, v99
	ds_store_b64 v66, v[36:37]
.LBB156_313:                            ;   in Loop: Header=BB156_3 Depth=1
	s_or_b32 exec_lo, exec_lo, s10
	s_wait_dscnt 0x0
	s_barrier_signal -1
	s_barrier_wait -1
	s_and_saveexec_b32 s10, s25
	s_cbranch_execz .LBB156_315
; %bb.314:                              ;   in Loop: Header=BB156_3 Depth=1
	ds_load_b64 v[38:39], v65 offset:12928
	ds_load_b64 v[40:41], v66
	s_wait_dscnt 0x0
	v_pk_mul_f32 v[98:99], v[40:41], v[38:39] op_sel:[1,1] op_sel_hi:[0,1]
	s_delay_alu instid0(VALU_DEP_1) | instskip(SKIP_1) | instid1(VALU_DEP_2)
	v_pk_fma_f32 v[100:101], v[40:41], v[38:39], v[98:99] op_sel_hi:[1,0,1]
	v_pk_fma_f32 v[38:39], v[40:41], v[38:39], v[98:99] op_sel_hi:[1,0,1] neg_lo:[0,0,1] neg_hi:[0,0,1]
	v_mov_b32_e32 v39, v101
	s_delay_alu instid0(VALU_DEP_1)
	v_pk_add_f32 v[36:37], v[36:37], v[38:39]
.LBB156_315:                            ;   in Loop: Header=BB156_3 Depth=1
	s_or_b32 exec_lo, exec_lo, s10
	s_barrier_signal -1
	s_barrier_wait -1
	s_and_saveexec_b32 s10, s27
	s_cbranch_execz .LBB156_317
; %bb.316:                              ;   in Loop: Header=BB156_3 Depth=1
	ds_load_b64 v[38:39], v5 offset:13520
	s_wait_dscnt 0x0
	v_pk_mul_f32 v[40:41], v[36:37], v[38:39] op_sel:[1,1] op_sel_hi:[1,0]
	s_delay_alu instid0(VALU_DEP_1) | instskip(SKIP_1) | instid1(VALU_DEP_2)
	v_pk_fma_f32 v[98:99], v[36:37], v[38:39], v[40:41] op_sel_hi:[0,1,1]
	v_pk_fma_f32 v[36:37], v[36:37], v[38:39], v[40:41] op_sel_hi:[0,1,1] neg_lo:[0,0,1] neg_hi:[0,0,1]
	v_mov_b32_e32 v37, v99
	ds_store_b64 v66, v[36:37]
.LBB156_317:                            ;   in Loop: Header=BB156_3 Depth=1
	s_or_b32 exec_lo, exec_lo, s10
	s_wait_dscnt 0x0
	s_barrier_signal -1
	s_barrier_wait -1
	s_and_saveexec_b32 s10, s29
	s_cbranch_execz .LBB156_319
; %bb.318:                              ;   in Loop: Header=BB156_3 Depth=1
	ds_load_b64 v[38:39], v65 offset:13440
	ds_load_b64 v[40:41], v66
	s_wait_dscnt 0x0
	v_pk_mul_f32 v[98:99], v[40:41], v[38:39] op_sel:[1,1] op_sel_hi:[0,1]
	s_delay_alu instid0(VALU_DEP_1) | instskip(SKIP_1) | instid1(VALU_DEP_2)
	v_pk_fma_f32 v[100:101], v[40:41], v[38:39], v[98:99] op_sel_hi:[1,0,1]
	v_pk_fma_f32 v[38:39], v[40:41], v[38:39], v[98:99] op_sel_hi:[1,0,1] neg_lo:[0,0,1] neg_hi:[0,0,1]
	v_mov_b32_e32 v39, v101
	s_delay_alu instid0(VALU_DEP_1)
	v_pk_add_f32 v[36:37], v[36:37], v[38:39]
.LBB156_319:                            ;   in Loop: Header=BB156_3 Depth=1
	;; [unrolled: 33-line block ×3, first 2 shown]
	s_or_b32 exec_lo, exec_lo, s10
	s_barrier_signal -1
	s_barrier_wait -1
	s_and_saveexec_b32 s10, s24
	s_cbranch_execz .LBB156_325
; %bb.324:                              ;   in Loop: Header=BB156_3 Depth=1
	ds_load_b64 v[38:39], v5 offset:14560
	s_wait_dscnt 0x0
	v_dual_mul_f32 v40, v36, v39 :: v_dual_mul_f32 v42, v37, v39
	s_delay_alu instid0(VALU_DEP_1) | instskip(NEXT) | instid1(VALU_DEP_2)
	v_pk_fma_f32 v[40:41], v[36:37], v[38:39], v[40:41] op_sel:[0,1,0] op_sel_hi:[1,0,0]
	v_pk_fma_f32 v[38:39], v[36:37], v[38:39], v[42:43] op_sel_hi:[1,1,0] neg_lo:[0,0,1] neg_hi:[0,0,1]
	s_delay_alu instid0(VALU_DEP_2) | instskip(NEXT) | instid1(VALU_DEP_1)
	v_mov_b32_e32 v39, v41
	v_mov_b64_e32 v[36:37], v[38:39]
	ds_store_b64 v66, v[38:39]
.LBB156_325:                            ;   in Loop: Header=BB156_3 Depth=1
	s_or_b32 exec_lo, exec_lo, s10
	s_wait_dscnt 0x0
	s_barrier_signal -1
	s_barrier_wait -1
	s_and_saveexec_b32 s10, s26
	s_cbranch_execz .LBB156_327
; %bb.326:                              ;   in Loop: Header=BB156_3 Depth=1
	ds_load_b64 v[38:39], v65 offset:14464
	ds_load_b64 v[40:41], v66
	s_wait_dscnt 0x0
	v_dual_mul_f32 v42, v41, v39 :: v_dual_mul_f32 v99, v40, v39
	s_delay_alu instid0(VALU_DEP_1) | instskip(NEXT) | instid1(VALU_DEP_1)
	v_dual_fma_f32 v98, v40, v38, -v42 :: v_dual_fmac_f32 v99, v41, v38
	v_pk_add_f32 v[36:37], v[36:37], v[98:99]
.LBB156_327:                            ;   in Loop: Header=BB156_3 Depth=1
	s_or_b32 exec_lo, exec_lo, s10
	s_barrier_signal -1
	s_barrier_wait -1
	s_and_saveexec_b32 s10, s28
	s_cbranch_execz .LBB156_329
; %bb.328:                              ;   in Loop: Header=BB156_3 Depth=1
	ds_load_b64 v[38:39], v5 offset:15080
	s_wait_dscnt 0x0
	v_pk_mul_f32 v[40:41], v[36:37], v[38:39] op_sel:[1,1] op_sel_hi:[1,0]
	s_delay_alu instid0(VALU_DEP_1) | instskip(SKIP_1) | instid1(VALU_DEP_2)
	v_pk_fma_f32 v[98:99], v[36:37], v[38:39], v[40:41] op_sel_hi:[0,1,1]
	v_pk_fma_f32 v[38:39], v[36:37], v[38:39], v[40:41] neg_lo:[0,0,1] neg_hi:[0,0,1]
	v_mov_b32_e32 v39, v99
	s_delay_alu instid0(VALU_DEP_1)
	v_mov_b64_e32 v[36:37], v[38:39]
	ds_store_b64 v66, v[38:39]
.LBB156_329:                            ;   in Loop: Header=BB156_3 Depth=1
	s_or_b32 exec_lo, exec_lo, s10
	s_wait_dscnt 0x0
	s_barrier_signal -1
	s_barrier_wait -1
	s_and_saveexec_b32 s10, s30
	s_cbranch_execz .LBB156_331
; %bb.330:                              ;   in Loop: Header=BB156_3 Depth=1
	ds_load_b64 v[38:39], v65 offset:14976
	ds_load_b64 v[40:41], v66
	s_wait_dscnt 0x0
	v_pk_mul_f32 v[98:99], v[40:41], v[38:39] op_sel:[1,1] op_sel_hi:[0,1]
	s_delay_alu instid0(VALU_DEP_1) | instskip(SKIP_1) | instid1(VALU_DEP_2)
	v_pk_fma_f32 v[100:101], v[40:41], v[38:39], v[98:99] op_sel_hi:[1,0,1]
	v_pk_fma_f32 v[38:39], v[40:41], v[38:39], v[98:99] neg_lo:[0,0,1] neg_hi:[0,0,1]
	v_mov_b32_e32 v39, v101
	s_delay_alu instid0(VALU_DEP_1)
	v_pk_add_f32 v[36:37], v[36:37], v[38:39]
.LBB156_331:                            ;   in Loop: Header=BB156_3 Depth=1
	s_or_b32 exec_lo, exec_lo, s10
	s_barrier_signal -1
	s_barrier_wait -1
	s_and_saveexec_b32 s10, s33
	s_cbranch_execz .LBB156_333
; %bb.332:                              ;   in Loop: Header=BB156_3 Depth=1
	ds_load_b64 v[38:39], v5 offset:15600
	s_wait_dscnt 0x0
	v_pk_mul_f32 v[40:41], v[36:37], v[38:39] op_sel:[1,1] op_sel_hi:[1,0]
	s_delay_alu instid0(VALU_DEP_1) | instskip(SKIP_1) | instid1(VALU_DEP_2)
	v_pk_fma_f32 v[98:99], v[36:37], v[38:39], v[40:41] op_sel_hi:[0,1,1]
	v_pk_fma_f32 v[38:39], v[36:37], v[38:39], v[40:41] neg_lo:[0,0,1] neg_hi:[0,0,1]
	v_mov_b32_e32 v39, v99
	s_delay_alu instid0(VALU_DEP_1)
	v_mov_b64_e32 v[36:37], v[38:39]
	ds_store_b64 v66, v[38:39]
.LBB156_333:                            ;   in Loop: Header=BB156_3 Depth=1
	s_or_b32 exec_lo, exec_lo, s10
	s_wait_dscnt 0x0
	s_barrier_signal -1
	s_barrier_wait -1
	s_and_saveexec_b32 s10, s89
	s_cbranch_execz .LBB156_335
; %bb.334:                              ;   in Loop: Header=BB156_3 Depth=1
	ds_load_b64 v[38:39], v5 offset:15608
	ds_load_b64 v[40:41], v66
	s_wait_dscnt 0x0
	v_pk_mul_f32 v[98:99], v[40:41], v[38:39] op_sel:[1,1] op_sel_hi:[0,1]
	s_delay_alu instid0(VALU_DEP_1) | instskip(SKIP_1) | instid1(VALU_DEP_2)
	v_pk_fma_f32 v[100:101], v[40:41], v[38:39], v[98:99] op_sel_hi:[1,0,1]
	v_pk_fma_f32 v[38:39], v[40:41], v[38:39], v[98:99] neg_lo:[0,0,1] neg_hi:[0,0,1]
	v_mov_b32_e32 v39, v101
	s_delay_alu instid0(VALU_DEP_1)
	v_pk_add_f32 v[36:37], v[36:37], v[38:39]
.LBB156_335:                            ;   in Loop: Header=BB156_3 Depth=1
	s_or_b32 exec_lo, exec_lo, s10
	s_barrier_signal -1
	s_barrier_wait -1
	s_and_saveexec_b32 s10, s89
	s_cbranch_execz .LBB156_337
; %bb.336:                              ;   in Loop: Header=BB156_3 Depth=1
	ds_load_b64 v[38:39], v5 offset:16120
	s_wait_dscnt 0x0
	v_pk_mul_f32 v[40:41], v[36:37], v[38:39] op_sel:[1,1] op_sel_hi:[1,0]
	s_delay_alu instid0(VALU_DEP_1) | instskip(SKIP_1) | instid1(VALU_DEP_2)
	v_pk_fma_f32 v[98:99], v[36:37], v[38:39], v[40:41] op_sel_hi:[0,1,1]
	v_pk_fma_f32 v[38:39], v[36:37], v[38:39], v[40:41] neg_lo:[0,0,1] neg_hi:[0,0,1]
	v_mov_b32_e32 v39, v99
	s_delay_alu instid0(VALU_DEP_1)
	v_mov_b64_e32 v[36:37], v[38:39]
	ds_store_b64 v66, v[38:39]
.LBB156_337:                            ;   in Loop: Header=BB156_3 Depth=1
	s_or_b32 exec_lo, exec_lo, s10
	s_wait_dscnt 0x0
	s_barrier_signal -1
	s_barrier_wait -1
	s_barrier_signal -1
	s_barrier_wait -1
	s_and_saveexec_b32 s10, s5
; %bb.338:                              ;   in Loop: Header=BB156_3 Depth=1
	v_pk_add_f32 v[36:37], v[36:37], 0 neg_lo:[1,1] neg_hi:[1,1]
	ds_store_b64 v67, v[36:37] offset:128
; %bb.339:                              ;   in Loop: Header=BB156_3 Depth=1
	s_or_b32 exec_lo, exec_lo, s10
	s_wait_dscnt 0x0
	s_barrier_signal -1
	s_barrier_wait -1
	s_barrier_signal -1
	s_barrier_wait -1
	s_and_saveexec_b32 s10, s48
	s_cbranch_execz .LBB156_341
; %bb.340:                              ;   in Loop: Header=BB156_3 Depth=1
	ds_load_b64 v[36:37], v49 offset:128
	s_wait_dscnt 0x0
	ds_store_b64 v54, v[36:37] offset:8192
	ds_load_b64 v[36:37], v49 offset:136
	s_wait_dscnt 0x0
	ds_store_b64 v54, v[36:37] offset:8704
	;; [unrolled: 3-line block ×16, first 2 shown]
.LBB156_341:                            ;   in Loop: Header=BB156_3 Depth=1
	s_or_b32 exec_lo, exec_lo, s10
	s_wait_dscnt 0x0
	s_barrier_signal -1
	s_barrier_wait -1
	s_and_saveexec_b32 s10, s14
	s_cbranch_execz .LBB156_343
; %bb.342:                              ;   in Loop: Header=BB156_3 Depth=1
	ds_load_b128 v[36:39], v5 offset:8320
	ds_load_b64 v[40:41], v5 offset:8840
	s_wait_dscnt 0x1
	v_dual_mov_b32 v98, v39 :: v_dual_mov_b32 v99, v38
	s_wait_dscnt 0x0
	v_dual_mul_f32 v97, v41, v37 :: v_dual_mul_f32 v42, v40, v37
	s_delay_alu instid0(VALU_DEP_1) | instskip(NEXT) | instid1(VALU_DEP_1)
	v_xor_b32_e32 v100, 0x80000000, v97
	v_dual_fmac_f32 v42, v41, v36 :: v_dual_fmac_f32 v100, v40, v36
	s_delay_alu instid0(VALU_DEP_1) | instskip(NEXT) | instid1(VALU_DEP_1)
	v_pk_mul_f32 v[36:37], v[42:43], v[98:99] op_sel_hi:[0,1]
	v_pk_fma_f32 v[40:41], v[100:101], v[38:39], v[36:37] op_sel_hi:[0,1,1]
	v_pk_fma_f32 v[36:37], v[100:101], v[38:39], v[36:37] neg_lo:[0,0,1] neg_hi:[0,0,1]
	v_add_nc_u32_e64 v38, 0x2000, 0
	s_delay_alu instid0(VALU_DEP_3)
	v_mov_b32_e32 v37, v41
	ds_store_2addr_b64 v38, v[36:37], v[36:37] offset0:17 offset1:80
.LBB156_343:                            ;   in Loop: Header=BB156_3 Depth=1
	s_or_b32 exec_lo, exec_lo, s10
	v_mov_b32_e32 v37, 0
	s_wait_dscnt 0x0
	s_barrier_signal -1
	s_barrier_wait -1
	s_delay_alu instid0(VALU_DEP_1)
	v_mov_b32_e32 v36, v37
	s_and_saveexec_b32 s10, s1
	s_cbranch_execz .LBB156_347
; %bb.344:                              ;   in Loop: Header=BB156_3 Depth=1
	ds_load_b64 v[36:37], v44 offset:8336
	ds_load_b64 v[38:39], v45 offset:8320
	s_wait_dscnt 0x0
	v_dual_mul_f32 v40, v39, v37 :: v_dual_mul_f32 v41, v38, v37
	s_delay_alu instid0(VALU_DEP_1) | instskip(NEXT) | instid1(VALU_DEP_1)
	v_dual_fma_f32 v40, v38, v36, -v40 :: v_dual_fmac_f32 v41, v39, v36
	v_pk_add_f32 v[36:37], v[40:41], 0 op_sel_hi:[1,0]
	s_and_saveexec_b32 s12, s15
	s_cbranch_execz .LBB156_346
; %bb.345:                              ;   in Loop: Header=BB156_3 Depth=1
	ds_load_b64 v[38:39], v46 offset:8848
	ds_load_b64 v[40:41], v5 offset:8328
	s_wait_dscnt 0x0
	v_pk_mul_f32 v[98:99], v[40:41], v[38:39] op_sel:[1,1] op_sel_hi:[0,1]
	s_delay_alu instid0(VALU_DEP_1) | instskip(SKIP_1) | instid1(VALU_DEP_2)
	v_pk_fma_f32 v[100:101], v[40:41], v[38:39], v[98:99] op_sel_hi:[1,0,1]
	v_pk_fma_f32 v[38:39], v[40:41], v[38:39], v[98:99] neg_lo:[0,0,1] neg_hi:[0,0,1]
	v_mov_b32_e32 v39, v101
	s_delay_alu instid0(VALU_DEP_1)
	v_pk_add_f32 v[36:37], v[36:37], v[38:39]
.LBB156_346:                            ;   in Loop: Header=BB156_3 Depth=1
	s_or_b32 exec_lo, exec_lo, s12
	s_delay_alu instid0(VALU_DEP_1)
	v_pk_add_f32 v[36:37], v[36:37], 0 neg_lo:[1,1] neg_hi:[1,1]
.LBB156_347:                            ;   in Loop: Header=BB156_3 Depth=1
	s_or_b32 exec_lo, exec_lo, s10
	s_and_saveexec_b32 s10, s91
	s_cbranch_execz .LBB156_349
; %bb.348:                              ;   in Loop: Header=BB156_3 Depth=1
	ds_load_b64 v[38:39], v5 offset:9360
	s_wait_dscnt 0x0
	v_pk_mul_f32 v[40:41], v[36:37], v[38:39] op_sel:[1,1] op_sel_hi:[1,0]
	s_delay_alu instid0(VALU_DEP_1) | instskip(SKIP_1) | instid1(VALU_DEP_2)
	v_pk_fma_f32 v[98:99], v[36:37], v[38:39], v[40:41] op_sel_hi:[0,1,1]
	v_pk_fma_f32 v[38:39], v[36:37], v[38:39], v[40:41] neg_lo:[0,0,1] neg_hi:[0,0,1]
	v_mov_b32_e32 v39, v99
	s_delay_alu instid0(VALU_DEP_1)
	v_mov_b64_e32 v[36:37], v[38:39]
	ds_store_b64 v3, v[38:39]
.LBB156_349:                            ;   in Loop: Header=BB156_3 Depth=1
	s_or_b32 exec_lo, exec_lo, s10
	s_wait_dscnt 0x0
	s_barrier_signal -1
	s_barrier_wait -1
	s_and_saveexec_b32 s10, s92
	s_cbranch_execz .LBB156_351
; %bb.350:                              ;   in Loop: Header=BB156_3 Depth=1
	ds_load_b64 v[38:39], v5 offset:9368
	ds_load_b64 v[40:41], v3
	s_wait_dscnt 0x0
	v_pk_mul_f32 v[98:99], v[40:41], v[38:39] op_sel:[1,1] op_sel_hi:[0,1]
	s_delay_alu instid0(VALU_DEP_1) | instskip(SKIP_1) | instid1(VALU_DEP_2)
	v_pk_fma_f32 v[100:101], v[40:41], v[38:39], v[98:99] op_sel_hi:[1,0,1]
	v_pk_fma_f32 v[38:39], v[40:41], v[38:39], v[98:99] neg_lo:[0,0,1] neg_hi:[0,0,1]
	v_mov_b32_e32 v39, v101
	s_delay_alu instid0(VALU_DEP_1)
	v_pk_add_f32 v[36:37], v[36:37], v[38:39]
.LBB156_351:                            ;   in Loop: Header=BB156_3 Depth=1
	s_or_b32 exec_lo, exec_lo, s10
	s_barrier_signal -1
	s_barrier_wait -1
	s_and_saveexec_b32 s10, s92
	s_cbranch_execz .LBB156_353
; %bb.352:                              ;   in Loop: Header=BB156_3 Depth=1
	ds_load_b64 v[38:39], v5 offset:9880
	s_wait_dscnt 0x0
	v_pk_mul_f32 v[40:41], v[36:37], v[38:39] op_sel:[1,1] op_sel_hi:[1,0]
	s_delay_alu instid0(VALU_DEP_1) | instskip(SKIP_1) | instid1(VALU_DEP_2)
	v_pk_fma_f32 v[98:99], v[36:37], v[38:39], v[40:41] op_sel_hi:[0,1,1]
	v_pk_fma_f32 v[38:39], v[36:37], v[38:39], v[40:41] neg_lo:[0,0,1] neg_hi:[0,0,1]
	v_mov_b32_e32 v39, v99
	s_delay_alu instid0(VALU_DEP_1)
	v_mov_b64_e32 v[36:37], v[38:39]
	ds_store_b64 v3, v[38:39]
.LBB156_353:                            ;   in Loop: Header=BB156_3 Depth=1
	s_or_b32 exec_lo, exec_lo, s10
	s_wait_dscnt 0x0
	s_barrier_signal -1
	s_barrier_wait -1
	s_barrier_signal -1
	s_barrier_wait -1
	s_and_saveexec_b32 s10, s1
; %bb.354:                              ;   in Loop: Header=BB156_3 Depth=1
	v_pk_add_f32 v[36:37], v[36:37], 0 neg_lo:[1,1] neg_hi:[1,1]
	ds_store_b64 v44, v[36:37] offset:8336
; %bb.355:                              ;   in Loop: Header=BB156_3 Depth=1
	s_or_b32 exec_lo, exec_lo, s10
	s_wait_dscnt 0x0
	s_barrier_signal -1
	s_barrier_wait -1
	s_barrier_signal -1
	s_barrier_wait -1
	s_and_saveexec_b32 s10, s93
	s_cbranch_execz .LBB156_357
; %bb.356:                              ;   in Loop: Header=BB156_3 Depth=1
	ds_load_b64 v[36:37], v49 offset:8336
	s_wait_dscnt 0x0
	ds_store_b64 v46, v[36:37] offset:9344
	ds_load_b64 v[36:37], v49 offset:8344
	s_wait_dscnt 0x0
	ds_store_b64 v46, v[36:37] offset:9856
.LBB156_357:                            ;   in Loop: Header=BB156_3 Depth=1
	s_or_b32 exec_lo, exec_lo, s10
	s_wait_dscnt 0x0
	s_barrier_signal -1
	s_barrier_wait -1
	s_and_saveexec_b32 s10, s14
	s_cbranch_execz .LBB156_359
; %bb.358:                              ;   in Loop: Header=BB156_3 Depth=1
	ds_load_b128 v[36:39], v5 offset:9360
	ds_load_b64 v[40:41], v5 offset:9880
	s_wait_dscnt 0x1
	v_dual_mov_b32 v98, v39 :: v_dual_mov_b32 v99, v38
	s_wait_dscnt 0x0
	v_dual_mul_f32 v97, v41, v37 :: v_dual_mul_f32 v42, v40, v37
	s_delay_alu instid0(VALU_DEP_1) | instskip(NEXT) | instid1(VALU_DEP_1)
	v_xor_b32_e32 v100, 0x80000000, v97
	v_dual_fmac_f32 v42, v41, v36 :: v_dual_fmac_f32 v100, v40, v36
	s_delay_alu instid0(VALU_DEP_1) | instskip(NEXT) | instid1(VALU_DEP_1)
	v_pk_mul_f32 v[36:37], v[42:43], v[98:99] op_sel_hi:[0,1]
	v_pk_fma_f32 v[40:41], v[100:101], v[38:39], v[36:37] op_sel_hi:[0,1,1]
	v_pk_fma_f32 v[36:37], v[100:101], v[38:39], v[36:37] neg_lo:[0,0,1] neg_hi:[0,0,1]
	v_add_nc_u32_e64 v38, 0x2000, 0
	s_delay_alu instid0(VALU_DEP_3)
	v_mov_b32_e32 v37, v41
	ds_store_2addr_b64 v38, v[36:37], v[36:37] offset0:147 offset1:210
.LBB156_359:                            ;   in Loop: Header=BB156_3 Depth=1
	s_or_b32 exec_lo, exec_lo, s10
	v_mov_b32_e32 v36, 0
	s_wait_dscnt 0x0
	s_barrier_signal -1
	s_barrier_wait -1
	s_delay_alu instid0(VALU_DEP_1)
	v_mov_b32_e32 v37, v36
	s_and_saveexec_b32 s10, s3
	s_cbranch_execz .LBB156_365
; %bb.360:                              ;   in Loop: Header=BB156_3 Depth=1
	ds_load_b64 v[36:37], v51 offset:8352
	ds_load_b64 v[38:39], v47 offset:8320
	s_wait_dscnt 0x0
	v_pk_mul_f32 v[40:41], v[38:39], v[36:37] op_sel:[0,1]
	s_delay_alu instid0(VALU_DEP_1) | instskip(SKIP_1) | instid1(VALU_DEP_2)
	v_pk_fma_f32 v[98:99], v[38:39], v[36:37], v[40:41] op_sel:[1,0,0] op_sel_hi:[0,0,1] neg_lo:[0,0,1] neg_hi:[0,0,1]
	v_pk_fma_f32 v[36:37], v[38:39], v[36:37], v[40:41] op_sel:[1,0,0] op_sel_hi:[0,1,1]
	v_mov_b32_e32 v37, v99
	s_delay_alu instid0(VALU_DEP_1)
	v_pk_add_f32 v[36:37], v[36:37], 0 op_sel_hi:[1,0]
	s_and_saveexec_b32 s12, s16
	s_cbranch_execnz .LBB156_1138
; %bb.361:                              ;   in Loop: Header=BB156_3 Depth=1
	s_or_b32 exec_lo, exec_lo, s12
	s_and_saveexec_b32 s12, s17
	s_cbranch_execnz .LBB156_1139
.LBB156_362:                            ;   in Loop: Header=BB156_3 Depth=1
	s_or_b32 exec_lo, exec_lo, s12
	s_and_saveexec_b32 s12, s1
	s_cbranch_execz .LBB156_364
.LBB156_363:                            ;   in Loop: Header=BB156_3 Depth=1
	ds_load_b64 v[38:39], v54 offset:9888
	ds_load_b64 v[40:41], v5 offset:8344
	s_wait_dscnt 0x0
	v_pk_mul_f32 v[98:99], v[40:41], v[38:39] op_sel:[0,1]
	s_delay_alu instid0(VALU_DEP_1) | instskip(SKIP_1) | instid1(VALU_DEP_2)
	v_pk_fma_f32 v[100:101], v[40:41], v[38:39], v[98:99] op_sel:[1,0,0] op_sel_hi:[0,0,1] neg_lo:[0,0,1] neg_hi:[0,0,1]
	v_pk_fma_f32 v[38:39], v[40:41], v[38:39], v[98:99] op_sel:[1,0,0] op_sel_hi:[0,1,1]
	v_mov_b32_e32 v39, v101
	s_delay_alu instid0(VALU_DEP_1)
	v_pk_add_f32 v[36:37], v[36:37], v[38:39]
.LBB156_364:                            ;   in Loop: Header=BB156_3 Depth=1
	s_or_b32 exec_lo, exec_lo, s12
	s_delay_alu instid0(VALU_DEP_1) | instskip(NEXT) | instid1(VALU_DEP_1)
	v_pk_add_f32 v[38:39], v[36:37], 0 neg_lo:[1,1] neg_hi:[1,1]
	v_dual_mov_b32 v36, v39 :: v_dual_mov_b32 v37, v38
.LBB156_365:                            ;   in Loop: Header=BB156_3 Depth=1
	s_or_b32 exec_lo, exec_lo, s10
	s_and_saveexec_b32 s10, s94
	s_cbranch_execz .LBB156_367
; %bb.366:                              ;   in Loop: Header=BB156_3 Depth=1
	ds_load_b64 v[38:39], v5 offset:10400
	v_dual_mov_b32 v40, v37 :: v_dual_mov_b32 v41, v36
	s_wait_dscnt 0x0
	s_delay_alu instid0(VALU_DEP_1) | instskip(NEXT) | instid1(VALU_DEP_1)
	v_dual_mul_f32 v42, v40, v38 :: v_dual_mul_f32 v98, v37, v39
	v_pk_fma_f32 v[40:41], v[40:41], v[38:39], v[42:43] op_sel_hi:[1,1,0]
	s_delay_alu instid0(VALU_DEP_2) | instskip(NEXT) | instid1(VALU_DEP_2)
	v_pk_fma_f32 v[36:37], v[36:37], v[38:39], v[98:99] op_sel_hi:[1,1,0] neg_lo:[0,0,1] neg_hi:[0,0,1]
	v_mov_b32_e32 v37, v41
	ds_store_b64 v50, v[36:37]
.LBB156_367:                            ;   in Loop: Header=BB156_3 Depth=1
	s_or_b32 exec_lo, exec_lo, s10
	s_wait_dscnt 0x0
	s_barrier_signal -1
	s_barrier_wait -1
	s_and_saveexec_b32 s10, s95
	s_cbranch_execz .LBB156_369
; %bb.368:                              ;   in Loop: Header=BB156_3 Depth=1
	ds_load_b64 v[38:39], v48 offset:10400
	ds_load_b64 v[40:41], v50
	s_wait_dscnt 0x0
	v_dual_mul_f32 v42, v41, v39 :: v_dual_mul_f32 v99, v40, v39
	s_delay_alu instid0(VALU_DEP_1) | instskip(NEXT) | instid1(VALU_DEP_1)
	v_dual_fma_f32 v98, v40, v38, -v42 :: v_dual_fmac_f32 v99, v41, v38
	v_pk_add_f32 v[36:37], v[36:37], v[98:99]
.LBB156_369:                            ;   in Loop: Header=BB156_3 Depth=1
	s_or_b32 exec_lo, exec_lo, s10
	s_barrier_signal -1
	s_barrier_wait -1
	s_and_saveexec_b32 s10, s96
	s_cbranch_execz .LBB156_371
; %bb.370:                              ;   in Loop: Header=BB156_3 Depth=1
	ds_load_b64 v[38:39], v5 offset:10920
	s_wait_dscnt 0x0
	v_pk_mul_f32 v[40:41], v[36:37], v[38:39] op_sel:[1,1] op_sel_hi:[1,0]
	s_delay_alu instid0(VALU_DEP_1) | instskip(SKIP_1) | instid1(VALU_DEP_2)
	v_pk_fma_f32 v[98:99], v[36:37], v[38:39], v[40:41] op_sel_hi:[0,1,1]
	v_pk_fma_f32 v[38:39], v[36:37], v[38:39], v[40:41] neg_lo:[0,0,1] neg_hi:[0,0,1]
	v_mov_b32_e32 v39, v99
	s_delay_alu instid0(VALU_DEP_1)
	v_mov_b64_e32 v[36:37], v[38:39]
	ds_store_b64 v50, v[38:39]
.LBB156_371:                            ;   in Loop: Header=BB156_3 Depth=1
	s_or_b32 exec_lo, exec_lo, s10
	s_wait_dscnt 0x0
	s_barrier_signal -1
	s_barrier_wait -1
	s_and_saveexec_b32 s10, s97
	s_cbranch_execz .LBB156_373
; %bb.372:                              ;   in Loop: Header=BB156_3 Depth=1
	ds_load_b64 v[38:39], v48 offset:10912
	ds_load_b64 v[40:41], v50
	s_wait_dscnt 0x0
	v_pk_mul_f32 v[98:99], v[40:41], v[38:39] op_sel:[1,1] op_sel_hi:[0,1]
	s_delay_alu instid0(VALU_DEP_1) | instskip(SKIP_1) | instid1(VALU_DEP_2)
	v_pk_fma_f32 v[100:101], v[40:41], v[38:39], v[98:99] op_sel_hi:[1,0,1]
	v_pk_fma_f32 v[38:39], v[40:41], v[38:39], v[98:99] neg_lo:[0,0,1] neg_hi:[0,0,1]
	v_mov_b32_e32 v39, v101
	s_delay_alu instid0(VALU_DEP_1)
	v_pk_add_f32 v[36:37], v[36:37], v[38:39]
.LBB156_373:                            ;   in Loop: Header=BB156_3 Depth=1
	s_or_b32 exec_lo, exec_lo, s10
	s_barrier_signal -1
	s_barrier_wait -1
	s_and_saveexec_b32 s10, s98
	s_cbranch_execz .LBB156_375
; %bb.374:                              ;   in Loop: Header=BB156_3 Depth=1
	ds_load_b64 v[38:39], v5 offset:11440
	s_wait_dscnt 0x0
	v_pk_mul_f32 v[40:41], v[36:37], v[38:39] op_sel:[1,1] op_sel_hi:[1,0]
	s_delay_alu instid0(VALU_DEP_1) | instskip(SKIP_1) | instid1(VALU_DEP_2)
	v_pk_fma_f32 v[98:99], v[36:37], v[38:39], v[40:41] op_sel_hi:[0,1,1]
	v_pk_fma_f32 v[38:39], v[36:37], v[38:39], v[40:41] neg_lo:[0,0,1] neg_hi:[0,0,1]
	v_mov_b32_e32 v39, v99
	s_delay_alu instid0(VALU_DEP_1)
	v_mov_b64_e32 v[36:37], v[38:39]
	ds_store_b64 v50, v[38:39]
.LBB156_375:                            ;   in Loop: Header=BB156_3 Depth=1
	s_or_b32 exec_lo, exec_lo, s10
	s_wait_dscnt 0x0
	s_barrier_signal -1
	s_barrier_wait -1
	s_and_saveexec_b32 s10, s99
	s_cbranch_execz .LBB156_377
; %bb.376:                              ;   in Loop: Header=BB156_3 Depth=1
	ds_load_b64 v[38:39], v5 offset:11448
	ds_load_b64 v[40:41], v50
	s_wait_dscnt 0x0
	v_pk_mul_f32 v[98:99], v[40:41], v[38:39] op_sel:[1,1] op_sel_hi:[0,1]
	s_delay_alu instid0(VALU_DEP_1) | instskip(SKIP_1) | instid1(VALU_DEP_2)
	v_pk_fma_f32 v[100:101], v[40:41], v[38:39], v[98:99] op_sel_hi:[1,0,1]
	v_pk_fma_f32 v[38:39], v[40:41], v[38:39], v[98:99] neg_lo:[0,0,1] neg_hi:[0,0,1]
	v_mov_b32_e32 v39, v101
	s_delay_alu instid0(VALU_DEP_1)
	v_pk_add_f32 v[36:37], v[36:37], v[38:39]
.LBB156_377:                            ;   in Loop: Header=BB156_3 Depth=1
	s_or_b32 exec_lo, exec_lo, s10
	s_barrier_signal -1
	s_barrier_wait -1
	s_and_saveexec_b32 s10, s99
	s_cbranch_execz .LBB156_379
; %bb.378:                              ;   in Loop: Header=BB156_3 Depth=1
	ds_load_b64 v[38:39], v5 offset:11960
	s_wait_dscnt 0x0
	v_pk_mul_f32 v[40:41], v[36:37], v[38:39] op_sel:[1,1] op_sel_hi:[1,0]
	s_delay_alu instid0(VALU_DEP_1) | instskip(SKIP_1) | instid1(VALU_DEP_2)
	v_pk_fma_f32 v[98:99], v[36:37], v[38:39], v[40:41] op_sel_hi:[0,1,1]
	v_pk_fma_f32 v[38:39], v[36:37], v[38:39], v[40:41] neg_lo:[0,0,1] neg_hi:[0,0,1]
	v_mov_b32_e32 v39, v99
	s_delay_alu instid0(VALU_DEP_1)
	v_mov_b64_e32 v[36:37], v[38:39]
	ds_store_b64 v50, v[38:39]
.LBB156_379:                            ;   in Loop: Header=BB156_3 Depth=1
	s_or_b32 exec_lo, exec_lo, s10
	s_wait_dscnt 0x0
	s_barrier_signal -1
	s_barrier_wait -1
	s_barrier_signal -1
	s_barrier_wait -1
	s_and_saveexec_b32 s10, s3
; %bb.380:                              ;   in Loop: Header=BB156_3 Depth=1
	v_pk_add_f32 v[36:37], v[36:37], 0 neg_lo:[1,1] neg_hi:[1,1]
	ds_store_b64 v51, v[36:37] offset:8352
; %bb.381:                              ;   in Loop: Header=BB156_3 Depth=1
	s_or_b32 exec_lo, exec_lo, s10
	s_wait_dscnt 0x0
	s_barrier_signal -1
	s_barrier_wait -1
	s_barrier_signal -1
	s_barrier_wait -1
	s_and_saveexec_b32 s10, s100
	s_cbranch_execz .LBB156_383
; %bb.382:                              ;   in Loop: Header=BB156_3 Depth=1
	ds_load_b64 v[36:37], v55 offset:8352
	s_wait_dscnt 0x0
	ds_store_b64 v56, v[36:37] offset:10368
	ds_load_b64 v[36:37], v55 offset:8360
	s_wait_dscnt 0x0
	ds_store_b64 v56, v[36:37] offset:10880
	;; [unrolled: 3-line block ×4, first 2 shown]
.LBB156_383:                            ;   in Loop: Header=BB156_3 Depth=1
	s_or_b32 exec_lo, exec_lo, s10
	s_wait_dscnt 0x0
	s_barrier_signal -1
	s_barrier_wait -1
	s_and_saveexec_b32 s10, s14
	s_cbranch_execz .LBB156_385
; %bb.384:                              ;   in Loop: Header=BB156_3 Depth=1
	ds_load_b128 v[36:39], v5 offset:10400
	ds_load_b64 v[40:41], v5 offset:10920
	s_wait_dscnt 0x1
	v_dual_mov_b32 v98, v39 :: v_dual_mov_b32 v99, v38
	s_wait_dscnt 0x0
	v_dual_mul_f32 v97, v41, v37 :: v_dual_mul_f32 v42, v40, v37
	s_delay_alu instid0(VALU_DEP_1) | instskip(NEXT) | instid1(VALU_DEP_1)
	v_xor_b32_e32 v100, 0x80000000, v97
	v_dual_fmac_f32 v42, v41, v36 :: v_dual_fmac_f32 v100, v40, v36
	s_delay_alu instid0(VALU_DEP_1) | instskip(NEXT) | instid1(VALU_DEP_1)
	v_pk_mul_f32 v[36:37], v[42:43], v[98:99] op_sel_hi:[0,1]
	v_pk_fma_f32 v[40:41], v[100:101], v[38:39], v[36:37] op_sel_hi:[0,1,1]
	v_pk_fma_f32 v[36:37], v[100:101], v[38:39], v[36:37] neg_lo:[0,0,1] neg_hi:[0,0,1]
	v_add_nc_u32_e64 v38, 0x2800, 0
	s_delay_alu instid0(VALU_DEP_3)
	v_mov_b32_e32 v37, v41
	ds_store_2addr_b64 v38, v[36:37], v[36:37] offset0:21 offset1:84
.LBB156_385:                            ;   in Loop: Header=BB156_3 Depth=1
	s_or_b32 exec_lo, exec_lo, s10
	v_mov_b32_e32 v37, 0
	s_wait_dscnt 0x0
	s_barrier_signal -1
	s_barrier_wait -1
	s_delay_alu instid0(VALU_DEP_1)
	v_mov_b32_e32 v36, v37
	s_and_saveexec_b32 s10, s1
	s_cbranch_execz .LBB156_389
; %bb.386:                              ;   in Loop: Header=BB156_3 Depth=1
	ds_load_b64 v[36:37], v44 offset:10416
	ds_load_b64 v[38:39], v45 offset:10400
	s_wait_dscnt 0x0
	v_dual_mul_f32 v40, v39, v37 :: v_dual_mul_f32 v41, v38, v37
	s_delay_alu instid0(VALU_DEP_1) | instskip(NEXT) | instid1(VALU_DEP_1)
	v_dual_fma_f32 v40, v38, v36, -v40 :: v_dual_fmac_f32 v41, v39, v36
	v_pk_add_f32 v[36:37], v[40:41], 0 op_sel_hi:[1,0]
	s_and_saveexec_b32 s12, s15
	s_cbranch_execz .LBB156_388
; %bb.387:                              ;   in Loop: Header=BB156_3 Depth=1
	ds_load_b64 v[38:39], v56 offset:10928
	ds_load_b64 v[40:41], v5 offset:10408
	s_wait_dscnt 0x0
	v_pk_mul_f32 v[98:99], v[40:41], v[38:39] op_sel:[1,1] op_sel_hi:[0,1]
	s_delay_alu instid0(VALU_DEP_1) | instskip(SKIP_1) | instid1(VALU_DEP_2)
	v_pk_fma_f32 v[100:101], v[40:41], v[38:39], v[98:99] op_sel_hi:[1,0,1]
	v_pk_fma_f32 v[38:39], v[40:41], v[38:39], v[98:99] neg_lo:[0,0,1] neg_hi:[0,0,1]
	v_mov_b32_e32 v39, v101
	s_delay_alu instid0(VALU_DEP_1)
	v_pk_add_f32 v[36:37], v[36:37], v[38:39]
.LBB156_388:                            ;   in Loop: Header=BB156_3 Depth=1
	s_or_b32 exec_lo, exec_lo, s12
	s_delay_alu instid0(VALU_DEP_1)
	v_pk_add_f32 v[36:37], v[36:37], 0 neg_lo:[1,1] neg_hi:[1,1]
.LBB156_389:                            ;   in Loop: Header=BB156_3 Depth=1
	s_or_b32 exec_lo, exec_lo, s10
	s_and_saveexec_b32 s10, s91
	s_cbranch_execz .LBB156_391
; %bb.390:                              ;   in Loop: Header=BB156_3 Depth=1
	ds_load_b64 v[38:39], v5 offset:11440
	s_wait_dscnt 0x0
	v_pk_mul_f32 v[40:41], v[36:37], v[38:39] op_sel:[1,1] op_sel_hi:[1,0]
	s_delay_alu instid0(VALU_DEP_1) | instskip(SKIP_1) | instid1(VALU_DEP_2)
	v_pk_fma_f32 v[98:99], v[36:37], v[38:39], v[40:41] op_sel_hi:[0,1,1]
	v_pk_fma_f32 v[38:39], v[36:37], v[38:39], v[40:41] neg_lo:[0,0,1] neg_hi:[0,0,1]
	v_mov_b32_e32 v39, v99
	s_delay_alu instid0(VALU_DEP_1)
	v_mov_b64_e32 v[36:37], v[38:39]
	ds_store_b64 v3, v[38:39]
.LBB156_391:                            ;   in Loop: Header=BB156_3 Depth=1
	s_or_b32 exec_lo, exec_lo, s10
	s_wait_dscnt 0x0
	s_barrier_signal -1
	s_barrier_wait -1
	s_and_saveexec_b32 s10, s92
	s_cbranch_execz .LBB156_393
; %bb.392:                              ;   in Loop: Header=BB156_3 Depth=1
	ds_load_b64 v[38:39], v5 offset:11448
	ds_load_b64 v[40:41], v3
	s_wait_dscnt 0x0
	v_pk_mul_f32 v[98:99], v[40:41], v[38:39] op_sel:[1,1] op_sel_hi:[0,1]
	s_delay_alu instid0(VALU_DEP_1) | instskip(SKIP_1) | instid1(VALU_DEP_2)
	v_pk_fma_f32 v[100:101], v[40:41], v[38:39], v[98:99] op_sel_hi:[1,0,1]
	v_pk_fma_f32 v[38:39], v[40:41], v[38:39], v[98:99] neg_lo:[0,0,1] neg_hi:[0,0,1]
	v_mov_b32_e32 v39, v101
	s_delay_alu instid0(VALU_DEP_1)
	v_pk_add_f32 v[36:37], v[36:37], v[38:39]
.LBB156_393:                            ;   in Loop: Header=BB156_3 Depth=1
	s_or_b32 exec_lo, exec_lo, s10
	s_barrier_signal -1
	s_barrier_wait -1
	s_and_saveexec_b32 s10, s92
	s_cbranch_execz .LBB156_395
; %bb.394:                              ;   in Loop: Header=BB156_3 Depth=1
	ds_load_b64 v[38:39], v5 offset:11960
	s_wait_dscnt 0x0
	v_pk_mul_f32 v[40:41], v[36:37], v[38:39] op_sel:[1,1] op_sel_hi:[1,0]
	s_delay_alu instid0(VALU_DEP_1) | instskip(SKIP_1) | instid1(VALU_DEP_2)
	v_pk_fma_f32 v[98:99], v[36:37], v[38:39], v[40:41] op_sel_hi:[0,1,1]
	v_pk_fma_f32 v[38:39], v[36:37], v[38:39], v[40:41] neg_lo:[0,0,1] neg_hi:[0,0,1]
	v_mov_b32_e32 v39, v99
	s_delay_alu instid0(VALU_DEP_1)
	v_mov_b64_e32 v[36:37], v[38:39]
	ds_store_b64 v3, v[38:39]
.LBB156_395:                            ;   in Loop: Header=BB156_3 Depth=1
	s_or_b32 exec_lo, exec_lo, s10
	s_wait_dscnt 0x0
	s_barrier_signal -1
	s_barrier_wait -1
	s_barrier_signal -1
	s_barrier_wait -1
	s_and_saveexec_b32 s10, s1
; %bb.396:                              ;   in Loop: Header=BB156_3 Depth=1
	v_pk_add_f32 v[36:37], v[36:37], 0 neg_lo:[1,1] neg_hi:[1,1]
	ds_store_b64 v44, v[36:37] offset:10416
; %bb.397:                              ;   in Loop: Header=BB156_3 Depth=1
	s_or_b32 exec_lo, exec_lo, s10
	s_wait_dscnt 0x0
	s_barrier_signal -1
	s_barrier_wait -1
	s_barrier_signal -1
	s_barrier_wait -1
	s_and_saveexec_b32 s10, s93
	s_cbranch_execz .LBB156_399
; %bb.398:                              ;   in Loop: Header=BB156_3 Depth=1
	ds_load_b64 v[36:37], v58 offset:10416
	s_wait_dscnt 0x0
	ds_store_b64 v56, v[36:37] offset:11424
	ds_load_b64 v[36:37], v58 offset:10424
	s_wait_dscnt 0x0
	ds_store_b64 v56, v[36:37] offset:11936
.LBB156_399:                            ;   in Loop: Header=BB156_3 Depth=1
	s_or_b32 exec_lo, exec_lo, s10
	s_wait_dscnt 0x0
	s_barrier_signal -1
	s_barrier_wait -1
	s_and_saveexec_b32 s10, s14
	s_cbranch_execz .LBB156_401
; %bb.400:                              ;   in Loop: Header=BB156_3 Depth=1
	ds_load_b128 v[36:39], v5 offset:11440
	ds_load_b64 v[40:41], v5 offset:11960
	s_wait_dscnt 0x1
	v_dual_mov_b32 v98, v39 :: v_dual_mov_b32 v99, v38
	s_wait_dscnt 0x0
	v_dual_mul_f32 v97, v41, v37 :: v_dual_mul_f32 v42, v40, v37
	s_delay_alu instid0(VALU_DEP_1) | instskip(NEXT) | instid1(VALU_DEP_1)
	v_xor_b32_e32 v100, 0x80000000, v97
	v_dual_fmac_f32 v42, v41, v36 :: v_dual_fmac_f32 v100, v40, v36
	s_delay_alu instid0(VALU_DEP_1) | instskip(NEXT) | instid1(VALU_DEP_1)
	v_pk_mul_f32 v[36:37], v[42:43], v[98:99] op_sel_hi:[0,1]
	v_pk_fma_f32 v[40:41], v[100:101], v[38:39], v[36:37] op_sel_hi:[0,1,1]
	v_pk_fma_f32 v[36:37], v[100:101], v[38:39], v[36:37] neg_lo:[0,0,1] neg_hi:[0,0,1]
	v_add_nc_u32_e64 v38, 0x2800, 0
	s_delay_alu instid0(VALU_DEP_3)
	v_mov_b32_e32 v37, v41
	ds_store_2addr_b64 v38, v[36:37], v[36:37] offset0:151 offset1:214
.LBB156_401:                            ;   in Loop: Header=BB156_3 Depth=1
	s_or_b32 exec_lo, exec_lo, s10
	v_mov_b32_e32 v36, 0
	s_wait_dscnt 0x0
	s_barrier_signal -1
	s_barrier_wait -1
	s_delay_alu instid0(VALU_DEP_1)
	v_mov_b32_e32 v37, v36
	s_and_saveexec_b32 s10, s4
	s_cbranch_execz .LBB156_411
; %bb.402:                              ;   in Loop: Header=BB156_3 Depth=1
	ds_load_b64 v[36:37], v61 offset:8384
	ds_load_b64 v[38:39], v57 offset:8320
	s_wait_dscnt 0x0
	v_dual_mul_f32 v40, v39, v37 :: v_dual_mul_f32 v41, v38, v37
	s_delay_alu instid0(VALU_DEP_1) | instskip(NEXT) | instid1(VALU_DEP_1)
	v_dual_fma_f32 v37, v38, v36, -v40 :: v_dual_fmac_f32 v41, v39, v36
	v_add_f32_e32 v37, 0, v37
	s_delay_alu instid0(VALU_DEP_2)
	v_add_f32_e32 v36, 0, v41
	s_and_saveexec_b32 s12, s18
	s_cbranch_execnz .LBB156_1140
; %bb.403:                              ;   in Loop: Header=BB156_3 Depth=1
	s_or_b32 exec_lo, exec_lo, s12
	s_and_saveexec_b32 s12, s19
	s_cbranch_execnz .LBB156_1141
.LBB156_404:                            ;   in Loop: Header=BB156_3 Depth=1
	s_or_b32 exec_lo, exec_lo, s12
	s_and_saveexec_b32 s12, s20
	s_cbranch_execnz .LBB156_1142
.LBB156_405:                            ;   in Loop: Header=BB156_3 Depth=1
	s_or_b32 exec_lo, exec_lo, s12
	s_and_saveexec_b32 s12, s21
	s_cbranch_execnz .LBB156_1143
.LBB156_406:                            ;   in Loop: Header=BB156_3 Depth=1
	s_or_b32 exec_lo, exec_lo, s12
	s_and_saveexec_b32 s12, s22
	s_cbranch_execnz .LBB156_1144
.LBB156_407:                            ;   in Loop: Header=BB156_3 Depth=1
	s_or_b32 exec_lo, exec_lo, s12
	s_and_saveexec_b32 s12, s3
	s_cbranch_execnz .LBB156_1145
.LBB156_408:                            ;   in Loop: Header=BB156_3 Depth=1
	s_or_b32 exec_lo, exec_lo, s12
	s_and_saveexec_b32 s12, s17
	s_cbranch_execz .LBB156_410
.LBB156_409:                            ;   in Loop: Header=BB156_3 Depth=1
	ds_load_b64 v[38:39], v63 offset:11968
	ds_load_b64 v[40:41], v5 offset:8376
	s_wait_dscnt 0x0
	v_pk_mul_f32 v[98:99], v[40:41], v[38:39] op_sel:[0,1]
	s_delay_alu instid0(VALU_DEP_1) | instskip(SKIP_1) | instid1(VALU_DEP_2)
	v_pk_fma_f32 v[100:101], v[40:41], v[38:39], v[98:99] op_sel:[1,0,0] op_sel_hi:[0,0,1] neg_lo:[0,0,1] neg_hi:[0,0,1]
	v_pk_fma_f32 v[38:39], v[40:41], v[38:39], v[98:99] op_sel:[1,0,0] op_sel_hi:[0,1,1]
	v_mov_b32_e32 v39, v101
	s_delay_alu instid0(VALU_DEP_1)
	v_pk_add_f32 v[36:37], v[36:37], v[38:39]
.LBB156_410:                            ;   in Loop: Header=BB156_3 Depth=1
	s_or_b32 exec_lo, exec_lo, s12
	s_delay_alu instid0(VALU_DEP_1) | instskip(NEXT) | instid1(VALU_DEP_1)
	v_pk_add_f32 v[38:39], v[36:37], 0 neg_lo:[1,1] neg_hi:[1,1]
	v_dual_mov_b32 v36, v39 :: v_dual_mov_b32 v37, v38
.LBB156_411:                            ;   in Loop: Header=BB156_3 Depth=1
	s_or_b32 exec_lo, exec_lo, s10
	s_and_saveexec_b32 s10, s101
	s_cbranch_execz .LBB156_413
; %bb.412:                              ;   in Loop: Header=BB156_3 Depth=1
	ds_load_b64 v[38:39], v5 offset:12480
	v_dual_mov_b32 v40, v37 :: v_dual_mov_b32 v41, v36
	s_wait_dscnt 0x0
	s_delay_alu instid0(VALU_DEP_1) | instskip(NEXT) | instid1(VALU_DEP_1)
	v_dual_mul_f32 v42, v40, v38 :: v_dual_mul_f32 v98, v37, v39
	v_pk_fma_f32 v[40:41], v[40:41], v[38:39], v[42:43] op_sel_hi:[1,1,0]
	s_delay_alu instid0(VALU_DEP_2) | instskip(NEXT) | instid1(VALU_DEP_2)
	v_pk_fma_f32 v[36:37], v[36:37], v[38:39], v[98:99] op_sel_hi:[1,1,0] neg_lo:[0,0,1] neg_hi:[0,0,1]
	v_mov_b32_e32 v37, v41
	ds_store_b64 v60, v[36:37]
.LBB156_413:                            ;   in Loop: Header=BB156_3 Depth=1
	s_or_b32 exec_lo, exec_lo, s10
	s_wait_dscnt 0x0
	s_barrier_signal -1
	s_barrier_wait -1
	s_and_saveexec_b32 s10, s102
	s_cbranch_execz .LBB156_415
; %bb.414:                              ;   in Loop: Header=BB156_3 Depth=1
	ds_load_b64 v[38:39], v59 offset:12480
	ds_load_b64 v[40:41], v60
	s_wait_dscnt 0x0
	v_dual_mul_f32 v42, v41, v39 :: v_dual_mul_f32 v99, v40, v39
	s_delay_alu instid0(VALU_DEP_1) | instskip(NEXT) | instid1(VALU_DEP_1)
	v_dual_fma_f32 v98, v40, v38, -v42 :: v_dual_fmac_f32 v99, v41, v38
	v_pk_add_f32 v[36:37], v[36:37], v[98:99]
.LBB156_415:                            ;   in Loop: Header=BB156_3 Depth=1
	s_or_b32 exec_lo, exec_lo, s10
	s_barrier_signal -1
	s_barrier_wait -1
	s_and_saveexec_b32 s10, s103
	s_cbranch_execz .LBB156_417
; %bb.416:                              ;   in Loop: Header=BB156_3 Depth=1
	ds_load_b64 v[38:39], v5 offset:13000
	s_wait_dscnt 0x0
	v_pk_mul_f32 v[40:41], v[36:37], v[38:39] op_sel:[1,1] op_sel_hi:[1,0]
	s_delay_alu instid0(VALU_DEP_1) | instskip(SKIP_1) | instid1(VALU_DEP_2)
	v_pk_fma_f32 v[98:99], v[36:37], v[38:39], v[40:41] op_sel_hi:[0,1,1]
	v_pk_fma_f32 v[36:37], v[36:37], v[38:39], v[40:41] op_sel_hi:[0,1,1] neg_lo:[0,0,1] neg_hi:[0,0,1]
	v_mov_b32_e32 v37, v99
	ds_store_b64 v60, v[36:37]
.LBB156_417:                            ;   in Loop: Header=BB156_3 Depth=1
	s_or_b32 exec_lo, exec_lo, s10
	s_wait_dscnt 0x0
	s_barrier_signal -1
	s_barrier_wait -1
	s_and_saveexec_b32 s10, s104
	s_cbranch_execz .LBB156_419
; %bb.418:                              ;   in Loop: Header=BB156_3 Depth=1
	ds_load_b64 v[38:39], v59 offset:12992
	ds_load_b64 v[40:41], v60
	s_wait_dscnt 0x0
	v_pk_mul_f32 v[98:99], v[40:41], v[38:39] op_sel:[1,1] op_sel_hi:[0,1]
	s_delay_alu instid0(VALU_DEP_1) | instskip(SKIP_1) | instid1(VALU_DEP_2)
	v_pk_fma_f32 v[100:101], v[40:41], v[38:39], v[98:99] op_sel_hi:[1,0,1]
	v_pk_fma_f32 v[38:39], v[40:41], v[38:39], v[98:99] op_sel_hi:[1,0,1] neg_lo:[0,0,1] neg_hi:[0,0,1]
	v_mov_b32_e32 v39, v101
	s_delay_alu instid0(VALU_DEP_1)
	v_pk_add_f32 v[36:37], v[36:37], v[38:39]
.LBB156_419:                            ;   in Loop: Header=BB156_3 Depth=1
	s_or_b32 exec_lo, exec_lo, s10
	s_barrier_signal -1
	s_barrier_wait -1
	s_and_saveexec_b32 s10, vcc_hi
	s_cbranch_execz .LBB156_421
; %bb.420:                              ;   in Loop: Header=BB156_3 Depth=1
	ds_load_b64 v[38:39], v5 offset:13520
	s_wait_dscnt 0x0
	v_pk_mul_f32 v[40:41], v[36:37], v[38:39] op_sel:[1,1] op_sel_hi:[1,0]
	s_delay_alu instid0(VALU_DEP_1) | instskip(SKIP_1) | instid1(VALU_DEP_2)
	v_pk_fma_f32 v[98:99], v[36:37], v[38:39], v[40:41] op_sel_hi:[0,1,1]
	v_pk_fma_f32 v[36:37], v[36:37], v[38:39], v[40:41] op_sel_hi:[0,1,1] neg_lo:[0,0,1] neg_hi:[0,0,1]
	v_mov_b32_e32 v37, v99
	ds_store_b64 v60, v[36:37]
.LBB156_421:                            ;   in Loop: Header=BB156_3 Depth=1
	s_or_b32 exec_lo, exec_lo, s10
	s_wait_dscnt 0x0
	s_barrier_signal -1
	s_barrier_wait -1
	s_and_saveexec_b32 s10, s38
	s_cbranch_execz .LBB156_423
; %bb.422:                              ;   in Loop: Header=BB156_3 Depth=1
	ds_load_b64 v[38:39], v59 offset:13504
	ds_load_b64 v[40:41], v60
	s_wait_dscnt 0x0
	v_pk_mul_f32 v[98:99], v[40:41], v[38:39] op_sel:[1,1] op_sel_hi:[0,1]
	s_delay_alu instid0(VALU_DEP_1) | instskip(SKIP_1) | instid1(VALU_DEP_2)
	v_pk_fma_f32 v[100:101], v[40:41], v[38:39], v[98:99] op_sel_hi:[1,0,1]
	v_pk_fma_f32 v[38:39], v[40:41], v[38:39], v[98:99] op_sel_hi:[1,0,1] neg_lo:[0,0,1] neg_hi:[0,0,1]
	v_mov_b32_e32 v39, v101
	s_delay_alu instid0(VALU_DEP_1)
	v_pk_add_f32 v[36:37], v[36:37], v[38:39]
.LBB156_423:                            ;   in Loop: Header=BB156_3 Depth=1
	s_or_b32 exec_lo, exec_lo, s10
	s_barrier_signal -1
	s_barrier_wait -1
	s_and_saveexec_b32 s10, s39
	s_cbranch_execz .LBB156_425
; %bb.424:                              ;   in Loop: Header=BB156_3 Depth=1
	ds_load_b64 v[38:39], v5 offset:14040
	s_wait_dscnt 0x0
	v_pk_mul_f32 v[40:41], v[36:37], v[38:39] op_sel:[1,1] op_sel_hi:[1,0]
	s_delay_alu instid0(VALU_DEP_1) | instskip(SKIP_1) | instid1(VALU_DEP_2)
	v_pk_fma_f32 v[98:99], v[36:37], v[38:39], v[40:41] op_sel_hi:[0,1,1]
	v_pk_fma_f32 v[36:37], v[36:37], v[38:39], v[40:41] op_sel_hi:[0,1,1] neg_lo:[0,0,1] neg_hi:[0,0,1]
	v_mov_b32_e32 v37, v99
	ds_store_b64 v60, v[36:37]
.LBB156_425:                            ;   in Loop: Header=BB156_3 Depth=1
	s_or_b32 exec_lo, exec_lo, s10
	s_wait_dscnt 0x0
	s_barrier_signal -1
	s_barrier_wait -1
	s_and_saveexec_b32 s10, s40
	s_cbranch_execz .LBB156_427
; %bb.426:                              ;   in Loop: Header=BB156_3 Depth=1
	ds_load_b64 v[38:39], v59 offset:14016
	ds_load_b64 v[40:41], v60
	s_wait_dscnt 0x0
	v_pk_mul_f32 v[98:99], v[40:41], v[38:39] op_sel:[1,1] op_sel_hi:[0,1]
	s_delay_alu instid0(VALU_DEP_1) | instskip(SKIP_1) | instid1(VALU_DEP_2)
	v_pk_fma_f32 v[100:101], v[40:41], v[38:39], v[98:99] op_sel_hi:[1,0,1]
	v_pk_fma_f32 v[38:39], v[40:41], v[38:39], v[98:99] op_sel_hi:[1,0,1] neg_lo:[0,0,1] neg_hi:[0,0,1]
	v_mov_b32_e32 v39, v101
	s_delay_alu instid0(VALU_DEP_1)
	v_pk_add_f32 v[36:37], v[36:37], v[38:39]
.LBB156_427:                            ;   in Loop: Header=BB156_3 Depth=1
	s_or_b32 exec_lo, exec_lo, s10
	s_barrier_signal -1
	s_barrier_wait -1
	s_and_saveexec_b32 s10, s41
	s_cbranch_execz .LBB156_429
; %bb.428:                              ;   in Loop: Header=BB156_3 Depth=1
	ds_load_b64 v[38:39], v5 offset:14560
	s_wait_dscnt 0x0
	v_dual_mul_f32 v40, v36, v39 :: v_dual_mul_f32 v42, v37, v39
	s_delay_alu instid0(VALU_DEP_1) | instskip(NEXT) | instid1(VALU_DEP_2)
	v_pk_fma_f32 v[40:41], v[36:37], v[38:39], v[40:41] op_sel:[0,1,0] op_sel_hi:[1,0,0]
	v_pk_fma_f32 v[38:39], v[36:37], v[38:39], v[42:43] op_sel_hi:[1,1,0] neg_lo:[0,0,1] neg_hi:[0,0,1]
	s_delay_alu instid0(VALU_DEP_2) | instskip(NEXT) | instid1(VALU_DEP_1)
	v_mov_b32_e32 v39, v41
	v_mov_b64_e32 v[36:37], v[38:39]
	ds_store_b64 v60, v[38:39]
.LBB156_429:                            ;   in Loop: Header=BB156_3 Depth=1
	s_or_b32 exec_lo, exec_lo, s10
	s_wait_dscnt 0x0
	s_barrier_signal -1
	s_barrier_wait -1
	s_and_saveexec_b32 s10, s42
	s_cbranch_execz .LBB156_431
; %bb.430:                              ;   in Loop: Header=BB156_3 Depth=1
	ds_load_b64 v[38:39], v59 offset:14528
	ds_load_b64 v[40:41], v60
	s_wait_dscnt 0x0
	v_dual_mul_f32 v42, v41, v39 :: v_dual_mul_f32 v99, v40, v39
	s_delay_alu instid0(VALU_DEP_1) | instskip(NEXT) | instid1(VALU_DEP_1)
	v_dual_fma_f32 v98, v40, v38, -v42 :: v_dual_fmac_f32 v99, v41, v38
	v_pk_add_f32 v[36:37], v[36:37], v[98:99]
.LBB156_431:                            ;   in Loop: Header=BB156_3 Depth=1
	s_or_b32 exec_lo, exec_lo, s10
	s_barrier_signal -1
	s_barrier_wait -1
	s_and_saveexec_b32 s10, s43
	s_cbranch_execz .LBB156_433
; %bb.432:                              ;   in Loop: Header=BB156_3 Depth=1
	ds_load_b64 v[38:39], v5 offset:15080
	s_wait_dscnt 0x0
	v_pk_mul_f32 v[40:41], v[36:37], v[38:39] op_sel:[1,1] op_sel_hi:[1,0]
	s_delay_alu instid0(VALU_DEP_1) | instskip(SKIP_1) | instid1(VALU_DEP_2)
	v_pk_fma_f32 v[98:99], v[36:37], v[38:39], v[40:41] op_sel_hi:[0,1,1]
	v_pk_fma_f32 v[38:39], v[36:37], v[38:39], v[40:41] neg_lo:[0,0,1] neg_hi:[0,0,1]
	v_mov_b32_e32 v39, v99
	s_delay_alu instid0(VALU_DEP_1)
	v_mov_b64_e32 v[36:37], v[38:39]
	ds_store_b64 v60, v[38:39]
.LBB156_433:                            ;   in Loop: Header=BB156_3 Depth=1
	s_or_b32 exec_lo, exec_lo, s10
	s_wait_dscnt 0x0
	s_barrier_signal -1
	s_barrier_wait -1
	s_and_saveexec_b32 s10, s44
	s_cbranch_execz .LBB156_435
; %bb.434:                              ;   in Loop: Header=BB156_3 Depth=1
	ds_load_b64 v[38:39], v59 offset:15040
	ds_load_b64 v[40:41], v60
	s_wait_dscnt 0x0
	v_pk_mul_f32 v[98:99], v[40:41], v[38:39] op_sel:[1,1] op_sel_hi:[0,1]
	s_delay_alu instid0(VALU_DEP_1) | instskip(SKIP_1) | instid1(VALU_DEP_2)
	v_pk_fma_f32 v[100:101], v[40:41], v[38:39], v[98:99] op_sel_hi:[1,0,1]
	v_pk_fma_f32 v[38:39], v[40:41], v[38:39], v[98:99] neg_lo:[0,0,1] neg_hi:[0,0,1]
	v_mov_b32_e32 v39, v101
	s_delay_alu instid0(VALU_DEP_1)
	v_pk_add_f32 v[36:37], v[36:37], v[38:39]
.LBB156_435:                            ;   in Loop: Header=BB156_3 Depth=1
	s_or_b32 exec_lo, exec_lo, s10
	s_barrier_signal -1
	s_barrier_wait -1
	s_and_saveexec_b32 s10, s45
	s_cbranch_execz .LBB156_437
; %bb.436:                              ;   in Loop: Header=BB156_3 Depth=1
	ds_load_b64 v[38:39], v5 offset:15600
	s_wait_dscnt 0x0
	v_pk_mul_f32 v[40:41], v[36:37], v[38:39] op_sel:[1,1] op_sel_hi:[1,0]
	s_delay_alu instid0(VALU_DEP_1) | instskip(SKIP_1) | instid1(VALU_DEP_2)
	v_pk_fma_f32 v[98:99], v[36:37], v[38:39], v[40:41] op_sel_hi:[0,1,1]
	v_pk_fma_f32 v[38:39], v[36:37], v[38:39], v[40:41] neg_lo:[0,0,1] neg_hi:[0,0,1]
	v_mov_b32_e32 v39, v99
	s_delay_alu instid0(VALU_DEP_1)
	v_mov_b64_e32 v[36:37], v[38:39]
	ds_store_b64 v60, v[38:39]
.LBB156_437:                            ;   in Loop: Header=BB156_3 Depth=1
	s_or_b32 exec_lo, exec_lo, s10
	s_wait_dscnt 0x0
	s_barrier_signal -1
	s_barrier_wait -1
	s_and_saveexec_b32 s10, s46
	s_cbranch_execz .LBB156_439
; %bb.438:                              ;   in Loop: Header=BB156_3 Depth=1
	ds_load_b64 v[38:39], v5 offset:15608
	ds_load_b64 v[40:41], v60
	s_wait_dscnt 0x0
	v_pk_mul_f32 v[98:99], v[40:41], v[38:39] op_sel:[1,1] op_sel_hi:[0,1]
	s_delay_alu instid0(VALU_DEP_1) | instskip(SKIP_1) | instid1(VALU_DEP_2)
	v_pk_fma_f32 v[100:101], v[40:41], v[38:39], v[98:99] op_sel_hi:[1,0,1]
	v_pk_fma_f32 v[38:39], v[40:41], v[38:39], v[98:99] neg_lo:[0,0,1] neg_hi:[0,0,1]
	v_mov_b32_e32 v39, v101
	s_delay_alu instid0(VALU_DEP_1)
	v_pk_add_f32 v[36:37], v[36:37], v[38:39]
.LBB156_439:                            ;   in Loop: Header=BB156_3 Depth=1
	s_or_b32 exec_lo, exec_lo, s10
	s_barrier_signal -1
	s_barrier_wait -1
	s_and_saveexec_b32 s10, s46
	s_cbranch_execz .LBB156_441
; %bb.440:                              ;   in Loop: Header=BB156_3 Depth=1
	ds_load_b64 v[38:39], v5 offset:16120
	s_wait_dscnt 0x0
	v_pk_mul_f32 v[40:41], v[36:37], v[38:39] op_sel:[1,1] op_sel_hi:[1,0]
	s_delay_alu instid0(VALU_DEP_1) | instskip(SKIP_1) | instid1(VALU_DEP_2)
	v_pk_fma_f32 v[98:99], v[36:37], v[38:39], v[40:41] op_sel_hi:[0,1,1]
	v_pk_fma_f32 v[38:39], v[36:37], v[38:39], v[40:41] neg_lo:[0,0,1] neg_hi:[0,0,1]
	v_mov_b32_e32 v39, v99
	s_delay_alu instid0(VALU_DEP_1)
	v_mov_b64_e32 v[36:37], v[38:39]
	ds_store_b64 v60, v[38:39]
.LBB156_441:                            ;   in Loop: Header=BB156_3 Depth=1
	s_or_b32 exec_lo, exec_lo, s10
	s_wait_dscnt 0x0
	s_barrier_signal -1
	s_barrier_wait -1
	s_barrier_signal -1
	s_barrier_wait -1
	s_and_saveexec_b32 s10, s4
; %bb.442:                              ;   in Loop: Header=BB156_3 Depth=1
	v_pk_add_f32 v[36:37], v[36:37], 0 neg_lo:[1,1] neg_hi:[1,1]
	ds_store_b64 v61, v[36:37] offset:8384
; %bb.443:                              ;   in Loop: Header=BB156_3 Depth=1
	s_or_b32 exec_lo, exec_lo, s10
	s_wait_dscnt 0x0
	s_barrier_signal -1
	s_barrier_wait -1
	s_barrier_signal -1
	s_barrier_wait -1
	s_and_saveexec_b32 s10, s47
	s_cbranch_execz .LBB156_445
; %bb.444:                              ;   in Loop: Header=BB156_3 Depth=1
	ds_load_b64 v[36:37], v72 offset:8384
	s_wait_dscnt 0x0
	ds_store_b64 v73, v[36:37] offset:12416
	ds_load_b64 v[36:37], v72 offset:8392
	s_wait_dscnt 0x0
	ds_store_b64 v73, v[36:37] offset:12928
	;; [unrolled: 3-line block ×8, first 2 shown]
.LBB156_445:                            ;   in Loop: Header=BB156_3 Depth=1
	s_or_b32 exec_lo, exec_lo, s10
	s_wait_dscnt 0x0
	s_barrier_signal -1
	s_barrier_wait -1
	s_and_saveexec_b32 s10, s14
	s_cbranch_execz .LBB156_447
; %bb.446:                              ;   in Loop: Header=BB156_3 Depth=1
	ds_load_b128 v[36:39], v5 offset:12480
	ds_load_b64 v[40:41], v5 offset:13000
	s_wait_dscnt 0x1
	v_dual_mov_b32 v98, v39 :: v_dual_mov_b32 v99, v38
	s_wait_dscnt 0x0
	v_dual_mul_f32 v97, v41, v37 :: v_dual_mul_f32 v42, v40, v37
	s_delay_alu instid0(VALU_DEP_1) | instskip(NEXT) | instid1(VALU_DEP_1)
	v_xor_b32_e32 v100, 0x80000000, v97
	v_dual_fmac_f32 v42, v41, v36 :: v_dual_fmac_f32 v100, v40, v36
	s_delay_alu instid0(VALU_DEP_1) | instskip(NEXT) | instid1(VALU_DEP_1)
	v_pk_mul_f32 v[36:37], v[42:43], v[98:99] op_sel_hi:[0,1]
	v_pk_fma_f32 v[40:41], v[100:101], v[38:39], v[36:37] op_sel_hi:[0,1,1]
	v_pk_fma_f32 v[36:37], v[100:101], v[38:39], v[36:37] neg_lo:[0,0,1] neg_hi:[0,0,1]
	v_add_nc_u32_e64 v38, 0x3000, 0
	s_delay_alu instid0(VALU_DEP_3)
	v_mov_b32_e32 v37, v41
	ds_store_2addr_b64 v38, v[36:37], v[36:37] offset0:25 offset1:88
.LBB156_447:                            ;   in Loop: Header=BB156_3 Depth=1
	s_or_b32 exec_lo, exec_lo, s10
	v_mov_b32_e32 v37, 0
	s_wait_dscnt 0x0
	s_barrier_signal -1
	s_barrier_wait -1
	s_delay_alu instid0(VALU_DEP_1)
	v_mov_b32_e32 v36, v37
	s_and_saveexec_b32 s10, s1
	s_cbranch_execz .LBB156_451
; %bb.448:                              ;   in Loop: Header=BB156_3 Depth=1
	ds_load_b64 v[36:37], v44 offset:12496
	ds_load_b64 v[38:39], v45 offset:12480
	s_wait_dscnt 0x0
	v_dual_mul_f32 v40, v39, v37 :: v_dual_mul_f32 v41, v38, v37
	s_delay_alu instid0(VALU_DEP_1) | instskip(NEXT) | instid1(VALU_DEP_1)
	v_dual_fma_f32 v40, v38, v36, -v40 :: v_dual_fmac_f32 v41, v39, v36
	v_pk_add_f32 v[36:37], v[40:41], 0 op_sel_hi:[1,0]
	s_and_saveexec_b32 s12, s15
	s_cbranch_execz .LBB156_450
; %bb.449:                              ;   in Loop: Header=BB156_3 Depth=1
	ds_load_b64 v[38:39], v73 offset:13008
	ds_load_b64 v[40:41], v5 offset:12488
	s_wait_dscnt 0x0
	v_pk_mul_f32 v[98:99], v[40:41], v[38:39] op_sel:[1,1] op_sel_hi:[0,1]
	s_delay_alu instid0(VALU_DEP_1) | instskip(SKIP_1) | instid1(VALU_DEP_2)
	v_pk_fma_f32 v[100:101], v[40:41], v[38:39], v[98:99] op_sel_hi:[1,0,1]
	v_pk_fma_f32 v[38:39], v[40:41], v[38:39], v[98:99] neg_lo:[0,0,1] neg_hi:[0,0,1]
	v_mov_b32_e32 v39, v101
	s_delay_alu instid0(VALU_DEP_1)
	v_pk_add_f32 v[36:37], v[36:37], v[38:39]
.LBB156_450:                            ;   in Loop: Header=BB156_3 Depth=1
	s_or_b32 exec_lo, exec_lo, s12
	s_delay_alu instid0(VALU_DEP_1)
	v_pk_add_f32 v[36:37], v[36:37], 0 neg_lo:[1,1] neg_hi:[1,1]
.LBB156_451:                            ;   in Loop: Header=BB156_3 Depth=1
	s_or_b32 exec_lo, exec_lo, s10
	s_and_saveexec_b32 s10, s91
	s_cbranch_execz .LBB156_453
; %bb.452:                              ;   in Loop: Header=BB156_3 Depth=1
	ds_load_b64 v[38:39], v5 offset:13520
	s_wait_dscnt 0x0
	v_pk_mul_f32 v[40:41], v[36:37], v[38:39] op_sel:[1,1] op_sel_hi:[1,0]
	s_delay_alu instid0(VALU_DEP_1) | instskip(SKIP_1) | instid1(VALU_DEP_2)
	v_pk_fma_f32 v[98:99], v[36:37], v[38:39], v[40:41] op_sel_hi:[0,1,1]
	v_pk_fma_f32 v[38:39], v[36:37], v[38:39], v[40:41] neg_lo:[0,0,1] neg_hi:[0,0,1]
	v_mov_b32_e32 v39, v99
	s_delay_alu instid0(VALU_DEP_1)
	v_mov_b64_e32 v[36:37], v[38:39]
	ds_store_b64 v3, v[38:39]
.LBB156_453:                            ;   in Loop: Header=BB156_3 Depth=1
	s_or_b32 exec_lo, exec_lo, s10
	s_wait_dscnt 0x0
	s_barrier_signal -1
	s_barrier_wait -1
	s_and_saveexec_b32 s10, s92
	s_cbranch_execz .LBB156_455
; %bb.454:                              ;   in Loop: Header=BB156_3 Depth=1
	ds_load_b64 v[38:39], v5 offset:13528
	ds_load_b64 v[40:41], v3
	s_wait_dscnt 0x0
	v_pk_mul_f32 v[98:99], v[40:41], v[38:39] op_sel:[1,1] op_sel_hi:[0,1]
	s_delay_alu instid0(VALU_DEP_1) | instskip(SKIP_1) | instid1(VALU_DEP_2)
	v_pk_fma_f32 v[100:101], v[40:41], v[38:39], v[98:99] op_sel_hi:[1,0,1]
	v_pk_fma_f32 v[38:39], v[40:41], v[38:39], v[98:99] neg_lo:[0,0,1] neg_hi:[0,0,1]
	v_mov_b32_e32 v39, v101
	s_delay_alu instid0(VALU_DEP_1)
	v_pk_add_f32 v[36:37], v[36:37], v[38:39]
.LBB156_455:                            ;   in Loop: Header=BB156_3 Depth=1
	s_or_b32 exec_lo, exec_lo, s10
	s_barrier_signal -1
	s_barrier_wait -1
	s_and_saveexec_b32 s10, s92
	s_cbranch_execz .LBB156_457
; %bb.456:                              ;   in Loop: Header=BB156_3 Depth=1
	ds_load_b64 v[38:39], v5 offset:14040
	s_wait_dscnt 0x0
	v_pk_mul_f32 v[40:41], v[36:37], v[38:39] op_sel:[1,1] op_sel_hi:[1,0]
	s_delay_alu instid0(VALU_DEP_1) | instskip(SKIP_1) | instid1(VALU_DEP_2)
	v_pk_fma_f32 v[98:99], v[36:37], v[38:39], v[40:41] op_sel_hi:[0,1,1]
	v_pk_fma_f32 v[38:39], v[36:37], v[38:39], v[40:41] neg_lo:[0,0,1] neg_hi:[0,0,1]
	v_mov_b32_e32 v39, v99
	s_delay_alu instid0(VALU_DEP_1)
	v_mov_b64_e32 v[36:37], v[38:39]
	ds_store_b64 v3, v[38:39]
.LBB156_457:                            ;   in Loop: Header=BB156_3 Depth=1
	s_or_b32 exec_lo, exec_lo, s10
	s_wait_dscnt 0x0
	s_barrier_signal -1
	s_barrier_wait -1
	s_barrier_signal -1
	s_barrier_wait -1
	s_and_saveexec_b32 s10, s1
; %bb.458:                              ;   in Loop: Header=BB156_3 Depth=1
	v_pk_add_f32 v[36:37], v[36:37], 0 neg_lo:[1,1] neg_hi:[1,1]
	ds_store_b64 v44, v[36:37] offset:12496
; %bb.459:                              ;   in Loop: Header=BB156_3 Depth=1
	s_or_b32 exec_lo, exec_lo, s10
	s_wait_dscnt 0x0
	s_barrier_signal -1
	s_barrier_wait -1
	s_barrier_signal -1
	s_barrier_wait -1
	s_and_saveexec_b32 s10, s93
	s_cbranch_execz .LBB156_461
; %bb.460:                              ;   in Loop: Header=BB156_3 Depth=1
	ds_load_b64 v[36:37], v74 offset:12496
	s_wait_dscnt 0x0
	ds_store_b64 v73, v[36:37] offset:13504
	ds_load_b64 v[36:37], v74 offset:12504
	s_wait_dscnt 0x0
	ds_store_b64 v73, v[36:37] offset:14016
.LBB156_461:                            ;   in Loop: Header=BB156_3 Depth=1
	s_or_b32 exec_lo, exec_lo, s10
	s_wait_dscnt 0x0
	s_barrier_signal -1
	s_barrier_wait -1
	s_and_saveexec_b32 s10, s14
	s_cbranch_execz .LBB156_463
; %bb.462:                              ;   in Loop: Header=BB156_3 Depth=1
	ds_load_b128 v[36:39], v5 offset:13520
	ds_load_b64 v[40:41], v5 offset:14040
	s_wait_dscnt 0x1
	v_dual_mov_b32 v98, v39 :: v_dual_mov_b32 v99, v38
	s_wait_dscnt 0x0
	v_dual_mul_f32 v97, v41, v37 :: v_dual_mul_f32 v42, v40, v37
	s_delay_alu instid0(VALU_DEP_1) | instskip(NEXT) | instid1(VALU_DEP_1)
	v_xor_b32_e32 v100, 0x80000000, v97
	v_dual_fmac_f32 v42, v41, v36 :: v_dual_fmac_f32 v100, v40, v36
	s_delay_alu instid0(VALU_DEP_1) | instskip(NEXT) | instid1(VALU_DEP_1)
	v_pk_mul_f32 v[36:37], v[42:43], v[98:99] op_sel_hi:[0,1]
	v_pk_fma_f32 v[40:41], v[100:101], v[38:39], v[36:37] op_sel_hi:[0,1,1]
	v_pk_fma_f32 v[36:37], v[100:101], v[38:39], v[36:37] neg_lo:[0,0,1] neg_hi:[0,0,1]
	v_add_nc_u32_e64 v38, 0x3000, 0
	s_delay_alu instid0(VALU_DEP_3)
	v_mov_b32_e32 v37, v41
	ds_store_2addr_b64 v38, v[36:37], v[36:37] offset0:155 offset1:218
.LBB156_463:                            ;   in Loop: Header=BB156_3 Depth=1
	s_or_b32 exec_lo, exec_lo, s10
	v_mov_b32_e32 v36, 0
	s_wait_dscnt 0x0
	s_barrier_signal -1
	s_barrier_wait -1
	s_delay_alu instid0(VALU_DEP_1)
	v_mov_b32_e32 v37, v36
	s_and_saveexec_b32 s10, s3
	s_cbranch_execz .LBB156_469
; %bb.464:                              ;   in Loop: Header=BB156_3 Depth=1
	ds_load_b64 v[36:37], v51 offset:12512
	ds_load_b64 v[38:39], v47 offset:12480
	s_wait_dscnt 0x0
	v_pk_mul_f32 v[40:41], v[38:39], v[36:37] op_sel:[0,1]
	s_delay_alu instid0(VALU_DEP_1) | instskip(SKIP_1) | instid1(VALU_DEP_2)
	v_pk_fma_f32 v[98:99], v[38:39], v[36:37], v[40:41] op_sel:[1,0,0] op_sel_hi:[0,0,1] neg_lo:[0,0,1] neg_hi:[0,0,1]
	v_pk_fma_f32 v[36:37], v[38:39], v[36:37], v[40:41] op_sel:[1,0,0] op_sel_hi:[0,1,1]
	v_mov_b32_e32 v37, v99
	s_delay_alu instid0(VALU_DEP_1)
	v_pk_add_f32 v[36:37], v[36:37], 0 op_sel_hi:[1,0]
	s_and_saveexec_b32 s12, s16
	s_cbranch_execnz .LBB156_1146
; %bb.465:                              ;   in Loop: Header=BB156_3 Depth=1
	s_or_b32 exec_lo, exec_lo, s12
	s_and_saveexec_b32 s12, s17
	s_cbranch_execnz .LBB156_1147
.LBB156_466:                            ;   in Loop: Header=BB156_3 Depth=1
	s_or_b32 exec_lo, exec_lo, s12
	s_and_saveexec_b32 s12, s1
	s_cbranch_execz .LBB156_468
.LBB156_467:                            ;   in Loop: Header=BB156_3 Depth=1
	ds_load_b64 v[38:39], v75 offset:14048
	ds_load_b64 v[40:41], v5 offset:12504
	s_wait_dscnt 0x0
	v_pk_mul_f32 v[98:99], v[40:41], v[38:39] op_sel:[0,1]
	s_delay_alu instid0(VALU_DEP_1) | instskip(SKIP_1) | instid1(VALU_DEP_2)
	v_pk_fma_f32 v[100:101], v[40:41], v[38:39], v[98:99] op_sel:[1,0,0] op_sel_hi:[0,0,1] neg_lo:[0,0,1] neg_hi:[0,0,1]
	v_pk_fma_f32 v[38:39], v[40:41], v[38:39], v[98:99] op_sel:[1,0,0] op_sel_hi:[0,1,1]
	v_mov_b32_e32 v39, v101
	s_delay_alu instid0(VALU_DEP_1)
	v_pk_add_f32 v[36:37], v[36:37], v[38:39]
.LBB156_468:                            ;   in Loop: Header=BB156_3 Depth=1
	s_or_b32 exec_lo, exec_lo, s12
	s_delay_alu instid0(VALU_DEP_1) | instskip(NEXT) | instid1(VALU_DEP_1)
	v_pk_add_f32 v[38:39], v[36:37], 0 neg_lo:[1,1] neg_hi:[1,1]
	v_dual_mov_b32 v36, v39 :: v_dual_mov_b32 v37, v38
.LBB156_469:                            ;   in Loop: Header=BB156_3 Depth=1
	s_or_b32 exec_lo, exec_lo, s10
	s_and_saveexec_b32 s10, s94
	s_cbranch_execz .LBB156_471
; %bb.470:                              ;   in Loop: Header=BB156_3 Depth=1
	ds_load_b64 v[38:39], v5 offset:14560
	v_dual_mov_b32 v40, v37 :: v_dual_mov_b32 v41, v36
	s_wait_dscnt 0x0
	s_delay_alu instid0(VALU_DEP_1) | instskip(NEXT) | instid1(VALU_DEP_1)
	v_dual_mul_f32 v42, v40, v38 :: v_dual_mul_f32 v98, v37, v39
	v_pk_fma_f32 v[40:41], v[40:41], v[38:39], v[42:43] op_sel_hi:[1,1,0]
	s_delay_alu instid0(VALU_DEP_2) | instskip(NEXT) | instid1(VALU_DEP_2)
	v_pk_fma_f32 v[36:37], v[36:37], v[38:39], v[98:99] op_sel_hi:[1,1,0] neg_lo:[0,0,1] neg_hi:[0,0,1]
	v_mov_b32_e32 v37, v41
	ds_store_b64 v50, v[36:37]
.LBB156_471:                            ;   in Loop: Header=BB156_3 Depth=1
	s_or_b32 exec_lo, exec_lo, s10
	s_wait_dscnt 0x0
	s_barrier_signal -1
	s_barrier_wait -1
	s_and_saveexec_b32 s10, s95
	s_cbranch_execz .LBB156_473
; %bb.472:                              ;   in Loop: Header=BB156_3 Depth=1
	ds_load_b64 v[38:39], v48 offset:14560
	ds_load_b64 v[40:41], v50
	s_wait_dscnt 0x0
	v_dual_mul_f32 v42, v41, v39 :: v_dual_mul_f32 v99, v40, v39
	s_delay_alu instid0(VALU_DEP_1) | instskip(NEXT) | instid1(VALU_DEP_1)
	v_dual_fma_f32 v98, v40, v38, -v42 :: v_dual_fmac_f32 v99, v41, v38
	v_pk_add_f32 v[36:37], v[36:37], v[98:99]
.LBB156_473:                            ;   in Loop: Header=BB156_3 Depth=1
	s_or_b32 exec_lo, exec_lo, s10
	s_barrier_signal -1
	s_barrier_wait -1
	s_and_saveexec_b32 s10, s96
	s_cbranch_execz .LBB156_475
; %bb.474:                              ;   in Loop: Header=BB156_3 Depth=1
	ds_load_b64 v[38:39], v5 offset:15080
	s_wait_dscnt 0x0
	v_pk_mul_f32 v[40:41], v[36:37], v[38:39] op_sel:[1,1] op_sel_hi:[1,0]
	s_delay_alu instid0(VALU_DEP_1) | instskip(SKIP_1) | instid1(VALU_DEP_2)
	v_pk_fma_f32 v[98:99], v[36:37], v[38:39], v[40:41] op_sel_hi:[0,1,1]
	v_pk_fma_f32 v[38:39], v[36:37], v[38:39], v[40:41] neg_lo:[0,0,1] neg_hi:[0,0,1]
	v_mov_b32_e32 v39, v99
	s_delay_alu instid0(VALU_DEP_1)
	v_mov_b64_e32 v[36:37], v[38:39]
	ds_store_b64 v50, v[38:39]
.LBB156_475:                            ;   in Loop: Header=BB156_3 Depth=1
	s_or_b32 exec_lo, exec_lo, s10
	s_wait_dscnt 0x0
	s_barrier_signal -1
	s_barrier_wait -1
	s_and_saveexec_b32 s10, s97
	s_cbranch_execz .LBB156_477
; %bb.476:                              ;   in Loop: Header=BB156_3 Depth=1
	ds_load_b64 v[38:39], v48 offset:15072
	ds_load_b64 v[40:41], v50
	s_wait_dscnt 0x0
	v_pk_mul_f32 v[98:99], v[40:41], v[38:39] op_sel:[1,1] op_sel_hi:[0,1]
	s_delay_alu instid0(VALU_DEP_1) | instskip(SKIP_1) | instid1(VALU_DEP_2)
	v_pk_fma_f32 v[100:101], v[40:41], v[38:39], v[98:99] op_sel_hi:[1,0,1]
	v_pk_fma_f32 v[38:39], v[40:41], v[38:39], v[98:99] neg_lo:[0,0,1] neg_hi:[0,0,1]
	v_mov_b32_e32 v39, v101
	s_delay_alu instid0(VALU_DEP_1)
	v_pk_add_f32 v[36:37], v[36:37], v[38:39]
.LBB156_477:                            ;   in Loop: Header=BB156_3 Depth=1
	s_or_b32 exec_lo, exec_lo, s10
	s_barrier_signal -1
	s_barrier_wait -1
	s_and_saveexec_b32 s10, s98
	s_cbranch_execz .LBB156_479
; %bb.478:                              ;   in Loop: Header=BB156_3 Depth=1
	ds_load_b64 v[38:39], v5 offset:15600
	s_wait_dscnt 0x0
	v_pk_mul_f32 v[40:41], v[36:37], v[38:39] op_sel:[1,1] op_sel_hi:[1,0]
	s_delay_alu instid0(VALU_DEP_1) | instskip(SKIP_1) | instid1(VALU_DEP_2)
	v_pk_fma_f32 v[98:99], v[36:37], v[38:39], v[40:41] op_sel_hi:[0,1,1]
	v_pk_fma_f32 v[38:39], v[36:37], v[38:39], v[40:41] neg_lo:[0,0,1] neg_hi:[0,0,1]
	v_mov_b32_e32 v39, v99
	s_delay_alu instid0(VALU_DEP_1)
	v_mov_b64_e32 v[36:37], v[38:39]
	ds_store_b64 v50, v[38:39]
.LBB156_479:                            ;   in Loop: Header=BB156_3 Depth=1
	s_or_b32 exec_lo, exec_lo, s10
	s_wait_dscnt 0x0
	s_barrier_signal -1
	s_barrier_wait -1
	s_and_saveexec_b32 s10, s99
	s_cbranch_execz .LBB156_481
; %bb.480:                              ;   in Loop: Header=BB156_3 Depth=1
	ds_load_b64 v[38:39], v5 offset:15608
	ds_load_b64 v[40:41], v50
	s_wait_dscnt 0x0
	v_pk_mul_f32 v[98:99], v[40:41], v[38:39] op_sel:[1,1] op_sel_hi:[0,1]
	s_delay_alu instid0(VALU_DEP_1) | instskip(SKIP_1) | instid1(VALU_DEP_2)
	v_pk_fma_f32 v[100:101], v[40:41], v[38:39], v[98:99] op_sel_hi:[1,0,1]
	v_pk_fma_f32 v[38:39], v[40:41], v[38:39], v[98:99] neg_lo:[0,0,1] neg_hi:[0,0,1]
	v_mov_b32_e32 v39, v101
	s_delay_alu instid0(VALU_DEP_1)
	v_pk_add_f32 v[36:37], v[36:37], v[38:39]
.LBB156_481:                            ;   in Loop: Header=BB156_3 Depth=1
	s_or_b32 exec_lo, exec_lo, s10
	s_barrier_signal -1
	s_barrier_wait -1
	s_and_saveexec_b32 s10, s99
	s_cbranch_execz .LBB156_483
; %bb.482:                              ;   in Loop: Header=BB156_3 Depth=1
	ds_load_b64 v[38:39], v5 offset:16120
	s_wait_dscnt 0x0
	v_pk_mul_f32 v[40:41], v[36:37], v[38:39] op_sel:[1,1] op_sel_hi:[1,0]
	s_delay_alu instid0(VALU_DEP_1) | instskip(SKIP_1) | instid1(VALU_DEP_2)
	v_pk_fma_f32 v[98:99], v[36:37], v[38:39], v[40:41] op_sel_hi:[0,1,1]
	v_pk_fma_f32 v[38:39], v[36:37], v[38:39], v[40:41] neg_lo:[0,0,1] neg_hi:[0,0,1]
	v_mov_b32_e32 v39, v99
	s_delay_alu instid0(VALU_DEP_1)
	v_mov_b64_e32 v[36:37], v[38:39]
	ds_store_b64 v50, v[38:39]
.LBB156_483:                            ;   in Loop: Header=BB156_3 Depth=1
	s_or_b32 exec_lo, exec_lo, s10
	s_wait_dscnt 0x0
	s_barrier_signal -1
	s_barrier_wait -1
	s_barrier_signal -1
	s_barrier_wait -1
	s_and_saveexec_b32 s10, s3
; %bb.484:                              ;   in Loop: Header=BB156_3 Depth=1
	v_pk_add_f32 v[36:37], v[36:37], 0 neg_lo:[1,1] neg_hi:[1,1]
	ds_store_b64 v51, v[36:37] offset:12512
; %bb.485:                              ;   in Loop: Header=BB156_3 Depth=1
	s_or_b32 exec_lo, exec_lo, s10
	s_wait_dscnt 0x0
	s_barrier_signal -1
	s_barrier_wait -1
	s_barrier_signal -1
	s_barrier_wait -1
	s_and_saveexec_b32 s10, s100
	s_cbranch_execz .LBB156_487
; %bb.486:                              ;   in Loop: Header=BB156_3 Depth=1
	ds_load_b64 v[36:37], v76 offset:12512
	s_wait_dscnt 0x0
	ds_store_b64 v79, v[36:37] offset:14528
	ds_load_b64 v[36:37], v76 offset:12520
	s_wait_dscnt 0x0
	ds_store_b64 v79, v[36:37] offset:15040
	;; [unrolled: 3-line block ×4, first 2 shown]
.LBB156_487:                            ;   in Loop: Header=BB156_3 Depth=1
	s_or_b32 exec_lo, exec_lo, s10
	s_wait_dscnt 0x0
	s_barrier_signal -1
	s_barrier_wait -1
	s_and_saveexec_b32 s10, s14
	s_cbranch_execz .LBB156_489
; %bb.488:                              ;   in Loop: Header=BB156_3 Depth=1
	ds_load_b128 v[36:39], v5 offset:14560
	ds_load_b64 v[40:41], v5 offset:15080
	s_wait_dscnt 0x1
	v_dual_mov_b32 v98, v39 :: v_dual_mov_b32 v99, v38
	s_wait_dscnt 0x0
	v_dual_mul_f32 v97, v41, v37 :: v_dual_mul_f32 v42, v40, v37
	s_delay_alu instid0(VALU_DEP_1) | instskip(NEXT) | instid1(VALU_DEP_1)
	v_xor_b32_e32 v100, 0x80000000, v97
	v_dual_fmac_f32 v42, v41, v36 :: v_dual_fmac_f32 v100, v40, v36
	s_delay_alu instid0(VALU_DEP_1) | instskip(NEXT) | instid1(VALU_DEP_1)
	v_pk_mul_f32 v[36:37], v[42:43], v[98:99] op_sel_hi:[0,1]
	v_pk_fma_f32 v[40:41], v[100:101], v[38:39], v[36:37] op_sel_hi:[0,1,1]
	v_pk_fma_f32 v[36:37], v[100:101], v[38:39], v[36:37] neg_lo:[0,0,1] neg_hi:[0,0,1]
	v_add_nc_u32_e64 v38, 0x3800, 0
	s_delay_alu instid0(VALU_DEP_3)
	v_mov_b32_e32 v37, v41
	ds_store_2addr_b64 v38, v[36:37], v[36:37] offset0:29 offset1:92
.LBB156_489:                            ;   in Loop: Header=BB156_3 Depth=1
	s_or_b32 exec_lo, exec_lo, s10
	v_mov_b32_e32 v37, 0
	s_wait_dscnt 0x0
	s_barrier_signal -1
	s_barrier_wait -1
	s_delay_alu instid0(VALU_DEP_1)
	v_mov_b32_e32 v36, v37
	s_and_saveexec_b32 s10, s1
	s_cbranch_execz .LBB156_493
; %bb.490:                              ;   in Loop: Header=BB156_3 Depth=1
	ds_load_b64 v[36:37], v44 offset:14576
	ds_load_b64 v[38:39], v45 offset:14560
	s_wait_dscnt 0x0
	v_dual_mul_f32 v40, v39, v37 :: v_dual_mul_f32 v41, v38, v37
	s_delay_alu instid0(VALU_DEP_1) | instskip(NEXT) | instid1(VALU_DEP_1)
	v_dual_fma_f32 v40, v38, v36, -v40 :: v_dual_fmac_f32 v41, v39, v36
	v_pk_add_f32 v[36:37], v[40:41], 0 op_sel_hi:[1,0]
	s_and_saveexec_b32 s12, s15
	s_cbranch_execz .LBB156_492
; %bb.491:                              ;   in Loop: Header=BB156_3 Depth=1
	ds_load_b64 v[38:39], v79 offset:15088
	ds_load_b64 v[40:41], v5 offset:14568
	s_wait_dscnt 0x0
	v_pk_mul_f32 v[98:99], v[40:41], v[38:39] op_sel:[1,1] op_sel_hi:[0,1]
	s_delay_alu instid0(VALU_DEP_1) | instskip(SKIP_1) | instid1(VALU_DEP_2)
	v_pk_fma_f32 v[100:101], v[40:41], v[38:39], v[98:99] op_sel_hi:[1,0,1]
	v_pk_fma_f32 v[38:39], v[40:41], v[38:39], v[98:99] neg_lo:[0,0,1] neg_hi:[0,0,1]
	v_mov_b32_e32 v39, v101
	s_delay_alu instid0(VALU_DEP_1)
	v_pk_add_f32 v[36:37], v[36:37], v[38:39]
.LBB156_492:                            ;   in Loop: Header=BB156_3 Depth=1
	s_or_b32 exec_lo, exec_lo, s12
	s_delay_alu instid0(VALU_DEP_1)
	v_pk_add_f32 v[36:37], v[36:37], 0 neg_lo:[1,1] neg_hi:[1,1]
.LBB156_493:                            ;   in Loop: Header=BB156_3 Depth=1
	s_or_b32 exec_lo, exec_lo, s10
	s_and_saveexec_b32 s10, s91
	s_cbranch_execz .LBB156_495
; %bb.494:                              ;   in Loop: Header=BB156_3 Depth=1
	ds_load_b64 v[38:39], v5 offset:15600
	s_wait_dscnt 0x0
	v_pk_mul_f32 v[40:41], v[36:37], v[38:39] op_sel:[1,1] op_sel_hi:[1,0]
	s_delay_alu instid0(VALU_DEP_1) | instskip(SKIP_1) | instid1(VALU_DEP_2)
	v_pk_fma_f32 v[98:99], v[36:37], v[38:39], v[40:41] op_sel_hi:[0,1,1]
	v_pk_fma_f32 v[38:39], v[36:37], v[38:39], v[40:41] neg_lo:[0,0,1] neg_hi:[0,0,1]
	v_mov_b32_e32 v39, v99
	s_delay_alu instid0(VALU_DEP_1)
	v_mov_b64_e32 v[36:37], v[38:39]
	ds_store_b64 v3, v[38:39]
.LBB156_495:                            ;   in Loop: Header=BB156_3 Depth=1
	s_or_b32 exec_lo, exec_lo, s10
	s_wait_dscnt 0x0
	s_barrier_signal -1
	s_barrier_wait -1
	s_and_saveexec_b32 s10, s92
	s_cbranch_execz .LBB156_497
; %bb.496:                              ;   in Loop: Header=BB156_3 Depth=1
	ds_load_b64 v[38:39], v5 offset:15608
	ds_load_b64 v[40:41], v3
	s_wait_dscnt 0x0
	v_pk_mul_f32 v[98:99], v[40:41], v[38:39] op_sel:[1,1] op_sel_hi:[0,1]
	s_delay_alu instid0(VALU_DEP_1) | instskip(SKIP_1) | instid1(VALU_DEP_2)
	v_pk_fma_f32 v[100:101], v[40:41], v[38:39], v[98:99] op_sel_hi:[1,0,1]
	v_pk_fma_f32 v[38:39], v[40:41], v[38:39], v[98:99] neg_lo:[0,0,1] neg_hi:[0,0,1]
	v_mov_b32_e32 v39, v101
	s_delay_alu instid0(VALU_DEP_1)
	v_pk_add_f32 v[36:37], v[36:37], v[38:39]
.LBB156_497:                            ;   in Loop: Header=BB156_3 Depth=1
	s_or_b32 exec_lo, exec_lo, s10
	s_barrier_signal -1
	s_barrier_wait -1
	s_and_saveexec_b32 s10, s92
	s_cbranch_execz .LBB156_499
; %bb.498:                              ;   in Loop: Header=BB156_3 Depth=1
	ds_load_b64 v[38:39], v5 offset:16120
	s_wait_dscnt 0x0
	v_pk_mul_f32 v[40:41], v[36:37], v[38:39] op_sel:[1,1] op_sel_hi:[1,0]
	s_delay_alu instid0(VALU_DEP_1) | instskip(SKIP_1) | instid1(VALU_DEP_2)
	v_pk_fma_f32 v[98:99], v[36:37], v[38:39], v[40:41] op_sel_hi:[0,1,1]
	v_pk_fma_f32 v[38:39], v[36:37], v[38:39], v[40:41] neg_lo:[0,0,1] neg_hi:[0,0,1]
	v_mov_b32_e32 v39, v99
	s_delay_alu instid0(VALU_DEP_1)
	v_mov_b64_e32 v[36:37], v[38:39]
	ds_store_b64 v3, v[38:39]
.LBB156_499:                            ;   in Loop: Header=BB156_3 Depth=1
	s_or_b32 exec_lo, exec_lo, s10
	s_wait_dscnt 0x0
	s_barrier_signal -1
	s_barrier_wait -1
	s_barrier_signal -1
	s_barrier_wait -1
	s_and_saveexec_b32 s10, s1
; %bb.500:                              ;   in Loop: Header=BB156_3 Depth=1
	v_pk_add_f32 v[36:37], v[36:37], 0 neg_lo:[1,1] neg_hi:[1,1]
	ds_store_b64 v44, v[36:37] offset:14576
; %bb.501:                              ;   in Loop: Header=BB156_3 Depth=1
	s_or_b32 exec_lo, exec_lo, s10
	s_wait_dscnt 0x0
	s_barrier_signal -1
	s_barrier_wait -1
	s_barrier_signal -1
	s_barrier_wait -1
	s_and_saveexec_b32 s10, s93
	s_cbranch_execz .LBB156_503
; %bb.502:                              ;   in Loop: Header=BB156_3 Depth=1
	ds_load_b64 v[36:37], v81 offset:14576
	s_wait_dscnt 0x0
	ds_store_b64 v79, v[36:37] offset:15584
	ds_load_b64 v[36:37], v81 offset:14584
	s_wait_dscnt 0x0
	ds_store_b64 v79, v[36:37] offset:16096
.LBB156_503:                            ;   in Loop: Header=BB156_3 Depth=1
	s_or_b32 exec_lo, exec_lo, s10
	s_wait_dscnt 0x0
	s_barrier_signal -1
	s_barrier_wait -1
	s_and_saveexec_b32 s10, s14
	s_cbranch_execz .LBB156_505
; %bb.504:                              ;   in Loop: Header=BB156_3 Depth=1
	ds_load_b128 v[36:39], v5 offset:15600
	ds_load_b64 v[40:41], v5 offset:16120
	s_wait_dscnt 0x1
	v_dual_mov_b32 v98, v39 :: v_dual_mov_b32 v99, v38
	s_wait_dscnt 0x0
	v_dual_mul_f32 v97, v41, v37 :: v_dual_mul_f32 v42, v40, v37
	s_delay_alu instid0(VALU_DEP_1) | instskip(NEXT) | instid1(VALU_DEP_1)
	v_xor_b32_e32 v100, 0x80000000, v97
	v_dual_fmac_f32 v42, v41, v36 :: v_dual_fmac_f32 v100, v40, v36
	s_delay_alu instid0(VALU_DEP_1) | instskip(NEXT) | instid1(VALU_DEP_1)
	v_pk_mul_f32 v[36:37], v[42:43], v[98:99] op_sel_hi:[0,1]
	v_pk_fma_f32 v[40:41], v[100:101], v[38:39], v[36:37] op_sel_hi:[0,1,1]
	v_pk_fma_f32 v[36:37], v[100:101], v[38:39], v[36:37] neg_lo:[0,0,1] neg_hi:[0,0,1]
	v_add_nc_u32_e64 v38, 0x3800, 0
	s_delay_alu instid0(VALU_DEP_3)
	v_mov_b32_e32 v37, v41
	ds_store_2addr_b64 v38, v[36:37], v[36:37] offset0:159 offset1:222
.LBB156_505:                            ;   in Loop: Header=BB156_3 Depth=1
	s_or_b32 exec_lo, exec_lo, s10
	v_mov_b64_e32 v[36:37], 0
	s_wait_dscnt 0x0
	s_barrier_signal -1
	s_barrier_wait -1
	s_and_saveexec_b32 s84, s35
	s_cbranch_execz .LBB156_567
; %bb.506:                              ;   in Loop: Header=BB156_3 Depth=1
	v_dual_add_nc_u32 v39, v86, v71 :: v_dual_add_nc_u32 v38, v71, v70
	ds_load_b64 v[36:37], v39 offset:256
	ds_load_b64 v[40:41], v38
	s_wait_dscnt 0x0
	v_pk_mul_f32 v[98:99], v[40:41], v[36:37] op_sel:[1,1] op_sel_hi:[0,1]
	s_delay_alu instid0(VALU_DEP_1) | instskip(SKIP_1) | instid1(VALU_DEP_2)
	v_pk_fma_f32 v[100:101], v[40:41], v[36:37], v[98:99] op_sel_hi:[1,0,1]
	v_pk_fma_f32 v[36:37], v[40:41], v[36:37], v[98:99] neg_lo:[0,0,1] neg_hi:[0,0,1]
	v_mov_b32_e32 v37, v101
	s_delay_alu instid0(VALU_DEP_1) | instskip(SKIP_3) | instid1(SALU_CYCLE_1)
	v_pk_add_f32 v[36:37], v[36:37], 0 op_sel_hi:[1,0]
	s_mov_b32 s10, exec_lo
	v_readlane_b32 s12, v107, 11
	s_and_b32 s12, s10, s12
	s_mov_b32 exec_lo, s12
	s_cbranch_execz .LBB156_508
; %bb.507:                              ;   in Loop: Header=BB156_3 Depth=1
	ds_load_b64 v[40:41], v39 offset:768
	ds_load_b64 v[98:99], v38 offset:8
	s_wait_dscnt 0x0
	v_pk_mul_f32 v[100:101], v[98:99], v[40:41] op_sel:[1,1] op_sel_hi:[0,1]
	s_delay_alu instid0(VALU_DEP_1) | instskip(SKIP_1) | instid1(VALU_DEP_2)
	v_pk_fma_f32 v[102:103], v[98:99], v[40:41], v[100:101] op_sel_hi:[1,0,1]
	v_pk_fma_f32 v[40:41], v[98:99], v[40:41], v[100:101] neg_lo:[0,0,1] neg_hi:[0,0,1]
	v_mov_b32_e32 v41, v103
	s_delay_alu instid0(VALU_DEP_1)
	v_pk_add_f32 v[36:37], v[36:37], v[40:41]
.LBB156_508:                            ;   in Loop: Header=BB156_3 Depth=1
	s_or_b32 exec_lo, exec_lo, s10
	s_delay_alu instid0(SALU_CYCLE_1) | instskip(SKIP_2) | instid1(SALU_CYCLE_1)
	s_mov_b32 s10, exec_lo
	v_readlane_b32 s12, v107, 12
	s_and_b32 s12, s10, s12
	s_mov_b32 exec_lo, s12
	s_cbranch_execz .LBB156_510
; %bb.509:                              ;   in Loop: Header=BB156_3 Depth=1
	ds_load_b64 v[40:41], v39 offset:1280
	ds_load_b64 v[98:99], v38 offset:16
	s_wait_dscnt 0x0
	v_pk_mul_f32 v[100:101], v[98:99], v[40:41] op_sel:[1,1] op_sel_hi:[0,1]
	s_delay_alu instid0(VALU_DEP_1) | instskip(SKIP_1) | instid1(VALU_DEP_2)
	v_pk_fma_f32 v[102:103], v[98:99], v[40:41], v[100:101] op_sel_hi:[1,0,1]
	v_pk_fma_f32 v[40:41], v[98:99], v[40:41], v[100:101] neg_lo:[0,0,1] neg_hi:[0,0,1]
	v_mov_b32_e32 v41, v103
	s_delay_alu instid0(VALU_DEP_1)
	v_pk_add_f32 v[36:37], v[36:37], v[40:41]
.LBB156_510:                            ;   in Loop: Header=BB156_3 Depth=1
	s_or_b32 exec_lo, exec_lo, s10
	s_delay_alu instid0(SALU_CYCLE_1) | instskip(SKIP_2) | instid1(SALU_CYCLE_1)
	;; [unrolled: 19-line block ×22, first 2 shown]
	s_mov_b32 s10, exec_lo
	v_readlane_b32 s12, v106, 1
	s_and_b32 s12, s10, s12
	s_mov_b32 exec_lo, s12
	s_cbranch_execz .LBB156_552
; %bb.551:                              ;   in Loop: Header=BB156_3 Depth=1
	ds_load_b64 v[40:41], v39 offset:12032
	ds_load_b64 v[98:99], v38 offset:184
	s_wait_dscnt 0x0
	v_pk_mul_f32 v[100:101], v[98:99], v[40:41] op_sel:[1,1] op_sel_hi:[0,1]
	s_delay_alu instid0(VALU_DEP_1) | instskip(SKIP_1) | instid1(VALU_DEP_2)
	v_pk_fma_f32 v[102:103], v[98:99], v[40:41], v[100:101] op_sel_hi:[1,0,1]
	v_pk_fma_f32 v[40:41], v[98:99], v[40:41], v[100:101] neg_lo:[0,0,1] neg_hi:[0,0,1]
	v_mov_b32_e32 v41, v103
	s_delay_alu instid0(VALU_DEP_1)
	v_pk_add_f32 v[36:37], v[36:37], v[40:41]
.LBB156_552:                            ;   in Loop: Header=BB156_3 Depth=1
	s_or_b32 exec_lo, exec_lo, s10
	s_and_saveexec_b32 s10, s5
	s_cbranch_execz .LBB156_554
; %bb.553:                              ;   in Loop: Header=BB156_3 Depth=1
	ds_load_b64 v[40:41], v39 offset:12544
	ds_load_b64 v[98:99], v38 offset:192
	s_wait_dscnt 0x0
	v_pk_mul_f32 v[100:101], v[98:99], v[40:41] op_sel:[1,1] op_sel_hi:[0,1]
	s_delay_alu instid0(VALU_DEP_1) | instskip(SKIP_1) | instid1(VALU_DEP_2)
	v_pk_fma_f32 v[102:103], v[98:99], v[40:41], v[100:101] op_sel_hi:[1,0,1]
	v_pk_fma_f32 v[40:41], v[98:99], v[40:41], v[100:101] neg_lo:[0,0,1] neg_hi:[0,0,1]
	v_mov_b32_e32 v41, v103
	s_delay_alu instid0(VALU_DEP_1)
	v_pk_add_f32 v[36:37], v[36:37], v[40:41]
.LBB156_554:                            ;   in Loop: Header=BB156_3 Depth=1
	s_or_b32 exec_lo, exec_lo, s10
	s_delay_alu instid0(SALU_CYCLE_1) | instskip(SKIP_2) | instid1(SALU_CYCLE_1)
	s_mov_b32 s10, exec_lo
	v_readlane_b32 s12, v108, 29
	s_and_b32 s12, s10, s12
	s_mov_b32 exec_lo, s12
	s_cbranch_execz .LBB156_556
; %bb.555:                              ;   in Loop: Header=BB156_3 Depth=1
	ds_load_b64 v[40:41], v39 offset:13056
	ds_load_b64 v[98:99], v38 offset:200
	s_wait_dscnt 0x0
	v_pk_mul_f32 v[100:101], v[98:99], v[40:41] op_sel:[1,1] op_sel_hi:[0,1]
	s_delay_alu instid0(VALU_DEP_1) | instskip(SKIP_1) | instid1(VALU_DEP_2)
	v_pk_fma_f32 v[102:103], v[98:99], v[40:41], v[100:101] op_sel_hi:[1,0,1]
	v_pk_fma_f32 v[40:41], v[98:99], v[40:41], v[100:101] neg_lo:[0,0,1] neg_hi:[0,0,1]
	v_mov_b32_e32 v41, v103
	s_delay_alu instid0(VALU_DEP_1)
	v_pk_add_f32 v[36:37], v[36:37], v[40:41]
.LBB156_556:                            ;   in Loop: Header=BB156_3 Depth=1
	s_or_b32 exec_lo, exec_lo, s10
	s_delay_alu instid0(SALU_CYCLE_1) | instskip(SKIP_2) | instid1(SALU_CYCLE_1)
	s_mov_b32 s10, exec_lo
	v_readlane_b32 s12, v108, 31
	s_and_b32 s12, s10, s12
	s_mov_b32 exec_lo, s12
	;; [unrolled: 19-line block ×5, first 2 shown]
	s_cbranch_execnz .LBB156_1148
; %bb.563:                              ;   in Loop: Header=BB156_3 Depth=1
	s_or_b32 exec_lo, exec_lo, s10
	s_and_saveexec_b32 s10, s4
	s_cbranch_execnz .LBB156_1149
.LBB156_564:                            ;   in Loop: Header=BB156_3 Depth=1
	s_or_b32 exec_lo, exec_lo, s10
	s_and_saveexec_b32 s10, s21
	s_cbranch_execz .LBB156_566
.LBB156_565:                            ;   in Loop: Header=BB156_3 Depth=1
	ds_load_b64 v[40:41], v86 offset:16128
	ds_load_b64 v[38:39], v38 offset:248
	s_wait_dscnt 0x0
	v_pk_mul_f32 v[98:99], v[38:39], v[40:41] op_sel:[1,1] op_sel_hi:[0,1]
	s_delay_alu instid0(VALU_DEP_1) | instskip(SKIP_1) | instid1(VALU_DEP_2)
	v_pk_fma_f32 v[100:101], v[38:39], v[40:41], v[98:99] op_sel_hi:[1,0,1]
	v_pk_fma_f32 v[38:39], v[38:39], v[40:41], v[98:99] neg_lo:[0,0,1] neg_hi:[0,0,1]
	v_mov_b32_e32 v39, v101
	s_delay_alu instid0(VALU_DEP_1)
	v_pk_add_f32 v[36:37], v[36:37], v[38:39]
.LBB156_566:                            ;   in Loop: Header=BB156_3 Depth=1
	s_or_b32 exec_lo, exec_lo, s10
	s_delay_alu instid0(VALU_DEP_1)
	v_pk_add_f32 v[36:37], v[36:37], 0 neg_lo:[1,1] neg_hi:[1,1]
.LBB156_567:                            ;   in Loop: Header=BB156_3 Depth=1
	s_or_b32 exec_lo, exec_lo, s84
	v_dual_mov_b32 v38, v69 :: v_dual_mov_b32 v39, v95
	s_mov_b32 s10, 0
	s_branch .LBB156_569
.LBB156_568:                            ;   in Loop: Header=BB156_569 Depth=2
	s_or_b32 exec_lo, exec_lo, s12
	v_add_nc_u32_e32 v39, 0x400, v39
	v_add_nc_u32_e32 v38, -2, v38
	s_add_co_i32 s10, s10, 2
	s_delay_alu instid0(SALU_CYCLE_1)
	s_cmp_eq_u32 s10, 32
	s_barrier_signal -1
	s_barrier_wait -1
	s_cbranch_scc1 .LBB156_577
.LBB156_569:                            ;   Parent Loop BB156_3 Depth=1
                                        ; =>  This Inner Loop Header: Depth=2
	s_delay_alu instid0(VALU_DEP_1) | instskip(SKIP_1) | instid1(SALU_CYCLE_1)
	v_cmp_eq_u32_e32 vcc_lo, 0, v38
	s_and_b32 s53, s13, vcc_lo
	s_and_saveexec_b32 s12, s53
	s_cbranch_execz .LBB156_571
; %bb.570:                              ;   in Loop: Header=BB156_569 Depth=2
	ds_load_b64 v[40:41], v87 offset:16640
	s_wait_dscnt 0x0
	v_pk_mul_f32 v[98:99], v[36:37], v[40:41] op_sel:[1,1] op_sel_hi:[1,0]
	s_delay_alu instid0(VALU_DEP_1) | instskip(SKIP_1) | instid1(VALU_DEP_2)
	v_pk_fma_f32 v[100:101], v[36:37], v[40:41], v[98:99] op_sel_hi:[0,1,1]
	v_pk_fma_f32 v[40:41], v[36:37], v[40:41], v[98:99] neg_lo:[0,0,1] neg_hi:[0,0,1]
	v_mov_b32_e32 v41, v101
	s_delay_alu instid0(VALU_DEP_1)
	v_mov_b64_e32 v[36:37], v[40:41]
	ds_store_b64 v88, v[40:41]
.LBB156_571:                            ;   in Loop: Header=BB156_569 Depth=2
	s_or_b32 exec_lo, exec_lo, s12
	v_cmp_lt_u32_e32 vcc_lo, s10, v69
	s_wait_dscnt 0x0
	s_barrier_signal -1
	s_barrier_wait -1
	s_and_b32 s53, s13, vcc_lo
	s_delay_alu instid0(SALU_CYCLE_1)
	s_and_saveexec_b32 s12, s53
	s_cbranch_execz .LBB156_573
; %bb.572:                              ;   in Loop: Header=BB156_569 Depth=2
	ds_load_b64 v[40:41], v39
	ds_load_b64 v[98:99], v88
	s_wait_dscnt 0x0
	v_pk_mul_f32 v[100:101], v[98:99], v[40:41] op_sel:[1,1] op_sel_hi:[0,1]
	s_delay_alu instid0(VALU_DEP_1) | instskip(SKIP_1) | instid1(VALU_DEP_2)
	v_pk_fma_f32 v[102:103], v[98:99], v[40:41], v[100:101] op_sel_hi:[1,0,1]
	v_pk_fma_f32 v[40:41], v[98:99], v[40:41], v[100:101] neg_lo:[0,0,1] neg_hi:[0,0,1]
	v_mov_b32_e32 v41, v103
	s_delay_alu instid0(VALU_DEP_1)
	v_pk_add_f32 v[36:37], v[36:37], v[40:41]
.LBB156_573:                            ;   in Loop: Header=BB156_569 Depth=2
	s_or_b32 exec_lo, exec_lo, s12
	s_or_b32 s12, s10, 1
	s_delay_alu instid0(SALU_CYCLE_1) | instskip(SKIP_3) | instid1(SALU_CYCLE_1)
	v_cmp_eq_u32_e32 vcc_lo, s12, v69
	s_barrier_signal -1
	s_barrier_wait -1
	s_and_b32 s54, s13, vcc_lo
	s_and_saveexec_b32 s53, s54
	s_cbranch_execz .LBB156_575
; %bb.574:                              ;   in Loop: Header=BB156_569 Depth=2
	ds_load_b64 v[40:41], v87 offset:16640
	s_wait_dscnt 0x0
	v_pk_mul_f32 v[98:99], v[36:37], v[40:41] op_sel:[1,1] op_sel_hi:[1,0]
	s_delay_alu instid0(VALU_DEP_1) | instskip(SKIP_1) | instid1(VALU_DEP_2)
	v_pk_fma_f32 v[100:101], v[36:37], v[40:41], v[98:99] op_sel_hi:[0,1,1]
	v_pk_fma_f32 v[40:41], v[36:37], v[40:41], v[98:99] neg_lo:[0,0,1] neg_hi:[0,0,1]
	v_mov_b32_e32 v41, v101
	s_delay_alu instid0(VALU_DEP_1)
	v_mov_b64_e32 v[36:37], v[40:41]
	ds_store_b64 v88, v[40:41]
.LBB156_575:                            ;   in Loop: Header=BB156_569 Depth=2
	s_or_b32 exec_lo, exec_lo, s53
	v_cmp_lt_u32_e32 vcc_lo, s12, v69
	s_wait_dscnt 0x0
	s_barrier_signal -1
	s_barrier_wait -1
	s_and_b32 s53, s13, vcc_lo
	s_delay_alu instid0(SALU_CYCLE_1)
	s_and_saveexec_b32 s12, s53
	s_cbranch_execz .LBB156_568
; %bb.576:                              ;   in Loop: Header=BB156_569 Depth=2
	ds_load_b64 v[40:41], v39 offset:512
	ds_load_b64 v[98:99], v88
	s_wait_dscnt 0x0
	v_pk_mul_f32 v[100:101], v[98:99], v[40:41] op_sel:[1,1] op_sel_hi:[0,1]
	s_delay_alu instid0(VALU_DEP_1) | instskip(SKIP_1) | instid1(VALU_DEP_2)
	v_pk_fma_f32 v[102:103], v[98:99], v[40:41], v[100:101] op_sel_hi:[1,0,1]
	v_pk_fma_f32 v[40:41], v[98:99], v[40:41], v[100:101] neg_lo:[0,0,1] neg_hi:[0,0,1]
	v_mov_b32_e32 v41, v103
	s_delay_alu instid0(VALU_DEP_1)
	v_pk_add_f32 v[36:37], v[36:37], v[40:41]
	s_branch .LBB156_568
.LBB156_577:                            ;   in Loop: Header=BB156_3 Depth=1
	s_and_saveexec_b32 s10, s35
; %bb.578:                              ;   in Loop: Header=BB156_3 Depth=1
	v_pk_add_f32 v[36:37], v[36:37], 0 neg_lo:[1,1] neg_hi:[1,1]
	ds_store_b64 v89, v[36:37] offset:256
; %bb.579:                              ;   in Loop: Header=BB156_3 Depth=1
	s_or_b32 exec_lo, exec_lo, s10
	s_wait_dscnt 0x0
	s_barrier_signal -1
	s_barrier_wait -1
	s_barrier_signal -1
	s_barrier_wait -1
	s_mov_b32 s10, exec_lo
	v_readlane_b32 s12, v108, 10
	s_and_b32 s12, s10, s12
	s_delay_alu instid0(SALU_CYCLE_1)
	s_mov_b32 exec_lo, s12
	s_cbranch_execz .LBB156_581
; %bb.580:                              ;   in Loop: Header=BB156_3 Depth=1
	ds_load_b64 v[36:37], v81 offset:256
	v_add_nc_u32_e32 v38, v81, v53
	s_wait_dscnt 0x0
	ds_store_b64 v38, v[36:37] offset:16384
	ds_load_b64 v[36:37], v81 offset:264
	s_wait_dscnt 0x0
	ds_store_b64 v38, v[36:37] offset:16896
	ds_load_b64 v[36:37], v81 offset:272
	;; [unrolled: 3-line block ×31, first 2 shown]
	s_wait_dscnt 0x0
	ds_store_b64 v38, v[36:37] offset:32256
.LBB156_581:                            ;   in Loop: Header=BB156_3 Depth=1
	s_or_b32 exec_lo, exec_lo, s10
	s_wait_dscnt 0x0
	s_barrier_signal -1
	s_barrier_wait -1
	s_and_saveexec_b32 s10, s14
	s_cbranch_execz .LBB156_583
; %bb.582:                              ;   in Loop: Header=BB156_3 Depth=1
	ds_load_b128 v[36:39], v5 offset:16640
	ds_load_b64 v[40:41], v5 offset:17160
	s_wait_dscnt 0x1
	v_dual_mov_b32 v98, v39 :: v_dual_mov_b32 v99, v38
	s_wait_dscnt 0x0
	v_dual_mul_f32 v97, v41, v37 :: v_dual_mul_f32 v42, v40, v37
	s_delay_alu instid0(VALU_DEP_1) | instskip(NEXT) | instid1(VALU_DEP_1)
	v_xor_b32_e32 v100, 0x80000000, v97
	v_dual_fmac_f32 v42, v41, v36 :: v_dual_fmac_f32 v100, v40, v36
	s_delay_alu instid0(VALU_DEP_1) | instskip(NEXT) | instid1(VALU_DEP_1)
	v_pk_mul_f32 v[36:37], v[42:43], v[98:99] op_sel_hi:[0,1]
	v_pk_fma_f32 v[40:41], v[100:101], v[38:39], v[36:37] op_sel_hi:[0,1,1]
	v_pk_fma_f32 v[36:37], v[100:101], v[38:39], v[36:37] neg_lo:[0,0,1] neg_hi:[0,0,1]
	v_add_nc_u32_e64 v38, 0x4000, 0
	s_delay_alu instid0(VALU_DEP_3)
	v_mov_b32_e32 v37, v41
	ds_store_2addr_b64 v38, v[36:37], v[36:37] offset0:33 offset1:96
.LBB156_583:                            ;   in Loop: Header=BB156_3 Depth=1
	s_or_b32 exec_lo, exec_lo, s10
	v_mov_b32_e32 v37, 0
	s_wait_dscnt 0x0
	s_barrier_signal -1
	s_barrier_wait -1
	s_delay_alu instid0(VALU_DEP_1)
	v_mov_b32_e32 v36, v37
	s_and_saveexec_b32 s10, s1
	s_cbranch_execz .LBB156_587
; %bb.584:                              ;   in Loop: Header=BB156_3 Depth=1
	ds_load_b64 v[36:37], v44 offset:16656
	ds_load_b64 v[38:39], v45 offset:16640
	s_wait_dscnt 0x0
	v_dual_mul_f32 v40, v39, v37 :: v_dual_mul_f32 v41, v38, v37
	s_delay_alu instid0(VALU_DEP_1) | instskip(NEXT) | instid1(VALU_DEP_1)
	v_dual_fma_f32 v40, v38, v36, -v40 :: v_dual_fmac_f32 v41, v39, v36
	v_pk_add_f32 v[36:37], v[40:41], 0 op_sel_hi:[1,0]
	s_and_saveexec_b32 s12, s15
	s_cbranch_execz .LBB156_586
; %bb.585:                              ;   in Loop: Header=BB156_3 Depth=1
	ds_load_b64 v[38:39], v46 offset:17168
	ds_load_b64 v[40:41], v5 offset:16648
	s_wait_dscnt 0x0
	v_pk_mul_f32 v[98:99], v[40:41], v[38:39] op_sel:[1,1] op_sel_hi:[0,1]
	s_delay_alu instid0(VALU_DEP_1) | instskip(SKIP_1) | instid1(VALU_DEP_2)
	v_pk_fma_f32 v[100:101], v[40:41], v[38:39], v[98:99] op_sel_hi:[1,0,1]
	v_pk_fma_f32 v[38:39], v[40:41], v[38:39], v[98:99] neg_lo:[0,0,1] neg_hi:[0,0,1]
	v_mov_b32_e32 v39, v101
	s_delay_alu instid0(VALU_DEP_1)
	v_pk_add_f32 v[36:37], v[36:37], v[38:39]
.LBB156_586:                            ;   in Loop: Header=BB156_3 Depth=1
	s_or_b32 exec_lo, exec_lo, s12
	s_delay_alu instid0(VALU_DEP_1)
	v_pk_add_f32 v[36:37], v[36:37], 0 neg_lo:[1,1] neg_hi:[1,1]
.LBB156_587:                            ;   in Loop: Header=BB156_3 Depth=1
	s_or_b32 exec_lo, exec_lo, s10
	s_and_saveexec_b32 s10, s91
	s_cbranch_execz .LBB156_589
; %bb.588:                              ;   in Loop: Header=BB156_3 Depth=1
	ds_load_b64 v[38:39], v5 offset:17680
	s_wait_dscnt 0x0
	v_pk_mul_f32 v[40:41], v[36:37], v[38:39] op_sel:[1,1] op_sel_hi:[1,0]
	s_delay_alu instid0(VALU_DEP_1) | instskip(SKIP_1) | instid1(VALU_DEP_2)
	v_pk_fma_f32 v[98:99], v[36:37], v[38:39], v[40:41] op_sel_hi:[0,1,1]
	v_pk_fma_f32 v[38:39], v[36:37], v[38:39], v[40:41] neg_lo:[0,0,1] neg_hi:[0,0,1]
	v_mov_b32_e32 v39, v99
	s_delay_alu instid0(VALU_DEP_1)
	v_mov_b64_e32 v[36:37], v[38:39]
	ds_store_b64 v3, v[38:39]
.LBB156_589:                            ;   in Loop: Header=BB156_3 Depth=1
	s_or_b32 exec_lo, exec_lo, s10
	s_wait_dscnt 0x0
	s_barrier_signal -1
	s_barrier_wait -1
	s_and_saveexec_b32 s10, s92
	s_cbranch_execz .LBB156_591
; %bb.590:                              ;   in Loop: Header=BB156_3 Depth=1
	ds_load_b64 v[38:39], v5 offset:17688
	ds_load_b64 v[40:41], v3
	s_wait_dscnt 0x0
	v_pk_mul_f32 v[98:99], v[40:41], v[38:39] op_sel:[1,1] op_sel_hi:[0,1]
	s_delay_alu instid0(VALU_DEP_1) | instskip(SKIP_1) | instid1(VALU_DEP_2)
	v_pk_fma_f32 v[100:101], v[40:41], v[38:39], v[98:99] op_sel_hi:[1,0,1]
	v_pk_fma_f32 v[38:39], v[40:41], v[38:39], v[98:99] neg_lo:[0,0,1] neg_hi:[0,0,1]
	v_mov_b32_e32 v39, v101
	s_delay_alu instid0(VALU_DEP_1)
	v_pk_add_f32 v[36:37], v[36:37], v[38:39]
.LBB156_591:                            ;   in Loop: Header=BB156_3 Depth=1
	s_or_b32 exec_lo, exec_lo, s10
	s_barrier_signal -1
	s_barrier_wait -1
	s_and_saveexec_b32 s10, s92
	s_cbranch_execz .LBB156_593
; %bb.592:                              ;   in Loop: Header=BB156_3 Depth=1
	ds_load_b64 v[38:39], v5 offset:18200
	s_wait_dscnt 0x0
	v_pk_mul_f32 v[40:41], v[36:37], v[38:39] op_sel:[1,1] op_sel_hi:[1,0]
	s_delay_alu instid0(VALU_DEP_1) | instskip(SKIP_1) | instid1(VALU_DEP_2)
	v_pk_fma_f32 v[98:99], v[36:37], v[38:39], v[40:41] op_sel_hi:[0,1,1]
	v_pk_fma_f32 v[38:39], v[36:37], v[38:39], v[40:41] neg_lo:[0,0,1] neg_hi:[0,0,1]
	v_mov_b32_e32 v39, v99
	s_delay_alu instid0(VALU_DEP_1)
	v_mov_b64_e32 v[36:37], v[38:39]
	ds_store_b64 v3, v[38:39]
.LBB156_593:                            ;   in Loop: Header=BB156_3 Depth=1
	s_or_b32 exec_lo, exec_lo, s10
	s_wait_dscnt 0x0
	s_barrier_signal -1
	s_barrier_wait -1
	s_barrier_signal -1
	s_barrier_wait -1
	s_and_saveexec_b32 s10, s1
; %bb.594:                              ;   in Loop: Header=BB156_3 Depth=1
	v_pk_add_f32 v[36:37], v[36:37], 0 neg_lo:[1,1] neg_hi:[1,1]
	ds_store_b64 v44, v[36:37] offset:16656
; %bb.595:                              ;   in Loop: Header=BB156_3 Depth=1
	s_or_b32 exec_lo, exec_lo, s10
	s_wait_dscnt 0x0
	s_barrier_signal -1
	s_barrier_wait -1
	s_barrier_signal -1
	s_barrier_wait -1
	s_and_saveexec_b32 s10, s93
	s_cbranch_execz .LBB156_597
; %bb.596:                              ;   in Loop: Header=BB156_3 Depth=1
	ds_load_b64 v[36:37], v49 offset:16656
	s_wait_dscnt 0x0
	ds_store_b64 v46, v[36:37] offset:17664
	ds_load_b64 v[36:37], v49 offset:16664
	s_wait_dscnt 0x0
	ds_store_b64 v46, v[36:37] offset:18176
.LBB156_597:                            ;   in Loop: Header=BB156_3 Depth=1
	s_or_b32 exec_lo, exec_lo, s10
	s_wait_dscnt 0x0
	s_barrier_signal -1
	s_barrier_wait -1
	s_and_saveexec_b32 s10, s14
	s_cbranch_execz .LBB156_599
; %bb.598:                              ;   in Loop: Header=BB156_3 Depth=1
	ds_load_b128 v[36:39], v5 offset:17680
	ds_load_b64 v[40:41], v5 offset:18200
	s_wait_dscnt 0x1
	v_dual_mov_b32 v98, v39 :: v_dual_mov_b32 v99, v38
	s_wait_dscnt 0x0
	v_dual_mul_f32 v97, v41, v37 :: v_dual_mul_f32 v42, v40, v37
	s_delay_alu instid0(VALU_DEP_1) | instskip(NEXT) | instid1(VALU_DEP_1)
	v_xor_b32_e32 v100, 0x80000000, v97
	v_dual_fmac_f32 v42, v41, v36 :: v_dual_fmac_f32 v100, v40, v36
	s_delay_alu instid0(VALU_DEP_1) | instskip(NEXT) | instid1(VALU_DEP_1)
	v_pk_mul_f32 v[36:37], v[42:43], v[98:99] op_sel_hi:[0,1]
	v_pk_fma_f32 v[40:41], v[100:101], v[38:39], v[36:37] op_sel_hi:[0,1,1]
	v_pk_fma_f32 v[36:37], v[100:101], v[38:39], v[36:37] neg_lo:[0,0,1] neg_hi:[0,0,1]
	v_add_nc_u32_e64 v38, 0x4000, 0
	s_delay_alu instid0(VALU_DEP_3)
	v_mov_b32_e32 v37, v41
	ds_store_2addr_b64 v38, v[36:37], v[36:37] offset0:163 offset1:226
.LBB156_599:                            ;   in Loop: Header=BB156_3 Depth=1
	s_or_b32 exec_lo, exec_lo, s10
	v_mov_b32_e32 v36, 0
	s_wait_dscnt 0x0
	s_barrier_signal -1
	s_barrier_wait -1
	s_delay_alu instid0(VALU_DEP_1)
	v_mov_b32_e32 v37, v36
	s_and_saveexec_b32 s10, s3
	s_cbranch_execz .LBB156_605
; %bb.600:                              ;   in Loop: Header=BB156_3 Depth=1
	ds_load_b64 v[36:37], v51 offset:16672
	ds_load_b64 v[38:39], v47 offset:16640
	s_wait_dscnt 0x0
	v_pk_mul_f32 v[40:41], v[38:39], v[36:37] op_sel:[0,1]
	s_delay_alu instid0(VALU_DEP_1) | instskip(SKIP_1) | instid1(VALU_DEP_2)
	v_pk_fma_f32 v[98:99], v[38:39], v[36:37], v[40:41] op_sel:[1,0,0] op_sel_hi:[0,0,1] neg_lo:[0,0,1] neg_hi:[0,0,1]
	v_pk_fma_f32 v[36:37], v[38:39], v[36:37], v[40:41] op_sel:[1,0,0] op_sel_hi:[0,1,1]
	v_mov_b32_e32 v37, v99
	s_delay_alu instid0(VALU_DEP_1)
	v_pk_add_f32 v[36:37], v[36:37], 0 op_sel_hi:[1,0]
	s_and_saveexec_b32 s12, s16
	s_cbranch_execnz .LBB156_1150
; %bb.601:                              ;   in Loop: Header=BB156_3 Depth=1
	s_or_b32 exec_lo, exec_lo, s12
	s_and_saveexec_b32 s12, s17
	s_cbranch_execnz .LBB156_1151
.LBB156_602:                            ;   in Loop: Header=BB156_3 Depth=1
	s_or_b32 exec_lo, exec_lo, s12
	s_and_saveexec_b32 s12, s1
	s_cbranch_execz .LBB156_604
.LBB156_603:                            ;   in Loop: Header=BB156_3 Depth=1
	ds_load_b64 v[38:39], v54 offset:18208
	ds_load_b64 v[40:41], v5 offset:16664
	s_wait_dscnt 0x0
	v_pk_mul_f32 v[98:99], v[40:41], v[38:39] op_sel:[0,1]
	s_delay_alu instid0(VALU_DEP_1) | instskip(SKIP_1) | instid1(VALU_DEP_2)
	v_pk_fma_f32 v[100:101], v[40:41], v[38:39], v[98:99] op_sel:[1,0,0] op_sel_hi:[0,0,1] neg_lo:[0,0,1] neg_hi:[0,0,1]
	v_pk_fma_f32 v[38:39], v[40:41], v[38:39], v[98:99] op_sel:[1,0,0] op_sel_hi:[0,1,1]
	v_mov_b32_e32 v39, v101
	s_delay_alu instid0(VALU_DEP_1)
	v_pk_add_f32 v[36:37], v[36:37], v[38:39]
.LBB156_604:                            ;   in Loop: Header=BB156_3 Depth=1
	s_or_b32 exec_lo, exec_lo, s12
	s_delay_alu instid0(VALU_DEP_1) | instskip(NEXT) | instid1(VALU_DEP_1)
	v_pk_add_f32 v[38:39], v[36:37], 0 neg_lo:[1,1] neg_hi:[1,1]
	v_dual_mov_b32 v36, v39 :: v_dual_mov_b32 v37, v38
.LBB156_605:                            ;   in Loop: Header=BB156_3 Depth=1
	s_or_b32 exec_lo, exec_lo, s10
	s_and_saveexec_b32 s10, s94
	s_cbranch_execz .LBB156_607
; %bb.606:                              ;   in Loop: Header=BB156_3 Depth=1
	ds_load_b64 v[38:39], v5 offset:18720
	v_dual_mov_b32 v40, v37 :: v_dual_mov_b32 v41, v36
	s_wait_dscnt 0x0
	s_delay_alu instid0(VALU_DEP_1) | instskip(NEXT) | instid1(VALU_DEP_1)
	v_dual_mul_f32 v42, v40, v38 :: v_dual_mul_f32 v98, v37, v39
	v_pk_fma_f32 v[40:41], v[40:41], v[38:39], v[42:43] op_sel_hi:[1,1,0]
	s_delay_alu instid0(VALU_DEP_2) | instskip(NEXT) | instid1(VALU_DEP_2)
	v_pk_fma_f32 v[36:37], v[36:37], v[38:39], v[98:99] op_sel_hi:[1,1,0] neg_lo:[0,0,1] neg_hi:[0,0,1]
	v_mov_b32_e32 v37, v41
	ds_store_b64 v50, v[36:37]
.LBB156_607:                            ;   in Loop: Header=BB156_3 Depth=1
	s_or_b32 exec_lo, exec_lo, s10
	s_wait_dscnt 0x0
	s_barrier_signal -1
	s_barrier_wait -1
	s_and_saveexec_b32 s10, s95
	s_cbranch_execz .LBB156_609
; %bb.608:                              ;   in Loop: Header=BB156_3 Depth=1
	ds_load_b64 v[38:39], v48 offset:18720
	ds_load_b64 v[40:41], v50
	s_wait_dscnt 0x0
	v_dual_mul_f32 v42, v41, v39 :: v_dual_mul_f32 v99, v40, v39
	s_delay_alu instid0(VALU_DEP_1) | instskip(NEXT) | instid1(VALU_DEP_1)
	v_dual_fma_f32 v98, v40, v38, -v42 :: v_dual_fmac_f32 v99, v41, v38
	v_pk_add_f32 v[36:37], v[36:37], v[98:99]
.LBB156_609:                            ;   in Loop: Header=BB156_3 Depth=1
	s_or_b32 exec_lo, exec_lo, s10
	s_barrier_signal -1
	s_barrier_wait -1
	s_and_saveexec_b32 s10, s96
	s_cbranch_execz .LBB156_611
; %bb.610:                              ;   in Loop: Header=BB156_3 Depth=1
	ds_load_b64 v[38:39], v5 offset:19240
	s_wait_dscnt 0x0
	v_pk_mul_f32 v[40:41], v[36:37], v[38:39] op_sel:[1,1] op_sel_hi:[1,0]
	s_delay_alu instid0(VALU_DEP_1) | instskip(SKIP_1) | instid1(VALU_DEP_2)
	v_pk_fma_f32 v[98:99], v[36:37], v[38:39], v[40:41] op_sel_hi:[0,1,1]
	v_pk_fma_f32 v[38:39], v[36:37], v[38:39], v[40:41] neg_lo:[0,0,1] neg_hi:[0,0,1]
	v_mov_b32_e32 v39, v99
	s_delay_alu instid0(VALU_DEP_1)
	v_mov_b64_e32 v[36:37], v[38:39]
	ds_store_b64 v50, v[38:39]
.LBB156_611:                            ;   in Loop: Header=BB156_3 Depth=1
	s_or_b32 exec_lo, exec_lo, s10
	s_wait_dscnt 0x0
	s_barrier_signal -1
	s_barrier_wait -1
	s_and_saveexec_b32 s10, s97
	s_cbranch_execz .LBB156_613
; %bb.612:                              ;   in Loop: Header=BB156_3 Depth=1
	ds_load_b64 v[38:39], v48 offset:19232
	ds_load_b64 v[40:41], v50
	s_wait_dscnt 0x0
	v_pk_mul_f32 v[98:99], v[40:41], v[38:39] op_sel:[1,1] op_sel_hi:[0,1]
	s_delay_alu instid0(VALU_DEP_1) | instskip(SKIP_1) | instid1(VALU_DEP_2)
	v_pk_fma_f32 v[100:101], v[40:41], v[38:39], v[98:99] op_sel_hi:[1,0,1]
	v_pk_fma_f32 v[38:39], v[40:41], v[38:39], v[98:99] neg_lo:[0,0,1] neg_hi:[0,0,1]
	v_mov_b32_e32 v39, v101
	s_delay_alu instid0(VALU_DEP_1)
	v_pk_add_f32 v[36:37], v[36:37], v[38:39]
.LBB156_613:                            ;   in Loop: Header=BB156_3 Depth=1
	s_or_b32 exec_lo, exec_lo, s10
	s_barrier_signal -1
	s_barrier_wait -1
	s_and_saveexec_b32 s10, s98
	s_cbranch_execz .LBB156_615
; %bb.614:                              ;   in Loop: Header=BB156_3 Depth=1
	ds_load_b64 v[38:39], v5 offset:19760
	s_wait_dscnt 0x0
	v_pk_mul_f32 v[40:41], v[36:37], v[38:39] op_sel:[1,1] op_sel_hi:[1,0]
	s_delay_alu instid0(VALU_DEP_1) | instskip(SKIP_1) | instid1(VALU_DEP_2)
	v_pk_fma_f32 v[98:99], v[36:37], v[38:39], v[40:41] op_sel_hi:[0,1,1]
	v_pk_fma_f32 v[38:39], v[36:37], v[38:39], v[40:41] neg_lo:[0,0,1] neg_hi:[0,0,1]
	v_mov_b32_e32 v39, v99
	s_delay_alu instid0(VALU_DEP_1)
	v_mov_b64_e32 v[36:37], v[38:39]
	ds_store_b64 v50, v[38:39]
.LBB156_615:                            ;   in Loop: Header=BB156_3 Depth=1
	s_or_b32 exec_lo, exec_lo, s10
	s_wait_dscnt 0x0
	s_barrier_signal -1
	s_barrier_wait -1
	s_and_saveexec_b32 s10, s99
	s_cbranch_execz .LBB156_617
; %bb.616:                              ;   in Loop: Header=BB156_3 Depth=1
	ds_load_b64 v[38:39], v5 offset:19768
	ds_load_b64 v[40:41], v50
	s_wait_dscnt 0x0
	v_pk_mul_f32 v[98:99], v[40:41], v[38:39] op_sel:[1,1] op_sel_hi:[0,1]
	s_delay_alu instid0(VALU_DEP_1) | instskip(SKIP_1) | instid1(VALU_DEP_2)
	v_pk_fma_f32 v[100:101], v[40:41], v[38:39], v[98:99] op_sel_hi:[1,0,1]
	v_pk_fma_f32 v[38:39], v[40:41], v[38:39], v[98:99] neg_lo:[0,0,1] neg_hi:[0,0,1]
	v_mov_b32_e32 v39, v101
	s_delay_alu instid0(VALU_DEP_1)
	v_pk_add_f32 v[36:37], v[36:37], v[38:39]
.LBB156_617:                            ;   in Loop: Header=BB156_3 Depth=1
	s_or_b32 exec_lo, exec_lo, s10
	s_barrier_signal -1
	s_barrier_wait -1
	s_and_saveexec_b32 s10, s99
	s_cbranch_execz .LBB156_619
; %bb.618:                              ;   in Loop: Header=BB156_3 Depth=1
	ds_load_b64 v[38:39], v5 offset:20280
	s_wait_dscnt 0x0
	v_pk_mul_f32 v[40:41], v[36:37], v[38:39] op_sel:[1,1] op_sel_hi:[1,0]
	s_delay_alu instid0(VALU_DEP_1) | instskip(SKIP_1) | instid1(VALU_DEP_2)
	v_pk_fma_f32 v[98:99], v[36:37], v[38:39], v[40:41] op_sel_hi:[0,1,1]
	v_pk_fma_f32 v[38:39], v[36:37], v[38:39], v[40:41] neg_lo:[0,0,1] neg_hi:[0,0,1]
	v_mov_b32_e32 v39, v99
	s_delay_alu instid0(VALU_DEP_1)
	v_mov_b64_e32 v[36:37], v[38:39]
	ds_store_b64 v50, v[38:39]
.LBB156_619:                            ;   in Loop: Header=BB156_3 Depth=1
	s_or_b32 exec_lo, exec_lo, s10
	s_wait_dscnt 0x0
	s_barrier_signal -1
	s_barrier_wait -1
	s_barrier_signal -1
	s_barrier_wait -1
	s_and_saveexec_b32 s10, s3
; %bb.620:                              ;   in Loop: Header=BB156_3 Depth=1
	v_pk_add_f32 v[36:37], v[36:37], 0 neg_lo:[1,1] neg_hi:[1,1]
	ds_store_b64 v51, v[36:37] offset:16672
; %bb.621:                              ;   in Loop: Header=BB156_3 Depth=1
	s_or_b32 exec_lo, exec_lo, s10
	s_wait_dscnt 0x0
	s_barrier_signal -1
	s_barrier_wait -1
	s_barrier_signal -1
	s_barrier_wait -1
	s_and_saveexec_b32 s10, s100
	s_cbranch_execz .LBB156_623
; %bb.622:                              ;   in Loop: Header=BB156_3 Depth=1
	ds_load_b64 v[36:37], v55 offset:16672
	s_wait_dscnt 0x0
	ds_store_b64 v56, v[36:37] offset:18688
	ds_load_b64 v[36:37], v55 offset:16680
	s_wait_dscnt 0x0
	ds_store_b64 v56, v[36:37] offset:19200
	;; [unrolled: 3-line block ×4, first 2 shown]
.LBB156_623:                            ;   in Loop: Header=BB156_3 Depth=1
	s_or_b32 exec_lo, exec_lo, s10
	s_wait_dscnt 0x0
	s_barrier_signal -1
	s_barrier_wait -1
	s_and_saveexec_b32 s10, s14
	s_cbranch_execz .LBB156_625
; %bb.624:                              ;   in Loop: Header=BB156_3 Depth=1
	ds_load_b128 v[36:39], v5 offset:18720
	ds_load_b64 v[40:41], v5 offset:19240
	s_wait_dscnt 0x1
	v_dual_mov_b32 v98, v39 :: v_dual_mov_b32 v99, v38
	s_wait_dscnt 0x0
	v_dual_mul_f32 v97, v41, v37 :: v_dual_mul_f32 v42, v40, v37
	s_delay_alu instid0(VALU_DEP_1) | instskip(NEXT) | instid1(VALU_DEP_1)
	v_xor_b32_e32 v100, 0x80000000, v97
	v_dual_fmac_f32 v42, v41, v36 :: v_dual_fmac_f32 v100, v40, v36
	s_delay_alu instid0(VALU_DEP_1) | instskip(NEXT) | instid1(VALU_DEP_1)
	v_pk_mul_f32 v[36:37], v[42:43], v[98:99] op_sel_hi:[0,1]
	v_pk_fma_f32 v[40:41], v[100:101], v[38:39], v[36:37] op_sel_hi:[0,1,1]
	v_pk_fma_f32 v[36:37], v[100:101], v[38:39], v[36:37] neg_lo:[0,0,1] neg_hi:[0,0,1]
	v_add_nc_u32_e64 v38, 0x4800, 0
	s_delay_alu instid0(VALU_DEP_3)
	v_mov_b32_e32 v37, v41
	ds_store_2addr_b64 v38, v[36:37], v[36:37] offset0:37 offset1:100
.LBB156_625:                            ;   in Loop: Header=BB156_3 Depth=1
	s_or_b32 exec_lo, exec_lo, s10
	v_mov_b32_e32 v37, 0
	s_wait_dscnt 0x0
	s_barrier_signal -1
	s_barrier_wait -1
	s_delay_alu instid0(VALU_DEP_1)
	v_mov_b32_e32 v36, v37
	s_and_saveexec_b32 s10, s1
	s_cbranch_execz .LBB156_629
; %bb.626:                              ;   in Loop: Header=BB156_3 Depth=1
	ds_load_b64 v[36:37], v44 offset:18736
	ds_load_b64 v[38:39], v45 offset:18720
	s_wait_dscnt 0x0
	v_dual_mul_f32 v40, v39, v37 :: v_dual_mul_f32 v41, v38, v37
	s_delay_alu instid0(VALU_DEP_1) | instskip(NEXT) | instid1(VALU_DEP_1)
	v_dual_fma_f32 v40, v38, v36, -v40 :: v_dual_fmac_f32 v41, v39, v36
	v_pk_add_f32 v[36:37], v[40:41], 0 op_sel_hi:[1,0]
	s_and_saveexec_b32 s12, s15
	s_cbranch_execz .LBB156_628
; %bb.627:                              ;   in Loop: Header=BB156_3 Depth=1
	ds_load_b64 v[38:39], v56 offset:19248
	ds_load_b64 v[40:41], v5 offset:18728
	s_wait_dscnt 0x0
	v_pk_mul_f32 v[98:99], v[40:41], v[38:39] op_sel:[1,1] op_sel_hi:[0,1]
	s_delay_alu instid0(VALU_DEP_1) | instskip(SKIP_1) | instid1(VALU_DEP_2)
	v_pk_fma_f32 v[100:101], v[40:41], v[38:39], v[98:99] op_sel_hi:[1,0,1]
	v_pk_fma_f32 v[38:39], v[40:41], v[38:39], v[98:99] neg_lo:[0,0,1] neg_hi:[0,0,1]
	v_mov_b32_e32 v39, v101
	s_delay_alu instid0(VALU_DEP_1)
	v_pk_add_f32 v[36:37], v[36:37], v[38:39]
.LBB156_628:                            ;   in Loop: Header=BB156_3 Depth=1
	s_or_b32 exec_lo, exec_lo, s12
	s_delay_alu instid0(VALU_DEP_1)
	v_pk_add_f32 v[36:37], v[36:37], 0 neg_lo:[1,1] neg_hi:[1,1]
.LBB156_629:                            ;   in Loop: Header=BB156_3 Depth=1
	s_or_b32 exec_lo, exec_lo, s10
	s_and_saveexec_b32 s10, s91
	s_cbranch_execz .LBB156_631
; %bb.630:                              ;   in Loop: Header=BB156_3 Depth=1
	ds_load_b64 v[38:39], v5 offset:19760
	s_wait_dscnt 0x0
	v_pk_mul_f32 v[40:41], v[36:37], v[38:39] op_sel:[1,1] op_sel_hi:[1,0]
	s_delay_alu instid0(VALU_DEP_1) | instskip(SKIP_1) | instid1(VALU_DEP_2)
	v_pk_fma_f32 v[98:99], v[36:37], v[38:39], v[40:41] op_sel_hi:[0,1,1]
	v_pk_fma_f32 v[38:39], v[36:37], v[38:39], v[40:41] neg_lo:[0,0,1] neg_hi:[0,0,1]
	v_mov_b32_e32 v39, v99
	s_delay_alu instid0(VALU_DEP_1)
	v_mov_b64_e32 v[36:37], v[38:39]
	ds_store_b64 v3, v[38:39]
.LBB156_631:                            ;   in Loop: Header=BB156_3 Depth=1
	s_or_b32 exec_lo, exec_lo, s10
	s_wait_dscnt 0x0
	s_barrier_signal -1
	s_barrier_wait -1
	s_and_saveexec_b32 s10, s92
	s_cbranch_execz .LBB156_633
; %bb.632:                              ;   in Loop: Header=BB156_3 Depth=1
	ds_load_b64 v[38:39], v5 offset:19768
	ds_load_b64 v[40:41], v3
	s_wait_dscnt 0x0
	v_pk_mul_f32 v[98:99], v[40:41], v[38:39] op_sel:[1,1] op_sel_hi:[0,1]
	s_delay_alu instid0(VALU_DEP_1) | instskip(SKIP_1) | instid1(VALU_DEP_2)
	v_pk_fma_f32 v[100:101], v[40:41], v[38:39], v[98:99] op_sel_hi:[1,0,1]
	v_pk_fma_f32 v[38:39], v[40:41], v[38:39], v[98:99] neg_lo:[0,0,1] neg_hi:[0,0,1]
	v_mov_b32_e32 v39, v101
	s_delay_alu instid0(VALU_DEP_1)
	v_pk_add_f32 v[36:37], v[36:37], v[38:39]
.LBB156_633:                            ;   in Loop: Header=BB156_3 Depth=1
	s_or_b32 exec_lo, exec_lo, s10
	s_barrier_signal -1
	s_barrier_wait -1
	s_and_saveexec_b32 s10, s92
	s_cbranch_execz .LBB156_635
; %bb.634:                              ;   in Loop: Header=BB156_3 Depth=1
	ds_load_b64 v[38:39], v5 offset:20280
	s_wait_dscnt 0x0
	v_pk_mul_f32 v[40:41], v[36:37], v[38:39] op_sel:[1,1] op_sel_hi:[1,0]
	s_delay_alu instid0(VALU_DEP_1) | instskip(SKIP_1) | instid1(VALU_DEP_2)
	v_pk_fma_f32 v[98:99], v[36:37], v[38:39], v[40:41] op_sel_hi:[0,1,1]
	v_pk_fma_f32 v[38:39], v[36:37], v[38:39], v[40:41] neg_lo:[0,0,1] neg_hi:[0,0,1]
	v_mov_b32_e32 v39, v99
	s_delay_alu instid0(VALU_DEP_1)
	v_mov_b64_e32 v[36:37], v[38:39]
	ds_store_b64 v3, v[38:39]
.LBB156_635:                            ;   in Loop: Header=BB156_3 Depth=1
	s_or_b32 exec_lo, exec_lo, s10
	s_wait_dscnt 0x0
	s_barrier_signal -1
	s_barrier_wait -1
	s_barrier_signal -1
	s_barrier_wait -1
	s_and_saveexec_b32 s10, s1
; %bb.636:                              ;   in Loop: Header=BB156_3 Depth=1
	v_pk_add_f32 v[36:37], v[36:37], 0 neg_lo:[1,1] neg_hi:[1,1]
	ds_store_b64 v44, v[36:37] offset:18736
; %bb.637:                              ;   in Loop: Header=BB156_3 Depth=1
	s_or_b32 exec_lo, exec_lo, s10
	s_wait_dscnt 0x0
	s_barrier_signal -1
	s_barrier_wait -1
	s_barrier_signal -1
	s_barrier_wait -1
	s_and_saveexec_b32 s10, s93
	s_cbranch_execz .LBB156_639
; %bb.638:                              ;   in Loop: Header=BB156_3 Depth=1
	ds_load_b64 v[36:37], v58 offset:18736
	s_wait_dscnt 0x0
	ds_store_b64 v56, v[36:37] offset:19744
	ds_load_b64 v[36:37], v58 offset:18744
	s_wait_dscnt 0x0
	ds_store_b64 v56, v[36:37] offset:20256
.LBB156_639:                            ;   in Loop: Header=BB156_3 Depth=1
	s_or_b32 exec_lo, exec_lo, s10
	s_wait_dscnt 0x0
	s_barrier_signal -1
	s_barrier_wait -1
	s_and_saveexec_b32 s10, s14
	s_cbranch_execz .LBB156_641
; %bb.640:                              ;   in Loop: Header=BB156_3 Depth=1
	ds_load_b128 v[36:39], v5 offset:19760
	ds_load_b64 v[40:41], v5 offset:20280
	s_wait_dscnt 0x1
	v_dual_mov_b32 v98, v39 :: v_dual_mov_b32 v99, v38
	s_wait_dscnt 0x0
	v_dual_mul_f32 v97, v41, v37 :: v_dual_mul_f32 v42, v40, v37
	s_delay_alu instid0(VALU_DEP_1) | instskip(NEXT) | instid1(VALU_DEP_1)
	v_xor_b32_e32 v100, 0x80000000, v97
	v_dual_fmac_f32 v42, v41, v36 :: v_dual_fmac_f32 v100, v40, v36
	s_delay_alu instid0(VALU_DEP_1) | instskip(NEXT) | instid1(VALU_DEP_1)
	v_pk_mul_f32 v[36:37], v[42:43], v[98:99] op_sel_hi:[0,1]
	v_pk_fma_f32 v[40:41], v[100:101], v[38:39], v[36:37] op_sel_hi:[0,1,1]
	v_pk_fma_f32 v[36:37], v[100:101], v[38:39], v[36:37] neg_lo:[0,0,1] neg_hi:[0,0,1]
	v_add_nc_u32_e64 v38, 0x4800, 0
	s_delay_alu instid0(VALU_DEP_3)
	v_mov_b32_e32 v37, v41
	ds_store_2addr_b64 v38, v[36:37], v[36:37] offset0:167 offset1:230
.LBB156_641:                            ;   in Loop: Header=BB156_3 Depth=1
	s_or_b32 exec_lo, exec_lo, s10
	v_mov_b32_e32 v36, 0
	s_wait_dscnt 0x0
	s_barrier_signal -1
	s_barrier_wait -1
	s_delay_alu instid0(VALU_DEP_1)
	v_mov_b32_e32 v37, v36
	s_and_saveexec_b32 s10, s4
	s_cbranch_execz .LBB156_651
; %bb.642:                              ;   in Loop: Header=BB156_3 Depth=1
	ds_load_b64 v[36:37], v61 offset:16704
	ds_load_b64 v[38:39], v57 offset:16640
	s_wait_dscnt 0x0
	v_dual_mul_f32 v40, v39, v37 :: v_dual_mul_f32 v41, v38, v37
	s_delay_alu instid0(VALU_DEP_1) | instskip(NEXT) | instid1(VALU_DEP_1)
	v_dual_fma_f32 v37, v38, v36, -v40 :: v_dual_fmac_f32 v41, v39, v36
	v_add_f32_e32 v37, 0, v37
	s_delay_alu instid0(VALU_DEP_2)
	v_add_f32_e32 v36, 0, v41
	s_and_saveexec_b32 s12, s18
	s_cbranch_execnz .LBB156_1152
; %bb.643:                              ;   in Loop: Header=BB156_3 Depth=1
	s_or_b32 exec_lo, exec_lo, s12
	s_and_saveexec_b32 s12, s19
	s_cbranch_execnz .LBB156_1153
.LBB156_644:                            ;   in Loop: Header=BB156_3 Depth=1
	s_or_b32 exec_lo, exec_lo, s12
	s_and_saveexec_b32 s12, s20
	s_cbranch_execnz .LBB156_1154
.LBB156_645:                            ;   in Loop: Header=BB156_3 Depth=1
	s_or_b32 exec_lo, exec_lo, s12
	s_and_saveexec_b32 s12, s21
	s_cbranch_execnz .LBB156_1155
.LBB156_646:                            ;   in Loop: Header=BB156_3 Depth=1
	s_or_b32 exec_lo, exec_lo, s12
	s_and_saveexec_b32 s12, s22
	s_cbranch_execnz .LBB156_1156
.LBB156_647:                            ;   in Loop: Header=BB156_3 Depth=1
	s_or_b32 exec_lo, exec_lo, s12
	s_and_saveexec_b32 s12, s3
	s_cbranch_execnz .LBB156_1157
.LBB156_648:                            ;   in Loop: Header=BB156_3 Depth=1
	s_or_b32 exec_lo, exec_lo, s12
	s_and_saveexec_b32 s12, s17
	s_cbranch_execz .LBB156_650
.LBB156_649:                            ;   in Loop: Header=BB156_3 Depth=1
	ds_load_b64 v[38:39], v63 offset:20288
	ds_load_b64 v[40:41], v5 offset:16696
	s_wait_dscnt 0x0
	v_pk_mul_f32 v[98:99], v[40:41], v[38:39] op_sel:[0,1]
	s_delay_alu instid0(VALU_DEP_1) | instskip(SKIP_1) | instid1(VALU_DEP_2)
	v_pk_fma_f32 v[100:101], v[40:41], v[38:39], v[98:99] op_sel:[1,0,0] op_sel_hi:[0,0,1] neg_lo:[0,0,1] neg_hi:[0,0,1]
	v_pk_fma_f32 v[38:39], v[40:41], v[38:39], v[98:99] op_sel:[1,0,0] op_sel_hi:[0,1,1]
	v_mov_b32_e32 v39, v101
	s_delay_alu instid0(VALU_DEP_1)
	v_pk_add_f32 v[36:37], v[36:37], v[38:39]
.LBB156_650:                            ;   in Loop: Header=BB156_3 Depth=1
	s_or_b32 exec_lo, exec_lo, s12
	s_delay_alu instid0(VALU_DEP_1) | instskip(NEXT) | instid1(VALU_DEP_1)
	v_pk_add_f32 v[38:39], v[36:37], 0 neg_lo:[1,1] neg_hi:[1,1]
	v_dual_mov_b32 v36, v39 :: v_dual_mov_b32 v37, v38
.LBB156_651:                            ;   in Loop: Header=BB156_3 Depth=1
	s_or_b32 exec_lo, exec_lo, s10
	s_and_saveexec_b32 s10, s101
	s_cbranch_execz .LBB156_653
; %bb.652:                              ;   in Loop: Header=BB156_3 Depth=1
	ds_load_b64 v[38:39], v5 offset:20800
	v_dual_mov_b32 v40, v37 :: v_dual_mov_b32 v41, v36
	s_wait_dscnt 0x0
	s_delay_alu instid0(VALU_DEP_1) | instskip(NEXT) | instid1(VALU_DEP_1)
	v_dual_mul_f32 v42, v40, v38 :: v_dual_mul_f32 v98, v37, v39
	v_pk_fma_f32 v[40:41], v[40:41], v[38:39], v[42:43] op_sel_hi:[1,1,0]
	s_delay_alu instid0(VALU_DEP_2) | instskip(NEXT) | instid1(VALU_DEP_2)
	v_pk_fma_f32 v[36:37], v[36:37], v[38:39], v[98:99] op_sel_hi:[1,1,0] neg_lo:[0,0,1] neg_hi:[0,0,1]
	v_mov_b32_e32 v37, v41
	ds_store_b64 v60, v[36:37]
.LBB156_653:                            ;   in Loop: Header=BB156_3 Depth=1
	s_or_b32 exec_lo, exec_lo, s10
	s_wait_dscnt 0x0
	s_barrier_signal -1
	s_barrier_wait -1
	s_and_saveexec_b32 s10, s102
	s_cbranch_execz .LBB156_655
; %bb.654:                              ;   in Loop: Header=BB156_3 Depth=1
	ds_load_b64 v[38:39], v59 offset:20800
	ds_load_b64 v[40:41], v60
	s_wait_dscnt 0x0
	v_dual_mul_f32 v42, v41, v39 :: v_dual_mul_f32 v99, v40, v39
	s_delay_alu instid0(VALU_DEP_1) | instskip(NEXT) | instid1(VALU_DEP_1)
	v_dual_fma_f32 v98, v40, v38, -v42 :: v_dual_fmac_f32 v99, v41, v38
	v_pk_add_f32 v[36:37], v[36:37], v[98:99]
.LBB156_655:                            ;   in Loop: Header=BB156_3 Depth=1
	s_or_b32 exec_lo, exec_lo, s10
	s_barrier_signal -1
	s_barrier_wait -1
	s_and_saveexec_b32 s10, s103
	s_cbranch_execz .LBB156_657
; %bb.656:                              ;   in Loop: Header=BB156_3 Depth=1
	ds_load_b64 v[38:39], v5 offset:21320
	s_wait_dscnt 0x0
	v_pk_mul_f32 v[40:41], v[36:37], v[38:39] op_sel:[1,1] op_sel_hi:[1,0]
	s_delay_alu instid0(VALU_DEP_1) | instskip(SKIP_1) | instid1(VALU_DEP_2)
	v_pk_fma_f32 v[98:99], v[36:37], v[38:39], v[40:41] op_sel_hi:[0,1,1]
	v_pk_fma_f32 v[36:37], v[36:37], v[38:39], v[40:41] op_sel_hi:[0,1,1] neg_lo:[0,0,1] neg_hi:[0,0,1]
	v_mov_b32_e32 v37, v99
	ds_store_b64 v60, v[36:37]
.LBB156_657:                            ;   in Loop: Header=BB156_3 Depth=1
	s_or_b32 exec_lo, exec_lo, s10
	s_wait_dscnt 0x0
	s_barrier_signal -1
	s_barrier_wait -1
	s_and_saveexec_b32 s10, s104
	s_cbranch_execz .LBB156_659
; %bb.658:                              ;   in Loop: Header=BB156_3 Depth=1
	ds_load_b64 v[38:39], v59 offset:21312
	ds_load_b64 v[40:41], v60
	s_wait_dscnt 0x0
	v_pk_mul_f32 v[98:99], v[40:41], v[38:39] op_sel:[1,1] op_sel_hi:[0,1]
	s_delay_alu instid0(VALU_DEP_1) | instskip(SKIP_1) | instid1(VALU_DEP_2)
	v_pk_fma_f32 v[100:101], v[40:41], v[38:39], v[98:99] op_sel_hi:[1,0,1]
	v_pk_fma_f32 v[38:39], v[40:41], v[38:39], v[98:99] op_sel_hi:[1,0,1] neg_lo:[0,0,1] neg_hi:[0,0,1]
	v_mov_b32_e32 v39, v101
	s_delay_alu instid0(VALU_DEP_1)
	v_pk_add_f32 v[36:37], v[36:37], v[38:39]
.LBB156_659:                            ;   in Loop: Header=BB156_3 Depth=1
	s_or_b32 exec_lo, exec_lo, s10
	s_barrier_signal -1
	s_barrier_wait -1
	s_and_saveexec_b32 s10, vcc_hi
	s_cbranch_execz .LBB156_661
; %bb.660:                              ;   in Loop: Header=BB156_3 Depth=1
	ds_load_b64 v[38:39], v5 offset:21840
	s_wait_dscnt 0x0
	v_pk_mul_f32 v[40:41], v[36:37], v[38:39] op_sel:[1,1] op_sel_hi:[1,0]
	s_delay_alu instid0(VALU_DEP_1) | instskip(SKIP_1) | instid1(VALU_DEP_2)
	v_pk_fma_f32 v[98:99], v[36:37], v[38:39], v[40:41] op_sel_hi:[0,1,1]
	v_pk_fma_f32 v[36:37], v[36:37], v[38:39], v[40:41] op_sel_hi:[0,1,1] neg_lo:[0,0,1] neg_hi:[0,0,1]
	v_mov_b32_e32 v37, v99
	ds_store_b64 v60, v[36:37]
.LBB156_661:                            ;   in Loop: Header=BB156_3 Depth=1
	s_or_b32 exec_lo, exec_lo, s10
	s_wait_dscnt 0x0
	s_barrier_signal -1
	s_barrier_wait -1
	s_and_saveexec_b32 s10, s38
	s_cbranch_execz .LBB156_663
; %bb.662:                              ;   in Loop: Header=BB156_3 Depth=1
	ds_load_b64 v[38:39], v59 offset:21824
	ds_load_b64 v[40:41], v60
	s_wait_dscnt 0x0
	v_pk_mul_f32 v[98:99], v[40:41], v[38:39] op_sel:[1,1] op_sel_hi:[0,1]
	s_delay_alu instid0(VALU_DEP_1) | instskip(SKIP_1) | instid1(VALU_DEP_2)
	v_pk_fma_f32 v[100:101], v[40:41], v[38:39], v[98:99] op_sel_hi:[1,0,1]
	v_pk_fma_f32 v[38:39], v[40:41], v[38:39], v[98:99] op_sel_hi:[1,0,1] neg_lo:[0,0,1] neg_hi:[0,0,1]
	v_mov_b32_e32 v39, v101
	s_delay_alu instid0(VALU_DEP_1)
	v_pk_add_f32 v[36:37], v[36:37], v[38:39]
.LBB156_663:                            ;   in Loop: Header=BB156_3 Depth=1
	s_or_b32 exec_lo, exec_lo, s10
	s_barrier_signal -1
	s_barrier_wait -1
	s_and_saveexec_b32 s10, s39
	s_cbranch_execz .LBB156_665
; %bb.664:                              ;   in Loop: Header=BB156_3 Depth=1
	ds_load_b64 v[38:39], v5 offset:22360
	s_wait_dscnt 0x0
	v_pk_mul_f32 v[40:41], v[36:37], v[38:39] op_sel:[1,1] op_sel_hi:[1,0]
	s_delay_alu instid0(VALU_DEP_1) | instskip(SKIP_1) | instid1(VALU_DEP_2)
	v_pk_fma_f32 v[98:99], v[36:37], v[38:39], v[40:41] op_sel_hi:[0,1,1]
	v_pk_fma_f32 v[36:37], v[36:37], v[38:39], v[40:41] op_sel_hi:[0,1,1] neg_lo:[0,0,1] neg_hi:[0,0,1]
	v_mov_b32_e32 v37, v99
	ds_store_b64 v60, v[36:37]
.LBB156_665:                            ;   in Loop: Header=BB156_3 Depth=1
	s_or_b32 exec_lo, exec_lo, s10
	s_wait_dscnt 0x0
	s_barrier_signal -1
	s_barrier_wait -1
	s_and_saveexec_b32 s10, s40
	s_cbranch_execz .LBB156_667
; %bb.666:                              ;   in Loop: Header=BB156_3 Depth=1
	ds_load_b64 v[38:39], v59 offset:22336
	ds_load_b64 v[40:41], v60
	s_wait_dscnt 0x0
	v_pk_mul_f32 v[98:99], v[40:41], v[38:39] op_sel:[1,1] op_sel_hi:[0,1]
	s_delay_alu instid0(VALU_DEP_1) | instskip(SKIP_1) | instid1(VALU_DEP_2)
	v_pk_fma_f32 v[100:101], v[40:41], v[38:39], v[98:99] op_sel_hi:[1,0,1]
	v_pk_fma_f32 v[38:39], v[40:41], v[38:39], v[98:99] op_sel_hi:[1,0,1] neg_lo:[0,0,1] neg_hi:[0,0,1]
	v_mov_b32_e32 v39, v101
	s_delay_alu instid0(VALU_DEP_1)
	v_pk_add_f32 v[36:37], v[36:37], v[38:39]
.LBB156_667:                            ;   in Loop: Header=BB156_3 Depth=1
	s_or_b32 exec_lo, exec_lo, s10
	s_barrier_signal -1
	s_barrier_wait -1
	s_and_saveexec_b32 s10, s41
	s_cbranch_execz .LBB156_669
; %bb.668:                              ;   in Loop: Header=BB156_3 Depth=1
	ds_load_b64 v[38:39], v5 offset:22880
	s_wait_dscnt 0x0
	v_dual_mul_f32 v40, v36, v39 :: v_dual_mul_f32 v42, v37, v39
	s_delay_alu instid0(VALU_DEP_1) | instskip(NEXT) | instid1(VALU_DEP_2)
	v_pk_fma_f32 v[40:41], v[36:37], v[38:39], v[40:41] op_sel:[0,1,0] op_sel_hi:[1,0,0]
	v_pk_fma_f32 v[38:39], v[36:37], v[38:39], v[42:43] op_sel_hi:[1,1,0] neg_lo:[0,0,1] neg_hi:[0,0,1]
	s_delay_alu instid0(VALU_DEP_2) | instskip(NEXT) | instid1(VALU_DEP_1)
	v_mov_b32_e32 v39, v41
	v_mov_b64_e32 v[36:37], v[38:39]
	ds_store_b64 v60, v[38:39]
.LBB156_669:                            ;   in Loop: Header=BB156_3 Depth=1
	s_or_b32 exec_lo, exec_lo, s10
	s_wait_dscnt 0x0
	s_barrier_signal -1
	s_barrier_wait -1
	s_and_saveexec_b32 s10, s42
	s_cbranch_execz .LBB156_671
; %bb.670:                              ;   in Loop: Header=BB156_3 Depth=1
	ds_load_b64 v[38:39], v59 offset:22848
	ds_load_b64 v[40:41], v60
	s_wait_dscnt 0x0
	v_dual_mul_f32 v42, v41, v39 :: v_dual_mul_f32 v99, v40, v39
	s_delay_alu instid0(VALU_DEP_1) | instskip(NEXT) | instid1(VALU_DEP_1)
	v_dual_fma_f32 v98, v40, v38, -v42 :: v_dual_fmac_f32 v99, v41, v38
	v_pk_add_f32 v[36:37], v[36:37], v[98:99]
.LBB156_671:                            ;   in Loop: Header=BB156_3 Depth=1
	s_or_b32 exec_lo, exec_lo, s10
	s_barrier_signal -1
	s_barrier_wait -1
	s_and_saveexec_b32 s10, s43
	s_cbranch_execz .LBB156_673
; %bb.672:                              ;   in Loop: Header=BB156_3 Depth=1
	ds_load_b64 v[38:39], v5 offset:23400
	s_wait_dscnt 0x0
	v_pk_mul_f32 v[40:41], v[36:37], v[38:39] op_sel:[1,1] op_sel_hi:[1,0]
	s_delay_alu instid0(VALU_DEP_1) | instskip(SKIP_1) | instid1(VALU_DEP_2)
	v_pk_fma_f32 v[98:99], v[36:37], v[38:39], v[40:41] op_sel_hi:[0,1,1]
	v_pk_fma_f32 v[38:39], v[36:37], v[38:39], v[40:41] neg_lo:[0,0,1] neg_hi:[0,0,1]
	v_mov_b32_e32 v39, v99
	s_delay_alu instid0(VALU_DEP_1)
	v_mov_b64_e32 v[36:37], v[38:39]
	ds_store_b64 v60, v[38:39]
.LBB156_673:                            ;   in Loop: Header=BB156_3 Depth=1
	s_or_b32 exec_lo, exec_lo, s10
	s_wait_dscnt 0x0
	s_barrier_signal -1
	s_barrier_wait -1
	s_and_saveexec_b32 s10, s44
	s_cbranch_execz .LBB156_675
; %bb.674:                              ;   in Loop: Header=BB156_3 Depth=1
	ds_load_b64 v[38:39], v59 offset:23360
	ds_load_b64 v[40:41], v60
	s_wait_dscnt 0x0
	v_pk_mul_f32 v[98:99], v[40:41], v[38:39] op_sel:[1,1] op_sel_hi:[0,1]
	s_delay_alu instid0(VALU_DEP_1) | instskip(SKIP_1) | instid1(VALU_DEP_2)
	v_pk_fma_f32 v[100:101], v[40:41], v[38:39], v[98:99] op_sel_hi:[1,0,1]
	v_pk_fma_f32 v[38:39], v[40:41], v[38:39], v[98:99] neg_lo:[0,0,1] neg_hi:[0,0,1]
	v_mov_b32_e32 v39, v101
	s_delay_alu instid0(VALU_DEP_1)
	v_pk_add_f32 v[36:37], v[36:37], v[38:39]
.LBB156_675:                            ;   in Loop: Header=BB156_3 Depth=1
	s_or_b32 exec_lo, exec_lo, s10
	s_barrier_signal -1
	s_barrier_wait -1
	s_and_saveexec_b32 s10, s45
	s_cbranch_execz .LBB156_677
; %bb.676:                              ;   in Loop: Header=BB156_3 Depth=1
	ds_load_b64 v[38:39], v5 offset:23920
	s_wait_dscnt 0x0
	v_pk_mul_f32 v[40:41], v[36:37], v[38:39] op_sel:[1,1] op_sel_hi:[1,0]
	s_delay_alu instid0(VALU_DEP_1) | instskip(SKIP_1) | instid1(VALU_DEP_2)
	v_pk_fma_f32 v[98:99], v[36:37], v[38:39], v[40:41] op_sel_hi:[0,1,1]
	v_pk_fma_f32 v[38:39], v[36:37], v[38:39], v[40:41] neg_lo:[0,0,1] neg_hi:[0,0,1]
	v_mov_b32_e32 v39, v99
	s_delay_alu instid0(VALU_DEP_1)
	v_mov_b64_e32 v[36:37], v[38:39]
	ds_store_b64 v60, v[38:39]
.LBB156_677:                            ;   in Loop: Header=BB156_3 Depth=1
	s_or_b32 exec_lo, exec_lo, s10
	s_wait_dscnt 0x0
	s_barrier_signal -1
	s_barrier_wait -1
	s_and_saveexec_b32 s10, s46
	s_cbranch_execz .LBB156_679
; %bb.678:                              ;   in Loop: Header=BB156_3 Depth=1
	ds_load_b64 v[38:39], v5 offset:23928
	ds_load_b64 v[40:41], v60
	s_wait_dscnt 0x0
	v_pk_mul_f32 v[98:99], v[40:41], v[38:39] op_sel:[1,1] op_sel_hi:[0,1]
	s_delay_alu instid0(VALU_DEP_1) | instskip(SKIP_1) | instid1(VALU_DEP_2)
	v_pk_fma_f32 v[100:101], v[40:41], v[38:39], v[98:99] op_sel_hi:[1,0,1]
	v_pk_fma_f32 v[38:39], v[40:41], v[38:39], v[98:99] neg_lo:[0,0,1] neg_hi:[0,0,1]
	v_mov_b32_e32 v39, v101
	s_delay_alu instid0(VALU_DEP_1)
	v_pk_add_f32 v[36:37], v[36:37], v[38:39]
.LBB156_679:                            ;   in Loop: Header=BB156_3 Depth=1
	s_or_b32 exec_lo, exec_lo, s10
	s_barrier_signal -1
	s_barrier_wait -1
	s_and_saveexec_b32 s10, s46
	s_cbranch_execz .LBB156_681
; %bb.680:                              ;   in Loop: Header=BB156_3 Depth=1
	ds_load_b64 v[38:39], v5 offset:24440
	s_wait_dscnt 0x0
	v_pk_mul_f32 v[40:41], v[36:37], v[38:39] op_sel:[1,1] op_sel_hi:[1,0]
	s_delay_alu instid0(VALU_DEP_1) | instskip(SKIP_1) | instid1(VALU_DEP_2)
	v_pk_fma_f32 v[98:99], v[36:37], v[38:39], v[40:41] op_sel_hi:[0,1,1]
	v_pk_fma_f32 v[38:39], v[36:37], v[38:39], v[40:41] neg_lo:[0,0,1] neg_hi:[0,0,1]
	v_mov_b32_e32 v39, v99
	s_delay_alu instid0(VALU_DEP_1)
	v_mov_b64_e32 v[36:37], v[38:39]
	ds_store_b64 v60, v[38:39]
.LBB156_681:                            ;   in Loop: Header=BB156_3 Depth=1
	s_or_b32 exec_lo, exec_lo, s10
	s_wait_dscnt 0x0
	s_barrier_signal -1
	s_barrier_wait -1
	s_barrier_signal -1
	s_barrier_wait -1
	s_and_saveexec_b32 s10, s4
; %bb.682:                              ;   in Loop: Header=BB156_3 Depth=1
	v_pk_add_f32 v[36:37], v[36:37], 0 neg_lo:[1,1] neg_hi:[1,1]
	ds_store_b64 v61, v[36:37] offset:16704
; %bb.683:                              ;   in Loop: Header=BB156_3 Depth=1
	s_or_b32 exec_lo, exec_lo, s10
	s_wait_dscnt 0x0
	s_barrier_signal -1
	s_barrier_wait -1
	s_barrier_signal -1
	s_barrier_wait -1
	s_and_saveexec_b32 s10, s47
	s_cbranch_execz .LBB156_685
; %bb.684:                              ;   in Loop: Header=BB156_3 Depth=1
	ds_load_b64 v[36:37], v72 offset:16704
	s_wait_dscnt 0x0
	ds_store_b64 v73, v[36:37] offset:20736
	ds_load_b64 v[36:37], v72 offset:16712
	s_wait_dscnt 0x0
	ds_store_b64 v73, v[36:37] offset:21248
	;; [unrolled: 3-line block ×8, first 2 shown]
.LBB156_685:                            ;   in Loop: Header=BB156_3 Depth=1
	s_or_b32 exec_lo, exec_lo, s10
	s_wait_dscnt 0x0
	s_barrier_signal -1
	s_barrier_wait -1
	s_and_saveexec_b32 s10, s14
	s_cbranch_execz .LBB156_687
; %bb.686:                              ;   in Loop: Header=BB156_3 Depth=1
	ds_load_b128 v[36:39], v5 offset:20800
	ds_load_b64 v[40:41], v5 offset:21320
	s_wait_dscnt 0x1
	v_dual_mov_b32 v98, v39 :: v_dual_mov_b32 v99, v38
	s_wait_dscnt 0x0
	v_dual_mul_f32 v97, v41, v37 :: v_dual_mul_f32 v42, v40, v37
	s_delay_alu instid0(VALU_DEP_1) | instskip(NEXT) | instid1(VALU_DEP_1)
	v_xor_b32_e32 v100, 0x80000000, v97
	v_dual_fmac_f32 v42, v41, v36 :: v_dual_fmac_f32 v100, v40, v36
	s_delay_alu instid0(VALU_DEP_1) | instskip(NEXT) | instid1(VALU_DEP_1)
	v_pk_mul_f32 v[36:37], v[42:43], v[98:99] op_sel_hi:[0,1]
	v_pk_fma_f32 v[40:41], v[100:101], v[38:39], v[36:37] op_sel_hi:[0,1,1]
	v_pk_fma_f32 v[36:37], v[100:101], v[38:39], v[36:37] neg_lo:[0,0,1] neg_hi:[0,0,1]
	v_add_nc_u32_e64 v38, 0x5000, 0
	s_delay_alu instid0(VALU_DEP_3)
	v_mov_b32_e32 v37, v41
	ds_store_2addr_b64 v38, v[36:37], v[36:37] offset0:41 offset1:104
.LBB156_687:                            ;   in Loop: Header=BB156_3 Depth=1
	s_or_b32 exec_lo, exec_lo, s10
	v_mov_b32_e32 v37, 0
	s_wait_dscnt 0x0
	s_barrier_signal -1
	s_barrier_wait -1
	s_delay_alu instid0(VALU_DEP_1)
	v_mov_b32_e32 v36, v37
	s_and_saveexec_b32 s10, s1
	s_cbranch_execz .LBB156_691
; %bb.688:                              ;   in Loop: Header=BB156_3 Depth=1
	ds_load_b64 v[36:37], v44 offset:20816
	ds_load_b64 v[38:39], v45 offset:20800
	s_wait_dscnt 0x0
	v_dual_mul_f32 v40, v39, v37 :: v_dual_mul_f32 v41, v38, v37
	s_delay_alu instid0(VALU_DEP_1) | instskip(NEXT) | instid1(VALU_DEP_1)
	v_dual_fma_f32 v40, v38, v36, -v40 :: v_dual_fmac_f32 v41, v39, v36
	v_pk_add_f32 v[36:37], v[40:41], 0 op_sel_hi:[1,0]
	s_and_saveexec_b32 s12, s15
	s_cbranch_execz .LBB156_690
; %bb.689:                              ;   in Loop: Header=BB156_3 Depth=1
	ds_load_b64 v[38:39], v73 offset:21328
	ds_load_b64 v[40:41], v5 offset:20808
	s_wait_dscnt 0x0
	v_pk_mul_f32 v[98:99], v[40:41], v[38:39] op_sel:[1,1] op_sel_hi:[0,1]
	s_delay_alu instid0(VALU_DEP_1) | instskip(SKIP_1) | instid1(VALU_DEP_2)
	v_pk_fma_f32 v[100:101], v[40:41], v[38:39], v[98:99] op_sel_hi:[1,0,1]
	v_pk_fma_f32 v[38:39], v[40:41], v[38:39], v[98:99] neg_lo:[0,0,1] neg_hi:[0,0,1]
	v_mov_b32_e32 v39, v101
	s_delay_alu instid0(VALU_DEP_1)
	v_pk_add_f32 v[36:37], v[36:37], v[38:39]
.LBB156_690:                            ;   in Loop: Header=BB156_3 Depth=1
	s_or_b32 exec_lo, exec_lo, s12
	s_delay_alu instid0(VALU_DEP_1)
	v_pk_add_f32 v[36:37], v[36:37], 0 neg_lo:[1,1] neg_hi:[1,1]
.LBB156_691:                            ;   in Loop: Header=BB156_3 Depth=1
	s_or_b32 exec_lo, exec_lo, s10
	s_and_saveexec_b32 s10, s91
	s_cbranch_execz .LBB156_693
; %bb.692:                              ;   in Loop: Header=BB156_3 Depth=1
	ds_load_b64 v[38:39], v5 offset:21840
	s_wait_dscnt 0x0
	v_pk_mul_f32 v[40:41], v[36:37], v[38:39] op_sel:[1,1] op_sel_hi:[1,0]
	s_delay_alu instid0(VALU_DEP_1) | instskip(SKIP_1) | instid1(VALU_DEP_2)
	v_pk_fma_f32 v[98:99], v[36:37], v[38:39], v[40:41] op_sel_hi:[0,1,1]
	v_pk_fma_f32 v[38:39], v[36:37], v[38:39], v[40:41] neg_lo:[0,0,1] neg_hi:[0,0,1]
	v_mov_b32_e32 v39, v99
	s_delay_alu instid0(VALU_DEP_1)
	v_mov_b64_e32 v[36:37], v[38:39]
	ds_store_b64 v3, v[38:39]
.LBB156_693:                            ;   in Loop: Header=BB156_3 Depth=1
	s_or_b32 exec_lo, exec_lo, s10
	s_wait_dscnt 0x0
	s_barrier_signal -1
	s_barrier_wait -1
	s_and_saveexec_b32 s10, s92
	s_cbranch_execz .LBB156_695
; %bb.694:                              ;   in Loop: Header=BB156_3 Depth=1
	ds_load_b64 v[38:39], v5 offset:21848
	ds_load_b64 v[40:41], v3
	s_wait_dscnt 0x0
	v_pk_mul_f32 v[98:99], v[40:41], v[38:39] op_sel:[1,1] op_sel_hi:[0,1]
	s_delay_alu instid0(VALU_DEP_1) | instskip(SKIP_1) | instid1(VALU_DEP_2)
	v_pk_fma_f32 v[100:101], v[40:41], v[38:39], v[98:99] op_sel_hi:[1,0,1]
	v_pk_fma_f32 v[38:39], v[40:41], v[38:39], v[98:99] neg_lo:[0,0,1] neg_hi:[0,0,1]
	v_mov_b32_e32 v39, v101
	s_delay_alu instid0(VALU_DEP_1)
	v_pk_add_f32 v[36:37], v[36:37], v[38:39]
.LBB156_695:                            ;   in Loop: Header=BB156_3 Depth=1
	s_or_b32 exec_lo, exec_lo, s10
	s_barrier_signal -1
	s_barrier_wait -1
	s_and_saveexec_b32 s10, s92
	s_cbranch_execz .LBB156_697
; %bb.696:                              ;   in Loop: Header=BB156_3 Depth=1
	ds_load_b64 v[38:39], v5 offset:22360
	s_wait_dscnt 0x0
	v_pk_mul_f32 v[40:41], v[36:37], v[38:39] op_sel:[1,1] op_sel_hi:[1,0]
	s_delay_alu instid0(VALU_DEP_1) | instskip(SKIP_1) | instid1(VALU_DEP_2)
	v_pk_fma_f32 v[98:99], v[36:37], v[38:39], v[40:41] op_sel_hi:[0,1,1]
	v_pk_fma_f32 v[38:39], v[36:37], v[38:39], v[40:41] neg_lo:[0,0,1] neg_hi:[0,0,1]
	v_mov_b32_e32 v39, v99
	s_delay_alu instid0(VALU_DEP_1)
	v_mov_b64_e32 v[36:37], v[38:39]
	ds_store_b64 v3, v[38:39]
.LBB156_697:                            ;   in Loop: Header=BB156_3 Depth=1
	s_or_b32 exec_lo, exec_lo, s10
	s_wait_dscnt 0x0
	s_barrier_signal -1
	s_barrier_wait -1
	s_barrier_signal -1
	s_barrier_wait -1
	s_and_saveexec_b32 s10, s1
; %bb.698:                              ;   in Loop: Header=BB156_3 Depth=1
	v_pk_add_f32 v[36:37], v[36:37], 0 neg_lo:[1,1] neg_hi:[1,1]
	ds_store_b64 v44, v[36:37] offset:20816
; %bb.699:                              ;   in Loop: Header=BB156_3 Depth=1
	s_or_b32 exec_lo, exec_lo, s10
	s_wait_dscnt 0x0
	s_barrier_signal -1
	s_barrier_wait -1
	s_barrier_signal -1
	s_barrier_wait -1
	s_and_saveexec_b32 s10, s93
	s_cbranch_execz .LBB156_701
; %bb.700:                              ;   in Loop: Header=BB156_3 Depth=1
	ds_load_b64 v[36:37], v74 offset:20816
	s_wait_dscnt 0x0
	ds_store_b64 v73, v[36:37] offset:21824
	ds_load_b64 v[36:37], v74 offset:20824
	s_wait_dscnt 0x0
	ds_store_b64 v73, v[36:37] offset:22336
.LBB156_701:                            ;   in Loop: Header=BB156_3 Depth=1
	s_or_b32 exec_lo, exec_lo, s10
	s_wait_dscnt 0x0
	s_barrier_signal -1
	s_barrier_wait -1
	s_and_saveexec_b32 s10, s14
	s_cbranch_execz .LBB156_703
; %bb.702:                              ;   in Loop: Header=BB156_3 Depth=1
	ds_load_b128 v[36:39], v5 offset:21840
	ds_load_b64 v[40:41], v5 offset:22360
	s_wait_dscnt 0x1
	v_dual_mov_b32 v98, v39 :: v_dual_mov_b32 v99, v38
	s_wait_dscnt 0x0
	v_dual_mul_f32 v97, v41, v37 :: v_dual_mul_f32 v42, v40, v37
	s_delay_alu instid0(VALU_DEP_1) | instskip(NEXT) | instid1(VALU_DEP_1)
	v_xor_b32_e32 v100, 0x80000000, v97
	v_dual_fmac_f32 v42, v41, v36 :: v_dual_fmac_f32 v100, v40, v36
	s_delay_alu instid0(VALU_DEP_1) | instskip(NEXT) | instid1(VALU_DEP_1)
	v_pk_mul_f32 v[36:37], v[42:43], v[98:99] op_sel_hi:[0,1]
	v_pk_fma_f32 v[40:41], v[100:101], v[38:39], v[36:37] op_sel_hi:[0,1,1]
	v_pk_fma_f32 v[36:37], v[100:101], v[38:39], v[36:37] neg_lo:[0,0,1] neg_hi:[0,0,1]
	v_add_nc_u32_e64 v38, 0x5000, 0
	s_delay_alu instid0(VALU_DEP_3)
	v_mov_b32_e32 v37, v41
	ds_store_2addr_b64 v38, v[36:37], v[36:37] offset0:171 offset1:234
.LBB156_703:                            ;   in Loop: Header=BB156_3 Depth=1
	s_or_b32 exec_lo, exec_lo, s10
	v_mov_b32_e32 v36, 0
	s_wait_dscnt 0x0
	s_barrier_signal -1
	s_barrier_wait -1
	s_delay_alu instid0(VALU_DEP_1)
	v_mov_b32_e32 v37, v36
	s_and_saveexec_b32 s10, s3
	s_cbranch_execz .LBB156_709
; %bb.704:                              ;   in Loop: Header=BB156_3 Depth=1
	ds_load_b64 v[36:37], v51 offset:20832
	ds_load_b64 v[38:39], v47 offset:20800
	s_wait_dscnt 0x0
	v_pk_mul_f32 v[40:41], v[38:39], v[36:37] op_sel:[0,1]
	s_delay_alu instid0(VALU_DEP_1) | instskip(SKIP_1) | instid1(VALU_DEP_2)
	v_pk_fma_f32 v[98:99], v[38:39], v[36:37], v[40:41] op_sel:[1,0,0] op_sel_hi:[0,0,1] neg_lo:[0,0,1] neg_hi:[0,0,1]
	v_pk_fma_f32 v[36:37], v[38:39], v[36:37], v[40:41] op_sel:[1,0,0] op_sel_hi:[0,1,1]
	v_mov_b32_e32 v37, v99
	s_delay_alu instid0(VALU_DEP_1)
	v_pk_add_f32 v[36:37], v[36:37], 0 op_sel_hi:[1,0]
	s_and_saveexec_b32 s12, s16
	s_cbranch_execnz .LBB156_1158
; %bb.705:                              ;   in Loop: Header=BB156_3 Depth=1
	s_or_b32 exec_lo, exec_lo, s12
	s_and_saveexec_b32 s12, s17
	s_cbranch_execnz .LBB156_1159
.LBB156_706:                            ;   in Loop: Header=BB156_3 Depth=1
	s_or_b32 exec_lo, exec_lo, s12
	s_and_saveexec_b32 s12, s1
	s_cbranch_execz .LBB156_708
.LBB156_707:                            ;   in Loop: Header=BB156_3 Depth=1
	ds_load_b64 v[38:39], v75 offset:22368
	ds_load_b64 v[40:41], v5 offset:20824
	s_wait_dscnt 0x0
	v_pk_mul_f32 v[98:99], v[40:41], v[38:39] op_sel:[0,1]
	s_delay_alu instid0(VALU_DEP_1) | instskip(SKIP_1) | instid1(VALU_DEP_2)
	v_pk_fma_f32 v[100:101], v[40:41], v[38:39], v[98:99] op_sel:[1,0,0] op_sel_hi:[0,0,1] neg_lo:[0,0,1] neg_hi:[0,0,1]
	v_pk_fma_f32 v[38:39], v[40:41], v[38:39], v[98:99] op_sel:[1,0,0] op_sel_hi:[0,1,1]
	v_mov_b32_e32 v39, v101
	s_delay_alu instid0(VALU_DEP_1)
	v_pk_add_f32 v[36:37], v[36:37], v[38:39]
.LBB156_708:                            ;   in Loop: Header=BB156_3 Depth=1
	s_or_b32 exec_lo, exec_lo, s12
	s_delay_alu instid0(VALU_DEP_1) | instskip(NEXT) | instid1(VALU_DEP_1)
	v_pk_add_f32 v[38:39], v[36:37], 0 neg_lo:[1,1] neg_hi:[1,1]
	v_dual_mov_b32 v36, v39 :: v_dual_mov_b32 v37, v38
.LBB156_709:                            ;   in Loop: Header=BB156_3 Depth=1
	s_or_b32 exec_lo, exec_lo, s10
	s_and_saveexec_b32 s10, s94
	s_cbranch_execz .LBB156_711
; %bb.710:                              ;   in Loop: Header=BB156_3 Depth=1
	ds_load_b64 v[38:39], v5 offset:22880
	v_dual_mov_b32 v40, v37 :: v_dual_mov_b32 v41, v36
	s_wait_dscnt 0x0
	s_delay_alu instid0(VALU_DEP_1) | instskip(NEXT) | instid1(VALU_DEP_1)
	v_dual_mul_f32 v42, v40, v38 :: v_dual_mul_f32 v98, v37, v39
	v_pk_fma_f32 v[40:41], v[40:41], v[38:39], v[42:43] op_sel_hi:[1,1,0]
	s_delay_alu instid0(VALU_DEP_2) | instskip(NEXT) | instid1(VALU_DEP_2)
	v_pk_fma_f32 v[36:37], v[36:37], v[38:39], v[98:99] op_sel_hi:[1,1,0] neg_lo:[0,0,1] neg_hi:[0,0,1]
	v_mov_b32_e32 v37, v41
	ds_store_b64 v50, v[36:37]
.LBB156_711:                            ;   in Loop: Header=BB156_3 Depth=1
	s_or_b32 exec_lo, exec_lo, s10
	s_wait_dscnt 0x0
	s_barrier_signal -1
	s_barrier_wait -1
	s_and_saveexec_b32 s10, s95
	s_cbranch_execz .LBB156_713
; %bb.712:                              ;   in Loop: Header=BB156_3 Depth=1
	ds_load_b64 v[38:39], v48 offset:22880
	ds_load_b64 v[40:41], v50
	s_wait_dscnt 0x0
	v_dual_mul_f32 v42, v41, v39 :: v_dual_mul_f32 v99, v40, v39
	s_delay_alu instid0(VALU_DEP_1) | instskip(NEXT) | instid1(VALU_DEP_1)
	v_dual_fma_f32 v98, v40, v38, -v42 :: v_dual_fmac_f32 v99, v41, v38
	v_pk_add_f32 v[36:37], v[36:37], v[98:99]
.LBB156_713:                            ;   in Loop: Header=BB156_3 Depth=1
	s_or_b32 exec_lo, exec_lo, s10
	s_barrier_signal -1
	s_barrier_wait -1
	s_and_saveexec_b32 s10, s96
	s_cbranch_execz .LBB156_715
; %bb.714:                              ;   in Loop: Header=BB156_3 Depth=1
	ds_load_b64 v[38:39], v5 offset:23400
	s_wait_dscnt 0x0
	v_pk_mul_f32 v[40:41], v[36:37], v[38:39] op_sel:[1,1] op_sel_hi:[1,0]
	s_delay_alu instid0(VALU_DEP_1) | instskip(SKIP_1) | instid1(VALU_DEP_2)
	v_pk_fma_f32 v[98:99], v[36:37], v[38:39], v[40:41] op_sel_hi:[0,1,1]
	v_pk_fma_f32 v[38:39], v[36:37], v[38:39], v[40:41] neg_lo:[0,0,1] neg_hi:[0,0,1]
	v_mov_b32_e32 v39, v99
	s_delay_alu instid0(VALU_DEP_1)
	v_mov_b64_e32 v[36:37], v[38:39]
	ds_store_b64 v50, v[38:39]
.LBB156_715:                            ;   in Loop: Header=BB156_3 Depth=1
	s_or_b32 exec_lo, exec_lo, s10
	s_wait_dscnt 0x0
	s_barrier_signal -1
	s_barrier_wait -1
	s_and_saveexec_b32 s10, s97
	s_cbranch_execz .LBB156_717
; %bb.716:                              ;   in Loop: Header=BB156_3 Depth=1
	ds_load_b64 v[38:39], v48 offset:23392
	ds_load_b64 v[40:41], v50
	s_wait_dscnt 0x0
	v_pk_mul_f32 v[98:99], v[40:41], v[38:39] op_sel:[1,1] op_sel_hi:[0,1]
	s_delay_alu instid0(VALU_DEP_1) | instskip(SKIP_1) | instid1(VALU_DEP_2)
	v_pk_fma_f32 v[100:101], v[40:41], v[38:39], v[98:99] op_sel_hi:[1,0,1]
	v_pk_fma_f32 v[38:39], v[40:41], v[38:39], v[98:99] neg_lo:[0,0,1] neg_hi:[0,0,1]
	v_mov_b32_e32 v39, v101
	s_delay_alu instid0(VALU_DEP_1)
	v_pk_add_f32 v[36:37], v[36:37], v[38:39]
.LBB156_717:                            ;   in Loop: Header=BB156_3 Depth=1
	s_or_b32 exec_lo, exec_lo, s10
	s_barrier_signal -1
	s_barrier_wait -1
	s_and_saveexec_b32 s10, s98
	s_cbranch_execz .LBB156_719
; %bb.718:                              ;   in Loop: Header=BB156_3 Depth=1
	ds_load_b64 v[38:39], v5 offset:23920
	s_wait_dscnt 0x0
	v_pk_mul_f32 v[40:41], v[36:37], v[38:39] op_sel:[1,1] op_sel_hi:[1,0]
	s_delay_alu instid0(VALU_DEP_1) | instskip(SKIP_1) | instid1(VALU_DEP_2)
	v_pk_fma_f32 v[98:99], v[36:37], v[38:39], v[40:41] op_sel_hi:[0,1,1]
	v_pk_fma_f32 v[38:39], v[36:37], v[38:39], v[40:41] neg_lo:[0,0,1] neg_hi:[0,0,1]
	v_mov_b32_e32 v39, v99
	s_delay_alu instid0(VALU_DEP_1)
	v_mov_b64_e32 v[36:37], v[38:39]
	ds_store_b64 v50, v[38:39]
.LBB156_719:                            ;   in Loop: Header=BB156_3 Depth=1
	s_or_b32 exec_lo, exec_lo, s10
	s_wait_dscnt 0x0
	s_barrier_signal -1
	s_barrier_wait -1
	s_and_saveexec_b32 s10, s99
	s_cbranch_execz .LBB156_721
; %bb.720:                              ;   in Loop: Header=BB156_3 Depth=1
	ds_load_b64 v[38:39], v5 offset:23928
	ds_load_b64 v[40:41], v50
	s_wait_dscnt 0x0
	v_pk_mul_f32 v[98:99], v[40:41], v[38:39] op_sel:[1,1] op_sel_hi:[0,1]
	s_delay_alu instid0(VALU_DEP_1) | instskip(SKIP_1) | instid1(VALU_DEP_2)
	v_pk_fma_f32 v[100:101], v[40:41], v[38:39], v[98:99] op_sel_hi:[1,0,1]
	v_pk_fma_f32 v[38:39], v[40:41], v[38:39], v[98:99] neg_lo:[0,0,1] neg_hi:[0,0,1]
	v_mov_b32_e32 v39, v101
	s_delay_alu instid0(VALU_DEP_1)
	v_pk_add_f32 v[36:37], v[36:37], v[38:39]
.LBB156_721:                            ;   in Loop: Header=BB156_3 Depth=1
	s_or_b32 exec_lo, exec_lo, s10
	s_barrier_signal -1
	s_barrier_wait -1
	s_and_saveexec_b32 s10, s99
	s_cbranch_execz .LBB156_723
; %bb.722:                              ;   in Loop: Header=BB156_3 Depth=1
	ds_load_b64 v[38:39], v5 offset:24440
	s_wait_dscnt 0x0
	v_pk_mul_f32 v[40:41], v[36:37], v[38:39] op_sel:[1,1] op_sel_hi:[1,0]
	s_delay_alu instid0(VALU_DEP_1) | instskip(SKIP_1) | instid1(VALU_DEP_2)
	v_pk_fma_f32 v[98:99], v[36:37], v[38:39], v[40:41] op_sel_hi:[0,1,1]
	v_pk_fma_f32 v[38:39], v[36:37], v[38:39], v[40:41] neg_lo:[0,0,1] neg_hi:[0,0,1]
	v_mov_b32_e32 v39, v99
	s_delay_alu instid0(VALU_DEP_1)
	v_mov_b64_e32 v[36:37], v[38:39]
	ds_store_b64 v50, v[38:39]
.LBB156_723:                            ;   in Loop: Header=BB156_3 Depth=1
	s_or_b32 exec_lo, exec_lo, s10
	s_wait_dscnt 0x0
	s_barrier_signal -1
	s_barrier_wait -1
	s_barrier_signal -1
	s_barrier_wait -1
	s_and_saveexec_b32 s10, s3
; %bb.724:                              ;   in Loop: Header=BB156_3 Depth=1
	v_pk_add_f32 v[36:37], v[36:37], 0 neg_lo:[1,1] neg_hi:[1,1]
	ds_store_b64 v51, v[36:37] offset:20832
; %bb.725:                              ;   in Loop: Header=BB156_3 Depth=1
	s_or_b32 exec_lo, exec_lo, s10
	s_wait_dscnt 0x0
	s_barrier_signal -1
	s_barrier_wait -1
	s_barrier_signal -1
	s_barrier_wait -1
	s_and_saveexec_b32 s10, s100
	s_cbranch_execz .LBB156_727
; %bb.726:                              ;   in Loop: Header=BB156_3 Depth=1
	ds_load_b64 v[36:37], v76 offset:20832
	s_wait_dscnt 0x0
	ds_store_b64 v79, v[36:37] offset:22848
	ds_load_b64 v[36:37], v76 offset:20840
	s_wait_dscnt 0x0
	ds_store_b64 v79, v[36:37] offset:23360
	;; [unrolled: 3-line block ×4, first 2 shown]
.LBB156_727:                            ;   in Loop: Header=BB156_3 Depth=1
	s_or_b32 exec_lo, exec_lo, s10
	s_wait_dscnt 0x0
	s_barrier_signal -1
	s_barrier_wait -1
	s_and_saveexec_b32 s10, s14
	s_cbranch_execz .LBB156_729
; %bb.728:                              ;   in Loop: Header=BB156_3 Depth=1
	ds_load_b128 v[36:39], v5 offset:22880
	ds_load_b64 v[40:41], v5 offset:23400
	s_wait_dscnt 0x1
	v_dual_mov_b32 v98, v39 :: v_dual_mov_b32 v99, v38
	s_wait_dscnt 0x0
	v_dual_mul_f32 v97, v41, v37 :: v_dual_mul_f32 v42, v40, v37
	s_delay_alu instid0(VALU_DEP_1) | instskip(NEXT) | instid1(VALU_DEP_1)
	v_xor_b32_e32 v100, 0x80000000, v97
	v_dual_fmac_f32 v42, v41, v36 :: v_dual_fmac_f32 v100, v40, v36
	s_delay_alu instid0(VALU_DEP_1) | instskip(NEXT) | instid1(VALU_DEP_1)
	v_pk_mul_f32 v[36:37], v[42:43], v[98:99] op_sel_hi:[0,1]
	v_pk_fma_f32 v[40:41], v[100:101], v[38:39], v[36:37] op_sel_hi:[0,1,1]
	v_pk_fma_f32 v[36:37], v[100:101], v[38:39], v[36:37] neg_lo:[0,0,1] neg_hi:[0,0,1]
	v_add_nc_u32_e64 v38, 0x5800, 0
	s_delay_alu instid0(VALU_DEP_3)
	v_mov_b32_e32 v37, v41
	ds_store_2addr_b64 v38, v[36:37], v[36:37] offset0:45 offset1:108
.LBB156_729:                            ;   in Loop: Header=BB156_3 Depth=1
	s_or_b32 exec_lo, exec_lo, s10
	v_mov_b32_e32 v37, 0
	s_wait_dscnt 0x0
	s_barrier_signal -1
	s_barrier_wait -1
	s_delay_alu instid0(VALU_DEP_1)
	v_mov_b32_e32 v36, v37
	s_and_saveexec_b32 s10, s1
	s_cbranch_execz .LBB156_733
; %bb.730:                              ;   in Loop: Header=BB156_3 Depth=1
	ds_load_b64 v[36:37], v44 offset:22896
	ds_load_b64 v[38:39], v45 offset:22880
	s_wait_dscnt 0x0
	v_dual_mul_f32 v40, v39, v37 :: v_dual_mul_f32 v41, v38, v37
	s_delay_alu instid0(VALU_DEP_1) | instskip(NEXT) | instid1(VALU_DEP_1)
	v_dual_fma_f32 v40, v38, v36, -v40 :: v_dual_fmac_f32 v41, v39, v36
	v_pk_add_f32 v[36:37], v[40:41], 0 op_sel_hi:[1,0]
	s_and_saveexec_b32 s12, s15
	s_cbranch_execz .LBB156_732
; %bb.731:                              ;   in Loop: Header=BB156_3 Depth=1
	ds_load_b64 v[38:39], v79 offset:23408
	ds_load_b64 v[40:41], v5 offset:22888
	s_wait_dscnt 0x0
	v_pk_mul_f32 v[98:99], v[40:41], v[38:39] op_sel:[1,1] op_sel_hi:[0,1]
	s_delay_alu instid0(VALU_DEP_1) | instskip(SKIP_1) | instid1(VALU_DEP_2)
	v_pk_fma_f32 v[100:101], v[40:41], v[38:39], v[98:99] op_sel_hi:[1,0,1]
	v_pk_fma_f32 v[38:39], v[40:41], v[38:39], v[98:99] neg_lo:[0,0,1] neg_hi:[0,0,1]
	v_mov_b32_e32 v39, v101
	s_delay_alu instid0(VALU_DEP_1)
	v_pk_add_f32 v[36:37], v[36:37], v[38:39]
.LBB156_732:                            ;   in Loop: Header=BB156_3 Depth=1
	s_or_b32 exec_lo, exec_lo, s12
	s_delay_alu instid0(VALU_DEP_1)
	v_pk_add_f32 v[36:37], v[36:37], 0 neg_lo:[1,1] neg_hi:[1,1]
.LBB156_733:                            ;   in Loop: Header=BB156_3 Depth=1
	s_or_b32 exec_lo, exec_lo, s10
	s_and_saveexec_b32 s10, s91
	s_cbranch_execz .LBB156_735
; %bb.734:                              ;   in Loop: Header=BB156_3 Depth=1
	ds_load_b64 v[38:39], v5 offset:23920
	s_wait_dscnt 0x0
	v_pk_mul_f32 v[40:41], v[36:37], v[38:39] op_sel:[1,1] op_sel_hi:[1,0]
	s_delay_alu instid0(VALU_DEP_1) | instskip(SKIP_1) | instid1(VALU_DEP_2)
	v_pk_fma_f32 v[98:99], v[36:37], v[38:39], v[40:41] op_sel_hi:[0,1,1]
	v_pk_fma_f32 v[38:39], v[36:37], v[38:39], v[40:41] neg_lo:[0,0,1] neg_hi:[0,0,1]
	v_mov_b32_e32 v39, v99
	s_delay_alu instid0(VALU_DEP_1)
	v_mov_b64_e32 v[36:37], v[38:39]
	ds_store_b64 v3, v[38:39]
.LBB156_735:                            ;   in Loop: Header=BB156_3 Depth=1
	s_or_b32 exec_lo, exec_lo, s10
	s_wait_dscnt 0x0
	s_barrier_signal -1
	s_barrier_wait -1
	s_and_saveexec_b32 s10, s92
	s_cbranch_execz .LBB156_737
; %bb.736:                              ;   in Loop: Header=BB156_3 Depth=1
	ds_load_b64 v[38:39], v5 offset:23928
	ds_load_b64 v[40:41], v3
	s_wait_dscnt 0x0
	v_pk_mul_f32 v[98:99], v[40:41], v[38:39] op_sel:[1,1] op_sel_hi:[0,1]
	s_delay_alu instid0(VALU_DEP_1) | instskip(SKIP_1) | instid1(VALU_DEP_2)
	v_pk_fma_f32 v[100:101], v[40:41], v[38:39], v[98:99] op_sel_hi:[1,0,1]
	v_pk_fma_f32 v[38:39], v[40:41], v[38:39], v[98:99] neg_lo:[0,0,1] neg_hi:[0,0,1]
	v_mov_b32_e32 v39, v101
	s_delay_alu instid0(VALU_DEP_1)
	v_pk_add_f32 v[36:37], v[36:37], v[38:39]
.LBB156_737:                            ;   in Loop: Header=BB156_3 Depth=1
	s_or_b32 exec_lo, exec_lo, s10
	s_barrier_signal -1
	s_barrier_wait -1
	s_and_saveexec_b32 s10, s92
	s_cbranch_execz .LBB156_739
; %bb.738:                              ;   in Loop: Header=BB156_3 Depth=1
	ds_load_b64 v[38:39], v5 offset:24440
	s_wait_dscnt 0x0
	v_pk_mul_f32 v[40:41], v[36:37], v[38:39] op_sel:[1,1] op_sel_hi:[1,0]
	s_delay_alu instid0(VALU_DEP_1) | instskip(SKIP_1) | instid1(VALU_DEP_2)
	v_pk_fma_f32 v[98:99], v[36:37], v[38:39], v[40:41] op_sel_hi:[0,1,1]
	v_pk_fma_f32 v[38:39], v[36:37], v[38:39], v[40:41] neg_lo:[0,0,1] neg_hi:[0,0,1]
	v_mov_b32_e32 v39, v99
	s_delay_alu instid0(VALU_DEP_1)
	v_mov_b64_e32 v[36:37], v[38:39]
	ds_store_b64 v3, v[38:39]
.LBB156_739:                            ;   in Loop: Header=BB156_3 Depth=1
	s_or_b32 exec_lo, exec_lo, s10
	s_wait_dscnt 0x0
	s_barrier_signal -1
	s_barrier_wait -1
	s_barrier_signal -1
	s_barrier_wait -1
	s_and_saveexec_b32 s10, s1
; %bb.740:                              ;   in Loop: Header=BB156_3 Depth=1
	v_pk_add_f32 v[36:37], v[36:37], 0 neg_lo:[1,1] neg_hi:[1,1]
	ds_store_b64 v44, v[36:37] offset:22896
; %bb.741:                              ;   in Loop: Header=BB156_3 Depth=1
	s_or_b32 exec_lo, exec_lo, s10
	s_wait_dscnt 0x0
	s_barrier_signal -1
	s_barrier_wait -1
	s_barrier_signal -1
	s_barrier_wait -1
	s_and_saveexec_b32 s10, s93
	s_cbranch_execz .LBB156_743
; %bb.742:                              ;   in Loop: Header=BB156_3 Depth=1
	ds_load_b64 v[36:37], v81 offset:22896
	s_wait_dscnt 0x0
	ds_store_b64 v79, v[36:37] offset:23904
	ds_load_b64 v[36:37], v81 offset:22904
	s_wait_dscnt 0x0
	ds_store_b64 v79, v[36:37] offset:24416
.LBB156_743:                            ;   in Loop: Header=BB156_3 Depth=1
	s_or_b32 exec_lo, exec_lo, s10
	s_wait_dscnt 0x0
	s_barrier_signal -1
	s_barrier_wait -1
	s_and_saveexec_b32 s10, s14
	s_cbranch_execz .LBB156_745
; %bb.744:                              ;   in Loop: Header=BB156_3 Depth=1
	ds_load_b128 v[36:39], v5 offset:23920
	ds_load_b64 v[40:41], v5 offset:24440
	s_wait_dscnt 0x1
	v_dual_mov_b32 v98, v39 :: v_dual_mov_b32 v99, v38
	s_wait_dscnt 0x0
	v_dual_mul_f32 v97, v41, v37 :: v_dual_mul_f32 v42, v40, v37
	s_delay_alu instid0(VALU_DEP_1) | instskip(NEXT) | instid1(VALU_DEP_1)
	v_xor_b32_e32 v100, 0x80000000, v97
	v_dual_fmac_f32 v42, v41, v36 :: v_dual_fmac_f32 v100, v40, v36
	s_delay_alu instid0(VALU_DEP_1) | instskip(NEXT) | instid1(VALU_DEP_1)
	v_pk_mul_f32 v[36:37], v[42:43], v[98:99] op_sel_hi:[0,1]
	v_pk_fma_f32 v[40:41], v[100:101], v[38:39], v[36:37] op_sel_hi:[0,1,1]
	v_pk_fma_f32 v[36:37], v[100:101], v[38:39], v[36:37] neg_lo:[0,0,1] neg_hi:[0,0,1]
	v_add_nc_u32_e64 v38, 0x5800, 0
	s_delay_alu instid0(VALU_DEP_3)
	v_mov_b32_e32 v37, v41
	ds_store_2addr_b64 v38, v[36:37], v[36:37] offset0:175 offset1:238
.LBB156_745:                            ;   in Loop: Header=BB156_3 Depth=1
	s_or_b32 exec_lo, exec_lo, s10
	v_mov_b32_e32 v36, 0
	s_wait_dscnt 0x0
	s_barrier_signal -1
	s_barrier_wait -1
	s_delay_alu instid0(VALU_DEP_1)
	v_mov_b32_e32 v37, v36
	s_and_saveexec_b32 s84, s5
	s_cbranch_execz .LBB156_773
; %bb.746:                              ;   in Loop: Header=BB156_3 Depth=1
	ds_load_b64 v[36:37], v67 offset:16768
	ds_load_b64 v[38:39], v64 offset:16640
	s_wait_dscnt 0x0
	v_dual_mul_f32 v40, v39, v37 :: v_dual_mul_f32 v41, v38, v37
	s_delay_alu instid0(VALU_DEP_1) | instskip(NEXT) | instid1(VALU_DEP_1)
	v_dual_fma_f32 v37, v38, v36, -v40 :: v_dual_fmac_f32 v41, v39, v36
	v_add_f32_e32 v37, 0, v37
	s_delay_alu instid0(VALU_DEP_2) | instskip(SKIP_3) | instid1(SALU_CYCLE_1)
	v_add_f32_e32 v36, 0, v41
	s_mov_b32 s10, exec_lo
	v_readlane_b32 s12, v108, 28
	s_and_b32 s12, s10, s12
	s_mov_b32 exec_lo, s12
	s_cbranch_execz .LBB156_748
; %bb.747:                              ;   in Loop: Header=BB156_3 Depth=1
	ds_load_b64 v[38:39], v68 offset:17280
	ds_load_b64 v[40:41], v64 offset:16648
	s_wait_dscnt 0x0
	v_dual_mul_f32 v42, v41, v39 :: v_dual_mul_f32 v39, v40, v39
	s_delay_alu instid0(VALU_DEP_1) | instskip(NEXT) | instid1(VALU_DEP_1)
	v_dual_fma_f32 v40, v40, v38, -v42 :: v_dual_fmac_f32 v39, v41, v38
	v_dual_add_f32 v37, v37, v40 :: v_dual_add_f32 v36, v36, v39
.LBB156_748:                            ;   in Loop: Header=BB156_3 Depth=1
	s_or_b32 exec_lo, exec_lo, s10
	s_delay_alu instid0(SALU_CYCLE_1) | instskip(SKIP_2) | instid1(SALU_CYCLE_1)
	s_mov_b32 s10, exec_lo
	v_readlane_b32 s12, v108, 29
	s_and_b32 s12, s10, s12
	s_mov_b32 exec_lo, s12
	s_cbranch_execz .LBB156_750
; %bb.749:                              ;   in Loop: Header=BB156_3 Depth=1
	ds_load_b64 v[38:39], v68 offset:17792
	ds_load_b64 v[40:41], v64 offset:16656
	s_wait_dscnt 0x0
	v_dual_mul_f32 v42, v41, v39 :: v_dual_mul_f32 v39, v40, v39
	s_delay_alu instid0(VALU_DEP_1) | instskip(NEXT) | instid1(VALU_DEP_1)
	v_dual_fma_f32 v40, v40, v38, -v42 :: v_dual_fmac_f32 v39, v41, v38
	v_dual_add_f32 v37, v37, v40 :: v_dual_add_f32 v36, v36, v39
.LBB156_750:                            ;   in Loop: Header=BB156_3 Depth=1
	s_or_b32 exec_lo, exec_lo, s10
	s_delay_alu instid0(SALU_CYCLE_1) | instskip(SKIP_2) | instid1(SALU_CYCLE_1)
	;; [unrolled: 16-line block ×10, first 2 shown]
	s_mov_b32 s10, exec_lo
	v_readlane_b32 s12, v107, 6
	s_and_b32 s12, s10, s12
	s_mov_b32 exec_lo, s12
	s_cbranch_execnz .LBB156_1160
; %bb.767:                              ;   in Loop: Header=BB156_3 Depth=1
	s_or_b32 exec_lo, exec_lo, s10
	s_and_saveexec_b32 s10, s4
	s_cbranch_execnz .LBB156_1161
.LBB156_768:                            ;   in Loop: Header=BB156_3 Depth=1
	s_or_b32 exec_lo, exec_lo, s10
	s_and_saveexec_b32 s10, s19
	s_cbranch_execnz .LBB156_1162
.LBB156_769:                            ;   in Loop: Header=BB156_3 Depth=1
	s_or_b32 exec_lo, exec_lo, s10
	s_and_saveexec_b32 s10, s21
	s_cbranch_execnz .LBB156_1163
.LBB156_770:                            ;   in Loop: Header=BB156_3 Depth=1
	s_or_b32 exec_lo, exec_lo, s10
	s_and_saveexec_b32 s10, s3
	s_cbranch_execz .LBB156_772
.LBB156_771:                            ;   in Loop: Header=BB156_3 Depth=1
	ds_load_b64 v[38:39], v46 offset:24448
	ds_load_b64 v[40:41], v5 offset:16760
	s_wait_dscnt 0x0
	v_pk_mul_f32 v[98:99], v[40:41], v[38:39] op_sel:[0,1]
	s_delay_alu instid0(VALU_DEP_1) | instskip(SKIP_1) | instid1(VALU_DEP_2)
	v_pk_fma_f32 v[100:101], v[40:41], v[38:39], v[98:99] op_sel:[1,0,0] op_sel_hi:[0,0,1] neg_lo:[0,0,1] neg_hi:[0,0,1]
	v_pk_fma_f32 v[38:39], v[40:41], v[38:39], v[98:99] op_sel:[1,0,0] op_sel_hi:[0,1,1]
	v_mov_b32_e32 v39, v101
	s_delay_alu instid0(VALU_DEP_1)
	v_pk_add_f32 v[36:37], v[36:37], v[38:39]
.LBB156_772:                            ;   in Loop: Header=BB156_3 Depth=1
	s_or_b32 exec_lo, exec_lo, s10
	s_delay_alu instid0(VALU_DEP_1) | instskip(NEXT) | instid1(VALU_DEP_1)
	v_pk_add_f32 v[38:39], v[36:37], 0 neg_lo:[1,1] neg_hi:[1,1]
	v_dual_mov_b32 v36, v39 :: v_dual_mov_b32 v37, v38
.LBB156_773:                            ;   in Loop: Header=BB156_3 Depth=1
	s_or_b32 exec_lo, exec_lo, s84
	s_delay_alu instid0(SALU_CYCLE_1) | instskip(SKIP_2) | instid1(SALU_CYCLE_1)
	s_mov_b32 s10, exec_lo
	v_readlane_b32 s12, v108, 1
	s_and_b32 s12, s10, s12
	s_mov_b32 exec_lo, s12
	s_cbranch_execz .LBB156_775
; %bb.774:                              ;   in Loop: Header=BB156_3 Depth=1
	ds_load_b64 v[38:39], v5 offset:24960
	v_dual_mov_b32 v40, v37 :: v_dual_mov_b32 v41, v36
	s_wait_dscnt 0x0
	s_delay_alu instid0(VALU_DEP_1) | instskip(NEXT) | instid1(VALU_DEP_1)
	v_dual_mul_f32 v42, v40, v38 :: v_dual_mul_f32 v98, v37, v39
	v_pk_fma_f32 v[40:41], v[40:41], v[38:39], v[42:43] op_sel_hi:[1,1,0]
	s_delay_alu instid0(VALU_DEP_2) | instskip(NEXT) | instid1(VALU_DEP_2)
	v_pk_fma_f32 v[36:37], v[36:37], v[38:39], v[98:99] op_sel_hi:[1,1,0] neg_lo:[0,0,1] neg_hi:[0,0,1]
	v_mov_b32_e32 v37, v41
	ds_store_b64 v66, v[36:37]
.LBB156_775:                            ;   in Loop: Header=BB156_3 Depth=1
	s_or_b32 exec_lo, exec_lo, s10
	s_wait_dscnt 0x0
	s_barrier_signal -1
	s_barrier_wait -1
	s_mov_b32 s10, exec_lo
	v_readlane_b32 s12, v108, 2
	s_and_b32 s12, s10, s12
	s_delay_alu instid0(SALU_CYCLE_1)
	s_mov_b32 exec_lo, s12
	s_cbranch_execz .LBB156_777
; %bb.776:                              ;   in Loop: Header=BB156_3 Depth=1
	ds_load_b64 v[38:39], v65 offset:24960
	ds_load_b64 v[40:41], v66
	s_wait_dscnt 0x0
	v_dual_mul_f32 v42, v41, v39 :: v_dual_mul_f32 v99, v40, v39
	s_delay_alu instid0(VALU_DEP_1) | instskip(NEXT) | instid1(VALU_DEP_1)
	v_dual_fma_f32 v98, v40, v38, -v42 :: v_dual_fmac_f32 v99, v41, v38
	v_pk_add_f32 v[36:37], v[36:37], v[98:99]
.LBB156_777:                            ;   in Loop: Header=BB156_3 Depth=1
	s_or_b32 exec_lo, exec_lo, s10
	s_barrier_signal -1
	s_barrier_wait -1
	s_mov_b32 s10, exec_lo
	v_readlane_b32 s12, v108, 3
	s_and_b32 s12, s10, s12
	s_delay_alu instid0(SALU_CYCLE_1)
	s_mov_b32 exec_lo, s12
	s_cbranch_execz .LBB156_779
; %bb.778:                              ;   in Loop: Header=BB156_3 Depth=1
	ds_load_b64 v[38:39], v5 offset:25480
	s_wait_dscnt 0x0
	v_pk_mul_f32 v[40:41], v[36:37], v[38:39] op_sel:[1,1] op_sel_hi:[1,0]
	s_delay_alu instid0(VALU_DEP_1) | instskip(SKIP_1) | instid1(VALU_DEP_2)
	v_pk_fma_f32 v[98:99], v[36:37], v[38:39], v[40:41] op_sel_hi:[0,1,1]
	v_pk_fma_f32 v[36:37], v[36:37], v[38:39], v[40:41] op_sel_hi:[0,1,1] neg_lo:[0,0,1] neg_hi:[0,0,1]
	v_mov_b32_e32 v37, v99
	ds_store_b64 v66, v[36:37]
.LBB156_779:                            ;   in Loop: Header=BB156_3 Depth=1
	s_or_b32 exec_lo, exec_lo, s10
	s_wait_dscnt 0x0
	s_barrier_signal -1
	s_barrier_wait -1
	s_mov_b32 s10, exec_lo
	v_readlane_b32 s12, v108, 4
	s_and_b32 s12, s10, s12
	s_delay_alu instid0(SALU_CYCLE_1)
	s_mov_b32 exec_lo, s12
	s_cbranch_execz .LBB156_781
; %bb.780:                              ;   in Loop: Header=BB156_3 Depth=1
	ds_load_b64 v[38:39], v65 offset:25472
	ds_load_b64 v[40:41], v66
	s_wait_dscnt 0x0
	v_pk_mul_f32 v[98:99], v[40:41], v[38:39] op_sel:[1,1] op_sel_hi:[0,1]
	s_delay_alu instid0(VALU_DEP_1) | instskip(SKIP_1) | instid1(VALU_DEP_2)
	v_pk_fma_f32 v[100:101], v[40:41], v[38:39], v[98:99] op_sel_hi:[1,0,1]
	v_pk_fma_f32 v[38:39], v[40:41], v[38:39], v[98:99] op_sel_hi:[1,0,1] neg_lo:[0,0,1] neg_hi:[0,0,1]
	v_mov_b32_e32 v39, v101
	s_delay_alu instid0(VALU_DEP_1)
	v_pk_add_f32 v[36:37], v[36:37], v[38:39]
.LBB156_781:                            ;   in Loop: Header=BB156_3 Depth=1
	s_or_b32 exec_lo, exec_lo, s10
	s_barrier_signal -1
	s_barrier_wait -1
	s_mov_b32 s10, exec_lo
	v_readlane_b32 s12, v108, 5
	s_and_b32 s12, s10, s12
	s_delay_alu instid0(SALU_CYCLE_1)
	s_mov_b32 exec_lo, s12
	s_cbranch_execz .LBB156_783
; %bb.782:                              ;   in Loop: Header=BB156_3 Depth=1
	ds_load_b64 v[38:39], v5 offset:26000
	s_wait_dscnt 0x0
	v_pk_mul_f32 v[40:41], v[36:37], v[38:39] op_sel:[1,1] op_sel_hi:[1,0]
	s_delay_alu instid0(VALU_DEP_1) | instskip(SKIP_1) | instid1(VALU_DEP_2)
	v_pk_fma_f32 v[98:99], v[36:37], v[38:39], v[40:41] op_sel_hi:[0,1,1]
	v_pk_fma_f32 v[36:37], v[36:37], v[38:39], v[40:41] op_sel_hi:[0,1,1] neg_lo:[0,0,1] neg_hi:[0,0,1]
	v_mov_b32_e32 v37, v99
	ds_store_b64 v66, v[36:37]
.LBB156_783:                            ;   in Loop: Header=BB156_3 Depth=1
	s_or_b32 exec_lo, exec_lo, s10
	s_wait_dscnt 0x0
	s_barrier_signal -1
	s_barrier_wait -1
	s_mov_b32 s10, exec_lo
	v_readlane_b32 s12, v108, 6
	s_and_b32 s12, s10, s12
	s_delay_alu instid0(SALU_CYCLE_1)
	s_mov_b32 exec_lo, s12
	s_cbranch_execz .LBB156_785
; %bb.784:                              ;   in Loop: Header=BB156_3 Depth=1
	ds_load_b64 v[38:39], v65 offset:25984
	ds_load_b64 v[40:41], v66
	s_wait_dscnt 0x0
	v_pk_mul_f32 v[98:99], v[40:41], v[38:39] op_sel:[1,1] op_sel_hi:[0,1]
	s_delay_alu instid0(VALU_DEP_1) | instskip(SKIP_1) | instid1(VALU_DEP_2)
	v_pk_fma_f32 v[100:101], v[40:41], v[38:39], v[98:99] op_sel_hi:[1,0,1]
	v_pk_fma_f32 v[38:39], v[40:41], v[38:39], v[98:99] op_sel_hi:[1,0,1] neg_lo:[0,0,1] neg_hi:[0,0,1]
	v_mov_b32_e32 v39, v101
	s_delay_alu instid0(VALU_DEP_1)
	v_pk_add_f32 v[36:37], v[36:37], v[38:39]
.LBB156_785:                            ;   in Loop: Header=BB156_3 Depth=1
	;; [unrolled: 41-line block ×3, first 2 shown]
	s_or_b32 exec_lo, exec_lo, s10
	s_barrier_signal -1
	s_barrier_wait -1
	s_mov_b32 s10, exec_lo
	v_readlane_b32 s12, v108, 9
	s_and_b32 s12, s10, s12
	s_delay_alu instid0(SALU_CYCLE_1)
	s_mov_b32 exec_lo, s12
	s_cbranch_execz .LBB156_791
; %bb.790:                              ;   in Loop: Header=BB156_3 Depth=1
	ds_load_b64 v[38:39], v5 offset:27040
	s_wait_dscnt 0x0
	v_dual_mul_f32 v40, v36, v39 :: v_dual_mul_f32 v42, v37, v39
	s_delay_alu instid0(VALU_DEP_1) | instskip(NEXT) | instid1(VALU_DEP_2)
	v_pk_fma_f32 v[40:41], v[36:37], v[38:39], v[40:41] op_sel:[0,1,0] op_sel_hi:[1,0,0]
	v_pk_fma_f32 v[38:39], v[36:37], v[38:39], v[42:43] op_sel_hi:[1,1,0] neg_lo:[0,0,1] neg_hi:[0,0,1]
	s_delay_alu instid0(VALU_DEP_2) | instskip(NEXT) | instid1(VALU_DEP_1)
	v_mov_b32_e32 v39, v41
	v_mov_b64_e32 v[36:37], v[38:39]
	ds_store_b64 v66, v[38:39]
.LBB156_791:                            ;   in Loop: Header=BB156_3 Depth=1
	s_or_b32 exec_lo, exec_lo, s10
	s_wait_dscnt 0x0
	s_barrier_signal -1
	s_barrier_wait -1
	s_and_saveexec_b32 s10, s57
	s_cbranch_execz .LBB156_793
; %bb.792:                              ;   in Loop: Header=BB156_3 Depth=1
	ds_load_b64 v[38:39], v65 offset:27008
	ds_load_b64 v[40:41], v66
	s_wait_dscnt 0x0
	v_dual_mul_f32 v42, v41, v39 :: v_dual_mul_f32 v99, v40, v39
	s_delay_alu instid0(VALU_DEP_1) | instskip(NEXT) | instid1(VALU_DEP_1)
	v_dual_fma_f32 v98, v40, v38, -v42 :: v_dual_fmac_f32 v99, v41, v38
	v_pk_add_f32 v[36:37], v[36:37], v[98:99]
.LBB156_793:                            ;   in Loop: Header=BB156_3 Depth=1
	s_or_b32 exec_lo, exec_lo, s10
	s_barrier_signal -1
	s_barrier_wait -1
	s_and_saveexec_b32 s10, s58
	s_cbranch_execz .LBB156_795
; %bb.794:                              ;   in Loop: Header=BB156_3 Depth=1
	ds_load_b64 v[38:39], v5 offset:27560
	s_wait_dscnt 0x0
	v_pk_mul_f32 v[40:41], v[36:37], v[38:39] op_sel:[1,1] op_sel_hi:[1,0]
	s_delay_alu instid0(VALU_DEP_1) | instskip(SKIP_1) | instid1(VALU_DEP_2)
	v_pk_fma_f32 v[98:99], v[36:37], v[38:39], v[40:41] op_sel_hi:[0,1,1]
	v_pk_fma_f32 v[36:37], v[36:37], v[38:39], v[40:41] op_sel_hi:[0,1,1] neg_lo:[0,0,1] neg_hi:[0,0,1]
	v_mov_b32_e32 v37, v99
	ds_store_b64 v66, v[36:37]
.LBB156_795:                            ;   in Loop: Header=BB156_3 Depth=1
	s_or_b32 exec_lo, exec_lo, s10
	s_wait_dscnt 0x0
	s_barrier_signal -1
	s_barrier_wait -1
	s_and_saveexec_b32 s10, s59
	s_cbranch_execz .LBB156_797
; %bb.796:                              ;   in Loop: Header=BB156_3 Depth=1
	ds_load_b64 v[38:39], v65 offset:27520
	ds_load_b64 v[40:41], v66
	s_wait_dscnt 0x0
	v_pk_mul_f32 v[98:99], v[40:41], v[38:39] op_sel:[1,1] op_sel_hi:[0,1]
	s_delay_alu instid0(VALU_DEP_1) | instskip(SKIP_1) | instid1(VALU_DEP_2)
	v_pk_fma_f32 v[100:101], v[40:41], v[38:39], v[98:99] op_sel_hi:[1,0,1]
	v_pk_fma_f32 v[38:39], v[40:41], v[38:39], v[98:99] op_sel_hi:[1,0,1] neg_lo:[0,0,1] neg_hi:[0,0,1]
	v_mov_b32_e32 v39, v101
	s_delay_alu instid0(VALU_DEP_1)
	v_pk_add_f32 v[36:37], v[36:37], v[38:39]
.LBB156_797:                            ;   in Loop: Header=BB156_3 Depth=1
	s_or_b32 exec_lo, exec_lo, s10
	s_barrier_signal -1
	s_barrier_wait -1
	s_and_saveexec_b32 s10, s60
	s_cbranch_execz .LBB156_799
; %bb.798:                              ;   in Loop: Header=BB156_3 Depth=1
	ds_load_b64 v[38:39], v5 offset:28080
	s_wait_dscnt 0x0
	v_pk_mul_f32 v[40:41], v[36:37], v[38:39] op_sel:[1,1] op_sel_hi:[1,0]
	s_delay_alu instid0(VALU_DEP_1) | instskip(SKIP_1) | instid1(VALU_DEP_2)
	v_pk_fma_f32 v[98:99], v[36:37], v[38:39], v[40:41] op_sel_hi:[0,1,1]
	v_pk_fma_f32 v[36:37], v[36:37], v[38:39], v[40:41] op_sel_hi:[0,1,1] neg_lo:[0,0,1] neg_hi:[0,0,1]
	v_mov_b32_e32 v37, v99
	ds_store_b64 v66, v[36:37]
.LBB156_799:                            ;   in Loop: Header=BB156_3 Depth=1
	s_or_b32 exec_lo, exec_lo, s10
	s_wait_dscnt 0x0
	s_barrier_signal -1
	s_barrier_wait -1
	s_and_saveexec_b32 s10, s61
	s_cbranch_execz .LBB156_801
; %bb.800:                              ;   in Loop: Header=BB156_3 Depth=1
	ds_load_b64 v[38:39], v65 offset:28032
	ds_load_b64 v[40:41], v66
	s_wait_dscnt 0x0
	v_pk_mul_f32 v[98:99], v[40:41], v[38:39] op_sel:[1,1] op_sel_hi:[0,1]
	s_delay_alu instid0(VALU_DEP_1) | instskip(SKIP_1) | instid1(VALU_DEP_2)
	v_pk_fma_f32 v[100:101], v[40:41], v[38:39], v[98:99] op_sel_hi:[1,0,1]
	v_pk_fma_f32 v[38:39], v[40:41], v[38:39], v[98:99] op_sel_hi:[1,0,1] neg_lo:[0,0,1] neg_hi:[0,0,1]
	v_mov_b32_e32 v39, v101
	s_delay_alu instid0(VALU_DEP_1)
	v_pk_add_f32 v[36:37], v[36:37], v[38:39]
.LBB156_801:                            ;   in Loop: Header=BB156_3 Depth=1
	;; [unrolled: 33-line block ×3, first 2 shown]
	s_or_b32 exec_lo, exec_lo, s10
	s_barrier_signal -1
	s_barrier_wait -1
	s_and_saveexec_b32 s10, s64
	s_cbranch_execz .LBB156_807
; %bb.806:                              ;   in Loop: Header=BB156_3 Depth=1
	ds_load_b64 v[38:39], v5 offset:29120
	s_wait_dscnt 0x0
	v_dual_mul_f32 v40, v36, v39 :: v_dual_mul_f32 v42, v37, v39
	s_delay_alu instid0(VALU_DEP_1) | instskip(NEXT) | instid1(VALU_DEP_2)
	v_pk_fma_f32 v[40:41], v[36:37], v[38:39], v[40:41] op_sel:[0,1,0] op_sel_hi:[1,0,0]
	v_pk_fma_f32 v[38:39], v[36:37], v[38:39], v[42:43] op_sel_hi:[1,1,0] neg_lo:[0,0,1] neg_hi:[0,0,1]
	s_delay_alu instid0(VALU_DEP_2) | instskip(NEXT) | instid1(VALU_DEP_1)
	v_mov_b32_e32 v39, v41
	v_mov_b64_e32 v[36:37], v[38:39]
	ds_store_b64 v66, v[38:39]
.LBB156_807:                            ;   in Loop: Header=BB156_3 Depth=1
	s_or_b32 exec_lo, exec_lo, s10
	s_wait_dscnt 0x0
	s_barrier_signal -1
	s_barrier_wait -1
	s_and_saveexec_b32 s10, s11
	s_cbranch_execz .LBB156_809
; %bb.808:                              ;   in Loop: Header=BB156_3 Depth=1
	ds_load_b64 v[38:39], v65 offset:29056
	ds_load_b64 v[40:41], v66
	s_wait_dscnt 0x0
	v_dual_mul_f32 v42, v41, v39 :: v_dual_mul_f32 v99, v40, v39
	s_delay_alu instid0(VALU_DEP_1) | instskip(NEXT) | instid1(VALU_DEP_1)
	v_dual_fma_f32 v98, v40, v38, -v42 :: v_dual_fmac_f32 v99, v41, v38
	v_pk_add_f32 v[36:37], v[36:37], v[98:99]
.LBB156_809:                            ;   in Loop: Header=BB156_3 Depth=1
	s_or_b32 exec_lo, exec_lo, s10
	s_barrier_signal -1
	s_barrier_wait -1
	s_and_saveexec_b32 s10, s23
	s_cbranch_execz .LBB156_811
; %bb.810:                              ;   in Loop: Header=BB156_3 Depth=1
	ds_load_b64 v[38:39], v5 offset:29640
	s_wait_dscnt 0x0
	v_pk_mul_f32 v[40:41], v[36:37], v[38:39] op_sel:[1,1] op_sel_hi:[1,0]
	s_delay_alu instid0(VALU_DEP_1) | instskip(SKIP_1) | instid1(VALU_DEP_2)
	v_pk_fma_f32 v[98:99], v[36:37], v[38:39], v[40:41] op_sel_hi:[0,1,1]
	v_pk_fma_f32 v[36:37], v[36:37], v[38:39], v[40:41] op_sel_hi:[0,1,1] neg_lo:[0,0,1] neg_hi:[0,0,1]
	v_mov_b32_e32 v37, v99
	ds_store_b64 v66, v[36:37]
.LBB156_811:                            ;   in Loop: Header=BB156_3 Depth=1
	s_or_b32 exec_lo, exec_lo, s10
	s_wait_dscnt 0x0
	s_barrier_signal -1
	s_barrier_wait -1
	s_and_saveexec_b32 s10, s25
	s_cbranch_execz .LBB156_813
; %bb.812:                              ;   in Loop: Header=BB156_3 Depth=1
	ds_load_b64 v[38:39], v65 offset:29568
	ds_load_b64 v[40:41], v66
	s_wait_dscnt 0x0
	v_pk_mul_f32 v[98:99], v[40:41], v[38:39] op_sel:[1,1] op_sel_hi:[0,1]
	s_delay_alu instid0(VALU_DEP_1) | instskip(SKIP_1) | instid1(VALU_DEP_2)
	v_pk_fma_f32 v[100:101], v[40:41], v[38:39], v[98:99] op_sel_hi:[1,0,1]
	v_pk_fma_f32 v[38:39], v[40:41], v[38:39], v[98:99] op_sel_hi:[1,0,1] neg_lo:[0,0,1] neg_hi:[0,0,1]
	v_mov_b32_e32 v39, v101
	s_delay_alu instid0(VALU_DEP_1)
	v_pk_add_f32 v[36:37], v[36:37], v[38:39]
.LBB156_813:                            ;   in Loop: Header=BB156_3 Depth=1
	s_or_b32 exec_lo, exec_lo, s10
	s_barrier_signal -1
	s_barrier_wait -1
	s_and_saveexec_b32 s10, s27
	s_cbranch_execz .LBB156_815
; %bb.814:                              ;   in Loop: Header=BB156_3 Depth=1
	ds_load_b64 v[38:39], v5 offset:30160
	s_wait_dscnt 0x0
	v_pk_mul_f32 v[40:41], v[36:37], v[38:39] op_sel:[1,1] op_sel_hi:[1,0]
	s_delay_alu instid0(VALU_DEP_1) | instskip(SKIP_1) | instid1(VALU_DEP_2)
	v_pk_fma_f32 v[98:99], v[36:37], v[38:39], v[40:41] op_sel_hi:[0,1,1]
	v_pk_fma_f32 v[36:37], v[36:37], v[38:39], v[40:41] op_sel_hi:[0,1,1] neg_lo:[0,0,1] neg_hi:[0,0,1]
	v_mov_b32_e32 v37, v99
	ds_store_b64 v66, v[36:37]
.LBB156_815:                            ;   in Loop: Header=BB156_3 Depth=1
	s_or_b32 exec_lo, exec_lo, s10
	s_wait_dscnt 0x0
	s_barrier_signal -1
	s_barrier_wait -1
	s_and_saveexec_b32 s10, s29
	s_cbranch_execz .LBB156_817
; %bb.816:                              ;   in Loop: Header=BB156_3 Depth=1
	ds_load_b64 v[38:39], v65 offset:30080
	ds_load_b64 v[40:41], v66
	s_wait_dscnt 0x0
	v_pk_mul_f32 v[98:99], v[40:41], v[38:39] op_sel:[1,1] op_sel_hi:[0,1]
	s_delay_alu instid0(VALU_DEP_1) | instskip(SKIP_1) | instid1(VALU_DEP_2)
	v_pk_fma_f32 v[100:101], v[40:41], v[38:39], v[98:99] op_sel_hi:[1,0,1]
	v_pk_fma_f32 v[38:39], v[40:41], v[38:39], v[98:99] op_sel_hi:[1,0,1] neg_lo:[0,0,1] neg_hi:[0,0,1]
	v_mov_b32_e32 v39, v101
	s_delay_alu instid0(VALU_DEP_1)
	v_pk_add_f32 v[36:37], v[36:37], v[38:39]
.LBB156_817:                            ;   in Loop: Header=BB156_3 Depth=1
	;; [unrolled: 33-line block ×3, first 2 shown]
	s_or_b32 exec_lo, exec_lo, s10
	s_barrier_signal -1
	s_barrier_wait -1
	s_and_saveexec_b32 s10, s24
	s_cbranch_execz .LBB156_823
; %bb.822:                              ;   in Loop: Header=BB156_3 Depth=1
	ds_load_b64 v[38:39], v5 offset:31200
	s_wait_dscnt 0x0
	v_dual_mul_f32 v40, v36, v39 :: v_dual_mul_f32 v42, v37, v39
	s_delay_alu instid0(VALU_DEP_1) | instskip(NEXT) | instid1(VALU_DEP_2)
	v_pk_fma_f32 v[40:41], v[36:37], v[38:39], v[40:41] op_sel:[0,1,0] op_sel_hi:[1,0,0]
	v_pk_fma_f32 v[38:39], v[36:37], v[38:39], v[42:43] op_sel_hi:[1,1,0] neg_lo:[0,0,1] neg_hi:[0,0,1]
	s_delay_alu instid0(VALU_DEP_2) | instskip(NEXT) | instid1(VALU_DEP_1)
	v_mov_b32_e32 v39, v41
	v_mov_b64_e32 v[36:37], v[38:39]
	ds_store_b64 v66, v[38:39]
.LBB156_823:                            ;   in Loop: Header=BB156_3 Depth=1
	s_or_b32 exec_lo, exec_lo, s10
	s_wait_dscnt 0x0
	s_barrier_signal -1
	s_barrier_wait -1
	s_and_saveexec_b32 s10, s26
	s_cbranch_execz .LBB156_825
; %bb.824:                              ;   in Loop: Header=BB156_3 Depth=1
	ds_load_b64 v[38:39], v65 offset:31104
	ds_load_b64 v[40:41], v66
	s_wait_dscnt 0x0
	v_dual_mul_f32 v42, v41, v39 :: v_dual_mul_f32 v99, v40, v39
	s_delay_alu instid0(VALU_DEP_1) | instskip(NEXT) | instid1(VALU_DEP_1)
	v_dual_fma_f32 v98, v40, v38, -v42 :: v_dual_fmac_f32 v99, v41, v38
	v_pk_add_f32 v[36:37], v[36:37], v[98:99]
.LBB156_825:                            ;   in Loop: Header=BB156_3 Depth=1
	s_or_b32 exec_lo, exec_lo, s10
	s_barrier_signal -1
	s_barrier_wait -1
	s_and_saveexec_b32 s10, s28
	s_cbranch_execz .LBB156_827
; %bb.826:                              ;   in Loop: Header=BB156_3 Depth=1
	ds_load_b64 v[38:39], v5 offset:31720
	s_wait_dscnt 0x0
	v_pk_mul_f32 v[40:41], v[36:37], v[38:39] op_sel:[1,1] op_sel_hi:[1,0]
	s_delay_alu instid0(VALU_DEP_1) | instskip(SKIP_1) | instid1(VALU_DEP_2)
	v_pk_fma_f32 v[98:99], v[36:37], v[38:39], v[40:41] op_sel_hi:[0,1,1]
	v_pk_fma_f32 v[38:39], v[36:37], v[38:39], v[40:41] neg_lo:[0,0,1] neg_hi:[0,0,1]
	v_mov_b32_e32 v39, v99
	s_delay_alu instid0(VALU_DEP_1)
	v_mov_b64_e32 v[36:37], v[38:39]
	ds_store_b64 v66, v[38:39]
.LBB156_827:                            ;   in Loop: Header=BB156_3 Depth=1
	s_or_b32 exec_lo, exec_lo, s10
	s_wait_dscnt 0x0
	s_barrier_signal -1
	s_barrier_wait -1
	s_and_saveexec_b32 s10, s30
	s_cbranch_execz .LBB156_829
; %bb.828:                              ;   in Loop: Header=BB156_3 Depth=1
	ds_load_b64 v[38:39], v65 offset:31616
	ds_load_b64 v[40:41], v66
	s_wait_dscnt 0x0
	v_pk_mul_f32 v[98:99], v[40:41], v[38:39] op_sel:[1,1] op_sel_hi:[0,1]
	s_delay_alu instid0(VALU_DEP_1) | instskip(SKIP_1) | instid1(VALU_DEP_2)
	v_pk_fma_f32 v[100:101], v[40:41], v[38:39], v[98:99] op_sel_hi:[1,0,1]
	v_pk_fma_f32 v[38:39], v[40:41], v[38:39], v[98:99] neg_lo:[0,0,1] neg_hi:[0,0,1]
	v_mov_b32_e32 v39, v101
	s_delay_alu instid0(VALU_DEP_1)
	v_pk_add_f32 v[36:37], v[36:37], v[38:39]
.LBB156_829:                            ;   in Loop: Header=BB156_3 Depth=1
	s_or_b32 exec_lo, exec_lo, s10
	s_barrier_signal -1
	s_barrier_wait -1
	s_and_saveexec_b32 s10, s33
	s_cbranch_execz .LBB156_831
; %bb.830:                              ;   in Loop: Header=BB156_3 Depth=1
	ds_load_b64 v[38:39], v5 offset:32240
	s_wait_dscnt 0x0
	v_pk_mul_f32 v[40:41], v[36:37], v[38:39] op_sel:[1,1] op_sel_hi:[1,0]
	s_delay_alu instid0(VALU_DEP_1) | instskip(SKIP_1) | instid1(VALU_DEP_2)
	v_pk_fma_f32 v[98:99], v[36:37], v[38:39], v[40:41] op_sel_hi:[0,1,1]
	v_pk_fma_f32 v[38:39], v[36:37], v[38:39], v[40:41] neg_lo:[0,0,1] neg_hi:[0,0,1]
	v_mov_b32_e32 v39, v99
	s_delay_alu instid0(VALU_DEP_1)
	v_mov_b64_e32 v[36:37], v[38:39]
	ds_store_b64 v66, v[38:39]
.LBB156_831:                            ;   in Loop: Header=BB156_3 Depth=1
	s_or_b32 exec_lo, exec_lo, s10
	s_wait_dscnt 0x0
	s_barrier_signal -1
	s_barrier_wait -1
	s_and_saveexec_b32 s10, s89
	s_cbranch_execz .LBB156_833
; %bb.832:                              ;   in Loop: Header=BB156_3 Depth=1
	ds_load_b64 v[38:39], v5 offset:32248
	ds_load_b64 v[40:41], v66
	s_wait_dscnt 0x0
	v_pk_mul_f32 v[98:99], v[40:41], v[38:39] op_sel:[1,1] op_sel_hi:[0,1]
	s_delay_alu instid0(VALU_DEP_1) | instskip(SKIP_1) | instid1(VALU_DEP_2)
	v_pk_fma_f32 v[100:101], v[40:41], v[38:39], v[98:99] op_sel_hi:[1,0,1]
	v_pk_fma_f32 v[38:39], v[40:41], v[38:39], v[98:99] neg_lo:[0,0,1] neg_hi:[0,0,1]
	v_mov_b32_e32 v39, v101
	s_delay_alu instid0(VALU_DEP_1)
	v_pk_add_f32 v[36:37], v[36:37], v[38:39]
.LBB156_833:                            ;   in Loop: Header=BB156_3 Depth=1
	s_or_b32 exec_lo, exec_lo, s10
	s_barrier_signal -1
	s_barrier_wait -1
	s_and_saveexec_b32 s10, s89
	s_cbranch_execz .LBB156_835
; %bb.834:                              ;   in Loop: Header=BB156_3 Depth=1
	ds_load_b64 v[38:39], v5 offset:32760
	s_wait_dscnt 0x0
	v_pk_mul_f32 v[40:41], v[36:37], v[38:39] op_sel:[1,1] op_sel_hi:[1,0]
	s_delay_alu instid0(VALU_DEP_1) | instskip(SKIP_1) | instid1(VALU_DEP_2)
	v_pk_fma_f32 v[98:99], v[36:37], v[38:39], v[40:41] op_sel_hi:[0,1,1]
	v_pk_fma_f32 v[38:39], v[36:37], v[38:39], v[40:41] neg_lo:[0,0,1] neg_hi:[0,0,1]
	v_mov_b32_e32 v39, v99
	s_delay_alu instid0(VALU_DEP_1)
	v_mov_b64_e32 v[36:37], v[38:39]
	ds_store_b64 v66, v[38:39]
.LBB156_835:                            ;   in Loop: Header=BB156_3 Depth=1
	s_or_b32 exec_lo, exec_lo, s10
	s_wait_dscnt 0x0
	s_barrier_signal -1
	s_barrier_wait -1
	s_barrier_signal -1
	s_barrier_wait -1
	s_and_saveexec_b32 s10, s5
; %bb.836:                              ;   in Loop: Header=BB156_3 Depth=1
	v_pk_add_f32 v[36:37], v[36:37], 0 neg_lo:[1,1] neg_hi:[1,1]
	ds_store_b64 v67, v[36:37] offset:16768
; %bb.837:                              ;   in Loop: Header=BB156_3 Depth=1
	s_or_b32 exec_lo, exec_lo, s10
	s_wait_dscnt 0x0
	s_barrier_signal -1
	s_barrier_wait -1
	s_barrier_signal -1
	s_barrier_wait -1
	s_and_saveexec_b32 s10, s48
	s_cbranch_execz .LBB156_839
; %bb.838:                              ;   in Loop: Header=BB156_3 Depth=1
	ds_load_b64 v[36:37], v49 offset:16768
	s_wait_dscnt 0x0
	ds_store_b64 v54, v[36:37] offset:24832
	ds_load_b64 v[36:37], v49 offset:16776
	s_wait_dscnt 0x0
	ds_store_b64 v54, v[36:37] offset:25344
	;; [unrolled: 3-line block ×16, first 2 shown]
.LBB156_839:                            ;   in Loop: Header=BB156_3 Depth=1
	s_or_b32 exec_lo, exec_lo, s10
	s_wait_dscnt 0x0
	s_barrier_signal -1
	s_barrier_wait -1
	s_and_saveexec_b32 s10, s14
	s_cbranch_execz .LBB156_841
; %bb.840:                              ;   in Loop: Header=BB156_3 Depth=1
	ds_load_b128 v[36:39], v5 offset:24960
	ds_load_b64 v[40:41], v5 offset:25480
	s_wait_dscnt 0x1
	v_dual_mov_b32 v98, v39 :: v_dual_mov_b32 v99, v38
	s_wait_dscnt 0x0
	v_dual_mul_f32 v97, v41, v37 :: v_dual_mul_f32 v42, v40, v37
	s_delay_alu instid0(VALU_DEP_1) | instskip(NEXT) | instid1(VALU_DEP_1)
	v_xor_b32_e32 v100, 0x80000000, v97
	v_dual_fmac_f32 v42, v41, v36 :: v_dual_fmac_f32 v100, v40, v36
	s_delay_alu instid0(VALU_DEP_1) | instskip(NEXT) | instid1(VALU_DEP_1)
	v_pk_mul_f32 v[36:37], v[42:43], v[98:99] op_sel_hi:[0,1]
	v_pk_fma_f32 v[40:41], v[100:101], v[38:39], v[36:37] op_sel_hi:[0,1,1]
	v_pk_fma_f32 v[36:37], v[100:101], v[38:39], v[36:37] neg_lo:[0,0,1] neg_hi:[0,0,1]
	v_add_nc_u32_e64 v38, 0x6000, 0
	s_delay_alu instid0(VALU_DEP_3)
	v_mov_b32_e32 v37, v41
	ds_store_2addr_b64 v38, v[36:37], v[36:37] offset0:49 offset1:112
.LBB156_841:                            ;   in Loop: Header=BB156_3 Depth=1
	s_or_b32 exec_lo, exec_lo, s10
	v_mov_b32_e32 v37, 0
	s_wait_dscnt 0x0
	s_barrier_signal -1
	s_barrier_wait -1
	s_delay_alu instid0(VALU_DEP_1)
	v_mov_b32_e32 v36, v37
	s_and_saveexec_b32 s10, s1
	s_cbranch_execz .LBB156_845
; %bb.842:                              ;   in Loop: Header=BB156_3 Depth=1
	ds_load_b64 v[36:37], v44 offset:24976
	ds_load_b64 v[38:39], v45 offset:24960
	s_wait_dscnt 0x0
	v_dual_mul_f32 v40, v39, v37 :: v_dual_mul_f32 v41, v38, v37
	s_delay_alu instid0(VALU_DEP_1) | instskip(NEXT) | instid1(VALU_DEP_1)
	v_dual_fma_f32 v40, v38, v36, -v40 :: v_dual_fmac_f32 v41, v39, v36
	v_pk_add_f32 v[36:37], v[40:41], 0 op_sel_hi:[1,0]
	s_and_saveexec_b32 s12, s15
	s_cbranch_execz .LBB156_844
; %bb.843:                              ;   in Loop: Header=BB156_3 Depth=1
	ds_load_b64 v[38:39], v46 offset:25488
	ds_load_b64 v[40:41], v5 offset:24968
	s_wait_dscnt 0x0
	v_pk_mul_f32 v[98:99], v[40:41], v[38:39] op_sel:[1,1] op_sel_hi:[0,1]
	s_delay_alu instid0(VALU_DEP_1) | instskip(SKIP_1) | instid1(VALU_DEP_2)
	v_pk_fma_f32 v[100:101], v[40:41], v[38:39], v[98:99] op_sel_hi:[1,0,1]
	v_pk_fma_f32 v[38:39], v[40:41], v[38:39], v[98:99] neg_lo:[0,0,1] neg_hi:[0,0,1]
	v_mov_b32_e32 v39, v101
	s_delay_alu instid0(VALU_DEP_1)
	v_pk_add_f32 v[36:37], v[36:37], v[38:39]
.LBB156_844:                            ;   in Loop: Header=BB156_3 Depth=1
	s_or_b32 exec_lo, exec_lo, s12
	s_delay_alu instid0(VALU_DEP_1)
	v_pk_add_f32 v[36:37], v[36:37], 0 neg_lo:[1,1] neg_hi:[1,1]
.LBB156_845:                            ;   in Loop: Header=BB156_3 Depth=1
	s_or_b32 exec_lo, exec_lo, s10
	s_and_saveexec_b32 s10, s91
	s_cbranch_execz .LBB156_847
; %bb.846:                              ;   in Loop: Header=BB156_3 Depth=1
	ds_load_b64 v[38:39], v5 offset:26000
	s_wait_dscnt 0x0
	v_pk_mul_f32 v[40:41], v[36:37], v[38:39] op_sel:[1,1] op_sel_hi:[1,0]
	s_delay_alu instid0(VALU_DEP_1) | instskip(SKIP_1) | instid1(VALU_DEP_2)
	v_pk_fma_f32 v[98:99], v[36:37], v[38:39], v[40:41] op_sel_hi:[0,1,1]
	v_pk_fma_f32 v[38:39], v[36:37], v[38:39], v[40:41] neg_lo:[0,0,1] neg_hi:[0,0,1]
	v_mov_b32_e32 v39, v99
	s_delay_alu instid0(VALU_DEP_1)
	v_mov_b64_e32 v[36:37], v[38:39]
	ds_store_b64 v3, v[38:39]
.LBB156_847:                            ;   in Loop: Header=BB156_3 Depth=1
	s_or_b32 exec_lo, exec_lo, s10
	s_wait_dscnt 0x0
	s_barrier_signal -1
	s_barrier_wait -1
	s_and_saveexec_b32 s10, s92
	s_cbranch_execz .LBB156_849
; %bb.848:                              ;   in Loop: Header=BB156_3 Depth=1
	ds_load_b64 v[38:39], v5 offset:26008
	ds_load_b64 v[40:41], v3
	s_wait_dscnt 0x0
	v_pk_mul_f32 v[98:99], v[40:41], v[38:39] op_sel:[1,1] op_sel_hi:[0,1]
	s_delay_alu instid0(VALU_DEP_1) | instskip(SKIP_1) | instid1(VALU_DEP_2)
	v_pk_fma_f32 v[100:101], v[40:41], v[38:39], v[98:99] op_sel_hi:[1,0,1]
	v_pk_fma_f32 v[38:39], v[40:41], v[38:39], v[98:99] neg_lo:[0,0,1] neg_hi:[0,0,1]
	v_mov_b32_e32 v39, v101
	s_delay_alu instid0(VALU_DEP_1)
	v_pk_add_f32 v[36:37], v[36:37], v[38:39]
.LBB156_849:                            ;   in Loop: Header=BB156_3 Depth=1
	s_or_b32 exec_lo, exec_lo, s10
	s_barrier_signal -1
	s_barrier_wait -1
	s_and_saveexec_b32 s10, s92
	s_cbranch_execz .LBB156_851
; %bb.850:                              ;   in Loop: Header=BB156_3 Depth=1
	ds_load_b64 v[38:39], v5 offset:26520
	s_wait_dscnt 0x0
	v_pk_mul_f32 v[40:41], v[36:37], v[38:39] op_sel:[1,1] op_sel_hi:[1,0]
	s_delay_alu instid0(VALU_DEP_1) | instskip(SKIP_1) | instid1(VALU_DEP_2)
	v_pk_fma_f32 v[98:99], v[36:37], v[38:39], v[40:41] op_sel_hi:[0,1,1]
	v_pk_fma_f32 v[38:39], v[36:37], v[38:39], v[40:41] neg_lo:[0,0,1] neg_hi:[0,0,1]
	v_mov_b32_e32 v39, v99
	s_delay_alu instid0(VALU_DEP_1)
	v_mov_b64_e32 v[36:37], v[38:39]
	ds_store_b64 v3, v[38:39]
.LBB156_851:                            ;   in Loop: Header=BB156_3 Depth=1
	s_or_b32 exec_lo, exec_lo, s10
	s_wait_dscnt 0x0
	s_barrier_signal -1
	s_barrier_wait -1
	s_barrier_signal -1
	s_barrier_wait -1
	s_and_saveexec_b32 s10, s1
; %bb.852:                              ;   in Loop: Header=BB156_3 Depth=1
	v_pk_add_f32 v[36:37], v[36:37], 0 neg_lo:[1,1] neg_hi:[1,1]
	ds_store_b64 v44, v[36:37] offset:24976
; %bb.853:                              ;   in Loop: Header=BB156_3 Depth=1
	s_or_b32 exec_lo, exec_lo, s10
	s_wait_dscnt 0x0
	s_barrier_signal -1
	s_barrier_wait -1
	s_barrier_signal -1
	s_barrier_wait -1
	s_and_saveexec_b32 s10, s93
	s_cbranch_execz .LBB156_855
; %bb.854:                              ;   in Loop: Header=BB156_3 Depth=1
	ds_load_b64 v[36:37], v49 offset:24976
	s_wait_dscnt 0x0
	ds_store_b64 v46, v[36:37] offset:25984
	ds_load_b64 v[36:37], v49 offset:24984
	s_wait_dscnt 0x0
	ds_store_b64 v46, v[36:37] offset:26496
.LBB156_855:                            ;   in Loop: Header=BB156_3 Depth=1
	s_or_b32 exec_lo, exec_lo, s10
	s_wait_dscnt 0x0
	s_barrier_signal -1
	s_barrier_wait -1
	s_and_saveexec_b32 s10, s14
	s_cbranch_execz .LBB156_857
; %bb.856:                              ;   in Loop: Header=BB156_3 Depth=1
	ds_load_b128 v[36:39], v5 offset:26000
	ds_load_b64 v[40:41], v5 offset:26520
	s_wait_dscnt 0x1
	v_dual_mov_b32 v98, v39 :: v_dual_mov_b32 v99, v38
	s_wait_dscnt 0x0
	v_dual_mul_f32 v97, v41, v37 :: v_dual_mul_f32 v42, v40, v37
	s_delay_alu instid0(VALU_DEP_1) | instskip(NEXT) | instid1(VALU_DEP_1)
	v_xor_b32_e32 v100, 0x80000000, v97
	v_dual_fmac_f32 v42, v41, v36 :: v_dual_fmac_f32 v100, v40, v36
	s_delay_alu instid0(VALU_DEP_1) | instskip(NEXT) | instid1(VALU_DEP_1)
	v_pk_mul_f32 v[36:37], v[42:43], v[98:99] op_sel_hi:[0,1]
	v_pk_fma_f32 v[40:41], v[100:101], v[38:39], v[36:37] op_sel_hi:[0,1,1]
	v_pk_fma_f32 v[36:37], v[100:101], v[38:39], v[36:37] neg_lo:[0,0,1] neg_hi:[0,0,1]
	v_add_nc_u32_e64 v38, 0x6000, 0
	s_delay_alu instid0(VALU_DEP_3)
	v_mov_b32_e32 v37, v41
	ds_store_2addr_b64 v38, v[36:37], v[36:37] offset0:179 offset1:242
.LBB156_857:                            ;   in Loop: Header=BB156_3 Depth=1
	s_or_b32 exec_lo, exec_lo, s10
	v_mov_b32_e32 v36, 0
	s_wait_dscnt 0x0
	s_barrier_signal -1
	s_barrier_wait -1
	s_delay_alu instid0(VALU_DEP_1)
	v_mov_b32_e32 v37, v36
	s_and_saveexec_b32 s10, s3
	s_cbranch_execz .LBB156_863
; %bb.858:                              ;   in Loop: Header=BB156_3 Depth=1
	ds_load_b64 v[36:37], v51 offset:24992
	ds_load_b64 v[38:39], v47 offset:24960
	s_wait_dscnt 0x0
	v_pk_mul_f32 v[40:41], v[38:39], v[36:37] op_sel:[0,1]
	s_delay_alu instid0(VALU_DEP_1) | instskip(SKIP_1) | instid1(VALU_DEP_2)
	v_pk_fma_f32 v[98:99], v[38:39], v[36:37], v[40:41] op_sel:[1,0,0] op_sel_hi:[0,0,1] neg_lo:[0,0,1] neg_hi:[0,0,1]
	v_pk_fma_f32 v[36:37], v[38:39], v[36:37], v[40:41] op_sel:[1,0,0] op_sel_hi:[0,1,1]
	v_mov_b32_e32 v37, v99
	s_delay_alu instid0(VALU_DEP_1)
	v_pk_add_f32 v[36:37], v[36:37], 0 op_sel_hi:[1,0]
	s_and_saveexec_b32 s12, s16
	s_cbranch_execnz .LBB156_1164
; %bb.859:                              ;   in Loop: Header=BB156_3 Depth=1
	s_or_b32 exec_lo, exec_lo, s12
	s_and_saveexec_b32 s12, s17
	s_cbranch_execnz .LBB156_1165
.LBB156_860:                            ;   in Loop: Header=BB156_3 Depth=1
	s_or_b32 exec_lo, exec_lo, s12
	s_and_saveexec_b32 s12, s1
	s_cbranch_execz .LBB156_862
.LBB156_861:                            ;   in Loop: Header=BB156_3 Depth=1
	ds_load_b64 v[38:39], v54 offset:26528
	ds_load_b64 v[40:41], v5 offset:24984
	s_wait_dscnt 0x0
	v_pk_mul_f32 v[98:99], v[40:41], v[38:39] op_sel:[0,1]
	s_delay_alu instid0(VALU_DEP_1) | instskip(SKIP_1) | instid1(VALU_DEP_2)
	v_pk_fma_f32 v[100:101], v[40:41], v[38:39], v[98:99] op_sel:[1,0,0] op_sel_hi:[0,0,1] neg_lo:[0,0,1] neg_hi:[0,0,1]
	v_pk_fma_f32 v[38:39], v[40:41], v[38:39], v[98:99] op_sel:[1,0,0] op_sel_hi:[0,1,1]
	v_mov_b32_e32 v39, v101
	s_delay_alu instid0(VALU_DEP_1)
	v_pk_add_f32 v[36:37], v[36:37], v[38:39]
.LBB156_862:                            ;   in Loop: Header=BB156_3 Depth=1
	s_or_b32 exec_lo, exec_lo, s12
	s_delay_alu instid0(VALU_DEP_1) | instskip(NEXT) | instid1(VALU_DEP_1)
	v_pk_add_f32 v[38:39], v[36:37], 0 neg_lo:[1,1] neg_hi:[1,1]
	v_dual_mov_b32 v36, v39 :: v_dual_mov_b32 v37, v38
.LBB156_863:                            ;   in Loop: Header=BB156_3 Depth=1
	s_or_b32 exec_lo, exec_lo, s10
	s_and_saveexec_b32 s10, s94
	s_cbranch_execz .LBB156_865
; %bb.864:                              ;   in Loop: Header=BB156_3 Depth=1
	ds_load_b64 v[38:39], v5 offset:27040
	v_dual_mov_b32 v40, v37 :: v_dual_mov_b32 v41, v36
	s_wait_dscnt 0x0
	s_delay_alu instid0(VALU_DEP_1) | instskip(NEXT) | instid1(VALU_DEP_1)
	v_dual_mul_f32 v42, v40, v38 :: v_dual_mul_f32 v98, v37, v39
	v_pk_fma_f32 v[40:41], v[40:41], v[38:39], v[42:43] op_sel_hi:[1,1,0]
	s_delay_alu instid0(VALU_DEP_2) | instskip(NEXT) | instid1(VALU_DEP_2)
	v_pk_fma_f32 v[36:37], v[36:37], v[38:39], v[98:99] op_sel_hi:[1,1,0] neg_lo:[0,0,1] neg_hi:[0,0,1]
	v_mov_b32_e32 v37, v41
	ds_store_b64 v50, v[36:37]
.LBB156_865:                            ;   in Loop: Header=BB156_3 Depth=1
	s_or_b32 exec_lo, exec_lo, s10
	s_wait_dscnt 0x0
	s_barrier_signal -1
	s_barrier_wait -1
	s_and_saveexec_b32 s10, s95
	s_cbranch_execz .LBB156_867
; %bb.866:                              ;   in Loop: Header=BB156_3 Depth=1
	ds_load_b64 v[38:39], v48 offset:27040
	ds_load_b64 v[40:41], v50
	s_wait_dscnt 0x0
	v_dual_mul_f32 v42, v41, v39 :: v_dual_mul_f32 v99, v40, v39
	s_delay_alu instid0(VALU_DEP_1) | instskip(NEXT) | instid1(VALU_DEP_1)
	v_dual_fma_f32 v98, v40, v38, -v42 :: v_dual_fmac_f32 v99, v41, v38
	v_pk_add_f32 v[36:37], v[36:37], v[98:99]
.LBB156_867:                            ;   in Loop: Header=BB156_3 Depth=1
	s_or_b32 exec_lo, exec_lo, s10
	s_barrier_signal -1
	s_barrier_wait -1
	s_and_saveexec_b32 s10, s96
	s_cbranch_execz .LBB156_869
; %bb.868:                              ;   in Loop: Header=BB156_3 Depth=1
	ds_load_b64 v[38:39], v5 offset:27560
	s_wait_dscnt 0x0
	v_pk_mul_f32 v[40:41], v[36:37], v[38:39] op_sel:[1,1] op_sel_hi:[1,0]
	s_delay_alu instid0(VALU_DEP_1) | instskip(SKIP_1) | instid1(VALU_DEP_2)
	v_pk_fma_f32 v[98:99], v[36:37], v[38:39], v[40:41] op_sel_hi:[0,1,1]
	v_pk_fma_f32 v[38:39], v[36:37], v[38:39], v[40:41] neg_lo:[0,0,1] neg_hi:[0,0,1]
	v_mov_b32_e32 v39, v99
	s_delay_alu instid0(VALU_DEP_1)
	v_mov_b64_e32 v[36:37], v[38:39]
	ds_store_b64 v50, v[38:39]
.LBB156_869:                            ;   in Loop: Header=BB156_3 Depth=1
	s_or_b32 exec_lo, exec_lo, s10
	s_wait_dscnt 0x0
	s_barrier_signal -1
	s_barrier_wait -1
	s_and_saveexec_b32 s10, s97
	s_cbranch_execz .LBB156_871
; %bb.870:                              ;   in Loop: Header=BB156_3 Depth=1
	ds_load_b64 v[38:39], v48 offset:27552
	ds_load_b64 v[40:41], v50
	s_wait_dscnt 0x0
	v_pk_mul_f32 v[98:99], v[40:41], v[38:39] op_sel:[1,1] op_sel_hi:[0,1]
	s_delay_alu instid0(VALU_DEP_1) | instskip(SKIP_1) | instid1(VALU_DEP_2)
	v_pk_fma_f32 v[100:101], v[40:41], v[38:39], v[98:99] op_sel_hi:[1,0,1]
	v_pk_fma_f32 v[38:39], v[40:41], v[38:39], v[98:99] neg_lo:[0,0,1] neg_hi:[0,0,1]
	v_mov_b32_e32 v39, v101
	s_delay_alu instid0(VALU_DEP_1)
	v_pk_add_f32 v[36:37], v[36:37], v[38:39]
.LBB156_871:                            ;   in Loop: Header=BB156_3 Depth=1
	s_or_b32 exec_lo, exec_lo, s10
	s_barrier_signal -1
	s_barrier_wait -1
	s_and_saveexec_b32 s10, s98
	s_cbranch_execz .LBB156_873
; %bb.872:                              ;   in Loop: Header=BB156_3 Depth=1
	ds_load_b64 v[38:39], v5 offset:28080
	s_wait_dscnt 0x0
	v_pk_mul_f32 v[40:41], v[36:37], v[38:39] op_sel:[1,1] op_sel_hi:[1,0]
	s_delay_alu instid0(VALU_DEP_1) | instskip(SKIP_1) | instid1(VALU_DEP_2)
	v_pk_fma_f32 v[98:99], v[36:37], v[38:39], v[40:41] op_sel_hi:[0,1,1]
	v_pk_fma_f32 v[38:39], v[36:37], v[38:39], v[40:41] neg_lo:[0,0,1] neg_hi:[0,0,1]
	v_mov_b32_e32 v39, v99
	s_delay_alu instid0(VALU_DEP_1)
	v_mov_b64_e32 v[36:37], v[38:39]
	ds_store_b64 v50, v[38:39]
.LBB156_873:                            ;   in Loop: Header=BB156_3 Depth=1
	s_or_b32 exec_lo, exec_lo, s10
	s_wait_dscnt 0x0
	s_barrier_signal -1
	s_barrier_wait -1
	s_and_saveexec_b32 s10, s99
	s_cbranch_execz .LBB156_875
; %bb.874:                              ;   in Loop: Header=BB156_3 Depth=1
	ds_load_b64 v[38:39], v5 offset:28088
	ds_load_b64 v[40:41], v50
	s_wait_dscnt 0x0
	v_pk_mul_f32 v[98:99], v[40:41], v[38:39] op_sel:[1,1] op_sel_hi:[0,1]
	s_delay_alu instid0(VALU_DEP_1) | instskip(SKIP_1) | instid1(VALU_DEP_2)
	v_pk_fma_f32 v[100:101], v[40:41], v[38:39], v[98:99] op_sel_hi:[1,0,1]
	v_pk_fma_f32 v[38:39], v[40:41], v[38:39], v[98:99] neg_lo:[0,0,1] neg_hi:[0,0,1]
	v_mov_b32_e32 v39, v101
	s_delay_alu instid0(VALU_DEP_1)
	v_pk_add_f32 v[36:37], v[36:37], v[38:39]
.LBB156_875:                            ;   in Loop: Header=BB156_3 Depth=1
	s_or_b32 exec_lo, exec_lo, s10
	s_barrier_signal -1
	s_barrier_wait -1
	s_and_saveexec_b32 s10, s99
	s_cbranch_execz .LBB156_877
; %bb.876:                              ;   in Loop: Header=BB156_3 Depth=1
	ds_load_b64 v[38:39], v5 offset:28600
	s_wait_dscnt 0x0
	v_pk_mul_f32 v[40:41], v[36:37], v[38:39] op_sel:[1,1] op_sel_hi:[1,0]
	s_delay_alu instid0(VALU_DEP_1) | instskip(SKIP_1) | instid1(VALU_DEP_2)
	v_pk_fma_f32 v[98:99], v[36:37], v[38:39], v[40:41] op_sel_hi:[0,1,1]
	v_pk_fma_f32 v[38:39], v[36:37], v[38:39], v[40:41] neg_lo:[0,0,1] neg_hi:[0,0,1]
	v_mov_b32_e32 v39, v99
	s_delay_alu instid0(VALU_DEP_1)
	v_mov_b64_e32 v[36:37], v[38:39]
	ds_store_b64 v50, v[38:39]
.LBB156_877:                            ;   in Loop: Header=BB156_3 Depth=1
	s_or_b32 exec_lo, exec_lo, s10
	s_wait_dscnt 0x0
	s_barrier_signal -1
	s_barrier_wait -1
	s_barrier_signal -1
	s_barrier_wait -1
	s_and_saveexec_b32 s10, s3
; %bb.878:                              ;   in Loop: Header=BB156_3 Depth=1
	v_pk_add_f32 v[36:37], v[36:37], 0 neg_lo:[1,1] neg_hi:[1,1]
	ds_store_b64 v51, v[36:37] offset:24992
; %bb.879:                              ;   in Loop: Header=BB156_3 Depth=1
	s_or_b32 exec_lo, exec_lo, s10
	s_wait_dscnt 0x0
	s_barrier_signal -1
	s_barrier_wait -1
	s_barrier_signal -1
	s_barrier_wait -1
	s_and_saveexec_b32 s10, s100
	s_cbranch_execz .LBB156_881
; %bb.880:                              ;   in Loop: Header=BB156_3 Depth=1
	ds_load_b64 v[36:37], v55 offset:24992
	s_wait_dscnt 0x0
	ds_store_b64 v56, v[36:37] offset:27008
	ds_load_b64 v[36:37], v55 offset:25000
	s_wait_dscnt 0x0
	ds_store_b64 v56, v[36:37] offset:27520
	ds_load_b64 v[36:37], v55 offset:25008
	s_wait_dscnt 0x0
	ds_store_b64 v56, v[36:37] offset:28032
	ds_load_b64 v[36:37], v55 offset:25016
	s_wait_dscnt 0x0
	ds_store_b64 v56, v[36:37] offset:28544
.LBB156_881:                            ;   in Loop: Header=BB156_3 Depth=1
	s_or_b32 exec_lo, exec_lo, s10
	s_wait_dscnt 0x0
	s_barrier_signal -1
	s_barrier_wait -1
	s_and_saveexec_b32 s10, s14
	s_cbranch_execz .LBB156_883
; %bb.882:                              ;   in Loop: Header=BB156_3 Depth=1
	ds_load_b128 v[36:39], v5 offset:27040
	ds_load_b64 v[40:41], v5 offset:27560
	s_wait_dscnt 0x1
	v_dual_mov_b32 v98, v39 :: v_dual_mov_b32 v99, v38
	s_wait_dscnt 0x0
	v_dual_mul_f32 v97, v41, v37 :: v_dual_mul_f32 v42, v40, v37
	s_delay_alu instid0(VALU_DEP_1) | instskip(NEXT) | instid1(VALU_DEP_1)
	v_xor_b32_e32 v100, 0x80000000, v97
	v_dual_fmac_f32 v42, v41, v36 :: v_dual_fmac_f32 v100, v40, v36
	s_delay_alu instid0(VALU_DEP_1) | instskip(NEXT) | instid1(VALU_DEP_1)
	v_pk_mul_f32 v[36:37], v[42:43], v[98:99] op_sel_hi:[0,1]
	v_pk_fma_f32 v[40:41], v[100:101], v[38:39], v[36:37] op_sel_hi:[0,1,1]
	v_pk_fma_f32 v[36:37], v[100:101], v[38:39], v[36:37] neg_lo:[0,0,1] neg_hi:[0,0,1]
	v_add_nc_u32_e64 v38, 0x6800, 0
	s_delay_alu instid0(VALU_DEP_3)
	v_mov_b32_e32 v37, v41
	ds_store_2addr_b64 v38, v[36:37], v[36:37] offset0:53 offset1:116
.LBB156_883:                            ;   in Loop: Header=BB156_3 Depth=1
	s_or_b32 exec_lo, exec_lo, s10
	v_mov_b32_e32 v37, 0
	s_wait_dscnt 0x0
	s_barrier_signal -1
	s_barrier_wait -1
	s_delay_alu instid0(VALU_DEP_1)
	v_mov_b32_e32 v36, v37
	s_and_saveexec_b32 s10, s1
	s_cbranch_execz .LBB156_887
; %bb.884:                              ;   in Loop: Header=BB156_3 Depth=1
	ds_load_b64 v[36:37], v44 offset:27056
	ds_load_b64 v[38:39], v45 offset:27040
	s_wait_dscnt 0x0
	v_dual_mul_f32 v40, v39, v37 :: v_dual_mul_f32 v41, v38, v37
	s_delay_alu instid0(VALU_DEP_1) | instskip(NEXT) | instid1(VALU_DEP_1)
	v_dual_fma_f32 v40, v38, v36, -v40 :: v_dual_fmac_f32 v41, v39, v36
	v_pk_add_f32 v[36:37], v[40:41], 0 op_sel_hi:[1,0]
	s_and_saveexec_b32 s12, s15
	s_cbranch_execz .LBB156_886
; %bb.885:                              ;   in Loop: Header=BB156_3 Depth=1
	ds_load_b64 v[38:39], v56 offset:27568
	ds_load_b64 v[40:41], v5 offset:27048
	s_wait_dscnt 0x0
	v_pk_mul_f32 v[98:99], v[40:41], v[38:39] op_sel:[1,1] op_sel_hi:[0,1]
	s_delay_alu instid0(VALU_DEP_1) | instskip(SKIP_1) | instid1(VALU_DEP_2)
	v_pk_fma_f32 v[100:101], v[40:41], v[38:39], v[98:99] op_sel_hi:[1,0,1]
	v_pk_fma_f32 v[38:39], v[40:41], v[38:39], v[98:99] neg_lo:[0,0,1] neg_hi:[0,0,1]
	v_mov_b32_e32 v39, v101
	s_delay_alu instid0(VALU_DEP_1)
	v_pk_add_f32 v[36:37], v[36:37], v[38:39]
.LBB156_886:                            ;   in Loop: Header=BB156_3 Depth=1
	s_or_b32 exec_lo, exec_lo, s12
	s_delay_alu instid0(VALU_DEP_1)
	v_pk_add_f32 v[36:37], v[36:37], 0 neg_lo:[1,1] neg_hi:[1,1]
.LBB156_887:                            ;   in Loop: Header=BB156_3 Depth=1
	s_or_b32 exec_lo, exec_lo, s10
	s_and_saveexec_b32 s10, s91
	s_cbranch_execz .LBB156_889
; %bb.888:                              ;   in Loop: Header=BB156_3 Depth=1
	ds_load_b64 v[38:39], v5 offset:28080
	s_wait_dscnt 0x0
	v_pk_mul_f32 v[40:41], v[36:37], v[38:39] op_sel:[1,1] op_sel_hi:[1,0]
	s_delay_alu instid0(VALU_DEP_1) | instskip(SKIP_1) | instid1(VALU_DEP_2)
	v_pk_fma_f32 v[98:99], v[36:37], v[38:39], v[40:41] op_sel_hi:[0,1,1]
	v_pk_fma_f32 v[38:39], v[36:37], v[38:39], v[40:41] neg_lo:[0,0,1] neg_hi:[0,0,1]
	v_mov_b32_e32 v39, v99
	s_delay_alu instid0(VALU_DEP_1)
	v_mov_b64_e32 v[36:37], v[38:39]
	ds_store_b64 v3, v[38:39]
.LBB156_889:                            ;   in Loop: Header=BB156_3 Depth=1
	s_or_b32 exec_lo, exec_lo, s10
	s_wait_dscnt 0x0
	s_barrier_signal -1
	s_barrier_wait -1
	s_and_saveexec_b32 s10, s92
	s_cbranch_execz .LBB156_891
; %bb.890:                              ;   in Loop: Header=BB156_3 Depth=1
	ds_load_b64 v[38:39], v5 offset:28088
	ds_load_b64 v[40:41], v3
	s_wait_dscnt 0x0
	v_pk_mul_f32 v[98:99], v[40:41], v[38:39] op_sel:[1,1] op_sel_hi:[0,1]
	s_delay_alu instid0(VALU_DEP_1) | instskip(SKIP_1) | instid1(VALU_DEP_2)
	v_pk_fma_f32 v[100:101], v[40:41], v[38:39], v[98:99] op_sel_hi:[1,0,1]
	v_pk_fma_f32 v[38:39], v[40:41], v[38:39], v[98:99] neg_lo:[0,0,1] neg_hi:[0,0,1]
	v_mov_b32_e32 v39, v101
	s_delay_alu instid0(VALU_DEP_1)
	v_pk_add_f32 v[36:37], v[36:37], v[38:39]
.LBB156_891:                            ;   in Loop: Header=BB156_3 Depth=1
	s_or_b32 exec_lo, exec_lo, s10
	s_barrier_signal -1
	s_barrier_wait -1
	s_and_saveexec_b32 s10, s92
	s_cbranch_execz .LBB156_893
; %bb.892:                              ;   in Loop: Header=BB156_3 Depth=1
	ds_load_b64 v[38:39], v5 offset:28600
	s_wait_dscnt 0x0
	v_pk_mul_f32 v[40:41], v[36:37], v[38:39] op_sel:[1,1] op_sel_hi:[1,0]
	s_delay_alu instid0(VALU_DEP_1) | instskip(SKIP_1) | instid1(VALU_DEP_2)
	v_pk_fma_f32 v[98:99], v[36:37], v[38:39], v[40:41] op_sel_hi:[0,1,1]
	v_pk_fma_f32 v[38:39], v[36:37], v[38:39], v[40:41] neg_lo:[0,0,1] neg_hi:[0,0,1]
	v_mov_b32_e32 v39, v99
	s_delay_alu instid0(VALU_DEP_1)
	v_mov_b64_e32 v[36:37], v[38:39]
	ds_store_b64 v3, v[38:39]
.LBB156_893:                            ;   in Loop: Header=BB156_3 Depth=1
	s_or_b32 exec_lo, exec_lo, s10
	s_wait_dscnt 0x0
	s_barrier_signal -1
	s_barrier_wait -1
	s_barrier_signal -1
	s_barrier_wait -1
	s_and_saveexec_b32 s10, s1
; %bb.894:                              ;   in Loop: Header=BB156_3 Depth=1
	v_pk_add_f32 v[36:37], v[36:37], 0 neg_lo:[1,1] neg_hi:[1,1]
	ds_store_b64 v44, v[36:37] offset:27056
; %bb.895:                              ;   in Loop: Header=BB156_3 Depth=1
	s_or_b32 exec_lo, exec_lo, s10
	s_wait_dscnt 0x0
	s_barrier_signal -1
	s_barrier_wait -1
	s_barrier_signal -1
	s_barrier_wait -1
	s_and_saveexec_b32 s10, s93
	s_cbranch_execz .LBB156_897
; %bb.896:                              ;   in Loop: Header=BB156_3 Depth=1
	ds_load_b64 v[36:37], v58 offset:27056
	s_wait_dscnt 0x0
	ds_store_b64 v56, v[36:37] offset:28064
	ds_load_b64 v[36:37], v58 offset:27064
	s_wait_dscnt 0x0
	ds_store_b64 v56, v[36:37] offset:28576
.LBB156_897:                            ;   in Loop: Header=BB156_3 Depth=1
	s_or_b32 exec_lo, exec_lo, s10
	s_wait_dscnt 0x0
	s_barrier_signal -1
	s_barrier_wait -1
	s_and_saveexec_b32 s10, s14
	s_cbranch_execz .LBB156_899
; %bb.898:                              ;   in Loop: Header=BB156_3 Depth=1
	ds_load_b128 v[36:39], v5 offset:28080
	ds_load_b64 v[40:41], v5 offset:28600
	s_wait_dscnt 0x1
	v_dual_mov_b32 v98, v39 :: v_dual_mov_b32 v99, v38
	s_wait_dscnt 0x0
	v_dual_mul_f32 v97, v41, v37 :: v_dual_mul_f32 v42, v40, v37
	s_delay_alu instid0(VALU_DEP_1) | instskip(NEXT) | instid1(VALU_DEP_1)
	v_xor_b32_e32 v100, 0x80000000, v97
	v_dual_fmac_f32 v42, v41, v36 :: v_dual_fmac_f32 v100, v40, v36
	s_delay_alu instid0(VALU_DEP_1) | instskip(NEXT) | instid1(VALU_DEP_1)
	v_pk_mul_f32 v[36:37], v[42:43], v[98:99] op_sel_hi:[0,1]
	v_pk_fma_f32 v[40:41], v[100:101], v[38:39], v[36:37] op_sel_hi:[0,1,1]
	v_pk_fma_f32 v[36:37], v[100:101], v[38:39], v[36:37] neg_lo:[0,0,1] neg_hi:[0,0,1]
	v_add_nc_u32_e64 v38, 0x6800, 0
	s_delay_alu instid0(VALU_DEP_3)
	v_mov_b32_e32 v37, v41
	ds_store_2addr_b64 v38, v[36:37], v[36:37] offset0:183 offset1:246
.LBB156_899:                            ;   in Loop: Header=BB156_3 Depth=1
	s_or_b32 exec_lo, exec_lo, s10
	v_mov_b32_e32 v36, 0
	s_wait_dscnt 0x0
	s_barrier_signal -1
	s_barrier_wait -1
	s_delay_alu instid0(VALU_DEP_1)
	v_mov_b32_e32 v37, v36
	s_and_saveexec_b32 s10, s4
	s_cbranch_execz .LBB156_909
; %bb.900:                              ;   in Loop: Header=BB156_3 Depth=1
	ds_load_b64 v[36:37], v61 offset:25024
	ds_load_b64 v[38:39], v57 offset:24960
	s_wait_dscnt 0x0
	v_dual_mul_f32 v40, v39, v37 :: v_dual_mul_f32 v41, v38, v37
	s_delay_alu instid0(VALU_DEP_1) | instskip(NEXT) | instid1(VALU_DEP_1)
	v_dual_fma_f32 v37, v38, v36, -v40 :: v_dual_fmac_f32 v41, v39, v36
	v_add_f32_e32 v37, 0, v37
	s_delay_alu instid0(VALU_DEP_2)
	v_add_f32_e32 v36, 0, v41
	s_and_saveexec_b32 s12, s18
	s_cbranch_execnz .LBB156_1166
; %bb.901:                              ;   in Loop: Header=BB156_3 Depth=1
	s_or_b32 exec_lo, exec_lo, s12
	s_and_saveexec_b32 s12, s19
	s_cbranch_execnz .LBB156_1167
.LBB156_902:                            ;   in Loop: Header=BB156_3 Depth=1
	s_or_b32 exec_lo, exec_lo, s12
	s_and_saveexec_b32 s12, s20
	s_cbranch_execnz .LBB156_1168
.LBB156_903:                            ;   in Loop: Header=BB156_3 Depth=1
	s_or_b32 exec_lo, exec_lo, s12
	s_and_saveexec_b32 s12, s21
	s_cbranch_execnz .LBB156_1169
.LBB156_904:                            ;   in Loop: Header=BB156_3 Depth=1
	s_or_b32 exec_lo, exec_lo, s12
	s_and_saveexec_b32 s12, s22
	s_cbranch_execnz .LBB156_1170
.LBB156_905:                            ;   in Loop: Header=BB156_3 Depth=1
	s_or_b32 exec_lo, exec_lo, s12
	s_and_saveexec_b32 s12, s3
	s_cbranch_execnz .LBB156_1171
.LBB156_906:                            ;   in Loop: Header=BB156_3 Depth=1
	s_or_b32 exec_lo, exec_lo, s12
	s_and_saveexec_b32 s12, s17
	s_cbranch_execz .LBB156_908
.LBB156_907:                            ;   in Loop: Header=BB156_3 Depth=1
	ds_load_b64 v[38:39], v63 offset:28608
	ds_load_b64 v[40:41], v5 offset:25016
	s_wait_dscnt 0x0
	v_pk_mul_f32 v[98:99], v[40:41], v[38:39] op_sel:[0,1]
	s_delay_alu instid0(VALU_DEP_1) | instskip(SKIP_1) | instid1(VALU_DEP_2)
	v_pk_fma_f32 v[100:101], v[40:41], v[38:39], v[98:99] op_sel:[1,0,0] op_sel_hi:[0,0,1] neg_lo:[0,0,1] neg_hi:[0,0,1]
	v_pk_fma_f32 v[38:39], v[40:41], v[38:39], v[98:99] op_sel:[1,0,0] op_sel_hi:[0,1,1]
	v_mov_b32_e32 v39, v101
	s_delay_alu instid0(VALU_DEP_1)
	v_pk_add_f32 v[36:37], v[36:37], v[38:39]
.LBB156_908:                            ;   in Loop: Header=BB156_3 Depth=1
	s_or_b32 exec_lo, exec_lo, s12
	s_delay_alu instid0(VALU_DEP_1) | instskip(NEXT) | instid1(VALU_DEP_1)
	v_pk_add_f32 v[38:39], v[36:37], 0 neg_lo:[1,1] neg_hi:[1,1]
	v_dual_mov_b32 v36, v39 :: v_dual_mov_b32 v37, v38
.LBB156_909:                            ;   in Loop: Header=BB156_3 Depth=1
	s_or_b32 exec_lo, exec_lo, s10
	s_and_saveexec_b32 s10, s101
	s_cbranch_execz .LBB156_911
; %bb.910:                              ;   in Loop: Header=BB156_3 Depth=1
	ds_load_b64 v[38:39], v5 offset:29120
	v_dual_mov_b32 v40, v37 :: v_dual_mov_b32 v41, v36
	s_wait_dscnt 0x0
	s_delay_alu instid0(VALU_DEP_1) | instskip(NEXT) | instid1(VALU_DEP_1)
	v_dual_mul_f32 v42, v40, v38 :: v_dual_mul_f32 v98, v37, v39
	v_pk_fma_f32 v[40:41], v[40:41], v[38:39], v[42:43] op_sel_hi:[1,1,0]
	s_delay_alu instid0(VALU_DEP_2) | instskip(NEXT) | instid1(VALU_DEP_2)
	v_pk_fma_f32 v[36:37], v[36:37], v[38:39], v[98:99] op_sel_hi:[1,1,0] neg_lo:[0,0,1] neg_hi:[0,0,1]
	v_mov_b32_e32 v37, v41
	ds_store_b64 v60, v[36:37]
.LBB156_911:                            ;   in Loop: Header=BB156_3 Depth=1
	s_or_b32 exec_lo, exec_lo, s10
	s_wait_dscnt 0x0
	s_barrier_signal -1
	s_barrier_wait -1
	s_and_saveexec_b32 s10, s102
	s_cbranch_execz .LBB156_913
; %bb.912:                              ;   in Loop: Header=BB156_3 Depth=1
	ds_load_b64 v[38:39], v59 offset:29120
	ds_load_b64 v[40:41], v60
	s_wait_dscnt 0x0
	v_dual_mul_f32 v42, v41, v39 :: v_dual_mul_f32 v99, v40, v39
	s_delay_alu instid0(VALU_DEP_1) | instskip(NEXT) | instid1(VALU_DEP_1)
	v_dual_fma_f32 v98, v40, v38, -v42 :: v_dual_fmac_f32 v99, v41, v38
	v_pk_add_f32 v[36:37], v[36:37], v[98:99]
.LBB156_913:                            ;   in Loop: Header=BB156_3 Depth=1
	s_or_b32 exec_lo, exec_lo, s10
	s_barrier_signal -1
	s_barrier_wait -1
	s_and_saveexec_b32 s10, s103
	s_cbranch_execz .LBB156_915
; %bb.914:                              ;   in Loop: Header=BB156_3 Depth=1
	ds_load_b64 v[38:39], v5 offset:29640
	s_wait_dscnt 0x0
	v_pk_mul_f32 v[40:41], v[36:37], v[38:39] op_sel:[1,1] op_sel_hi:[1,0]
	s_delay_alu instid0(VALU_DEP_1) | instskip(SKIP_1) | instid1(VALU_DEP_2)
	v_pk_fma_f32 v[98:99], v[36:37], v[38:39], v[40:41] op_sel_hi:[0,1,1]
	v_pk_fma_f32 v[36:37], v[36:37], v[38:39], v[40:41] op_sel_hi:[0,1,1] neg_lo:[0,0,1] neg_hi:[0,0,1]
	v_mov_b32_e32 v37, v99
	ds_store_b64 v60, v[36:37]
.LBB156_915:                            ;   in Loop: Header=BB156_3 Depth=1
	s_or_b32 exec_lo, exec_lo, s10
	s_wait_dscnt 0x0
	s_barrier_signal -1
	s_barrier_wait -1
	s_and_saveexec_b32 s10, s104
	s_cbranch_execz .LBB156_917
; %bb.916:                              ;   in Loop: Header=BB156_3 Depth=1
	ds_load_b64 v[38:39], v59 offset:29632
	ds_load_b64 v[40:41], v60
	s_wait_dscnt 0x0
	v_pk_mul_f32 v[98:99], v[40:41], v[38:39] op_sel:[1,1] op_sel_hi:[0,1]
	s_delay_alu instid0(VALU_DEP_1) | instskip(SKIP_1) | instid1(VALU_DEP_2)
	v_pk_fma_f32 v[100:101], v[40:41], v[38:39], v[98:99] op_sel_hi:[1,0,1]
	v_pk_fma_f32 v[38:39], v[40:41], v[38:39], v[98:99] op_sel_hi:[1,0,1] neg_lo:[0,0,1] neg_hi:[0,0,1]
	v_mov_b32_e32 v39, v101
	s_delay_alu instid0(VALU_DEP_1)
	v_pk_add_f32 v[36:37], v[36:37], v[38:39]
.LBB156_917:                            ;   in Loop: Header=BB156_3 Depth=1
	s_or_b32 exec_lo, exec_lo, s10
	s_barrier_signal -1
	s_barrier_wait -1
	s_and_saveexec_b32 s10, vcc_hi
	s_cbranch_execz .LBB156_919
; %bb.918:                              ;   in Loop: Header=BB156_3 Depth=1
	ds_load_b64 v[38:39], v5 offset:30160
	s_wait_dscnt 0x0
	v_pk_mul_f32 v[40:41], v[36:37], v[38:39] op_sel:[1,1] op_sel_hi:[1,0]
	s_delay_alu instid0(VALU_DEP_1) | instskip(SKIP_1) | instid1(VALU_DEP_2)
	v_pk_fma_f32 v[98:99], v[36:37], v[38:39], v[40:41] op_sel_hi:[0,1,1]
	v_pk_fma_f32 v[36:37], v[36:37], v[38:39], v[40:41] op_sel_hi:[0,1,1] neg_lo:[0,0,1] neg_hi:[0,0,1]
	v_mov_b32_e32 v37, v99
	ds_store_b64 v60, v[36:37]
.LBB156_919:                            ;   in Loop: Header=BB156_3 Depth=1
	s_or_b32 exec_lo, exec_lo, s10
	s_wait_dscnt 0x0
	s_barrier_signal -1
	s_barrier_wait -1
	s_and_saveexec_b32 s10, s38
	s_cbranch_execz .LBB156_921
; %bb.920:                              ;   in Loop: Header=BB156_3 Depth=1
	ds_load_b64 v[38:39], v59 offset:30144
	ds_load_b64 v[40:41], v60
	s_wait_dscnt 0x0
	v_pk_mul_f32 v[98:99], v[40:41], v[38:39] op_sel:[1,1] op_sel_hi:[0,1]
	s_delay_alu instid0(VALU_DEP_1) | instskip(SKIP_1) | instid1(VALU_DEP_2)
	v_pk_fma_f32 v[100:101], v[40:41], v[38:39], v[98:99] op_sel_hi:[1,0,1]
	v_pk_fma_f32 v[38:39], v[40:41], v[38:39], v[98:99] op_sel_hi:[1,0,1] neg_lo:[0,0,1] neg_hi:[0,0,1]
	v_mov_b32_e32 v39, v101
	s_delay_alu instid0(VALU_DEP_1)
	v_pk_add_f32 v[36:37], v[36:37], v[38:39]
.LBB156_921:                            ;   in Loop: Header=BB156_3 Depth=1
	s_or_b32 exec_lo, exec_lo, s10
	s_barrier_signal -1
	s_barrier_wait -1
	s_and_saveexec_b32 s10, s39
	s_cbranch_execz .LBB156_923
; %bb.922:                              ;   in Loop: Header=BB156_3 Depth=1
	ds_load_b64 v[38:39], v5 offset:30680
	s_wait_dscnt 0x0
	v_pk_mul_f32 v[40:41], v[36:37], v[38:39] op_sel:[1,1] op_sel_hi:[1,0]
	s_delay_alu instid0(VALU_DEP_1) | instskip(SKIP_1) | instid1(VALU_DEP_2)
	v_pk_fma_f32 v[98:99], v[36:37], v[38:39], v[40:41] op_sel_hi:[0,1,1]
	v_pk_fma_f32 v[36:37], v[36:37], v[38:39], v[40:41] op_sel_hi:[0,1,1] neg_lo:[0,0,1] neg_hi:[0,0,1]
	v_mov_b32_e32 v37, v99
	ds_store_b64 v60, v[36:37]
.LBB156_923:                            ;   in Loop: Header=BB156_3 Depth=1
	s_or_b32 exec_lo, exec_lo, s10
	s_wait_dscnt 0x0
	s_barrier_signal -1
	s_barrier_wait -1
	s_and_saveexec_b32 s10, s40
	s_cbranch_execz .LBB156_925
; %bb.924:                              ;   in Loop: Header=BB156_3 Depth=1
	ds_load_b64 v[38:39], v59 offset:30656
	ds_load_b64 v[40:41], v60
	s_wait_dscnt 0x0
	v_pk_mul_f32 v[98:99], v[40:41], v[38:39] op_sel:[1,1] op_sel_hi:[0,1]
	s_delay_alu instid0(VALU_DEP_1) | instskip(SKIP_1) | instid1(VALU_DEP_2)
	v_pk_fma_f32 v[100:101], v[40:41], v[38:39], v[98:99] op_sel_hi:[1,0,1]
	v_pk_fma_f32 v[38:39], v[40:41], v[38:39], v[98:99] op_sel_hi:[1,0,1] neg_lo:[0,0,1] neg_hi:[0,0,1]
	v_mov_b32_e32 v39, v101
	s_delay_alu instid0(VALU_DEP_1)
	v_pk_add_f32 v[36:37], v[36:37], v[38:39]
.LBB156_925:                            ;   in Loop: Header=BB156_3 Depth=1
	s_or_b32 exec_lo, exec_lo, s10
	s_barrier_signal -1
	s_barrier_wait -1
	s_and_saveexec_b32 s10, s41
	s_cbranch_execz .LBB156_927
; %bb.926:                              ;   in Loop: Header=BB156_3 Depth=1
	ds_load_b64 v[38:39], v5 offset:31200
	s_wait_dscnt 0x0
	v_dual_mul_f32 v40, v36, v39 :: v_dual_mul_f32 v42, v37, v39
	s_delay_alu instid0(VALU_DEP_1) | instskip(NEXT) | instid1(VALU_DEP_2)
	v_pk_fma_f32 v[40:41], v[36:37], v[38:39], v[40:41] op_sel:[0,1,0] op_sel_hi:[1,0,0]
	v_pk_fma_f32 v[38:39], v[36:37], v[38:39], v[42:43] op_sel_hi:[1,1,0] neg_lo:[0,0,1] neg_hi:[0,0,1]
	s_delay_alu instid0(VALU_DEP_2) | instskip(NEXT) | instid1(VALU_DEP_1)
	v_mov_b32_e32 v39, v41
	v_mov_b64_e32 v[36:37], v[38:39]
	ds_store_b64 v60, v[38:39]
.LBB156_927:                            ;   in Loop: Header=BB156_3 Depth=1
	s_or_b32 exec_lo, exec_lo, s10
	s_wait_dscnt 0x0
	s_barrier_signal -1
	s_barrier_wait -1
	s_and_saveexec_b32 s10, s42
	s_cbranch_execz .LBB156_929
; %bb.928:                              ;   in Loop: Header=BB156_3 Depth=1
	ds_load_b64 v[38:39], v59 offset:31168
	ds_load_b64 v[40:41], v60
	s_wait_dscnt 0x0
	v_dual_mul_f32 v42, v41, v39 :: v_dual_mul_f32 v99, v40, v39
	s_delay_alu instid0(VALU_DEP_1) | instskip(NEXT) | instid1(VALU_DEP_1)
	v_dual_fma_f32 v98, v40, v38, -v42 :: v_dual_fmac_f32 v99, v41, v38
	v_pk_add_f32 v[36:37], v[36:37], v[98:99]
.LBB156_929:                            ;   in Loop: Header=BB156_3 Depth=1
	s_or_b32 exec_lo, exec_lo, s10
	s_barrier_signal -1
	s_barrier_wait -1
	s_and_saveexec_b32 s10, s43
	s_cbranch_execz .LBB156_931
; %bb.930:                              ;   in Loop: Header=BB156_3 Depth=1
	ds_load_b64 v[38:39], v5 offset:31720
	s_wait_dscnt 0x0
	v_pk_mul_f32 v[40:41], v[36:37], v[38:39] op_sel:[1,1] op_sel_hi:[1,0]
	s_delay_alu instid0(VALU_DEP_1) | instskip(SKIP_1) | instid1(VALU_DEP_2)
	v_pk_fma_f32 v[98:99], v[36:37], v[38:39], v[40:41] op_sel_hi:[0,1,1]
	v_pk_fma_f32 v[38:39], v[36:37], v[38:39], v[40:41] neg_lo:[0,0,1] neg_hi:[0,0,1]
	v_mov_b32_e32 v39, v99
	s_delay_alu instid0(VALU_DEP_1)
	v_mov_b64_e32 v[36:37], v[38:39]
	ds_store_b64 v60, v[38:39]
.LBB156_931:                            ;   in Loop: Header=BB156_3 Depth=1
	s_or_b32 exec_lo, exec_lo, s10
	s_wait_dscnt 0x0
	s_barrier_signal -1
	s_barrier_wait -1
	s_and_saveexec_b32 s10, s44
	s_cbranch_execz .LBB156_933
; %bb.932:                              ;   in Loop: Header=BB156_3 Depth=1
	ds_load_b64 v[38:39], v59 offset:31680
	ds_load_b64 v[40:41], v60
	s_wait_dscnt 0x0
	v_pk_mul_f32 v[98:99], v[40:41], v[38:39] op_sel:[1,1] op_sel_hi:[0,1]
	s_delay_alu instid0(VALU_DEP_1) | instskip(SKIP_1) | instid1(VALU_DEP_2)
	v_pk_fma_f32 v[100:101], v[40:41], v[38:39], v[98:99] op_sel_hi:[1,0,1]
	v_pk_fma_f32 v[38:39], v[40:41], v[38:39], v[98:99] neg_lo:[0,0,1] neg_hi:[0,0,1]
	v_mov_b32_e32 v39, v101
	s_delay_alu instid0(VALU_DEP_1)
	v_pk_add_f32 v[36:37], v[36:37], v[38:39]
.LBB156_933:                            ;   in Loop: Header=BB156_3 Depth=1
	s_or_b32 exec_lo, exec_lo, s10
	s_barrier_signal -1
	s_barrier_wait -1
	s_and_saveexec_b32 s10, s45
	s_cbranch_execz .LBB156_935
; %bb.934:                              ;   in Loop: Header=BB156_3 Depth=1
	ds_load_b64 v[38:39], v5 offset:32240
	s_wait_dscnt 0x0
	v_pk_mul_f32 v[40:41], v[36:37], v[38:39] op_sel:[1,1] op_sel_hi:[1,0]
	s_delay_alu instid0(VALU_DEP_1) | instskip(SKIP_1) | instid1(VALU_DEP_2)
	v_pk_fma_f32 v[98:99], v[36:37], v[38:39], v[40:41] op_sel_hi:[0,1,1]
	v_pk_fma_f32 v[38:39], v[36:37], v[38:39], v[40:41] neg_lo:[0,0,1] neg_hi:[0,0,1]
	v_mov_b32_e32 v39, v99
	s_delay_alu instid0(VALU_DEP_1)
	v_mov_b64_e32 v[36:37], v[38:39]
	ds_store_b64 v60, v[38:39]
.LBB156_935:                            ;   in Loop: Header=BB156_3 Depth=1
	s_or_b32 exec_lo, exec_lo, s10
	s_wait_dscnt 0x0
	s_barrier_signal -1
	s_barrier_wait -1
	s_and_saveexec_b32 s10, s46
	s_cbranch_execz .LBB156_937
; %bb.936:                              ;   in Loop: Header=BB156_3 Depth=1
	ds_load_b64 v[38:39], v5 offset:32248
	ds_load_b64 v[40:41], v60
	s_wait_dscnt 0x0
	v_pk_mul_f32 v[98:99], v[40:41], v[38:39] op_sel:[1,1] op_sel_hi:[0,1]
	s_delay_alu instid0(VALU_DEP_1) | instskip(SKIP_1) | instid1(VALU_DEP_2)
	v_pk_fma_f32 v[100:101], v[40:41], v[38:39], v[98:99] op_sel_hi:[1,0,1]
	v_pk_fma_f32 v[38:39], v[40:41], v[38:39], v[98:99] neg_lo:[0,0,1] neg_hi:[0,0,1]
	v_mov_b32_e32 v39, v101
	s_delay_alu instid0(VALU_DEP_1)
	v_pk_add_f32 v[36:37], v[36:37], v[38:39]
.LBB156_937:                            ;   in Loop: Header=BB156_3 Depth=1
	s_or_b32 exec_lo, exec_lo, s10
	s_barrier_signal -1
	s_barrier_wait -1
	s_and_saveexec_b32 s10, s46
	s_cbranch_execz .LBB156_939
; %bb.938:                              ;   in Loop: Header=BB156_3 Depth=1
	ds_load_b64 v[38:39], v5 offset:32760
	s_wait_dscnt 0x0
	v_pk_mul_f32 v[40:41], v[36:37], v[38:39] op_sel:[1,1] op_sel_hi:[1,0]
	s_delay_alu instid0(VALU_DEP_1) | instskip(SKIP_1) | instid1(VALU_DEP_2)
	v_pk_fma_f32 v[98:99], v[36:37], v[38:39], v[40:41] op_sel_hi:[0,1,1]
	v_pk_fma_f32 v[38:39], v[36:37], v[38:39], v[40:41] neg_lo:[0,0,1] neg_hi:[0,0,1]
	v_mov_b32_e32 v39, v99
	s_delay_alu instid0(VALU_DEP_1)
	v_mov_b64_e32 v[36:37], v[38:39]
	ds_store_b64 v60, v[38:39]
.LBB156_939:                            ;   in Loop: Header=BB156_3 Depth=1
	s_or_b32 exec_lo, exec_lo, s10
	s_wait_dscnt 0x0
	s_barrier_signal -1
	s_barrier_wait -1
	s_barrier_signal -1
	s_barrier_wait -1
	s_and_saveexec_b32 s10, s4
; %bb.940:                              ;   in Loop: Header=BB156_3 Depth=1
	v_pk_add_f32 v[36:37], v[36:37], 0 neg_lo:[1,1] neg_hi:[1,1]
	ds_store_b64 v61, v[36:37] offset:25024
; %bb.941:                              ;   in Loop: Header=BB156_3 Depth=1
	s_or_b32 exec_lo, exec_lo, s10
	s_wait_dscnt 0x0
	s_barrier_signal -1
	s_barrier_wait -1
	s_barrier_signal -1
	s_barrier_wait -1
	s_and_saveexec_b32 s10, s47
	s_cbranch_execz .LBB156_943
; %bb.942:                              ;   in Loop: Header=BB156_3 Depth=1
	ds_load_b64 v[36:37], v72 offset:25024
	s_wait_dscnt 0x0
	ds_store_b64 v73, v[36:37] offset:29056
	ds_load_b64 v[36:37], v72 offset:25032
	s_wait_dscnt 0x0
	ds_store_b64 v73, v[36:37] offset:29568
	;; [unrolled: 3-line block ×8, first 2 shown]
.LBB156_943:                            ;   in Loop: Header=BB156_3 Depth=1
	s_or_b32 exec_lo, exec_lo, s10
	s_wait_dscnt 0x0
	s_barrier_signal -1
	s_barrier_wait -1
	s_and_saveexec_b32 s10, s14
	s_cbranch_execz .LBB156_945
; %bb.944:                              ;   in Loop: Header=BB156_3 Depth=1
	ds_load_b128 v[36:39], v5 offset:29120
	ds_load_b64 v[40:41], v5 offset:29640
	s_wait_dscnt 0x1
	v_dual_mov_b32 v98, v39 :: v_dual_mov_b32 v99, v38
	s_wait_dscnt 0x0
	v_dual_mul_f32 v97, v41, v37 :: v_dual_mul_f32 v42, v40, v37
	s_delay_alu instid0(VALU_DEP_1) | instskip(NEXT) | instid1(VALU_DEP_1)
	v_xor_b32_e32 v100, 0x80000000, v97
	v_dual_fmac_f32 v42, v41, v36 :: v_dual_fmac_f32 v100, v40, v36
	s_delay_alu instid0(VALU_DEP_1) | instskip(NEXT) | instid1(VALU_DEP_1)
	v_pk_mul_f32 v[36:37], v[42:43], v[98:99] op_sel_hi:[0,1]
	v_pk_fma_f32 v[40:41], v[100:101], v[38:39], v[36:37] op_sel_hi:[0,1,1]
	v_pk_fma_f32 v[36:37], v[100:101], v[38:39], v[36:37] neg_lo:[0,0,1] neg_hi:[0,0,1]
	v_add_nc_u32_e64 v38, 0x7000, 0
	s_delay_alu instid0(VALU_DEP_3)
	v_mov_b32_e32 v37, v41
	ds_store_2addr_b64 v38, v[36:37], v[36:37] offset0:57 offset1:120
.LBB156_945:                            ;   in Loop: Header=BB156_3 Depth=1
	s_or_b32 exec_lo, exec_lo, s10
	v_mov_b32_e32 v37, 0
	s_wait_dscnt 0x0
	s_barrier_signal -1
	s_barrier_wait -1
	s_delay_alu instid0(VALU_DEP_1)
	v_mov_b32_e32 v36, v37
	s_and_saveexec_b32 s10, s1
	s_cbranch_execz .LBB156_949
; %bb.946:                              ;   in Loop: Header=BB156_3 Depth=1
	ds_load_b64 v[36:37], v44 offset:29136
	ds_load_b64 v[38:39], v45 offset:29120
	s_wait_dscnt 0x0
	v_dual_mul_f32 v40, v39, v37 :: v_dual_mul_f32 v41, v38, v37
	s_delay_alu instid0(VALU_DEP_1) | instskip(NEXT) | instid1(VALU_DEP_1)
	v_dual_fma_f32 v40, v38, v36, -v40 :: v_dual_fmac_f32 v41, v39, v36
	v_pk_add_f32 v[36:37], v[40:41], 0 op_sel_hi:[1,0]
	s_and_saveexec_b32 s12, s15
	s_cbranch_execz .LBB156_948
; %bb.947:                              ;   in Loop: Header=BB156_3 Depth=1
	ds_load_b64 v[38:39], v73 offset:29648
	ds_load_b64 v[40:41], v5 offset:29128
	s_wait_dscnt 0x0
	v_pk_mul_f32 v[98:99], v[40:41], v[38:39] op_sel:[1,1] op_sel_hi:[0,1]
	s_delay_alu instid0(VALU_DEP_1) | instskip(SKIP_1) | instid1(VALU_DEP_2)
	v_pk_fma_f32 v[100:101], v[40:41], v[38:39], v[98:99] op_sel_hi:[1,0,1]
	v_pk_fma_f32 v[38:39], v[40:41], v[38:39], v[98:99] neg_lo:[0,0,1] neg_hi:[0,0,1]
	v_mov_b32_e32 v39, v101
	s_delay_alu instid0(VALU_DEP_1)
	v_pk_add_f32 v[36:37], v[36:37], v[38:39]
.LBB156_948:                            ;   in Loop: Header=BB156_3 Depth=1
	s_or_b32 exec_lo, exec_lo, s12
	s_delay_alu instid0(VALU_DEP_1)
	v_pk_add_f32 v[36:37], v[36:37], 0 neg_lo:[1,1] neg_hi:[1,1]
.LBB156_949:                            ;   in Loop: Header=BB156_3 Depth=1
	s_or_b32 exec_lo, exec_lo, s10
	s_and_saveexec_b32 s10, s91
	s_cbranch_execz .LBB156_951
; %bb.950:                              ;   in Loop: Header=BB156_3 Depth=1
	ds_load_b64 v[38:39], v5 offset:30160
	s_wait_dscnt 0x0
	v_pk_mul_f32 v[40:41], v[36:37], v[38:39] op_sel:[1,1] op_sel_hi:[1,0]
	s_delay_alu instid0(VALU_DEP_1) | instskip(SKIP_1) | instid1(VALU_DEP_2)
	v_pk_fma_f32 v[98:99], v[36:37], v[38:39], v[40:41] op_sel_hi:[0,1,1]
	v_pk_fma_f32 v[38:39], v[36:37], v[38:39], v[40:41] neg_lo:[0,0,1] neg_hi:[0,0,1]
	v_mov_b32_e32 v39, v99
	s_delay_alu instid0(VALU_DEP_1)
	v_mov_b64_e32 v[36:37], v[38:39]
	ds_store_b64 v3, v[38:39]
.LBB156_951:                            ;   in Loop: Header=BB156_3 Depth=1
	s_or_b32 exec_lo, exec_lo, s10
	s_wait_dscnt 0x0
	s_barrier_signal -1
	s_barrier_wait -1
	s_and_saveexec_b32 s10, s92
	s_cbranch_execz .LBB156_953
; %bb.952:                              ;   in Loop: Header=BB156_3 Depth=1
	ds_load_b64 v[38:39], v5 offset:30168
	ds_load_b64 v[40:41], v3
	s_wait_dscnt 0x0
	v_pk_mul_f32 v[98:99], v[40:41], v[38:39] op_sel:[1,1] op_sel_hi:[0,1]
	s_delay_alu instid0(VALU_DEP_1) | instskip(SKIP_1) | instid1(VALU_DEP_2)
	v_pk_fma_f32 v[100:101], v[40:41], v[38:39], v[98:99] op_sel_hi:[1,0,1]
	v_pk_fma_f32 v[38:39], v[40:41], v[38:39], v[98:99] neg_lo:[0,0,1] neg_hi:[0,0,1]
	v_mov_b32_e32 v39, v101
	s_delay_alu instid0(VALU_DEP_1)
	v_pk_add_f32 v[36:37], v[36:37], v[38:39]
.LBB156_953:                            ;   in Loop: Header=BB156_3 Depth=1
	s_or_b32 exec_lo, exec_lo, s10
	s_barrier_signal -1
	s_barrier_wait -1
	s_and_saveexec_b32 s10, s92
	s_cbranch_execz .LBB156_955
; %bb.954:                              ;   in Loop: Header=BB156_3 Depth=1
	ds_load_b64 v[38:39], v5 offset:30680
	s_wait_dscnt 0x0
	v_pk_mul_f32 v[40:41], v[36:37], v[38:39] op_sel:[1,1] op_sel_hi:[1,0]
	s_delay_alu instid0(VALU_DEP_1) | instskip(SKIP_1) | instid1(VALU_DEP_2)
	v_pk_fma_f32 v[98:99], v[36:37], v[38:39], v[40:41] op_sel_hi:[0,1,1]
	v_pk_fma_f32 v[38:39], v[36:37], v[38:39], v[40:41] neg_lo:[0,0,1] neg_hi:[0,0,1]
	v_mov_b32_e32 v39, v99
	s_delay_alu instid0(VALU_DEP_1)
	v_mov_b64_e32 v[36:37], v[38:39]
	ds_store_b64 v3, v[38:39]
.LBB156_955:                            ;   in Loop: Header=BB156_3 Depth=1
	s_or_b32 exec_lo, exec_lo, s10
	s_wait_dscnt 0x0
	s_barrier_signal -1
	s_barrier_wait -1
	s_barrier_signal -1
	s_barrier_wait -1
	s_and_saveexec_b32 s10, s1
; %bb.956:                              ;   in Loop: Header=BB156_3 Depth=1
	v_pk_add_f32 v[36:37], v[36:37], 0 neg_lo:[1,1] neg_hi:[1,1]
	ds_store_b64 v44, v[36:37] offset:29136
; %bb.957:                              ;   in Loop: Header=BB156_3 Depth=1
	s_or_b32 exec_lo, exec_lo, s10
	s_wait_dscnt 0x0
	s_barrier_signal -1
	s_barrier_wait -1
	s_barrier_signal -1
	s_barrier_wait -1
	s_and_saveexec_b32 s10, s93
	s_cbranch_execz .LBB156_959
; %bb.958:                              ;   in Loop: Header=BB156_3 Depth=1
	ds_load_b64 v[36:37], v74 offset:29136
	s_wait_dscnt 0x0
	ds_store_b64 v73, v[36:37] offset:30144
	ds_load_b64 v[36:37], v74 offset:29144
	s_wait_dscnt 0x0
	ds_store_b64 v73, v[36:37] offset:30656
.LBB156_959:                            ;   in Loop: Header=BB156_3 Depth=1
	s_or_b32 exec_lo, exec_lo, s10
	s_wait_dscnt 0x0
	s_barrier_signal -1
	s_barrier_wait -1
	s_and_saveexec_b32 s10, s14
	s_cbranch_execz .LBB156_961
; %bb.960:                              ;   in Loop: Header=BB156_3 Depth=1
	ds_load_b128 v[36:39], v5 offset:30160
	ds_load_b64 v[40:41], v5 offset:30680
	s_wait_dscnt 0x1
	v_dual_mov_b32 v98, v39 :: v_dual_mov_b32 v99, v38
	s_wait_dscnt 0x0
	v_dual_mul_f32 v97, v41, v37 :: v_dual_mul_f32 v42, v40, v37
	s_delay_alu instid0(VALU_DEP_1) | instskip(NEXT) | instid1(VALU_DEP_1)
	v_xor_b32_e32 v100, 0x80000000, v97
	v_dual_fmac_f32 v42, v41, v36 :: v_dual_fmac_f32 v100, v40, v36
	s_delay_alu instid0(VALU_DEP_1) | instskip(NEXT) | instid1(VALU_DEP_1)
	v_pk_mul_f32 v[36:37], v[42:43], v[98:99] op_sel_hi:[0,1]
	v_pk_fma_f32 v[40:41], v[100:101], v[38:39], v[36:37] op_sel_hi:[0,1,1]
	v_pk_fma_f32 v[36:37], v[100:101], v[38:39], v[36:37] neg_lo:[0,0,1] neg_hi:[0,0,1]
	v_add_nc_u32_e64 v38, 0x7000, 0
	s_delay_alu instid0(VALU_DEP_3)
	v_mov_b32_e32 v37, v41
	ds_store_2addr_b64 v38, v[36:37], v[36:37] offset0:187 offset1:250
.LBB156_961:                            ;   in Loop: Header=BB156_3 Depth=1
	s_or_b32 exec_lo, exec_lo, s10
	v_mov_b32_e32 v36, 0
	s_wait_dscnt 0x0
	s_barrier_signal -1
	s_barrier_wait -1
	s_delay_alu instid0(VALU_DEP_1)
	v_mov_b32_e32 v37, v36
	s_and_saveexec_b32 s10, s3
	s_cbranch_execz .LBB156_967
; %bb.962:                              ;   in Loop: Header=BB156_3 Depth=1
	ds_load_b64 v[36:37], v51 offset:29152
	ds_load_b64 v[38:39], v47 offset:29120
	s_wait_dscnt 0x0
	v_pk_mul_f32 v[40:41], v[38:39], v[36:37] op_sel:[0,1]
	s_delay_alu instid0(VALU_DEP_1) | instskip(SKIP_1) | instid1(VALU_DEP_2)
	v_pk_fma_f32 v[98:99], v[38:39], v[36:37], v[40:41] op_sel:[1,0,0] op_sel_hi:[0,0,1] neg_lo:[0,0,1] neg_hi:[0,0,1]
	v_pk_fma_f32 v[36:37], v[38:39], v[36:37], v[40:41] op_sel:[1,0,0] op_sel_hi:[0,1,1]
	v_mov_b32_e32 v37, v99
	s_delay_alu instid0(VALU_DEP_1)
	v_pk_add_f32 v[36:37], v[36:37], 0 op_sel_hi:[1,0]
	s_and_saveexec_b32 s12, s16
	s_cbranch_execnz .LBB156_1172
; %bb.963:                              ;   in Loop: Header=BB156_3 Depth=1
	s_or_b32 exec_lo, exec_lo, s12
	s_and_saveexec_b32 s12, s17
	s_cbranch_execnz .LBB156_1173
.LBB156_964:                            ;   in Loop: Header=BB156_3 Depth=1
	s_or_b32 exec_lo, exec_lo, s12
	s_and_saveexec_b32 s12, s1
	s_cbranch_execz .LBB156_966
.LBB156_965:                            ;   in Loop: Header=BB156_3 Depth=1
	ds_load_b64 v[38:39], v75 offset:30688
	ds_load_b64 v[40:41], v5 offset:29144
	s_wait_dscnt 0x0
	v_pk_mul_f32 v[98:99], v[40:41], v[38:39] op_sel:[0,1]
	s_delay_alu instid0(VALU_DEP_1) | instskip(SKIP_1) | instid1(VALU_DEP_2)
	v_pk_fma_f32 v[100:101], v[40:41], v[38:39], v[98:99] op_sel:[1,0,0] op_sel_hi:[0,0,1] neg_lo:[0,0,1] neg_hi:[0,0,1]
	v_pk_fma_f32 v[38:39], v[40:41], v[38:39], v[98:99] op_sel:[1,0,0] op_sel_hi:[0,1,1]
	v_mov_b32_e32 v39, v101
	s_delay_alu instid0(VALU_DEP_1)
	v_pk_add_f32 v[36:37], v[36:37], v[38:39]
.LBB156_966:                            ;   in Loop: Header=BB156_3 Depth=1
	s_or_b32 exec_lo, exec_lo, s12
	s_delay_alu instid0(VALU_DEP_1) | instskip(NEXT) | instid1(VALU_DEP_1)
	v_pk_add_f32 v[38:39], v[36:37], 0 neg_lo:[1,1] neg_hi:[1,1]
	v_dual_mov_b32 v36, v39 :: v_dual_mov_b32 v37, v38
.LBB156_967:                            ;   in Loop: Header=BB156_3 Depth=1
	s_or_b32 exec_lo, exec_lo, s10
	s_and_saveexec_b32 s10, s94
	s_cbranch_execz .LBB156_969
; %bb.968:                              ;   in Loop: Header=BB156_3 Depth=1
	ds_load_b64 v[38:39], v5 offset:31200
	v_dual_mov_b32 v40, v37 :: v_dual_mov_b32 v41, v36
	s_wait_dscnt 0x0
	s_delay_alu instid0(VALU_DEP_1) | instskip(NEXT) | instid1(VALU_DEP_1)
	v_dual_mul_f32 v42, v40, v38 :: v_dual_mul_f32 v98, v37, v39
	v_pk_fma_f32 v[40:41], v[40:41], v[38:39], v[42:43] op_sel_hi:[1,1,0]
	s_delay_alu instid0(VALU_DEP_2) | instskip(NEXT) | instid1(VALU_DEP_2)
	v_pk_fma_f32 v[36:37], v[36:37], v[38:39], v[98:99] op_sel_hi:[1,1,0] neg_lo:[0,0,1] neg_hi:[0,0,1]
	v_mov_b32_e32 v37, v41
	ds_store_b64 v50, v[36:37]
.LBB156_969:                            ;   in Loop: Header=BB156_3 Depth=1
	s_or_b32 exec_lo, exec_lo, s10
	s_wait_dscnt 0x0
	s_barrier_signal -1
	s_barrier_wait -1
	s_and_saveexec_b32 s10, s95
	s_cbranch_execz .LBB156_971
; %bb.970:                              ;   in Loop: Header=BB156_3 Depth=1
	ds_load_b64 v[38:39], v48 offset:31200
	ds_load_b64 v[40:41], v50
	s_wait_dscnt 0x0
	v_dual_mul_f32 v42, v41, v39 :: v_dual_mul_f32 v99, v40, v39
	s_delay_alu instid0(VALU_DEP_1) | instskip(NEXT) | instid1(VALU_DEP_1)
	v_dual_fma_f32 v98, v40, v38, -v42 :: v_dual_fmac_f32 v99, v41, v38
	v_pk_add_f32 v[36:37], v[36:37], v[98:99]
.LBB156_971:                            ;   in Loop: Header=BB156_3 Depth=1
	s_or_b32 exec_lo, exec_lo, s10
	s_barrier_signal -1
	s_barrier_wait -1
	s_and_saveexec_b32 s10, s96
	s_cbranch_execz .LBB156_973
; %bb.972:                              ;   in Loop: Header=BB156_3 Depth=1
	ds_load_b64 v[38:39], v5 offset:31720
	s_wait_dscnt 0x0
	v_pk_mul_f32 v[40:41], v[36:37], v[38:39] op_sel:[1,1] op_sel_hi:[1,0]
	s_delay_alu instid0(VALU_DEP_1) | instskip(SKIP_1) | instid1(VALU_DEP_2)
	v_pk_fma_f32 v[98:99], v[36:37], v[38:39], v[40:41] op_sel_hi:[0,1,1]
	v_pk_fma_f32 v[38:39], v[36:37], v[38:39], v[40:41] neg_lo:[0,0,1] neg_hi:[0,0,1]
	v_mov_b32_e32 v39, v99
	s_delay_alu instid0(VALU_DEP_1)
	v_mov_b64_e32 v[36:37], v[38:39]
	ds_store_b64 v50, v[38:39]
.LBB156_973:                            ;   in Loop: Header=BB156_3 Depth=1
	s_or_b32 exec_lo, exec_lo, s10
	s_wait_dscnt 0x0
	s_barrier_signal -1
	s_barrier_wait -1
	s_and_saveexec_b32 s10, s97
	s_cbranch_execz .LBB156_975
; %bb.974:                              ;   in Loop: Header=BB156_3 Depth=1
	ds_load_b64 v[38:39], v48 offset:31712
	ds_load_b64 v[40:41], v50
	s_wait_dscnt 0x0
	v_pk_mul_f32 v[98:99], v[40:41], v[38:39] op_sel:[1,1] op_sel_hi:[0,1]
	s_delay_alu instid0(VALU_DEP_1) | instskip(SKIP_1) | instid1(VALU_DEP_2)
	v_pk_fma_f32 v[100:101], v[40:41], v[38:39], v[98:99] op_sel_hi:[1,0,1]
	v_pk_fma_f32 v[38:39], v[40:41], v[38:39], v[98:99] neg_lo:[0,0,1] neg_hi:[0,0,1]
	v_mov_b32_e32 v39, v101
	s_delay_alu instid0(VALU_DEP_1)
	v_pk_add_f32 v[36:37], v[36:37], v[38:39]
.LBB156_975:                            ;   in Loop: Header=BB156_3 Depth=1
	s_or_b32 exec_lo, exec_lo, s10
	s_barrier_signal -1
	s_barrier_wait -1
	s_and_saveexec_b32 s10, s98
	s_cbranch_execz .LBB156_977
; %bb.976:                              ;   in Loop: Header=BB156_3 Depth=1
	ds_load_b64 v[38:39], v5 offset:32240
	s_wait_dscnt 0x0
	v_pk_mul_f32 v[40:41], v[36:37], v[38:39] op_sel:[1,1] op_sel_hi:[1,0]
	s_delay_alu instid0(VALU_DEP_1) | instskip(SKIP_1) | instid1(VALU_DEP_2)
	v_pk_fma_f32 v[98:99], v[36:37], v[38:39], v[40:41] op_sel_hi:[0,1,1]
	v_pk_fma_f32 v[38:39], v[36:37], v[38:39], v[40:41] neg_lo:[0,0,1] neg_hi:[0,0,1]
	v_mov_b32_e32 v39, v99
	s_delay_alu instid0(VALU_DEP_1)
	v_mov_b64_e32 v[36:37], v[38:39]
	ds_store_b64 v50, v[38:39]
.LBB156_977:                            ;   in Loop: Header=BB156_3 Depth=1
	s_or_b32 exec_lo, exec_lo, s10
	s_wait_dscnt 0x0
	s_barrier_signal -1
	s_barrier_wait -1
	s_and_saveexec_b32 s10, s99
	s_cbranch_execz .LBB156_979
; %bb.978:                              ;   in Loop: Header=BB156_3 Depth=1
	ds_load_b64 v[38:39], v5 offset:32248
	ds_load_b64 v[40:41], v50
	s_wait_dscnt 0x0
	v_pk_mul_f32 v[98:99], v[40:41], v[38:39] op_sel:[1,1] op_sel_hi:[0,1]
	s_delay_alu instid0(VALU_DEP_1) | instskip(SKIP_1) | instid1(VALU_DEP_2)
	v_pk_fma_f32 v[100:101], v[40:41], v[38:39], v[98:99] op_sel_hi:[1,0,1]
	v_pk_fma_f32 v[38:39], v[40:41], v[38:39], v[98:99] neg_lo:[0,0,1] neg_hi:[0,0,1]
	v_mov_b32_e32 v39, v101
	s_delay_alu instid0(VALU_DEP_1)
	v_pk_add_f32 v[36:37], v[36:37], v[38:39]
.LBB156_979:                            ;   in Loop: Header=BB156_3 Depth=1
	s_or_b32 exec_lo, exec_lo, s10
	s_barrier_signal -1
	s_barrier_wait -1
	s_and_saveexec_b32 s10, s99
	s_cbranch_execz .LBB156_981
; %bb.980:                              ;   in Loop: Header=BB156_3 Depth=1
	ds_load_b64 v[38:39], v5 offset:32760
	s_wait_dscnt 0x0
	v_pk_mul_f32 v[40:41], v[36:37], v[38:39] op_sel:[1,1] op_sel_hi:[1,0]
	s_delay_alu instid0(VALU_DEP_1) | instskip(SKIP_1) | instid1(VALU_DEP_2)
	v_pk_fma_f32 v[98:99], v[36:37], v[38:39], v[40:41] op_sel_hi:[0,1,1]
	v_pk_fma_f32 v[38:39], v[36:37], v[38:39], v[40:41] neg_lo:[0,0,1] neg_hi:[0,0,1]
	v_mov_b32_e32 v39, v99
	s_delay_alu instid0(VALU_DEP_1)
	v_mov_b64_e32 v[36:37], v[38:39]
	ds_store_b64 v50, v[38:39]
.LBB156_981:                            ;   in Loop: Header=BB156_3 Depth=1
	s_or_b32 exec_lo, exec_lo, s10
	s_wait_dscnt 0x0
	s_barrier_signal -1
	s_barrier_wait -1
	s_barrier_signal -1
	s_barrier_wait -1
	s_and_saveexec_b32 s10, s3
; %bb.982:                              ;   in Loop: Header=BB156_3 Depth=1
	v_pk_add_f32 v[36:37], v[36:37], 0 neg_lo:[1,1] neg_hi:[1,1]
	ds_store_b64 v51, v[36:37] offset:29152
; %bb.983:                              ;   in Loop: Header=BB156_3 Depth=1
	s_or_b32 exec_lo, exec_lo, s10
	s_wait_dscnt 0x0
	s_barrier_signal -1
	s_barrier_wait -1
	s_barrier_signal -1
	s_barrier_wait -1
	s_and_saveexec_b32 s10, s100
	s_cbranch_execz .LBB156_985
; %bb.984:                              ;   in Loop: Header=BB156_3 Depth=1
	ds_load_b64 v[36:37], v76 offset:29152
	s_wait_dscnt 0x0
	ds_store_b64 v79, v[36:37] offset:31168
	ds_load_b64 v[36:37], v76 offset:29160
	s_wait_dscnt 0x0
	ds_store_b64 v79, v[36:37] offset:31680
	;; [unrolled: 3-line block ×4, first 2 shown]
.LBB156_985:                            ;   in Loop: Header=BB156_3 Depth=1
	s_or_b32 exec_lo, exec_lo, s10
	s_wait_dscnt 0x0
	s_barrier_signal -1
	s_barrier_wait -1
	s_and_saveexec_b32 s10, s14
	s_cbranch_execz .LBB156_987
; %bb.986:                              ;   in Loop: Header=BB156_3 Depth=1
	ds_load_b128 v[36:39], v5 offset:31200
	ds_load_b64 v[40:41], v5 offset:31720
	s_wait_dscnt 0x1
	v_dual_mov_b32 v98, v39 :: v_dual_mov_b32 v99, v38
	s_wait_dscnt 0x0
	v_dual_mul_f32 v97, v41, v37 :: v_dual_mul_f32 v42, v40, v37
	s_delay_alu instid0(VALU_DEP_1) | instskip(NEXT) | instid1(VALU_DEP_1)
	v_xor_b32_e32 v100, 0x80000000, v97
	v_dual_fmac_f32 v42, v41, v36 :: v_dual_fmac_f32 v100, v40, v36
	s_delay_alu instid0(VALU_DEP_1) | instskip(NEXT) | instid1(VALU_DEP_1)
	v_pk_mul_f32 v[36:37], v[42:43], v[98:99] op_sel_hi:[0,1]
	v_pk_fma_f32 v[40:41], v[100:101], v[38:39], v[36:37] op_sel_hi:[0,1,1]
	v_pk_fma_f32 v[36:37], v[100:101], v[38:39], v[36:37] neg_lo:[0,0,1] neg_hi:[0,0,1]
	v_add_nc_u32_e64 v38, 0x7800, 0
	s_delay_alu instid0(VALU_DEP_3)
	v_mov_b32_e32 v37, v41
	ds_store_2addr_b64 v38, v[36:37], v[36:37] offset0:61 offset1:124
.LBB156_987:                            ;   in Loop: Header=BB156_3 Depth=1
	s_or_b32 exec_lo, exec_lo, s10
	v_mov_b32_e32 v37, 0
	s_wait_dscnt 0x0
	s_barrier_signal -1
	s_barrier_wait -1
	s_delay_alu instid0(VALU_DEP_1)
	v_mov_b32_e32 v36, v37
	s_and_saveexec_b32 s10, s1
	s_cbranch_execz .LBB156_991
; %bb.988:                              ;   in Loop: Header=BB156_3 Depth=1
	ds_load_b64 v[36:37], v44 offset:31216
	ds_load_b64 v[38:39], v45 offset:31200
	s_wait_dscnt 0x0
	v_dual_mul_f32 v40, v39, v37 :: v_dual_mul_f32 v41, v38, v37
	s_delay_alu instid0(VALU_DEP_1) | instskip(NEXT) | instid1(VALU_DEP_1)
	v_dual_fma_f32 v40, v38, v36, -v40 :: v_dual_fmac_f32 v41, v39, v36
	v_pk_add_f32 v[36:37], v[40:41], 0 op_sel_hi:[1,0]
	s_and_saveexec_b32 s12, s15
	s_cbranch_execz .LBB156_990
; %bb.989:                              ;   in Loop: Header=BB156_3 Depth=1
	ds_load_b64 v[38:39], v79 offset:31728
	ds_load_b64 v[40:41], v5 offset:31208
	s_wait_dscnt 0x0
	v_pk_mul_f32 v[98:99], v[40:41], v[38:39] op_sel:[1,1] op_sel_hi:[0,1]
	s_delay_alu instid0(VALU_DEP_1) | instskip(SKIP_1) | instid1(VALU_DEP_2)
	v_pk_fma_f32 v[100:101], v[40:41], v[38:39], v[98:99] op_sel_hi:[1,0,1]
	v_pk_fma_f32 v[38:39], v[40:41], v[38:39], v[98:99] neg_lo:[0,0,1] neg_hi:[0,0,1]
	v_mov_b32_e32 v39, v101
	s_delay_alu instid0(VALU_DEP_1)
	v_pk_add_f32 v[36:37], v[36:37], v[38:39]
.LBB156_990:                            ;   in Loop: Header=BB156_3 Depth=1
	s_or_b32 exec_lo, exec_lo, s12
	s_delay_alu instid0(VALU_DEP_1)
	v_pk_add_f32 v[36:37], v[36:37], 0 neg_lo:[1,1] neg_hi:[1,1]
.LBB156_991:                            ;   in Loop: Header=BB156_3 Depth=1
	s_or_b32 exec_lo, exec_lo, s10
	s_and_saveexec_b32 s10, s91
	s_cbranch_execz .LBB156_993
; %bb.992:                              ;   in Loop: Header=BB156_3 Depth=1
	ds_load_b64 v[38:39], v5 offset:32240
	s_wait_dscnt 0x0
	v_pk_mul_f32 v[40:41], v[36:37], v[38:39] op_sel:[1,1] op_sel_hi:[1,0]
	s_delay_alu instid0(VALU_DEP_1) | instskip(SKIP_1) | instid1(VALU_DEP_2)
	v_pk_fma_f32 v[98:99], v[36:37], v[38:39], v[40:41] op_sel_hi:[0,1,1]
	v_pk_fma_f32 v[38:39], v[36:37], v[38:39], v[40:41] neg_lo:[0,0,1] neg_hi:[0,0,1]
	v_mov_b32_e32 v39, v99
	s_delay_alu instid0(VALU_DEP_1)
	v_mov_b64_e32 v[36:37], v[38:39]
	ds_store_b64 v3, v[38:39]
.LBB156_993:                            ;   in Loop: Header=BB156_3 Depth=1
	s_or_b32 exec_lo, exec_lo, s10
	s_wait_dscnt 0x0
	s_barrier_signal -1
	s_barrier_wait -1
	s_and_saveexec_b32 s10, s92
	s_cbranch_execz .LBB156_995
; %bb.994:                              ;   in Loop: Header=BB156_3 Depth=1
	ds_load_b64 v[38:39], v5 offset:32248
	ds_load_b64 v[40:41], v3
	s_wait_dscnt 0x0
	v_pk_mul_f32 v[98:99], v[40:41], v[38:39] op_sel:[1,1] op_sel_hi:[0,1]
	s_delay_alu instid0(VALU_DEP_1) | instskip(SKIP_1) | instid1(VALU_DEP_2)
	v_pk_fma_f32 v[100:101], v[40:41], v[38:39], v[98:99] op_sel_hi:[1,0,1]
	v_pk_fma_f32 v[38:39], v[40:41], v[38:39], v[98:99] neg_lo:[0,0,1] neg_hi:[0,0,1]
	v_mov_b32_e32 v39, v101
	s_delay_alu instid0(VALU_DEP_1)
	v_pk_add_f32 v[36:37], v[36:37], v[38:39]
.LBB156_995:                            ;   in Loop: Header=BB156_3 Depth=1
	s_or_b32 exec_lo, exec_lo, s10
	s_barrier_signal -1
	s_barrier_wait -1
	s_and_saveexec_b32 s10, s92
	s_cbranch_execz .LBB156_997
; %bb.996:                              ;   in Loop: Header=BB156_3 Depth=1
	ds_load_b64 v[38:39], v5 offset:32760
	s_wait_dscnt 0x0
	v_pk_mul_f32 v[40:41], v[36:37], v[38:39] op_sel:[1,1] op_sel_hi:[1,0]
	s_delay_alu instid0(VALU_DEP_1) | instskip(SKIP_1) | instid1(VALU_DEP_2)
	v_pk_fma_f32 v[98:99], v[36:37], v[38:39], v[40:41] op_sel_hi:[0,1,1]
	v_pk_fma_f32 v[38:39], v[36:37], v[38:39], v[40:41] neg_lo:[0,0,1] neg_hi:[0,0,1]
	v_mov_b32_e32 v39, v99
	s_delay_alu instid0(VALU_DEP_1)
	v_mov_b64_e32 v[36:37], v[38:39]
	ds_store_b64 v3, v[38:39]
.LBB156_997:                            ;   in Loop: Header=BB156_3 Depth=1
	s_or_b32 exec_lo, exec_lo, s10
	s_wait_dscnt 0x0
	s_barrier_signal -1
	s_barrier_wait -1
	s_barrier_signal -1
	s_barrier_wait -1
	s_and_saveexec_b32 s10, s1
; %bb.998:                              ;   in Loop: Header=BB156_3 Depth=1
	v_pk_add_f32 v[36:37], v[36:37], 0 neg_lo:[1,1] neg_hi:[1,1]
	ds_store_b64 v44, v[36:37] offset:31216
; %bb.999:                              ;   in Loop: Header=BB156_3 Depth=1
	s_or_b32 exec_lo, exec_lo, s10
	s_wait_dscnt 0x0
	s_barrier_signal -1
	s_barrier_wait -1
	s_barrier_signal -1
	s_barrier_wait -1
	s_and_saveexec_b32 s10, s93
	s_cbranch_execz .LBB156_1001
; %bb.1000:                             ;   in Loop: Header=BB156_3 Depth=1
	ds_load_b64 v[36:37], v81 offset:31216
	s_wait_dscnt 0x0
	ds_store_b64 v79, v[36:37] offset:32224
	ds_load_b64 v[36:37], v81 offset:31224
	s_wait_dscnt 0x0
	ds_store_b64 v79, v[36:37] offset:32736
.LBB156_1001:                           ;   in Loop: Header=BB156_3 Depth=1
	s_or_b32 exec_lo, exec_lo, s10
	s_wait_dscnt 0x0
	s_barrier_signal -1
	s_barrier_wait -1
	s_and_saveexec_b32 s10, s14
	s_cbranch_execz .LBB156_1003
; %bb.1002:                             ;   in Loop: Header=BB156_3 Depth=1
	ds_load_b128 v[36:39], v5 offset:32240
	ds_load_b64 v[40:41], v5 offset:32760
	s_wait_dscnt 0x1
	v_dual_mov_b32 v98, v39 :: v_dual_mov_b32 v99, v38
	s_wait_dscnt 0x0
	v_dual_mul_f32 v97, v41, v37 :: v_dual_mul_f32 v42, v40, v37
	s_delay_alu instid0(VALU_DEP_1) | instskip(NEXT) | instid1(VALU_DEP_1)
	v_xor_b32_e32 v100, 0x80000000, v97
	v_dual_fmac_f32 v42, v41, v36 :: v_dual_fmac_f32 v100, v40, v36
	s_delay_alu instid0(VALU_DEP_1) | instskip(NEXT) | instid1(VALU_DEP_1)
	v_pk_mul_f32 v[36:37], v[42:43], v[98:99] op_sel_hi:[0,1]
	v_pk_fma_f32 v[40:41], v[100:101], v[38:39], v[36:37] op_sel_hi:[0,1,1]
	v_pk_fma_f32 v[36:37], v[100:101], v[38:39], v[36:37] neg_lo:[0,0,1] neg_hi:[0,0,1]
	v_add_nc_u32_e64 v38, 0x7800, 0
	s_delay_alu instid0(VALU_DEP_3)
	v_mov_b32_e32 v37, v41
	ds_store_2addr_b64 v38, v[36:37], v[36:37] offset0:191 offset1:254
.LBB156_1003:                           ;   in Loop: Header=BB156_3 Depth=1
	s_or_b32 exec_lo, exec_lo, s10
.LBB156_1004:                           ;   in Loop: Header=BB156_3 Depth=1
	v_add_nc_u64_e32 v[34:35], s[72:73], v[34:35]
	v_mov_b64_e32 v[36:37], 0
	s_wait_dscnt 0x0
	s_barrier_signal -1
	s_barrier_wait -1
	s_and_saveexec_b32 s10, s50
	s_cbranch_execz .LBB156_1006
; %bb.1005:                             ;   in Loop: Header=BB156_3 Depth=1
	v_lshl_add_u64 v[36:37], v[0:1], 3, v[34:35]
	flat_load_b64 v[36:37], v[36:37]
	s_wait_loadcnt_dscnt 0x0
	v_pk_mul_f32 v[38:39], v[32:33], v[36:37] op_sel:[1,0] neg_lo:[1,0]
	s_delay_alu instid0(VALU_DEP_1)
	v_pk_fma_f32 v[36:37], v[32:33], v[36:37], v[38:39] op_sel:[0,0,1] op_sel_hi:[0,1,0] neg_lo:[1,0,0] neg_hi:[1,0,0]
.LBB156_1006:                           ;   in Loop: Header=BB156_3 Depth=1
	s_or_b32 exec_lo, exec_lo, s10
	s_delay_alu instid0(SALU_CYCLE_1)
	s_and_not1_b32 vcc_lo, exec_lo, s51
	s_cbranch_vccnz .LBB156_1041
; %bb.1007:                             ;   in Loop: Header=BB156_3 Depth=1
	v_mov_b32_e32 v97, -1
	s_lshl_b64 s[84:85], s[66:67], 2
	s_mov_b32 s10, 0
	s_add_nc_u64 s[84:85], s[82:83], s[84:85]
	s_branch .LBB156_1010
.LBB156_1008:                           ;   in Loop: Header=BB156_1010 Depth=2
	s_wait_xcnt 0x0
	ds_load_b64 v[32:33], v83 offset:384
	s_wait_loadcnt_dscnt 0x0
	v_pk_mul_f32 v[40:41], v[40:41], v[32:33] op_sel:[0,1] op_sel_hi:[0,0]
	s_delay_alu instid0(VALU_DEP_1) | instskip(SKIP_1) | instid1(VALU_DEP_2)
	v_pk_fma_f32 v[98:99], v[38:39], v[32:33], v[40:41] op_sel_hi:[0,1,1] neg_lo:[0,0,1] neg_hi:[0,0,1]
	v_pk_fma_f32 v[32:33], v[38:39], v[32:33], v[40:41]
	v_mov_b32_e32 v33, v99
	s_delay_alu instid0(VALU_DEP_1)
	v_pk_add_f32 v[36:37], v[36:37], v[32:33]
.LBB156_1009:                           ;   in Loop: Header=BB156_1010 Depth=2
	s_or_b32 exec_lo, exec_lo, s12
	s_add_co_i32 s10, s10, 1
	s_delay_alu instid0(SALU_CYCLE_1)
	s_cmp_eq_u32 s10, s86
	s_cbranch_scc1 .LBB156_1041
.LBB156_1010:                           ;   Parent Loop BB156_3 Depth=1
                                        ; =>  This Loop Header: Depth=2
                                        ;       Child Loop BB156_1012 Depth 3
	v_cmp_gt_i32_e32 vcc_lo, s10, v97
	s_and_b32 s53, s36, vcc_lo
	s_delay_alu instid0(SALU_CYCLE_1)
	s_and_saveexec_b32 s12, s53
	s_cbranch_execz .LBB156_1013
; %bb.1011:                             ;   in Loop: Header=BB156_1010 Depth=2
	global_load_b32 v97, v5, s[84:85]
	s_wait_loadcnt 0x0
	v_cmp_le_i32_e32 vcc_lo, s10, v97
	s_cbranch_vccnz .LBB156_1013
.LBB156_1012:                           ;   Parent Loop BB156_3 Depth=1
                                        ;     Parent Loop BB156_1010 Depth=2
                                        ; =>    This Inner Loop Header: Depth=3
	global_wb scope:SCOPE_DEV
	s_wait_storecnt 0x0
	global_inv scope:SCOPE_DEV
	global_load_b32 v97, v5, s[84:85]
	s_wait_loadcnt 0x0
	v_cmp_gt_i32_e32 vcc_lo, s10, v97
	s_cbranch_vccnz .LBB156_1012
.LBB156_1013:                           ;   in Loop: Header=BB156_1010 Depth=2
	s_or_b32 exec_lo, exec_lo, s12
	s_sub_co_i32 s12, s87, s10
	global_wb scope:SCOPE_DEV
	s_wait_storecnt 0x0
	global_inv scope:SCOPE_DEV
	s_lshl_b32 s53, s12, 6
	s_wait_loadcnt 0x0
	s_barrier_signal -1
	s_barrier_wait -1
	s_and_saveexec_b32 s54, s37
	s_cbranch_execz .LBB156_1018
; %bb.1014:                             ;   in Loop: Header=BB156_1010 Depth=2
	s_ashr_i32 vcc_lo, s53, 31
	s_delay_alu instid0(SALU_CYCLE_1) | instskip(NEXT) | instid1(VALU_DEP_1)
	v_dual_mov_b32 v33, vcc_lo :: v_dual_bitop2_b32 v32, s53, v4 bitop3:0x54
	v_cmp_le_i64_e32 vcc_lo, s[80:81], v[32:33]
	s_and_saveexec_b32 s55, vcc_lo
	s_delay_alu instid0(SALU_CYCLE_1)
	s_xor_b32 vcc_lo, exec_lo, s55
; %bb.1015:                             ;   in Loop: Header=BB156_1010 Depth=2
	ds_store_b64 v90, v[20:21]
                                        ; implicit-def: $vgpr32_vgpr33
; %bb.1016:                             ;   in Loop: Header=BB156_1010 Depth=2
	s_and_not1_saveexec_b32 s55, vcc_lo
	s_cbranch_execz .LBB156_1018
; %bb.1017:                             ;   in Loop: Header=BB156_1010 Depth=2
	v_mul_u64_e32 v[32:33], s[74:75], v[32:33]
	s_delay_alu instid0(VALU_DEP_1)
	v_lshl_add_u64 v[32:33], v[32:33], 3, v[34:35]
	flat_load_b64 v[32:33], v[32:33]
	s_wait_loadcnt_dscnt 0x0
	ds_store_b64 v90, v[32:33]
.LBB156_1018:                           ;   in Loop: Header=BB156_1010 Depth=2
	s_or_b32 exec_lo, exec_lo, s54
	v_add_nc_u32_e32 v38, s53, v43
	s_cmp_lg_u32 s12, s52
	s_wait_dscnt 0x0
	s_cselect_b32 s53, -1, 0
	s_barrier_signal -1
	v_ashrrev_i32_e32 v39, 31, v38
	v_cmp_gt_i32_e32 vcc_lo, s80, v38
	s_barrier_wait -1
	s_delay_alu instid0(VALU_DEP_2) | instskip(SKIP_2) | instid1(SALU_CYCLE_1)
	v_lshl_add_u64 v[32:33], v[38:39], 3, v[30:31]
	v_cndmask_b32_e64 v39, 0, 1, s53
	s_and_b32 s54, vcc_lo, s0
	s_and_saveexec_b32 s12, s54
	s_cbranch_execz .LBB156_1024
; %bb.1019:                             ;   in Loop: Header=BB156_1010 Depth=2
	v_mov_b32_e32 v40, v22
	s_and_not1_b32 vcc_lo, exec_lo, s53
	s_cbranch_vccnz .LBB156_1021
; %bb.1020:                             ;   in Loop: Header=BB156_1010 Depth=2
	flat_load_b32 v40, v[32:33]
.LBB156_1021:                           ;   in Loop: Header=BB156_1010 Depth=2
	v_cmp_ne_u32_e32 vcc_lo, 1, v39
	v_mov_b32_e32 v42, v23
	s_cbranch_vccnz .LBB156_1023
; %bb.1022:                             ;   in Loop: Header=BB156_1010 Depth=2
	flat_load_b32 v42, v[32:33] offset:4
.LBB156_1023:                           ;   in Loop: Header=BB156_1010 Depth=2
	ds_load_b64 v[98:99], v83
	s_wait_loadcnt_dscnt 0x0
	v_pk_mul_f32 v[100:101], v[42:43], v[98:99] op_sel:[0,1] op_sel_hi:[0,0]
	s_delay_alu instid0(VALU_DEP_1) | instskip(SKIP_1) | instid1(VALU_DEP_2)
	v_pk_fma_f32 v[102:103], v[40:41], v[98:99], v[100:101] op_sel_hi:[0,1,1] neg_lo:[0,0,1] neg_hi:[0,0,1]
	v_pk_fma_f32 v[40:41], v[40:41], v[98:99], v[100:101]
	v_mov_b32_e32 v41, v103
	s_delay_alu instid0(VALU_DEP_1)
	v_pk_add_f32 v[36:37], v[36:37], v[40:41]
.LBB156_1024:                           ;   in Loop: Header=BB156_1010 Depth=2
	s_or_b32 exec_lo, exec_lo, s12
	v_add_nc_u32_e32 v40, 16, v38
	s_delay_alu instid0(VALU_DEP_1) | instskip(SKIP_1) | instid1(SALU_CYCLE_1)
	v_cmp_gt_i32_e32 vcc_lo, s80, v40
	s_and_b32 s53, vcc_lo, s0
	s_and_saveexec_b32 s12, s53
	s_cbranch_execz .LBB156_1030
; %bb.1025:                             ;   in Loop: Header=BB156_1010 Depth=2
	v_cmp_ne_u32_e32 vcc_lo, 1, v39
	v_mov_b32_e32 v40, v24
	s_cbranch_vccnz .LBB156_1027
; %bb.1026:                             ;   in Loop: Header=BB156_1010 Depth=2
	flat_load_b32 v40, v[32:33] offset:128
.LBB156_1027:                           ;   in Loop: Header=BB156_1010 Depth=2
	v_cmp_ne_u32_e32 vcc_lo, 1, v39
	v_mov_b32_e32 v41, v25
	s_cbranch_vccnz .LBB156_1029
; %bb.1028:                             ;   in Loop: Header=BB156_1010 Depth=2
	flat_load_b32 v41, v[32:33] offset:132
.LBB156_1029:                           ;   in Loop: Header=BB156_1010 Depth=2
	ds_load_b64 v[98:99], v83 offset:128
	s_wait_loadcnt_dscnt 0x1
	v_dual_mov_b32 v100, v41 :: v_dual_mov_b32 v101, v40
	s_wait_dscnt 0x0
	v_dual_mul_f32 v42, v41, v98 :: v_dual_mul_f32 v102, v41, v99
	s_delay_alu instid0(VALU_DEP_1) | instskip(NEXT) | instid1(VALU_DEP_2)
	v_pk_fma_f32 v[100:101], v[100:101], v[98:99], v[42:43] op_sel_hi:[1,1,0] neg_lo:[0,0,1] neg_hi:[0,0,1]
	v_pk_fma_f32 v[40:41], v[40:41], v[98:99], v[102:103] op_sel_hi:[1,1,0]
	s_delay_alu instid0(VALU_DEP_2) | instskip(NEXT) | instid1(VALU_DEP_1)
	v_mov_b32_e32 v41, v101
	v_pk_add_f32 v[36:37], v[36:37], v[40:41]
.LBB156_1030:                           ;   in Loop: Header=BB156_1010 Depth=2
	s_or_b32 exec_lo, exec_lo, s12
	v_add_nc_u32_e32 v40, 32, v38
	s_delay_alu instid0(VALU_DEP_1) | instskip(SKIP_1) | instid1(SALU_CYCLE_1)
	v_cmp_gt_i32_e32 vcc_lo, s80, v40
	s_and_b32 s53, vcc_lo, s0
	s_and_saveexec_b32 s12, s53
	s_cbranch_execz .LBB156_1036
; %bb.1031:                             ;   in Loop: Header=BB156_1010 Depth=2
	v_cmp_ne_u32_e32 vcc_lo, 1, v39
	v_mov_b32_e32 v40, v26
	s_cbranch_vccnz .LBB156_1033
; %bb.1032:                             ;   in Loop: Header=BB156_1010 Depth=2
	flat_load_b32 v40, v[32:33] offset:256
.LBB156_1033:                           ;   in Loop: Header=BB156_1010 Depth=2
	v_cmp_ne_u32_e32 vcc_lo, 1, v39
	v_mov_b32_e32 v42, v27
	s_cbranch_vccnz .LBB156_1035
; %bb.1034:                             ;   in Loop: Header=BB156_1010 Depth=2
	flat_load_b32 v42, v[32:33] offset:260
.LBB156_1035:                           ;   in Loop: Header=BB156_1010 Depth=2
	ds_load_b64 v[98:99], v83 offset:256
	s_wait_loadcnt_dscnt 0x0
	v_pk_mul_f32 v[100:101], v[42:43], v[98:99] op_sel:[0,1] op_sel_hi:[0,0]
	s_delay_alu instid0(VALU_DEP_1) | instskip(SKIP_1) | instid1(VALU_DEP_2)
	v_pk_fma_f32 v[102:103], v[40:41], v[98:99], v[100:101] op_sel_hi:[0,1,1] neg_lo:[0,0,1] neg_hi:[0,0,1]
	v_pk_fma_f32 v[40:41], v[40:41], v[98:99], v[100:101]
	v_mov_b32_e32 v41, v103
	s_delay_alu instid0(VALU_DEP_1)
	v_pk_add_f32 v[36:37], v[36:37], v[40:41]
.LBB156_1036:                           ;   in Loop: Header=BB156_1010 Depth=2
	s_or_b32 exec_lo, exec_lo, s12
	v_add_nc_u32_e32 v38, 48, v38
	s_delay_alu instid0(VALU_DEP_1) | instskip(SKIP_1) | instid1(SALU_CYCLE_1)
	v_cmp_gt_i32_e32 vcc_lo, s80, v38
	s_and_b32 s53, vcc_lo, s0
	s_and_saveexec_b32 s12, s53
	s_cbranch_execz .LBB156_1009
; %bb.1037:                             ;   in Loop: Header=BB156_1010 Depth=2
	v_cmp_ne_u32_e32 vcc_lo, 1, v39
	v_mov_b32_e32 v38, v28
	s_cbranch_vccnz .LBB156_1039
; %bb.1038:                             ;   in Loop: Header=BB156_1010 Depth=2
	flat_load_b32 v38, v[32:33] offset:384
.LBB156_1039:                           ;   in Loop: Header=BB156_1010 Depth=2
	v_cmp_ne_u32_e32 vcc_lo, 1, v39
	v_mov_b32_e32 v40, v29
	s_cbranch_vccnz .LBB156_1008
; %bb.1040:                             ;   in Loop: Header=BB156_1010 Depth=2
	flat_load_b32 v40, v[32:33] offset:388
	s_branch .LBB156_1008
.LBB156_1041:                           ;   in Loop: Header=BB156_3 Depth=1
	ds_store_b64 v91, v[36:37]
	s_wait_dscnt 0x0
	s_barrier_signal -1
	s_barrier_wait -1
	s_and_saveexec_b32 s10, s2
	s_cbranch_execz .LBB156_1043
; %bb.1042:                             ;   in Loop: Header=BB156_3 Depth=1
	ds_load_2addr_stride64_b64 v[30:33], v92 offset0:1 offset1:2
	ds_load_2addr_stride64_b64 v[38:41], v92 offset0:3 offset1:4
	;; [unrolled: 1-line block ×3, first 2 shown]
	s_wait_dscnt 0x2
	v_pk_add_f32 v[30:31], v[36:37], v[30:31]
	s_delay_alu instid0(VALU_DEP_1) | instskip(SKIP_3) | instid1(VALU_DEP_1)
	v_pk_add_f32 v[36:37], v[30:31], v[32:33]
	ds_load_2addr_stride64_b64 v[30:33], v92 offset0:7 offset1:8
	s_wait_dscnt 0x2
	v_pk_add_f32 v[36:37], v[36:37], v[38:39]
	v_pk_add_f32 v[40:41], v[36:37], v[40:41]
	ds_load_2addr_stride64_b64 v[36:39], v92 offset0:9 offset1:10
	s_wait_dscnt 0x2
	v_pk_add_f32 v[40:41], v[40:41], v[98:99]
	s_delay_alu instid0(VALU_DEP_1) | instskip(SKIP_3) | instid1(VALU_DEP_1)
	v_pk_add_f32 v[40:41], v[40:41], v[100:101]
	ds_load_2addr_stride64_b64 v[98:101], v92 offset0:11 offset1:12
	s_wait_dscnt 0x2
	v_pk_add_f32 v[30:31], v[40:41], v[30:31]
	v_pk_add_f32 v[40:41], v[30:31], v[32:33]
	ds_load_2addr_stride64_b64 v[30:33], v92 offset0:13 offset1:14
	s_wait_dscnt 0x2
	v_pk_add_f32 v[36:37], v[40:41], v[36:37]
	s_delay_alu instid0(VALU_DEP_1) | instskip(SKIP_3) | instid1(VALU_DEP_1)
	v_pk_add_f32 v[36:37], v[36:37], v[38:39]
	ds_load_b64 v[38:39], v92 offset:7680
	s_wait_dscnt 0x2
	v_pk_add_f32 v[36:37], v[36:37], v[98:99]
	v_pk_add_f32 v[36:37], v[36:37], v[100:101]
	s_wait_dscnt 0x1
	s_delay_alu instid0(VALU_DEP_1) | instskip(NEXT) | instid1(VALU_DEP_1)
	v_pk_add_f32 v[30:31], v[36:37], v[30:31]
	v_pk_add_f32 v[30:31], v[30:31], v[32:33]
	s_wait_dscnt 0x0
	s_delay_alu instid0(VALU_DEP_1) | instskip(NEXT) | instid1(VALU_DEP_1)
	v_pk_add_f32 v[30:31], v[30:31], v[38:39]
	v_cndmask_b32_e64 v37, -v31, 0, s49
	s_delay_alu instid0(VALU_DEP_2)
	v_cndmask_b32_e64 v36, -v30, 0, s49
.LBB156_1043:                           ;   in Loop: Header=BB156_3 Depth=1
	s_or_b32 exec_lo, exec_lo, s10
	s_delay_alu instid0(SALU_CYCLE_1)
	s_and_not1_b32 vcc_lo, exec_lo, s90
	s_cbranch_vccnz .LBB156_1053
; %bb.1044:                             ;   in Loop: Header=BB156_3 Depth=1
	s_and_saveexec_b32 s10, s2
; %bb.1045:                             ;   in Loop: Header=BB156_3 Depth=1
	ds_store_b64 v94, v[36:37]
; %bb.1046:                             ;   in Loop: Header=BB156_3 Depth=1
	s_or_b32 exec_lo, exec_lo, s10
	v_mov_b64_e32 v[30:31], 0
	s_wait_dscnt 0x0
	s_barrier_signal -1
	s_barrier_wait -1
	s_and_saveexec_b32 s10, s6
	s_cbranch_execnz .LBB156_1117
; %bb.1047:                             ;   in Loop: Header=BB156_3 Depth=1
	s_or_b32 exec_lo, exec_lo, s10
	s_and_saveexec_b32 s10, s7
	s_cbranch_execnz .LBB156_1118
.LBB156_1048:                           ;   in Loop: Header=BB156_3 Depth=1
	s_or_b32 exec_lo, exec_lo, s10
	s_and_saveexec_b32 s10, s8
	s_cbranch_execnz .LBB156_1119
.LBB156_1049:                           ;   in Loop: Header=BB156_3 Depth=1
	s_or_b32 exec_lo, exec_lo, s10
	s_and_saveexec_b32 s10, s9
	s_cbranch_execz .LBB156_1051
.LBB156_1050:                           ;   in Loop: Header=BB156_3 Depth=1
	ds_load_b64 v[32:33], v93 offset:24576
	ds_load_b64 v[38:39], v83 offset:384
	s_wait_dscnt 0x0
	v_pk_mul_f32 v[40:41], v[38:39], v[32:33] op_sel:[1,1] op_sel_hi:[0,1]
	s_delay_alu instid0(VALU_DEP_1) | instskip(SKIP_1) | instid1(VALU_DEP_2)
	v_pk_fma_f32 v[98:99], v[38:39], v[32:33], v[40:41] op_sel_hi:[1,0,1]
	v_pk_fma_f32 v[32:33], v[38:39], v[32:33], v[40:41] neg_lo:[0,0,1] neg_hi:[0,0,1]
	v_mov_b32_e32 v33, v99
	s_delay_alu instid0(VALU_DEP_1)
	v_pk_add_f32 v[30:31], v[30:31], v[32:33]
.LBB156_1051:                           ;   in Loop: Header=BB156_3 Depth=1
	s_or_b32 exec_lo, exec_lo, s10
	s_mov_b32 s84, 0
	s_mov_b32 s10, 0
	ds_store_b64 v91, v[30:31]
	s_wait_dscnt 0x0
	s_barrier_signal -1
	s_barrier_wait -1
                                        ; implicit-def: $vgpr32_vgpr33
	s_and_saveexec_b32 s12, s2
	s_cbranch_execz .LBB156_1120
; %bb.1052:                             ;   in Loop: Header=BB156_3 Depth=1
	ds_load_2addr_stride64_b64 v[38:41], v92 offset0:1 offset1:2
	ds_load_2addr_stride64_b64 v[98:101], v92 offset0:3 offset1:4
	;; [unrolled: 1-line block ×3, first 2 shown]
	s_mov_b32 s10, exec_lo
	s_wait_dscnt 0x2
	v_pk_add_f32 v[30:31], v[30:31], v[38:39]
	s_delay_alu instid0(VALU_DEP_1) | instskip(SKIP_3) | instid1(VALU_DEP_1)
	v_pk_add_f32 v[38:39], v[30:31], v[40:41]
	ds_load_2addr_stride64_b64 v[30:33], v92 offset0:7 offset1:8
	s_wait_dscnt 0x2
	v_pk_add_f32 v[38:39], v[38:39], v[98:99]
	v_pk_add_f32 v[98:99], v[38:39], v[100:101]
	ds_load_2addr_stride64_b64 v[38:41], v92 offset0:9 offset1:10
	s_wait_dscnt 0x2
	v_pk_add_f32 v[98:99], v[98:99], v[102:103]
	s_delay_alu instid0(VALU_DEP_1) | instskip(SKIP_3) | instid1(VALU_DEP_1)
	v_pk_add_f32 v[102:103], v[98:99], v[104:105]
	ds_load_2addr_stride64_b64 v[98:101], v92 offset0:11 offset1:12
	s_wait_dscnt 0x2
	v_pk_add_f32 v[30:31], v[102:103], v[30:31]
	v_pk_add_f32 v[30:31], v[30:31], v[32:33]
	s_wait_dscnt 0x1
	s_delay_alu instid0(VALU_DEP_1)
	v_pk_add_f32 v[38:39], v[30:31], v[38:39]
	ds_load_2addr_stride64_b64 v[30:33], v92 offset0:13 offset1:14
	v_pk_add_f32 v[38:39], v[38:39], v[40:41]
	ds_load_b64 v[40:41], v92 offset:7680
	s_wait_dscnt 0x2
	v_pk_add_f32 v[38:39], v[38:39], v[98:99]
	s_delay_alu instid0(VALU_DEP_1) | instskip(SKIP_1) | instid1(VALU_DEP_1)
	v_pk_add_f32 v[38:39], v[38:39], v[100:101]
	s_wait_dscnt 0x1
	v_pk_add_f32 v[30:31], v[38:39], v[30:31]
	s_delay_alu instid0(VALU_DEP_1) | instskip(SKIP_1) | instid1(VALU_DEP_1)
	v_pk_add_f32 v[30:31], v[30:31], v[32:33]
	s_wait_dscnt 0x0
	v_pk_add_f32 v[32:33], v[30:31], v[40:41]
	s_or_b32 exec_lo, exec_lo, s12
	s_delay_alu instid0(SALU_CYCLE_1)
	s_and_b32 vcc_lo, exec_lo, s84
	s_cbranch_vccnz .LBB156_1054
	s_branch .LBB156_1121
.LBB156_1053:                           ;   in Loop: Header=BB156_3 Depth=1
	s_mov_b32 s10, 0
                                        ; implicit-def: $vgpr32_vgpr33
	s_cbranch_execz .LBB156_1121
.LBB156_1054:                           ;   in Loop: Header=BB156_3 Depth=1
	v_dual_mov_b32 v30, v96 :: v_dual_mov_b32 v31, v85
	s_mov_b32 s84, 63
	s_branch .LBB156_1056
.LBB156_1055:                           ;   in Loop: Header=BB156_1056 Depth=2
	s_or_b32 exec_lo, exec_lo, s12
	v_add_nc_u32_e32 v31, 0xfffffc00, v31
	v_add_nc_u32_e32 v30, 2, v30
	s_add_co_i32 s84, s84, -2
	s_cmp_lg_u32 s85, 0
	s_barrier_signal -1
	s_barrier_wait -1
	s_cbranch_scc0 .LBB156_1064
.LBB156_1056:                           ;   Parent Loop BB156_3 Depth=1
                                        ; =>  This Inner Loop Header: Depth=2
	s_delay_alu instid0(VALU_DEP_1) | instskip(SKIP_2) | instid1(SALU_CYCLE_1)
	v_cmp_eq_u32_e32 vcc_lo, 0, v30
	v_add_nc_u32_e32 v32, v81, v46
	s_and_b32 s53, s2, vcc_lo
	s_and_saveexec_b32 s12, s53
	s_cbranch_execz .LBB156_1058
; %bb.1057:                             ;   in Loop: Header=BB156_1056 Depth=2
	ds_load_b64 v[38:39], v32
	s_wait_dscnt 0x0
	v_pk_mul_f32 v[40:41], v[36:37], v[38:39] op_sel:[1,1] op_sel_hi:[1,0]
	s_delay_alu instid0(VALU_DEP_1) | instskip(SKIP_1) | instid1(VALU_DEP_2)
	v_pk_fma_f32 v[98:99], v[36:37], v[38:39], v[40:41] op_sel_hi:[0,1,1]
	v_pk_fma_f32 v[38:39], v[36:37], v[38:39], v[40:41] neg_lo:[0,0,1] neg_hi:[0,0,1]
	v_mov_b32_e32 v39, v99
	s_delay_alu instid0(VALU_DEP_1)
	v_mov_b64_e32 v[36:37], v[38:39]
	ds_store_b64 v5, v[38:39] offset:41472
.LBB156_1058:                           ;   in Loop: Header=BB156_1056 Depth=2
	s_or_b32 exec_lo, exec_lo, s12
	v_cmp_gt_u32_e32 vcc_lo, s84, v2
	s_wait_dscnt 0x0
	s_barrier_signal -1
	s_barrier_wait -1
	s_and_b32 s53, s2, vcc_lo
	s_delay_alu instid0(SALU_CYCLE_1)
	s_and_saveexec_b32 s12, s53
	s_cbranch_execz .LBB156_1060
; %bb.1059:                             ;   in Loop: Header=BB156_1056 Depth=2
	ds_load_b64 v[38:39], v31 offset:512
	ds_load_b64 v[40:41], v5 offset:41472
	s_wait_dscnt 0x0
	v_pk_mul_f32 v[98:99], v[40:41], v[38:39] op_sel:[1,1] op_sel_hi:[0,1]
	s_delay_alu instid0(VALU_DEP_1) | instskip(SKIP_1) | instid1(VALU_DEP_2)
	v_pk_fma_f32 v[100:101], v[40:41], v[38:39], v[98:99] op_sel_hi:[1,0,1]
	v_pk_fma_f32 v[38:39], v[40:41], v[38:39], v[98:99] neg_lo:[0,0,1] neg_hi:[0,0,1]
	v_mov_b32_e32 v39, v101
	s_delay_alu instid0(VALU_DEP_1)
	v_pk_add_f32 v[36:37], v[36:37], v[38:39]
.LBB156_1060:                           ;   in Loop: Header=BB156_1056 Depth=2
	s_or_b32 exec_lo, exec_lo, s12
	s_add_co_i32 s85, s84, -1
	s_delay_alu instid0(SALU_CYCLE_1) | instskip(SKIP_3) | instid1(SALU_CYCLE_1)
	v_cmp_eq_u32_e32 vcc_lo, s85, v2
	s_barrier_signal -1
	s_barrier_wait -1
	s_and_b32 s53, s2, vcc_lo
	s_and_saveexec_b32 s12, s53
	s_cbranch_execz .LBB156_1062
; %bb.1061:                             ;   in Loop: Header=BB156_1056 Depth=2
	ds_load_b64 v[32:33], v32
	s_wait_dscnt 0x0
	v_pk_mul_f32 v[38:39], v[36:37], v[32:33] op_sel:[1,1] op_sel_hi:[1,0]
	s_delay_alu instid0(VALU_DEP_1) | instskip(SKIP_1) | instid1(VALU_DEP_2)
	v_pk_fma_f32 v[40:41], v[36:37], v[32:33], v[38:39] op_sel_hi:[0,1,1]
	v_pk_fma_f32 v[32:33], v[36:37], v[32:33], v[38:39] neg_lo:[0,0,1] neg_hi:[0,0,1]
	v_mov_b32_e32 v33, v41
	s_delay_alu instid0(VALU_DEP_1)
	v_mov_b64_e32 v[36:37], v[32:33]
	ds_store_b64 v5, v[32:33] offset:41472
.LBB156_1062:                           ;   in Loop: Header=BB156_1056 Depth=2
	s_or_b32 exec_lo, exec_lo, s12
	v_cmp_gt_u32_e32 vcc_lo, s85, v2
	s_wait_dscnt 0x0
	s_barrier_signal -1
	s_barrier_wait -1
	s_and_b32 s53, s2, vcc_lo
	s_delay_alu instid0(SALU_CYCLE_1)
	s_and_saveexec_b32 s12, s53
	s_cbranch_execz .LBB156_1055
; %bb.1063:                             ;   in Loop: Header=BB156_1056 Depth=2
	ds_load_b64 v[32:33], v31
	ds_load_b64 v[38:39], v5 offset:41472
	s_wait_dscnt 0x0
	v_pk_mul_f32 v[40:41], v[38:39], v[32:33] op_sel:[1,1] op_sel_hi:[0,1]
	s_delay_alu instid0(VALU_DEP_1) | instskip(SKIP_1) | instid1(VALU_DEP_2)
	v_pk_fma_f32 v[98:99], v[38:39], v[32:33], v[40:41] op_sel_hi:[1,0,1]
	v_pk_fma_f32 v[32:33], v[38:39], v[32:33], v[40:41] neg_lo:[0,0,1] neg_hi:[0,0,1]
	v_mov_b32_e32 v33, v99
	s_delay_alu instid0(VALU_DEP_1)
	v_pk_add_f32 v[36:37], v[36:37], v[32:33]
	s_branch .LBB156_1055
.LBB156_1064:                           ;   in Loop: Header=BB156_3 Depth=1
	s_and_b32 vcc_lo, exec_lo, s88
	s_mov_b32 s12, -1
	s_cbranch_vccnz .LBB156_1122
; %bb.1065:                             ;   in Loop: Header=BB156_3 Depth=1
	s_and_not1_b32 vcc_lo, exec_lo, s12
	s_cbranch_vccz .LBB156_1123
.LBB156_1066:                           ;   in Loop: Header=BB156_3 Depth=1
	s_and_saveexec_b32 s12, s10
	s_cbranch_execz .LBB156_1068
.LBB156_1067:                           ;   in Loop: Header=BB156_3 Depth=1
	v_lshl_add_u64 v[30:31], v[14:15], 3, v[34:35]
	flat_store_b64 v[30:31], v[36:37]
.LBB156_1068:                           ;   in Loop: Header=BB156_3 Depth=1
	s_wait_xcnt 0x0
	s_or_b32 exec_lo, exec_lo, s12
	global_wb scope:SCOPE_DEV
	s_wait_storecnt_dscnt 0x0
	global_inv scope:SCOPE_DEV
	s_wait_loadcnt 0x0
	s_barrier_signal -1
	s_barrier_wait -1
	s_and_saveexec_b32 s10, s36
	s_cbranch_execz .LBB156_2
; %bb.1069:                             ;   in Loop: Header=BB156_3 Depth=1
	s_lshl_b64 s[84:85], s[66:67], 2
	s_delay_alu instid0(SALU_CYCLE_1)
	s_add_nc_u64 s[84:85], s[82:83], s[84:85]
	global_load_b32 v30, v5, s[84:85]
	s_wait_loadcnt 0x0
	v_add_nc_u32_e32 v30, 1, v30
	global_store_b32 v5, v30, s[84:85]
	s_branch .LBB156_2
.LBB156_1070:                           ;   in Loop: Header=BB156_3 Depth=1
	s_mov_b32 s12, exec_lo
	v_readlane_b32 s53, v108, 20
	s_and_b32 s53, s12, s53
	s_delay_alu instid0(SALU_CYCLE_1)
	s_xor_b32 s12, s53, s12
	s_mov_b32 exec_lo, s53
	s_cbranch_execz .LBB156_1074
; %bb.1071:                             ;   in Loop: Header=BB156_3 Depth=1
	s_mov_b32 s53, exec_lo
	v_readlane_b32 s54, v107, 7
	s_and_b32 s54, s53, s54
	s_delay_alu instid0(SALU_CYCLE_1)
	s_mov_b32 exec_lo, s54
; %bb.1072:                             ;   in Loop: Header=BB156_3 Depth=1
	ds_store_b64 v77, v[20:21]
; %bb.1073:                             ;   in Loop: Header=BB156_3 Depth=1
	s_or_b32 exec_lo, exec_lo, s53
.LBB156_1074:                           ;   in Loop: Header=BB156_3 Depth=1
	s_and_not1_saveexec_b32 s84, s12
	s_cbranch_execz .LBB156_1080
; %bb.1075:                             ;   in Loop: Header=BB156_3 Depth=1
	v_lshl_add_u64 v[38:39], v[10:11], 3, v[36:37]
                                        ; implicit-def: $vgpr40_vgpr41
	flat_load_b64 v[38:39], v[38:39]
	s_wait_loadcnt_dscnt 0x0
	v_cmp_ngt_f32_e64 s12, |v38|, |v39|
	s_and_saveexec_b32 s53, s12
	s_delay_alu instid0(SALU_CYCLE_1)
	s_xor_b32 s12, exec_lo, s53
	s_cbranch_execz .LBB156_1077
; %bb.1076:                             ;   in Loop: Header=BB156_3 Depth=1
	v_div_scale_f32 v40, null, -v39, -v39, v38
	v_div_scale_f32 v97, vcc_lo, v38, -v39, v38
	s_delay_alu instid0(VALU_DEP_2) | instskip(SKIP_1) | instid1(TRANS32_DEP_1)
	v_rcp_f32_e32 v41, v40
	v_nop
	v_fma_f32 v42, -v40, v41, 1.0
	s_delay_alu instid0(VALU_DEP_1) | instskip(NEXT) | instid1(VALU_DEP_1)
	v_fmac_f32_e32 v41, v42, v41
	v_mul_f32_e32 v42, v97, v41
	s_delay_alu instid0(VALU_DEP_1) | instskip(NEXT) | instid1(VALU_DEP_1)
	v_fma_f32 v98, -v40, v42, v97
	v_fmac_f32_e32 v42, v98, v41
	s_delay_alu instid0(VALU_DEP_1) | instskip(NEXT) | instid1(VALU_DEP_1)
	v_fma_f32 v40, -v40, v42, v97
	v_div_fmas_f32 v40, v40, v41, v42
	s_delay_alu instid0(VALU_DEP_1) | instskip(NEXT) | instid1(VALU_DEP_1)
	v_div_fixup_f32 v40, v40, -v39, v38
	v_fma_f32 v38, v38, v40, -v39
	s_delay_alu instid0(VALU_DEP_1) | instskip(SKIP_1) | instid1(VALU_DEP_2)
	v_div_scale_f32 v39, null, v38, v38, 1.0
	v_div_scale_f32 v97, vcc_lo, 1.0, v38, 1.0
	v_rcp_f32_e32 v41, v39
	v_nop
	s_delay_alu instid0(TRANS32_DEP_1) | instskip(NEXT) | instid1(VALU_DEP_1)
	v_fma_f32 v42, -v39, v41, 1.0
	v_fmac_f32_e32 v41, v42, v41
	s_delay_alu instid0(VALU_DEP_1) | instskip(NEXT) | instid1(VALU_DEP_1)
	v_mul_f32_e32 v42, v97, v41
	v_fma_f32 v98, -v39, v42, v97
	s_delay_alu instid0(VALU_DEP_1) | instskip(NEXT) | instid1(VALU_DEP_1)
	v_fmac_f32_e32 v42, v98, v41
	v_fma_f32 v39, -v39, v42, v97
	s_delay_alu instid0(VALU_DEP_1) | instskip(NEXT) | instid1(VALU_DEP_1)
	v_div_fmas_f32 v39, v39, v41, v42
	v_div_fixup_f32 v38, v39, v38, 1.0
	s_delay_alu instid0(VALU_DEP_1)
	v_mul_f32_e32 v40, v40, v38
	v_xor_b32_e32 v41, 0x80000000, v38
                                        ; implicit-def: $vgpr38_vgpr39
.LBB156_1077:                           ;   in Loop: Header=BB156_3 Depth=1
	s_and_not1_saveexec_b32 s12, s12
	s_cbranch_execz .LBB156_1079
; %bb.1078:                             ;   in Loop: Header=BB156_3 Depth=1
	v_div_scale_f32 v40, null, v38, v38, -v39
	v_div_scale_f32 v97, vcc_lo, -v39, v38, -v39
	s_delay_alu instid0(VALU_DEP_2) | instskip(SKIP_1) | instid1(TRANS32_DEP_1)
	v_rcp_f32_e32 v41, v40
	v_nop
	v_fma_f32 v42, -v40, v41, 1.0
	s_delay_alu instid0(VALU_DEP_1) | instskip(NEXT) | instid1(VALU_DEP_1)
	v_fmac_f32_e32 v41, v42, v41
	v_mul_f32_e32 v42, v97, v41
	s_delay_alu instid0(VALU_DEP_1) | instskip(NEXT) | instid1(VALU_DEP_1)
	v_fma_f32 v98, -v40, v42, v97
	v_fmac_f32_e32 v42, v98, v41
	s_delay_alu instid0(VALU_DEP_1) | instskip(NEXT) | instid1(VALU_DEP_1)
	v_fma_f32 v40, -v40, v42, v97
	v_div_fmas_f32 v40, v40, v41, v42
	s_delay_alu instid0(VALU_DEP_1) | instskip(NEXT) | instid1(VALU_DEP_1)
	v_div_fixup_f32 v41, v40, v38, -v39
	v_fma_f32 v38, -v39, v41, v38
	s_delay_alu instid0(VALU_DEP_1) | instskip(NEXT) | instid1(VALU_DEP_1)
	v_div_scale_f32 v39, null, v38, v38, 1.0
	v_rcp_f32_e32 v40, v39
	v_nop
	s_delay_alu instid0(TRANS32_DEP_1) | instskip(NEXT) | instid1(VALU_DEP_1)
	v_fma_f32 v42, -v39, v40, 1.0
	v_fmac_f32_e32 v40, v42, v40
	v_div_scale_f32 v42, vcc_lo, 1.0, v38, 1.0
	s_delay_alu instid0(VALU_DEP_1) | instskip(NEXT) | instid1(VALU_DEP_1)
	v_mul_f32_e32 v97, v42, v40
	v_fma_f32 v98, -v39, v97, v42
	s_delay_alu instid0(VALU_DEP_1) | instskip(NEXT) | instid1(VALU_DEP_1)
	v_fmac_f32_e32 v97, v98, v40
	v_fma_f32 v39, -v39, v97, v42
	s_delay_alu instid0(VALU_DEP_1) | instskip(NEXT) | instid1(VALU_DEP_1)
	v_div_fmas_f32 v39, v39, v40, v97
	v_div_fixup_f32 v40, v39, v38, 1.0
	s_delay_alu instid0(VALU_DEP_1)
	v_mul_f32_e64 v41, v41, -v40
.LBB156_1079:                           ;   in Loop: Header=BB156_3 Depth=1
	s_or_b32 exec_lo, exec_lo, s12
	ds_store_b64 v77, v[40:41]
.LBB156_1080:                           ;   in Loop: Header=BB156_3 Depth=1
	s_or_b32 exec_lo, exec_lo, s84
	s_and_not1_saveexec_b32 s10, s10
	s_cbranch_execz .LBB156_16
.LBB156_1081:                           ;   in Loop: Header=BB156_3 Depth=1
	v_lshl_add_u64 v[38:39], v[10:11], 3, v[36:37]
	flat_load_b64 v[38:39], v[38:39]
	s_wait_loadcnt_dscnt 0x0
	v_xor_b32_e32 v38, 0x80000000, v38
	ds_store_b64 v77, v[38:39]
	s_or_b32 exec_lo, exec_lo, s10
	s_and_saveexec_b32 s10, s7
	s_delay_alu instid0(SALU_CYCLE_1)
	s_xor_b32 s10, exec_lo, s10
	s_cbranch_execz .LBB156_17
.LBB156_1082:                           ;   in Loop: Header=BB156_3 Depth=1
	s_mov_b32 s12, exec_lo
	v_readlane_b32 s53, v108, 22
	s_and_b32 s53, s12, s53
	s_delay_alu instid0(SALU_CYCLE_1)
	s_xor_b32 s12, s53, s12
	s_mov_b32 exec_lo, s53
	s_cbranch_execz .LBB156_1086
; %bb.1083:                             ;   in Loop: Header=BB156_3 Depth=1
	s_mov_b32 s53, exec_lo
	v_readlane_b32 s54, v107, 8
	s_and_b32 s54, s53, s54
	s_delay_alu instid0(SALU_CYCLE_1)
	s_mov_b32 exec_lo, s54
; %bb.1084:                             ;   in Loop: Header=BB156_3 Depth=1
	ds_store_b64 v78, v[20:21]
; %bb.1085:                             ;   in Loop: Header=BB156_3 Depth=1
	s_or_b32 exec_lo, exec_lo, s53
.LBB156_1086:                           ;   in Loop: Header=BB156_3 Depth=1
	s_and_not1_saveexec_b32 s84, s12
	s_cbranch_execz .LBB156_1092
; %bb.1087:                             ;   in Loop: Header=BB156_3 Depth=1
	v_lshl_add_u64 v[38:39], v[12:13], 3, v[36:37]
                                        ; implicit-def: $vgpr40_vgpr41
	flat_load_b64 v[38:39], v[38:39]
	s_wait_loadcnt_dscnt 0x0
	v_cmp_ngt_f32_e64 s12, |v38|, |v39|
	s_and_saveexec_b32 s53, s12
	s_delay_alu instid0(SALU_CYCLE_1)
	s_xor_b32 s12, exec_lo, s53
	s_cbranch_execz .LBB156_1089
; %bb.1088:                             ;   in Loop: Header=BB156_3 Depth=1
	v_div_scale_f32 v40, null, -v39, -v39, v38
	v_div_scale_f32 v97, vcc_lo, v38, -v39, v38
	s_delay_alu instid0(VALU_DEP_2) | instskip(SKIP_1) | instid1(TRANS32_DEP_1)
	v_rcp_f32_e32 v41, v40
	v_nop
	v_fma_f32 v42, -v40, v41, 1.0
	s_delay_alu instid0(VALU_DEP_1) | instskip(NEXT) | instid1(VALU_DEP_1)
	v_fmac_f32_e32 v41, v42, v41
	v_mul_f32_e32 v42, v97, v41
	s_delay_alu instid0(VALU_DEP_1) | instskip(NEXT) | instid1(VALU_DEP_1)
	v_fma_f32 v98, -v40, v42, v97
	v_fmac_f32_e32 v42, v98, v41
	s_delay_alu instid0(VALU_DEP_1) | instskip(NEXT) | instid1(VALU_DEP_1)
	v_fma_f32 v40, -v40, v42, v97
	v_div_fmas_f32 v40, v40, v41, v42
	s_delay_alu instid0(VALU_DEP_1) | instskip(NEXT) | instid1(VALU_DEP_1)
	v_div_fixup_f32 v40, v40, -v39, v38
	v_fma_f32 v38, v38, v40, -v39
	s_delay_alu instid0(VALU_DEP_1) | instskip(SKIP_1) | instid1(VALU_DEP_2)
	v_div_scale_f32 v39, null, v38, v38, 1.0
	v_div_scale_f32 v97, vcc_lo, 1.0, v38, 1.0
	v_rcp_f32_e32 v41, v39
	v_nop
	s_delay_alu instid0(TRANS32_DEP_1) | instskip(NEXT) | instid1(VALU_DEP_1)
	v_fma_f32 v42, -v39, v41, 1.0
	v_fmac_f32_e32 v41, v42, v41
	s_delay_alu instid0(VALU_DEP_1) | instskip(NEXT) | instid1(VALU_DEP_1)
	v_mul_f32_e32 v42, v97, v41
	v_fma_f32 v98, -v39, v42, v97
	s_delay_alu instid0(VALU_DEP_1) | instskip(NEXT) | instid1(VALU_DEP_1)
	v_fmac_f32_e32 v42, v98, v41
	v_fma_f32 v39, -v39, v42, v97
	s_delay_alu instid0(VALU_DEP_1) | instskip(NEXT) | instid1(VALU_DEP_1)
	v_div_fmas_f32 v39, v39, v41, v42
	v_div_fixup_f32 v38, v39, v38, 1.0
	s_delay_alu instid0(VALU_DEP_1)
	v_mul_f32_e32 v40, v40, v38
	v_xor_b32_e32 v41, 0x80000000, v38
                                        ; implicit-def: $vgpr38_vgpr39
.LBB156_1089:                           ;   in Loop: Header=BB156_3 Depth=1
	s_and_not1_saveexec_b32 s12, s12
	s_cbranch_execz .LBB156_1091
; %bb.1090:                             ;   in Loop: Header=BB156_3 Depth=1
	v_div_scale_f32 v40, null, v38, v38, -v39
	v_div_scale_f32 v97, vcc_lo, -v39, v38, -v39
	s_delay_alu instid0(VALU_DEP_2) | instskip(SKIP_1) | instid1(TRANS32_DEP_1)
	v_rcp_f32_e32 v41, v40
	v_nop
	v_fma_f32 v42, -v40, v41, 1.0
	s_delay_alu instid0(VALU_DEP_1) | instskip(NEXT) | instid1(VALU_DEP_1)
	v_fmac_f32_e32 v41, v42, v41
	v_mul_f32_e32 v42, v97, v41
	s_delay_alu instid0(VALU_DEP_1) | instskip(NEXT) | instid1(VALU_DEP_1)
	v_fma_f32 v98, -v40, v42, v97
	v_fmac_f32_e32 v42, v98, v41
	s_delay_alu instid0(VALU_DEP_1) | instskip(NEXT) | instid1(VALU_DEP_1)
	v_fma_f32 v40, -v40, v42, v97
	v_div_fmas_f32 v40, v40, v41, v42
	s_delay_alu instid0(VALU_DEP_1) | instskip(NEXT) | instid1(VALU_DEP_1)
	v_div_fixup_f32 v41, v40, v38, -v39
	v_fma_f32 v38, -v39, v41, v38
	s_delay_alu instid0(VALU_DEP_1) | instskip(NEXT) | instid1(VALU_DEP_1)
	v_div_scale_f32 v39, null, v38, v38, 1.0
	v_rcp_f32_e32 v40, v39
	v_nop
	s_delay_alu instid0(TRANS32_DEP_1) | instskip(NEXT) | instid1(VALU_DEP_1)
	v_fma_f32 v42, -v39, v40, 1.0
	v_fmac_f32_e32 v40, v42, v40
	v_div_scale_f32 v42, vcc_lo, 1.0, v38, 1.0
	s_delay_alu instid0(VALU_DEP_1) | instskip(NEXT) | instid1(VALU_DEP_1)
	v_mul_f32_e32 v97, v42, v40
	v_fma_f32 v98, -v39, v97, v42
	s_delay_alu instid0(VALU_DEP_1) | instskip(NEXT) | instid1(VALU_DEP_1)
	v_fmac_f32_e32 v97, v98, v40
	v_fma_f32 v39, -v39, v97, v42
	s_delay_alu instid0(VALU_DEP_1) | instskip(NEXT) | instid1(VALU_DEP_1)
	v_div_fmas_f32 v39, v39, v40, v97
	v_div_fixup_f32 v40, v39, v38, 1.0
	s_delay_alu instid0(VALU_DEP_1)
	v_mul_f32_e64 v41, v41, -v40
.LBB156_1091:                           ;   in Loop: Header=BB156_3 Depth=1
	s_or_b32 exec_lo, exec_lo, s12
	ds_store_b64 v78, v[40:41]
.LBB156_1092:                           ;   in Loop: Header=BB156_3 Depth=1
	s_or_b32 exec_lo, exec_lo, s84
	s_and_not1_saveexec_b32 s10, s10
	s_cbranch_execz .LBB156_18
.LBB156_1093:                           ;   in Loop: Header=BB156_3 Depth=1
	v_lshl_add_u64 v[38:39], v[12:13], 3, v[36:37]
	flat_load_b64 v[38:39], v[38:39]
	s_wait_loadcnt_dscnt 0x0
	v_xor_b32_e32 v38, 0x80000000, v38
	ds_store_b64 v78, v[38:39]
	s_or_b32 exec_lo, exec_lo, s10
	s_and_saveexec_b32 s10, s8
	s_delay_alu instid0(SALU_CYCLE_1)
	s_xor_b32 s10, exec_lo, s10
	s_cbranch_execz .LBB156_19
.LBB156_1094:                           ;   in Loop: Header=BB156_3 Depth=1
	s_mov_b32 s12, exec_lo
	v_readlane_b32 s53, v108, 24
	s_and_b32 s53, s12, s53
	s_delay_alu instid0(SALU_CYCLE_1)
	s_xor_b32 s12, s53, s12
	s_mov_b32 exec_lo, s53
	s_cbranch_execz .LBB156_1098
; %bb.1095:                             ;   in Loop: Header=BB156_3 Depth=1
	s_mov_b32 s53, exec_lo
	v_readlane_b32 s54, v107, 9
	s_and_b32 s54, s53, s54
	s_delay_alu instid0(SALU_CYCLE_1)
	s_mov_b32 exec_lo, s54
; %bb.1096:                             ;   in Loop: Header=BB156_3 Depth=1
	ds_store_b64 v80, v[20:21]
; %bb.1097:                             ;   in Loop: Header=BB156_3 Depth=1
	s_or_b32 exec_lo, exec_lo, s53
.LBB156_1098:                           ;   in Loop: Header=BB156_3 Depth=1
	s_and_not1_saveexec_b32 s84, s12
	s_cbranch_execz .LBB156_1104
; %bb.1099:                             ;   in Loop: Header=BB156_3 Depth=1
	v_lshl_add_u64 v[38:39], v[16:17], 3, v[36:37]
                                        ; implicit-def: $vgpr40_vgpr41
	flat_load_b64 v[38:39], v[38:39]
	s_wait_loadcnt_dscnt 0x0
	v_cmp_ngt_f32_e64 s12, |v38|, |v39|
	s_and_saveexec_b32 s53, s12
	s_delay_alu instid0(SALU_CYCLE_1)
	s_xor_b32 s12, exec_lo, s53
	s_cbranch_execz .LBB156_1101
; %bb.1100:                             ;   in Loop: Header=BB156_3 Depth=1
	v_div_scale_f32 v40, null, -v39, -v39, v38
	v_div_scale_f32 v97, vcc_lo, v38, -v39, v38
	s_delay_alu instid0(VALU_DEP_2) | instskip(SKIP_1) | instid1(TRANS32_DEP_1)
	v_rcp_f32_e32 v41, v40
	v_nop
	v_fma_f32 v42, -v40, v41, 1.0
	s_delay_alu instid0(VALU_DEP_1) | instskip(NEXT) | instid1(VALU_DEP_1)
	v_fmac_f32_e32 v41, v42, v41
	v_mul_f32_e32 v42, v97, v41
	s_delay_alu instid0(VALU_DEP_1) | instskip(NEXT) | instid1(VALU_DEP_1)
	v_fma_f32 v98, -v40, v42, v97
	v_fmac_f32_e32 v42, v98, v41
	s_delay_alu instid0(VALU_DEP_1) | instskip(NEXT) | instid1(VALU_DEP_1)
	v_fma_f32 v40, -v40, v42, v97
	v_div_fmas_f32 v40, v40, v41, v42
	s_delay_alu instid0(VALU_DEP_1) | instskip(NEXT) | instid1(VALU_DEP_1)
	v_div_fixup_f32 v40, v40, -v39, v38
	v_fma_f32 v38, v38, v40, -v39
	s_delay_alu instid0(VALU_DEP_1) | instskip(SKIP_1) | instid1(VALU_DEP_2)
	v_div_scale_f32 v39, null, v38, v38, 1.0
	v_div_scale_f32 v97, vcc_lo, 1.0, v38, 1.0
	v_rcp_f32_e32 v41, v39
	v_nop
	s_delay_alu instid0(TRANS32_DEP_1) | instskip(NEXT) | instid1(VALU_DEP_1)
	v_fma_f32 v42, -v39, v41, 1.0
	v_fmac_f32_e32 v41, v42, v41
	s_delay_alu instid0(VALU_DEP_1) | instskip(NEXT) | instid1(VALU_DEP_1)
	v_mul_f32_e32 v42, v97, v41
	v_fma_f32 v98, -v39, v42, v97
	s_delay_alu instid0(VALU_DEP_1) | instskip(NEXT) | instid1(VALU_DEP_1)
	v_fmac_f32_e32 v42, v98, v41
	v_fma_f32 v39, -v39, v42, v97
	s_delay_alu instid0(VALU_DEP_1) | instskip(NEXT) | instid1(VALU_DEP_1)
	v_div_fmas_f32 v39, v39, v41, v42
	v_div_fixup_f32 v38, v39, v38, 1.0
	s_delay_alu instid0(VALU_DEP_1)
	v_mul_f32_e32 v40, v40, v38
	v_xor_b32_e32 v41, 0x80000000, v38
                                        ; implicit-def: $vgpr38_vgpr39
.LBB156_1101:                           ;   in Loop: Header=BB156_3 Depth=1
	s_and_not1_saveexec_b32 s12, s12
	s_cbranch_execz .LBB156_1103
; %bb.1102:                             ;   in Loop: Header=BB156_3 Depth=1
	v_div_scale_f32 v40, null, v38, v38, -v39
	v_div_scale_f32 v97, vcc_lo, -v39, v38, -v39
	s_delay_alu instid0(VALU_DEP_2) | instskip(SKIP_1) | instid1(TRANS32_DEP_1)
	v_rcp_f32_e32 v41, v40
	v_nop
	v_fma_f32 v42, -v40, v41, 1.0
	s_delay_alu instid0(VALU_DEP_1) | instskip(NEXT) | instid1(VALU_DEP_1)
	v_fmac_f32_e32 v41, v42, v41
	v_mul_f32_e32 v42, v97, v41
	s_delay_alu instid0(VALU_DEP_1) | instskip(NEXT) | instid1(VALU_DEP_1)
	v_fma_f32 v98, -v40, v42, v97
	v_fmac_f32_e32 v42, v98, v41
	s_delay_alu instid0(VALU_DEP_1) | instskip(NEXT) | instid1(VALU_DEP_1)
	v_fma_f32 v40, -v40, v42, v97
	v_div_fmas_f32 v40, v40, v41, v42
	s_delay_alu instid0(VALU_DEP_1) | instskip(NEXT) | instid1(VALU_DEP_1)
	v_div_fixup_f32 v41, v40, v38, -v39
	v_fma_f32 v38, -v39, v41, v38
	s_delay_alu instid0(VALU_DEP_1) | instskip(NEXT) | instid1(VALU_DEP_1)
	v_div_scale_f32 v39, null, v38, v38, 1.0
	v_rcp_f32_e32 v40, v39
	v_nop
	s_delay_alu instid0(TRANS32_DEP_1) | instskip(NEXT) | instid1(VALU_DEP_1)
	v_fma_f32 v42, -v39, v40, 1.0
	v_fmac_f32_e32 v40, v42, v40
	v_div_scale_f32 v42, vcc_lo, 1.0, v38, 1.0
	s_delay_alu instid0(VALU_DEP_1) | instskip(NEXT) | instid1(VALU_DEP_1)
	v_mul_f32_e32 v97, v42, v40
	v_fma_f32 v98, -v39, v97, v42
	s_delay_alu instid0(VALU_DEP_1) | instskip(NEXT) | instid1(VALU_DEP_1)
	v_fmac_f32_e32 v97, v98, v40
	v_fma_f32 v39, -v39, v97, v42
	s_delay_alu instid0(VALU_DEP_1) | instskip(NEXT) | instid1(VALU_DEP_1)
	v_div_fmas_f32 v39, v39, v40, v97
	v_div_fixup_f32 v40, v39, v38, 1.0
	s_delay_alu instid0(VALU_DEP_1)
	v_mul_f32_e64 v41, v41, -v40
.LBB156_1103:                           ;   in Loop: Header=BB156_3 Depth=1
	s_or_b32 exec_lo, exec_lo, s12
	ds_store_b64 v80, v[40:41]
.LBB156_1104:                           ;   in Loop: Header=BB156_3 Depth=1
	s_or_b32 exec_lo, exec_lo, s84
	s_and_not1_saveexec_b32 s10, s10
	s_cbranch_execz .LBB156_20
.LBB156_1105:                           ;   in Loop: Header=BB156_3 Depth=1
	v_lshl_add_u64 v[38:39], v[16:17], 3, v[36:37]
	flat_load_b64 v[38:39], v[38:39]
	s_wait_loadcnt_dscnt 0x0
	v_xor_b32_e32 v38, 0x80000000, v38
	ds_store_b64 v80, v[38:39]
	s_or_b32 exec_lo, exec_lo, s10
	s_and_saveexec_b32 s10, s9
	s_delay_alu instid0(SALU_CYCLE_1)
	s_xor_b32 s10, exec_lo, s10
	s_cbranch_execz .LBB156_21
.LBB156_1106:                           ;   in Loop: Header=BB156_3 Depth=1
	s_mov_b32 s12, exec_lo
	v_readlane_b32 s53, v108, 26
	s_and_b32 s53, s12, s53
	s_delay_alu instid0(SALU_CYCLE_1)
	s_xor_b32 s12, s53, s12
	s_mov_b32 exec_lo, s53
	s_cbranch_execz .LBB156_1110
; %bb.1107:                             ;   in Loop: Header=BB156_3 Depth=1
	s_mov_b32 s53, exec_lo
	v_readlane_b32 s54, v107, 10
	s_and_b32 s54, s53, s54
	s_delay_alu instid0(SALU_CYCLE_1)
	s_mov_b32 exec_lo, s54
; %bb.1108:                             ;   in Loop: Header=BB156_3 Depth=1
	ds_store_b64 v82, v[20:21]
; %bb.1109:                             ;   in Loop: Header=BB156_3 Depth=1
	s_or_b32 exec_lo, exec_lo, s53
.LBB156_1110:                           ;   in Loop: Header=BB156_3 Depth=1
	s_and_not1_saveexec_b32 s84, s12
	s_cbranch_execz .LBB156_1116
; %bb.1111:                             ;   in Loop: Header=BB156_3 Depth=1
	v_lshl_add_u64 v[38:39], v[18:19], 3, v[36:37]
                                        ; implicit-def: $vgpr40_vgpr41
	flat_load_b64 v[38:39], v[38:39]
	s_wait_loadcnt_dscnt 0x0
	v_cmp_ngt_f32_e64 s12, |v38|, |v39|
	s_and_saveexec_b32 s53, s12
	s_delay_alu instid0(SALU_CYCLE_1)
	s_xor_b32 s12, exec_lo, s53
	s_cbranch_execz .LBB156_1113
; %bb.1112:                             ;   in Loop: Header=BB156_3 Depth=1
	v_div_scale_f32 v40, null, -v39, -v39, v38
	v_div_scale_f32 v97, vcc_lo, v38, -v39, v38
	s_delay_alu instid0(VALU_DEP_2) | instskip(SKIP_1) | instid1(TRANS32_DEP_1)
	v_rcp_f32_e32 v41, v40
	v_nop
	v_fma_f32 v42, -v40, v41, 1.0
	s_delay_alu instid0(VALU_DEP_1) | instskip(NEXT) | instid1(VALU_DEP_1)
	v_fmac_f32_e32 v41, v42, v41
	v_mul_f32_e32 v42, v97, v41
	s_delay_alu instid0(VALU_DEP_1) | instskip(NEXT) | instid1(VALU_DEP_1)
	v_fma_f32 v98, -v40, v42, v97
	v_fmac_f32_e32 v42, v98, v41
	s_delay_alu instid0(VALU_DEP_1) | instskip(NEXT) | instid1(VALU_DEP_1)
	v_fma_f32 v40, -v40, v42, v97
	v_div_fmas_f32 v40, v40, v41, v42
	s_delay_alu instid0(VALU_DEP_1) | instskip(NEXT) | instid1(VALU_DEP_1)
	v_div_fixup_f32 v40, v40, -v39, v38
	v_fma_f32 v38, v38, v40, -v39
	s_delay_alu instid0(VALU_DEP_1) | instskip(SKIP_1) | instid1(VALU_DEP_2)
	v_div_scale_f32 v39, null, v38, v38, 1.0
	v_div_scale_f32 v97, vcc_lo, 1.0, v38, 1.0
	v_rcp_f32_e32 v41, v39
	v_nop
	s_delay_alu instid0(TRANS32_DEP_1) | instskip(NEXT) | instid1(VALU_DEP_1)
	v_fma_f32 v42, -v39, v41, 1.0
	v_fmac_f32_e32 v41, v42, v41
	s_delay_alu instid0(VALU_DEP_1) | instskip(NEXT) | instid1(VALU_DEP_1)
	v_mul_f32_e32 v42, v97, v41
	v_fma_f32 v98, -v39, v42, v97
	s_delay_alu instid0(VALU_DEP_1) | instskip(NEXT) | instid1(VALU_DEP_1)
	v_fmac_f32_e32 v42, v98, v41
	v_fma_f32 v39, -v39, v42, v97
	s_delay_alu instid0(VALU_DEP_1) | instskip(NEXT) | instid1(VALU_DEP_1)
	v_div_fmas_f32 v39, v39, v41, v42
	v_div_fixup_f32 v38, v39, v38, 1.0
	s_delay_alu instid0(VALU_DEP_1)
	v_mul_f32_e32 v40, v40, v38
	v_xor_b32_e32 v41, 0x80000000, v38
                                        ; implicit-def: $vgpr38_vgpr39
.LBB156_1113:                           ;   in Loop: Header=BB156_3 Depth=1
	s_and_not1_saveexec_b32 s12, s12
	s_cbranch_execz .LBB156_1115
; %bb.1114:                             ;   in Loop: Header=BB156_3 Depth=1
	v_div_scale_f32 v40, null, v38, v38, -v39
	v_div_scale_f32 v97, vcc_lo, -v39, v38, -v39
	s_delay_alu instid0(VALU_DEP_2) | instskip(SKIP_1) | instid1(TRANS32_DEP_1)
	v_rcp_f32_e32 v41, v40
	v_nop
	v_fma_f32 v42, -v40, v41, 1.0
	s_delay_alu instid0(VALU_DEP_1) | instskip(NEXT) | instid1(VALU_DEP_1)
	v_fmac_f32_e32 v41, v42, v41
	v_mul_f32_e32 v42, v97, v41
	s_delay_alu instid0(VALU_DEP_1) | instskip(NEXT) | instid1(VALU_DEP_1)
	v_fma_f32 v98, -v40, v42, v97
	v_fmac_f32_e32 v42, v98, v41
	s_delay_alu instid0(VALU_DEP_1) | instskip(NEXT) | instid1(VALU_DEP_1)
	v_fma_f32 v40, -v40, v42, v97
	v_div_fmas_f32 v40, v40, v41, v42
	s_delay_alu instid0(VALU_DEP_1) | instskip(NEXT) | instid1(VALU_DEP_1)
	v_div_fixup_f32 v41, v40, v38, -v39
	v_fma_f32 v38, -v39, v41, v38
	s_delay_alu instid0(VALU_DEP_1) | instskip(NEXT) | instid1(VALU_DEP_1)
	v_div_scale_f32 v39, null, v38, v38, 1.0
	v_rcp_f32_e32 v40, v39
	v_nop
	s_delay_alu instid0(TRANS32_DEP_1) | instskip(NEXT) | instid1(VALU_DEP_1)
	v_fma_f32 v42, -v39, v40, 1.0
	v_fmac_f32_e32 v40, v42, v40
	v_div_scale_f32 v42, vcc_lo, 1.0, v38, 1.0
	s_delay_alu instid0(VALU_DEP_1) | instskip(NEXT) | instid1(VALU_DEP_1)
	v_mul_f32_e32 v97, v42, v40
	v_fma_f32 v98, -v39, v97, v42
	s_delay_alu instid0(VALU_DEP_1) | instskip(NEXT) | instid1(VALU_DEP_1)
	v_fmac_f32_e32 v97, v98, v40
	v_fma_f32 v39, -v39, v97, v42
	s_delay_alu instid0(VALU_DEP_1) | instskip(NEXT) | instid1(VALU_DEP_1)
	v_div_fmas_f32 v39, v39, v40, v97
	v_div_fixup_f32 v40, v39, v38, 1.0
	s_delay_alu instid0(VALU_DEP_1)
	v_mul_f32_e64 v41, v41, -v40
.LBB156_1115:                           ;   in Loop: Header=BB156_3 Depth=1
	s_or_b32 exec_lo, exec_lo, s12
	ds_store_b64 v82, v[40:41]
.LBB156_1116:                           ;   in Loop: Header=BB156_3 Depth=1
	s_or_b32 exec_lo, exec_lo, s84
	s_and_not1_saveexec_b32 s10, s10
	s_cbranch_execnz .LBB156_22
	s_branch .LBB156_23
.LBB156_1117:                           ;   in Loop: Header=BB156_3 Depth=1
	ds_load_b64 v[30:31], v93
	ds_load_b64 v[32:33], v83
	s_wait_dscnt 0x0
	v_dual_mul_f32 v38, v33, v31 :: v_dual_mul_f32 v31, v32, v31
	s_delay_alu instid0(VALU_DEP_1) | instskip(NEXT) | instid1(VALU_DEP_1)
	v_dual_fma_f32 v32, v32, v30, -v38 :: v_dual_fmac_f32 v31, v33, v30
	v_dual_add_f32 v30, 0, v32 :: v_dual_add_f32 v31, 0, v31
	s_or_b32 exec_lo, exec_lo, s10
	s_and_saveexec_b32 s10, s7
	s_cbranch_execz .LBB156_1048
.LBB156_1118:                           ;   in Loop: Header=BB156_3 Depth=1
	ds_load_b64 v[32:33], v93 offset:8192
	ds_load_b64 v[38:39], v83 offset:128
	s_wait_dscnt 0x0
	v_dual_mul_f32 v40, v39, v33 :: v_dual_mul_f32 v41, v38, v33
	s_delay_alu instid0(VALU_DEP_1) | instskip(NEXT) | instid1(VALU_DEP_1)
	v_dual_fma_f32 v40, v38, v32, -v40 :: v_dual_fmac_f32 v41, v39, v32
	v_pk_add_f32 v[30:31], v[30:31], v[40:41]
	s_or_b32 exec_lo, exec_lo, s10
	s_and_saveexec_b32 s10, s8
	s_cbranch_execz .LBB156_1049
.LBB156_1119:                           ;   in Loop: Header=BB156_3 Depth=1
	ds_load_b64 v[32:33], v93 offset:16384
	ds_load_b64 v[38:39], v83 offset:256
	s_wait_dscnt 0x0
	v_pk_mul_f32 v[40:41], v[38:39], v[32:33] op_sel:[1,1] op_sel_hi:[0,1]
	s_delay_alu instid0(VALU_DEP_1) | instskip(SKIP_1) | instid1(VALU_DEP_2)
	v_pk_fma_f32 v[98:99], v[38:39], v[32:33], v[40:41] op_sel_hi:[1,0,1]
	v_pk_fma_f32 v[32:33], v[38:39], v[32:33], v[40:41] neg_lo:[0,0,1] neg_hi:[0,0,1]
	v_mov_b32_e32 v33, v99
	s_delay_alu instid0(VALU_DEP_1)
	v_pk_add_f32 v[30:31], v[30:31], v[32:33]
	s_or_b32 exec_lo, exec_lo, s10
	s_and_saveexec_b32 s10, s9
	s_cbranch_execnz .LBB156_1050
	s_branch .LBB156_1051
.LBB156_1120:                           ;   in Loop: Header=BB156_3 Depth=1
	s_or_b32 exec_lo, exec_lo, s12
	s_delay_alu instid0(SALU_CYCLE_1)
	s_and_b32 vcc_lo, exec_lo, s84
	s_cbranch_vccnz .LBB156_1054
.LBB156_1121:                           ;   in Loop: Header=BB156_3 Depth=1
	v_mov_b64_e32 v[36:37], v[32:33]
	s_and_saveexec_b32 s12, s10
	s_cbranch_execnz .LBB156_1067
	s_branch .LBB156_1068
.LBB156_1122:                           ;   in Loop: Header=BB156_3 Depth=1
	s_and_not1_b32 s10, s10, exec_lo
	s_and_b32 s53, s2, exec_lo
	s_delay_alu instid0(SALU_CYCLE_1)
	s_or_b32 s10, s10, s53
	s_cbranch_execnz .LBB156_1066
.LBB156_1123:                           ;   in Loop: Header=BB156_3 Depth=1
	v_readlane_b32 s12, v108, 11
	s_and_not1_b32 s10, s10, exec_lo
	s_and_b32 s12, s12, exec_lo
	s_delay_alu instid0(SALU_CYCLE_1) | instskip(NEXT) | instid1(SALU_CYCLE_1)
	s_or_b32 s10, s10, s12
	s_and_saveexec_b32 s12, s10
	s_cbranch_execnz .LBB156_1067
	s_branch .LBB156_1068
.LBB156_1124:                           ;   in Loop: Header=BB156_3 Depth=1
	ds_load_b64 v[38:39], v52 offset:544
	ds_load_b64 v[40:41], v47 offset:8
	s_wait_dscnt 0x0
	v_pk_mul_f32 v[98:99], v[40:41], v[38:39] op_sel:[0,1]
	s_delay_alu instid0(VALU_DEP_1) | instskip(SKIP_1) | instid1(VALU_DEP_2)
	v_pk_fma_f32 v[100:101], v[40:41], v[38:39], v[98:99] op_sel:[1,0,0] op_sel_hi:[0,0,1] neg_lo:[0,0,1] neg_hi:[0,0,1]
	v_pk_fma_f32 v[38:39], v[40:41], v[38:39], v[98:99] op_sel:[1,0,0] op_sel_hi:[0,1,1]
	v_mov_b32_e32 v39, v101
	s_delay_alu instid0(VALU_DEP_1)
	v_pk_add_f32 v[36:37], v[36:37], v[38:39]
	s_or_b32 exec_lo, exec_lo, s12
	s_and_saveexec_b32 s12, s17
	s_cbranch_execz .LBB156_104
.LBB156_1125:                           ;   in Loop: Header=BB156_3 Depth=1
	ds_load_b64 v[38:39], v51 offset:1056
	ds_load_b64 v[40:41], v47 offset:16
	s_wait_dscnt 0x0
	v_pk_mul_f32 v[98:99], v[40:41], v[38:39] op_sel:[0,1]
	s_delay_alu instid0(VALU_DEP_1) | instskip(SKIP_1) | instid1(VALU_DEP_2)
	v_pk_fma_f32 v[100:101], v[40:41], v[38:39], v[98:99] op_sel:[1,0,0] op_sel_hi:[0,0,1] neg_lo:[0,0,1] neg_hi:[0,0,1]
	v_pk_fma_f32 v[38:39], v[40:41], v[38:39], v[98:99] op_sel:[1,0,0] op_sel_hi:[0,1,1]
	v_mov_b32_e32 v39, v101
	s_delay_alu instid0(VALU_DEP_1)
	v_pk_add_f32 v[36:37], v[36:37], v[38:39]
	s_or_b32 exec_lo, exec_lo, s12
	s_and_saveexec_b32 s12, s1
	s_cbranch_execnz .LBB156_105
	s_branch .LBB156_106
.LBB156_1126:                           ;   in Loop: Header=BB156_3 Depth=1
	ds_load_b64 v[38:39], v62 offset:576
	ds_load_b64 v[40:41], v57 offset:8
	s_wait_dscnt 0x0
	v_dual_mul_f32 v42, v41, v39 :: v_dual_mul_f32 v39, v40, v39
	s_delay_alu instid0(VALU_DEP_1) | instskip(NEXT) | instid1(VALU_DEP_1)
	v_dual_fma_f32 v40, v40, v38, -v42 :: v_dual_fmac_f32 v39, v41, v38
	v_dual_add_f32 v37, v37, v40 :: v_dual_add_f32 v36, v36, v39
	s_or_b32 exec_lo, exec_lo, s12
	s_and_saveexec_b32 s12, s19
	s_cbranch_execz .LBB156_146
.LBB156_1127:                           ;   in Loop: Header=BB156_3 Depth=1
	ds_load_b64 v[38:39], v62 offset:1088
	ds_load_b64 v[40:41], v57 offset:16
	s_wait_dscnt 0x0
	v_dual_mul_f32 v42, v41, v39 :: v_dual_mul_f32 v39, v40, v39
	s_delay_alu instid0(VALU_DEP_1) | instskip(NEXT) | instid1(VALU_DEP_1)
	v_dual_fma_f32 v40, v40, v38, -v42 :: v_dual_fmac_f32 v39, v41, v38
	v_dual_add_f32 v37, v37, v40 :: v_dual_add_f32 v36, v36, v39
	s_or_b32 exec_lo, exec_lo, s12
	s_and_saveexec_b32 s12, s20
	s_cbranch_execz .LBB156_147
.LBB156_1128:                           ;   in Loop: Header=BB156_3 Depth=1
	ds_load_b64 v[38:39], v62 offset:1600
	ds_load_b64 v[40:41], v57 offset:24
	s_wait_dscnt 0x0
	v_dual_mul_f32 v42, v41, v39 :: v_dual_mul_f32 v39, v40, v39
	s_delay_alu instid0(VALU_DEP_1) | instskip(NEXT) | instid1(VALU_DEP_1)
	v_dual_fma_f32 v40, v40, v38, -v42 :: v_dual_fmac_f32 v39, v41, v38
	v_dual_add_f32 v37, v37, v40 :: v_dual_add_f32 v36, v36, v39
	s_or_b32 exec_lo, exec_lo, s12
	s_and_saveexec_b32 s12, s21
	s_cbranch_execz .LBB156_148
.LBB156_1129:                           ;   in Loop: Header=BB156_3 Depth=1
	ds_load_b64 v[38:39], v61 offset:2112
	ds_load_b64 v[40:41], v57 offset:32
	s_wait_dscnt 0x0
	v_dual_mul_f32 v42, v41, v39 :: v_dual_mul_f32 v98, v40, v39
	s_delay_alu instid0(VALU_DEP_1) | instskip(NEXT) | instid1(VALU_DEP_2)
	v_fma_f32 v99, v40, v38, -v42
	v_fmac_f32_e32 v98, v41, v38
	s_delay_alu instid0(VALU_DEP_1)
	v_pk_add_f32 v[36:37], v[36:37], v[98:99]
	s_or_b32 exec_lo, exec_lo, s12
	s_and_saveexec_b32 s12, s22
	s_cbranch_execz .LBB156_149
.LBB156_1130:                           ;   in Loop: Header=BB156_3 Depth=1
	ds_load_b64 v[38:39], v62 offset:2624
	ds_load_b64 v[40:41], v57 offset:40
	s_wait_dscnt 0x0
	v_pk_mul_f32 v[98:99], v[40:41], v[38:39] op_sel:[0,1]
	s_delay_alu instid0(VALU_DEP_1) | instskip(SKIP_1) | instid1(VALU_DEP_2)
	v_pk_fma_f32 v[100:101], v[40:41], v[38:39], v[98:99] op_sel:[1,0,0] op_sel_hi:[0,0,1] neg_lo:[0,0,1] neg_hi:[0,0,1]
	v_pk_fma_f32 v[38:39], v[40:41], v[38:39], v[98:99] op_sel:[1,0,0] op_sel_hi:[0,1,1]
	v_mov_b32_e32 v39, v101
	s_delay_alu instid0(VALU_DEP_1)
	v_pk_add_f32 v[36:37], v[36:37], v[38:39]
	s_or_b32 exec_lo, exec_lo, s12
	s_and_saveexec_b32 s12, s3
	s_cbranch_execz .LBB156_150
.LBB156_1131:                           ;   in Loop: Header=BB156_3 Depth=1
	ds_load_b64 v[38:39], v61 offset:3136
	ds_load_b64 v[40:41], v57 offset:48
	s_wait_dscnt 0x0
	v_pk_mul_f32 v[98:99], v[40:41], v[38:39] op_sel:[0,1]
	s_delay_alu instid0(VALU_DEP_1) | instskip(SKIP_1) | instid1(VALU_DEP_2)
	v_pk_fma_f32 v[100:101], v[40:41], v[38:39], v[98:99] op_sel:[1,0,0] op_sel_hi:[0,0,1] neg_lo:[0,0,1] neg_hi:[0,0,1]
	v_pk_fma_f32 v[38:39], v[40:41], v[38:39], v[98:99] op_sel:[1,0,0] op_sel_hi:[0,1,1]
	v_mov_b32_e32 v39, v101
	s_delay_alu instid0(VALU_DEP_1)
	v_pk_add_f32 v[36:37], v[36:37], v[38:39]
	s_or_b32 exec_lo, exec_lo, s12
	s_and_saveexec_b32 s12, s17
	s_cbranch_execnz .LBB156_151
	s_branch .LBB156_152
.LBB156_1132:                           ;   in Loop: Header=BB156_3 Depth=1
	ds_load_b64 v[38:39], v52 offset:4704
	ds_load_b64 v[40:41], v47 offset:4168
	s_wait_dscnt 0x0
	v_pk_mul_f32 v[98:99], v[40:41], v[38:39] op_sel:[0,1]
	s_delay_alu instid0(VALU_DEP_1) | instskip(SKIP_1) | instid1(VALU_DEP_2)
	v_pk_fma_f32 v[100:101], v[40:41], v[38:39], v[98:99] op_sel:[1,0,0] op_sel_hi:[0,0,1] neg_lo:[0,0,1] neg_hi:[0,0,1]
	v_pk_fma_f32 v[38:39], v[40:41], v[38:39], v[98:99] op_sel:[1,0,0] op_sel_hi:[0,1,1]
	v_mov_b32_e32 v39, v101
	s_delay_alu instid0(VALU_DEP_1)
	v_pk_add_f32 v[36:37], v[36:37], v[38:39]
	s_or_b32 exec_lo, exec_lo, s12
	s_and_saveexec_b32 s12, s17
	s_cbranch_execz .LBB156_208
.LBB156_1133:                           ;   in Loop: Header=BB156_3 Depth=1
	ds_load_b64 v[38:39], v51 offset:5216
	ds_load_b64 v[40:41], v47 offset:4176
	s_wait_dscnt 0x0
	v_pk_mul_f32 v[98:99], v[40:41], v[38:39] op_sel:[0,1]
	s_delay_alu instid0(VALU_DEP_1) | instskip(SKIP_1) | instid1(VALU_DEP_2)
	v_pk_fma_f32 v[100:101], v[40:41], v[38:39], v[98:99] op_sel:[1,0,0] op_sel_hi:[0,0,1] neg_lo:[0,0,1] neg_hi:[0,0,1]
	v_pk_fma_f32 v[38:39], v[40:41], v[38:39], v[98:99] op_sel:[1,0,0] op_sel_hi:[0,1,1]
	v_mov_b32_e32 v39, v101
	s_delay_alu instid0(VALU_DEP_1)
	v_pk_add_f32 v[36:37], v[36:37], v[38:39]
	s_or_b32 exec_lo, exec_lo, s12
	s_and_saveexec_b32 s12, s1
	s_cbranch_execnz .LBB156_209
	s_branch .LBB156_210
.LBB156_1134:                           ;   in Loop: Header=BB156_3 Depth=1
	ds_load_b64 v[38:39], v68 offset:5760
	ds_load_b64 v[40:41], v64 offset:88
	s_wait_dscnt 0x0
	v_dual_mul_f32 v42, v41, v39 :: v_dual_mul_f32 v39, v40, v39
	s_delay_alu instid0(VALU_DEP_1) | instskip(NEXT) | instid1(VALU_DEP_1)
	v_dual_fma_f32 v40, v40, v38, -v42 :: v_dual_fmac_f32 v39, v41, v38
	v_dual_add_f32 v37, v37, v40 :: v_dual_add_f32 v36, v36, v39
	s_or_b32 exec_lo, exec_lo, s10
	s_and_saveexec_b32 s10, s4
	s_cbranch_execz .LBB156_270
.LBB156_1135:                           ;   in Loop: Header=BB156_3 Depth=1
	ds_load_b64 v[38:39], v67 offset:6272
	ds_load_b64 v[40:41], v64 offset:96
	s_wait_dscnt 0x0
	v_dual_mul_f32 v42, v41, v39 :: v_dual_mul_f32 v98, v40, v39
	s_delay_alu instid0(VALU_DEP_1) | instskip(NEXT) | instid1(VALU_DEP_2)
	v_fma_f32 v99, v40, v38, -v42
	v_fmac_f32_e32 v98, v41, v38
	s_delay_alu instid0(VALU_DEP_1)
	v_pk_add_f32 v[36:37], v[36:37], v[98:99]
	s_or_b32 exec_lo, exec_lo, s10
	s_and_saveexec_b32 s10, s19
	s_cbranch_execz .LBB156_271
.LBB156_1136:                           ;   in Loop: Header=BB156_3 Depth=1
	ds_load_b64 v[38:39], v68 offset:6784
	ds_load_b64 v[40:41], v64 offset:104
	s_wait_dscnt 0x0
	v_pk_mul_f32 v[98:99], v[40:41], v[38:39] op_sel:[0,1]
	s_delay_alu instid0(VALU_DEP_1) | instskip(SKIP_1) | instid1(VALU_DEP_2)
	v_pk_fma_f32 v[100:101], v[40:41], v[38:39], v[98:99] op_sel:[1,0,0] op_sel_hi:[0,0,1] neg_lo:[0,0,1] neg_hi:[0,0,1]
	v_pk_fma_f32 v[38:39], v[40:41], v[38:39], v[98:99] op_sel:[1,0,0] op_sel_hi:[0,1,1]
	v_mov_b32_e32 v39, v101
	s_delay_alu instid0(VALU_DEP_1)
	v_pk_add_f32 v[36:37], v[36:37], v[38:39]
	s_or_b32 exec_lo, exec_lo, s10
	s_and_saveexec_b32 s10, s21
	s_cbranch_execz .LBB156_272
.LBB156_1137:                           ;   in Loop: Header=BB156_3 Depth=1
	ds_load_b64 v[38:39], v67 offset:7296
	ds_load_b64 v[40:41], v64 offset:112
	s_wait_dscnt 0x0
	v_pk_mul_f32 v[98:99], v[40:41], v[38:39] op_sel:[0,1]
	s_delay_alu instid0(VALU_DEP_1) | instskip(SKIP_1) | instid1(VALU_DEP_2)
	v_pk_fma_f32 v[100:101], v[40:41], v[38:39], v[98:99] op_sel:[1,0,0] op_sel_hi:[0,0,1] neg_lo:[0,0,1] neg_hi:[0,0,1]
	v_pk_fma_f32 v[38:39], v[40:41], v[38:39], v[98:99] op_sel:[1,0,0] op_sel_hi:[0,1,1]
	v_mov_b32_e32 v39, v101
	s_delay_alu instid0(VALU_DEP_1)
	v_pk_add_f32 v[36:37], v[36:37], v[38:39]
	s_or_b32 exec_lo, exec_lo, s10
	s_and_saveexec_b32 s10, s3
	s_cbranch_execnz .LBB156_273
	s_branch .LBB156_274
.LBB156_1138:                           ;   in Loop: Header=BB156_3 Depth=1
	ds_load_b64 v[38:39], v52 offset:8864
	ds_load_b64 v[40:41], v47 offset:8328
	s_wait_dscnt 0x0
	v_pk_mul_f32 v[98:99], v[40:41], v[38:39] op_sel:[0,1]
	s_delay_alu instid0(VALU_DEP_1) | instskip(SKIP_1) | instid1(VALU_DEP_2)
	v_pk_fma_f32 v[100:101], v[40:41], v[38:39], v[98:99] op_sel:[1,0,0] op_sel_hi:[0,0,1] neg_lo:[0,0,1] neg_hi:[0,0,1]
	v_pk_fma_f32 v[38:39], v[40:41], v[38:39], v[98:99] op_sel:[1,0,0] op_sel_hi:[0,1,1]
	v_mov_b32_e32 v39, v101
	s_delay_alu instid0(VALU_DEP_1)
	v_pk_add_f32 v[36:37], v[36:37], v[38:39]
	s_or_b32 exec_lo, exec_lo, s12
	s_and_saveexec_b32 s12, s17
	s_cbranch_execz .LBB156_362
.LBB156_1139:                           ;   in Loop: Header=BB156_3 Depth=1
	ds_load_b64 v[38:39], v51 offset:9376
	ds_load_b64 v[40:41], v47 offset:8336
	s_wait_dscnt 0x0
	v_pk_mul_f32 v[98:99], v[40:41], v[38:39] op_sel:[0,1]
	s_delay_alu instid0(VALU_DEP_1) | instskip(SKIP_1) | instid1(VALU_DEP_2)
	v_pk_fma_f32 v[100:101], v[40:41], v[38:39], v[98:99] op_sel:[1,0,0] op_sel_hi:[0,0,1] neg_lo:[0,0,1] neg_hi:[0,0,1]
	v_pk_fma_f32 v[38:39], v[40:41], v[38:39], v[98:99] op_sel:[1,0,0] op_sel_hi:[0,1,1]
	v_mov_b32_e32 v39, v101
	s_delay_alu instid0(VALU_DEP_1)
	v_pk_add_f32 v[36:37], v[36:37], v[38:39]
	s_or_b32 exec_lo, exec_lo, s12
	s_and_saveexec_b32 s12, s1
	s_cbranch_execnz .LBB156_363
	s_branch .LBB156_364
.LBB156_1140:                           ;   in Loop: Header=BB156_3 Depth=1
	ds_load_b64 v[38:39], v62 offset:8896
	ds_load_b64 v[40:41], v57 offset:8328
	s_wait_dscnt 0x0
	v_dual_mul_f32 v42, v41, v39 :: v_dual_mul_f32 v39, v40, v39
	s_delay_alu instid0(VALU_DEP_1) | instskip(NEXT) | instid1(VALU_DEP_1)
	v_dual_fma_f32 v40, v40, v38, -v42 :: v_dual_fmac_f32 v39, v41, v38
	v_dual_add_f32 v37, v37, v40 :: v_dual_add_f32 v36, v36, v39
	s_or_b32 exec_lo, exec_lo, s12
	s_and_saveexec_b32 s12, s19
	s_cbranch_execz .LBB156_404
.LBB156_1141:                           ;   in Loop: Header=BB156_3 Depth=1
	ds_load_b64 v[38:39], v62 offset:9408
	ds_load_b64 v[40:41], v57 offset:8336
	s_wait_dscnt 0x0
	v_dual_mul_f32 v42, v41, v39 :: v_dual_mul_f32 v39, v40, v39
	s_delay_alu instid0(VALU_DEP_1) | instskip(NEXT) | instid1(VALU_DEP_1)
	v_dual_fma_f32 v40, v40, v38, -v42 :: v_dual_fmac_f32 v39, v41, v38
	v_dual_add_f32 v37, v37, v40 :: v_dual_add_f32 v36, v36, v39
	s_or_b32 exec_lo, exec_lo, s12
	s_and_saveexec_b32 s12, s20
	s_cbranch_execz .LBB156_405
.LBB156_1142:                           ;   in Loop: Header=BB156_3 Depth=1
	ds_load_b64 v[38:39], v62 offset:9920
	ds_load_b64 v[40:41], v57 offset:8344
	s_wait_dscnt 0x0
	v_dual_mul_f32 v42, v41, v39 :: v_dual_mul_f32 v39, v40, v39
	s_delay_alu instid0(VALU_DEP_1) | instskip(NEXT) | instid1(VALU_DEP_1)
	v_dual_fma_f32 v40, v40, v38, -v42 :: v_dual_fmac_f32 v39, v41, v38
	v_dual_add_f32 v37, v37, v40 :: v_dual_add_f32 v36, v36, v39
	s_or_b32 exec_lo, exec_lo, s12
	s_and_saveexec_b32 s12, s21
	s_cbranch_execz .LBB156_406
.LBB156_1143:                           ;   in Loop: Header=BB156_3 Depth=1
	ds_load_b64 v[38:39], v61 offset:10432
	ds_load_b64 v[40:41], v57 offset:8352
	s_wait_dscnt 0x0
	v_dual_mul_f32 v42, v41, v39 :: v_dual_mul_f32 v98, v40, v39
	s_delay_alu instid0(VALU_DEP_1) | instskip(NEXT) | instid1(VALU_DEP_2)
	v_fma_f32 v99, v40, v38, -v42
	v_fmac_f32_e32 v98, v41, v38
	s_delay_alu instid0(VALU_DEP_1)
	v_pk_add_f32 v[36:37], v[36:37], v[98:99]
	s_or_b32 exec_lo, exec_lo, s12
	s_and_saveexec_b32 s12, s22
	s_cbranch_execz .LBB156_407
.LBB156_1144:                           ;   in Loop: Header=BB156_3 Depth=1
	ds_load_b64 v[38:39], v62 offset:10944
	ds_load_b64 v[40:41], v57 offset:8360
	s_wait_dscnt 0x0
	v_pk_mul_f32 v[98:99], v[40:41], v[38:39] op_sel:[0,1]
	s_delay_alu instid0(VALU_DEP_1) | instskip(SKIP_1) | instid1(VALU_DEP_2)
	v_pk_fma_f32 v[100:101], v[40:41], v[38:39], v[98:99] op_sel:[1,0,0] op_sel_hi:[0,0,1] neg_lo:[0,0,1] neg_hi:[0,0,1]
	v_pk_fma_f32 v[38:39], v[40:41], v[38:39], v[98:99] op_sel:[1,0,0] op_sel_hi:[0,1,1]
	v_mov_b32_e32 v39, v101
	s_delay_alu instid0(VALU_DEP_1)
	v_pk_add_f32 v[36:37], v[36:37], v[38:39]
	s_or_b32 exec_lo, exec_lo, s12
	s_and_saveexec_b32 s12, s3
	s_cbranch_execz .LBB156_408
.LBB156_1145:                           ;   in Loop: Header=BB156_3 Depth=1
	ds_load_b64 v[38:39], v61 offset:11456
	ds_load_b64 v[40:41], v57 offset:8368
	s_wait_dscnt 0x0
	v_pk_mul_f32 v[98:99], v[40:41], v[38:39] op_sel:[0,1]
	s_delay_alu instid0(VALU_DEP_1) | instskip(SKIP_1) | instid1(VALU_DEP_2)
	v_pk_fma_f32 v[100:101], v[40:41], v[38:39], v[98:99] op_sel:[1,0,0] op_sel_hi:[0,0,1] neg_lo:[0,0,1] neg_hi:[0,0,1]
	v_pk_fma_f32 v[38:39], v[40:41], v[38:39], v[98:99] op_sel:[1,0,0] op_sel_hi:[0,1,1]
	v_mov_b32_e32 v39, v101
	s_delay_alu instid0(VALU_DEP_1)
	v_pk_add_f32 v[36:37], v[36:37], v[38:39]
	s_or_b32 exec_lo, exec_lo, s12
	s_and_saveexec_b32 s12, s17
	s_cbranch_execnz .LBB156_409
	s_branch .LBB156_410
.LBB156_1146:                           ;   in Loop: Header=BB156_3 Depth=1
	ds_load_b64 v[38:39], v52 offset:13024
	ds_load_b64 v[40:41], v47 offset:12488
	s_wait_dscnt 0x0
	v_pk_mul_f32 v[98:99], v[40:41], v[38:39] op_sel:[0,1]
	s_delay_alu instid0(VALU_DEP_1) | instskip(SKIP_1) | instid1(VALU_DEP_2)
	v_pk_fma_f32 v[100:101], v[40:41], v[38:39], v[98:99] op_sel:[1,0,0] op_sel_hi:[0,0,1] neg_lo:[0,0,1] neg_hi:[0,0,1]
	v_pk_fma_f32 v[38:39], v[40:41], v[38:39], v[98:99] op_sel:[1,0,0] op_sel_hi:[0,1,1]
	v_mov_b32_e32 v39, v101
	s_delay_alu instid0(VALU_DEP_1)
	v_pk_add_f32 v[36:37], v[36:37], v[38:39]
	s_or_b32 exec_lo, exec_lo, s12
	s_and_saveexec_b32 s12, s17
	s_cbranch_execz .LBB156_466
.LBB156_1147:                           ;   in Loop: Header=BB156_3 Depth=1
	ds_load_b64 v[38:39], v51 offset:13536
	ds_load_b64 v[40:41], v47 offset:12496
	s_wait_dscnt 0x0
	v_pk_mul_f32 v[98:99], v[40:41], v[38:39] op_sel:[0,1]
	s_delay_alu instid0(VALU_DEP_1) | instskip(SKIP_1) | instid1(VALU_DEP_2)
	v_pk_fma_f32 v[100:101], v[40:41], v[38:39], v[98:99] op_sel:[1,0,0] op_sel_hi:[0,0,1] neg_lo:[0,0,1] neg_hi:[0,0,1]
	v_pk_fma_f32 v[38:39], v[40:41], v[38:39], v[98:99] op_sel:[1,0,0] op_sel_hi:[0,1,1]
	v_mov_b32_e32 v39, v101
	s_delay_alu instid0(VALU_DEP_1)
	v_pk_add_f32 v[36:37], v[36:37], v[38:39]
	s_or_b32 exec_lo, exec_lo, s12
	s_and_saveexec_b32 s12, s1
	s_cbranch_execnz .LBB156_467
	s_branch .LBB156_468
.LBB156_1148:                           ;   in Loop: Header=BB156_3 Depth=1
	ds_load_b64 v[40:41], v39 offset:15104
	ds_load_b64 v[98:99], v38 offset:232
	s_wait_dscnt 0x0
	v_pk_mul_f32 v[100:101], v[98:99], v[40:41] op_sel:[1,1] op_sel_hi:[0,1]
	s_delay_alu instid0(VALU_DEP_1) | instskip(SKIP_1) | instid1(VALU_DEP_2)
	v_pk_fma_f32 v[102:103], v[98:99], v[40:41], v[100:101] op_sel_hi:[1,0,1]
	v_pk_fma_f32 v[40:41], v[98:99], v[40:41], v[100:101] neg_lo:[0,0,1] neg_hi:[0,0,1]
	v_mov_b32_e32 v41, v103
	s_delay_alu instid0(VALU_DEP_1)
	v_pk_add_f32 v[36:37], v[36:37], v[40:41]
	s_or_b32 exec_lo, exec_lo, s10
	s_and_saveexec_b32 s10, s4
	s_cbranch_execz .LBB156_564
.LBB156_1149:                           ;   in Loop: Header=BB156_3 Depth=1
	ds_load_b64 v[40:41], v39 offset:15616
	ds_load_b64 v[98:99], v38 offset:240
	s_wait_dscnt 0x0
	v_pk_mul_f32 v[100:101], v[98:99], v[40:41] op_sel:[1,1] op_sel_hi:[0,1]
	s_delay_alu instid0(VALU_DEP_1) | instskip(SKIP_1) | instid1(VALU_DEP_2)
	v_pk_fma_f32 v[102:103], v[98:99], v[40:41], v[100:101] op_sel_hi:[1,0,1]
	v_pk_fma_f32 v[40:41], v[98:99], v[40:41], v[100:101] neg_lo:[0,0,1] neg_hi:[0,0,1]
	v_mov_b32_e32 v41, v103
	s_delay_alu instid0(VALU_DEP_1)
	v_pk_add_f32 v[36:37], v[36:37], v[40:41]
	s_or_b32 exec_lo, exec_lo, s10
	s_and_saveexec_b32 s10, s21
	s_cbranch_execnz .LBB156_565
	s_branch .LBB156_566
.LBB156_1150:                           ;   in Loop: Header=BB156_3 Depth=1
	ds_load_b64 v[38:39], v52 offset:17184
	ds_load_b64 v[40:41], v47 offset:16648
	s_wait_dscnt 0x0
	v_pk_mul_f32 v[98:99], v[40:41], v[38:39] op_sel:[0,1]
	s_delay_alu instid0(VALU_DEP_1) | instskip(SKIP_1) | instid1(VALU_DEP_2)
	v_pk_fma_f32 v[100:101], v[40:41], v[38:39], v[98:99] op_sel:[1,0,0] op_sel_hi:[0,0,1] neg_lo:[0,0,1] neg_hi:[0,0,1]
	v_pk_fma_f32 v[38:39], v[40:41], v[38:39], v[98:99] op_sel:[1,0,0] op_sel_hi:[0,1,1]
	v_mov_b32_e32 v39, v101
	s_delay_alu instid0(VALU_DEP_1)
	v_pk_add_f32 v[36:37], v[36:37], v[38:39]
	s_or_b32 exec_lo, exec_lo, s12
	s_and_saveexec_b32 s12, s17
	s_cbranch_execz .LBB156_602
.LBB156_1151:                           ;   in Loop: Header=BB156_3 Depth=1
	ds_load_b64 v[38:39], v51 offset:17696
	ds_load_b64 v[40:41], v47 offset:16656
	s_wait_dscnt 0x0
	v_pk_mul_f32 v[98:99], v[40:41], v[38:39] op_sel:[0,1]
	s_delay_alu instid0(VALU_DEP_1) | instskip(SKIP_1) | instid1(VALU_DEP_2)
	v_pk_fma_f32 v[100:101], v[40:41], v[38:39], v[98:99] op_sel:[1,0,0] op_sel_hi:[0,0,1] neg_lo:[0,0,1] neg_hi:[0,0,1]
	v_pk_fma_f32 v[38:39], v[40:41], v[38:39], v[98:99] op_sel:[1,0,0] op_sel_hi:[0,1,1]
	v_mov_b32_e32 v39, v101
	s_delay_alu instid0(VALU_DEP_1)
	v_pk_add_f32 v[36:37], v[36:37], v[38:39]
	s_or_b32 exec_lo, exec_lo, s12
	s_and_saveexec_b32 s12, s1
	s_cbranch_execnz .LBB156_603
	s_branch .LBB156_604
.LBB156_1152:                           ;   in Loop: Header=BB156_3 Depth=1
	ds_load_b64 v[38:39], v62 offset:17216
	ds_load_b64 v[40:41], v57 offset:16648
	s_wait_dscnt 0x0
	v_dual_mul_f32 v42, v41, v39 :: v_dual_mul_f32 v39, v40, v39
	s_delay_alu instid0(VALU_DEP_1) | instskip(NEXT) | instid1(VALU_DEP_1)
	v_dual_fma_f32 v40, v40, v38, -v42 :: v_dual_fmac_f32 v39, v41, v38
	v_dual_add_f32 v37, v37, v40 :: v_dual_add_f32 v36, v36, v39
	s_or_b32 exec_lo, exec_lo, s12
	s_and_saveexec_b32 s12, s19
	s_cbranch_execz .LBB156_644
.LBB156_1153:                           ;   in Loop: Header=BB156_3 Depth=1
	ds_load_b64 v[38:39], v62 offset:17728
	ds_load_b64 v[40:41], v57 offset:16656
	s_wait_dscnt 0x0
	v_dual_mul_f32 v42, v41, v39 :: v_dual_mul_f32 v39, v40, v39
	s_delay_alu instid0(VALU_DEP_1) | instskip(NEXT) | instid1(VALU_DEP_1)
	v_dual_fma_f32 v40, v40, v38, -v42 :: v_dual_fmac_f32 v39, v41, v38
	v_dual_add_f32 v37, v37, v40 :: v_dual_add_f32 v36, v36, v39
	s_or_b32 exec_lo, exec_lo, s12
	s_and_saveexec_b32 s12, s20
	s_cbranch_execz .LBB156_645
.LBB156_1154:                           ;   in Loop: Header=BB156_3 Depth=1
	ds_load_b64 v[38:39], v62 offset:18240
	ds_load_b64 v[40:41], v57 offset:16664
	s_wait_dscnt 0x0
	v_dual_mul_f32 v42, v41, v39 :: v_dual_mul_f32 v39, v40, v39
	s_delay_alu instid0(VALU_DEP_1) | instskip(NEXT) | instid1(VALU_DEP_1)
	v_dual_fma_f32 v40, v40, v38, -v42 :: v_dual_fmac_f32 v39, v41, v38
	v_dual_add_f32 v37, v37, v40 :: v_dual_add_f32 v36, v36, v39
	s_or_b32 exec_lo, exec_lo, s12
	s_and_saveexec_b32 s12, s21
	s_cbranch_execz .LBB156_646
.LBB156_1155:                           ;   in Loop: Header=BB156_3 Depth=1
	ds_load_b64 v[38:39], v61 offset:18752
	ds_load_b64 v[40:41], v57 offset:16672
	s_wait_dscnt 0x0
	v_dual_mul_f32 v42, v41, v39 :: v_dual_mul_f32 v98, v40, v39
	s_delay_alu instid0(VALU_DEP_1) | instskip(NEXT) | instid1(VALU_DEP_2)
	v_fma_f32 v99, v40, v38, -v42
	v_fmac_f32_e32 v98, v41, v38
	s_delay_alu instid0(VALU_DEP_1)
	v_pk_add_f32 v[36:37], v[36:37], v[98:99]
	s_or_b32 exec_lo, exec_lo, s12
	s_and_saveexec_b32 s12, s22
	s_cbranch_execz .LBB156_647
.LBB156_1156:                           ;   in Loop: Header=BB156_3 Depth=1
	ds_load_b64 v[38:39], v62 offset:19264
	ds_load_b64 v[40:41], v57 offset:16680
	s_wait_dscnt 0x0
	v_pk_mul_f32 v[98:99], v[40:41], v[38:39] op_sel:[0,1]
	s_delay_alu instid0(VALU_DEP_1) | instskip(SKIP_1) | instid1(VALU_DEP_2)
	v_pk_fma_f32 v[100:101], v[40:41], v[38:39], v[98:99] op_sel:[1,0,0] op_sel_hi:[0,0,1] neg_lo:[0,0,1] neg_hi:[0,0,1]
	v_pk_fma_f32 v[38:39], v[40:41], v[38:39], v[98:99] op_sel:[1,0,0] op_sel_hi:[0,1,1]
	v_mov_b32_e32 v39, v101
	s_delay_alu instid0(VALU_DEP_1)
	v_pk_add_f32 v[36:37], v[36:37], v[38:39]
	s_or_b32 exec_lo, exec_lo, s12
	s_and_saveexec_b32 s12, s3
	s_cbranch_execz .LBB156_648
.LBB156_1157:                           ;   in Loop: Header=BB156_3 Depth=1
	ds_load_b64 v[38:39], v61 offset:19776
	ds_load_b64 v[40:41], v57 offset:16688
	s_wait_dscnt 0x0
	v_pk_mul_f32 v[98:99], v[40:41], v[38:39] op_sel:[0,1]
	s_delay_alu instid0(VALU_DEP_1) | instskip(SKIP_1) | instid1(VALU_DEP_2)
	v_pk_fma_f32 v[100:101], v[40:41], v[38:39], v[98:99] op_sel:[1,0,0] op_sel_hi:[0,0,1] neg_lo:[0,0,1] neg_hi:[0,0,1]
	v_pk_fma_f32 v[38:39], v[40:41], v[38:39], v[98:99] op_sel:[1,0,0] op_sel_hi:[0,1,1]
	v_mov_b32_e32 v39, v101
	s_delay_alu instid0(VALU_DEP_1)
	v_pk_add_f32 v[36:37], v[36:37], v[38:39]
	s_or_b32 exec_lo, exec_lo, s12
	s_and_saveexec_b32 s12, s17
	s_cbranch_execnz .LBB156_649
	s_branch .LBB156_650
.LBB156_1158:                           ;   in Loop: Header=BB156_3 Depth=1
	ds_load_b64 v[38:39], v52 offset:21344
	ds_load_b64 v[40:41], v47 offset:20808
	s_wait_dscnt 0x0
	v_pk_mul_f32 v[98:99], v[40:41], v[38:39] op_sel:[0,1]
	s_delay_alu instid0(VALU_DEP_1) | instskip(SKIP_1) | instid1(VALU_DEP_2)
	v_pk_fma_f32 v[100:101], v[40:41], v[38:39], v[98:99] op_sel:[1,0,0] op_sel_hi:[0,0,1] neg_lo:[0,0,1] neg_hi:[0,0,1]
	v_pk_fma_f32 v[38:39], v[40:41], v[38:39], v[98:99] op_sel:[1,0,0] op_sel_hi:[0,1,1]
	v_mov_b32_e32 v39, v101
	s_delay_alu instid0(VALU_DEP_1)
	v_pk_add_f32 v[36:37], v[36:37], v[38:39]
	s_or_b32 exec_lo, exec_lo, s12
	s_and_saveexec_b32 s12, s17
	s_cbranch_execz .LBB156_706
.LBB156_1159:                           ;   in Loop: Header=BB156_3 Depth=1
	ds_load_b64 v[38:39], v51 offset:21856
	ds_load_b64 v[40:41], v47 offset:20816
	s_wait_dscnt 0x0
	v_pk_mul_f32 v[98:99], v[40:41], v[38:39] op_sel:[0,1]
	s_delay_alu instid0(VALU_DEP_1) | instskip(SKIP_1) | instid1(VALU_DEP_2)
	v_pk_fma_f32 v[100:101], v[40:41], v[38:39], v[98:99] op_sel:[1,0,0] op_sel_hi:[0,0,1] neg_lo:[0,0,1] neg_hi:[0,0,1]
	v_pk_fma_f32 v[38:39], v[40:41], v[38:39], v[98:99] op_sel:[1,0,0] op_sel_hi:[0,1,1]
	v_mov_b32_e32 v39, v101
	s_delay_alu instid0(VALU_DEP_1)
	v_pk_add_f32 v[36:37], v[36:37], v[38:39]
	s_or_b32 exec_lo, exec_lo, s12
	s_and_saveexec_b32 s12, s1
	s_cbranch_execnz .LBB156_707
	s_branch .LBB156_708
.LBB156_1160:                           ;   in Loop: Header=BB156_3 Depth=1
	ds_load_b64 v[38:39], v68 offset:22400
	ds_load_b64 v[40:41], v64 offset:16728
	s_wait_dscnt 0x0
	v_dual_mul_f32 v42, v41, v39 :: v_dual_mul_f32 v39, v40, v39
	s_delay_alu instid0(VALU_DEP_1) | instskip(NEXT) | instid1(VALU_DEP_1)
	v_dual_fma_f32 v40, v40, v38, -v42 :: v_dual_fmac_f32 v39, v41, v38
	v_dual_add_f32 v37, v37, v40 :: v_dual_add_f32 v36, v36, v39
	s_or_b32 exec_lo, exec_lo, s10
	s_and_saveexec_b32 s10, s4
	s_cbranch_execz .LBB156_768
.LBB156_1161:                           ;   in Loop: Header=BB156_3 Depth=1
	ds_load_b64 v[38:39], v67 offset:22912
	ds_load_b64 v[40:41], v64 offset:16736
	s_wait_dscnt 0x0
	v_dual_mul_f32 v42, v41, v39 :: v_dual_mul_f32 v98, v40, v39
	s_delay_alu instid0(VALU_DEP_1) | instskip(NEXT) | instid1(VALU_DEP_2)
	v_fma_f32 v99, v40, v38, -v42
	v_fmac_f32_e32 v98, v41, v38
	s_delay_alu instid0(VALU_DEP_1)
	v_pk_add_f32 v[36:37], v[36:37], v[98:99]
	s_or_b32 exec_lo, exec_lo, s10
	s_and_saveexec_b32 s10, s19
	s_cbranch_execz .LBB156_769
.LBB156_1162:                           ;   in Loop: Header=BB156_3 Depth=1
	ds_load_b64 v[38:39], v68 offset:23424
	ds_load_b64 v[40:41], v64 offset:16744
	s_wait_dscnt 0x0
	v_pk_mul_f32 v[98:99], v[40:41], v[38:39] op_sel:[0,1]
	s_delay_alu instid0(VALU_DEP_1) | instskip(SKIP_1) | instid1(VALU_DEP_2)
	v_pk_fma_f32 v[100:101], v[40:41], v[38:39], v[98:99] op_sel:[1,0,0] op_sel_hi:[0,0,1] neg_lo:[0,0,1] neg_hi:[0,0,1]
	v_pk_fma_f32 v[38:39], v[40:41], v[38:39], v[98:99] op_sel:[1,0,0] op_sel_hi:[0,1,1]
	v_mov_b32_e32 v39, v101
	s_delay_alu instid0(VALU_DEP_1)
	v_pk_add_f32 v[36:37], v[36:37], v[38:39]
	s_or_b32 exec_lo, exec_lo, s10
	s_and_saveexec_b32 s10, s21
	s_cbranch_execz .LBB156_770
.LBB156_1163:                           ;   in Loop: Header=BB156_3 Depth=1
	ds_load_b64 v[38:39], v67 offset:23936
	ds_load_b64 v[40:41], v64 offset:16752
	s_wait_dscnt 0x0
	v_pk_mul_f32 v[98:99], v[40:41], v[38:39] op_sel:[0,1]
	s_delay_alu instid0(VALU_DEP_1) | instskip(SKIP_1) | instid1(VALU_DEP_2)
	v_pk_fma_f32 v[100:101], v[40:41], v[38:39], v[98:99] op_sel:[1,0,0] op_sel_hi:[0,0,1] neg_lo:[0,0,1] neg_hi:[0,0,1]
	v_pk_fma_f32 v[38:39], v[40:41], v[38:39], v[98:99] op_sel:[1,0,0] op_sel_hi:[0,1,1]
	v_mov_b32_e32 v39, v101
	s_delay_alu instid0(VALU_DEP_1)
	v_pk_add_f32 v[36:37], v[36:37], v[38:39]
	s_or_b32 exec_lo, exec_lo, s10
	s_and_saveexec_b32 s10, s3
	s_cbranch_execnz .LBB156_771
	s_branch .LBB156_772
.LBB156_1164:                           ;   in Loop: Header=BB156_3 Depth=1
	ds_load_b64 v[38:39], v52 offset:25504
	ds_load_b64 v[40:41], v47 offset:24968
	s_wait_dscnt 0x0
	v_pk_mul_f32 v[98:99], v[40:41], v[38:39] op_sel:[0,1]
	s_delay_alu instid0(VALU_DEP_1) | instskip(SKIP_1) | instid1(VALU_DEP_2)
	v_pk_fma_f32 v[100:101], v[40:41], v[38:39], v[98:99] op_sel:[1,0,0] op_sel_hi:[0,0,1] neg_lo:[0,0,1] neg_hi:[0,0,1]
	v_pk_fma_f32 v[38:39], v[40:41], v[38:39], v[98:99] op_sel:[1,0,0] op_sel_hi:[0,1,1]
	v_mov_b32_e32 v39, v101
	s_delay_alu instid0(VALU_DEP_1)
	v_pk_add_f32 v[36:37], v[36:37], v[38:39]
	s_or_b32 exec_lo, exec_lo, s12
	s_and_saveexec_b32 s12, s17
	s_cbranch_execz .LBB156_860
.LBB156_1165:                           ;   in Loop: Header=BB156_3 Depth=1
	ds_load_b64 v[38:39], v51 offset:26016
	ds_load_b64 v[40:41], v47 offset:24976
	s_wait_dscnt 0x0
	v_pk_mul_f32 v[98:99], v[40:41], v[38:39] op_sel:[0,1]
	s_delay_alu instid0(VALU_DEP_1) | instskip(SKIP_1) | instid1(VALU_DEP_2)
	v_pk_fma_f32 v[100:101], v[40:41], v[38:39], v[98:99] op_sel:[1,0,0] op_sel_hi:[0,0,1] neg_lo:[0,0,1] neg_hi:[0,0,1]
	v_pk_fma_f32 v[38:39], v[40:41], v[38:39], v[98:99] op_sel:[1,0,0] op_sel_hi:[0,1,1]
	v_mov_b32_e32 v39, v101
	s_delay_alu instid0(VALU_DEP_1)
	v_pk_add_f32 v[36:37], v[36:37], v[38:39]
	s_or_b32 exec_lo, exec_lo, s12
	s_and_saveexec_b32 s12, s1
	s_cbranch_execnz .LBB156_861
	s_branch .LBB156_862
.LBB156_1166:                           ;   in Loop: Header=BB156_3 Depth=1
	ds_load_b64 v[38:39], v62 offset:25536
	ds_load_b64 v[40:41], v57 offset:24968
	s_wait_dscnt 0x0
	v_dual_mul_f32 v42, v41, v39 :: v_dual_mul_f32 v39, v40, v39
	s_delay_alu instid0(VALU_DEP_1) | instskip(NEXT) | instid1(VALU_DEP_1)
	v_dual_fma_f32 v40, v40, v38, -v42 :: v_dual_fmac_f32 v39, v41, v38
	v_dual_add_f32 v37, v37, v40 :: v_dual_add_f32 v36, v36, v39
	s_or_b32 exec_lo, exec_lo, s12
	s_and_saveexec_b32 s12, s19
	s_cbranch_execz .LBB156_902
.LBB156_1167:                           ;   in Loop: Header=BB156_3 Depth=1
	ds_load_b64 v[38:39], v62 offset:26048
	ds_load_b64 v[40:41], v57 offset:24976
	s_wait_dscnt 0x0
	v_dual_mul_f32 v42, v41, v39 :: v_dual_mul_f32 v39, v40, v39
	s_delay_alu instid0(VALU_DEP_1) | instskip(NEXT) | instid1(VALU_DEP_1)
	v_dual_fma_f32 v40, v40, v38, -v42 :: v_dual_fmac_f32 v39, v41, v38
	v_dual_add_f32 v37, v37, v40 :: v_dual_add_f32 v36, v36, v39
	s_or_b32 exec_lo, exec_lo, s12
	s_and_saveexec_b32 s12, s20
	s_cbranch_execz .LBB156_903
.LBB156_1168:                           ;   in Loop: Header=BB156_3 Depth=1
	ds_load_b64 v[38:39], v62 offset:26560
	ds_load_b64 v[40:41], v57 offset:24984
	s_wait_dscnt 0x0
	v_dual_mul_f32 v42, v41, v39 :: v_dual_mul_f32 v39, v40, v39
	s_delay_alu instid0(VALU_DEP_1) | instskip(NEXT) | instid1(VALU_DEP_1)
	v_dual_fma_f32 v40, v40, v38, -v42 :: v_dual_fmac_f32 v39, v41, v38
	v_dual_add_f32 v37, v37, v40 :: v_dual_add_f32 v36, v36, v39
	s_or_b32 exec_lo, exec_lo, s12
	s_and_saveexec_b32 s12, s21
	s_cbranch_execz .LBB156_904
.LBB156_1169:                           ;   in Loop: Header=BB156_3 Depth=1
	ds_load_b64 v[38:39], v61 offset:27072
	ds_load_b64 v[40:41], v57 offset:24992
	s_wait_dscnt 0x0
	v_dual_mul_f32 v42, v41, v39 :: v_dual_mul_f32 v98, v40, v39
	s_delay_alu instid0(VALU_DEP_1) | instskip(NEXT) | instid1(VALU_DEP_2)
	v_fma_f32 v99, v40, v38, -v42
	v_fmac_f32_e32 v98, v41, v38
	s_delay_alu instid0(VALU_DEP_1)
	v_pk_add_f32 v[36:37], v[36:37], v[98:99]
	s_or_b32 exec_lo, exec_lo, s12
	s_and_saveexec_b32 s12, s22
	s_cbranch_execz .LBB156_905
.LBB156_1170:                           ;   in Loop: Header=BB156_3 Depth=1
	ds_load_b64 v[38:39], v62 offset:27584
	ds_load_b64 v[40:41], v57 offset:25000
	s_wait_dscnt 0x0
	v_pk_mul_f32 v[98:99], v[40:41], v[38:39] op_sel:[0,1]
	s_delay_alu instid0(VALU_DEP_1) | instskip(SKIP_1) | instid1(VALU_DEP_2)
	v_pk_fma_f32 v[100:101], v[40:41], v[38:39], v[98:99] op_sel:[1,0,0] op_sel_hi:[0,0,1] neg_lo:[0,0,1] neg_hi:[0,0,1]
	v_pk_fma_f32 v[38:39], v[40:41], v[38:39], v[98:99] op_sel:[1,0,0] op_sel_hi:[0,1,1]
	v_mov_b32_e32 v39, v101
	s_delay_alu instid0(VALU_DEP_1)
	v_pk_add_f32 v[36:37], v[36:37], v[38:39]
	s_or_b32 exec_lo, exec_lo, s12
	s_and_saveexec_b32 s12, s3
	s_cbranch_execz .LBB156_906
.LBB156_1171:                           ;   in Loop: Header=BB156_3 Depth=1
	ds_load_b64 v[38:39], v61 offset:28096
	ds_load_b64 v[40:41], v57 offset:25008
	s_wait_dscnt 0x0
	v_pk_mul_f32 v[98:99], v[40:41], v[38:39] op_sel:[0,1]
	s_delay_alu instid0(VALU_DEP_1) | instskip(SKIP_1) | instid1(VALU_DEP_2)
	v_pk_fma_f32 v[100:101], v[40:41], v[38:39], v[98:99] op_sel:[1,0,0] op_sel_hi:[0,0,1] neg_lo:[0,0,1] neg_hi:[0,0,1]
	v_pk_fma_f32 v[38:39], v[40:41], v[38:39], v[98:99] op_sel:[1,0,0] op_sel_hi:[0,1,1]
	v_mov_b32_e32 v39, v101
	s_delay_alu instid0(VALU_DEP_1)
	v_pk_add_f32 v[36:37], v[36:37], v[38:39]
	s_or_b32 exec_lo, exec_lo, s12
	s_and_saveexec_b32 s12, s17
	s_cbranch_execnz .LBB156_907
	s_branch .LBB156_908
.LBB156_1172:                           ;   in Loop: Header=BB156_3 Depth=1
	ds_load_b64 v[38:39], v52 offset:29664
	ds_load_b64 v[40:41], v47 offset:29128
	s_wait_dscnt 0x0
	v_pk_mul_f32 v[98:99], v[40:41], v[38:39] op_sel:[0,1]
	s_delay_alu instid0(VALU_DEP_1) | instskip(SKIP_1) | instid1(VALU_DEP_2)
	v_pk_fma_f32 v[100:101], v[40:41], v[38:39], v[98:99] op_sel:[1,0,0] op_sel_hi:[0,0,1] neg_lo:[0,0,1] neg_hi:[0,0,1]
	v_pk_fma_f32 v[38:39], v[40:41], v[38:39], v[98:99] op_sel:[1,0,0] op_sel_hi:[0,1,1]
	v_mov_b32_e32 v39, v101
	s_delay_alu instid0(VALU_DEP_1)
	v_pk_add_f32 v[36:37], v[36:37], v[38:39]
	s_or_b32 exec_lo, exec_lo, s12
	s_and_saveexec_b32 s12, s17
	s_cbranch_execz .LBB156_964
.LBB156_1173:                           ;   in Loop: Header=BB156_3 Depth=1
	ds_load_b64 v[38:39], v51 offset:30176
	ds_load_b64 v[40:41], v47 offset:29136
	s_wait_dscnt 0x0
	v_pk_mul_f32 v[98:99], v[40:41], v[38:39] op_sel:[0,1]
	s_delay_alu instid0(VALU_DEP_1) | instskip(SKIP_1) | instid1(VALU_DEP_2)
	v_pk_fma_f32 v[100:101], v[40:41], v[38:39], v[98:99] op_sel:[1,0,0] op_sel_hi:[0,0,1] neg_lo:[0,0,1] neg_hi:[0,0,1]
	v_pk_fma_f32 v[38:39], v[40:41], v[38:39], v[98:99] op_sel:[1,0,0] op_sel_hi:[0,1,1]
	v_mov_b32_e32 v39, v101
	s_delay_alu instid0(VALU_DEP_1)
	v_pk_add_f32 v[36:37], v[36:37], v[38:39]
	s_or_b32 exec_lo, exec_lo, s12
	s_and_saveexec_b32 s12, s1
	s_cbranch_execnz .LBB156_965
	s_branch .LBB156_966
.LBB156_1174:
	s_endpgm
	.section	.rodata,"a",@progbits
	.p2align	6, 0x0
	.amdhsa_kernel _ZL19rocblas_trsv_deviceILi64ELi16ELb1ELb1ELb1ELb0E19rocblas_complex_numIfEPKS1_PKS3_PKPS1_EviT7_lllT6_T8_lllPii
		.amdhsa_group_segment_fixed_size 41480
		.amdhsa_private_segment_fixed_size 0
		.amdhsa_kernarg_size 352
		.amdhsa_user_sgpr_count 2
		.amdhsa_user_sgpr_dispatch_ptr 0
		.amdhsa_user_sgpr_queue_ptr 0
		.amdhsa_user_sgpr_kernarg_segment_ptr 1
		.amdhsa_user_sgpr_dispatch_id 0
		.amdhsa_user_sgpr_kernarg_preload_length 0
		.amdhsa_user_sgpr_kernarg_preload_offset 0
		.amdhsa_user_sgpr_private_segment_size 0
		.amdhsa_wavefront_size32 1
		.amdhsa_uses_dynamic_stack 0
		.amdhsa_enable_private_segment 0
		.amdhsa_system_sgpr_workgroup_id_x 1
		.amdhsa_system_sgpr_workgroup_id_y 0
		.amdhsa_system_sgpr_workgroup_id_z 1
		.amdhsa_system_sgpr_workgroup_info 0
		.amdhsa_system_vgpr_workitem_id 1
		.amdhsa_next_free_vgpr 109
		.amdhsa_next_free_sgpr 105
		.amdhsa_named_barrier_count 0
		.amdhsa_reserve_vcc 1
		.amdhsa_float_round_mode_32 0
		.amdhsa_float_round_mode_16_64 0
		.amdhsa_float_denorm_mode_32 3
		.amdhsa_float_denorm_mode_16_64 3
		.amdhsa_fp16_overflow 0
		.amdhsa_memory_ordered 1
		.amdhsa_forward_progress 1
		.amdhsa_inst_pref_size 255
		.amdhsa_round_robin_scheduling 0
		.amdhsa_exception_fp_ieee_invalid_op 0
		.amdhsa_exception_fp_denorm_src 0
		.amdhsa_exception_fp_ieee_div_zero 0
		.amdhsa_exception_fp_ieee_overflow 0
		.amdhsa_exception_fp_ieee_underflow 0
		.amdhsa_exception_fp_ieee_inexact 0
		.amdhsa_exception_int_div_zero 0
	.end_amdhsa_kernel
	.section	.text._ZL19rocblas_trsv_deviceILi64ELi16ELb1ELb1ELb1ELb0E19rocblas_complex_numIfEPKS1_PKS3_PKPS1_EviT7_lllT6_T8_lllPii,"axG",@progbits,_ZL19rocblas_trsv_deviceILi64ELi16ELb1ELb1ELb1ELb0E19rocblas_complex_numIfEPKS1_PKS3_PKPS1_EviT7_lllT6_T8_lllPii,comdat
.Lfunc_end156:
	.size	_ZL19rocblas_trsv_deviceILi64ELi16ELb1ELb1ELb1ELb0E19rocblas_complex_numIfEPKS1_PKS3_PKPS1_EviT7_lllT6_T8_lllPii, .Lfunc_end156-_ZL19rocblas_trsv_deviceILi64ELi16ELb1ELb1ELb1ELb0E19rocblas_complex_numIfEPKS1_PKS3_PKPS1_EviT7_lllT6_T8_lllPii
                                        ; -- End function
	.set _ZL19rocblas_trsv_deviceILi64ELi16ELb1ELb1ELb1ELb0E19rocblas_complex_numIfEPKS1_PKS3_PKPS1_EviT7_lllT6_T8_lllPii.num_vgpr, 109
	.set _ZL19rocblas_trsv_deviceILi64ELi16ELb1ELb1ELb1ELb0E19rocblas_complex_numIfEPKS1_PKS3_PKPS1_EviT7_lllT6_T8_lllPii.num_agpr, 0
	.set _ZL19rocblas_trsv_deviceILi64ELi16ELb1ELb1ELb1ELb0E19rocblas_complex_numIfEPKS1_PKS3_PKPS1_EviT7_lllT6_T8_lllPii.numbered_sgpr, 105
	.set _ZL19rocblas_trsv_deviceILi64ELi16ELb1ELb1ELb1ELb0E19rocblas_complex_numIfEPKS1_PKS3_PKPS1_EviT7_lllT6_T8_lllPii.num_named_barrier, 0
	.set _ZL19rocblas_trsv_deviceILi64ELi16ELb1ELb1ELb1ELb0E19rocblas_complex_numIfEPKS1_PKS3_PKPS1_EviT7_lllT6_T8_lllPii.private_seg_size, 0
	.set _ZL19rocblas_trsv_deviceILi64ELi16ELb1ELb1ELb1ELb0E19rocblas_complex_numIfEPKS1_PKS3_PKPS1_EviT7_lllT6_T8_lllPii.uses_vcc, 1
	.set _ZL19rocblas_trsv_deviceILi64ELi16ELb1ELb1ELb1ELb0E19rocblas_complex_numIfEPKS1_PKS3_PKPS1_EviT7_lllT6_T8_lllPii.uses_flat_scratch, 0
	.set _ZL19rocblas_trsv_deviceILi64ELi16ELb1ELb1ELb1ELb0E19rocblas_complex_numIfEPKS1_PKS3_PKPS1_EviT7_lllT6_T8_lllPii.has_dyn_sized_stack, 0
	.set _ZL19rocblas_trsv_deviceILi64ELi16ELb1ELb1ELb1ELb0E19rocblas_complex_numIfEPKS1_PKS3_PKPS1_EviT7_lllT6_T8_lllPii.has_recursion, 0
	.set _ZL19rocblas_trsv_deviceILi64ELi16ELb1ELb1ELb1ELb0E19rocblas_complex_numIfEPKS1_PKS3_PKPS1_EviT7_lllT6_T8_lllPii.has_indirect_call, 0
	.section	.AMDGPU.csdata,"",@progbits
; Kernel info:
; codeLenInByte = 55268
; TotalNumSgprs: 107
; NumVgprs: 109
; ScratchSize: 0
; MemoryBound: 0
; FloatMode: 240
; IeeeMode: 1
; LDSByteSize: 41480 bytes/workgroup (compile time only)
; SGPRBlocks: 0
; VGPRBlocks: 6
; NumSGPRsForWavesPerEU: 107
; NumVGPRsForWavesPerEU: 109
; NamedBarCnt: 0
; Occupancy: 9
; WaveLimiterHint : 1
; COMPUTE_PGM_RSRC2:SCRATCH_EN: 0
; COMPUTE_PGM_RSRC2:USER_SGPR: 2
; COMPUTE_PGM_RSRC2:TRAP_HANDLER: 0
; COMPUTE_PGM_RSRC2:TGID_X_EN: 1
; COMPUTE_PGM_RSRC2:TGID_Y_EN: 0
; COMPUTE_PGM_RSRC2:TGID_Z_EN: 1
; COMPUTE_PGM_RSRC2:TIDIG_COMP_CNT: 1
	.section	.text._ZL19rocblas_trsv_deviceILi64ELi16ELb0ELb0ELb0ELb1E19rocblas_complex_numIfES1_PKPKS1_PKPS1_EviT7_lllT6_T8_lllPii,"axG",@progbits,_ZL19rocblas_trsv_deviceILi64ELi16ELb0ELb0ELb0ELb1E19rocblas_complex_numIfES1_PKPKS1_PKPS1_EviT7_lllT6_T8_lllPii,comdat
	.globl	_ZL19rocblas_trsv_deviceILi64ELi16ELb0ELb0ELb0ELb1E19rocblas_complex_numIfES1_PKPKS1_PKPS1_EviT7_lllT6_T8_lllPii ; -- Begin function _ZL19rocblas_trsv_deviceILi64ELi16ELb0ELb0ELb0ELb1E19rocblas_complex_numIfES1_PKPKS1_PKPS1_EviT7_lllT6_T8_lllPii
	.p2align	8
	.type	_ZL19rocblas_trsv_deviceILi64ELi16ELb0ELb0ELb0ELb1E19rocblas_complex_numIfES1_PKPKS1_PKPS1_EviT7_lllT6_T8_lllPii,@function
_ZL19rocblas_trsv_deviceILi64ELi16ELb0ELb0ELb0ELb1E19rocblas_complex_numIfES1_PKPKS1_PKPS1_EviT7_lllT6_T8_lllPii: ; @_ZL19rocblas_trsv_deviceILi64ELi16ELb0ELb0ELb0ELb1E19rocblas_complex_numIfES1_PKPKS1_PKPS1_EviT7_lllT6_T8_lllPii
; %bb.0:
	s_load_b32 s67, s[0:1], 0x58
	s_bfe_u32 s2, ttmp6, 0x40014
	s_lshr_b32 s3, ttmp7, 16
	s_add_co_i32 s2, s2, 1
	s_bfe_u32 s5, ttmp6, 0x40008
	s_mul_i32 s4, s3, s2
	s_getreg_b32 s2, hwreg(HW_REG_IB_STS2, 6, 4)
	s_add_co_i32 s5, s5, s4
	s_cmp_eq_u32 s2, 0
	s_mov_b32 s77, 0
	s_cselect_b32 s76, s3, s5
	s_wait_kmcnt 0x0
	s_cmp_ge_u32 s76, s67
	s_cbranch_scc1 .LBB157_1050
; %bb.1:
	s_clause 0x2
	s_load_b32 s3, s[0:1], 0x6c
	s_load_b32 s101, s[0:1], 0x60
	s_load_b32 s78, s[0:1], 0x0
	s_bfe_u32 s5, ttmp6, 0x4000c
	s_and_b32 s4, ttmp6, 15
	s_add_co_i32 s5, s5, 1
	s_clause 0x1
	s_load_b64 s[80:81], s[0:1], 0x18
	s_load_b64 s[18:19], s[0:1], 0x28
	s_mul_i32 s5, ttmp9, s5
	v_bfe_u32 v2, v0, 10, 10
	s_add_co_i32 s4, s4, s5
	s_cmp_eq_u32 s2, 0
	v_and_b32_e32 v4, 0x3ff, v0
	s_cselect_b32 s100, ttmp9, s4
	v_dual_mov_b32 v7, 0 :: v_dual_lshrrev_b32 v1, 10, v0
                                        ; implicit-def: $vgpr92 : SGPR spill to VGPR lane
	s_clause 0x1
	s_load_b64 s[84:85], s[0:1], 0x40
	s_load_b64 s[86:87], s[0:1], 0x50
	v_lshl_add_u32 v38, v2, 6, v4
	v_and_b32_e32 v3, 1, v0
	v_bitop3_b32 v39, v0, v1, 0x3ff bitop3:0xa8
	s_wait_kmcnt 0x0
	s_and_b32 s4, s3, 0xffff
	s_add_co_i32 s101, s101, -1
	s_add_co_i32 s2, s78, -1
	s_ashr_i32 s79, s78, 31
	s_ashr_i32 s3, s2, 31
	s_lshr_b32 s5, s79, 26
	s_lshr_b32 s3, s3, 26
	s_add_co_i32 s5, s78, s5
	s_add_co_i32 s2, s2, s3
	s_and_not1_b32 s5, s5, 63
	s_sub_co_i32 s29, s101, s100
	s_ashr_i32 s2, s2, 6
	s_sub_co_i32 s16, s78, s5
	s_cmp_eq_u32 s2, s29
	v_lshrrev_b32_e32 v1, 1, v38
	s_cselect_b32 s2, -1, 0
	s_cmp_lg_u32 s16, 0
	v_mad_u32_u24 v6, v2, s4, v4
	s_cselect_b32 s3, -1, 0
	v_lshl_add_u32 v5, v1, 3, 0x8000
	s_and_b32 s11, s3, s2
	v_cmp_eq_u32_e64 s4, 1, v3
	s_xor_b32 s102, s11, -1
	s_cmp_lg_u32 s100, 0
	v_cmp_eq_u32_e64 s5, 0, v3
	s_cselect_b32 s2, -1, 0
	s_lshl_b32 s14, s29, 6
	v_writelane_b32 v92, s2, 0
	v_dual_add_nc_u32 v14, s14, v2 :: v_dual_add_nc_u32 v8, s14, v4
	s_ashr_i32 s15, s14, 31
	s_add_nc_u64 s[2:3], s[80:81], 1
	s_cmp_gt_i32 s100, 4
	s_delay_alu instid0(VALU_DEP_1) | instskip(SKIP_3) | instid1(VALU_DEP_2)
	v_dual_add_nc_u32 v12, 64, v14 :: v_dual_ashrrev_i32 v9, 31, v8
	v_lshlrev_b32_e32 v1, 9, v1
	s_mul_u64 s[12:13], s[2:3], s[14:15]
	s_cselect_b32 s3, -1, 0
	v_ashrrev_i32_e32 v13, 31, v12
	s_and_b32 s104, s3, s102
	v_cmp_gt_u32_e64 s3, 4, v38
	v_dual_lshlrev_b32 v46, 3, v3 :: v_dual_sub_nc_u32 v47, 0, v1
	s_delay_alu instid0(VALU_DEP_3)
	v_mul_u64_e32 v[10:11], s[80:81], v[12:13]
	v_and_b32_e32 v13, 3, v0
	v_dual_lshlrev_b32 v48, 3, v4 :: v_dual_lshrrev_b32 v3, 2, v38
	s_and_b32 vcc_hi, s4, s3
	s_and_b32 s43, s5, s3
	v_sub_nc_u32_e32 v49, v46, v1
	v_cmp_gt_u32_e64 s4, 16, v38
	v_cmp_eq_u32_e64 s5, 3, v13
	v_cmp_ne_u32_e64 s6, 3, v13
	v_dual_lshlrev_b32 v1, 9, v3 :: v_dual_lshlrev_b32 v51, 3, v13
	v_cmp_eq_u32_e64 s7, 2, v13
	s_and_b32 s44, s5, s4
	v_cmp_gt_u32_e64 s5, 2, v13
	s_and_b32 s45, s6, s4
	v_cmp_eq_u32_e64 s6, 0, v13
	v_dual_sub_nc_u32 v53, v51, v1 :: v_dual_bitop2_b32 v15, 7, v0 bitop3:0x40
	s_and_b32 s46, s7, s4
	s_and_b32 s47, s5, s4
	;; [unrolled: 1-line block ×3, first 2 shown]
	v_cmp_gt_u32_e64 s5, 64, v38
	v_cmp_eq_u32_e64 s6, 7, v15
	v_cmp_ne_u32_e64 s7, 7, v15
	v_cmp_eq_u32_e64 s8, 1, v13
	v_lshl_add_u32 v50, v3, 3, 0x8000
	v_dual_sub_nc_u32 v52, 0, v1 :: v_dual_lshlrev_b32 v13, 6, v38
	s_and_b32 s50, s6, s5
	s_and_b32 s51, s7, s5
	v_cmp_eq_u32_e64 s6, 5, v15
	v_cmp_gt_u32_e64 s7, 5, v15
	s_and_b32 s48, s8, s4
	v_and_b32_e32 v3, 0x1fff8, v38
	v_cmp_eq_u32_e64 s8, 6, v15
	s_and_b32 s54, s6, s5
	v_cmp_gt_u32_e64 s6, 4, v15
	s_and_b32 s55, s7, s5
	v_cmp_gt_u32_e64 s7, 3, v15
	v_dual_mov_b32 v41, v7 :: v_dual_add_nc_u32 v54, 0x8000, v3
	v_and_b32_e32 v1, 0x7ffe00, v13
	v_cmp_gt_u32_e64 s9, 6, v15
	s_and_b32 s52, s8, s5
	v_cmp_eq_u32_e64 s8, 4, v15
	s_and_b32 s57, s6, s5
	v_cmp_eq_u32_e64 s6, 2, v15
	;; [unrolled: 2-line block ×3, first 2 shown]
	v_dual_lshrrev_b32 v3, 4, v38 :: v_dual_bitop2_b32 v13, 15, v0 bitop3:0x40
	s_and_b32 s53, s9, s5
	v_cmp_eq_u32_e64 s9, 3, v15
	s_and_b32 s56, s8, s5
	v_cmp_gt_u32_e64 s8, 2, v15
	s_and_b32 s60, s6, s5
	s_and_b32 s62, s7, s5
	v_cmp_gt_u32_e64 s6, 0x100, v38
	v_cmp_eq_u32_e64 s7, 15, v13
	s_and_b32 s58, s9, s5
	v_cmp_eq_u32_e64 s9, 0, v15
	s_and_b32 s61, s8, s5
	v_cmp_ne_u32_e64 s8, 15, v13
	s_and_b32 s7, s7, s6
	v_cmp_gt_u32_e64 s10, 14, v13
	v_writelane_b32 v92, s7, 1
	s_and_b32 s63, s9, s5
	v_cmp_eq_u32_e64 s9, 14, v13
	s_and_b32 s8, s8, s6
	v_cmp_eq_u32_e64 s7, 13, v13
	v_writelane_b32 v92, s8, 2
	v_dual_lshlrev_b32 v55, 3, v15 :: v_dual_sub_nc_u32 v56, 0, v1
	s_and_b32 s8, s9, s6
	s_and_b32 s7, s7, s6
	v_writelane_b32 v92, s8, 3
	s_and_b32 s8, s10, s6
	v_cmp_gt_u32_e64 s9, 12, v13
	v_cmp_eq_u32_e64 s10, 11, v13
	v_cmp_gt_i32_e32 vcc_lo, s16, v4
	v_writelane_b32 v92, s8, 4
	v_cmp_gt_u32_e64 s8, 13, v13
	v_dual_sub_nc_u32 v57, v55, v1 :: v_dual_lshlrev_b32 v1, 9, v3
	v_lshl_add_u32 v58, v3, 3, 0x8000
	v_writelane_b32 v92, s7, 5
	v_cmp_eq_u32_e64 s7, 12, v13
	s_and_b32 s8, s8, s6
	v_dual_lshlrev_b32 v59, 3, v13 :: v_dual_lshrrev_b32 v3, 5, v38
	v_writelane_b32 v92, s8, 6
	s_and_b32 s7, s7, s6
	v_cmp_gt_u32_e64 s8, 11, v13
	s_xor_b32 s34, s19, 0x80000000
	s_clause 0x1
	s_load_b128 s[68:71], s[0:1], 0x8
	s_load_b128 s[72:75], s[0:1], 0x30
	v_writelane_b32 v92, s7, 7
	s_and_b32 s7, s9, s6
	s_and_b32 s36, s8, s6
	v_cmp_gt_u32_e64 s8, 10, v13
	v_cmp_eq_u32_e64 s9, 9, v13
	v_writelane_b32 v92, s7, 8
	s_and_b32 s7, s10, s6
	v_cmp_gt_u32_e64 s10, 9, v13
	s_and_b32 s39, s8, s6
	v_cmp_gt_u32_e64 s8, 8, v13
	v_writelane_b32 v92, s7, 9
	v_cmp_eq_u32_e64 s7, 10, v13
	s_and_b32 s40, s9, s6
	v_cmp_gt_u32_e64 s9, 7, v13
	s_and_b32 s88, s8, s6
	v_cmp_gt_u32_e64 s8, 6, v13
	s_and_b32 s37, s7, s6
	v_cmp_eq_u32_e64 s7, 8, v13
	s_and_b32 s41, s10, s6
	v_cmp_eq_u32_e64 s10, 6, v13
	s_and_b32 s38, s8, s6
	v_cmp_gt_u32_e64 s8, 5, v13
	s_and_b32 s42, s7, s6
	v_cmp_eq_u32_e64 s7, 7, v13
	s_and_b32 s82, s9, s6
	v_cmp_eq_u32_e64 s9, 4, v13
	s_and_b32 s23, s8, s6
	v_cmp_gt_u32_e64 s8, 3, v13
	s_and_b32 s89, s7, s6
	v_cmp_eq_u32_e64 s7, 5, v13
	s_and_b32 s83, s10, s6
	v_cmp_gt_u32_e64 s10, 4, v13
	s_and_b32 s103, s8, s6
	v_cmp_eq_u32_e64 s8, 0, v13
	s_and_b32 s21, s7, s6
	v_cmp_eq_u32_e64 s7, 3, v13
	s_and_b32 s25, s9, s6
	v_cmp_gt_u32_e64 s9, 2, v13
	s_and_b32 s22, s8, s6
	v_cmp_le_i32_e64 s8, s16, v4
	s_and_b32 s30, s7, s6
	v_cmp_eq_u32_e64 s7, 2, v13
	s_and_b32 s28, s10, s6
	v_cmp_eq_u32_e64 s10, 1, v13
	s_and_b32 s24, s8, s11
	s_and_b32 s65, s9, s6
	;; [unrolled: 1-line block ×3, first 2 shown]
	v_cmp_eq_u32_e64 s7, 0, v2
	s_xor_b32 s9, s24, -1
	s_and_b32 s20, s10, s6
	v_cmp_gt_i32_e64 s2, s78, v8
	v_dual_lshlrev_b32 v0, 9, v3 :: v_dual_bitop2_b32 v62, 31, v0 bitop3:0x40
	s_and_b32 s26, s7, s9
	s_cmp_gt_i32 s100, 0
	v_lshl_add_u32 v63, v3, 3, 0x8000
	s_cselect_b32 s27, -1, 0
	v_dual_mov_b32 v18, 0 :: v_dual_add_nc_u32 v3, 0x50, v14
	v_cmp_gt_i32_e64 s9, s78, v12
	s_wait_xcnt 0x0
	s_and_b32 s0, s7, vcc_lo
	v_add_nc_u32_e32 v13, 0x60, v14
	v_writelane_b32 v92, s0, 10
	v_cmp_gt_i32_e64 s10, s78, v3
	s_and_b32 s0, s2, s9
	v_dual_lshlrev_b32 v64, 3, v62 :: v_dual_sub_nc_u32 v65, 0, v0
	v_writelane_b32 v92, s0, 11
	v_cmp_gt_i32_e64 s11, s78, v13
	s_and_b32 s0, s2, s10
	v_dual_sub_nc_u32 v60, 0, v1 :: v_dual_sub_nc_u32 v61, v59, v1
	v_writelane_b32 v92, s0, 12
	s_and_b32 s0, s2, s11
	v_dual_sub_nc_u32 v66, v64, v0 :: v_dual_add_nc_u32 v40, 16, v2
	v_add_nc_u64_e32 v[0:1], s[14:15], v[6:7]
	v_writelane_b32 v92, s0, 13
	v_cmp_le_u32_e64 s14, v2, v4
	v_cmp_le_i32_e32 vcc_lo, s16, v2
	v_dual_add_nc_u32 v42, 32, v2 :: v_dual_add_nc_u32 v36, 48, v2
	v_cmp_le_u32_e64 s15, v40, v4
	s_delay_alu instid0(VALU_DEP_4)
	v_writelane_b32 v92, s14, 14
	s_or_b32 s0, vcc_lo, s8
	v_cmp_le_i32_e64 s9, s16, v40
	s_or_b32 s0, s0, s14
	v_cmp_le_i32_e64 s10, s16, v42
	v_writelane_b32 v92, s0, 15
	v_cmp_le_i32_e64 s11, s16, v36
	s_or_b32 s1, s9, s8
	s_mov_b32 s35, s19
	s_or_b32 s0, s1, s15
	v_writelane_b32 v92, s15, 16
	s_or_b32 s9, s10, s8
	v_cmp_le_u32_e64 s10, v42, v4
	s_or_b32 s8, s11, s8
	v_cmp_le_u32_e64 s11, v36, v4
	v_writelane_b32 v92, s0, 17
	s_mov_b32 s19, s18
	s_or_b32 s0, s9, s10
	v_cmp_le_u32_e64 s1, v4, v40
                                        ; implicit-def: $vgpr91 : SGPR spill to VGPR lane
	v_add_max_i32_e64 v44, 0x70, v14, v8
	v_writelane_b32 v92, s10, 18
	v_mbcnt_lo_u32_b32 v12, -1, 0
	v_dual_mov_b32 v3, v7 :: v_dual_bitop2_b32 v45, v40, v4 bitop3:0x54
	v_mov_b32_e32 v43, v7
	v_writelane_b32 v92, s0, 19
	s_or_b32 s0, s8, s11
	v_lshlrev_b32_e32 v19, 20, v12
	v_or_b32_e32 v81, v42, v4
	v_or_b32_e32 v82, v36, v4
	v_writelane_b32 v92, s11, 20
	v_mov_b32_e32 v37, v7
	v_add_nc_u64_e32 v[12:13], src_flat_scratch_base_lo, v[18:19]
	v_mov_b32_e32 v18, 8
	v_mul_u64_e32 v[0:1], s[84:85], v[0:1]
	v_writelane_b32 v92, s0, 21
	v_mul_u64_e32 v[22:23], s[80:81], v[40:41]
	v_mul_u64_e32 v[24:25], s[80:81], v[42:43]
	v_add_nc_u64_e32 v[14:15], src_flat_scratch_base_lo, v[18:19]
	v_mov_b32_e32 v18, 16
	v_writelane_b32 v92, s34, 22
	v_mul_u64_e32 v[26:27], s[84:85], v[8:9]
	v_mul_u64_e32 v[28:29], s[80:81], v[2:3]
                                        ; implicit-def: $vgpr90 : SGPR spill to VGPR lane
	v_lshl_add_u32 v68, v2, 3, 0xa000
	v_add_nc_u64_e32 v[16:17], src_flat_scratch_base_lo, v[18:19]
	v_writelane_b32 v92, s35, 23
	v_mov_b32_e32 v18, 24
	v_mul_u64_e32 v[30:31], s[80:81], v[36:37]
	v_cmp_lt_u32_e32 vcc_lo, 0x3ff, v38
	v_mov_b64_e32 v[32:33], 0
	v_writelane_b32 v92, s18, 24
	v_add_nc_u64_e32 v[18:19], src_flat_scratch_base_lo, v[18:19]
	v_mov_b64_e32 v[34:35], 0x3f800000
	v_lshl_add_u32 v67, v6, 3, 0xa000
	v_lshl_add_u32 v69, v40, 9, v48
	v_writelane_b32 v92, s19, 25
	v_lshl_add_u32 v70, v42, 9, v48
	s_lshl_b64 s[90:91], s[12:13], 3
	v_dual_mov_b32 v21, v7 :: v_dual_lshlrev_b32 v20, 3, v4
	v_writelane_b32 v92, s1, 26
	v_cmp_gt_u32_e64 s1, 0xf0, v38
	v_lshl_add_u32 v71, v38, 3, 0x8000
	v_or_b32_e32 v72, 0x8000, v48
	v_lshl_add_u32 v73, v2, 9, v48
	v_add_nc_u32_e32 v74, v68, v48
	v_writelane_b32 v92, s1, 27
	v_cmp_gt_u32_e64 s1, 0xe0, v38
	v_lshl_add_u32 v75, v36, 9, v48
	v_or_b32_e32 v76, 0x3800, v64
	v_subrev_nc_u32_e32 v77, 31, v62
	v_add_nc_u32_e32 v78, 0x7800, v48
	v_writelane_b32 v92, s1, 28
	v_cmp_gt_u32_e64 s1, 0xd0, v38
	v_subrev_nc_u32_e32 v79, 63, v4
	v_add_nc_u32_e64 v80, 0x7800, 0
	v_cmp_eq_u32_e64 s11, 0, v39
	v_cmp_gt_u32_e64 s12, 2, v38
	v_writelane_b32 v92, s1, 29
	v_cmp_gt_u32_e64 s1, 0xc0, v38
	v_cmp_gt_u32_e64 s13, 12, v38
	;; [unrolled: 1-line block ×5, first 2 shown]
	v_writelane_b32 v92, s1, 30
	v_cmp_gt_u32_e64 s1, 0xb0, v38
	v_cmp_gt_u32_e64 s17, 40, v38
	;; [unrolled: 1-line block ×5, first 2 shown]
	v_writelane_b32 v92, s1, 31
	v_cmp_gt_u32_e64 s1, 0xa0, v38
	v_cmp_eq_u32_e64 s34, 0, v6
	v_cmp_gt_u32_e64 s35, 64, v6
	s_add_co_i32 s29, s29, 1
	s_xor_b32 s0, vcc_lo, -1
	v_writelane_b32 v91, s1, 0
	v_cmp_gt_u32_e64 s1, 0x90, v38
	s_lshl_b64 s[92:93], s[80:81], 7
	s_lshl_b64 s[94:95], s[80:81], 8
	s_mul_u64 s[96:97], s[80:81], 0x180
	s_wait_kmcnt 0x0
	s_lshl_b64 s[70:71], s[70:71], 3
	v_writelane_b32 v91, s1, 1
	v_cmp_le_u32_e64 s1, v4, v42
	s_lshl_b64 s[74:75], s[74:75], 3
	v_writelane_b32 v91, s1, 2
	v_cmp_gt_u32_e64 s1, 0x80, v38
	s_delay_alu instid0(VALU_DEP_1) | instskip(SKIP_1) | instid1(VALU_DEP_1)
	v_writelane_b32 v91, s1, 3
	v_cmp_gt_u32_e64 s1, 0x70, v38
	v_writelane_b32 v91, s1, 4
	v_cmp_gt_u32_e64 s1, 0x60, v38
	s_delay_alu instid0(VALU_DEP_1) | instskip(SKIP_1) | instid1(VALU_DEP_1)
	v_writelane_b32 v91, s1, 5
	v_cmp_gt_u32_e64 s1, 0x50, v38
	v_writelane_b32 v91, s1, 6
	v_cmp_le_u32_e64 s1, v4, v2
	s_delay_alu instid0(VALU_DEP_1) | instskip(SKIP_1) | instid1(VALU_DEP_1)
	v_writelane_b32 v91, s1, 7
	v_cmp_le_u32_e64 s1, v4, v36
	v_writelane_b32 v91, s1, 8
	v_cmp_le_i32_e64 s1, s78, v44
	s_delay_alu instid0(VALU_DEP_1) | instskip(SKIP_1) | instid1(VALU_DEP_1)
	v_writelane_b32 v91, s1, 9
	v_cmp_gt_u32_e64 s1, 64, v39
	v_writelane_b32 v91, s1, 10
	v_cmp_gt_u32_e64 s1, 64, v45
	s_delay_alu instid0(VALU_DEP_1) | instskip(SKIP_1) | instid1(VALU_DEP_1)
	v_writelane_b32 v91, s1, 11
	v_cmp_gt_u32_e64 s1, 64, v81
	v_writelane_b32 v91, s1, 12
	v_cmp_gt_u32_e64 s1, 64, v82
	;; [unrolled: 5-line block ×13, first 2 shown]
	s_delay_alu instid0(VALU_DEP_1) | instskip(SKIP_1) | instid1(VALU_DEP_1)
	v_writelane_b32 v90, s1, 3
	v_cmp_gt_u32_e64 s1, 0x120, v38
	v_writelane_b32 v90, s1, 4
	s_branch .LBB157_3
.LBB157_2:                              ;   in Loop: Header=BB157_3 Depth=1
	s_wait_xcnt 0x0
	s_or_b32 exec_lo, exec_lo, s1
	s_add_co_i32 s76, s76, 0x10000
	global_wb scope:SCOPE_DEV
	s_wait_storecnt 0x0
	global_inv scope:SCOPE_DEV
	s_cmp_lt_u32 s76, s67
	s_cbranch_scc0 .LBB157_1050
.LBB157_3:                              ; =>This Loop Header: Depth=1
                                        ;     Child Loop BB157_524 Depth 2
                                        ;     Child Loop BB157_940 Depth 2
                                        ;       Child Loop BB157_942 Depth 3
                                        ;     Child Loop BB157_974 Depth 2
	v_mov_b32_e32 v3, s76
	v_readlane_b32 s1, v92, 0
	s_clause 0x1
	global_load_b64 v[36:37], v3, s[68:69] scale_offset
	global_load_b64 v[38:39], v3, s[72:73] scale_offset
	s_and_not1_b32 vcc_lo, exec_lo, s1
	s_wait_loadcnt 0x1
	v_add_nc_u64_e32 v[36:37], s[70:71], v[36:37]
	s_cbranch_vccnz .LBB157_15
; %bb.4:                                ;   in Loop: Header=BB157_3 Depth=1
	s_delay_alu instid0(VALU_DEP_1) | instskip(SKIP_3) | instid1(VALU_DEP_3)
	v_lshl_add_u64 v[40:41], v[10:11], 3, v[36:37]
	v_dual_mov_b32 v42, 0 :: v_dual_mov_b32 v44, 0
	v_mov_b32_e32 v45, 0
	s_wait_loadcnt 0x0
	v_lshl_add_u64 v[40:41], v[8:9], 3, v[40:41]
	s_barrier_signal -1
	s_barrier_wait -1
	s_wait_xcnt 0x0
	s_mov_b32 s1, exec_lo
	v_readlane_b32 s8, v92, 11
	s_and_b32 s8, s1, s8
	s_delay_alu instid0(SALU_CYCLE_1)
	s_mov_b32 exec_lo, s8
	s_cbranch_execz .LBB157_6
; %bb.5:                                ;   in Loop: Header=BB157_3 Depth=1
	flat_load_b64 v[44:45], v[40:41]
.LBB157_6:                              ;   in Loop: Header=BB157_3 Depth=1
	s_wait_xcnt 0x0
	s_or_b32 exec_lo, exec_lo, s1
	v_mov_b32_e32 v43, 0
	s_wait_loadcnt_dscnt 0x0
	scratch_store_b64 off, v[44:45], off
	s_wait_storecnt 0x0
	s_barrier_signal -1
	s_barrier_wait -1
	s_wait_xcnt 0x0
	s_mov_b32 s1, exec_lo
	v_readlane_b32 s8, v92, 12
	s_and_b32 s8, s1, s8
	s_delay_alu instid0(SALU_CYCLE_1)
	s_mov_b32 exec_lo, s8
	s_cbranch_execz .LBB157_8
; %bb.7:                                ;   in Loop: Header=BB157_3 Depth=1
	v_add_nc_u64_e32 v[42:43], s[92:93], v[40:41]
	flat_load_b64 v[42:43], v[42:43]
.LBB157_8:                              ;   in Loop: Header=BB157_3 Depth=1
	s_wait_xcnt 0x0
	s_or_b32 exec_lo, exec_lo, s1
	s_wait_loadcnt_dscnt 0x0
	scratch_store_b64 off, v[42:43], off offset:8
	s_wait_xcnt 0x0
	v_dual_mov_b32 v42, 0 :: v_dual_mov_b32 v43, 0
	s_wait_storecnt 0x0
	s_barrier_signal -1
	s_barrier_wait -1
	s_mov_b32 s1, exec_lo
	v_readlane_b32 s8, v92, 13
	s_and_b32 s8, s1, s8
	s_delay_alu instid0(SALU_CYCLE_1)
	s_mov_b32 exec_lo, s8
	s_cbranch_execz .LBB157_10
; %bb.9:                                ;   in Loop: Header=BB157_3 Depth=1
	v_add_nc_u64_e32 v[42:43], s[94:95], v[40:41]
	flat_load_b64 v[42:43], v[42:43]
.LBB157_10:                             ;   in Loop: Header=BB157_3 Depth=1
	s_wait_xcnt 0x0
	s_or_b32 exec_lo, exec_lo, s1
	s_wait_loadcnt_dscnt 0x0
	scratch_store_b64 off, v[42:43], off offset:16
	s_wait_storecnt 0x0
	s_barrier_signal -1
	s_barrier_wait -1
	s_wait_xcnt 0x0
	s_mov_b32 s1, exec_lo
	v_readlane_b32 s8, v91, 9
	s_and_b32 s8, s1, s8
	s_delay_alu instid0(SALU_CYCLE_1)
	s_xor_b32 s1, s8, s1
	s_mov_b32 exec_lo, s8
	s_cbranch_execz .LBB157_12
; %bb.11:                               ;   in Loop: Header=BB157_3 Depth=1
	scratch_store_b64 off, v[32:33], off offset:24
                                        ; implicit-def: $vgpr40_vgpr41
.LBB157_12:                             ;   in Loop: Header=BB157_3 Depth=1
	s_wait_xcnt 0x0
	s_and_not1_saveexec_b32 s1, s1
	s_cbranch_execz .LBB157_14
; %bb.13:                               ;   in Loop: Header=BB157_3 Depth=1
	v_add_nc_u64_e32 v[40:41], s[96:97], v[40:41]
	flat_load_b64 v[40:41], v[40:41]
	s_wait_loadcnt_dscnt 0x0
	scratch_store_b64 off, v[40:41], off offset:24
.LBB157_14:                             ;   in Loop: Header=BB157_3 Depth=1
	s_wait_xcnt 0x0
	s_or_b32 exec_lo, exec_lo, s1
.LBB157_15:                             ;   in Loop: Header=BB157_3 Depth=1
	s_delay_alu instid0(VALU_DEP_1) | instskip(SKIP_2) | instid1(VALU_DEP_1)
	v_add_nc_u64_e32 v[40:41], s[90:91], v[36:37]
	s_and_not1_b32 vcc_lo, exec_lo, s102
	s_mov_b32 s1, -1
	v_add_nc_u64_e32 v[40:41], v[40:41], v[20:21]
	s_cbranch_vccnz .LBB157_41
; %bb.16:                               ;   in Loop: Header=BB157_3 Depth=1
	s_wait_xcnt 0x0
	s_mov_b32 s1, exec_lo
	v_readlane_b32 s8, v92, 14
	s_and_b32 s8, s1, s8
	s_delay_alu instid0(SALU_CYCLE_1)
	s_xor_b32 s1, s8, s1
	s_mov_b32 exec_lo, s8
	s_cbranch_execz .LBB157_20
; %bb.17:                               ;   in Loop: Header=BB157_3 Depth=1
	s_mov_b32 s8, exec_lo
	v_readlane_b32 s9, v91, 10
	s_and_b32 s9, s8, s9
	s_delay_alu instid0(SALU_CYCLE_1)
	s_mov_b32 exec_lo, s9
; %bb.18:                               ;   in Loop: Header=BB157_3 Depth=1
	ds_store_b64 v73, v[32:33]
; %bb.19:                               ;   in Loop: Header=BB157_3 Depth=1
	s_or_b32 exec_lo, exec_lo, s8
.LBB157_20:                             ;   in Loop: Header=BB157_3 Depth=1
	s_and_not1_saveexec_b32 s1, s1
	s_cbranch_execz .LBB157_22
; %bb.21:                               ;   in Loop: Header=BB157_3 Depth=1
	v_lshl_add_u64 v[42:43], v[28:29], 3, v[40:41]
	flat_load_b64 v[42:43], v[42:43]
	s_wait_loadcnt_dscnt 0x0
	v_pk_add_f32 v[42:43], v[42:43], 0 neg_lo:[1,1] neg_hi:[1,1]
	ds_store_b64 v73, v[42:43]
.LBB157_22:                             ;   in Loop: Header=BB157_3 Depth=1
	s_or_b32 exec_lo, exec_lo, s1
	s_delay_alu instid0(SALU_CYCLE_1) | instskip(SKIP_2) | instid1(SALU_CYCLE_1)
	s_mov_b32 s1, exec_lo
	v_readlane_b32 s8, v92, 16
	s_and_b32 s8, s1, s8
	s_xor_b32 s1, s8, s1
	s_mov_b32 exec_lo, s8
	s_cbranch_execz .LBB157_26
; %bb.23:                               ;   in Loop: Header=BB157_3 Depth=1
	s_mov_b32 s8, exec_lo
	v_readlane_b32 s9, v91, 11
	s_and_b32 s9, s8, s9
	s_delay_alu instid0(SALU_CYCLE_1)
	s_mov_b32 exec_lo, s9
; %bb.24:                               ;   in Loop: Header=BB157_3 Depth=1
	ds_store_b64 v69, v[32:33]
; %bb.25:                               ;   in Loop: Header=BB157_3 Depth=1
	s_or_b32 exec_lo, exec_lo, s8
.LBB157_26:                             ;   in Loop: Header=BB157_3 Depth=1
	s_and_not1_saveexec_b32 s1, s1
	s_cbranch_execz .LBB157_28
; %bb.27:                               ;   in Loop: Header=BB157_3 Depth=1
	v_lshl_add_u64 v[42:43], v[22:23], 3, v[40:41]
	flat_load_b64 v[42:43], v[42:43]
	s_wait_loadcnt_dscnt 0x0
	v_pk_add_f32 v[42:43], v[42:43], 0 neg_lo:[1,1] neg_hi:[1,1]
	ds_store_b64 v69, v[42:43]
.LBB157_28:                             ;   in Loop: Header=BB157_3 Depth=1
	s_or_b32 exec_lo, exec_lo, s1
	s_delay_alu instid0(SALU_CYCLE_1) | instskip(SKIP_2) | instid1(SALU_CYCLE_1)
	s_mov_b32 s1, exec_lo
	v_readlane_b32 s8, v92, 18
	s_and_b32 s8, s1, s8
	;; [unrolled: 28-line block ×3, first 2 shown]
	s_xor_b32 s1, s8, s1
	s_mov_b32 exec_lo, s8
	s_cbranch_execz .LBB157_38
; %bb.35:                               ;   in Loop: Header=BB157_3 Depth=1
	s_mov_b32 s8, exec_lo
	v_readlane_b32 s9, v91, 13
	s_and_b32 s9, s8, s9
	s_delay_alu instid0(SALU_CYCLE_1)
	s_mov_b32 exec_lo, s9
; %bb.36:                               ;   in Loop: Header=BB157_3 Depth=1
	ds_store_b64 v75, v[32:33]
; %bb.37:                               ;   in Loop: Header=BB157_3 Depth=1
	s_or_b32 exec_lo, exec_lo, s8
.LBB157_38:                             ;   in Loop: Header=BB157_3 Depth=1
	s_and_not1_saveexec_b32 s1, s1
	s_cbranch_execz .LBB157_40
; %bb.39:                               ;   in Loop: Header=BB157_3 Depth=1
	v_lshl_add_u64 v[42:43], v[30:31], 3, v[40:41]
	flat_load_b64 v[42:43], v[42:43]
	s_wait_loadcnt_dscnt 0x0
	v_pk_add_f32 v[42:43], v[42:43], 0 neg_lo:[1,1] neg_hi:[1,1]
	ds_store_b64 v75, v[42:43]
.LBB157_40:                             ;   in Loop: Header=BB157_3 Depth=1
	s_or_b32 exec_lo, exec_lo, s1
	s_mov_b32 s1, 0
.LBB157_41:                             ;   in Loop: Header=BB157_3 Depth=1
	s_delay_alu instid0(SALU_CYCLE_1)
	s_and_b32 vcc_lo, exec_lo, s1
	s_cbranch_vccz .LBB157_67
; %bb.42:                               ;   in Loop: Header=BB157_3 Depth=1
	s_wait_xcnt 0x0
	s_mov_b32 s1, exec_lo
	v_readlane_b32 s8, v92, 15
	s_and_b32 s8, s1, s8
	s_delay_alu instid0(SALU_CYCLE_1)
	s_xor_b32 s1, s8, s1
	s_mov_b32 exec_lo, s8
	s_cbranch_execz .LBB157_46
; %bb.43:                               ;   in Loop: Header=BB157_3 Depth=1
	s_mov_b32 s8, exec_lo
	v_readlane_b32 s9, v91, 10
	s_and_b32 s9, s8, s9
	s_delay_alu instid0(SALU_CYCLE_1)
	s_mov_b32 exec_lo, s9
; %bb.44:                               ;   in Loop: Header=BB157_3 Depth=1
	ds_store_b64 v73, v[32:33]
; %bb.45:                               ;   in Loop: Header=BB157_3 Depth=1
	s_or_b32 exec_lo, exec_lo, s8
.LBB157_46:                             ;   in Loop: Header=BB157_3 Depth=1
	s_and_not1_saveexec_b32 s1, s1
	s_cbranch_execz .LBB157_48
; %bb.47:                               ;   in Loop: Header=BB157_3 Depth=1
	v_lshl_add_u64 v[42:43], v[28:29], 3, v[40:41]
	flat_load_b64 v[42:43], v[42:43]
	s_wait_loadcnt_dscnt 0x0
	v_pk_add_f32 v[42:43], v[42:43], 0 neg_lo:[1,1] neg_hi:[1,1]
	ds_store_b64 v73, v[42:43]
.LBB157_48:                             ;   in Loop: Header=BB157_3 Depth=1
	s_or_b32 exec_lo, exec_lo, s1
	s_delay_alu instid0(SALU_CYCLE_1) | instskip(SKIP_2) | instid1(SALU_CYCLE_1)
	s_mov_b32 s1, exec_lo
	v_readlane_b32 s8, v92, 17
	s_and_b32 s8, s1, s8
	s_xor_b32 s1, s8, s1
	s_mov_b32 exec_lo, s8
	s_cbranch_execz .LBB157_52
; %bb.49:                               ;   in Loop: Header=BB157_3 Depth=1
	s_mov_b32 s8, exec_lo
	v_readlane_b32 s9, v91, 11
	s_and_b32 s9, s8, s9
	s_delay_alu instid0(SALU_CYCLE_1)
	s_mov_b32 exec_lo, s9
; %bb.50:                               ;   in Loop: Header=BB157_3 Depth=1
	ds_store_b64 v69, v[32:33]
; %bb.51:                               ;   in Loop: Header=BB157_3 Depth=1
	s_or_b32 exec_lo, exec_lo, s8
.LBB157_52:                             ;   in Loop: Header=BB157_3 Depth=1
	s_and_not1_saveexec_b32 s1, s1
	s_cbranch_execz .LBB157_54
; %bb.53:                               ;   in Loop: Header=BB157_3 Depth=1
	v_lshl_add_u64 v[42:43], v[22:23], 3, v[40:41]
	flat_load_b64 v[42:43], v[42:43]
	s_wait_loadcnt_dscnt 0x0
	v_pk_add_f32 v[42:43], v[42:43], 0 neg_lo:[1,1] neg_hi:[1,1]
	ds_store_b64 v69, v[42:43]
.LBB157_54:                             ;   in Loop: Header=BB157_3 Depth=1
	s_or_b32 exec_lo, exec_lo, s1
	s_delay_alu instid0(SALU_CYCLE_1) | instskip(SKIP_2) | instid1(SALU_CYCLE_1)
	s_mov_b32 s1, exec_lo
	v_readlane_b32 s8, v92, 19
	s_and_b32 s8, s1, s8
	;; [unrolled: 28-line block ×3, first 2 shown]
	s_xor_b32 s1, s8, s1
	s_mov_b32 exec_lo, s8
	s_cbranch_execz .LBB157_64
; %bb.61:                               ;   in Loop: Header=BB157_3 Depth=1
	s_mov_b32 s8, exec_lo
	v_readlane_b32 s9, v91, 13
	s_and_b32 s9, s8, s9
	s_delay_alu instid0(SALU_CYCLE_1)
	s_mov_b32 exec_lo, s9
; %bb.62:                               ;   in Loop: Header=BB157_3 Depth=1
	ds_store_b64 v75, v[32:33]
; %bb.63:                               ;   in Loop: Header=BB157_3 Depth=1
	s_or_b32 exec_lo, exec_lo, s8
                                        ; implicit-def: $vgpr40_vgpr41
.LBB157_64:                             ;   in Loop: Header=BB157_3 Depth=1
	s_and_not1_saveexec_b32 s1, s1
	s_cbranch_execz .LBB157_66
; %bb.65:                               ;   in Loop: Header=BB157_3 Depth=1
	v_lshl_add_u64 v[40:41], v[30:31], 3, v[40:41]
	flat_load_b64 v[40:41], v[40:41]
	s_wait_loadcnt_dscnt 0x0
	v_pk_add_f32 v[40:41], v[40:41], 0 neg_lo:[1,1] neg_hi:[1,1]
	ds_store_b64 v75, v[40:41]
.LBB157_66:                             ;   in Loop: Header=BB157_3 Depth=1
	s_or_b32 exec_lo, exec_lo, s1
.LBB157_67:                             ;   in Loop: Header=BB157_3 Depth=1
	s_delay_alu instid0(SALU_CYCLE_1)
	s_and_not1_b32 vcc_lo, exec_lo, s104
	s_wait_storecnt 0x0
	s_wait_loadcnt_dscnt 0x0
	s_barrier_signal -1
	s_barrier_wait -1
	s_cbranch_vccnz .LBB157_935
; %bb.68:                               ;   in Loop: Header=BB157_3 Depth=1
	s_wait_xcnt 0x0
	s_and_saveexec_b32 s1, s11
; %bb.69:                               ;   in Loop: Header=BB157_3 Depth=1
	ds_store_2addr_b64 v80, v[34:35], v[34:35] offset0:190 offset1:255
; %bb.70:                               ;   in Loop: Header=BB157_3 Depth=1
	s_or_b32 exec_lo, exec_lo, s1
	v_dual_mov_b32 v40, 0 :: v_dual_mov_b32 v41, 0
	s_wait_dscnt 0x0
	s_barrier_signal -1
	s_barrier_wait -1
	global_wb scope:SCOPE_DEV
	s_wait_storecnt 0x0
	global_inv scope:SCOPE_DEV
	s_and_saveexec_b32 s1, s3
	s_cbranch_execz .LBB157_74
; %bb.71:                               ;   in Loop: Header=BB157_3 Depth=1
	ds_load_b64 v[40:41], v46 offset:32224
	ds_load_b64 v[42:43], v47 offset:32752
	s_wait_dscnt 0x0
	v_pk_mul_f32 v[44:45], v[42:43], v[40:41] op_sel:[1,1] op_sel_hi:[0,1]
	s_delay_alu instid0(VALU_DEP_1) | instskip(SKIP_1) | instid1(VALU_DEP_2)
	v_pk_fma_f32 v[82:83], v[42:43], v[40:41], v[44:45] op_sel_hi:[1,0,1]
	v_pk_fma_f32 v[40:41], v[42:43], v[40:41], v[44:45] neg_lo:[0,0,1] neg_hi:[0,0,1]
	v_mov_b32_e32 v41, v83
	s_delay_alu instid0(VALU_DEP_1)
	v_pk_add_f32 v[40:41], v[40:41], 0 op_sel_hi:[1,0]
	s_and_saveexec_b32 s8, s12
	s_cbranch_execz .LBB157_73
; %bb.72:                               ;   in Loop: Header=BB157_3 Depth=1
	ds_load_b64 v[42:43], v48 offset:32736
	ds_load_b64 v[44:45], v7 offset:32760
	s_wait_dscnt 0x0
	v_pk_mul_f32 v[82:83], v[44:45], v[42:43] op_sel:[1,1] op_sel_hi:[0,1]
	s_delay_alu instid0(VALU_DEP_1) | instskip(SKIP_1) | instid1(VALU_DEP_2)
	v_pk_fma_f32 v[84:85], v[44:45], v[42:43], v[82:83] op_sel_hi:[1,0,1]
	v_pk_fma_f32 v[42:43], v[44:45], v[42:43], v[82:83] neg_lo:[0,0,1] neg_hi:[0,0,1]
	v_mov_b32_e32 v43, v85
	s_delay_alu instid0(VALU_DEP_1)
	v_pk_add_f32 v[40:41], v[40:41], v[42:43]
.LBB157_73:                             ;   in Loop: Header=BB157_3 Depth=1
	s_or_b32 exec_lo, exec_lo, s8
.LBB157_74:                             ;   in Loop: Header=BB157_3 Depth=1
	s_delay_alu instid0(SALU_CYCLE_1)
	s_or_b32 exec_lo, exec_lo, s1
	s_and_saveexec_b32 s1, vcc_hi
; %bb.75:                               ;   in Loop: Header=BB157_3 Depth=1
	s_delay_alu instid0(VALU_DEP_1)
	v_pk_add_f32 v[42:43], v[40:41], 0 neg_lo:[1,1] neg_hi:[1,1]
	ds_store_b64 v5, v[42:43]
; %bb.76:                               ;   in Loop: Header=BB157_3 Depth=1
	s_or_b32 exec_lo, exec_lo, s1
	s_wait_loadcnt_dscnt 0x0
	s_barrier_signal -1
	s_barrier_wait -1
	s_and_saveexec_b32 s1, s43
	s_cbranch_execz .LBB157_78
; %bb.77:                               ;   in Loop: Header=BB157_3 Depth=1
	ds_load_b64 v[42:43], v7 offset:31712
	ds_load_b64 v[44:45], v5
	s_wait_dscnt 0x0
	v_pk_mul_f32 v[82:83], v[44:45], v[42:43] op_sel_hi:[1,0]
	s_delay_alu instid0(VALU_DEP_1) | instskip(SKIP_1) | instid1(VALU_DEP_2)
	v_pk_fma_f32 v[84:85], v[44:45], v[42:43], v[82:83] op_sel:[1,1,0] op_sel_hi:[0,1,1]
	v_pk_fma_f32 v[42:43], v[44:45], v[42:43], v[82:83] op_sel:[1,1,0] op_sel_hi:[0,1,1] neg_lo:[0,0,1] neg_hi:[0,0,1]
	v_pk_add_f32 v[44:45], v[40:41], v[84:85] neg_lo:[0,1] neg_hi:[0,1]
	s_delay_alu instid0(VALU_DEP_2) | instskip(NEXT) | instid1(VALU_DEP_2)
	v_pk_add_f32 v[40:41], v[40:41], v[42:43]
	v_mov_b32_e32 v41, v45
.LBB157_78:                             ;   in Loop: Header=BB157_3 Depth=1
	s_or_b32 exec_lo, exec_lo, s1
	s_barrier_signal -1
	s_barrier_wait -1
	s_and_saveexec_b32 s1, s43
; %bb.79:                               ;   in Loop: Header=BB157_3 Depth=1
	v_pk_add_f32 v[42:43], v[40:41], 0 neg_lo:[1,1] neg_hi:[1,1]
	ds_store_b64 v5, v[42:43]
; %bb.80:                               ;   in Loop: Header=BB157_3 Depth=1
	s_or_b32 exec_lo, exec_lo, s1
	s_wait_dscnt 0x0
	s_barrier_signal -1
	s_barrier_wait -1
	s_barrier_signal -1
	s_barrier_wait -1
	s_and_saveexec_b32 s1, s3
; %bb.81:                               ;   in Loop: Header=BB157_3 Depth=1
	ds_store_b64 v49, v[40:41] offset:32736
; %bb.82:                               ;   in Loop: Header=BB157_3 Depth=1
	s_or_b32 exec_lo, exec_lo, s1
	s_wait_dscnt 0x0
	s_barrier_signal -1
	s_barrier_wait -1
	s_barrier_signal -1
	s_barrier_wait -1
	s_and_saveexec_b32 s1, s11
; %bb.83:                               ;   in Loop: Header=BB157_3 Depth=1
	ds_store_2addr_b64 v80, v[34:35], v[34:35] offset0:60 offset1:125
; %bb.84:                               ;   in Loop: Header=BB157_3 Depth=1
	s_or_b32 exec_lo, exec_lo, s1
	v_mov_b64_e32 v[40:41], 0
	s_wait_dscnt 0x0
	s_barrier_signal -1
	s_barrier_wait -1
	global_wb scope:SCOPE_DEV
	s_wait_storecnt 0x0
	global_inv scope:SCOPE_DEV
	s_and_saveexec_b32 s1, s4
	s_cbranch_execz .LBB157_90
; %bb.85:                               ;   in Loop: Header=BB157_3 Depth=1
	ds_load_b64 v[40:41], v51 offset:31168
	ds_load_b64 v[42:43], v52 offset:32736
	s_wait_dscnt 0x0
	v_dual_mul_f32 v3, v43, v41 :: v_dual_mul_f32 v41, v42, v41
	s_delay_alu instid0(VALU_DEP_1) | instskip(NEXT) | instid1(VALU_DEP_1)
	v_dual_fma_f32 v3, v42, v40, -v3 :: v_dual_fmac_f32 v41, v43, v40
	v_dual_add_f32 v40, 0, v3 :: v_dual_add_f32 v41, 0, v41
	s_and_saveexec_b32 s8, s13
	s_cbranch_execnz .LBB157_1000
; %bb.86:                               ;   in Loop: Header=BB157_3 Depth=1
	s_or_b32 exec_lo, exec_lo, s8
	s_and_saveexec_b32 s8, s14
	s_cbranch_execnz .LBB157_1001
.LBB157_87:                             ;   in Loop: Header=BB157_3 Depth=1
	s_or_b32 exec_lo, exec_lo, s8
	s_and_saveexec_b32 s8, s3
	s_cbranch_execz .LBB157_89
.LBB157_88:                             ;   in Loop: Header=BB157_3 Depth=1
	ds_load_b64 v[42:43], v48 offset:32704
	ds_load_b64 v[44:45], v7 offset:32760
	s_wait_dscnt 0x0
	v_pk_mul_f32 v[82:83], v[44:45], v[42:43] op_sel:[1,1] op_sel_hi:[0,1]
	s_delay_alu instid0(VALU_DEP_1) | instskip(SKIP_1) | instid1(VALU_DEP_2)
	v_pk_fma_f32 v[84:85], v[44:45], v[42:43], v[82:83] op_sel_hi:[1,0,1]
	v_pk_fma_f32 v[42:43], v[44:45], v[42:43], v[82:83] neg_lo:[0,0,1] neg_hi:[0,0,1]
	v_mov_b32_e32 v43, v85
	s_delay_alu instid0(VALU_DEP_1)
	v_pk_add_f32 v[40:41], v[40:41], v[42:43]
.LBB157_89:                             ;   in Loop: Header=BB157_3 Depth=1
	s_or_b32 exec_lo, exec_lo, s8
.LBB157_90:                             ;   in Loop: Header=BB157_3 Depth=1
	s_delay_alu instid0(SALU_CYCLE_1)
	s_or_b32 exec_lo, exec_lo, s1
	s_and_saveexec_b32 s1, s44
; %bb.91:                               ;   in Loop: Header=BB157_3 Depth=1
	s_delay_alu instid0(VALU_DEP_1)
	v_pk_add_f32 v[42:43], v[40:41], 0 neg_lo:[1,1] neg_hi:[1,1]
	ds_store_b64 v50, v[42:43]
; %bb.92:                               ;   in Loop: Header=BB157_3 Depth=1
	s_or_b32 exec_lo, exec_lo, s1
	s_wait_loadcnt_dscnt 0x0
	s_barrier_signal -1
	s_barrier_wait -1
	s_and_saveexec_b32 s1, s45
	s_cbranch_execz .LBB157_94
; %bb.93:                               ;   in Loop: Header=BB157_3 Depth=1
	ds_load_b64 v[42:43], v51 offset:30656
	ds_load_b64 v[44:45], v50
	s_wait_dscnt 0x0
	v_pk_mul_f32 v[82:83], v[44:45], v[42:43] op_sel:[1,1] op_sel_hi:[0,1]
	s_delay_alu instid0(VALU_DEP_1) | instskip(SKIP_1) | instid1(VALU_DEP_2)
	v_pk_fma_f32 v[84:85], v[44:45], v[42:43], v[82:83] op_sel_hi:[1,0,1]
	v_pk_fma_f32 v[42:43], v[44:45], v[42:43], v[82:83] neg_lo:[0,0,1] neg_hi:[0,0,1]
	v_mov_b32_e32 v43, v85
	s_delay_alu instid0(VALU_DEP_1)
	v_pk_add_f32 v[40:41], v[40:41], v[42:43] neg_lo:[0,1] neg_hi:[0,1]
.LBB157_94:                             ;   in Loop: Header=BB157_3 Depth=1
	s_or_b32 exec_lo, exec_lo, s1
	s_barrier_signal -1
	s_barrier_wait -1
	s_and_saveexec_b32 s1, s46
; %bb.95:                               ;   in Loop: Header=BB157_3 Depth=1
	v_pk_add_f32 v[42:43], v[40:41], 0 neg_lo:[1,1] neg_hi:[1,1]
	ds_store_b64 v50, v[42:43]
; %bb.96:                               ;   in Loop: Header=BB157_3 Depth=1
	s_or_b32 exec_lo, exec_lo, s1
	s_wait_dscnt 0x0
	s_barrier_signal -1
	s_barrier_wait -1
	s_and_saveexec_b32 s1, s47
	s_cbranch_execz .LBB157_98
; %bb.97:                               ;   in Loop: Header=BB157_3 Depth=1
	ds_load_b64 v[42:43], v51 offset:30144
	ds_load_b64 v[44:45], v50
	s_wait_dscnt 0x0
	v_pk_mul_f32 v[82:83], v[44:45], v[42:43] op_sel:[1,1] op_sel_hi:[0,1]
	s_delay_alu instid0(VALU_DEP_1) | instskip(SKIP_1) | instid1(VALU_DEP_2)
	v_pk_fma_f32 v[84:85], v[44:45], v[42:43], v[82:83] op_sel_hi:[1,0,1]
	v_pk_fma_f32 v[42:43], v[44:45], v[42:43], v[82:83] neg_lo:[0,0,1] neg_hi:[0,0,1]
	v_mov_b32_e32 v43, v85
	s_delay_alu instid0(VALU_DEP_1)
	v_pk_add_f32 v[40:41], v[40:41], v[42:43] neg_lo:[0,1] neg_hi:[0,1]
.LBB157_98:                             ;   in Loop: Header=BB157_3 Depth=1
	s_or_b32 exec_lo, exec_lo, s1
	s_barrier_signal -1
	s_barrier_wait -1
	s_and_saveexec_b32 s1, s48
; %bb.99:                               ;   in Loop: Header=BB157_3 Depth=1
	v_pk_add_f32 v[42:43], v[40:41], 0 neg_lo:[1,1] neg_hi:[1,1]
	ds_store_b64 v50, v[42:43]
; %bb.100:                              ;   in Loop: Header=BB157_3 Depth=1
	s_or_b32 exec_lo, exec_lo, s1
	s_wait_dscnt 0x0
	s_barrier_signal -1
	s_barrier_wait -1
	s_and_saveexec_b32 s1, s49
	s_cbranch_execz .LBB157_102
; %bb.101:                              ;   in Loop: Header=BB157_3 Depth=1
	ds_load_b64 v[42:43], v7 offset:29632
	ds_load_b64 v[44:45], v50
	s_wait_dscnt 0x0
	v_pk_mul_f32 v[82:83], v[44:45], v[42:43] op_sel:[1,1] op_sel_hi:[0,1]
	s_delay_alu instid0(VALU_DEP_1) | instskip(SKIP_1) | instid1(VALU_DEP_2)
	v_pk_fma_f32 v[84:85], v[44:45], v[42:43], v[82:83] op_sel_hi:[1,0,1]
	v_pk_fma_f32 v[42:43], v[44:45], v[42:43], v[82:83] neg_lo:[0,0,1] neg_hi:[0,0,1]
	v_mov_b32_e32 v43, v85
	s_delay_alu instid0(VALU_DEP_1)
	v_pk_add_f32 v[40:41], v[40:41], v[42:43] neg_lo:[0,1] neg_hi:[0,1]
.LBB157_102:                            ;   in Loop: Header=BB157_3 Depth=1
	s_or_b32 exec_lo, exec_lo, s1
	s_barrier_signal -1
	s_barrier_wait -1
	s_and_saveexec_b32 s1, s49
; %bb.103:                              ;   in Loop: Header=BB157_3 Depth=1
	v_pk_add_f32 v[42:43], v[40:41], 0 neg_lo:[1,1] neg_hi:[1,1]
	ds_store_b64 v50, v[42:43]
; %bb.104:                              ;   in Loop: Header=BB157_3 Depth=1
	s_or_b32 exec_lo, exec_lo, s1
	s_wait_dscnt 0x0
	s_barrier_signal -1
	s_barrier_wait -1
	s_barrier_signal -1
	s_barrier_wait -1
	s_and_saveexec_b32 s1, s4
; %bb.105:                              ;   in Loop: Header=BB157_3 Depth=1
	ds_store_b64 v53, v[40:41] offset:32704
; %bb.106:                              ;   in Loop: Header=BB157_3 Depth=1
	s_or_b32 exec_lo, exec_lo, s1
	s_wait_dscnt 0x0
	s_barrier_signal -1
	s_barrier_wait -1
	s_barrier_signal -1
	s_barrier_wait -1
	s_and_saveexec_b32 s1, s11
; %bb.107:                              ;   in Loop: Header=BB157_3 Depth=1
	v_add_nc_u32_e64 v3, 0x7000, 0
	ds_store_2addr_b64 v3, v[34:35], v[34:35] offset0:186 offset1:251
; %bb.108:                              ;   in Loop: Header=BB157_3 Depth=1
	s_or_b32 exec_lo, exec_lo, s1
	v_dual_mov_b32 v40, 0 :: v_dual_mov_b32 v41, 0
	s_wait_dscnt 0x0
	s_barrier_signal -1
	s_barrier_wait -1
	global_wb scope:SCOPE_DEV
	s_wait_storecnt 0x0
	global_inv scope:SCOPE_DEV
	s_and_saveexec_b32 s1, s3
	s_cbranch_execz .LBB157_112
; %bb.109:                              ;   in Loop: Header=BB157_3 Depth=1
	ds_load_b64 v[40:41], v46 offset:30144
	ds_load_b64 v[42:43], v47 offset:30672
	s_wait_dscnt 0x0
	v_pk_mul_f32 v[44:45], v[42:43], v[40:41] op_sel:[1,1] op_sel_hi:[0,1]
	s_delay_alu instid0(VALU_DEP_1) | instskip(SKIP_1) | instid1(VALU_DEP_2)
	v_pk_fma_f32 v[82:83], v[42:43], v[40:41], v[44:45] op_sel_hi:[1,0,1]
	v_pk_fma_f32 v[40:41], v[42:43], v[40:41], v[44:45] neg_lo:[0,0,1] neg_hi:[0,0,1]
	v_mov_b32_e32 v41, v83
	s_delay_alu instid0(VALU_DEP_1)
	v_pk_add_f32 v[40:41], v[40:41], 0 op_sel_hi:[1,0]
	s_and_saveexec_b32 s8, s12
	s_cbranch_execz .LBB157_111
; %bb.110:                              ;   in Loop: Header=BB157_3 Depth=1
	ds_load_b64 v[42:43], v48 offset:30656
	ds_load_b64 v[44:45], v7 offset:30680
	s_wait_dscnt 0x0
	v_pk_mul_f32 v[82:83], v[44:45], v[42:43] op_sel:[1,1] op_sel_hi:[0,1]
	s_delay_alu instid0(VALU_DEP_1) | instskip(SKIP_1) | instid1(VALU_DEP_2)
	v_pk_fma_f32 v[84:85], v[44:45], v[42:43], v[82:83] op_sel_hi:[1,0,1]
	v_pk_fma_f32 v[42:43], v[44:45], v[42:43], v[82:83] neg_lo:[0,0,1] neg_hi:[0,0,1]
	v_mov_b32_e32 v43, v85
	s_delay_alu instid0(VALU_DEP_1)
	v_pk_add_f32 v[40:41], v[40:41], v[42:43]
.LBB157_111:                            ;   in Loop: Header=BB157_3 Depth=1
	s_or_b32 exec_lo, exec_lo, s8
.LBB157_112:                            ;   in Loop: Header=BB157_3 Depth=1
	s_delay_alu instid0(SALU_CYCLE_1)
	s_or_b32 exec_lo, exec_lo, s1
	s_and_saveexec_b32 s1, vcc_hi
; %bb.113:                              ;   in Loop: Header=BB157_3 Depth=1
	s_delay_alu instid0(VALU_DEP_1)
	v_pk_add_f32 v[42:43], v[40:41], 0 neg_lo:[1,1] neg_hi:[1,1]
	ds_store_b64 v5, v[42:43]
; %bb.114:                              ;   in Loop: Header=BB157_3 Depth=1
	s_or_b32 exec_lo, exec_lo, s1
	s_wait_loadcnt_dscnt 0x0
	s_barrier_signal -1
	s_barrier_wait -1
	s_and_saveexec_b32 s1, s43
	s_cbranch_execz .LBB157_116
; %bb.115:                              ;   in Loop: Header=BB157_3 Depth=1
	ds_load_b64 v[42:43], v7 offset:29632
	ds_load_b64 v[44:45], v5
	s_wait_dscnt 0x0
	v_pk_mul_f32 v[82:83], v[44:45], v[42:43] op_sel_hi:[1,0]
	s_delay_alu instid0(VALU_DEP_1) | instskip(SKIP_1) | instid1(VALU_DEP_2)
	v_pk_fma_f32 v[84:85], v[44:45], v[42:43], v[82:83] op_sel:[1,1,0] op_sel_hi:[0,1,1]
	v_pk_fma_f32 v[42:43], v[44:45], v[42:43], v[82:83] op_sel:[1,1,0] op_sel_hi:[0,1,1] neg_lo:[0,0,1] neg_hi:[0,0,1]
	v_pk_add_f32 v[44:45], v[40:41], v[84:85] neg_lo:[0,1] neg_hi:[0,1]
	s_delay_alu instid0(VALU_DEP_2) | instskip(NEXT) | instid1(VALU_DEP_2)
	v_pk_add_f32 v[40:41], v[40:41], v[42:43]
	v_mov_b32_e32 v41, v45
.LBB157_116:                            ;   in Loop: Header=BB157_3 Depth=1
	s_or_b32 exec_lo, exec_lo, s1
	s_barrier_signal -1
	s_barrier_wait -1
	s_and_saveexec_b32 s1, s43
; %bb.117:                              ;   in Loop: Header=BB157_3 Depth=1
	v_pk_add_f32 v[42:43], v[40:41], 0 neg_lo:[1,1] neg_hi:[1,1]
	ds_store_b64 v5, v[42:43]
; %bb.118:                              ;   in Loop: Header=BB157_3 Depth=1
	s_or_b32 exec_lo, exec_lo, s1
	s_wait_dscnt 0x0
	s_barrier_signal -1
	s_barrier_wait -1
	s_barrier_signal -1
	s_barrier_wait -1
	s_and_saveexec_b32 s1, s3
; %bb.119:                              ;   in Loop: Header=BB157_3 Depth=1
	ds_store_b64 v49, v[40:41] offset:30656
; %bb.120:                              ;   in Loop: Header=BB157_3 Depth=1
	s_or_b32 exec_lo, exec_lo, s1
	s_wait_dscnt 0x0
	s_barrier_signal -1
	s_barrier_wait -1
	s_barrier_signal -1
	s_barrier_wait -1
	s_and_saveexec_b32 s1, s11
; %bb.121:                              ;   in Loop: Header=BB157_3 Depth=1
	v_add_nc_u32_e64 v3, 0x7000, 0
	ds_store_2addr_b64 v3, v[34:35], v[34:35] offset0:56 offset1:121
; %bb.122:                              ;   in Loop: Header=BB157_3 Depth=1
	s_or_b32 exec_lo, exec_lo, s1
	v_mov_b64_e32 v[40:41], 0
	s_wait_dscnt 0x0
	s_barrier_signal -1
	s_barrier_wait -1
	global_wb scope:SCOPE_DEV
	s_wait_storecnt 0x0
	global_inv scope:SCOPE_DEV
	s_and_saveexec_b32 s1, s5
	s_cbranch_execz .LBB157_132
; %bb.123:                              ;   in Loop: Header=BB157_3 Depth=1
	ds_load_b64 v[40:41], v55 offset:29056
	ds_load_b64 v[42:43], v56 offset:32704
	s_wait_dscnt 0x0
	v_dual_mul_f32 v3, v43, v41 :: v_dual_mul_f32 v41, v42, v41
	s_delay_alu instid0(VALU_DEP_1) | instskip(NEXT) | instid1(VALU_DEP_1)
	v_dual_fma_f32 v3, v42, v40, -v3 :: v_dual_fmac_f32 v41, v43, v40
	v_dual_add_f32 v40, 0, v3 :: v_dual_add_f32 v41, 0, v41
	s_and_saveexec_b32 s8, s15
	s_cbranch_execnz .LBB157_1002
; %bb.124:                              ;   in Loop: Header=BB157_3 Depth=1
	s_or_b32 exec_lo, exec_lo, s8
	s_and_saveexec_b32 s8, s16
	s_cbranch_execnz .LBB157_1003
.LBB157_125:                            ;   in Loop: Header=BB157_3 Depth=1
	s_or_b32 exec_lo, exec_lo, s8
	s_and_saveexec_b32 s8, s17
	s_cbranch_execnz .LBB157_1004
.LBB157_126:                            ;   in Loop: Header=BB157_3 Depth=1
	s_or_b32 exec_lo, exec_lo, s8
	s_and_saveexec_b32 s8, s18
	s_cbranch_execnz .LBB157_1005
.LBB157_127:                            ;   in Loop: Header=BB157_3 Depth=1
	s_or_b32 exec_lo, exec_lo, s8
	s_and_saveexec_b32 s8, s19
	s_cbranch_execnz .LBB157_1006
.LBB157_128:                            ;   in Loop: Header=BB157_3 Depth=1
	s_or_b32 exec_lo, exec_lo, s8
	s_and_saveexec_b32 s8, s4
	s_cbranch_execnz .LBB157_1007
.LBB157_129:                            ;   in Loop: Header=BB157_3 Depth=1
	s_or_b32 exec_lo, exec_lo, s8
	s_and_saveexec_b32 s8, s14
	s_cbranch_execz .LBB157_131
.LBB157_130:                            ;   in Loop: Header=BB157_3 Depth=1
	ds_load_b64 v[42:43], v48 offset:32640
	ds_load_b64 v[44:45], v7 offset:32760
	s_wait_dscnt 0x0
	v_pk_mul_f32 v[82:83], v[44:45], v[42:43] op_sel:[1,1] op_sel_hi:[0,1]
	s_delay_alu instid0(VALU_DEP_1) | instskip(SKIP_1) | instid1(VALU_DEP_2)
	v_pk_fma_f32 v[84:85], v[44:45], v[42:43], v[82:83] op_sel_hi:[1,0,1]
	v_pk_fma_f32 v[42:43], v[44:45], v[42:43], v[82:83] neg_lo:[0,0,1] neg_hi:[0,0,1]
	v_mov_b32_e32 v43, v85
	s_delay_alu instid0(VALU_DEP_1)
	v_pk_add_f32 v[40:41], v[40:41], v[42:43]
.LBB157_131:                            ;   in Loop: Header=BB157_3 Depth=1
	s_or_b32 exec_lo, exec_lo, s8
.LBB157_132:                            ;   in Loop: Header=BB157_3 Depth=1
	s_delay_alu instid0(SALU_CYCLE_1)
	s_or_b32 exec_lo, exec_lo, s1
	s_and_saveexec_b32 s1, s50
; %bb.133:                              ;   in Loop: Header=BB157_3 Depth=1
	s_delay_alu instid0(VALU_DEP_1)
	v_pk_add_f32 v[42:43], v[40:41], 0 neg_lo:[1,1] neg_hi:[1,1]
	ds_store_b64 v54, v[42:43]
; %bb.134:                              ;   in Loop: Header=BB157_3 Depth=1
	s_or_b32 exec_lo, exec_lo, s1
	s_wait_loadcnt_dscnt 0x0
	s_barrier_signal -1
	s_barrier_wait -1
	s_and_saveexec_b32 s1, s51
	s_cbranch_execz .LBB157_136
; %bb.135:                              ;   in Loop: Header=BB157_3 Depth=1
	ds_load_b64 v[42:43], v55 offset:28544
	ds_load_b64 v[44:45], v54
	s_wait_dscnt 0x0
	v_pk_mul_f32 v[82:83], v[44:45], v[42:43] op_sel:[1,1] op_sel_hi:[0,1]
	s_delay_alu instid0(VALU_DEP_1) | instskip(SKIP_1) | instid1(VALU_DEP_2)
	v_pk_fma_f32 v[84:85], v[44:45], v[42:43], v[82:83] op_sel_hi:[1,0,1]
	v_pk_fma_f32 v[42:43], v[44:45], v[42:43], v[82:83] neg_lo:[0,0,1] neg_hi:[0,0,1]
	v_mov_b32_e32 v43, v85
	s_delay_alu instid0(VALU_DEP_1)
	v_pk_add_f32 v[40:41], v[40:41], v[42:43] neg_lo:[0,1] neg_hi:[0,1]
.LBB157_136:                            ;   in Loop: Header=BB157_3 Depth=1
	s_or_b32 exec_lo, exec_lo, s1
	s_barrier_signal -1
	s_barrier_wait -1
	s_and_saveexec_b32 s1, s52
; %bb.137:                              ;   in Loop: Header=BB157_3 Depth=1
	v_pk_add_f32 v[42:43], v[40:41], 0 neg_lo:[1,1] neg_hi:[1,1]
	ds_store_b64 v54, v[42:43]
; %bb.138:                              ;   in Loop: Header=BB157_3 Depth=1
	s_or_b32 exec_lo, exec_lo, s1
	s_wait_dscnt 0x0
	s_barrier_signal -1
	s_barrier_wait -1
	s_and_saveexec_b32 s1, s53
	s_cbranch_execz .LBB157_140
; %bb.139:                              ;   in Loop: Header=BB157_3 Depth=1
	ds_load_b64 v[42:43], v55 offset:28032
	ds_load_b64 v[44:45], v54
	s_wait_dscnt 0x0
	v_dual_mul_f32 v3, v45, v43 :: v_dual_mul_f32 v43, v44, v43
	s_delay_alu instid0(VALU_DEP_1) | instskip(NEXT) | instid1(VALU_DEP_1)
	v_fmac_f32_e32 v43, v45, v42
	v_dual_fma_f32 v3, v44, v42, -v3 :: v_dual_sub_f32 v41, v41, v43
	s_delay_alu instid0(VALU_DEP_1)
	v_sub_f32_e32 v40, v40, v3
.LBB157_140:                            ;   in Loop: Header=BB157_3 Depth=1
	s_or_b32 exec_lo, exec_lo, s1
	s_barrier_signal -1
	s_barrier_wait -1
	s_and_saveexec_b32 s1, s54
; %bb.141:                              ;   in Loop: Header=BB157_3 Depth=1
	v_pk_add_f32 v[42:43], v[40:41], 0 neg_lo:[1,1] neg_hi:[1,1]
	ds_store_b64 v54, v[42:43]
; %bb.142:                              ;   in Loop: Header=BB157_3 Depth=1
	s_or_b32 exec_lo, exec_lo, s1
	s_wait_dscnt 0x0
	s_barrier_signal -1
	s_barrier_wait -1
	s_and_saveexec_b32 s1, s55
	s_cbranch_execz .LBB157_144
; %bb.143:                              ;   in Loop: Header=BB157_3 Depth=1
	ds_load_b64 v[42:43], v55 offset:27520
	ds_load_b64 v[44:45], v54
	s_wait_dscnt 0x0
	v_dual_mul_f32 v3, v45, v43 :: v_dual_mul_f32 v83, v44, v43
	s_delay_alu instid0(VALU_DEP_1) | instskip(NEXT) | instid1(VALU_DEP_2)
	v_fma_f32 v82, v44, v42, -v3
	v_fmac_f32_e32 v83, v45, v42
	s_delay_alu instid0(VALU_DEP_1)
	v_pk_add_f32 v[40:41], v[40:41], v[82:83] neg_lo:[0,1] neg_hi:[0,1]
.LBB157_144:                            ;   in Loop: Header=BB157_3 Depth=1
	s_or_b32 exec_lo, exec_lo, s1
	s_barrier_signal -1
	s_barrier_wait -1
	s_and_saveexec_b32 s1, s56
; %bb.145:                              ;   in Loop: Header=BB157_3 Depth=1
	v_pk_add_f32 v[42:43], v[40:41], 0 neg_lo:[1,1] neg_hi:[1,1]
	ds_store_b64 v54, v[42:43]
; %bb.146:                              ;   in Loop: Header=BB157_3 Depth=1
	s_or_b32 exec_lo, exec_lo, s1
	s_wait_dscnt 0x0
	s_barrier_signal -1
	s_barrier_wait -1
	s_and_saveexec_b32 s1, s57
	s_cbranch_execz .LBB157_148
; %bb.147:                              ;   in Loop: Header=BB157_3 Depth=1
	ds_load_b64 v[42:43], v55 offset:27008
	ds_load_b64 v[44:45], v54
	s_wait_dscnt 0x0
	v_pk_mul_f32 v[82:83], v[44:45], v[42:43] op_sel:[1,1] op_sel_hi:[0,1]
	s_delay_alu instid0(VALU_DEP_1) | instskip(SKIP_1) | instid1(VALU_DEP_2)
	v_pk_fma_f32 v[84:85], v[44:45], v[42:43], v[82:83] op_sel_hi:[1,0,1]
	v_pk_fma_f32 v[42:43], v[44:45], v[42:43], v[82:83] neg_lo:[0,0,1] neg_hi:[0,0,1]
	v_mov_b32_e32 v43, v85
	s_delay_alu instid0(VALU_DEP_1)
	v_pk_add_f32 v[40:41], v[40:41], v[42:43] neg_lo:[0,1] neg_hi:[0,1]
.LBB157_148:                            ;   in Loop: Header=BB157_3 Depth=1
	s_or_b32 exec_lo, exec_lo, s1
	s_barrier_signal -1
	s_barrier_wait -1
	s_and_saveexec_b32 s1, s58
; %bb.149:                              ;   in Loop: Header=BB157_3 Depth=1
	v_pk_add_f32 v[42:43], v[40:41], 0 neg_lo:[1,1] neg_hi:[1,1]
	ds_store_b64 v54, v[42:43]
; %bb.150:                              ;   in Loop: Header=BB157_3 Depth=1
	s_or_b32 exec_lo, exec_lo, s1
	s_wait_dscnt 0x0
	s_barrier_signal -1
	s_barrier_wait -1
	s_and_saveexec_b32 s1, s59
	s_cbranch_execz .LBB157_152
; %bb.151:                              ;   in Loop: Header=BB157_3 Depth=1
	ds_load_b64 v[42:43], v55 offset:26496
	ds_load_b64 v[44:45], v54
	s_wait_dscnt 0x0
	v_pk_mul_f32 v[82:83], v[44:45], v[42:43] op_sel:[1,1] op_sel_hi:[0,1]
	s_delay_alu instid0(VALU_DEP_1) | instskip(SKIP_1) | instid1(VALU_DEP_2)
	v_pk_fma_f32 v[84:85], v[44:45], v[42:43], v[82:83] op_sel_hi:[1,0,1]
	v_pk_fma_f32 v[42:43], v[44:45], v[42:43], v[82:83] neg_lo:[0,0,1] neg_hi:[0,0,1]
	v_mov_b32_e32 v43, v85
	s_delay_alu instid0(VALU_DEP_1)
	v_pk_add_f32 v[40:41], v[40:41], v[42:43] neg_lo:[0,1] neg_hi:[0,1]
.LBB157_152:                            ;   in Loop: Header=BB157_3 Depth=1
	s_or_b32 exec_lo, exec_lo, s1
	s_barrier_signal -1
	s_barrier_wait -1
	s_and_saveexec_b32 s1, s60
; %bb.153:                              ;   in Loop: Header=BB157_3 Depth=1
	v_pk_add_f32 v[42:43], v[40:41], 0 neg_lo:[1,1] neg_hi:[1,1]
	ds_store_b64 v54, v[42:43]
; %bb.154:                              ;   in Loop: Header=BB157_3 Depth=1
	s_or_b32 exec_lo, exec_lo, s1
	s_wait_dscnt 0x0
	s_barrier_signal -1
	s_barrier_wait -1
	s_and_saveexec_b32 s1, s61
	s_cbranch_execz .LBB157_156
; %bb.155:                              ;   in Loop: Header=BB157_3 Depth=1
	ds_load_b64 v[42:43], v55 offset:25984
	ds_load_b64 v[44:45], v54
	s_wait_dscnt 0x0
	v_pk_mul_f32 v[82:83], v[44:45], v[42:43] op_sel:[1,1] op_sel_hi:[0,1]
	s_delay_alu instid0(VALU_DEP_1) | instskip(SKIP_1) | instid1(VALU_DEP_2)
	v_pk_fma_f32 v[84:85], v[44:45], v[42:43], v[82:83] op_sel_hi:[1,0,1]
	v_pk_fma_f32 v[42:43], v[44:45], v[42:43], v[82:83] neg_lo:[0,0,1] neg_hi:[0,0,1]
	v_mov_b32_e32 v43, v85
	s_delay_alu instid0(VALU_DEP_1)
	v_pk_add_f32 v[40:41], v[40:41], v[42:43] neg_lo:[0,1] neg_hi:[0,1]
.LBB157_156:                            ;   in Loop: Header=BB157_3 Depth=1
	s_or_b32 exec_lo, exec_lo, s1
	s_barrier_signal -1
	s_barrier_wait -1
	s_and_saveexec_b32 s1, s62
; %bb.157:                              ;   in Loop: Header=BB157_3 Depth=1
	v_pk_add_f32 v[42:43], v[40:41], 0 neg_lo:[1,1] neg_hi:[1,1]
	ds_store_b64 v54, v[42:43]
; %bb.158:                              ;   in Loop: Header=BB157_3 Depth=1
	s_or_b32 exec_lo, exec_lo, s1
	s_wait_dscnt 0x0
	s_barrier_signal -1
	s_barrier_wait -1
	s_and_saveexec_b32 s1, s63
	s_cbranch_execz .LBB157_160
; %bb.159:                              ;   in Loop: Header=BB157_3 Depth=1
	ds_load_b64 v[42:43], v7 offset:25472
	ds_load_b64 v[44:45], v54
	s_wait_dscnt 0x0
	v_pk_mul_f32 v[82:83], v[44:45], v[42:43] op_sel:[1,1] op_sel_hi:[0,1]
	s_delay_alu instid0(VALU_DEP_1) | instskip(SKIP_1) | instid1(VALU_DEP_2)
	v_pk_fma_f32 v[84:85], v[44:45], v[42:43], v[82:83] op_sel_hi:[1,0,1]
	v_pk_fma_f32 v[42:43], v[44:45], v[42:43], v[82:83] neg_lo:[0,0,1] neg_hi:[0,0,1]
	v_mov_b32_e32 v43, v85
	s_delay_alu instid0(VALU_DEP_1)
	v_pk_add_f32 v[40:41], v[40:41], v[42:43] neg_lo:[0,1] neg_hi:[0,1]
.LBB157_160:                            ;   in Loop: Header=BB157_3 Depth=1
	s_or_b32 exec_lo, exec_lo, s1
	s_barrier_signal -1
	s_barrier_wait -1
	s_and_saveexec_b32 s1, s63
; %bb.161:                              ;   in Loop: Header=BB157_3 Depth=1
	v_pk_add_f32 v[42:43], v[40:41], 0 neg_lo:[1,1] neg_hi:[1,1]
	ds_store_b64 v54, v[42:43]
; %bb.162:                              ;   in Loop: Header=BB157_3 Depth=1
	s_or_b32 exec_lo, exec_lo, s1
	s_wait_dscnt 0x0
	s_barrier_signal -1
	s_barrier_wait -1
	s_barrier_signal -1
	s_barrier_wait -1
	s_and_saveexec_b32 s1, s5
; %bb.163:                              ;   in Loop: Header=BB157_3 Depth=1
	ds_store_b64 v57, v[40:41] offset:32640
; %bb.164:                              ;   in Loop: Header=BB157_3 Depth=1
	s_or_b32 exec_lo, exec_lo, s1
	s_wait_dscnt 0x0
	s_barrier_signal -1
	s_barrier_wait -1
	s_barrier_signal -1
	s_barrier_wait -1
	s_and_saveexec_b32 s1, s11
; %bb.165:                              ;   in Loop: Header=BB157_3 Depth=1
	v_add_nc_u32_e64 v3, 0x6800, 0
	ds_store_2addr_b64 v3, v[34:35], v[34:35] offset0:182 offset1:247
; %bb.166:                              ;   in Loop: Header=BB157_3 Depth=1
	s_or_b32 exec_lo, exec_lo, s1
	v_dual_mov_b32 v40, 0 :: v_dual_mov_b32 v41, 0
	s_wait_dscnt 0x0
	s_barrier_signal -1
	s_barrier_wait -1
	global_wb scope:SCOPE_DEV
	s_wait_storecnt 0x0
	global_inv scope:SCOPE_DEV
	s_and_saveexec_b32 s1, s3
	s_cbranch_execz .LBB157_170
; %bb.167:                              ;   in Loop: Header=BB157_3 Depth=1
	ds_load_b64 v[40:41], v46 offset:28064
	ds_load_b64 v[42:43], v47 offset:28592
	s_wait_dscnt 0x0
	v_pk_mul_f32 v[44:45], v[42:43], v[40:41] op_sel:[1,1] op_sel_hi:[0,1]
	s_delay_alu instid0(VALU_DEP_1) | instskip(SKIP_1) | instid1(VALU_DEP_2)
	v_pk_fma_f32 v[82:83], v[42:43], v[40:41], v[44:45] op_sel_hi:[1,0,1]
	v_pk_fma_f32 v[40:41], v[42:43], v[40:41], v[44:45] neg_lo:[0,0,1] neg_hi:[0,0,1]
	v_mov_b32_e32 v41, v83
	s_delay_alu instid0(VALU_DEP_1)
	v_pk_add_f32 v[40:41], v[40:41], 0 op_sel_hi:[1,0]
	s_and_saveexec_b32 s8, s12
	s_cbranch_execz .LBB157_169
; %bb.168:                              ;   in Loop: Header=BB157_3 Depth=1
	ds_load_b64 v[42:43], v48 offset:28576
	ds_load_b64 v[44:45], v7 offset:28600
	s_wait_dscnt 0x0
	v_pk_mul_f32 v[82:83], v[44:45], v[42:43] op_sel:[1,1] op_sel_hi:[0,1]
	s_delay_alu instid0(VALU_DEP_1) | instskip(SKIP_1) | instid1(VALU_DEP_2)
	v_pk_fma_f32 v[84:85], v[44:45], v[42:43], v[82:83] op_sel_hi:[1,0,1]
	v_pk_fma_f32 v[42:43], v[44:45], v[42:43], v[82:83] neg_lo:[0,0,1] neg_hi:[0,0,1]
	v_mov_b32_e32 v43, v85
	s_delay_alu instid0(VALU_DEP_1)
	v_pk_add_f32 v[40:41], v[40:41], v[42:43]
.LBB157_169:                            ;   in Loop: Header=BB157_3 Depth=1
	s_or_b32 exec_lo, exec_lo, s8
.LBB157_170:                            ;   in Loop: Header=BB157_3 Depth=1
	s_delay_alu instid0(SALU_CYCLE_1)
	s_or_b32 exec_lo, exec_lo, s1
	s_and_saveexec_b32 s1, vcc_hi
; %bb.171:                              ;   in Loop: Header=BB157_3 Depth=1
	s_delay_alu instid0(VALU_DEP_1)
	v_pk_add_f32 v[42:43], v[40:41], 0 neg_lo:[1,1] neg_hi:[1,1]
	ds_store_b64 v5, v[42:43]
; %bb.172:                              ;   in Loop: Header=BB157_3 Depth=1
	s_or_b32 exec_lo, exec_lo, s1
	s_wait_loadcnt_dscnt 0x0
	s_barrier_signal -1
	s_barrier_wait -1
	s_and_saveexec_b32 s1, s43
	s_cbranch_execz .LBB157_174
; %bb.173:                              ;   in Loop: Header=BB157_3 Depth=1
	ds_load_b64 v[42:43], v7 offset:27552
	ds_load_b64 v[44:45], v5
	s_wait_dscnt 0x0
	v_pk_mul_f32 v[82:83], v[44:45], v[42:43] op_sel_hi:[1,0]
	s_delay_alu instid0(VALU_DEP_1) | instskip(SKIP_1) | instid1(VALU_DEP_2)
	v_pk_fma_f32 v[84:85], v[44:45], v[42:43], v[82:83] op_sel:[1,1,0] op_sel_hi:[0,1,1]
	v_pk_fma_f32 v[42:43], v[44:45], v[42:43], v[82:83] op_sel:[1,1,0] op_sel_hi:[0,1,1] neg_lo:[0,0,1] neg_hi:[0,0,1]
	v_pk_add_f32 v[44:45], v[40:41], v[84:85] neg_lo:[0,1] neg_hi:[0,1]
	s_delay_alu instid0(VALU_DEP_2) | instskip(NEXT) | instid1(VALU_DEP_2)
	v_pk_add_f32 v[40:41], v[40:41], v[42:43]
	v_mov_b32_e32 v41, v45
.LBB157_174:                            ;   in Loop: Header=BB157_3 Depth=1
	s_or_b32 exec_lo, exec_lo, s1
	s_barrier_signal -1
	s_barrier_wait -1
	s_and_saveexec_b32 s1, s43
; %bb.175:                              ;   in Loop: Header=BB157_3 Depth=1
	v_pk_add_f32 v[42:43], v[40:41], 0 neg_lo:[1,1] neg_hi:[1,1]
	ds_store_b64 v5, v[42:43]
; %bb.176:                              ;   in Loop: Header=BB157_3 Depth=1
	s_or_b32 exec_lo, exec_lo, s1
	s_wait_dscnt 0x0
	s_barrier_signal -1
	s_barrier_wait -1
	s_barrier_signal -1
	s_barrier_wait -1
	s_and_saveexec_b32 s1, s3
; %bb.177:                              ;   in Loop: Header=BB157_3 Depth=1
	ds_store_b64 v49, v[40:41] offset:28576
; %bb.178:                              ;   in Loop: Header=BB157_3 Depth=1
	s_or_b32 exec_lo, exec_lo, s1
	s_wait_dscnt 0x0
	s_barrier_signal -1
	s_barrier_wait -1
	s_barrier_signal -1
	s_barrier_wait -1
	s_and_saveexec_b32 s1, s11
; %bb.179:                              ;   in Loop: Header=BB157_3 Depth=1
	v_add_nc_u32_e64 v3, 0x6800, 0
	ds_store_2addr_b64 v3, v[34:35], v[34:35] offset0:52 offset1:117
; %bb.180:                              ;   in Loop: Header=BB157_3 Depth=1
	s_or_b32 exec_lo, exec_lo, s1
	v_mov_b64_e32 v[40:41], 0
	s_wait_dscnt 0x0
	s_barrier_signal -1
	s_barrier_wait -1
	global_wb scope:SCOPE_DEV
	s_wait_storecnt 0x0
	global_inv scope:SCOPE_DEV
	s_and_saveexec_b32 s1, s4
	s_cbranch_execz .LBB157_186
; %bb.181:                              ;   in Loop: Header=BB157_3 Depth=1
	ds_load_b64 v[40:41], v51 offset:27008
	ds_load_b64 v[42:43], v52 offset:28576
	s_wait_dscnt 0x0
	v_dual_mul_f32 v3, v43, v41 :: v_dual_mul_f32 v41, v42, v41
	s_delay_alu instid0(VALU_DEP_1) | instskip(NEXT) | instid1(VALU_DEP_1)
	v_dual_fma_f32 v3, v42, v40, -v3 :: v_dual_fmac_f32 v41, v43, v40
	v_dual_add_f32 v40, 0, v3 :: v_dual_add_f32 v41, 0, v41
	s_and_saveexec_b32 s8, s13
	s_cbranch_execnz .LBB157_1008
; %bb.182:                              ;   in Loop: Header=BB157_3 Depth=1
	s_or_b32 exec_lo, exec_lo, s8
	s_and_saveexec_b32 s8, s14
	s_cbranch_execnz .LBB157_1009
.LBB157_183:                            ;   in Loop: Header=BB157_3 Depth=1
	s_or_b32 exec_lo, exec_lo, s8
	s_and_saveexec_b32 s8, s3
	s_cbranch_execz .LBB157_185
.LBB157_184:                            ;   in Loop: Header=BB157_3 Depth=1
	ds_load_b64 v[42:43], v48 offset:28544
	ds_load_b64 v[44:45], v7 offset:28600
	s_wait_dscnt 0x0
	v_pk_mul_f32 v[82:83], v[44:45], v[42:43] op_sel:[1,1] op_sel_hi:[0,1]
	s_delay_alu instid0(VALU_DEP_1) | instskip(SKIP_1) | instid1(VALU_DEP_2)
	v_pk_fma_f32 v[84:85], v[44:45], v[42:43], v[82:83] op_sel_hi:[1,0,1]
	v_pk_fma_f32 v[42:43], v[44:45], v[42:43], v[82:83] neg_lo:[0,0,1] neg_hi:[0,0,1]
	v_mov_b32_e32 v43, v85
	s_delay_alu instid0(VALU_DEP_1)
	v_pk_add_f32 v[40:41], v[40:41], v[42:43]
.LBB157_185:                            ;   in Loop: Header=BB157_3 Depth=1
	s_or_b32 exec_lo, exec_lo, s8
.LBB157_186:                            ;   in Loop: Header=BB157_3 Depth=1
	s_delay_alu instid0(SALU_CYCLE_1)
	s_or_b32 exec_lo, exec_lo, s1
	s_and_saveexec_b32 s1, s44
; %bb.187:                              ;   in Loop: Header=BB157_3 Depth=1
	s_delay_alu instid0(VALU_DEP_1)
	v_pk_add_f32 v[42:43], v[40:41], 0 neg_lo:[1,1] neg_hi:[1,1]
	ds_store_b64 v50, v[42:43]
; %bb.188:                              ;   in Loop: Header=BB157_3 Depth=1
	s_or_b32 exec_lo, exec_lo, s1
	s_wait_loadcnt_dscnt 0x0
	s_barrier_signal -1
	s_barrier_wait -1
	s_and_saveexec_b32 s1, s45
	s_cbranch_execz .LBB157_190
; %bb.189:                              ;   in Loop: Header=BB157_3 Depth=1
	ds_load_b64 v[42:43], v51 offset:26496
	ds_load_b64 v[44:45], v50
	s_wait_dscnt 0x0
	v_pk_mul_f32 v[82:83], v[44:45], v[42:43] op_sel:[1,1] op_sel_hi:[0,1]
	s_delay_alu instid0(VALU_DEP_1) | instskip(SKIP_1) | instid1(VALU_DEP_2)
	v_pk_fma_f32 v[84:85], v[44:45], v[42:43], v[82:83] op_sel_hi:[1,0,1]
	v_pk_fma_f32 v[42:43], v[44:45], v[42:43], v[82:83] neg_lo:[0,0,1] neg_hi:[0,0,1]
	v_mov_b32_e32 v43, v85
	s_delay_alu instid0(VALU_DEP_1)
	v_pk_add_f32 v[40:41], v[40:41], v[42:43] neg_lo:[0,1] neg_hi:[0,1]
.LBB157_190:                            ;   in Loop: Header=BB157_3 Depth=1
	s_or_b32 exec_lo, exec_lo, s1
	s_barrier_signal -1
	s_barrier_wait -1
	s_and_saveexec_b32 s1, s46
; %bb.191:                              ;   in Loop: Header=BB157_3 Depth=1
	v_pk_add_f32 v[42:43], v[40:41], 0 neg_lo:[1,1] neg_hi:[1,1]
	ds_store_b64 v50, v[42:43]
; %bb.192:                              ;   in Loop: Header=BB157_3 Depth=1
	s_or_b32 exec_lo, exec_lo, s1
	s_wait_dscnt 0x0
	s_barrier_signal -1
	s_barrier_wait -1
	s_and_saveexec_b32 s1, s47
	s_cbranch_execz .LBB157_194
; %bb.193:                              ;   in Loop: Header=BB157_3 Depth=1
	ds_load_b64 v[42:43], v51 offset:25984
	ds_load_b64 v[44:45], v50
	s_wait_dscnt 0x0
	v_pk_mul_f32 v[82:83], v[44:45], v[42:43] op_sel:[1,1] op_sel_hi:[0,1]
	s_delay_alu instid0(VALU_DEP_1) | instskip(SKIP_1) | instid1(VALU_DEP_2)
	v_pk_fma_f32 v[84:85], v[44:45], v[42:43], v[82:83] op_sel_hi:[1,0,1]
	v_pk_fma_f32 v[42:43], v[44:45], v[42:43], v[82:83] neg_lo:[0,0,1] neg_hi:[0,0,1]
	v_mov_b32_e32 v43, v85
	s_delay_alu instid0(VALU_DEP_1)
	v_pk_add_f32 v[40:41], v[40:41], v[42:43] neg_lo:[0,1] neg_hi:[0,1]
.LBB157_194:                            ;   in Loop: Header=BB157_3 Depth=1
	s_or_b32 exec_lo, exec_lo, s1
	s_barrier_signal -1
	s_barrier_wait -1
	s_and_saveexec_b32 s1, s48
; %bb.195:                              ;   in Loop: Header=BB157_3 Depth=1
	v_pk_add_f32 v[42:43], v[40:41], 0 neg_lo:[1,1] neg_hi:[1,1]
	ds_store_b64 v50, v[42:43]
; %bb.196:                              ;   in Loop: Header=BB157_3 Depth=1
	s_or_b32 exec_lo, exec_lo, s1
	s_wait_dscnt 0x0
	;; [unrolled: 26-line block ×3, first 2 shown]
	s_barrier_signal -1
	s_barrier_wait -1
	s_barrier_signal -1
	s_barrier_wait -1
	s_and_saveexec_b32 s1, s4
; %bb.201:                              ;   in Loop: Header=BB157_3 Depth=1
	ds_store_b64 v53, v[40:41] offset:28544
; %bb.202:                              ;   in Loop: Header=BB157_3 Depth=1
	s_or_b32 exec_lo, exec_lo, s1
	s_wait_dscnt 0x0
	s_barrier_signal -1
	s_barrier_wait -1
	s_barrier_signal -1
	s_barrier_wait -1
	s_and_saveexec_b32 s1, s11
; %bb.203:                              ;   in Loop: Header=BB157_3 Depth=1
	v_add_nc_u32_e64 v3, 0x6000, 0
	ds_store_2addr_b64 v3, v[34:35], v[34:35] offset0:178 offset1:243
; %bb.204:                              ;   in Loop: Header=BB157_3 Depth=1
	s_or_b32 exec_lo, exec_lo, s1
	v_dual_mov_b32 v40, 0 :: v_dual_mov_b32 v41, 0
	s_wait_dscnt 0x0
	s_barrier_signal -1
	s_barrier_wait -1
	global_wb scope:SCOPE_DEV
	s_wait_storecnt 0x0
	global_inv scope:SCOPE_DEV
	s_and_saveexec_b32 s1, s3
	s_cbranch_execz .LBB157_208
; %bb.205:                              ;   in Loop: Header=BB157_3 Depth=1
	ds_load_b64 v[40:41], v46 offset:25984
	ds_load_b64 v[42:43], v47 offset:26512
	s_wait_dscnt 0x0
	v_pk_mul_f32 v[44:45], v[42:43], v[40:41] op_sel:[1,1] op_sel_hi:[0,1]
	s_delay_alu instid0(VALU_DEP_1) | instskip(SKIP_1) | instid1(VALU_DEP_2)
	v_pk_fma_f32 v[82:83], v[42:43], v[40:41], v[44:45] op_sel_hi:[1,0,1]
	v_pk_fma_f32 v[40:41], v[42:43], v[40:41], v[44:45] neg_lo:[0,0,1] neg_hi:[0,0,1]
	v_mov_b32_e32 v41, v83
	s_delay_alu instid0(VALU_DEP_1)
	v_pk_add_f32 v[40:41], v[40:41], 0 op_sel_hi:[1,0]
	s_and_saveexec_b32 s8, s12
	s_cbranch_execz .LBB157_207
; %bb.206:                              ;   in Loop: Header=BB157_3 Depth=1
	ds_load_b64 v[42:43], v48 offset:26496
	ds_load_b64 v[44:45], v7 offset:26520
	s_wait_dscnt 0x0
	v_pk_mul_f32 v[82:83], v[44:45], v[42:43] op_sel:[1,1] op_sel_hi:[0,1]
	s_delay_alu instid0(VALU_DEP_1) | instskip(SKIP_1) | instid1(VALU_DEP_2)
	v_pk_fma_f32 v[84:85], v[44:45], v[42:43], v[82:83] op_sel_hi:[1,0,1]
	v_pk_fma_f32 v[42:43], v[44:45], v[42:43], v[82:83] neg_lo:[0,0,1] neg_hi:[0,0,1]
	v_mov_b32_e32 v43, v85
	s_delay_alu instid0(VALU_DEP_1)
	v_pk_add_f32 v[40:41], v[40:41], v[42:43]
.LBB157_207:                            ;   in Loop: Header=BB157_3 Depth=1
	s_or_b32 exec_lo, exec_lo, s8
.LBB157_208:                            ;   in Loop: Header=BB157_3 Depth=1
	s_delay_alu instid0(SALU_CYCLE_1)
	s_or_b32 exec_lo, exec_lo, s1
	s_and_saveexec_b32 s1, vcc_hi
; %bb.209:                              ;   in Loop: Header=BB157_3 Depth=1
	s_delay_alu instid0(VALU_DEP_1)
	v_pk_add_f32 v[42:43], v[40:41], 0 neg_lo:[1,1] neg_hi:[1,1]
	ds_store_b64 v5, v[42:43]
; %bb.210:                              ;   in Loop: Header=BB157_3 Depth=1
	s_or_b32 exec_lo, exec_lo, s1
	s_wait_loadcnt_dscnt 0x0
	s_barrier_signal -1
	s_barrier_wait -1
	s_and_saveexec_b32 s1, s43
	s_cbranch_execz .LBB157_212
; %bb.211:                              ;   in Loop: Header=BB157_3 Depth=1
	ds_load_b64 v[42:43], v7 offset:25472
	ds_load_b64 v[44:45], v5
	s_wait_dscnt 0x0
	v_pk_mul_f32 v[82:83], v[44:45], v[42:43] op_sel_hi:[1,0]
	s_delay_alu instid0(VALU_DEP_1) | instskip(SKIP_1) | instid1(VALU_DEP_2)
	v_pk_fma_f32 v[84:85], v[44:45], v[42:43], v[82:83] op_sel:[1,1,0] op_sel_hi:[0,1,1]
	v_pk_fma_f32 v[42:43], v[44:45], v[42:43], v[82:83] op_sel:[1,1,0] op_sel_hi:[0,1,1] neg_lo:[0,0,1] neg_hi:[0,0,1]
	v_pk_add_f32 v[44:45], v[40:41], v[84:85] neg_lo:[0,1] neg_hi:[0,1]
	s_delay_alu instid0(VALU_DEP_2) | instskip(NEXT) | instid1(VALU_DEP_2)
	v_pk_add_f32 v[40:41], v[40:41], v[42:43]
	v_mov_b32_e32 v41, v45
.LBB157_212:                            ;   in Loop: Header=BB157_3 Depth=1
	s_or_b32 exec_lo, exec_lo, s1
	s_barrier_signal -1
	s_barrier_wait -1
	s_and_saveexec_b32 s1, s43
; %bb.213:                              ;   in Loop: Header=BB157_3 Depth=1
	v_pk_add_f32 v[42:43], v[40:41], 0 neg_lo:[1,1] neg_hi:[1,1]
	ds_store_b64 v5, v[42:43]
; %bb.214:                              ;   in Loop: Header=BB157_3 Depth=1
	s_or_b32 exec_lo, exec_lo, s1
	s_wait_dscnt 0x0
	s_barrier_signal -1
	s_barrier_wait -1
	s_barrier_signal -1
	s_barrier_wait -1
	s_and_saveexec_b32 s1, s3
; %bb.215:                              ;   in Loop: Header=BB157_3 Depth=1
	ds_store_b64 v49, v[40:41] offset:26496
; %bb.216:                              ;   in Loop: Header=BB157_3 Depth=1
	s_or_b32 exec_lo, exec_lo, s1
	s_wait_dscnt 0x0
	s_barrier_signal -1
	s_barrier_wait -1
	s_barrier_signal -1
	s_barrier_wait -1
	s_and_saveexec_b32 s1, s11
; %bb.217:                              ;   in Loop: Header=BB157_3 Depth=1
	v_add_nc_u32_e64 v3, 0x6000, 0
	ds_store_2addr_b64 v3, v[34:35], v[34:35] offset0:48 offset1:113
; %bb.218:                              ;   in Loop: Header=BB157_3 Depth=1
	s_or_b32 exec_lo, exec_lo, s1
	v_mov_b64_e32 v[40:41], 0
	s_wait_dscnt 0x0
	s_barrier_signal -1
	s_barrier_wait -1
	global_wb scope:SCOPE_DEV
	s_wait_storecnt 0x0
	global_inv scope:SCOPE_DEV
	s_and_saveexec_b32 s66, s6
	s_cbranch_execz .LBB157_246
; %bb.219:                              ;   in Loop: Header=BB157_3 Depth=1
	ds_load_b64 v[40:41], v59 offset:24832
	ds_load_b64 v[42:43], v60 offset:32640
	s_wait_dscnt 0x0
	v_dual_mul_f32 v3, v43, v41 :: v_dual_mul_f32 v41, v42, v41
	s_delay_alu instid0(VALU_DEP_1) | instskip(NEXT) | instid1(VALU_DEP_1)
	v_dual_fma_f32 v3, v42, v40, -v3 :: v_dual_fmac_f32 v41, v43, v40
	v_dual_add_f32 v40, 0, v3 :: v_dual_add_f32 v41, 0, v41
	s_mov_b32 s1, exec_lo
	v_readlane_b32 s8, v92, 27
	s_and_b32 s8, s1, s8
	s_delay_alu instid0(SALU_CYCLE_1)
	s_mov_b32 exec_lo, s8
	s_cbranch_execz .LBB157_221
; %bb.220:                              ;   in Loop: Header=BB157_3 Depth=1
	ds_load_b64 v[42:43], v59 offset:25344
	ds_load_b64 v[44:45], v60 offset:32648
	s_wait_dscnt 0x0
	v_dual_mul_f32 v3, v45, v43 :: v_dual_mul_f32 v43, v44, v43
	s_delay_alu instid0(VALU_DEP_1) | instskip(NEXT) | instid1(VALU_DEP_1)
	v_fmac_f32_e32 v43, v45, v42
	v_dual_fma_f32 v3, v44, v42, -v3 :: v_dual_add_f32 v41, v41, v43
	s_delay_alu instid0(VALU_DEP_1)
	v_add_f32_e32 v40, v40, v3
.LBB157_221:                            ;   in Loop: Header=BB157_3 Depth=1
	s_or_b32 exec_lo, exec_lo, s1
	s_delay_alu instid0(SALU_CYCLE_1) | instskip(SKIP_2) | instid1(SALU_CYCLE_1)
	s_mov_b32 s1, exec_lo
	v_readlane_b32 s8, v92, 28
	s_and_b32 s8, s1, s8
	s_mov_b32 exec_lo, s8
	s_cbranch_execz .LBB157_223
; %bb.222:                              ;   in Loop: Header=BB157_3 Depth=1
	ds_load_b64 v[42:43], v59 offset:25856
	ds_load_b64 v[44:45], v60 offset:32656
	s_wait_dscnt 0x0
	v_dual_mul_f32 v3, v45, v43 :: v_dual_mul_f32 v43, v44, v43
	s_delay_alu instid0(VALU_DEP_1) | instskip(NEXT) | instid1(VALU_DEP_1)
	v_fmac_f32_e32 v43, v45, v42
	v_dual_fma_f32 v3, v44, v42, -v3 :: v_dual_add_f32 v41, v41, v43
	s_delay_alu instid0(VALU_DEP_1)
	v_add_f32_e32 v40, v40, v3
.LBB157_223:                            ;   in Loop: Header=BB157_3 Depth=1
	s_or_b32 exec_lo, exec_lo, s1
	s_delay_alu instid0(SALU_CYCLE_1) | instskip(SKIP_2) | instid1(SALU_CYCLE_1)
	s_mov_b32 s1, exec_lo
	v_readlane_b32 s8, v92, 29
	s_and_b32 s8, s1, s8
	;; [unrolled: 18-line block ×10, first 2 shown]
	s_mov_b32 exec_lo, s8
	s_cbranch_execnz .LBB157_1010
; %bb.240:                              ;   in Loop: Header=BB157_3 Depth=1
	s_or_b32 exec_lo, exec_lo, s1
	s_and_saveexec_b32 s1, s5
	s_cbranch_execnz .LBB157_1011
.LBB157_241:                            ;   in Loop: Header=BB157_3 Depth=1
	s_or_b32 exec_lo, exec_lo, s1
	s_and_saveexec_b32 s1, s16
	s_cbranch_execnz .LBB157_1012
.LBB157_242:                            ;   in Loop: Header=BB157_3 Depth=1
	s_or_b32 exec_lo, exec_lo, s1
	s_and_saveexec_b32 s1, s18
	s_cbranch_execnz .LBB157_1013
.LBB157_243:                            ;   in Loop: Header=BB157_3 Depth=1
	s_or_b32 exec_lo, exec_lo, s1
	s_and_saveexec_b32 s1, s4
	s_cbranch_execz .LBB157_245
.LBB157_244:                            ;   in Loop: Header=BB157_3 Depth=1
	ds_load_b64 v[42:43], v48 offset:32512
	ds_load_b64 v[44:45], v7 offset:32760
	s_wait_dscnt 0x0
	v_pk_mul_f32 v[82:83], v[44:45], v[42:43] op_sel:[1,1] op_sel_hi:[0,1]
	s_delay_alu instid0(VALU_DEP_1) | instskip(SKIP_1) | instid1(VALU_DEP_2)
	v_pk_fma_f32 v[84:85], v[44:45], v[42:43], v[82:83] op_sel_hi:[1,0,1]
	v_pk_fma_f32 v[42:43], v[44:45], v[42:43], v[82:83] neg_lo:[0,0,1] neg_hi:[0,0,1]
	v_mov_b32_e32 v43, v85
	s_delay_alu instid0(VALU_DEP_1)
	v_pk_add_f32 v[40:41], v[40:41], v[42:43]
.LBB157_245:                            ;   in Loop: Header=BB157_3 Depth=1
	s_or_b32 exec_lo, exec_lo, s1
.LBB157_246:                            ;   in Loop: Header=BB157_3 Depth=1
	s_delay_alu instid0(SALU_CYCLE_1) | instskip(NEXT) | instid1(SALU_CYCLE_1)
	s_or_b32 exec_lo, exec_lo, s66
	s_mov_b32 s1, exec_lo
	v_readlane_b32 s8, v92, 1
	s_and_b32 s8, s1, s8
	s_delay_alu instid0(SALU_CYCLE_1)
	s_mov_b32 exec_lo, s8
; %bb.247:                              ;   in Loop: Header=BB157_3 Depth=1
	v_pk_add_f32 v[42:43], v[40:41], 0 neg_lo:[1,1] neg_hi:[1,1]
	ds_store_b64 v58, v[42:43]
; %bb.248:                              ;   in Loop: Header=BB157_3 Depth=1
	s_or_b32 exec_lo, exec_lo, s1
	s_wait_loadcnt_dscnt 0x0
	s_barrier_signal -1
	s_barrier_wait -1
	s_mov_b32 s1, exec_lo
	v_readlane_b32 s8, v92, 2
	s_and_b32 s8, s1, s8
	s_delay_alu instid0(SALU_CYCLE_1)
	s_mov_b32 exec_lo, s8
	s_cbranch_execz .LBB157_250
; %bb.249:                              ;   in Loop: Header=BB157_3 Depth=1
	ds_load_b64 v[42:43], v59 offset:24320
	ds_load_b64 v[44:45], v58
	s_wait_dscnt 0x0
	v_pk_mul_f32 v[82:83], v[44:45], v[42:43] op_sel:[1,1] op_sel_hi:[0,1]
	s_delay_alu instid0(VALU_DEP_1) | instskip(SKIP_1) | instid1(VALU_DEP_2)
	v_pk_fma_f32 v[84:85], v[44:45], v[42:43], v[82:83] op_sel_hi:[1,0,1]
	v_pk_fma_f32 v[42:43], v[44:45], v[42:43], v[82:83] neg_lo:[0,0,1] neg_hi:[0,0,1]
	v_mov_b32_e32 v43, v85
	s_delay_alu instid0(VALU_DEP_1)
	v_pk_add_f32 v[40:41], v[40:41], v[42:43] neg_lo:[0,1] neg_hi:[0,1]
.LBB157_250:                            ;   in Loop: Header=BB157_3 Depth=1
	s_or_b32 exec_lo, exec_lo, s1
	s_barrier_signal -1
	s_barrier_wait -1
	s_mov_b32 s1, exec_lo
	v_readlane_b32 s8, v92, 3
	s_and_b32 s8, s1, s8
	s_delay_alu instid0(SALU_CYCLE_1)
	s_mov_b32 exec_lo, s8
; %bb.251:                              ;   in Loop: Header=BB157_3 Depth=1
	v_pk_add_f32 v[42:43], v[40:41], 0 neg_lo:[1,1] neg_hi:[1,1]
	ds_store_b64 v58, v[42:43]
; %bb.252:                              ;   in Loop: Header=BB157_3 Depth=1
	s_or_b32 exec_lo, exec_lo, s1
	s_wait_dscnt 0x0
	s_barrier_signal -1
	s_barrier_wait -1
	s_mov_b32 s1, exec_lo
	v_readlane_b32 s8, v92, 4
	s_and_b32 s8, s1, s8
	s_delay_alu instid0(SALU_CYCLE_1)
	s_mov_b32 exec_lo, s8
	s_cbranch_execz .LBB157_254
; %bb.253:                              ;   in Loop: Header=BB157_3 Depth=1
	ds_load_b64 v[42:43], v59 offset:23808
	ds_load_b64 v[44:45], v58
	s_wait_dscnt 0x0
	v_pk_mul_f32 v[82:83], v[44:45], v[42:43] op_sel:[1,1] op_sel_hi:[0,1]
	s_delay_alu instid0(VALU_DEP_1) | instskip(SKIP_1) | instid1(VALU_DEP_2)
	v_pk_fma_f32 v[84:85], v[44:45], v[42:43], v[82:83] op_sel_hi:[1,0,1]
	v_pk_fma_f32 v[42:43], v[44:45], v[42:43], v[82:83] neg_lo:[0,0,1] neg_hi:[0,0,1]
	v_mov_b32_e32 v43, v85
	s_delay_alu instid0(VALU_DEP_1)
	v_pk_add_f32 v[40:41], v[40:41], v[42:43] neg_lo:[0,1] neg_hi:[0,1]
.LBB157_254:                            ;   in Loop: Header=BB157_3 Depth=1
	s_or_b32 exec_lo, exec_lo, s1
	s_barrier_signal -1
	s_barrier_wait -1
	s_mov_b32 s1, exec_lo
	v_readlane_b32 s8, v92, 5
	s_and_b32 s8, s1, s8
	s_delay_alu instid0(SALU_CYCLE_1)
	s_mov_b32 exec_lo, s8
; %bb.255:                              ;   in Loop: Header=BB157_3 Depth=1
	v_pk_add_f32 v[42:43], v[40:41], 0 neg_lo:[1,1] neg_hi:[1,1]
	ds_store_b64 v58, v[42:43]
; %bb.256:                              ;   in Loop: Header=BB157_3 Depth=1
	s_or_b32 exec_lo, exec_lo, s1
	s_wait_dscnt 0x0
	;; [unrolled: 34-line block ×3, first 2 shown]
	s_barrier_signal -1
	s_barrier_wait -1
	s_mov_b32 s1, exec_lo
	v_readlane_b32 s8, v92, 8
	s_and_b32 s8, s1, s8
	s_delay_alu instid0(SALU_CYCLE_1)
	s_mov_b32 exec_lo, s8
	s_cbranch_execz .LBB157_262
; %bb.261:                              ;   in Loop: Header=BB157_3 Depth=1
	ds_load_b64 v[42:43], v59 offset:22784
	ds_load_b64 v[44:45], v58
	s_wait_dscnt 0x0
	v_dual_mul_f32 v3, v45, v43 :: v_dual_mul_f32 v43, v44, v43
	s_delay_alu instid0(VALU_DEP_1) | instskip(NEXT) | instid1(VALU_DEP_1)
	v_fmac_f32_e32 v43, v45, v42
	v_dual_fma_f32 v3, v44, v42, -v3 :: v_dual_sub_f32 v41, v41, v43
	s_delay_alu instid0(VALU_DEP_1)
	v_sub_f32_e32 v40, v40, v3
.LBB157_262:                            ;   in Loop: Header=BB157_3 Depth=1
	s_or_b32 exec_lo, exec_lo, s1
	s_barrier_signal -1
	s_barrier_wait -1
	s_mov_b32 s1, exec_lo
	v_readlane_b32 s8, v92, 9
	s_and_b32 s8, s1, s8
	s_delay_alu instid0(SALU_CYCLE_1)
	s_mov_b32 exec_lo, s8
; %bb.263:                              ;   in Loop: Header=BB157_3 Depth=1
	v_pk_add_f32 v[42:43], v[40:41], 0 neg_lo:[1,1] neg_hi:[1,1]
	ds_store_b64 v58, v[42:43]
; %bb.264:                              ;   in Loop: Header=BB157_3 Depth=1
	s_or_b32 exec_lo, exec_lo, s1
	s_wait_dscnt 0x0
	s_barrier_signal -1
	s_barrier_wait -1
	s_and_saveexec_b32 s1, s36
	s_cbranch_execz .LBB157_266
; %bb.265:                              ;   in Loop: Header=BB157_3 Depth=1
	ds_load_b64 v[42:43], v59 offset:22272
	ds_load_b64 v[44:45], v58
	s_wait_dscnt 0x0
	v_dual_mul_f32 v3, v45, v43 :: v_dual_mul_f32 v83, v44, v43
	s_delay_alu instid0(VALU_DEP_1) | instskip(NEXT) | instid1(VALU_DEP_2)
	v_fma_f32 v82, v44, v42, -v3
	v_fmac_f32_e32 v83, v45, v42
	s_delay_alu instid0(VALU_DEP_1)
	v_pk_add_f32 v[40:41], v[40:41], v[82:83] neg_lo:[0,1] neg_hi:[0,1]
.LBB157_266:                            ;   in Loop: Header=BB157_3 Depth=1
	s_or_b32 exec_lo, exec_lo, s1
	s_barrier_signal -1
	s_barrier_wait -1
	s_and_saveexec_b32 s1, s37
; %bb.267:                              ;   in Loop: Header=BB157_3 Depth=1
	v_pk_add_f32 v[42:43], v[40:41], 0 neg_lo:[1,1] neg_hi:[1,1]
	ds_store_b64 v58, v[42:43]
; %bb.268:                              ;   in Loop: Header=BB157_3 Depth=1
	s_or_b32 exec_lo, exec_lo, s1
	s_wait_dscnt 0x0
	s_barrier_signal -1
	s_barrier_wait -1
	s_and_saveexec_b32 s1, s39
	s_cbranch_execz .LBB157_270
; %bb.269:                              ;   in Loop: Header=BB157_3 Depth=1
	ds_load_b64 v[42:43], v59 offset:21760
	ds_load_b64 v[44:45], v58
	s_wait_dscnt 0x0
	v_pk_mul_f32 v[82:83], v[44:45], v[42:43] op_sel:[1,1] op_sel_hi:[0,1]
	s_delay_alu instid0(VALU_DEP_1) | instskip(SKIP_1) | instid1(VALU_DEP_2)
	v_pk_fma_f32 v[84:85], v[44:45], v[42:43], v[82:83] op_sel_hi:[1,0,1]
	v_pk_fma_f32 v[42:43], v[44:45], v[42:43], v[82:83] neg_lo:[0,0,1] neg_hi:[0,0,1]
	v_mov_b32_e32 v43, v85
	s_delay_alu instid0(VALU_DEP_1)
	v_pk_add_f32 v[40:41], v[40:41], v[42:43] neg_lo:[0,1] neg_hi:[0,1]
.LBB157_270:                            ;   in Loop: Header=BB157_3 Depth=1
	s_or_b32 exec_lo, exec_lo, s1
	s_barrier_signal -1
	s_barrier_wait -1
	s_and_saveexec_b32 s1, s40
; %bb.271:                              ;   in Loop: Header=BB157_3 Depth=1
	v_pk_add_f32 v[42:43], v[40:41], 0 neg_lo:[1,1] neg_hi:[1,1]
	ds_store_b64 v58, v[42:43]
; %bb.272:                              ;   in Loop: Header=BB157_3 Depth=1
	s_or_b32 exec_lo, exec_lo, s1
	s_wait_dscnt 0x0
	s_barrier_signal -1
	s_barrier_wait -1
	s_and_saveexec_b32 s1, s41
	s_cbranch_execz .LBB157_274
; %bb.273:                              ;   in Loop: Header=BB157_3 Depth=1
	ds_load_b64 v[42:43], v59 offset:21248
	ds_load_b64 v[44:45], v58
	s_wait_dscnt 0x0
	v_pk_mul_f32 v[82:83], v[44:45], v[42:43] op_sel:[1,1] op_sel_hi:[0,1]
	s_delay_alu instid0(VALU_DEP_1) | instskip(SKIP_1) | instid1(VALU_DEP_2)
	v_pk_fma_f32 v[84:85], v[44:45], v[42:43], v[82:83] op_sel_hi:[1,0,1]
	v_pk_fma_f32 v[42:43], v[44:45], v[42:43], v[82:83] neg_lo:[0,0,1] neg_hi:[0,0,1]
	v_mov_b32_e32 v43, v85
	s_delay_alu instid0(VALU_DEP_1)
	v_pk_add_f32 v[40:41], v[40:41], v[42:43] neg_lo:[0,1] neg_hi:[0,1]
.LBB157_274:                            ;   in Loop: Header=BB157_3 Depth=1
	;; [unrolled: 26-line block ×4, first 2 shown]
	s_or_b32 exec_lo, exec_lo, s1
	s_barrier_signal -1
	s_barrier_wait -1
	s_and_saveexec_b32 s1, s83
; %bb.283:                              ;   in Loop: Header=BB157_3 Depth=1
	v_pk_add_f32 v[42:43], v[40:41], 0 neg_lo:[1,1] neg_hi:[1,1]
	ds_store_b64 v58, v[42:43]
; %bb.284:                              ;   in Loop: Header=BB157_3 Depth=1
	s_or_b32 exec_lo, exec_lo, s1
	s_wait_dscnt 0x0
	s_barrier_signal -1
	s_barrier_wait -1
	s_and_saveexec_b32 s1, s38
	s_cbranch_execz .LBB157_286
; %bb.285:                              ;   in Loop: Header=BB157_3 Depth=1
	ds_load_b64 v[42:43], v59 offset:19712
	ds_load_b64 v[44:45], v58
	s_wait_dscnt 0x0
	v_dual_mul_f32 v3, v45, v43 :: v_dual_mul_f32 v43, v44, v43
	s_delay_alu instid0(VALU_DEP_1) | instskip(NEXT) | instid1(VALU_DEP_1)
	v_fmac_f32_e32 v43, v45, v42
	v_dual_fma_f32 v3, v44, v42, -v3 :: v_dual_sub_f32 v41, v41, v43
	s_delay_alu instid0(VALU_DEP_1)
	v_sub_f32_e32 v40, v40, v3
.LBB157_286:                            ;   in Loop: Header=BB157_3 Depth=1
	s_or_b32 exec_lo, exec_lo, s1
	s_barrier_signal -1
	s_barrier_wait -1
	s_and_saveexec_b32 s1, s21
; %bb.287:                              ;   in Loop: Header=BB157_3 Depth=1
	v_pk_add_f32 v[42:43], v[40:41], 0 neg_lo:[1,1] neg_hi:[1,1]
	ds_store_b64 v58, v[42:43]
; %bb.288:                              ;   in Loop: Header=BB157_3 Depth=1
	s_or_b32 exec_lo, exec_lo, s1
	s_wait_dscnt 0x0
	s_barrier_signal -1
	s_barrier_wait -1
	s_and_saveexec_b32 s1, s23
	s_cbranch_execz .LBB157_290
; %bb.289:                              ;   in Loop: Header=BB157_3 Depth=1
	ds_load_b64 v[42:43], v59 offset:19200
	ds_load_b64 v[44:45], v58
	s_wait_dscnt 0x0
	v_dual_mul_f32 v3, v45, v43 :: v_dual_mul_f32 v83, v44, v43
	s_delay_alu instid0(VALU_DEP_1) | instskip(NEXT) | instid1(VALU_DEP_2)
	v_fma_f32 v82, v44, v42, -v3
	v_fmac_f32_e32 v83, v45, v42
	s_delay_alu instid0(VALU_DEP_1)
	v_pk_add_f32 v[40:41], v[40:41], v[82:83] neg_lo:[0,1] neg_hi:[0,1]
.LBB157_290:                            ;   in Loop: Header=BB157_3 Depth=1
	s_or_b32 exec_lo, exec_lo, s1
	s_barrier_signal -1
	s_barrier_wait -1
	s_and_saveexec_b32 s1, s25
; %bb.291:                              ;   in Loop: Header=BB157_3 Depth=1
	v_pk_add_f32 v[42:43], v[40:41], 0 neg_lo:[1,1] neg_hi:[1,1]
	ds_store_b64 v58, v[42:43]
; %bb.292:                              ;   in Loop: Header=BB157_3 Depth=1
	s_or_b32 exec_lo, exec_lo, s1
	s_wait_dscnt 0x0
	s_barrier_signal -1
	s_barrier_wait -1
	s_and_saveexec_b32 s1, s28
	s_cbranch_execz .LBB157_294
; %bb.293:                              ;   in Loop: Header=BB157_3 Depth=1
	ds_load_b64 v[42:43], v59 offset:18688
	ds_load_b64 v[44:45], v58
	s_wait_dscnt 0x0
	v_pk_mul_f32 v[82:83], v[44:45], v[42:43] op_sel:[1,1] op_sel_hi:[0,1]
	s_delay_alu instid0(VALU_DEP_1) | instskip(SKIP_1) | instid1(VALU_DEP_2)
	v_pk_fma_f32 v[84:85], v[44:45], v[42:43], v[82:83] op_sel_hi:[1,0,1]
	v_pk_fma_f32 v[42:43], v[44:45], v[42:43], v[82:83] neg_lo:[0,0,1] neg_hi:[0,0,1]
	v_mov_b32_e32 v43, v85
	s_delay_alu instid0(VALU_DEP_1)
	v_pk_add_f32 v[40:41], v[40:41], v[42:43] neg_lo:[0,1] neg_hi:[0,1]
.LBB157_294:                            ;   in Loop: Header=BB157_3 Depth=1
	s_or_b32 exec_lo, exec_lo, s1
	s_barrier_signal -1
	s_barrier_wait -1
	s_and_saveexec_b32 s1, s30
; %bb.295:                              ;   in Loop: Header=BB157_3 Depth=1
	v_pk_add_f32 v[42:43], v[40:41], 0 neg_lo:[1,1] neg_hi:[1,1]
	ds_store_b64 v58, v[42:43]
; %bb.296:                              ;   in Loop: Header=BB157_3 Depth=1
	s_or_b32 exec_lo, exec_lo, s1
	s_wait_dscnt 0x0
	s_barrier_signal -1
	s_barrier_wait -1
	s_and_saveexec_b32 s1, s103
	s_cbranch_execz .LBB157_298
; %bb.297:                              ;   in Loop: Header=BB157_3 Depth=1
	ds_load_b64 v[42:43], v59 offset:18176
	ds_load_b64 v[44:45], v58
	s_wait_dscnt 0x0
	v_pk_mul_f32 v[82:83], v[44:45], v[42:43] op_sel:[1,1] op_sel_hi:[0,1]
	s_delay_alu instid0(VALU_DEP_1) | instskip(SKIP_1) | instid1(VALU_DEP_2)
	v_pk_fma_f32 v[84:85], v[44:45], v[42:43], v[82:83] op_sel_hi:[1,0,1]
	v_pk_fma_f32 v[42:43], v[44:45], v[42:43], v[82:83] neg_lo:[0,0,1] neg_hi:[0,0,1]
	v_mov_b32_e32 v43, v85
	s_delay_alu instid0(VALU_DEP_1)
	v_pk_add_f32 v[40:41], v[40:41], v[42:43] neg_lo:[0,1] neg_hi:[0,1]
.LBB157_298:                            ;   in Loop: Header=BB157_3 Depth=1
	s_or_b32 exec_lo, exec_lo, s1
	s_barrier_signal -1
	s_barrier_wait -1
	s_and_saveexec_b32 s1, s64
; %bb.299:                              ;   in Loop: Header=BB157_3 Depth=1
	v_pk_add_f32 v[42:43], v[40:41], 0 neg_lo:[1,1] neg_hi:[1,1]
	ds_store_b64 v58, v[42:43]
; %bb.300:                              ;   in Loop: Header=BB157_3 Depth=1
	s_or_b32 exec_lo, exec_lo, s1
	s_wait_dscnt 0x0
	s_barrier_signal -1
	s_barrier_wait -1
	s_and_saveexec_b32 s1, s65
	s_cbranch_execz .LBB157_302
; %bb.301:                              ;   in Loop: Header=BB157_3 Depth=1
	ds_load_b64 v[42:43], v59 offset:17664
	ds_load_b64 v[44:45], v58
	s_wait_dscnt 0x0
	v_pk_mul_f32 v[82:83], v[44:45], v[42:43] op_sel:[1,1] op_sel_hi:[0,1]
	s_delay_alu instid0(VALU_DEP_1) | instskip(SKIP_1) | instid1(VALU_DEP_2)
	v_pk_fma_f32 v[84:85], v[44:45], v[42:43], v[82:83] op_sel_hi:[1,0,1]
	v_pk_fma_f32 v[42:43], v[44:45], v[42:43], v[82:83] neg_lo:[0,0,1] neg_hi:[0,0,1]
	v_mov_b32_e32 v43, v85
	s_delay_alu instid0(VALU_DEP_1)
	v_pk_add_f32 v[40:41], v[40:41], v[42:43] neg_lo:[0,1] neg_hi:[0,1]
.LBB157_302:                            ;   in Loop: Header=BB157_3 Depth=1
	s_or_b32 exec_lo, exec_lo, s1
	s_barrier_signal -1
	s_barrier_wait -1
	s_and_saveexec_b32 s1, s20
; %bb.303:                              ;   in Loop: Header=BB157_3 Depth=1
	v_pk_add_f32 v[42:43], v[40:41], 0 neg_lo:[1,1] neg_hi:[1,1]
	ds_store_b64 v58, v[42:43]
; %bb.304:                              ;   in Loop: Header=BB157_3 Depth=1
	s_or_b32 exec_lo, exec_lo, s1
	s_wait_dscnt 0x0
	s_barrier_signal -1
	s_barrier_wait -1
	s_and_saveexec_b32 s1, s22
	s_cbranch_execz .LBB157_306
; %bb.305:                              ;   in Loop: Header=BB157_3 Depth=1
	ds_load_b64 v[42:43], v7 offset:17152
	ds_load_b64 v[44:45], v58
	s_wait_dscnt 0x0
	v_pk_mul_f32 v[82:83], v[44:45], v[42:43] op_sel:[1,1] op_sel_hi:[0,1]
	s_delay_alu instid0(VALU_DEP_1) | instskip(SKIP_1) | instid1(VALU_DEP_2)
	v_pk_fma_f32 v[84:85], v[44:45], v[42:43], v[82:83] op_sel_hi:[1,0,1]
	v_pk_fma_f32 v[42:43], v[44:45], v[42:43], v[82:83] neg_lo:[0,0,1] neg_hi:[0,0,1]
	v_mov_b32_e32 v43, v85
	s_delay_alu instid0(VALU_DEP_1)
	v_pk_add_f32 v[40:41], v[40:41], v[42:43] neg_lo:[0,1] neg_hi:[0,1]
.LBB157_306:                            ;   in Loop: Header=BB157_3 Depth=1
	s_or_b32 exec_lo, exec_lo, s1
	s_barrier_signal -1
	s_barrier_wait -1
	s_and_saveexec_b32 s1, s22
; %bb.307:                              ;   in Loop: Header=BB157_3 Depth=1
	v_pk_add_f32 v[42:43], v[40:41], 0 neg_lo:[1,1] neg_hi:[1,1]
	ds_store_b64 v58, v[42:43]
; %bb.308:                              ;   in Loop: Header=BB157_3 Depth=1
	s_or_b32 exec_lo, exec_lo, s1
	s_wait_dscnt 0x0
	s_barrier_signal -1
	s_barrier_wait -1
	s_barrier_signal -1
	s_barrier_wait -1
	s_and_saveexec_b32 s1, s6
; %bb.309:                              ;   in Loop: Header=BB157_3 Depth=1
	ds_store_b64 v61, v[40:41] offset:32512
; %bb.310:                              ;   in Loop: Header=BB157_3 Depth=1
	s_or_b32 exec_lo, exec_lo, s1
	s_wait_dscnt 0x0
	s_barrier_signal -1
	s_barrier_wait -1
	s_barrier_signal -1
	s_barrier_wait -1
	s_and_saveexec_b32 s1, s11
; %bb.311:                              ;   in Loop: Header=BB157_3 Depth=1
	v_add_nc_u32_e64 v3, 0x5800, 0
	ds_store_2addr_b64 v3, v[34:35], v[34:35] offset0:174 offset1:239
; %bb.312:                              ;   in Loop: Header=BB157_3 Depth=1
	s_or_b32 exec_lo, exec_lo, s1
	v_dual_mov_b32 v40, 0 :: v_dual_mov_b32 v41, 0
	s_wait_dscnt 0x0
	s_barrier_signal -1
	s_barrier_wait -1
	global_wb scope:SCOPE_DEV
	s_wait_storecnt 0x0
	global_inv scope:SCOPE_DEV
	s_and_saveexec_b32 s1, s3
	s_cbranch_execz .LBB157_316
; %bb.313:                              ;   in Loop: Header=BB157_3 Depth=1
	ds_load_b64 v[40:41], v46 offset:23904
	ds_load_b64 v[42:43], v47 offset:24432
	s_wait_dscnt 0x0
	v_pk_mul_f32 v[44:45], v[42:43], v[40:41] op_sel:[1,1] op_sel_hi:[0,1]
	s_delay_alu instid0(VALU_DEP_1) | instskip(SKIP_1) | instid1(VALU_DEP_2)
	v_pk_fma_f32 v[82:83], v[42:43], v[40:41], v[44:45] op_sel_hi:[1,0,1]
	v_pk_fma_f32 v[40:41], v[42:43], v[40:41], v[44:45] neg_lo:[0,0,1] neg_hi:[0,0,1]
	v_mov_b32_e32 v41, v83
	s_delay_alu instid0(VALU_DEP_1)
	v_pk_add_f32 v[40:41], v[40:41], 0 op_sel_hi:[1,0]
	s_and_saveexec_b32 s8, s12
	s_cbranch_execz .LBB157_315
; %bb.314:                              ;   in Loop: Header=BB157_3 Depth=1
	ds_load_b64 v[42:43], v48 offset:24416
	ds_load_b64 v[44:45], v7 offset:24440
	s_wait_dscnt 0x0
	v_pk_mul_f32 v[82:83], v[44:45], v[42:43] op_sel:[1,1] op_sel_hi:[0,1]
	s_delay_alu instid0(VALU_DEP_1) | instskip(SKIP_1) | instid1(VALU_DEP_2)
	v_pk_fma_f32 v[84:85], v[44:45], v[42:43], v[82:83] op_sel_hi:[1,0,1]
	v_pk_fma_f32 v[42:43], v[44:45], v[42:43], v[82:83] neg_lo:[0,0,1] neg_hi:[0,0,1]
	v_mov_b32_e32 v43, v85
	s_delay_alu instid0(VALU_DEP_1)
	v_pk_add_f32 v[40:41], v[40:41], v[42:43]
.LBB157_315:                            ;   in Loop: Header=BB157_3 Depth=1
	s_or_b32 exec_lo, exec_lo, s8
.LBB157_316:                            ;   in Loop: Header=BB157_3 Depth=1
	s_delay_alu instid0(SALU_CYCLE_1)
	s_or_b32 exec_lo, exec_lo, s1
	s_and_saveexec_b32 s1, vcc_hi
; %bb.317:                              ;   in Loop: Header=BB157_3 Depth=1
	s_delay_alu instid0(VALU_DEP_1)
	v_pk_add_f32 v[42:43], v[40:41], 0 neg_lo:[1,1] neg_hi:[1,1]
	ds_store_b64 v5, v[42:43]
; %bb.318:                              ;   in Loop: Header=BB157_3 Depth=1
	s_or_b32 exec_lo, exec_lo, s1
	s_wait_loadcnt_dscnt 0x0
	s_barrier_signal -1
	s_barrier_wait -1
	s_and_saveexec_b32 s1, s43
	s_cbranch_execz .LBB157_320
; %bb.319:                              ;   in Loop: Header=BB157_3 Depth=1
	ds_load_b64 v[42:43], v7 offset:23392
	ds_load_b64 v[44:45], v5
	s_wait_dscnt 0x0
	v_pk_mul_f32 v[82:83], v[44:45], v[42:43] op_sel_hi:[1,0]
	s_delay_alu instid0(VALU_DEP_1) | instskip(SKIP_1) | instid1(VALU_DEP_2)
	v_pk_fma_f32 v[84:85], v[44:45], v[42:43], v[82:83] op_sel:[1,1,0] op_sel_hi:[0,1,1]
	v_pk_fma_f32 v[42:43], v[44:45], v[42:43], v[82:83] op_sel:[1,1,0] op_sel_hi:[0,1,1] neg_lo:[0,0,1] neg_hi:[0,0,1]
	v_pk_add_f32 v[44:45], v[40:41], v[84:85] neg_lo:[0,1] neg_hi:[0,1]
	s_delay_alu instid0(VALU_DEP_2) | instskip(NEXT) | instid1(VALU_DEP_2)
	v_pk_add_f32 v[40:41], v[40:41], v[42:43]
	v_mov_b32_e32 v41, v45
.LBB157_320:                            ;   in Loop: Header=BB157_3 Depth=1
	s_or_b32 exec_lo, exec_lo, s1
	s_barrier_signal -1
	s_barrier_wait -1
	s_and_saveexec_b32 s1, s43
; %bb.321:                              ;   in Loop: Header=BB157_3 Depth=1
	v_pk_add_f32 v[42:43], v[40:41], 0 neg_lo:[1,1] neg_hi:[1,1]
	ds_store_b64 v5, v[42:43]
; %bb.322:                              ;   in Loop: Header=BB157_3 Depth=1
	s_or_b32 exec_lo, exec_lo, s1
	s_wait_dscnt 0x0
	s_barrier_signal -1
	s_barrier_wait -1
	s_barrier_signal -1
	s_barrier_wait -1
	s_and_saveexec_b32 s1, s3
; %bb.323:                              ;   in Loop: Header=BB157_3 Depth=1
	ds_store_b64 v49, v[40:41] offset:24416
; %bb.324:                              ;   in Loop: Header=BB157_3 Depth=1
	s_or_b32 exec_lo, exec_lo, s1
	s_wait_dscnt 0x0
	s_barrier_signal -1
	s_barrier_wait -1
	s_barrier_signal -1
	s_barrier_wait -1
	s_and_saveexec_b32 s1, s11
; %bb.325:                              ;   in Loop: Header=BB157_3 Depth=1
	v_add_nc_u32_e64 v3, 0x5800, 0
	ds_store_2addr_b64 v3, v[34:35], v[34:35] offset0:44 offset1:109
; %bb.326:                              ;   in Loop: Header=BB157_3 Depth=1
	s_or_b32 exec_lo, exec_lo, s1
	v_mov_b64_e32 v[40:41], 0
	s_wait_dscnt 0x0
	s_barrier_signal -1
	s_barrier_wait -1
	global_wb scope:SCOPE_DEV
	s_wait_storecnt 0x0
	global_inv scope:SCOPE_DEV
	s_and_saveexec_b32 s1, s4
	s_cbranch_execz .LBB157_332
; %bb.327:                              ;   in Loop: Header=BB157_3 Depth=1
	ds_load_b64 v[40:41], v51 offset:22848
	ds_load_b64 v[42:43], v52 offset:24416
	s_wait_dscnt 0x0
	v_dual_mul_f32 v3, v43, v41 :: v_dual_mul_f32 v41, v42, v41
	s_delay_alu instid0(VALU_DEP_1) | instskip(NEXT) | instid1(VALU_DEP_1)
	v_dual_fma_f32 v3, v42, v40, -v3 :: v_dual_fmac_f32 v41, v43, v40
	v_dual_add_f32 v40, 0, v3 :: v_dual_add_f32 v41, 0, v41
	s_and_saveexec_b32 s8, s13
	s_cbranch_execnz .LBB157_1014
; %bb.328:                              ;   in Loop: Header=BB157_3 Depth=1
	s_or_b32 exec_lo, exec_lo, s8
	s_and_saveexec_b32 s8, s14
	s_cbranch_execnz .LBB157_1015
.LBB157_329:                            ;   in Loop: Header=BB157_3 Depth=1
	s_or_b32 exec_lo, exec_lo, s8
	s_and_saveexec_b32 s8, s3
	s_cbranch_execz .LBB157_331
.LBB157_330:                            ;   in Loop: Header=BB157_3 Depth=1
	ds_load_b64 v[42:43], v48 offset:24384
	ds_load_b64 v[44:45], v7 offset:24440
	s_wait_dscnt 0x0
	v_pk_mul_f32 v[82:83], v[44:45], v[42:43] op_sel:[1,1] op_sel_hi:[0,1]
	s_delay_alu instid0(VALU_DEP_1) | instskip(SKIP_1) | instid1(VALU_DEP_2)
	v_pk_fma_f32 v[84:85], v[44:45], v[42:43], v[82:83] op_sel_hi:[1,0,1]
	v_pk_fma_f32 v[42:43], v[44:45], v[42:43], v[82:83] neg_lo:[0,0,1] neg_hi:[0,0,1]
	v_mov_b32_e32 v43, v85
	s_delay_alu instid0(VALU_DEP_1)
	v_pk_add_f32 v[40:41], v[40:41], v[42:43]
.LBB157_331:                            ;   in Loop: Header=BB157_3 Depth=1
	s_or_b32 exec_lo, exec_lo, s8
.LBB157_332:                            ;   in Loop: Header=BB157_3 Depth=1
	s_delay_alu instid0(SALU_CYCLE_1)
	s_or_b32 exec_lo, exec_lo, s1
	s_and_saveexec_b32 s1, s44
; %bb.333:                              ;   in Loop: Header=BB157_3 Depth=1
	s_delay_alu instid0(VALU_DEP_1)
	v_pk_add_f32 v[42:43], v[40:41], 0 neg_lo:[1,1] neg_hi:[1,1]
	ds_store_b64 v50, v[42:43]
; %bb.334:                              ;   in Loop: Header=BB157_3 Depth=1
	s_or_b32 exec_lo, exec_lo, s1
	s_wait_loadcnt_dscnt 0x0
	s_barrier_signal -1
	s_barrier_wait -1
	s_and_saveexec_b32 s1, s45
	s_cbranch_execz .LBB157_336
; %bb.335:                              ;   in Loop: Header=BB157_3 Depth=1
	ds_load_b64 v[42:43], v51 offset:22336
	ds_load_b64 v[44:45], v50
	s_wait_dscnt 0x0
	v_pk_mul_f32 v[82:83], v[44:45], v[42:43] op_sel:[1,1] op_sel_hi:[0,1]
	s_delay_alu instid0(VALU_DEP_1) | instskip(SKIP_1) | instid1(VALU_DEP_2)
	v_pk_fma_f32 v[84:85], v[44:45], v[42:43], v[82:83] op_sel_hi:[1,0,1]
	v_pk_fma_f32 v[42:43], v[44:45], v[42:43], v[82:83] neg_lo:[0,0,1] neg_hi:[0,0,1]
	v_mov_b32_e32 v43, v85
	s_delay_alu instid0(VALU_DEP_1)
	v_pk_add_f32 v[40:41], v[40:41], v[42:43] neg_lo:[0,1] neg_hi:[0,1]
.LBB157_336:                            ;   in Loop: Header=BB157_3 Depth=1
	s_or_b32 exec_lo, exec_lo, s1
	s_barrier_signal -1
	s_barrier_wait -1
	s_and_saveexec_b32 s1, s46
; %bb.337:                              ;   in Loop: Header=BB157_3 Depth=1
	v_pk_add_f32 v[42:43], v[40:41], 0 neg_lo:[1,1] neg_hi:[1,1]
	ds_store_b64 v50, v[42:43]
; %bb.338:                              ;   in Loop: Header=BB157_3 Depth=1
	s_or_b32 exec_lo, exec_lo, s1
	s_wait_dscnt 0x0
	s_barrier_signal -1
	s_barrier_wait -1
	s_and_saveexec_b32 s1, s47
	s_cbranch_execz .LBB157_340
; %bb.339:                              ;   in Loop: Header=BB157_3 Depth=1
	ds_load_b64 v[42:43], v51 offset:21824
	ds_load_b64 v[44:45], v50
	s_wait_dscnt 0x0
	v_pk_mul_f32 v[82:83], v[44:45], v[42:43] op_sel:[1,1] op_sel_hi:[0,1]
	s_delay_alu instid0(VALU_DEP_1) | instskip(SKIP_1) | instid1(VALU_DEP_2)
	v_pk_fma_f32 v[84:85], v[44:45], v[42:43], v[82:83] op_sel_hi:[1,0,1]
	v_pk_fma_f32 v[42:43], v[44:45], v[42:43], v[82:83] neg_lo:[0,0,1] neg_hi:[0,0,1]
	v_mov_b32_e32 v43, v85
	s_delay_alu instid0(VALU_DEP_1)
	v_pk_add_f32 v[40:41], v[40:41], v[42:43] neg_lo:[0,1] neg_hi:[0,1]
.LBB157_340:                            ;   in Loop: Header=BB157_3 Depth=1
	s_or_b32 exec_lo, exec_lo, s1
	s_barrier_signal -1
	s_barrier_wait -1
	s_and_saveexec_b32 s1, s48
; %bb.341:                              ;   in Loop: Header=BB157_3 Depth=1
	v_pk_add_f32 v[42:43], v[40:41], 0 neg_lo:[1,1] neg_hi:[1,1]
	ds_store_b64 v50, v[42:43]
; %bb.342:                              ;   in Loop: Header=BB157_3 Depth=1
	s_or_b32 exec_lo, exec_lo, s1
	s_wait_dscnt 0x0
	;; [unrolled: 26-line block ×3, first 2 shown]
	s_barrier_signal -1
	s_barrier_wait -1
	s_barrier_signal -1
	s_barrier_wait -1
	s_and_saveexec_b32 s1, s4
; %bb.347:                              ;   in Loop: Header=BB157_3 Depth=1
	ds_store_b64 v53, v[40:41] offset:24384
; %bb.348:                              ;   in Loop: Header=BB157_3 Depth=1
	s_or_b32 exec_lo, exec_lo, s1
	s_wait_dscnt 0x0
	s_barrier_signal -1
	s_barrier_wait -1
	s_barrier_signal -1
	s_barrier_wait -1
	s_and_saveexec_b32 s1, s11
; %bb.349:                              ;   in Loop: Header=BB157_3 Depth=1
	v_add_nc_u32_e64 v3, 0x5000, 0
	ds_store_2addr_b64 v3, v[34:35], v[34:35] offset0:170 offset1:235
; %bb.350:                              ;   in Loop: Header=BB157_3 Depth=1
	s_or_b32 exec_lo, exec_lo, s1
	v_dual_mov_b32 v40, 0 :: v_dual_mov_b32 v41, 0
	s_wait_dscnt 0x0
	s_barrier_signal -1
	s_barrier_wait -1
	global_wb scope:SCOPE_DEV
	s_wait_storecnt 0x0
	global_inv scope:SCOPE_DEV
	s_and_saveexec_b32 s1, s3
	s_cbranch_execz .LBB157_354
; %bb.351:                              ;   in Loop: Header=BB157_3 Depth=1
	ds_load_b64 v[40:41], v46 offset:21824
	ds_load_b64 v[42:43], v47 offset:22352
	s_wait_dscnt 0x0
	v_pk_mul_f32 v[44:45], v[42:43], v[40:41] op_sel:[1,1] op_sel_hi:[0,1]
	s_delay_alu instid0(VALU_DEP_1) | instskip(SKIP_1) | instid1(VALU_DEP_2)
	v_pk_fma_f32 v[82:83], v[42:43], v[40:41], v[44:45] op_sel_hi:[1,0,1]
	v_pk_fma_f32 v[40:41], v[42:43], v[40:41], v[44:45] neg_lo:[0,0,1] neg_hi:[0,0,1]
	v_mov_b32_e32 v41, v83
	s_delay_alu instid0(VALU_DEP_1)
	v_pk_add_f32 v[40:41], v[40:41], 0 op_sel_hi:[1,0]
	s_and_saveexec_b32 s8, s12
	s_cbranch_execz .LBB157_353
; %bb.352:                              ;   in Loop: Header=BB157_3 Depth=1
	ds_load_b64 v[42:43], v48 offset:22336
	ds_load_b64 v[44:45], v7 offset:22360
	s_wait_dscnt 0x0
	v_pk_mul_f32 v[82:83], v[44:45], v[42:43] op_sel:[1,1] op_sel_hi:[0,1]
	s_delay_alu instid0(VALU_DEP_1) | instskip(SKIP_1) | instid1(VALU_DEP_2)
	v_pk_fma_f32 v[84:85], v[44:45], v[42:43], v[82:83] op_sel_hi:[1,0,1]
	v_pk_fma_f32 v[42:43], v[44:45], v[42:43], v[82:83] neg_lo:[0,0,1] neg_hi:[0,0,1]
	v_mov_b32_e32 v43, v85
	s_delay_alu instid0(VALU_DEP_1)
	v_pk_add_f32 v[40:41], v[40:41], v[42:43]
.LBB157_353:                            ;   in Loop: Header=BB157_3 Depth=1
	s_or_b32 exec_lo, exec_lo, s8
.LBB157_354:                            ;   in Loop: Header=BB157_3 Depth=1
	s_delay_alu instid0(SALU_CYCLE_1)
	s_or_b32 exec_lo, exec_lo, s1
	s_and_saveexec_b32 s1, vcc_hi
; %bb.355:                              ;   in Loop: Header=BB157_3 Depth=1
	s_delay_alu instid0(VALU_DEP_1)
	v_pk_add_f32 v[42:43], v[40:41], 0 neg_lo:[1,1] neg_hi:[1,1]
	ds_store_b64 v5, v[42:43]
; %bb.356:                              ;   in Loop: Header=BB157_3 Depth=1
	s_or_b32 exec_lo, exec_lo, s1
	s_wait_loadcnt_dscnt 0x0
	s_barrier_signal -1
	s_barrier_wait -1
	s_and_saveexec_b32 s1, s43
	s_cbranch_execz .LBB157_358
; %bb.357:                              ;   in Loop: Header=BB157_3 Depth=1
	ds_load_b64 v[42:43], v7 offset:21312
	ds_load_b64 v[44:45], v5
	s_wait_dscnt 0x0
	v_pk_mul_f32 v[82:83], v[44:45], v[42:43] op_sel_hi:[1,0]
	s_delay_alu instid0(VALU_DEP_1) | instskip(SKIP_1) | instid1(VALU_DEP_2)
	v_pk_fma_f32 v[84:85], v[44:45], v[42:43], v[82:83] op_sel:[1,1,0] op_sel_hi:[0,1,1]
	v_pk_fma_f32 v[42:43], v[44:45], v[42:43], v[82:83] op_sel:[1,1,0] op_sel_hi:[0,1,1] neg_lo:[0,0,1] neg_hi:[0,0,1]
	v_pk_add_f32 v[44:45], v[40:41], v[84:85] neg_lo:[0,1] neg_hi:[0,1]
	s_delay_alu instid0(VALU_DEP_2) | instskip(NEXT) | instid1(VALU_DEP_2)
	v_pk_add_f32 v[40:41], v[40:41], v[42:43]
	v_mov_b32_e32 v41, v45
.LBB157_358:                            ;   in Loop: Header=BB157_3 Depth=1
	s_or_b32 exec_lo, exec_lo, s1
	s_barrier_signal -1
	s_barrier_wait -1
	s_and_saveexec_b32 s1, s43
; %bb.359:                              ;   in Loop: Header=BB157_3 Depth=1
	v_pk_add_f32 v[42:43], v[40:41], 0 neg_lo:[1,1] neg_hi:[1,1]
	ds_store_b64 v5, v[42:43]
; %bb.360:                              ;   in Loop: Header=BB157_3 Depth=1
	s_or_b32 exec_lo, exec_lo, s1
	s_wait_dscnt 0x0
	s_barrier_signal -1
	s_barrier_wait -1
	s_barrier_signal -1
	s_barrier_wait -1
	s_and_saveexec_b32 s1, s3
; %bb.361:                              ;   in Loop: Header=BB157_3 Depth=1
	ds_store_b64 v49, v[40:41] offset:22336
; %bb.362:                              ;   in Loop: Header=BB157_3 Depth=1
	s_or_b32 exec_lo, exec_lo, s1
	s_wait_dscnt 0x0
	s_barrier_signal -1
	s_barrier_wait -1
	s_barrier_signal -1
	s_barrier_wait -1
	s_and_saveexec_b32 s1, s11
; %bb.363:                              ;   in Loop: Header=BB157_3 Depth=1
	v_add_nc_u32_e64 v3, 0x5000, 0
	ds_store_2addr_b64 v3, v[34:35], v[34:35] offset0:40 offset1:105
; %bb.364:                              ;   in Loop: Header=BB157_3 Depth=1
	s_or_b32 exec_lo, exec_lo, s1
	v_mov_b64_e32 v[40:41], 0
	s_wait_dscnt 0x0
	s_barrier_signal -1
	s_barrier_wait -1
	global_wb scope:SCOPE_DEV
	s_wait_storecnt 0x0
	global_inv scope:SCOPE_DEV
	s_and_saveexec_b32 s1, s5
	s_cbranch_execz .LBB157_374
; %bb.365:                              ;   in Loop: Header=BB157_3 Depth=1
	ds_load_b64 v[40:41], v55 offset:20736
	ds_load_b64 v[42:43], v56 offset:24384
	s_wait_dscnt 0x0
	v_dual_mul_f32 v3, v43, v41 :: v_dual_mul_f32 v41, v42, v41
	s_delay_alu instid0(VALU_DEP_1) | instskip(NEXT) | instid1(VALU_DEP_1)
	v_dual_fma_f32 v3, v42, v40, -v3 :: v_dual_fmac_f32 v41, v43, v40
	v_dual_add_f32 v40, 0, v3 :: v_dual_add_f32 v41, 0, v41
	s_and_saveexec_b32 s8, s15
	s_cbranch_execnz .LBB157_1016
; %bb.366:                              ;   in Loop: Header=BB157_3 Depth=1
	s_or_b32 exec_lo, exec_lo, s8
	s_and_saveexec_b32 s8, s16
	s_cbranch_execnz .LBB157_1017
.LBB157_367:                            ;   in Loop: Header=BB157_3 Depth=1
	s_or_b32 exec_lo, exec_lo, s8
	s_and_saveexec_b32 s8, s17
	s_cbranch_execnz .LBB157_1018
.LBB157_368:                            ;   in Loop: Header=BB157_3 Depth=1
	s_or_b32 exec_lo, exec_lo, s8
	s_and_saveexec_b32 s8, s18
	s_cbranch_execnz .LBB157_1019
.LBB157_369:                            ;   in Loop: Header=BB157_3 Depth=1
	s_or_b32 exec_lo, exec_lo, s8
	s_and_saveexec_b32 s8, s19
	s_cbranch_execnz .LBB157_1020
.LBB157_370:                            ;   in Loop: Header=BB157_3 Depth=1
	s_or_b32 exec_lo, exec_lo, s8
	s_and_saveexec_b32 s8, s4
	s_cbranch_execnz .LBB157_1021
.LBB157_371:                            ;   in Loop: Header=BB157_3 Depth=1
	s_or_b32 exec_lo, exec_lo, s8
	s_and_saveexec_b32 s8, s14
	s_cbranch_execz .LBB157_373
.LBB157_372:                            ;   in Loop: Header=BB157_3 Depth=1
	ds_load_b64 v[42:43], v48 offset:24320
	ds_load_b64 v[44:45], v7 offset:24440
	s_wait_dscnt 0x0
	v_pk_mul_f32 v[82:83], v[44:45], v[42:43] op_sel:[1,1] op_sel_hi:[0,1]
	s_delay_alu instid0(VALU_DEP_1) | instskip(SKIP_1) | instid1(VALU_DEP_2)
	v_pk_fma_f32 v[84:85], v[44:45], v[42:43], v[82:83] op_sel_hi:[1,0,1]
	v_pk_fma_f32 v[42:43], v[44:45], v[42:43], v[82:83] neg_lo:[0,0,1] neg_hi:[0,0,1]
	v_mov_b32_e32 v43, v85
	s_delay_alu instid0(VALU_DEP_1)
	v_pk_add_f32 v[40:41], v[40:41], v[42:43]
.LBB157_373:                            ;   in Loop: Header=BB157_3 Depth=1
	s_or_b32 exec_lo, exec_lo, s8
.LBB157_374:                            ;   in Loop: Header=BB157_3 Depth=1
	s_delay_alu instid0(SALU_CYCLE_1)
	s_or_b32 exec_lo, exec_lo, s1
	s_and_saveexec_b32 s1, s50
; %bb.375:                              ;   in Loop: Header=BB157_3 Depth=1
	s_delay_alu instid0(VALU_DEP_1)
	v_pk_add_f32 v[42:43], v[40:41], 0 neg_lo:[1,1] neg_hi:[1,1]
	ds_store_b64 v54, v[42:43]
; %bb.376:                              ;   in Loop: Header=BB157_3 Depth=1
	s_or_b32 exec_lo, exec_lo, s1
	s_wait_loadcnt_dscnt 0x0
	s_barrier_signal -1
	s_barrier_wait -1
	s_and_saveexec_b32 s1, s51
	s_cbranch_execz .LBB157_378
; %bb.377:                              ;   in Loop: Header=BB157_3 Depth=1
	ds_load_b64 v[42:43], v55 offset:20224
	ds_load_b64 v[44:45], v54
	s_wait_dscnt 0x0
	v_pk_mul_f32 v[82:83], v[44:45], v[42:43] op_sel:[1,1] op_sel_hi:[0,1]
	s_delay_alu instid0(VALU_DEP_1) | instskip(SKIP_1) | instid1(VALU_DEP_2)
	v_pk_fma_f32 v[84:85], v[44:45], v[42:43], v[82:83] op_sel_hi:[1,0,1]
	v_pk_fma_f32 v[42:43], v[44:45], v[42:43], v[82:83] neg_lo:[0,0,1] neg_hi:[0,0,1]
	v_mov_b32_e32 v43, v85
	s_delay_alu instid0(VALU_DEP_1)
	v_pk_add_f32 v[40:41], v[40:41], v[42:43] neg_lo:[0,1] neg_hi:[0,1]
.LBB157_378:                            ;   in Loop: Header=BB157_3 Depth=1
	s_or_b32 exec_lo, exec_lo, s1
	s_barrier_signal -1
	s_barrier_wait -1
	s_and_saveexec_b32 s1, s52
; %bb.379:                              ;   in Loop: Header=BB157_3 Depth=1
	v_pk_add_f32 v[42:43], v[40:41], 0 neg_lo:[1,1] neg_hi:[1,1]
	ds_store_b64 v54, v[42:43]
; %bb.380:                              ;   in Loop: Header=BB157_3 Depth=1
	s_or_b32 exec_lo, exec_lo, s1
	s_wait_dscnt 0x0
	s_barrier_signal -1
	s_barrier_wait -1
	s_and_saveexec_b32 s1, s53
	s_cbranch_execz .LBB157_382
; %bb.381:                              ;   in Loop: Header=BB157_3 Depth=1
	ds_load_b64 v[42:43], v55 offset:19712
	ds_load_b64 v[44:45], v54
	s_wait_dscnt 0x0
	v_dual_mul_f32 v3, v45, v43 :: v_dual_mul_f32 v43, v44, v43
	s_delay_alu instid0(VALU_DEP_1) | instskip(NEXT) | instid1(VALU_DEP_1)
	v_fmac_f32_e32 v43, v45, v42
	v_dual_fma_f32 v3, v44, v42, -v3 :: v_dual_sub_f32 v41, v41, v43
	s_delay_alu instid0(VALU_DEP_1)
	v_sub_f32_e32 v40, v40, v3
.LBB157_382:                            ;   in Loop: Header=BB157_3 Depth=1
	s_or_b32 exec_lo, exec_lo, s1
	s_barrier_signal -1
	s_barrier_wait -1
	s_and_saveexec_b32 s1, s54
; %bb.383:                              ;   in Loop: Header=BB157_3 Depth=1
	v_pk_add_f32 v[42:43], v[40:41], 0 neg_lo:[1,1] neg_hi:[1,1]
	ds_store_b64 v54, v[42:43]
; %bb.384:                              ;   in Loop: Header=BB157_3 Depth=1
	s_or_b32 exec_lo, exec_lo, s1
	s_wait_dscnt 0x0
	s_barrier_signal -1
	s_barrier_wait -1
	s_and_saveexec_b32 s1, s55
	s_cbranch_execz .LBB157_386
; %bb.385:                              ;   in Loop: Header=BB157_3 Depth=1
	ds_load_b64 v[42:43], v55 offset:19200
	ds_load_b64 v[44:45], v54
	s_wait_dscnt 0x0
	v_dual_mul_f32 v3, v45, v43 :: v_dual_mul_f32 v83, v44, v43
	s_delay_alu instid0(VALU_DEP_1) | instskip(NEXT) | instid1(VALU_DEP_2)
	v_fma_f32 v82, v44, v42, -v3
	v_fmac_f32_e32 v83, v45, v42
	s_delay_alu instid0(VALU_DEP_1)
	v_pk_add_f32 v[40:41], v[40:41], v[82:83] neg_lo:[0,1] neg_hi:[0,1]
.LBB157_386:                            ;   in Loop: Header=BB157_3 Depth=1
	s_or_b32 exec_lo, exec_lo, s1
	s_barrier_signal -1
	s_barrier_wait -1
	s_and_saveexec_b32 s1, s56
; %bb.387:                              ;   in Loop: Header=BB157_3 Depth=1
	v_pk_add_f32 v[42:43], v[40:41], 0 neg_lo:[1,1] neg_hi:[1,1]
	ds_store_b64 v54, v[42:43]
; %bb.388:                              ;   in Loop: Header=BB157_3 Depth=1
	s_or_b32 exec_lo, exec_lo, s1
	s_wait_dscnt 0x0
	s_barrier_signal -1
	s_barrier_wait -1
	s_and_saveexec_b32 s1, s57
	s_cbranch_execz .LBB157_390
; %bb.389:                              ;   in Loop: Header=BB157_3 Depth=1
	ds_load_b64 v[42:43], v55 offset:18688
	ds_load_b64 v[44:45], v54
	s_wait_dscnt 0x0
	v_pk_mul_f32 v[82:83], v[44:45], v[42:43] op_sel:[1,1] op_sel_hi:[0,1]
	s_delay_alu instid0(VALU_DEP_1) | instskip(SKIP_1) | instid1(VALU_DEP_2)
	v_pk_fma_f32 v[84:85], v[44:45], v[42:43], v[82:83] op_sel_hi:[1,0,1]
	v_pk_fma_f32 v[42:43], v[44:45], v[42:43], v[82:83] neg_lo:[0,0,1] neg_hi:[0,0,1]
	v_mov_b32_e32 v43, v85
	s_delay_alu instid0(VALU_DEP_1)
	v_pk_add_f32 v[40:41], v[40:41], v[42:43] neg_lo:[0,1] neg_hi:[0,1]
.LBB157_390:                            ;   in Loop: Header=BB157_3 Depth=1
	s_or_b32 exec_lo, exec_lo, s1
	s_barrier_signal -1
	s_barrier_wait -1
	s_and_saveexec_b32 s1, s58
; %bb.391:                              ;   in Loop: Header=BB157_3 Depth=1
	v_pk_add_f32 v[42:43], v[40:41], 0 neg_lo:[1,1] neg_hi:[1,1]
	ds_store_b64 v54, v[42:43]
; %bb.392:                              ;   in Loop: Header=BB157_3 Depth=1
	s_or_b32 exec_lo, exec_lo, s1
	s_wait_dscnt 0x0
	s_barrier_signal -1
	s_barrier_wait -1
	s_and_saveexec_b32 s1, s59
	s_cbranch_execz .LBB157_394
; %bb.393:                              ;   in Loop: Header=BB157_3 Depth=1
	ds_load_b64 v[42:43], v55 offset:18176
	ds_load_b64 v[44:45], v54
	s_wait_dscnt 0x0
	v_pk_mul_f32 v[82:83], v[44:45], v[42:43] op_sel:[1,1] op_sel_hi:[0,1]
	s_delay_alu instid0(VALU_DEP_1) | instskip(SKIP_1) | instid1(VALU_DEP_2)
	v_pk_fma_f32 v[84:85], v[44:45], v[42:43], v[82:83] op_sel_hi:[1,0,1]
	v_pk_fma_f32 v[42:43], v[44:45], v[42:43], v[82:83] neg_lo:[0,0,1] neg_hi:[0,0,1]
	v_mov_b32_e32 v43, v85
	s_delay_alu instid0(VALU_DEP_1)
	v_pk_add_f32 v[40:41], v[40:41], v[42:43] neg_lo:[0,1] neg_hi:[0,1]
.LBB157_394:                            ;   in Loop: Header=BB157_3 Depth=1
	s_or_b32 exec_lo, exec_lo, s1
	s_barrier_signal -1
	s_barrier_wait -1
	s_and_saveexec_b32 s1, s60
; %bb.395:                              ;   in Loop: Header=BB157_3 Depth=1
	v_pk_add_f32 v[42:43], v[40:41], 0 neg_lo:[1,1] neg_hi:[1,1]
	ds_store_b64 v54, v[42:43]
; %bb.396:                              ;   in Loop: Header=BB157_3 Depth=1
	s_or_b32 exec_lo, exec_lo, s1
	s_wait_dscnt 0x0
	s_barrier_signal -1
	s_barrier_wait -1
	s_and_saveexec_b32 s1, s61
	s_cbranch_execz .LBB157_398
; %bb.397:                              ;   in Loop: Header=BB157_3 Depth=1
	ds_load_b64 v[42:43], v55 offset:17664
	ds_load_b64 v[44:45], v54
	s_wait_dscnt 0x0
	v_pk_mul_f32 v[82:83], v[44:45], v[42:43] op_sel:[1,1] op_sel_hi:[0,1]
	s_delay_alu instid0(VALU_DEP_1) | instskip(SKIP_1) | instid1(VALU_DEP_2)
	v_pk_fma_f32 v[84:85], v[44:45], v[42:43], v[82:83] op_sel_hi:[1,0,1]
	v_pk_fma_f32 v[42:43], v[44:45], v[42:43], v[82:83] neg_lo:[0,0,1] neg_hi:[0,0,1]
	v_mov_b32_e32 v43, v85
	s_delay_alu instid0(VALU_DEP_1)
	v_pk_add_f32 v[40:41], v[40:41], v[42:43] neg_lo:[0,1] neg_hi:[0,1]
.LBB157_398:                            ;   in Loop: Header=BB157_3 Depth=1
	s_or_b32 exec_lo, exec_lo, s1
	s_barrier_signal -1
	s_barrier_wait -1
	s_and_saveexec_b32 s1, s62
; %bb.399:                              ;   in Loop: Header=BB157_3 Depth=1
	v_pk_add_f32 v[42:43], v[40:41], 0 neg_lo:[1,1] neg_hi:[1,1]
	ds_store_b64 v54, v[42:43]
; %bb.400:                              ;   in Loop: Header=BB157_3 Depth=1
	s_or_b32 exec_lo, exec_lo, s1
	s_wait_dscnt 0x0
	s_barrier_signal -1
	s_barrier_wait -1
	s_and_saveexec_b32 s1, s63
	s_cbranch_execz .LBB157_402
; %bb.401:                              ;   in Loop: Header=BB157_3 Depth=1
	ds_load_b64 v[42:43], v7 offset:17152
	ds_load_b64 v[44:45], v54
	s_wait_dscnt 0x0
	v_pk_mul_f32 v[82:83], v[44:45], v[42:43] op_sel:[1,1] op_sel_hi:[0,1]
	s_delay_alu instid0(VALU_DEP_1) | instskip(SKIP_1) | instid1(VALU_DEP_2)
	v_pk_fma_f32 v[84:85], v[44:45], v[42:43], v[82:83] op_sel_hi:[1,0,1]
	v_pk_fma_f32 v[42:43], v[44:45], v[42:43], v[82:83] neg_lo:[0,0,1] neg_hi:[0,0,1]
	v_mov_b32_e32 v43, v85
	s_delay_alu instid0(VALU_DEP_1)
	v_pk_add_f32 v[40:41], v[40:41], v[42:43] neg_lo:[0,1] neg_hi:[0,1]
.LBB157_402:                            ;   in Loop: Header=BB157_3 Depth=1
	s_or_b32 exec_lo, exec_lo, s1
	s_barrier_signal -1
	s_barrier_wait -1
	s_and_saveexec_b32 s1, s63
; %bb.403:                              ;   in Loop: Header=BB157_3 Depth=1
	v_pk_add_f32 v[42:43], v[40:41], 0 neg_lo:[1,1] neg_hi:[1,1]
	ds_store_b64 v54, v[42:43]
; %bb.404:                              ;   in Loop: Header=BB157_3 Depth=1
	s_or_b32 exec_lo, exec_lo, s1
	s_wait_dscnt 0x0
	s_barrier_signal -1
	s_barrier_wait -1
	s_barrier_signal -1
	s_barrier_wait -1
	s_and_saveexec_b32 s1, s5
; %bb.405:                              ;   in Loop: Header=BB157_3 Depth=1
	ds_store_b64 v57, v[40:41] offset:24320
; %bb.406:                              ;   in Loop: Header=BB157_3 Depth=1
	s_or_b32 exec_lo, exec_lo, s1
	s_wait_dscnt 0x0
	s_barrier_signal -1
	s_barrier_wait -1
	s_barrier_signal -1
	s_barrier_wait -1
	s_and_saveexec_b32 s1, s11
; %bb.407:                              ;   in Loop: Header=BB157_3 Depth=1
	v_add_nc_u32_e64 v3, 0x4800, 0
	ds_store_2addr_b64 v3, v[34:35], v[34:35] offset0:166 offset1:231
; %bb.408:                              ;   in Loop: Header=BB157_3 Depth=1
	s_or_b32 exec_lo, exec_lo, s1
	v_dual_mov_b32 v40, 0 :: v_dual_mov_b32 v41, 0
	s_wait_dscnt 0x0
	s_barrier_signal -1
	s_barrier_wait -1
	global_wb scope:SCOPE_DEV
	s_wait_storecnt 0x0
	global_inv scope:SCOPE_DEV
	s_and_saveexec_b32 s1, s3
	s_cbranch_execz .LBB157_412
; %bb.409:                              ;   in Loop: Header=BB157_3 Depth=1
	ds_load_b64 v[40:41], v46 offset:19744
	ds_load_b64 v[42:43], v47 offset:20272
	s_wait_dscnt 0x0
	v_pk_mul_f32 v[44:45], v[42:43], v[40:41] op_sel:[1,1] op_sel_hi:[0,1]
	s_delay_alu instid0(VALU_DEP_1) | instskip(SKIP_1) | instid1(VALU_DEP_2)
	v_pk_fma_f32 v[82:83], v[42:43], v[40:41], v[44:45] op_sel_hi:[1,0,1]
	v_pk_fma_f32 v[40:41], v[42:43], v[40:41], v[44:45] neg_lo:[0,0,1] neg_hi:[0,0,1]
	v_mov_b32_e32 v41, v83
	s_delay_alu instid0(VALU_DEP_1)
	v_pk_add_f32 v[40:41], v[40:41], 0 op_sel_hi:[1,0]
	s_and_saveexec_b32 s8, s12
	s_cbranch_execz .LBB157_411
; %bb.410:                              ;   in Loop: Header=BB157_3 Depth=1
	ds_load_b64 v[42:43], v48 offset:20256
	ds_load_b64 v[44:45], v7 offset:20280
	s_wait_dscnt 0x0
	v_pk_mul_f32 v[82:83], v[44:45], v[42:43] op_sel:[1,1] op_sel_hi:[0,1]
	s_delay_alu instid0(VALU_DEP_1) | instskip(SKIP_1) | instid1(VALU_DEP_2)
	v_pk_fma_f32 v[84:85], v[44:45], v[42:43], v[82:83] op_sel_hi:[1,0,1]
	v_pk_fma_f32 v[42:43], v[44:45], v[42:43], v[82:83] neg_lo:[0,0,1] neg_hi:[0,0,1]
	v_mov_b32_e32 v43, v85
	s_delay_alu instid0(VALU_DEP_1)
	v_pk_add_f32 v[40:41], v[40:41], v[42:43]
.LBB157_411:                            ;   in Loop: Header=BB157_3 Depth=1
	s_or_b32 exec_lo, exec_lo, s8
.LBB157_412:                            ;   in Loop: Header=BB157_3 Depth=1
	s_delay_alu instid0(SALU_CYCLE_1)
	s_or_b32 exec_lo, exec_lo, s1
	s_and_saveexec_b32 s1, vcc_hi
; %bb.413:                              ;   in Loop: Header=BB157_3 Depth=1
	s_delay_alu instid0(VALU_DEP_1)
	v_pk_add_f32 v[42:43], v[40:41], 0 neg_lo:[1,1] neg_hi:[1,1]
	ds_store_b64 v5, v[42:43]
; %bb.414:                              ;   in Loop: Header=BB157_3 Depth=1
	s_or_b32 exec_lo, exec_lo, s1
	s_wait_loadcnt_dscnt 0x0
	s_barrier_signal -1
	s_barrier_wait -1
	s_and_saveexec_b32 s1, s43
	s_cbranch_execz .LBB157_416
; %bb.415:                              ;   in Loop: Header=BB157_3 Depth=1
	ds_load_b64 v[42:43], v7 offset:19232
	ds_load_b64 v[44:45], v5
	s_wait_dscnt 0x0
	v_pk_mul_f32 v[82:83], v[44:45], v[42:43] op_sel_hi:[1,0]
	s_delay_alu instid0(VALU_DEP_1) | instskip(SKIP_1) | instid1(VALU_DEP_2)
	v_pk_fma_f32 v[84:85], v[44:45], v[42:43], v[82:83] op_sel:[1,1,0] op_sel_hi:[0,1,1]
	v_pk_fma_f32 v[42:43], v[44:45], v[42:43], v[82:83] op_sel:[1,1,0] op_sel_hi:[0,1,1] neg_lo:[0,0,1] neg_hi:[0,0,1]
	v_pk_add_f32 v[44:45], v[40:41], v[84:85] neg_lo:[0,1] neg_hi:[0,1]
	s_delay_alu instid0(VALU_DEP_2) | instskip(NEXT) | instid1(VALU_DEP_2)
	v_pk_add_f32 v[40:41], v[40:41], v[42:43]
	v_mov_b32_e32 v41, v45
.LBB157_416:                            ;   in Loop: Header=BB157_3 Depth=1
	s_or_b32 exec_lo, exec_lo, s1
	s_barrier_signal -1
	s_barrier_wait -1
	s_and_saveexec_b32 s1, s43
; %bb.417:                              ;   in Loop: Header=BB157_3 Depth=1
	v_pk_add_f32 v[42:43], v[40:41], 0 neg_lo:[1,1] neg_hi:[1,1]
	ds_store_b64 v5, v[42:43]
; %bb.418:                              ;   in Loop: Header=BB157_3 Depth=1
	s_or_b32 exec_lo, exec_lo, s1
	s_wait_dscnt 0x0
	s_barrier_signal -1
	s_barrier_wait -1
	s_barrier_signal -1
	s_barrier_wait -1
	s_and_saveexec_b32 s1, s3
; %bb.419:                              ;   in Loop: Header=BB157_3 Depth=1
	ds_store_b64 v49, v[40:41] offset:20256
; %bb.420:                              ;   in Loop: Header=BB157_3 Depth=1
	s_or_b32 exec_lo, exec_lo, s1
	s_wait_dscnt 0x0
	s_barrier_signal -1
	s_barrier_wait -1
	s_barrier_signal -1
	s_barrier_wait -1
	s_and_saveexec_b32 s1, s11
; %bb.421:                              ;   in Loop: Header=BB157_3 Depth=1
	v_add_nc_u32_e64 v3, 0x4800, 0
	ds_store_2addr_b64 v3, v[34:35], v[34:35] offset0:36 offset1:101
; %bb.422:                              ;   in Loop: Header=BB157_3 Depth=1
	s_or_b32 exec_lo, exec_lo, s1
	v_mov_b64_e32 v[40:41], 0
	s_wait_dscnt 0x0
	s_barrier_signal -1
	s_barrier_wait -1
	global_wb scope:SCOPE_DEV
	s_wait_storecnt 0x0
	global_inv scope:SCOPE_DEV
	s_and_saveexec_b32 s1, s4
	s_cbranch_execz .LBB157_428
; %bb.423:                              ;   in Loop: Header=BB157_3 Depth=1
	ds_load_b64 v[40:41], v51 offset:18688
	ds_load_b64 v[42:43], v52 offset:20256
	s_wait_dscnt 0x0
	v_dual_mul_f32 v3, v43, v41 :: v_dual_mul_f32 v41, v42, v41
	s_delay_alu instid0(VALU_DEP_1) | instskip(NEXT) | instid1(VALU_DEP_1)
	v_dual_fma_f32 v3, v42, v40, -v3 :: v_dual_fmac_f32 v41, v43, v40
	v_dual_add_f32 v40, 0, v3 :: v_dual_add_f32 v41, 0, v41
	s_and_saveexec_b32 s8, s13
	s_cbranch_execnz .LBB157_1022
; %bb.424:                              ;   in Loop: Header=BB157_3 Depth=1
	s_or_b32 exec_lo, exec_lo, s8
	s_and_saveexec_b32 s8, s14
	s_cbranch_execnz .LBB157_1023
.LBB157_425:                            ;   in Loop: Header=BB157_3 Depth=1
	s_or_b32 exec_lo, exec_lo, s8
	s_and_saveexec_b32 s8, s3
	s_cbranch_execz .LBB157_427
.LBB157_426:                            ;   in Loop: Header=BB157_3 Depth=1
	ds_load_b64 v[42:43], v48 offset:20224
	ds_load_b64 v[44:45], v7 offset:20280
	s_wait_dscnt 0x0
	v_pk_mul_f32 v[82:83], v[44:45], v[42:43] op_sel:[1,1] op_sel_hi:[0,1]
	s_delay_alu instid0(VALU_DEP_1) | instskip(SKIP_1) | instid1(VALU_DEP_2)
	v_pk_fma_f32 v[84:85], v[44:45], v[42:43], v[82:83] op_sel_hi:[1,0,1]
	v_pk_fma_f32 v[42:43], v[44:45], v[42:43], v[82:83] neg_lo:[0,0,1] neg_hi:[0,0,1]
	v_mov_b32_e32 v43, v85
	s_delay_alu instid0(VALU_DEP_1)
	v_pk_add_f32 v[40:41], v[40:41], v[42:43]
.LBB157_427:                            ;   in Loop: Header=BB157_3 Depth=1
	s_or_b32 exec_lo, exec_lo, s8
.LBB157_428:                            ;   in Loop: Header=BB157_3 Depth=1
	s_delay_alu instid0(SALU_CYCLE_1)
	s_or_b32 exec_lo, exec_lo, s1
	s_and_saveexec_b32 s1, s44
; %bb.429:                              ;   in Loop: Header=BB157_3 Depth=1
	s_delay_alu instid0(VALU_DEP_1)
	v_pk_add_f32 v[42:43], v[40:41], 0 neg_lo:[1,1] neg_hi:[1,1]
	ds_store_b64 v50, v[42:43]
; %bb.430:                              ;   in Loop: Header=BB157_3 Depth=1
	s_or_b32 exec_lo, exec_lo, s1
	s_wait_loadcnt_dscnt 0x0
	s_barrier_signal -1
	s_barrier_wait -1
	s_and_saveexec_b32 s1, s45
	s_cbranch_execz .LBB157_432
; %bb.431:                              ;   in Loop: Header=BB157_3 Depth=1
	ds_load_b64 v[42:43], v51 offset:18176
	ds_load_b64 v[44:45], v50
	s_wait_dscnt 0x0
	v_pk_mul_f32 v[82:83], v[44:45], v[42:43] op_sel:[1,1] op_sel_hi:[0,1]
	s_delay_alu instid0(VALU_DEP_1) | instskip(SKIP_1) | instid1(VALU_DEP_2)
	v_pk_fma_f32 v[84:85], v[44:45], v[42:43], v[82:83] op_sel_hi:[1,0,1]
	v_pk_fma_f32 v[42:43], v[44:45], v[42:43], v[82:83] neg_lo:[0,0,1] neg_hi:[0,0,1]
	v_mov_b32_e32 v43, v85
	s_delay_alu instid0(VALU_DEP_1)
	v_pk_add_f32 v[40:41], v[40:41], v[42:43] neg_lo:[0,1] neg_hi:[0,1]
.LBB157_432:                            ;   in Loop: Header=BB157_3 Depth=1
	s_or_b32 exec_lo, exec_lo, s1
	s_barrier_signal -1
	s_barrier_wait -1
	s_and_saveexec_b32 s1, s46
; %bb.433:                              ;   in Loop: Header=BB157_3 Depth=1
	v_pk_add_f32 v[42:43], v[40:41], 0 neg_lo:[1,1] neg_hi:[1,1]
	ds_store_b64 v50, v[42:43]
; %bb.434:                              ;   in Loop: Header=BB157_3 Depth=1
	s_or_b32 exec_lo, exec_lo, s1
	s_wait_dscnt 0x0
	s_barrier_signal -1
	s_barrier_wait -1
	s_and_saveexec_b32 s1, s47
	s_cbranch_execz .LBB157_436
; %bb.435:                              ;   in Loop: Header=BB157_3 Depth=1
	ds_load_b64 v[42:43], v51 offset:17664
	ds_load_b64 v[44:45], v50
	s_wait_dscnt 0x0
	v_pk_mul_f32 v[82:83], v[44:45], v[42:43] op_sel:[1,1] op_sel_hi:[0,1]
	s_delay_alu instid0(VALU_DEP_1) | instskip(SKIP_1) | instid1(VALU_DEP_2)
	v_pk_fma_f32 v[84:85], v[44:45], v[42:43], v[82:83] op_sel_hi:[1,0,1]
	v_pk_fma_f32 v[42:43], v[44:45], v[42:43], v[82:83] neg_lo:[0,0,1] neg_hi:[0,0,1]
	v_mov_b32_e32 v43, v85
	s_delay_alu instid0(VALU_DEP_1)
	v_pk_add_f32 v[40:41], v[40:41], v[42:43] neg_lo:[0,1] neg_hi:[0,1]
.LBB157_436:                            ;   in Loop: Header=BB157_3 Depth=1
	s_or_b32 exec_lo, exec_lo, s1
	s_barrier_signal -1
	s_barrier_wait -1
	s_and_saveexec_b32 s1, s48
; %bb.437:                              ;   in Loop: Header=BB157_3 Depth=1
	v_pk_add_f32 v[42:43], v[40:41], 0 neg_lo:[1,1] neg_hi:[1,1]
	ds_store_b64 v50, v[42:43]
; %bb.438:                              ;   in Loop: Header=BB157_3 Depth=1
	s_or_b32 exec_lo, exec_lo, s1
	s_wait_dscnt 0x0
	;; [unrolled: 26-line block ×3, first 2 shown]
	s_barrier_signal -1
	s_barrier_wait -1
	s_barrier_signal -1
	s_barrier_wait -1
	s_and_saveexec_b32 s1, s4
; %bb.443:                              ;   in Loop: Header=BB157_3 Depth=1
	ds_store_b64 v53, v[40:41] offset:20224
; %bb.444:                              ;   in Loop: Header=BB157_3 Depth=1
	s_or_b32 exec_lo, exec_lo, s1
	s_wait_dscnt 0x0
	s_barrier_signal -1
	s_barrier_wait -1
	s_barrier_signal -1
	s_barrier_wait -1
	s_and_saveexec_b32 s1, s11
; %bb.445:                              ;   in Loop: Header=BB157_3 Depth=1
	v_add_nc_u32_e64 v3, 0x4000, 0
	ds_store_2addr_b64 v3, v[34:35], v[34:35] offset0:162 offset1:227
; %bb.446:                              ;   in Loop: Header=BB157_3 Depth=1
	s_or_b32 exec_lo, exec_lo, s1
	v_dual_mov_b32 v40, 0 :: v_dual_mov_b32 v41, 0
	s_wait_dscnt 0x0
	s_barrier_signal -1
	s_barrier_wait -1
	global_wb scope:SCOPE_DEV
	s_wait_storecnt 0x0
	global_inv scope:SCOPE_DEV
	s_and_saveexec_b32 s1, s3
	s_cbranch_execz .LBB157_450
; %bb.447:                              ;   in Loop: Header=BB157_3 Depth=1
	ds_load_b64 v[40:41], v46 offset:17664
	ds_load_b64 v[42:43], v47 offset:18192
	s_wait_dscnt 0x0
	v_pk_mul_f32 v[44:45], v[42:43], v[40:41] op_sel:[1,1] op_sel_hi:[0,1]
	s_delay_alu instid0(VALU_DEP_1) | instskip(SKIP_1) | instid1(VALU_DEP_2)
	v_pk_fma_f32 v[82:83], v[42:43], v[40:41], v[44:45] op_sel_hi:[1,0,1]
	v_pk_fma_f32 v[40:41], v[42:43], v[40:41], v[44:45] neg_lo:[0,0,1] neg_hi:[0,0,1]
	v_mov_b32_e32 v41, v83
	s_delay_alu instid0(VALU_DEP_1)
	v_pk_add_f32 v[40:41], v[40:41], 0 op_sel_hi:[1,0]
	s_and_saveexec_b32 s8, s12
	s_cbranch_execz .LBB157_449
; %bb.448:                              ;   in Loop: Header=BB157_3 Depth=1
	ds_load_b64 v[42:43], v48 offset:18176
	ds_load_b64 v[44:45], v7 offset:18200
	s_wait_dscnt 0x0
	v_pk_mul_f32 v[82:83], v[44:45], v[42:43] op_sel:[1,1] op_sel_hi:[0,1]
	s_delay_alu instid0(VALU_DEP_1) | instskip(SKIP_1) | instid1(VALU_DEP_2)
	v_pk_fma_f32 v[84:85], v[44:45], v[42:43], v[82:83] op_sel_hi:[1,0,1]
	v_pk_fma_f32 v[42:43], v[44:45], v[42:43], v[82:83] neg_lo:[0,0,1] neg_hi:[0,0,1]
	v_mov_b32_e32 v43, v85
	s_delay_alu instid0(VALU_DEP_1)
	v_pk_add_f32 v[40:41], v[40:41], v[42:43]
.LBB157_449:                            ;   in Loop: Header=BB157_3 Depth=1
	s_or_b32 exec_lo, exec_lo, s8
.LBB157_450:                            ;   in Loop: Header=BB157_3 Depth=1
	s_delay_alu instid0(SALU_CYCLE_1)
	s_or_b32 exec_lo, exec_lo, s1
	s_and_saveexec_b32 s1, vcc_hi
; %bb.451:                              ;   in Loop: Header=BB157_3 Depth=1
	s_delay_alu instid0(VALU_DEP_1)
	v_pk_add_f32 v[42:43], v[40:41], 0 neg_lo:[1,1] neg_hi:[1,1]
	ds_store_b64 v5, v[42:43]
; %bb.452:                              ;   in Loop: Header=BB157_3 Depth=1
	s_or_b32 exec_lo, exec_lo, s1
	s_wait_loadcnt_dscnt 0x0
	s_barrier_signal -1
	s_barrier_wait -1
	s_and_saveexec_b32 s1, s43
	s_cbranch_execz .LBB157_454
; %bb.453:                              ;   in Loop: Header=BB157_3 Depth=1
	ds_load_b64 v[42:43], v7 offset:17152
	ds_load_b64 v[44:45], v5
	s_wait_dscnt 0x0
	v_pk_mul_f32 v[82:83], v[44:45], v[42:43] op_sel_hi:[1,0]
	s_delay_alu instid0(VALU_DEP_1) | instskip(SKIP_1) | instid1(VALU_DEP_2)
	v_pk_fma_f32 v[84:85], v[44:45], v[42:43], v[82:83] op_sel:[1,1,0] op_sel_hi:[0,1,1]
	v_pk_fma_f32 v[42:43], v[44:45], v[42:43], v[82:83] op_sel:[1,1,0] op_sel_hi:[0,1,1] neg_lo:[0,0,1] neg_hi:[0,0,1]
	v_pk_add_f32 v[44:45], v[40:41], v[84:85] neg_lo:[0,1] neg_hi:[0,1]
	s_delay_alu instid0(VALU_DEP_2) | instskip(NEXT) | instid1(VALU_DEP_2)
	v_pk_add_f32 v[40:41], v[40:41], v[42:43]
	v_mov_b32_e32 v41, v45
.LBB157_454:                            ;   in Loop: Header=BB157_3 Depth=1
	s_or_b32 exec_lo, exec_lo, s1
	s_barrier_signal -1
	s_barrier_wait -1
	s_and_saveexec_b32 s1, s43
; %bb.455:                              ;   in Loop: Header=BB157_3 Depth=1
	v_pk_add_f32 v[42:43], v[40:41], 0 neg_lo:[1,1] neg_hi:[1,1]
	ds_store_b64 v5, v[42:43]
; %bb.456:                              ;   in Loop: Header=BB157_3 Depth=1
	s_or_b32 exec_lo, exec_lo, s1
	s_wait_dscnt 0x0
	s_barrier_signal -1
	s_barrier_wait -1
	s_barrier_signal -1
	s_barrier_wait -1
	s_and_saveexec_b32 s1, s3
; %bb.457:                              ;   in Loop: Header=BB157_3 Depth=1
	ds_store_b64 v49, v[40:41] offset:18176
; %bb.458:                              ;   in Loop: Header=BB157_3 Depth=1
	s_or_b32 exec_lo, exec_lo, s1
	s_wait_dscnt 0x0
	s_barrier_signal -1
	s_barrier_wait -1
	s_barrier_signal -1
	s_barrier_wait -1
	s_and_saveexec_b32 s1, s11
; %bb.459:                              ;   in Loop: Header=BB157_3 Depth=1
	v_add_nc_u32_e64 v3, 0x4000, 0
	ds_store_2addr_b64 v3, v[34:35], v[34:35] offset0:32 offset1:97
; %bb.460:                              ;   in Loop: Header=BB157_3 Depth=1
	s_or_b32 exec_lo, exec_lo, s1
	v_mov_b64_e32 v[40:41], 0
	s_wait_dscnt 0x0
	s_barrier_signal -1
	s_barrier_wait -1
	global_wb scope:SCOPE_DEV
	s_wait_storecnt 0x0
	global_inv scope:SCOPE_DEV
	s_and_saveexec_b32 s66, s33
	s_cbranch_execz .LBB157_522
; %bb.461:                              ;   in Loop: Header=BB157_3 Depth=1
	ds_load_b64 v[40:41], v64 offset:16384
	ds_load_b64 v[42:43], v65 offset:32512
	s_wait_dscnt 0x0
	v_dual_mul_f32 v3, v43, v41 :: v_dual_mul_f32 v41, v42, v41
	s_delay_alu instid0(VALU_DEP_1) | instskip(NEXT) | instid1(VALU_DEP_1)
	v_dual_fma_f32 v3, v42, v40, -v3 :: v_dual_fmac_f32 v41, v43, v40
	v_dual_add_f32 v40, 0, v3 :: v_dual_add_f32 v41, 0, v41
	s_mov_b32 s1, exec_lo
	v_readlane_b32 s8, v91, 14
	s_and_b32 s8, s1, s8
	s_delay_alu instid0(SALU_CYCLE_1)
	s_mov_b32 exec_lo, s8
	s_cbranch_execz .LBB157_463
; %bb.462:                              ;   in Loop: Header=BB157_3 Depth=1
	ds_load_b64 v[42:43], v64 offset:16896
	ds_load_b64 v[44:45], v65 offset:32520
	s_wait_dscnt 0x0
	v_dual_mul_f32 v3, v45, v43 :: v_dual_mul_f32 v43, v44, v43
	s_delay_alu instid0(VALU_DEP_1) | instskip(NEXT) | instid1(VALU_DEP_1)
	v_fmac_f32_e32 v43, v45, v42
	v_dual_fma_f32 v3, v44, v42, -v3 :: v_dual_add_f32 v41, v41, v43
	s_delay_alu instid0(VALU_DEP_1)
	v_add_f32_e32 v40, v40, v3
.LBB157_463:                            ;   in Loop: Header=BB157_3 Depth=1
	s_or_b32 exec_lo, exec_lo, s1
	s_delay_alu instid0(SALU_CYCLE_1) | instskip(SKIP_2) | instid1(SALU_CYCLE_1)
	s_mov_b32 s1, exec_lo
	v_readlane_b32 s8, v91, 15
	s_and_b32 s8, s1, s8
	s_mov_b32 exec_lo, s8
	s_cbranch_execz .LBB157_465
; %bb.464:                              ;   in Loop: Header=BB157_3 Depth=1
	ds_load_b64 v[42:43], v64 offset:17408
	ds_load_b64 v[44:45], v65 offset:32528
	s_wait_dscnt 0x0
	v_dual_mul_f32 v3, v45, v43 :: v_dual_mul_f32 v43, v44, v43
	s_delay_alu instid0(VALU_DEP_1) | instskip(NEXT) | instid1(VALU_DEP_1)
	v_fmac_f32_e32 v43, v45, v42
	v_dual_fma_f32 v3, v44, v42, -v3 :: v_dual_add_f32 v41, v41, v43
	s_delay_alu instid0(VALU_DEP_1)
	v_add_f32_e32 v40, v40, v3
.LBB157_465:                            ;   in Loop: Header=BB157_3 Depth=1
	s_or_b32 exec_lo, exec_lo, s1
	s_delay_alu instid0(SALU_CYCLE_1) | instskip(SKIP_2) | instid1(SALU_CYCLE_1)
	s_mov_b32 s1, exec_lo
	v_readlane_b32 s8, v91, 16
	s_and_b32 s8, s1, s8
	;; [unrolled: 18-line block ×22, first 2 shown]
	s_mov_b32 exec_lo, s8
	s_cbranch_execz .LBB157_507
; %bb.506:                              ;   in Loop: Header=BB157_3 Depth=1
	ds_load_b64 v[42:43], v64 offset:28160
	ds_load_b64 v[44:45], v65 offset:32696
	s_wait_dscnt 0x0
	v_dual_mul_f32 v3, v45, v43 :: v_dual_mul_f32 v43, v44, v43
	s_delay_alu instid0(VALU_DEP_1) | instskip(NEXT) | instid1(VALU_DEP_1)
	v_fmac_f32_e32 v43, v45, v42
	v_dual_fma_f32 v3, v44, v42, -v3 :: v_dual_add_f32 v41, v41, v43
	s_delay_alu instid0(VALU_DEP_1)
	v_add_f32_e32 v40, v40, v3
.LBB157_507:                            ;   in Loop: Header=BB157_3 Depth=1
	s_or_b32 exec_lo, exec_lo, s1
	s_and_saveexec_b32 s1, s6
	s_cbranch_execz .LBB157_509
; %bb.508:                              ;   in Loop: Header=BB157_3 Depth=1
	ds_load_b64 v[42:43], v64 offset:28672
	ds_load_b64 v[44:45], v65 offset:32704
	s_wait_dscnt 0x0
	v_dual_mul_f32 v3, v45, v43 :: v_dual_mul_f32 v43, v44, v43
	s_delay_alu instid0(VALU_DEP_1) | instskip(NEXT) | instid1(VALU_DEP_1)
	v_fmac_f32_e32 v43, v45, v42
	v_dual_fma_f32 v3, v44, v42, -v3 :: v_dual_add_f32 v41, v41, v43
	s_delay_alu instid0(VALU_DEP_1)
	v_add_f32_e32 v40, v40, v3
.LBB157_509:                            ;   in Loop: Header=BB157_3 Depth=1
	s_or_b32 exec_lo, exec_lo, s1
	s_delay_alu instid0(SALU_CYCLE_1) | instskip(SKIP_2) | instid1(SALU_CYCLE_1)
	s_mov_b32 s1, exec_lo
	v_readlane_b32 s8, v92, 28
	s_and_b32 s8, s1, s8
	s_mov_b32 exec_lo, s8
	s_cbranch_execz .LBB157_511
; %bb.510:                              ;   in Loop: Header=BB157_3 Depth=1
	ds_load_b64 v[42:43], v64 offset:29184
	ds_load_b64 v[44:45], v65 offset:32712
	s_wait_dscnt 0x0
	v_dual_mul_f32 v3, v45, v43 :: v_dual_mul_f32 v43, v44, v43
	s_delay_alu instid0(VALU_DEP_1) | instskip(NEXT) | instid1(VALU_DEP_1)
	v_fmac_f32_e32 v43, v45, v42
	v_dual_fma_f32 v3, v44, v42, -v3 :: v_dual_add_f32 v41, v41, v43
	s_delay_alu instid0(VALU_DEP_1)
	v_add_f32_e32 v40, v40, v3
.LBB157_511:                            ;   in Loop: Header=BB157_3 Depth=1
	s_or_b32 exec_lo, exec_lo, s1
	s_delay_alu instid0(SALU_CYCLE_1) | instskip(SKIP_2) | instid1(SALU_CYCLE_1)
	s_mov_b32 s1, exec_lo
	v_readlane_b32 s8, v92, 30
	s_and_b32 s8, s1, s8
	s_mov_b32 exec_lo, s8
	;; [unrolled: 18-line block ×4, first 2 shown]
	s_cbranch_execz .LBB157_517
; %bb.516:                              ;   in Loop: Header=BB157_3 Depth=1
	ds_load_b64 v[42:43], v64 offset:30720
	ds_load_b64 v[44:45], v65 offset:32736
	s_wait_dscnt 0x0
	v_dual_mul_f32 v3, v45, v43 :: v_dual_mul_f32 v83, v44, v43
	s_delay_alu instid0(VALU_DEP_1) | instskip(NEXT) | instid1(VALU_DEP_2)
	v_fma_f32 v82, v44, v42, -v3
	v_fmac_f32_e32 v83, v45, v42
	s_delay_alu instid0(VALU_DEP_1)
	v_pk_add_f32 v[40:41], v[40:41], v[82:83]
.LBB157_517:                            ;   in Loop: Header=BB157_3 Depth=1
	s_or_b32 exec_lo, exec_lo, s1
	s_delay_alu instid0(SALU_CYCLE_1) | instskip(SKIP_2) | instid1(SALU_CYCLE_1)
	s_mov_b32 s1, exec_lo
	v_readlane_b32 s8, v91, 5
	s_and_b32 s8, s1, s8
	s_mov_b32 exec_lo, s8
	s_cbranch_execnz .LBB157_1024
; %bb.518:                              ;   in Loop: Header=BB157_3 Depth=1
	s_or_b32 exec_lo, exec_lo, s1
	s_and_saveexec_b32 s1, s5
	s_cbranch_execnz .LBB157_1025
.LBB157_519:                            ;   in Loop: Header=BB157_3 Depth=1
	s_or_b32 exec_lo, exec_lo, s1
	s_and_saveexec_b32 s1, s18
	s_delay_alu instid0(SALU_CYCLE_1)
	s_xor_b32 s1, exec_lo, s1
	s_cbranch_execz .LBB157_521
.LBB157_520:                            ;   in Loop: Header=BB157_3 Depth=1
	ds_load_b64 v[42:43], v64 offset:32256
	ds_load_b64 v[44:45], v65 offset:32760
	s_wait_dscnt 0x0
	v_pk_mul_f32 v[82:83], v[44:45], v[42:43] op_sel:[1,1] op_sel_hi:[0,1]
	s_delay_alu instid0(VALU_DEP_1) | instskip(SKIP_1) | instid1(VALU_DEP_2)
	v_pk_fma_f32 v[84:85], v[44:45], v[42:43], v[82:83] op_sel_hi:[1,0,1]
	v_pk_fma_f32 v[42:43], v[44:45], v[42:43], v[82:83] neg_lo:[0,0,1] neg_hi:[0,0,1]
	v_mov_b32_e32 v43, v85
	s_delay_alu instid0(VALU_DEP_1)
	v_pk_add_f32 v[40:41], v[40:41], v[42:43]
.LBB157_521:                            ;   in Loop: Header=BB157_3 Depth=1
	s_or_b32 exec_lo, exec_lo, s1
.LBB157_522:                            ;   in Loop: Header=BB157_3 Depth=1
	s_delay_alu instid0(SALU_CYCLE_1)
	s_or_b32 exec_lo, exec_lo, s66
	v_dual_mov_b32 v3, v77 :: v_dual_mov_b32 v42, v76
	s_mov_b32 s1, 31
	s_branch .LBB157_524
.LBB157_523:                            ;   in Loop: Header=BB157_524 Depth=2
	s_or_b32 exec_lo, exec_lo, s9
	v_add_nc_u32_e32 v42, 0xfffff800, v42
	v_add_nc_u32_e32 v3, 4, v3
	s_add_co_i32 s1, s1, -4
	s_cmp_eq_u32 s8, 0
	s_barrier_signal -1
	s_barrier_wait -1
	s_cbranch_scc1 .LBB157_540
.LBB157_524:                            ;   Parent Loop BB157_3 Depth=1
                                        ; =>  This Inner Loop Header: Depth=2
	s_delay_alu instid0(VALU_DEP_1) | instskip(SKIP_1) | instid1(SALU_CYCLE_1)
	v_cmp_eq_u32_e32 vcc_lo, 0, v3
	s_and_b32 s9, s0, vcc_lo
	s_and_saveexec_b32 s8, s9
; %bb.525:                              ;   in Loop: Header=BB157_524 Depth=2
	v_pk_add_f32 v[44:45], v[40:41], 0 neg_lo:[1,1] neg_hi:[1,1]
	ds_store_b64 v63, v[44:45]
; %bb.526:                              ;   in Loop: Header=BB157_524 Depth=2
	s_or_b32 exec_lo, exec_lo, s8
	v_cmp_gt_u32_e32 vcc_lo, s1, v62
	s_wait_loadcnt_dscnt 0x0
	s_barrier_signal -1
	s_barrier_wait -1
	s_and_b32 s9, s0, vcc_lo
	s_delay_alu instid0(SALU_CYCLE_1)
	s_and_saveexec_b32 s8, s9
	s_cbranch_execz .LBB157_528
; %bb.527:                              ;   in Loop: Header=BB157_524 Depth=2
	ds_load_b64 v[44:45], v42 offset:1536
	ds_load_b64 v[82:83], v63
	s_wait_dscnt 0x0
	v_pk_mul_f32 v[84:85], v[82:83], v[44:45] op_sel:[1,1] op_sel_hi:[0,1]
	s_delay_alu instid0(VALU_DEP_1) | instskip(SKIP_1) | instid1(VALU_DEP_2)
	v_pk_fma_f32 v[86:87], v[82:83], v[44:45], v[84:85] op_sel_hi:[1,0,1]
	v_pk_fma_f32 v[44:45], v[82:83], v[44:45], v[84:85] neg_lo:[0,0,1] neg_hi:[0,0,1]
	v_mov_b32_e32 v45, v87
	s_delay_alu instid0(VALU_DEP_1)
	v_pk_add_f32 v[40:41], v[40:41], v[44:45] neg_lo:[0,1] neg_hi:[0,1]
.LBB157_528:                            ;   in Loop: Header=BB157_524 Depth=2
	s_or_b32 exec_lo, exec_lo, s8
	s_add_co_i32 s8, s1, -1
	s_delay_alu instid0(SALU_CYCLE_1) | instskip(SKIP_3) | instid1(SALU_CYCLE_1)
	v_cmp_eq_u32_e32 vcc_lo, s8, v62
	s_barrier_signal -1
	s_barrier_wait -1
	s_and_b32 s66, s0, vcc_lo
	s_and_saveexec_b32 s9, s66
; %bb.529:                              ;   in Loop: Header=BB157_524 Depth=2
	v_pk_add_f32 v[44:45], v[40:41], 0 neg_lo:[1,1] neg_hi:[1,1]
	ds_store_b64 v63, v[44:45]
; %bb.530:                              ;   in Loop: Header=BB157_524 Depth=2
	s_or_b32 exec_lo, exec_lo, s9
	v_cmp_gt_u32_e32 vcc_lo, s8, v62
	s_wait_dscnt 0x0
	s_barrier_signal -1
	s_barrier_wait -1
	s_and_b32 s9, s0, vcc_lo
	s_delay_alu instid0(SALU_CYCLE_1)
	s_and_saveexec_b32 s8, s9
	s_cbranch_execz .LBB157_532
; %bb.531:                              ;   in Loop: Header=BB157_524 Depth=2
	ds_load_b64 v[44:45], v42 offset:1024
	ds_load_b64 v[82:83], v63
	s_wait_dscnt 0x0
	v_pk_mul_f32 v[84:85], v[82:83], v[44:45] op_sel:[1,1] op_sel_hi:[0,1]
	s_delay_alu instid0(VALU_DEP_1) | instskip(SKIP_1) | instid1(VALU_DEP_2)
	v_pk_fma_f32 v[86:87], v[82:83], v[44:45], v[84:85] op_sel_hi:[1,0,1]
	v_pk_fma_f32 v[44:45], v[82:83], v[44:45], v[84:85] neg_lo:[0,0,1] neg_hi:[0,0,1]
	v_mov_b32_e32 v45, v87
	s_delay_alu instid0(VALU_DEP_1)
	v_pk_add_f32 v[40:41], v[40:41], v[44:45] neg_lo:[0,1] neg_hi:[0,1]
.LBB157_532:                            ;   in Loop: Header=BB157_524 Depth=2
	s_or_b32 exec_lo, exec_lo, s8
	s_add_co_i32 s8, s1, -2
	s_delay_alu instid0(SALU_CYCLE_1) | instskip(SKIP_3) | instid1(SALU_CYCLE_1)
	v_cmp_eq_u32_e32 vcc_lo, s8, v62
	s_barrier_signal -1
	s_barrier_wait -1
	s_and_b32 s66, s0, vcc_lo
	s_and_saveexec_b32 s9, s66
; %bb.533:                              ;   in Loop: Header=BB157_524 Depth=2
	v_pk_add_f32 v[44:45], v[40:41], 0 neg_lo:[1,1] neg_hi:[1,1]
	ds_store_b64 v63, v[44:45]
; %bb.534:                              ;   in Loop: Header=BB157_524 Depth=2
	s_or_b32 exec_lo, exec_lo, s9
	v_cmp_gt_u32_e32 vcc_lo, s8, v62
	s_wait_dscnt 0x0
	;; [unrolled: 33-line block ×3, first 2 shown]
	s_barrier_signal -1
	s_barrier_wait -1
	s_and_b32 s66, s0, vcc_lo
	s_delay_alu instid0(SALU_CYCLE_1)
	s_and_saveexec_b32 s9, s66
	s_cbranch_execz .LBB157_523
; %bb.539:                              ;   in Loop: Header=BB157_524 Depth=2
	ds_load_b64 v[44:45], v42
	ds_load_b64 v[82:83], v63
	s_wait_dscnt 0x0
	v_pk_mul_f32 v[84:85], v[82:83], v[44:45] op_sel:[1,1] op_sel_hi:[0,1]
	s_delay_alu instid0(VALU_DEP_1) | instskip(SKIP_1) | instid1(VALU_DEP_2)
	v_pk_fma_f32 v[86:87], v[82:83], v[44:45], v[84:85] op_sel_hi:[1,0,1]
	v_pk_fma_f32 v[44:45], v[82:83], v[44:45], v[84:85] neg_lo:[0,0,1] neg_hi:[0,0,1]
	v_mov_b32_e32 v45, v87
	s_delay_alu instid0(VALU_DEP_1)
	v_pk_add_f32 v[40:41], v[40:41], v[44:45] neg_lo:[0,1] neg_hi:[0,1]
	s_branch .LBB157_523
.LBB157_540:                            ;   in Loop: Header=BB157_3 Depth=1
	s_and_saveexec_b32 s1, s33
; %bb.541:                              ;   in Loop: Header=BB157_3 Depth=1
	ds_store_b64 v66, v[40:41] offset:32256
; %bb.542:                              ;   in Loop: Header=BB157_3 Depth=1
	s_or_b32 exec_lo, exec_lo, s1
	s_wait_dscnt 0x0
	s_barrier_signal -1
	s_barrier_wait -1
	s_barrier_signal -1
	s_barrier_wait -1
	s_and_saveexec_b32 s1, s11
; %bb.543:                              ;   in Loop: Header=BB157_3 Depth=1
	v_add_nc_u32_e64 v3, 0x3800, 0
	ds_store_2addr_b64 v3, v[34:35], v[34:35] offset0:158 offset1:223
; %bb.544:                              ;   in Loop: Header=BB157_3 Depth=1
	s_or_b32 exec_lo, exec_lo, s1
	v_dual_mov_b32 v40, 0 :: v_dual_mov_b32 v41, 0
	s_wait_dscnt 0x0
	s_barrier_signal -1
	s_barrier_wait -1
	global_wb scope:SCOPE_DEV
	s_wait_storecnt 0x0
	global_inv scope:SCOPE_DEV
	s_and_saveexec_b32 s1, s3
	s_cbranch_execz .LBB157_548
; %bb.545:                              ;   in Loop: Header=BB157_3 Depth=1
	ds_load_b64 v[40:41], v46 offset:15584
	ds_load_b64 v[42:43], v47 offset:16112
	s_wait_dscnt 0x0
	v_pk_mul_f32 v[44:45], v[42:43], v[40:41] op_sel:[1,1] op_sel_hi:[0,1]
	s_delay_alu instid0(VALU_DEP_1) | instskip(SKIP_1) | instid1(VALU_DEP_2)
	v_pk_fma_f32 v[82:83], v[42:43], v[40:41], v[44:45] op_sel_hi:[1,0,1]
	v_pk_fma_f32 v[40:41], v[42:43], v[40:41], v[44:45] neg_lo:[0,0,1] neg_hi:[0,0,1]
	v_mov_b32_e32 v41, v83
	s_delay_alu instid0(VALU_DEP_1)
	v_pk_add_f32 v[40:41], v[40:41], 0 op_sel_hi:[1,0]
	s_and_saveexec_b32 s8, s12
	s_cbranch_execz .LBB157_547
; %bb.546:                              ;   in Loop: Header=BB157_3 Depth=1
	ds_load_b64 v[42:43], v48 offset:16096
	ds_load_b64 v[44:45], v7 offset:16120
	s_wait_dscnt 0x0
	v_pk_mul_f32 v[82:83], v[44:45], v[42:43] op_sel:[1,1] op_sel_hi:[0,1]
	s_delay_alu instid0(VALU_DEP_1) | instskip(SKIP_1) | instid1(VALU_DEP_2)
	v_pk_fma_f32 v[84:85], v[44:45], v[42:43], v[82:83] op_sel_hi:[1,0,1]
	v_pk_fma_f32 v[42:43], v[44:45], v[42:43], v[82:83] neg_lo:[0,0,1] neg_hi:[0,0,1]
	v_mov_b32_e32 v43, v85
	s_delay_alu instid0(VALU_DEP_1)
	v_pk_add_f32 v[40:41], v[40:41], v[42:43]
.LBB157_547:                            ;   in Loop: Header=BB157_3 Depth=1
	s_or_b32 exec_lo, exec_lo, s8
.LBB157_548:                            ;   in Loop: Header=BB157_3 Depth=1
	s_delay_alu instid0(SALU_CYCLE_1)
	s_or_b32 exec_lo, exec_lo, s1
	s_and_saveexec_b32 s1, vcc_hi
; %bb.549:                              ;   in Loop: Header=BB157_3 Depth=1
	s_delay_alu instid0(VALU_DEP_1)
	v_pk_add_f32 v[42:43], v[40:41], 0 neg_lo:[1,1] neg_hi:[1,1]
	ds_store_b64 v5, v[42:43]
; %bb.550:                              ;   in Loop: Header=BB157_3 Depth=1
	s_or_b32 exec_lo, exec_lo, s1
	s_wait_loadcnt_dscnt 0x0
	s_barrier_signal -1
	s_barrier_wait -1
	s_and_saveexec_b32 s1, s43
	s_cbranch_execz .LBB157_552
; %bb.551:                              ;   in Loop: Header=BB157_3 Depth=1
	ds_load_b64 v[42:43], v7 offset:15072
	ds_load_b64 v[44:45], v5
	s_wait_dscnt 0x0
	v_pk_mul_f32 v[82:83], v[44:45], v[42:43] op_sel_hi:[1,0]
	s_delay_alu instid0(VALU_DEP_1) | instskip(SKIP_1) | instid1(VALU_DEP_2)
	v_pk_fma_f32 v[84:85], v[44:45], v[42:43], v[82:83] op_sel:[1,1,0] op_sel_hi:[0,1,1]
	v_pk_fma_f32 v[42:43], v[44:45], v[42:43], v[82:83] op_sel:[1,1,0] op_sel_hi:[0,1,1] neg_lo:[0,0,1] neg_hi:[0,0,1]
	v_pk_add_f32 v[44:45], v[40:41], v[84:85] neg_lo:[0,1] neg_hi:[0,1]
	s_delay_alu instid0(VALU_DEP_2) | instskip(NEXT) | instid1(VALU_DEP_2)
	v_pk_add_f32 v[40:41], v[40:41], v[42:43]
	v_mov_b32_e32 v41, v45
.LBB157_552:                            ;   in Loop: Header=BB157_3 Depth=1
	s_or_b32 exec_lo, exec_lo, s1
	s_barrier_signal -1
	s_barrier_wait -1
	s_and_saveexec_b32 s1, s43
; %bb.553:                              ;   in Loop: Header=BB157_3 Depth=1
	v_pk_add_f32 v[42:43], v[40:41], 0 neg_lo:[1,1] neg_hi:[1,1]
	ds_store_b64 v5, v[42:43]
; %bb.554:                              ;   in Loop: Header=BB157_3 Depth=1
	s_or_b32 exec_lo, exec_lo, s1
	s_wait_dscnt 0x0
	s_barrier_signal -1
	s_barrier_wait -1
	s_barrier_signal -1
	s_barrier_wait -1
	s_and_saveexec_b32 s1, s3
; %bb.555:                              ;   in Loop: Header=BB157_3 Depth=1
	ds_store_b64 v49, v[40:41] offset:16096
; %bb.556:                              ;   in Loop: Header=BB157_3 Depth=1
	s_or_b32 exec_lo, exec_lo, s1
	s_wait_dscnt 0x0
	s_barrier_signal -1
	s_barrier_wait -1
	s_barrier_signal -1
	s_barrier_wait -1
	s_and_saveexec_b32 s1, s11
; %bb.557:                              ;   in Loop: Header=BB157_3 Depth=1
	v_add_nc_u32_e64 v3, 0x3800, 0
	ds_store_2addr_b64 v3, v[34:35], v[34:35] offset0:28 offset1:93
; %bb.558:                              ;   in Loop: Header=BB157_3 Depth=1
	s_or_b32 exec_lo, exec_lo, s1
	v_mov_b64_e32 v[40:41], 0
	s_wait_dscnt 0x0
	s_barrier_signal -1
	s_barrier_wait -1
	global_wb scope:SCOPE_DEV
	s_wait_storecnt 0x0
	global_inv scope:SCOPE_DEV
	s_and_saveexec_b32 s1, s4
	s_cbranch_execz .LBB157_564
; %bb.559:                              ;   in Loop: Header=BB157_3 Depth=1
	ds_load_b64 v[40:41], v51 offset:14528
	ds_load_b64 v[42:43], v52 offset:16096
	s_wait_dscnt 0x0
	v_dual_mul_f32 v3, v43, v41 :: v_dual_mul_f32 v41, v42, v41
	s_delay_alu instid0(VALU_DEP_1) | instskip(NEXT) | instid1(VALU_DEP_1)
	v_dual_fma_f32 v3, v42, v40, -v3 :: v_dual_fmac_f32 v41, v43, v40
	v_dual_add_f32 v40, 0, v3 :: v_dual_add_f32 v41, 0, v41
	s_and_saveexec_b32 s8, s13
	s_cbranch_execnz .LBB157_1026
; %bb.560:                              ;   in Loop: Header=BB157_3 Depth=1
	s_or_b32 exec_lo, exec_lo, s8
	s_and_saveexec_b32 s8, s14
	s_cbranch_execnz .LBB157_1027
.LBB157_561:                            ;   in Loop: Header=BB157_3 Depth=1
	s_or_b32 exec_lo, exec_lo, s8
	s_and_saveexec_b32 s8, s3
	s_cbranch_execz .LBB157_563
.LBB157_562:                            ;   in Loop: Header=BB157_3 Depth=1
	ds_load_b64 v[42:43], v48 offset:16064
	ds_load_b64 v[44:45], v7 offset:16120
	s_wait_dscnt 0x0
	v_pk_mul_f32 v[82:83], v[44:45], v[42:43] op_sel:[1,1] op_sel_hi:[0,1]
	s_delay_alu instid0(VALU_DEP_1) | instskip(SKIP_1) | instid1(VALU_DEP_2)
	v_pk_fma_f32 v[84:85], v[44:45], v[42:43], v[82:83] op_sel_hi:[1,0,1]
	v_pk_fma_f32 v[42:43], v[44:45], v[42:43], v[82:83] neg_lo:[0,0,1] neg_hi:[0,0,1]
	v_mov_b32_e32 v43, v85
	s_delay_alu instid0(VALU_DEP_1)
	v_pk_add_f32 v[40:41], v[40:41], v[42:43]
.LBB157_563:                            ;   in Loop: Header=BB157_3 Depth=1
	s_or_b32 exec_lo, exec_lo, s8
.LBB157_564:                            ;   in Loop: Header=BB157_3 Depth=1
	s_delay_alu instid0(SALU_CYCLE_1)
	s_or_b32 exec_lo, exec_lo, s1
	s_and_saveexec_b32 s1, s44
; %bb.565:                              ;   in Loop: Header=BB157_3 Depth=1
	s_delay_alu instid0(VALU_DEP_1)
	v_pk_add_f32 v[42:43], v[40:41], 0 neg_lo:[1,1] neg_hi:[1,1]
	ds_store_b64 v50, v[42:43]
; %bb.566:                              ;   in Loop: Header=BB157_3 Depth=1
	s_or_b32 exec_lo, exec_lo, s1
	s_wait_loadcnt_dscnt 0x0
	s_barrier_signal -1
	s_barrier_wait -1
	s_and_saveexec_b32 s1, s45
	s_cbranch_execz .LBB157_568
; %bb.567:                              ;   in Loop: Header=BB157_3 Depth=1
	ds_load_b64 v[42:43], v51 offset:14016
	ds_load_b64 v[44:45], v50
	s_wait_dscnt 0x0
	v_pk_mul_f32 v[82:83], v[44:45], v[42:43] op_sel:[1,1] op_sel_hi:[0,1]
	s_delay_alu instid0(VALU_DEP_1) | instskip(SKIP_1) | instid1(VALU_DEP_2)
	v_pk_fma_f32 v[84:85], v[44:45], v[42:43], v[82:83] op_sel_hi:[1,0,1]
	v_pk_fma_f32 v[42:43], v[44:45], v[42:43], v[82:83] neg_lo:[0,0,1] neg_hi:[0,0,1]
	v_mov_b32_e32 v43, v85
	s_delay_alu instid0(VALU_DEP_1)
	v_pk_add_f32 v[40:41], v[40:41], v[42:43] neg_lo:[0,1] neg_hi:[0,1]
.LBB157_568:                            ;   in Loop: Header=BB157_3 Depth=1
	s_or_b32 exec_lo, exec_lo, s1
	s_barrier_signal -1
	s_barrier_wait -1
	s_and_saveexec_b32 s1, s46
; %bb.569:                              ;   in Loop: Header=BB157_3 Depth=1
	v_pk_add_f32 v[42:43], v[40:41], 0 neg_lo:[1,1] neg_hi:[1,1]
	ds_store_b64 v50, v[42:43]
; %bb.570:                              ;   in Loop: Header=BB157_3 Depth=1
	s_or_b32 exec_lo, exec_lo, s1
	s_wait_dscnt 0x0
	s_barrier_signal -1
	s_barrier_wait -1
	s_and_saveexec_b32 s1, s47
	s_cbranch_execz .LBB157_572
; %bb.571:                              ;   in Loop: Header=BB157_3 Depth=1
	ds_load_b64 v[42:43], v51 offset:13504
	ds_load_b64 v[44:45], v50
	s_wait_dscnt 0x0
	v_pk_mul_f32 v[82:83], v[44:45], v[42:43] op_sel:[1,1] op_sel_hi:[0,1]
	s_delay_alu instid0(VALU_DEP_1) | instskip(SKIP_1) | instid1(VALU_DEP_2)
	v_pk_fma_f32 v[84:85], v[44:45], v[42:43], v[82:83] op_sel_hi:[1,0,1]
	v_pk_fma_f32 v[42:43], v[44:45], v[42:43], v[82:83] neg_lo:[0,0,1] neg_hi:[0,0,1]
	v_mov_b32_e32 v43, v85
	s_delay_alu instid0(VALU_DEP_1)
	v_pk_add_f32 v[40:41], v[40:41], v[42:43] neg_lo:[0,1] neg_hi:[0,1]
.LBB157_572:                            ;   in Loop: Header=BB157_3 Depth=1
	s_or_b32 exec_lo, exec_lo, s1
	s_barrier_signal -1
	s_barrier_wait -1
	s_and_saveexec_b32 s1, s48
; %bb.573:                              ;   in Loop: Header=BB157_3 Depth=1
	v_pk_add_f32 v[42:43], v[40:41], 0 neg_lo:[1,1] neg_hi:[1,1]
	ds_store_b64 v50, v[42:43]
; %bb.574:                              ;   in Loop: Header=BB157_3 Depth=1
	s_or_b32 exec_lo, exec_lo, s1
	s_wait_dscnt 0x0
	;; [unrolled: 26-line block ×3, first 2 shown]
	s_barrier_signal -1
	s_barrier_wait -1
	s_barrier_signal -1
	s_barrier_wait -1
	s_and_saveexec_b32 s1, s4
; %bb.579:                              ;   in Loop: Header=BB157_3 Depth=1
	ds_store_b64 v53, v[40:41] offset:16064
; %bb.580:                              ;   in Loop: Header=BB157_3 Depth=1
	s_or_b32 exec_lo, exec_lo, s1
	s_wait_dscnt 0x0
	s_barrier_signal -1
	s_barrier_wait -1
	s_barrier_signal -1
	s_barrier_wait -1
	s_and_saveexec_b32 s1, s11
; %bb.581:                              ;   in Loop: Header=BB157_3 Depth=1
	v_add_nc_u32_e64 v3, 0x3000, 0
	ds_store_2addr_b64 v3, v[34:35], v[34:35] offset0:154 offset1:219
; %bb.582:                              ;   in Loop: Header=BB157_3 Depth=1
	s_or_b32 exec_lo, exec_lo, s1
	v_dual_mov_b32 v40, 0 :: v_dual_mov_b32 v41, 0
	s_wait_dscnt 0x0
	s_barrier_signal -1
	s_barrier_wait -1
	global_wb scope:SCOPE_DEV
	s_wait_storecnt 0x0
	global_inv scope:SCOPE_DEV
	s_and_saveexec_b32 s1, s3
	s_cbranch_execz .LBB157_586
; %bb.583:                              ;   in Loop: Header=BB157_3 Depth=1
	ds_load_b64 v[40:41], v46 offset:13504
	ds_load_b64 v[42:43], v47 offset:14032
	s_wait_dscnt 0x0
	v_pk_mul_f32 v[44:45], v[42:43], v[40:41] op_sel:[1,1] op_sel_hi:[0,1]
	s_delay_alu instid0(VALU_DEP_1) | instskip(SKIP_1) | instid1(VALU_DEP_2)
	v_pk_fma_f32 v[82:83], v[42:43], v[40:41], v[44:45] op_sel_hi:[1,0,1]
	v_pk_fma_f32 v[40:41], v[42:43], v[40:41], v[44:45] neg_lo:[0,0,1] neg_hi:[0,0,1]
	v_mov_b32_e32 v41, v83
	s_delay_alu instid0(VALU_DEP_1)
	v_pk_add_f32 v[40:41], v[40:41], 0 op_sel_hi:[1,0]
	s_and_saveexec_b32 s8, s12
	s_cbranch_execz .LBB157_585
; %bb.584:                              ;   in Loop: Header=BB157_3 Depth=1
	ds_load_b64 v[42:43], v48 offset:14016
	ds_load_b64 v[44:45], v7 offset:14040
	s_wait_dscnt 0x0
	v_pk_mul_f32 v[82:83], v[44:45], v[42:43] op_sel:[1,1] op_sel_hi:[0,1]
	s_delay_alu instid0(VALU_DEP_1) | instskip(SKIP_1) | instid1(VALU_DEP_2)
	v_pk_fma_f32 v[84:85], v[44:45], v[42:43], v[82:83] op_sel_hi:[1,0,1]
	v_pk_fma_f32 v[42:43], v[44:45], v[42:43], v[82:83] neg_lo:[0,0,1] neg_hi:[0,0,1]
	v_mov_b32_e32 v43, v85
	s_delay_alu instid0(VALU_DEP_1)
	v_pk_add_f32 v[40:41], v[40:41], v[42:43]
.LBB157_585:                            ;   in Loop: Header=BB157_3 Depth=1
	s_or_b32 exec_lo, exec_lo, s8
.LBB157_586:                            ;   in Loop: Header=BB157_3 Depth=1
	s_delay_alu instid0(SALU_CYCLE_1)
	s_or_b32 exec_lo, exec_lo, s1
	s_and_saveexec_b32 s1, vcc_hi
; %bb.587:                              ;   in Loop: Header=BB157_3 Depth=1
	s_delay_alu instid0(VALU_DEP_1)
	v_pk_add_f32 v[42:43], v[40:41], 0 neg_lo:[1,1] neg_hi:[1,1]
	ds_store_b64 v5, v[42:43]
; %bb.588:                              ;   in Loop: Header=BB157_3 Depth=1
	s_or_b32 exec_lo, exec_lo, s1
	s_wait_loadcnt_dscnt 0x0
	s_barrier_signal -1
	s_barrier_wait -1
	s_and_saveexec_b32 s1, s43
	s_cbranch_execz .LBB157_590
; %bb.589:                              ;   in Loop: Header=BB157_3 Depth=1
	ds_load_b64 v[42:43], v7 offset:12992
	ds_load_b64 v[44:45], v5
	s_wait_dscnt 0x0
	v_pk_mul_f32 v[82:83], v[44:45], v[42:43] op_sel_hi:[1,0]
	s_delay_alu instid0(VALU_DEP_1) | instskip(SKIP_1) | instid1(VALU_DEP_2)
	v_pk_fma_f32 v[84:85], v[44:45], v[42:43], v[82:83] op_sel:[1,1,0] op_sel_hi:[0,1,1]
	v_pk_fma_f32 v[42:43], v[44:45], v[42:43], v[82:83] op_sel:[1,1,0] op_sel_hi:[0,1,1] neg_lo:[0,0,1] neg_hi:[0,0,1]
	v_pk_add_f32 v[44:45], v[40:41], v[84:85] neg_lo:[0,1] neg_hi:[0,1]
	s_delay_alu instid0(VALU_DEP_2) | instskip(NEXT) | instid1(VALU_DEP_2)
	v_pk_add_f32 v[40:41], v[40:41], v[42:43]
	v_mov_b32_e32 v41, v45
.LBB157_590:                            ;   in Loop: Header=BB157_3 Depth=1
	s_or_b32 exec_lo, exec_lo, s1
	s_barrier_signal -1
	s_barrier_wait -1
	s_and_saveexec_b32 s1, s43
; %bb.591:                              ;   in Loop: Header=BB157_3 Depth=1
	v_pk_add_f32 v[42:43], v[40:41], 0 neg_lo:[1,1] neg_hi:[1,1]
	ds_store_b64 v5, v[42:43]
; %bb.592:                              ;   in Loop: Header=BB157_3 Depth=1
	s_or_b32 exec_lo, exec_lo, s1
	s_wait_dscnt 0x0
	s_barrier_signal -1
	s_barrier_wait -1
	s_barrier_signal -1
	s_barrier_wait -1
	s_and_saveexec_b32 s1, s3
; %bb.593:                              ;   in Loop: Header=BB157_3 Depth=1
	ds_store_b64 v49, v[40:41] offset:14016
; %bb.594:                              ;   in Loop: Header=BB157_3 Depth=1
	s_or_b32 exec_lo, exec_lo, s1
	s_wait_dscnt 0x0
	s_barrier_signal -1
	s_barrier_wait -1
	s_barrier_signal -1
	s_barrier_wait -1
	s_and_saveexec_b32 s1, s11
; %bb.595:                              ;   in Loop: Header=BB157_3 Depth=1
	v_add_nc_u32_e64 v3, 0x3000, 0
	ds_store_2addr_b64 v3, v[34:35], v[34:35] offset0:24 offset1:89
; %bb.596:                              ;   in Loop: Header=BB157_3 Depth=1
	s_or_b32 exec_lo, exec_lo, s1
	v_mov_b64_e32 v[40:41], 0
	s_wait_dscnt 0x0
	s_barrier_signal -1
	s_barrier_wait -1
	global_wb scope:SCOPE_DEV
	s_wait_storecnt 0x0
	global_inv scope:SCOPE_DEV
	s_and_saveexec_b32 s1, s5
	s_cbranch_execz .LBB157_606
; %bb.597:                              ;   in Loop: Header=BB157_3 Depth=1
	ds_load_b64 v[40:41], v55 offset:12416
	ds_load_b64 v[42:43], v56 offset:16064
	s_wait_dscnt 0x0
	v_dual_mul_f32 v3, v43, v41 :: v_dual_mul_f32 v41, v42, v41
	s_delay_alu instid0(VALU_DEP_1) | instskip(NEXT) | instid1(VALU_DEP_1)
	v_dual_fma_f32 v3, v42, v40, -v3 :: v_dual_fmac_f32 v41, v43, v40
	v_dual_add_f32 v40, 0, v3 :: v_dual_add_f32 v41, 0, v41
	s_and_saveexec_b32 s8, s15
	s_cbranch_execnz .LBB157_1028
; %bb.598:                              ;   in Loop: Header=BB157_3 Depth=1
	s_or_b32 exec_lo, exec_lo, s8
	s_and_saveexec_b32 s8, s16
	s_cbranch_execnz .LBB157_1029
.LBB157_599:                            ;   in Loop: Header=BB157_3 Depth=1
	s_or_b32 exec_lo, exec_lo, s8
	s_and_saveexec_b32 s8, s17
	s_cbranch_execnz .LBB157_1030
.LBB157_600:                            ;   in Loop: Header=BB157_3 Depth=1
	s_or_b32 exec_lo, exec_lo, s8
	s_and_saveexec_b32 s8, s18
	s_cbranch_execnz .LBB157_1031
.LBB157_601:                            ;   in Loop: Header=BB157_3 Depth=1
	s_or_b32 exec_lo, exec_lo, s8
	s_and_saveexec_b32 s8, s19
	s_cbranch_execnz .LBB157_1032
.LBB157_602:                            ;   in Loop: Header=BB157_3 Depth=1
	s_or_b32 exec_lo, exec_lo, s8
	s_and_saveexec_b32 s8, s4
	s_cbranch_execnz .LBB157_1033
.LBB157_603:                            ;   in Loop: Header=BB157_3 Depth=1
	s_or_b32 exec_lo, exec_lo, s8
	s_and_saveexec_b32 s8, s14
	s_cbranch_execz .LBB157_605
.LBB157_604:                            ;   in Loop: Header=BB157_3 Depth=1
	ds_load_b64 v[42:43], v48 offset:16000
	ds_load_b64 v[44:45], v7 offset:16120
	s_wait_dscnt 0x0
	v_pk_mul_f32 v[82:83], v[44:45], v[42:43] op_sel:[1,1] op_sel_hi:[0,1]
	s_delay_alu instid0(VALU_DEP_1) | instskip(SKIP_1) | instid1(VALU_DEP_2)
	v_pk_fma_f32 v[84:85], v[44:45], v[42:43], v[82:83] op_sel_hi:[1,0,1]
	v_pk_fma_f32 v[42:43], v[44:45], v[42:43], v[82:83] neg_lo:[0,0,1] neg_hi:[0,0,1]
	v_mov_b32_e32 v43, v85
	s_delay_alu instid0(VALU_DEP_1)
	v_pk_add_f32 v[40:41], v[40:41], v[42:43]
.LBB157_605:                            ;   in Loop: Header=BB157_3 Depth=1
	s_or_b32 exec_lo, exec_lo, s8
.LBB157_606:                            ;   in Loop: Header=BB157_3 Depth=1
	s_delay_alu instid0(SALU_CYCLE_1)
	s_or_b32 exec_lo, exec_lo, s1
	s_and_saveexec_b32 s1, s50
; %bb.607:                              ;   in Loop: Header=BB157_3 Depth=1
	s_delay_alu instid0(VALU_DEP_1)
	v_pk_add_f32 v[42:43], v[40:41], 0 neg_lo:[1,1] neg_hi:[1,1]
	ds_store_b64 v54, v[42:43]
; %bb.608:                              ;   in Loop: Header=BB157_3 Depth=1
	s_or_b32 exec_lo, exec_lo, s1
	s_wait_loadcnt_dscnt 0x0
	s_barrier_signal -1
	s_barrier_wait -1
	s_and_saveexec_b32 s1, s51
	s_cbranch_execz .LBB157_610
; %bb.609:                              ;   in Loop: Header=BB157_3 Depth=1
	ds_load_b64 v[42:43], v55 offset:11904
	ds_load_b64 v[44:45], v54
	s_wait_dscnt 0x0
	v_pk_mul_f32 v[82:83], v[44:45], v[42:43] op_sel:[1,1] op_sel_hi:[0,1]
	s_delay_alu instid0(VALU_DEP_1) | instskip(SKIP_1) | instid1(VALU_DEP_2)
	v_pk_fma_f32 v[84:85], v[44:45], v[42:43], v[82:83] op_sel_hi:[1,0,1]
	v_pk_fma_f32 v[42:43], v[44:45], v[42:43], v[82:83] neg_lo:[0,0,1] neg_hi:[0,0,1]
	v_mov_b32_e32 v43, v85
	s_delay_alu instid0(VALU_DEP_1)
	v_pk_add_f32 v[40:41], v[40:41], v[42:43] neg_lo:[0,1] neg_hi:[0,1]
.LBB157_610:                            ;   in Loop: Header=BB157_3 Depth=1
	s_or_b32 exec_lo, exec_lo, s1
	s_barrier_signal -1
	s_barrier_wait -1
	s_and_saveexec_b32 s1, s52
; %bb.611:                              ;   in Loop: Header=BB157_3 Depth=1
	v_pk_add_f32 v[42:43], v[40:41], 0 neg_lo:[1,1] neg_hi:[1,1]
	ds_store_b64 v54, v[42:43]
; %bb.612:                              ;   in Loop: Header=BB157_3 Depth=1
	s_or_b32 exec_lo, exec_lo, s1
	s_wait_dscnt 0x0
	s_barrier_signal -1
	s_barrier_wait -1
	s_and_saveexec_b32 s1, s53
	s_cbranch_execz .LBB157_614
; %bb.613:                              ;   in Loop: Header=BB157_3 Depth=1
	ds_load_b64 v[42:43], v55 offset:11392
	ds_load_b64 v[44:45], v54
	s_wait_dscnt 0x0
	v_dual_mul_f32 v3, v45, v43 :: v_dual_mul_f32 v43, v44, v43
	s_delay_alu instid0(VALU_DEP_1) | instskip(NEXT) | instid1(VALU_DEP_1)
	v_fmac_f32_e32 v43, v45, v42
	v_dual_fma_f32 v3, v44, v42, -v3 :: v_dual_sub_f32 v41, v41, v43
	s_delay_alu instid0(VALU_DEP_1)
	v_sub_f32_e32 v40, v40, v3
.LBB157_614:                            ;   in Loop: Header=BB157_3 Depth=1
	s_or_b32 exec_lo, exec_lo, s1
	s_barrier_signal -1
	s_barrier_wait -1
	s_and_saveexec_b32 s1, s54
; %bb.615:                              ;   in Loop: Header=BB157_3 Depth=1
	v_pk_add_f32 v[42:43], v[40:41], 0 neg_lo:[1,1] neg_hi:[1,1]
	ds_store_b64 v54, v[42:43]
; %bb.616:                              ;   in Loop: Header=BB157_3 Depth=1
	s_or_b32 exec_lo, exec_lo, s1
	s_wait_dscnt 0x0
	s_barrier_signal -1
	s_barrier_wait -1
	s_and_saveexec_b32 s1, s55
	s_cbranch_execz .LBB157_618
; %bb.617:                              ;   in Loop: Header=BB157_3 Depth=1
	ds_load_b64 v[42:43], v55 offset:10880
	ds_load_b64 v[44:45], v54
	s_wait_dscnt 0x0
	v_dual_mul_f32 v3, v45, v43 :: v_dual_mul_f32 v83, v44, v43
	s_delay_alu instid0(VALU_DEP_1) | instskip(NEXT) | instid1(VALU_DEP_2)
	v_fma_f32 v82, v44, v42, -v3
	v_fmac_f32_e32 v83, v45, v42
	s_delay_alu instid0(VALU_DEP_1)
	v_pk_add_f32 v[40:41], v[40:41], v[82:83] neg_lo:[0,1] neg_hi:[0,1]
.LBB157_618:                            ;   in Loop: Header=BB157_3 Depth=1
	s_or_b32 exec_lo, exec_lo, s1
	s_barrier_signal -1
	s_barrier_wait -1
	s_and_saveexec_b32 s1, s56
; %bb.619:                              ;   in Loop: Header=BB157_3 Depth=1
	v_pk_add_f32 v[42:43], v[40:41], 0 neg_lo:[1,1] neg_hi:[1,1]
	ds_store_b64 v54, v[42:43]
; %bb.620:                              ;   in Loop: Header=BB157_3 Depth=1
	s_or_b32 exec_lo, exec_lo, s1
	s_wait_dscnt 0x0
	s_barrier_signal -1
	s_barrier_wait -1
	s_and_saveexec_b32 s1, s57
	s_cbranch_execz .LBB157_622
; %bb.621:                              ;   in Loop: Header=BB157_3 Depth=1
	ds_load_b64 v[42:43], v55 offset:10368
	ds_load_b64 v[44:45], v54
	s_wait_dscnt 0x0
	v_pk_mul_f32 v[82:83], v[44:45], v[42:43] op_sel:[1,1] op_sel_hi:[0,1]
	s_delay_alu instid0(VALU_DEP_1) | instskip(SKIP_1) | instid1(VALU_DEP_2)
	v_pk_fma_f32 v[84:85], v[44:45], v[42:43], v[82:83] op_sel_hi:[1,0,1]
	v_pk_fma_f32 v[42:43], v[44:45], v[42:43], v[82:83] neg_lo:[0,0,1] neg_hi:[0,0,1]
	v_mov_b32_e32 v43, v85
	s_delay_alu instid0(VALU_DEP_1)
	v_pk_add_f32 v[40:41], v[40:41], v[42:43] neg_lo:[0,1] neg_hi:[0,1]
.LBB157_622:                            ;   in Loop: Header=BB157_3 Depth=1
	s_or_b32 exec_lo, exec_lo, s1
	s_barrier_signal -1
	s_barrier_wait -1
	s_and_saveexec_b32 s1, s58
; %bb.623:                              ;   in Loop: Header=BB157_3 Depth=1
	v_pk_add_f32 v[42:43], v[40:41], 0 neg_lo:[1,1] neg_hi:[1,1]
	ds_store_b64 v54, v[42:43]
; %bb.624:                              ;   in Loop: Header=BB157_3 Depth=1
	s_or_b32 exec_lo, exec_lo, s1
	s_wait_dscnt 0x0
	s_barrier_signal -1
	s_barrier_wait -1
	s_and_saveexec_b32 s1, s59
	s_cbranch_execz .LBB157_626
; %bb.625:                              ;   in Loop: Header=BB157_3 Depth=1
	ds_load_b64 v[42:43], v55 offset:9856
	ds_load_b64 v[44:45], v54
	s_wait_dscnt 0x0
	v_pk_mul_f32 v[82:83], v[44:45], v[42:43] op_sel:[1,1] op_sel_hi:[0,1]
	s_delay_alu instid0(VALU_DEP_1) | instskip(SKIP_1) | instid1(VALU_DEP_2)
	v_pk_fma_f32 v[84:85], v[44:45], v[42:43], v[82:83] op_sel_hi:[1,0,1]
	v_pk_fma_f32 v[42:43], v[44:45], v[42:43], v[82:83] neg_lo:[0,0,1] neg_hi:[0,0,1]
	v_mov_b32_e32 v43, v85
	s_delay_alu instid0(VALU_DEP_1)
	v_pk_add_f32 v[40:41], v[40:41], v[42:43] neg_lo:[0,1] neg_hi:[0,1]
.LBB157_626:                            ;   in Loop: Header=BB157_3 Depth=1
	;; [unrolled: 26-line block ×4, first 2 shown]
	s_or_b32 exec_lo, exec_lo, s1
	s_barrier_signal -1
	s_barrier_wait -1
	s_and_saveexec_b32 s1, s63
; %bb.635:                              ;   in Loop: Header=BB157_3 Depth=1
	v_pk_add_f32 v[42:43], v[40:41], 0 neg_lo:[1,1] neg_hi:[1,1]
	ds_store_b64 v54, v[42:43]
; %bb.636:                              ;   in Loop: Header=BB157_3 Depth=1
	s_or_b32 exec_lo, exec_lo, s1
	s_wait_dscnt 0x0
	s_barrier_signal -1
	s_barrier_wait -1
	s_barrier_signal -1
	s_barrier_wait -1
	s_and_saveexec_b32 s1, s5
; %bb.637:                              ;   in Loop: Header=BB157_3 Depth=1
	ds_store_b64 v57, v[40:41] offset:16000
; %bb.638:                              ;   in Loop: Header=BB157_3 Depth=1
	s_or_b32 exec_lo, exec_lo, s1
	s_wait_dscnt 0x0
	s_barrier_signal -1
	s_barrier_wait -1
	s_barrier_signal -1
	s_barrier_wait -1
	s_and_saveexec_b32 s1, s11
; %bb.639:                              ;   in Loop: Header=BB157_3 Depth=1
	v_add_nc_u32_e64 v3, 0x2800, 0
	ds_store_2addr_b64 v3, v[34:35], v[34:35] offset0:150 offset1:215
; %bb.640:                              ;   in Loop: Header=BB157_3 Depth=1
	s_or_b32 exec_lo, exec_lo, s1
	v_dual_mov_b32 v40, 0 :: v_dual_mov_b32 v41, 0
	s_wait_dscnt 0x0
	s_barrier_signal -1
	s_barrier_wait -1
	global_wb scope:SCOPE_DEV
	s_wait_storecnt 0x0
	global_inv scope:SCOPE_DEV
	s_and_saveexec_b32 s1, s3
	s_cbranch_execz .LBB157_644
; %bb.641:                              ;   in Loop: Header=BB157_3 Depth=1
	ds_load_b64 v[40:41], v46 offset:11424
	ds_load_b64 v[42:43], v47 offset:11952
	s_wait_dscnt 0x0
	v_pk_mul_f32 v[44:45], v[42:43], v[40:41] op_sel:[1,1] op_sel_hi:[0,1]
	s_delay_alu instid0(VALU_DEP_1) | instskip(SKIP_1) | instid1(VALU_DEP_2)
	v_pk_fma_f32 v[82:83], v[42:43], v[40:41], v[44:45] op_sel_hi:[1,0,1]
	v_pk_fma_f32 v[40:41], v[42:43], v[40:41], v[44:45] neg_lo:[0,0,1] neg_hi:[0,0,1]
	v_mov_b32_e32 v41, v83
	s_delay_alu instid0(VALU_DEP_1)
	v_pk_add_f32 v[40:41], v[40:41], 0 op_sel_hi:[1,0]
	s_and_saveexec_b32 s8, s12
	s_cbranch_execz .LBB157_643
; %bb.642:                              ;   in Loop: Header=BB157_3 Depth=1
	ds_load_b64 v[42:43], v48 offset:11936
	ds_load_b64 v[44:45], v7 offset:11960
	s_wait_dscnt 0x0
	v_pk_mul_f32 v[82:83], v[44:45], v[42:43] op_sel:[1,1] op_sel_hi:[0,1]
	s_delay_alu instid0(VALU_DEP_1) | instskip(SKIP_1) | instid1(VALU_DEP_2)
	v_pk_fma_f32 v[84:85], v[44:45], v[42:43], v[82:83] op_sel_hi:[1,0,1]
	v_pk_fma_f32 v[42:43], v[44:45], v[42:43], v[82:83] neg_lo:[0,0,1] neg_hi:[0,0,1]
	v_mov_b32_e32 v43, v85
	s_delay_alu instid0(VALU_DEP_1)
	v_pk_add_f32 v[40:41], v[40:41], v[42:43]
.LBB157_643:                            ;   in Loop: Header=BB157_3 Depth=1
	s_or_b32 exec_lo, exec_lo, s8
.LBB157_644:                            ;   in Loop: Header=BB157_3 Depth=1
	s_delay_alu instid0(SALU_CYCLE_1)
	s_or_b32 exec_lo, exec_lo, s1
	s_and_saveexec_b32 s1, vcc_hi
; %bb.645:                              ;   in Loop: Header=BB157_3 Depth=1
	s_delay_alu instid0(VALU_DEP_1)
	v_pk_add_f32 v[42:43], v[40:41], 0 neg_lo:[1,1] neg_hi:[1,1]
	ds_store_b64 v5, v[42:43]
; %bb.646:                              ;   in Loop: Header=BB157_3 Depth=1
	s_or_b32 exec_lo, exec_lo, s1
	s_wait_loadcnt_dscnt 0x0
	s_barrier_signal -1
	s_barrier_wait -1
	s_and_saveexec_b32 s1, s43
	s_cbranch_execz .LBB157_648
; %bb.647:                              ;   in Loop: Header=BB157_3 Depth=1
	ds_load_b64 v[42:43], v7 offset:10912
	ds_load_b64 v[44:45], v5
	s_wait_dscnt 0x0
	v_pk_mul_f32 v[82:83], v[44:45], v[42:43] op_sel_hi:[1,0]
	s_delay_alu instid0(VALU_DEP_1) | instskip(SKIP_1) | instid1(VALU_DEP_2)
	v_pk_fma_f32 v[84:85], v[44:45], v[42:43], v[82:83] op_sel:[1,1,0] op_sel_hi:[0,1,1]
	v_pk_fma_f32 v[42:43], v[44:45], v[42:43], v[82:83] op_sel:[1,1,0] op_sel_hi:[0,1,1] neg_lo:[0,0,1] neg_hi:[0,0,1]
	v_pk_add_f32 v[44:45], v[40:41], v[84:85] neg_lo:[0,1] neg_hi:[0,1]
	s_delay_alu instid0(VALU_DEP_2) | instskip(NEXT) | instid1(VALU_DEP_2)
	v_pk_add_f32 v[40:41], v[40:41], v[42:43]
	v_mov_b32_e32 v41, v45
.LBB157_648:                            ;   in Loop: Header=BB157_3 Depth=1
	s_or_b32 exec_lo, exec_lo, s1
	s_barrier_signal -1
	s_barrier_wait -1
	s_and_saveexec_b32 s1, s43
; %bb.649:                              ;   in Loop: Header=BB157_3 Depth=1
	v_pk_add_f32 v[42:43], v[40:41], 0 neg_lo:[1,1] neg_hi:[1,1]
	ds_store_b64 v5, v[42:43]
; %bb.650:                              ;   in Loop: Header=BB157_3 Depth=1
	s_or_b32 exec_lo, exec_lo, s1
	s_wait_dscnt 0x0
	s_barrier_signal -1
	s_barrier_wait -1
	s_barrier_signal -1
	s_barrier_wait -1
	s_and_saveexec_b32 s1, s3
; %bb.651:                              ;   in Loop: Header=BB157_3 Depth=1
	ds_store_b64 v49, v[40:41] offset:11936
; %bb.652:                              ;   in Loop: Header=BB157_3 Depth=1
	s_or_b32 exec_lo, exec_lo, s1
	s_wait_dscnt 0x0
	s_barrier_signal -1
	s_barrier_wait -1
	s_barrier_signal -1
	s_barrier_wait -1
	s_and_saveexec_b32 s1, s11
; %bb.653:                              ;   in Loop: Header=BB157_3 Depth=1
	v_add_nc_u32_e64 v3, 0x2800, 0
	ds_store_2addr_b64 v3, v[34:35], v[34:35] offset0:20 offset1:85
; %bb.654:                              ;   in Loop: Header=BB157_3 Depth=1
	s_or_b32 exec_lo, exec_lo, s1
	v_mov_b64_e32 v[40:41], 0
	s_wait_dscnt 0x0
	s_barrier_signal -1
	s_barrier_wait -1
	global_wb scope:SCOPE_DEV
	s_wait_storecnt 0x0
	global_inv scope:SCOPE_DEV
	s_and_saveexec_b32 s1, s4
	s_cbranch_execz .LBB157_660
; %bb.655:                              ;   in Loop: Header=BB157_3 Depth=1
	ds_load_b64 v[40:41], v51 offset:10368
	ds_load_b64 v[42:43], v52 offset:11936
	s_wait_dscnt 0x0
	v_dual_mul_f32 v3, v43, v41 :: v_dual_mul_f32 v41, v42, v41
	s_delay_alu instid0(VALU_DEP_1) | instskip(NEXT) | instid1(VALU_DEP_1)
	v_dual_fma_f32 v3, v42, v40, -v3 :: v_dual_fmac_f32 v41, v43, v40
	v_dual_add_f32 v40, 0, v3 :: v_dual_add_f32 v41, 0, v41
	s_and_saveexec_b32 s8, s13
	s_cbranch_execnz .LBB157_1034
; %bb.656:                              ;   in Loop: Header=BB157_3 Depth=1
	s_or_b32 exec_lo, exec_lo, s8
	s_and_saveexec_b32 s8, s14
	s_cbranch_execnz .LBB157_1035
.LBB157_657:                            ;   in Loop: Header=BB157_3 Depth=1
	s_or_b32 exec_lo, exec_lo, s8
	s_and_saveexec_b32 s8, s3
	s_cbranch_execz .LBB157_659
.LBB157_658:                            ;   in Loop: Header=BB157_3 Depth=1
	ds_load_b64 v[42:43], v48 offset:11904
	ds_load_b64 v[44:45], v7 offset:11960
	s_wait_dscnt 0x0
	v_pk_mul_f32 v[82:83], v[44:45], v[42:43] op_sel:[1,1] op_sel_hi:[0,1]
	s_delay_alu instid0(VALU_DEP_1) | instskip(SKIP_1) | instid1(VALU_DEP_2)
	v_pk_fma_f32 v[84:85], v[44:45], v[42:43], v[82:83] op_sel_hi:[1,0,1]
	v_pk_fma_f32 v[42:43], v[44:45], v[42:43], v[82:83] neg_lo:[0,0,1] neg_hi:[0,0,1]
	v_mov_b32_e32 v43, v85
	s_delay_alu instid0(VALU_DEP_1)
	v_pk_add_f32 v[40:41], v[40:41], v[42:43]
.LBB157_659:                            ;   in Loop: Header=BB157_3 Depth=1
	s_or_b32 exec_lo, exec_lo, s8
.LBB157_660:                            ;   in Loop: Header=BB157_3 Depth=1
	s_delay_alu instid0(SALU_CYCLE_1)
	s_or_b32 exec_lo, exec_lo, s1
	s_and_saveexec_b32 s1, s44
; %bb.661:                              ;   in Loop: Header=BB157_3 Depth=1
	s_delay_alu instid0(VALU_DEP_1)
	v_pk_add_f32 v[42:43], v[40:41], 0 neg_lo:[1,1] neg_hi:[1,1]
	ds_store_b64 v50, v[42:43]
; %bb.662:                              ;   in Loop: Header=BB157_3 Depth=1
	s_or_b32 exec_lo, exec_lo, s1
	s_wait_loadcnt_dscnt 0x0
	s_barrier_signal -1
	s_barrier_wait -1
	s_and_saveexec_b32 s1, s45
	s_cbranch_execz .LBB157_664
; %bb.663:                              ;   in Loop: Header=BB157_3 Depth=1
	ds_load_b64 v[42:43], v51 offset:9856
	ds_load_b64 v[44:45], v50
	s_wait_dscnt 0x0
	v_pk_mul_f32 v[82:83], v[44:45], v[42:43] op_sel:[1,1] op_sel_hi:[0,1]
	s_delay_alu instid0(VALU_DEP_1) | instskip(SKIP_1) | instid1(VALU_DEP_2)
	v_pk_fma_f32 v[84:85], v[44:45], v[42:43], v[82:83] op_sel_hi:[1,0,1]
	v_pk_fma_f32 v[42:43], v[44:45], v[42:43], v[82:83] neg_lo:[0,0,1] neg_hi:[0,0,1]
	v_mov_b32_e32 v43, v85
	s_delay_alu instid0(VALU_DEP_1)
	v_pk_add_f32 v[40:41], v[40:41], v[42:43] neg_lo:[0,1] neg_hi:[0,1]
.LBB157_664:                            ;   in Loop: Header=BB157_3 Depth=1
	s_or_b32 exec_lo, exec_lo, s1
	s_barrier_signal -1
	s_barrier_wait -1
	s_and_saveexec_b32 s1, s46
; %bb.665:                              ;   in Loop: Header=BB157_3 Depth=1
	v_pk_add_f32 v[42:43], v[40:41], 0 neg_lo:[1,1] neg_hi:[1,1]
	ds_store_b64 v50, v[42:43]
; %bb.666:                              ;   in Loop: Header=BB157_3 Depth=1
	s_or_b32 exec_lo, exec_lo, s1
	s_wait_dscnt 0x0
	s_barrier_signal -1
	s_barrier_wait -1
	s_and_saveexec_b32 s1, s47
	s_cbranch_execz .LBB157_668
; %bb.667:                              ;   in Loop: Header=BB157_3 Depth=1
	ds_load_b64 v[42:43], v51 offset:9344
	ds_load_b64 v[44:45], v50
	s_wait_dscnt 0x0
	v_pk_mul_f32 v[82:83], v[44:45], v[42:43] op_sel:[1,1] op_sel_hi:[0,1]
	s_delay_alu instid0(VALU_DEP_1) | instskip(SKIP_1) | instid1(VALU_DEP_2)
	v_pk_fma_f32 v[84:85], v[44:45], v[42:43], v[82:83] op_sel_hi:[1,0,1]
	v_pk_fma_f32 v[42:43], v[44:45], v[42:43], v[82:83] neg_lo:[0,0,1] neg_hi:[0,0,1]
	v_mov_b32_e32 v43, v85
	s_delay_alu instid0(VALU_DEP_1)
	v_pk_add_f32 v[40:41], v[40:41], v[42:43] neg_lo:[0,1] neg_hi:[0,1]
.LBB157_668:                            ;   in Loop: Header=BB157_3 Depth=1
	s_or_b32 exec_lo, exec_lo, s1
	s_barrier_signal -1
	s_barrier_wait -1
	s_and_saveexec_b32 s1, s48
; %bb.669:                              ;   in Loop: Header=BB157_3 Depth=1
	v_pk_add_f32 v[42:43], v[40:41], 0 neg_lo:[1,1] neg_hi:[1,1]
	ds_store_b64 v50, v[42:43]
; %bb.670:                              ;   in Loop: Header=BB157_3 Depth=1
	s_or_b32 exec_lo, exec_lo, s1
	s_wait_dscnt 0x0
	;; [unrolled: 26-line block ×3, first 2 shown]
	s_barrier_signal -1
	s_barrier_wait -1
	s_barrier_signal -1
	s_barrier_wait -1
	s_and_saveexec_b32 s1, s4
; %bb.675:                              ;   in Loop: Header=BB157_3 Depth=1
	ds_store_b64 v53, v[40:41] offset:11904
; %bb.676:                              ;   in Loop: Header=BB157_3 Depth=1
	s_or_b32 exec_lo, exec_lo, s1
	s_wait_dscnt 0x0
	s_barrier_signal -1
	s_barrier_wait -1
	s_barrier_signal -1
	s_barrier_wait -1
	s_and_saveexec_b32 s1, s11
; %bb.677:                              ;   in Loop: Header=BB157_3 Depth=1
	v_add_nc_u32_e64 v3, 0x2000, 0
	ds_store_2addr_b64 v3, v[34:35], v[34:35] offset0:146 offset1:211
; %bb.678:                              ;   in Loop: Header=BB157_3 Depth=1
	s_or_b32 exec_lo, exec_lo, s1
	v_dual_mov_b32 v40, 0 :: v_dual_mov_b32 v41, 0
	s_wait_dscnt 0x0
	s_barrier_signal -1
	s_barrier_wait -1
	global_wb scope:SCOPE_DEV
	s_wait_storecnt 0x0
	global_inv scope:SCOPE_DEV
	s_and_saveexec_b32 s1, s3
	s_cbranch_execz .LBB157_682
; %bb.679:                              ;   in Loop: Header=BB157_3 Depth=1
	ds_load_b64 v[40:41], v46 offset:9344
	ds_load_b64 v[42:43], v47 offset:9872
	s_wait_dscnt 0x0
	v_pk_mul_f32 v[44:45], v[42:43], v[40:41] op_sel:[1,1] op_sel_hi:[0,1]
	s_delay_alu instid0(VALU_DEP_1) | instskip(SKIP_1) | instid1(VALU_DEP_2)
	v_pk_fma_f32 v[82:83], v[42:43], v[40:41], v[44:45] op_sel_hi:[1,0,1]
	v_pk_fma_f32 v[40:41], v[42:43], v[40:41], v[44:45] neg_lo:[0,0,1] neg_hi:[0,0,1]
	v_mov_b32_e32 v41, v83
	s_delay_alu instid0(VALU_DEP_1)
	v_pk_add_f32 v[40:41], v[40:41], 0 op_sel_hi:[1,0]
	s_and_saveexec_b32 s8, s12
	s_cbranch_execz .LBB157_681
; %bb.680:                              ;   in Loop: Header=BB157_3 Depth=1
	ds_load_b64 v[42:43], v48 offset:9856
	ds_load_b64 v[44:45], v7 offset:9880
	s_wait_dscnt 0x0
	v_pk_mul_f32 v[82:83], v[44:45], v[42:43] op_sel:[1,1] op_sel_hi:[0,1]
	s_delay_alu instid0(VALU_DEP_1) | instskip(SKIP_1) | instid1(VALU_DEP_2)
	v_pk_fma_f32 v[84:85], v[44:45], v[42:43], v[82:83] op_sel_hi:[1,0,1]
	v_pk_fma_f32 v[42:43], v[44:45], v[42:43], v[82:83] neg_lo:[0,0,1] neg_hi:[0,0,1]
	v_mov_b32_e32 v43, v85
	s_delay_alu instid0(VALU_DEP_1)
	v_pk_add_f32 v[40:41], v[40:41], v[42:43]
.LBB157_681:                            ;   in Loop: Header=BB157_3 Depth=1
	s_or_b32 exec_lo, exec_lo, s8
.LBB157_682:                            ;   in Loop: Header=BB157_3 Depth=1
	s_delay_alu instid0(SALU_CYCLE_1)
	s_or_b32 exec_lo, exec_lo, s1
	s_and_saveexec_b32 s1, vcc_hi
; %bb.683:                              ;   in Loop: Header=BB157_3 Depth=1
	s_delay_alu instid0(VALU_DEP_1)
	v_pk_add_f32 v[42:43], v[40:41], 0 neg_lo:[1,1] neg_hi:[1,1]
	ds_store_b64 v5, v[42:43]
; %bb.684:                              ;   in Loop: Header=BB157_3 Depth=1
	s_or_b32 exec_lo, exec_lo, s1
	s_wait_loadcnt_dscnt 0x0
	s_barrier_signal -1
	s_barrier_wait -1
	s_and_saveexec_b32 s1, s43
	s_cbranch_execz .LBB157_686
; %bb.685:                              ;   in Loop: Header=BB157_3 Depth=1
	ds_load_b64 v[42:43], v7 offset:8832
	ds_load_b64 v[44:45], v5
	s_wait_dscnt 0x0
	v_pk_mul_f32 v[82:83], v[44:45], v[42:43] op_sel_hi:[1,0]
	s_delay_alu instid0(VALU_DEP_1) | instskip(SKIP_1) | instid1(VALU_DEP_2)
	v_pk_fma_f32 v[84:85], v[44:45], v[42:43], v[82:83] op_sel:[1,1,0] op_sel_hi:[0,1,1]
	v_pk_fma_f32 v[42:43], v[44:45], v[42:43], v[82:83] op_sel:[1,1,0] op_sel_hi:[0,1,1] neg_lo:[0,0,1] neg_hi:[0,0,1]
	v_pk_add_f32 v[44:45], v[40:41], v[84:85] neg_lo:[0,1] neg_hi:[0,1]
	s_delay_alu instid0(VALU_DEP_2) | instskip(NEXT) | instid1(VALU_DEP_2)
	v_pk_add_f32 v[40:41], v[40:41], v[42:43]
	v_mov_b32_e32 v41, v45
.LBB157_686:                            ;   in Loop: Header=BB157_3 Depth=1
	s_or_b32 exec_lo, exec_lo, s1
	s_barrier_signal -1
	s_barrier_wait -1
	s_and_saveexec_b32 s1, s43
; %bb.687:                              ;   in Loop: Header=BB157_3 Depth=1
	v_pk_add_f32 v[42:43], v[40:41], 0 neg_lo:[1,1] neg_hi:[1,1]
	ds_store_b64 v5, v[42:43]
; %bb.688:                              ;   in Loop: Header=BB157_3 Depth=1
	s_or_b32 exec_lo, exec_lo, s1
	s_wait_dscnt 0x0
	s_barrier_signal -1
	s_barrier_wait -1
	s_barrier_signal -1
	s_barrier_wait -1
	s_and_saveexec_b32 s1, s3
; %bb.689:                              ;   in Loop: Header=BB157_3 Depth=1
	ds_store_b64 v49, v[40:41] offset:9856
; %bb.690:                              ;   in Loop: Header=BB157_3 Depth=1
	s_or_b32 exec_lo, exec_lo, s1
	s_wait_dscnt 0x0
	s_barrier_signal -1
	s_barrier_wait -1
	s_barrier_signal -1
	s_barrier_wait -1
	s_and_saveexec_b32 s1, s11
; %bb.691:                              ;   in Loop: Header=BB157_3 Depth=1
	v_add_nc_u32_e64 v3, 0x2000, 0
	ds_store_2addr_b64 v3, v[34:35], v[34:35] offset0:16 offset1:81
; %bb.692:                              ;   in Loop: Header=BB157_3 Depth=1
	s_or_b32 exec_lo, exec_lo, s1
	v_mov_b64_e32 v[40:41], 0
	s_wait_dscnt 0x0
	s_barrier_signal -1
	s_barrier_wait -1
	global_wb scope:SCOPE_DEV
	s_wait_storecnt 0x0
	global_inv scope:SCOPE_DEV
	s_and_saveexec_b32 s66, s6
	s_cbranch_execz .LBB157_720
; %bb.693:                              ;   in Loop: Header=BB157_3 Depth=1
	ds_load_b64 v[40:41], v59 offset:8192
	ds_load_b64 v[42:43], v60 offset:16000
	s_wait_dscnt 0x0
	v_dual_mul_f32 v3, v43, v41 :: v_dual_mul_f32 v41, v42, v41
	s_delay_alu instid0(VALU_DEP_1) | instskip(NEXT) | instid1(VALU_DEP_1)
	v_dual_fma_f32 v3, v42, v40, -v3 :: v_dual_fmac_f32 v41, v43, v40
	v_dual_add_f32 v40, 0, v3 :: v_dual_add_f32 v41, 0, v41
	s_mov_b32 s1, exec_lo
	v_readlane_b32 s8, v92, 27
	s_and_b32 s8, s1, s8
	s_delay_alu instid0(SALU_CYCLE_1)
	s_mov_b32 exec_lo, s8
	s_cbranch_execz .LBB157_695
; %bb.694:                              ;   in Loop: Header=BB157_3 Depth=1
	ds_load_b64 v[42:43], v59 offset:8704
	ds_load_b64 v[44:45], v60 offset:16008
	s_wait_dscnt 0x0
	v_dual_mul_f32 v3, v45, v43 :: v_dual_mul_f32 v43, v44, v43
	s_delay_alu instid0(VALU_DEP_1) | instskip(NEXT) | instid1(VALU_DEP_1)
	v_fmac_f32_e32 v43, v45, v42
	v_dual_fma_f32 v3, v44, v42, -v3 :: v_dual_add_f32 v41, v41, v43
	s_delay_alu instid0(VALU_DEP_1)
	v_add_f32_e32 v40, v40, v3
.LBB157_695:                            ;   in Loop: Header=BB157_3 Depth=1
	s_or_b32 exec_lo, exec_lo, s1
	s_delay_alu instid0(SALU_CYCLE_1) | instskip(SKIP_2) | instid1(SALU_CYCLE_1)
	s_mov_b32 s1, exec_lo
	v_readlane_b32 s8, v92, 28
	s_and_b32 s8, s1, s8
	s_mov_b32 exec_lo, s8
	s_cbranch_execz .LBB157_697
; %bb.696:                              ;   in Loop: Header=BB157_3 Depth=1
	ds_load_b64 v[42:43], v59 offset:9216
	ds_load_b64 v[44:45], v60 offset:16016
	s_wait_dscnt 0x0
	v_dual_mul_f32 v3, v45, v43 :: v_dual_mul_f32 v43, v44, v43
	s_delay_alu instid0(VALU_DEP_1) | instskip(NEXT) | instid1(VALU_DEP_1)
	v_fmac_f32_e32 v43, v45, v42
	v_dual_fma_f32 v3, v44, v42, -v3 :: v_dual_add_f32 v41, v41, v43
	s_delay_alu instid0(VALU_DEP_1)
	v_add_f32_e32 v40, v40, v3
.LBB157_697:                            ;   in Loop: Header=BB157_3 Depth=1
	s_or_b32 exec_lo, exec_lo, s1
	s_delay_alu instid0(SALU_CYCLE_1) | instskip(SKIP_2) | instid1(SALU_CYCLE_1)
	s_mov_b32 s1, exec_lo
	v_readlane_b32 s8, v92, 29
	s_and_b32 s8, s1, s8
	;; [unrolled: 18-line block ×10, first 2 shown]
	s_mov_b32 exec_lo, s8
	s_cbranch_execnz .LBB157_1036
; %bb.714:                              ;   in Loop: Header=BB157_3 Depth=1
	s_or_b32 exec_lo, exec_lo, s1
	s_and_saveexec_b32 s1, s5
	s_cbranch_execnz .LBB157_1037
.LBB157_715:                            ;   in Loop: Header=BB157_3 Depth=1
	s_or_b32 exec_lo, exec_lo, s1
	s_and_saveexec_b32 s1, s16
	s_cbranch_execnz .LBB157_1038
.LBB157_716:                            ;   in Loop: Header=BB157_3 Depth=1
	s_or_b32 exec_lo, exec_lo, s1
	s_and_saveexec_b32 s1, s18
	s_cbranch_execnz .LBB157_1039
.LBB157_717:                            ;   in Loop: Header=BB157_3 Depth=1
	s_or_b32 exec_lo, exec_lo, s1
	s_and_saveexec_b32 s1, s4
	s_cbranch_execz .LBB157_719
.LBB157_718:                            ;   in Loop: Header=BB157_3 Depth=1
	ds_load_b64 v[42:43], v48 offset:15872
	ds_load_b64 v[44:45], v7 offset:16120
	s_wait_dscnt 0x0
	v_pk_mul_f32 v[82:83], v[44:45], v[42:43] op_sel:[1,1] op_sel_hi:[0,1]
	s_delay_alu instid0(VALU_DEP_1) | instskip(SKIP_1) | instid1(VALU_DEP_2)
	v_pk_fma_f32 v[84:85], v[44:45], v[42:43], v[82:83] op_sel_hi:[1,0,1]
	v_pk_fma_f32 v[42:43], v[44:45], v[42:43], v[82:83] neg_lo:[0,0,1] neg_hi:[0,0,1]
	v_mov_b32_e32 v43, v85
	s_delay_alu instid0(VALU_DEP_1)
	v_pk_add_f32 v[40:41], v[40:41], v[42:43]
.LBB157_719:                            ;   in Loop: Header=BB157_3 Depth=1
	s_or_b32 exec_lo, exec_lo, s1
.LBB157_720:                            ;   in Loop: Header=BB157_3 Depth=1
	s_delay_alu instid0(SALU_CYCLE_1) | instskip(NEXT) | instid1(SALU_CYCLE_1)
	s_or_b32 exec_lo, exec_lo, s66
	s_mov_b32 s1, exec_lo
	v_readlane_b32 s8, v92, 1
	s_and_b32 s8, s1, s8
	s_delay_alu instid0(SALU_CYCLE_1)
	s_mov_b32 exec_lo, s8
; %bb.721:                              ;   in Loop: Header=BB157_3 Depth=1
	v_pk_add_f32 v[42:43], v[40:41], 0 neg_lo:[1,1] neg_hi:[1,1]
	ds_store_b64 v58, v[42:43]
; %bb.722:                              ;   in Loop: Header=BB157_3 Depth=1
	s_or_b32 exec_lo, exec_lo, s1
	s_wait_loadcnt_dscnt 0x0
	s_barrier_signal -1
	s_barrier_wait -1
	s_mov_b32 s1, exec_lo
	v_readlane_b32 s8, v92, 2
	s_and_b32 s8, s1, s8
	s_delay_alu instid0(SALU_CYCLE_1)
	s_mov_b32 exec_lo, s8
	s_cbranch_execz .LBB157_724
; %bb.723:                              ;   in Loop: Header=BB157_3 Depth=1
	ds_load_b64 v[42:43], v59 offset:7680
	ds_load_b64 v[44:45], v58
	s_wait_dscnt 0x0
	v_pk_mul_f32 v[82:83], v[44:45], v[42:43] op_sel:[1,1] op_sel_hi:[0,1]
	s_delay_alu instid0(VALU_DEP_1) | instskip(SKIP_1) | instid1(VALU_DEP_2)
	v_pk_fma_f32 v[84:85], v[44:45], v[42:43], v[82:83] op_sel_hi:[1,0,1]
	v_pk_fma_f32 v[42:43], v[44:45], v[42:43], v[82:83] neg_lo:[0,0,1] neg_hi:[0,0,1]
	v_mov_b32_e32 v43, v85
	s_delay_alu instid0(VALU_DEP_1)
	v_pk_add_f32 v[40:41], v[40:41], v[42:43] neg_lo:[0,1] neg_hi:[0,1]
.LBB157_724:                            ;   in Loop: Header=BB157_3 Depth=1
	s_or_b32 exec_lo, exec_lo, s1
	s_barrier_signal -1
	s_barrier_wait -1
	s_mov_b32 s1, exec_lo
	v_readlane_b32 s8, v92, 3
	s_and_b32 s8, s1, s8
	s_delay_alu instid0(SALU_CYCLE_1)
	s_mov_b32 exec_lo, s8
; %bb.725:                              ;   in Loop: Header=BB157_3 Depth=1
	v_pk_add_f32 v[42:43], v[40:41], 0 neg_lo:[1,1] neg_hi:[1,1]
	ds_store_b64 v58, v[42:43]
; %bb.726:                              ;   in Loop: Header=BB157_3 Depth=1
	s_or_b32 exec_lo, exec_lo, s1
	s_wait_dscnt 0x0
	s_barrier_signal -1
	s_barrier_wait -1
	s_mov_b32 s1, exec_lo
	v_readlane_b32 s8, v92, 4
	s_and_b32 s8, s1, s8
	s_delay_alu instid0(SALU_CYCLE_1)
	s_mov_b32 exec_lo, s8
	s_cbranch_execz .LBB157_728
; %bb.727:                              ;   in Loop: Header=BB157_3 Depth=1
	ds_load_b64 v[42:43], v59 offset:7168
	ds_load_b64 v[44:45], v58
	s_wait_dscnt 0x0
	v_pk_mul_f32 v[82:83], v[44:45], v[42:43] op_sel:[1,1] op_sel_hi:[0,1]
	s_delay_alu instid0(VALU_DEP_1) | instskip(SKIP_1) | instid1(VALU_DEP_2)
	v_pk_fma_f32 v[84:85], v[44:45], v[42:43], v[82:83] op_sel_hi:[1,0,1]
	v_pk_fma_f32 v[42:43], v[44:45], v[42:43], v[82:83] neg_lo:[0,0,1] neg_hi:[0,0,1]
	v_mov_b32_e32 v43, v85
	s_delay_alu instid0(VALU_DEP_1)
	v_pk_add_f32 v[40:41], v[40:41], v[42:43] neg_lo:[0,1] neg_hi:[0,1]
.LBB157_728:                            ;   in Loop: Header=BB157_3 Depth=1
	s_or_b32 exec_lo, exec_lo, s1
	s_barrier_signal -1
	s_barrier_wait -1
	s_mov_b32 s1, exec_lo
	v_readlane_b32 s8, v92, 5
	s_and_b32 s8, s1, s8
	s_delay_alu instid0(SALU_CYCLE_1)
	s_mov_b32 exec_lo, s8
; %bb.729:                              ;   in Loop: Header=BB157_3 Depth=1
	v_pk_add_f32 v[42:43], v[40:41], 0 neg_lo:[1,1] neg_hi:[1,1]
	ds_store_b64 v58, v[42:43]
; %bb.730:                              ;   in Loop: Header=BB157_3 Depth=1
	s_or_b32 exec_lo, exec_lo, s1
	s_wait_dscnt 0x0
	s_barrier_signal -1
	s_barrier_wait -1
	s_mov_b32 s1, exec_lo
	v_readlane_b32 s8, v92, 6
	s_and_b32 s8, s1, s8
	s_delay_alu instid0(SALU_CYCLE_1)
	s_mov_b32 exec_lo, s8
	s_cbranch_execz .LBB157_732
; %bb.731:                              ;   in Loop: Header=BB157_3 Depth=1
	ds_load_b64 v[42:43], v59 offset:6656
	ds_load_b64 v[44:45], v58
	s_wait_dscnt 0x0
	v_pk_mul_f32 v[82:83], v[44:45], v[42:43] op_sel:[1,1] op_sel_hi:[0,1]
	s_delay_alu instid0(VALU_DEP_1) | instskip(SKIP_1) | instid1(VALU_DEP_2)
	v_pk_fma_f32 v[84:85], v[44:45], v[42:43], v[82:83] op_sel_hi:[1,0,1]
	v_pk_fma_f32 v[42:43], v[44:45], v[42:43], v[82:83] neg_lo:[0,0,1] neg_hi:[0,0,1]
	v_mov_b32_e32 v43, v85
	s_delay_alu instid0(VALU_DEP_1)
	v_pk_add_f32 v[40:41], v[40:41], v[42:43] neg_lo:[0,1] neg_hi:[0,1]
.LBB157_732:                            ;   in Loop: Header=BB157_3 Depth=1
	s_or_b32 exec_lo, exec_lo, s1
	s_barrier_signal -1
	s_barrier_wait -1
	s_mov_b32 s1, exec_lo
	v_readlane_b32 s8, v92, 7
	s_and_b32 s8, s1, s8
	s_delay_alu instid0(SALU_CYCLE_1)
	s_mov_b32 exec_lo, s8
; %bb.733:                              ;   in Loop: Header=BB157_3 Depth=1
	v_pk_add_f32 v[42:43], v[40:41], 0 neg_lo:[1,1] neg_hi:[1,1]
	ds_store_b64 v58, v[42:43]
; %bb.734:                              ;   in Loop: Header=BB157_3 Depth=1
	s_or_b32 exec_lo, exec_lo, s1
	s_wait_dscnt 0x0
	s_barrier_signal -1
	s_barrier_wait -1
	s_mov_b32 s1, exec_lo
	v_readlane_b32 s8, v92, 8
	s_and_b32 s8, s1, s8
	s_delay_alu instid0(SALU_CYCLE_1)
	s_mov_b32 exec_lo, s8
	s_cbranch_execz .LBB157_736
; %bb.735:                              ;   in Loop: Header=BB157_3 Depth=1
	ds_load_b64 v[42:43], v59 offset:6144
	ds_load_b64 v[44:45], v58
	s_wait_dscnt 0x0
	v_dual_mul_f32 v3, v45, v43 :: v_dual_mul_f32 v43, v44, v43
	s_delay_alu instid0(VALU_DEP_1) | instskip(NEXT) | instid1(VALU_DEP_1)
	v_fmac_f32_e32 v43, v45, v42
	v_dual_fma_f32 v3, v44, v42, -v3 :: v_dual_sub_f32 v41, v41, v43
	s_delay_alu instid0(VALU_DEP_1)
	v_sub_f32_e32 v40, v40, v3
.LBB157_736:                            ;   in Loop: Header=BB157_3 Depth=1
	s_or_b32 exec_lo, exec_lo, s1
	s_barrier_signal -1
	s_barrier_wait -1
	s_mov_b32 s1, exec_lo
	v_readlane_b32 s8, v92, 9
	s_and_b32 s8, s1, s8
	s_delay_alu instid0(SALU_CYCLE_1)
	s_mov_b32 exec_lo, s8
; %bb.737:                              ;   in Loop: Header=BB157_3 Depth=1
	v_pk_add_f32 v[42:43], v[40:41], 0 neg_lo:[1,1] neg_hi:[1,1]
	ds_store_b64 v58, v[42:43]
; %bb.738:                              ;   in Loop: Header=BB157_3 Depth=1
	s_or_b32 exec_lo, exec_lo, s1
	s_wait_dscnt 0x0
	s_barrier_signal -1
	s_barrier_wait -1
	s_and_saveexec_b32 s1, s36
	s_cbranch_execz .LBB157_740
; %bb.739:                              ;   in Loop: Header=BB157_3 Depth=1
	ds_load_b64 v[42:43], v59 offset:5632
	ds_load_b64 v[44:45], v58
	s_wait_dscnt 0x0
	v_dual_mul_f32 v3, v45, v43 :: v_dual_mul_f32 v83, v44, v43
	s_delay_alu instid0(VALU_DEP_1) | instskip(NEXT) | instid1(VALU_DEP_2)
	v_fma_f32 v82, v44, v42, -v3
	v_fmac_f32_e32 v83, v45, v42
	s_delay_alu instid0(VALU_DEP_1)
	v_pk_add_f32 v[40:41], v[40:41], v[82:83] neg_lo:[0,1] neg_hi:[0,1]
.LBB157_740:                            ;   in Loop: Header=BB157_3 Depth=1
	s_or_b32 exec_lo, exec_lo, s1
	s_barrier_signal -1
	s_barrier_wait -1
	s_and_saveexec_b32 s1, s37
; %bb.741:                              ;   in Loop: Header=BB157_3 Depth=1
	v_pk_add_f32 v[42:43], v[40:41], 0 neg_lo:[1,1] neg_hi:[1,1]
	ds_store_b64 v58, v[42:43]
; %bb.742:                              ;   in Loop: Header=BB157_3 Depth=1
	s_or_b32 exec_lo, exec_lo, s1
	s_wait_dscnt 0x0
	s_barrier_signal -1
	s_barrier_wait -1
	s_and_saveexec_b32 s1, s39
	s_cbranch_execz .LBB157_744
; %bb.743:                              ;   in Loop: Header=BB157_3 Depth=1
	ds_load_b64 v[42:43], v59 offset:5120
	ds_load_b64 v[44:45], v58
	s_wait_dscnt 0x0
	v_pk_mul_f32 v[82:83], v[44:45], v[42:43] op_sel:[1,1] op_sel_hi:[0,1]
	s_delay_alu instid0(VALU_DEP_1) | instskip(SKIP_1) | instid1(VALU_DEP_2)
	v_pk_fma_f32 v[84:85], v[44:45], v[42:43], v[82:83] op_sel_hi:[1,0,1]
	v_pk_fma_f32 v[42:43], v[44:45], v[42:43], v[82:83] neg_lo:[0,0,1] neg_hi:[0,0,1]
	v_mov_b32_e32 v43, v85
	s_delay_alu instid0(VALU_DEP_1)
	v_pk_add_f32 v[40:41], v[40:41], v[42:43] neg_lo:[0,1] neg_hi:[0,1]
.LBB157_744:                            ;   in Loop: Header=BB157_3 Depth=1
	s_or_b32 exec_lo, exec_lo, s1
	s_barrier_signal -1
	s_barrier_wait -1
	s_and_saveexec_b32 s1, s40
; %bb.745:                              ;   in Loop: Header=BB157_3 Depth=1
	v_pk_add_f32 v[42:43], v[40:41], 0 neg_lo:[1,1] neg_hi:[1,1]
	ds_store_b64 v58, v[42:43]
; %bb.746:                              ;   in Loop: Header=BB157_3 Depth=1
	s_or_b32 exec_lo, exec_lo, s1
	s_wait_dscnt 0x0
	s_barrier_signal -1
	s_barrier_wait -1
	s_and_saveexec_b32 s1, s41
	s_cbranch_execz .LBB157_748
; %bb.747:                              ;   in Loop: Header=BB157_3 Depth=1
	ds_load_b64 v[42:43], v59 offset:4608
	ds_load_b64 v[44:45], v58
	s_wait_dscnt 0x0
	v_pk_mul_f32 v[82:83], v[44:45], v[42:43] op_sel:[1,1] op_sel_hi:[0,1]
	s_delay_alu instid0(VALU_DEP_1) | instskip(SKIP_1) | instid1(VALU_DEP_2)
	v_pk_fma_f32 v[84:85], v[44:45], v[42:43], v[82:83] op_sel_hi:[1,0,1]
	v_pk_fma_f32 v[42:43], v[44:45], v[42:43], v[82:83] neg_lo:[0,0,1] neg_hi:[0,0,1]
	v_mov_b32_e32 v43, v85
	s_delay_alu instid0(VALU_DEP_1)
	v_pk_add_f32 v[40:41], v[40:41], v[42:43] neg_lo:[0,1] neg_hi:[0,1]
.LBB157_748:                            ;   in Loop: Header=BB157_3 Depth=1
	;; [unrolled: 26-line block ×4, first 2 shown]
	s_or_b32 exec_lo, exec_lo, s1
	s_barrier_signal -1
	s_barrier_wait -1
	s_and_saveexec_b32 s1, s83
; %bb.757:                              ;   in Loop: Header=BB157_3 Depth=1
	v_pk_add_f32 v[42:43], v[40:41], 0 neg_lo:[1,1] neg_hi:[1,1]
	ds_store_b64 v58, v[42:43]
; %bb.758:                              ;   in Loop: Header=BB157_3 Depth=1
	s_or_b32 exec_lo, exec_lo, s1
	s_wait_dscnt 0x0
	s_barrier_signal -1
	s_barrier_wait -1
	s_and_saveexec_b32 s1, s38
	s_cbranch_execz .LBB157_760
; %bb.759:                              ;   in Loop: Header=BB157_3 Depth=1
	ds_load_b64 v[42:43], v59 offset:3072
	ds_load_b64 v[44:45], v58
	s_wait_dscnt 0x0
	v_dual_mul_f32 v3, v45, v43 :: v_dual_mul_f32 v43, v44, v43
	s_delay_alu instid0(VALU_DEP_1) | instskip(NEXT) | instid1(VALU_DEP_1)
	v_fmac_f32_e32 v43, v45, v42
	v_dual_fma_f32 v3, v44, v42, -v3 :: v_dual_sub_f32 v41, v41, v43
	s_delay_alu instid0(VALU_DEP_1)
	v_sub_f32_e32 v40, v40, v3
.LBB157_760:                            ;   in Loop: Header=BB157_3 Depth=1
	s_or_b32 exec_lo, exec_lo, s1
	s_barrier_signal -1
	s_barrier_wait -1
	s_and_saveexec_b32 s1, s21
; %bb.761:                              ;   in Loop: Header=BB157_3 Depth=1
	v_pk_add_f32 v[42:43], v[40:41], 0 neg_lo:[1,1] neg_hi:[1,1]
	ds_store_b64 v58, v[42:43]
; %bb.762:                              ;   in Loop: Header=BB157_3 Depth=1
	s_or_b32 exec_lo, exec_lo, s1
	s_wait_dscnt 0x0
	s_barrier_signal -1
	s_barrier_wait -1
	s_and_saveexec_b32 s1, s23
	s_cbranch_execz .LBB157_764
; %bb.763:                              ;   in Loop: Header=BB157_3 Depth=1
	ds_load_b64 v[42:43], v59 offset:2560
	ds_load_b64 v[44:45], v58
	s_wait_dscnt 0x0
	v_dual_mul_f32 v3, v45, v43 :: v_dual_mul_f32 v83, v44, v43
	s_delay_alu instid0(VALU_DEP_1) | instskip(NEXT) | instid1(VALU_DEP_2)
	v_fma_f32 v82, v44, v42, -v3
	v_fmac_f32_e32 v83, v45, v42
	s_delay_alu instid0(VALU_DEP_1)
	v_pk_add_f32 v[40:41], v[40:41], v[82:83] neg_lo:[0,1] neg_hi:[0,1]
.LBB157_764:                            ;   in Loop: Header=BB157_3 Depth=1
	s_or_b32 exec_lo, exec_lo, s1
	s_barrier_signal -1
	s_barrier_wait -1
	s_and_saveexec_b32 s1, s25
; %bb.765:                              ;   in Loop: Header=BB157_3 Depth=1
	v_pk_add_f32 v[42:43], v[40:41], 0 neg_lo:[1,1] neg_hi:[1,1]
	ds_store_b64 v58, v[42:43]
; %bb.766:                              ;   in Loop: Header=BB157_3 Depth=1
	s_or_b32 exec_lo, exec_lo, s1
	s_wait_dscnt 0x0
	s_barrier_signal -1
	s_barrier_wait -1
	s_and_saveexec_b32 s1, s28
	s_cbranch_execz .LBB157_768
; %bb.767:                              ;   in Loop: Header=BB157_3 Depth=1
	ds_load_b64 v[42:43], v59 offset:2048
	ds_load_b64 v[44:45], v58
	s_wait_dscnt 0x0
	v_pk_mul_f32 v[82:83], v[44:45], v[42:43] op_sel:[1,1] op_sel_hi:[0,1]
	s_delay_alu instid0(VALU_DEP_1) | instskip(SKIP_1) | instid1(VALU_DEP_2)
	v_pk_fma_f32 v[84:85], v[44:45], v[42:43], v[82:83] op_sel_hi:[1,0,1]
	v_pk_fma_f32 v[42:43], v[44:45], v[42:43], v[82:83] neg_lo:[0,0,1] neg_hi:[0,0,1]
	v_mov_b32_e32 v43, v85
	s_delay_alu instid0(VALU_DEP_1)
	v_pk_add_f32 v[40:41], v[40:41], v[42:43] neg_lo:[0,1] neg_hi:[0,1]
.LBB157_768:                            ;   in Loop: Header=BB157_3 Depth=1
	s_or_b32 exec_lo, exec_lo, s1
	s_barrier_signal -1
	s_barrier_wait -1
	s_and_saveexec_b32 s1, s30
; %bb.769:                              ;   in Loop: Header=BB157_3 Depth=1
	v_pk_add_f32 v[42:43], v[40:41], 0 neg_lo:[1,1] neg_hi:[1,1]
	ds_store_b64 v58, v[42:43]
; %bb.770:                              ;   in Loop: Header=BB157_3 Depth=1
	s_or_b32 exec_lo, exec_lo, s1
	s_wait_dscnt 0x0
	s_barrier_signal -1
	s_barrier_wait -1
	s_and_saveexec_b32 s1, s103
	s_cbranch_execz .LBB157_772
; %bb.771:                              ;   in Loop: Header=BB157_3 Depth=1
	ds_load_b64 v[42:43], v59 offset:1536
	ds_load_b64 v[44:45], v58
	s_wait_dscnt 0x0
	v_pk_mul_f32 v[82:83], v[44:45], v[42:43] op_sel:[1,1] op_sel_hi:[0,1]
	s_delay_alu instid0(VALU_DEP_1) | instskip(SKIP_1) | instid1(VALU_DEP_2)
	v_pk_fma_f32 v[84:85], v[44:45], v[42:43], v[82:83] op_sel_hi:[1,0,1]
	v_pk_fma_f32 v[42:43], v[44:45], v[42:43], v[82:83] neg_lo:[0,0,1] neg_hi:[0,0,1]
	v_mov_b32_e32 v43, v85
	s_delay_alu instid0(VALU_DEP_1)
	v_pk_add_f32 v[40:41], v[40:41], v[42:43] neg_lo:[0,1] neg_hi:[0,1]
.LBB157_772:                            ;   in Loop: Header=BB157_3 Depth=1
	s_or_b32 exec_lo, exec_lo, s1
	s_barrier_signal -1
	s_barrier_wait -1
	s_and_saveexec_b32 s1, s64
; %bb.773:                              ;   in Loop: Header=BB157_3 Depth=1
	v_pk_add_f32 v[42:43], v[40:41], 0 neg_lo:[1,1] neg_hi:[1,1]
	ds_store_b64 v58, v[42:43]
; %bb.774:                              ;   in Loop: Header=BB157_3 Depth=1
	s_or_b32 exec_lo, exec_lo, s1
	s_wait_dscnt 0x0
	s_barrier_signal -1
	s_barrier_wait -1
	s_and_saveexec_b32 s1, s65
	s_cbranch_execz .LBB157_776
; %bb.775:                              ;   in Loop: Header=BB157_3 Depth=1
	ds_load_b64 v[42:43], v59 offset:1024
	ds_load_b64 v[44:45], v58
	s_wait_dscnt 0x0
	v_pk_mul_f32 v[82:83], v[44:45], v[42:43] op_sel:[1,1] op_sel_hi:[0,1]
	s_delay_alu instid0(VALU_DEP_1) | instskip(SKIP_1) | instid1(VALU_DEP_2)
	v_pk_fma_f32 v[84:85], v[44:45], v[42:43], v[82:83] op_sel_hi:[1,0,1]
	v_pk_fma_f32 v[42:43], v[44:45], v[42:43], v[82:83] neg_lo:[0,0,1] neg_hi:[0,0,1]
	v_mov_b32_e32 v43, v85
	s_delay_alu instid0(VALU_DEP_1)
	v_pk_add_f32 v[40:41], v[40:41], v[42:43] neg_lo:[0,1] neg_hi:[0,1]
.LBB157_776:                            ;   in Loop: Header=BB157_3 Depth=1
	s_or_b32 exec_lo, exec_lo, s1
	s_barrier_signal -1
	s_barrier_wait -1
	s_and_saveexec_b32 s1, s20
; %bb.777:                              ;   in Loop: Header=BB157_3 Depth=1
	v_pk_add_f32 v[42:43], v[40:41], 0 neg_lo:[1,1] neg_hi:[1,1]
	ds_store_b64 v58, v[42:43]
; %bb.778:                              ;   in Loop: Header=BB157_3 Depth=1
	s_or_b32 exec_lo, exec_lo, s1
	s_wait_dscnt 0x0
	s_barrier_signal -1
	s_barrier_wait -1
	s_and_saveexec_b32 s1, s22
	s_cbranch_execz .LBB157_780
; %bb.779:                              ;   in Loop: Header=BB157_3 Depth=1
	ds_load_b64 v[42:43], v7 offset:512
	ds_load_b64 v[44:45], v58
	s_wait_dscnt 0x0
	v_pk_mul_f32 v[82:83], v[44:45], v[42:43] op_sel:[1,1] op_sel_hi:[0,1]
	s_delay_alu instid0(VALU_DEP_1) | instskip(SKIP_1) | instid1(VALU_DEP_2)
	v_pk_fma_f32 v[84:85], v[44:45], v[42:43], v[82:83] op_sel_hi:[1,0,1]
	v_pk_fma_f32 v[42:43], v[44:45], v[42:43], v[82:83] neg_lo:[0,0,1] neg_hi:[0,0,1]
	v_mov_b32_e32 v43, v85
	s_delay_alu instid0(VALU_DEP_1)
	v_pk_add_f32 v[40:41], v[40:41], v[42:43] neg_lo:[0,1] neg_hi:[0,1]
.LBB157_780:                            ;   in Loop: Header=BB157_3 Depth=1
	s_or_b32 exec_lo, exec_lo, s1
	s_barrier_signal -1
	s_barrier_wait -1
	s_and_saveexec_b32 s1, s22
; %bb.781:                              ;   in Loop: Header=BB157_3 Depth=1
	v_pk_add_f32 v[42:43], v[40:41], 0 neg_lo:[1,1] neg_hi:[1,1]
	ds_store_b64 v58, v[42:43]
; %bb.782:                              ;   in Loop: Header=BB157_3 Depth=1
	s_or_b32 exec_lo, exec_lo, s1
	s_wait_dscnt 0x0
	s_barrier_signal -1
	s_barrier_wait -1
	s_barrier_signal -1
	s_barrier_wait -1
	s_and_saveexec_b32 s1, s6
; %bb.783:                              ;   in Loop: Header=BB157_3 Depth=1
	ds_store_b64 v61, v[40:41] offset:15872
; %bb.784:                              ;   in Loop: Header=BB157_3 Depth=1
	s_or_b32 exec_lo, exec_lo, s1
	s_wait_dscnt 0x0
	s_barrier_signal -1
	s_barrier_wait -1
	s_barrier_signal -1
	s_barrier_wait -1
	s_and_saveexec_b32 s1, s11
; %bb.785:                              ;   in Loop: Header=BB157_3 Depth=1
	v_add_nc_u32_e64 v3, 0x1800, 0
	ds_store_2addr_b64 v3, v[34:35], v[34:35] offset0:142 offset1:207
; %bb.786:                              ;   in Loop: Header=BB157_3 Depth=1
	s_or_b32 exec_lo, exec_lo, s1
	v_dual_mov_b32 v40, 0 :: v_dual_mov_b32 v41, 0
	s_wait_dscnt 0x0
	s_barrier_signal -1
	s_barrier_wait -1
	global_wb scope:SCOPE_DEV
	s_wait_storecnt 0x0
	global_inv scope:SCOPE_DEV
	s_and_saveexec_b32 s1, s3
	s_cbranch_execz .LBB157_790
; %bb.787:                              ;   in Loop: Header=BB157_3 Depth=1
	ds_load_b64 v[40:41], v46 offset:7264
	ds_load_b64 v[42:43], v47 offset:7792
	s_wait_dscnt 0x0
	v_pk_mul_f32 v[44:45], v[42:43], v[40:41] op_sel:[1,1] op_sel_hi:[0,1]
	s_delay_alu instid0(VALU_DEP_1) | instskip(SKIP_1) | instid1(VALU_DEP_2)
	v_pk_fma_f32 v[82:83], v[42:43], v[40:41], v[44:45] op_sel_hi:[1,0,1]
	v_pk_fma_f32 v[40:41], v[42:43], v[40:41], v[44:45] neg_lo:[0,0,1] neg_hi:[0,0,1]
	v_mov_b32_e32 v41, v83
	s_delay_alu instid0(VALU_DEP_1)
	v_pk_add_f32 v[40:41], v[40:41], 0 op_sel_hi:[1,0]
	s_and_saveexec_b32 s8, s12
	s_cbranch_execz .LBB157_789
; %bb.788:                              ;   in Loop: Header=BB157_3 Depth=1
	ds_load_b64 v[42:43], v48 offset:7776
	ds_load_b64 v[44:45], v7 offset:7800
	s_wait_dscnt 0x0
	v_pk_mul_f32 v[82:83], v[44:45], v[42:43] op_sel:[1,1] op_sel_hi:[0,1]
	s_delay_alu instid0(VALU_DEP_1) | instskip(SKIP_1) | instid1(VALU_DEP_2)
	v_pk_fma_f32 v[84:85], v[44:45], v[42:43], v[82:83] op_sel_hi:[1,0,1]
	v_pk_fma_f32 v[42:43], v[44:45], v[42:43], v[82:83] neg_lo:[0,0,1] neg_hi:[0,0,1]
	v_mov_b32_e32 v43, v85
	s_delay_alu instid0(VALU_DEP_1)
	v_pk_add_f32 v[40:41], v[40:41], v[42:43]
.LBB157_789:                            ;   in Loop: Header=BB157_3 Depth=1
	s_or_b32 exec_lo, exec_lo, s8
.LBB157_790:                            ;   in Loop: Header=BB157_3 Depth=1
	s_delay_alu instid0(SALU_CYCLE_1)
	s_or_b32 exec_lo, exec_lo, s1
	s_and_saveexec_b32 s1, vcc_hi
; %bb.791:                              ;   in Loop: Header=BB157_3 Depth=1
	s_delay_alu instid0(VALU_DEP_1)
	v_pk_add_f32 v[42:43], v[40:41], 0 neg_lo:[1,1] neg_hi:[1,1]
	ds_store_b64 v5, v[42:43]
; %bb.792:                              ;   in Loop: Header=BB157_3 Depth=1
	s_or_b32 exec_lo, exec_lo, s1
	s_wait_loadcnt_dscnt 0x0
	s_barrier_signal -1
	s_barrier_wait -1
	s_and_saveexec_b32 s1, s43
	s_cbranch_execz .LBB157_794
; %bb.793:                              ;   in Loop: Header=BB157_3 Depth=1
	ds_load_b64 v[42:43], v7 offset:6752
	ds_load_b64 v[44:45], v5
	s_wait_dscnt 0x0
	v_pk_mul_f32 v[82:83], v[44:45], v[42:43] op_sel_hi:[1,0]
	s_delay_alu instid0(VALU_DEP_1) | instskip(SKIP_1) | instid1(VALU_DEP_2)
	v_pk_fma_f32 v[84:85], v[44:45], v[42:43], v[82:83] op_sel:[1,1,0] op_sel_hi:[0,1,1]
	v_pk_fma_f32 v[42:43], v[44:45], v[42:43], v[82:83] op_sel:[1,1,0] op_sel_hi:[0,1,1] neg_lo:[0,0,1] neg_hi:[0,0,1]
	v_pk_add_f32 v[44:45], v[40:41], v[84:85] neg_lo:[0,1] neg_hi:[0,1]
	s_delay_alu instid0(VALU_DEP_2) | instskip(NEXT) | instid1(VALU_DEP_2)
	v_pk_add_f32 v[40:41], v[40:41], v[42:43]
	v_mov_b32_e32 v41, v45
.LBB157_794:                            ;   in Loop: Header=BB157_3 Depth=1
	s_or_b32 exec_lo, exec_lo, s1
	s_barrier_signal -1
	s_barrier_wait -1
	s_and_saveexec_b32 s1, s43
; %bb.795:                              ;   in Loop: Header=BB157_3 Depth=1
	v_pk_add_f32 v[42:43], v[40:41], 0 neg_lo:[1,1] neg_hi:[1,1]
	ds_store_b64 v5, v[42:43]
; %bb.796:                              ;   in Loop: Header=BB157_3 Depth=1
	s_or_b32 exec_lo, exec_lo, s1
	s_wait_dscnt 0x0
	s_barrier_signal -1
	s_barrier_wait -1
	s_barrier_signal -1
	s_barrier_wait -1
	s_and_saveexec_b32 s1, s3
; %bb.797:                              ;   in Loop: Header=BB157_3 Depth=1
	ds_store_b64 v49, v[40:41] offset:7776
; %bb.798:                              ;   in Loop: Header=BB157_3 Depth=1
	s_or_b32 exec_lo, exec_lo, s1
	s_wait_dscnt 0x0
	s_barrier_signal -1
	s_barrier_wait -1
	s_barrier_signal -1
	s_barrier_wait -1
	s_and_saveexec_b32 s1, s11
; %bb.799:                              ;   in Loop: Header=BB157_3 Depth=1
	v_add_nc_u32_e64 v3, 0x1800, 0
	ds_store_2addr_b64 v3, v[34:35], v[34:35] offset0:12 offset1:77
; %bb.800:                              ;   in Loop: Header=BB157_3 Depth=1
	s_or_b32 exec_lo, exec_lo, s1
	v_mov_b64_e32 v[40:41], 0
	s_wait_dscnt 0x0
	s_barrier_signal -1
	s_barrier_wait -1
	global_wb scope:SCOPE_DEV
	s_wait_storecnt 0x0
	global_inv scope:SCOPE_DEV
	s_and_saveexec_b32 s1, s4
	s_cbranch_execz .LBB157_806
; %bb.801:                              ;   in Loop: Header=BB157_3 Depth=1
	ds_load_b64 v[40:41], v51 offset:6208
	ds_load_b64 v[42:43], v52 offset:7776
	s_wait_dscnt 0x0
	v_dual_mul_f32 v3, v43, v41 :: v_dual_mul_f32 v41, v42, v41
	s_delay_alu instid0(VALU_DEP_1) | instskip(NEXT) | instid1(VALU_DEP_1)
	v_dual_fma_f32 v3, v42, v40, -v3 :: v_dual_fmac_f32 v41, v43, v40
	v_dual_add_f32 v40, 0, v3 :: v_dual_add_f32 v41, 0, v41
	s_and_saveexec_b32 s8, s13
	s_cbranch_execnz .LBB157_1040
; %bb.802:                              ;   in Loop: Header=BB157_3 Depth=1
	s_or_b32 exec_lo, exec_lo, s8
	s_and_saveexec_b32 s8, s14
	s_cbranch_execnz .LBB157_1041
.LBB157_803:                            ;   in Loop: Header=BB157_3 Depth=1
	s_or_b32 exec_lo, exec_lo, s8
	s_and_saveexec_b32 s8, s3
	s_cbranch_execz .LBB157_805
.LBB157_804:                            ;   in Loop: Header=BB157_3 Depth=1
	ds_load_b64 v[42:43], v48 offset:7744
	ds_load_b64 v[44:45], v7 offset:7800
	s_wait_dscnt 0x0
	v_pk_mul_f32 v[82:83], v[44:45], v[42:43] op_sel:[1,1] op_sel_hi:[0,1]
	s_delay_alu instid0(VALU_DEP_1) | instskip(SKIP_1) | instid1(VALU_DEP_2)
	v_pk_fma_f32 v[84:85], v[44:45], v[42:43], v[82:83] op_sel_hi:[1,0,1]
	v_pk_fma_f32 v[42:43], v[44:45], v[42:43], v[82:83] neg_lo:[0,0,1] neg_hi:[0,0,1]
	v_mov_b32_e32 v43, v85
	s_delay_alu instid0(VALU_DEP_1)
	v_pk_add_f32 v[40:41], v[40:41], v[42:43]
.LBB157_805:                            ;   in Loop: Header=BB157_3 Depth=1
	s_or_b32 exec_lo, exec_lo, s8
.LBB157_806:                            ;   in Loop: Header=BB157_3 Depth=1
	s_delay_alu instid0(SALU_CYCLE_1)
	s_or_b32 exec_lo, exec_lo, s1
	s_and_saveexec_b32 s1, s44
; %bb.807:                              ;   in Loop: Header=BB157_3 Depth=1
	s_delay_alu instid0(VALU_DEP_1)
	v_pk_add_f32 v[42:43], v[40:41], 0 neg_lo:[1,1] neg_hi:[1,1]
	ds_store_b64 v50, v[42:43]
; %bb.808:                              ;   in Loop: Header=BB157_3 Depth=1
	s_or_b32 exec_lo, exec_lo, s1
	s_wait_loadcnt_dscnt 0x0
	s_barrier_signal -1
	s_barrier_wait -1
	s_and_saveexec_b32 s1, s45
	s_cbranch_execz .LBB157_810
; %bb.809:                              ;   in Loop: Header=BB157_3 Depth=1
	ds_load_b64 v[42:43], v51 offset:5696
	ds_load_b64 v[44:45], v50
	s_wait_dscnt 0x0
	v_pk_mul_f32 v[82:83], v[44:45], v[42:43] op_sel:[1,1] op_sel_hi:[0,1]
	s_delay_alu instid0(VALU_DEP_1) | instskip(SKIP_1) | instid1(VALU_DEP_2)
	v_pk_fma_f32 v[84:85], v[44:45], v[42:43], v[82:83] op_sel_hi:[1,0,1]
	v_pk_fma_f32 v[42:43], v[44:45], v[42:43], v[82:83] neg_lo:[0,0,1] neg_hi:[0,0,1]
	v_mov_b32_e32 v43, v85
	s_delay_alu instid0(VALU_DEP_1)
	v_pk_add_f32 v[40:41], v[40:41], v[42:43] neg_lo:[0,1] neg_hi:[0,1]
.LBB157_810:                            ;   in Loop: Header=BB157_3 Depth=1
	s_or_b32 exec_lo, exec_lo, s1
	s_barrier_signal -1
	s_barrier_wait -1
	s_and_saveexec_b32 s1, s46
; %bb.811:                              ;   in Loop: Header=BB157_3 Depth=1
	v_pk_add_f32 v[42:43], v[40:41], 0 neg_lo:[1,1] neg_hi:[1,1]
	ds_store_b64 v50, v[42:43]
; %bb.812:                              ;   in Loop: Header=BB157_3 Depth=1
	s_or_b32 exec_lo, exec_lo, s1
	s_wait_dscnt 0x0
	s_barrier_signal -1
	s_barrier_wait -1
	s_and_saveexec_b32 s1, s47
	s_cbranch_execz .LBB157_814
; %bb.813:                              ;   in Loop: Header=BB157_3 Depth=1
	ds_load_b64 v[42:43], v51 offset:5184
	ds_load_b64 v[44:45], v50
	s_wait_dscnt 0x0
	v_pk_mul_f32 v[82:83], v[44:45], v[42:43] op_sel:[1,1] op_sel_hi:[0,1]
	s_delay_alu instid0(VALU_DEP_1) | instskip(SKIP_1) | instid1(VALU_DEP_2)
	v_pk_fma_f32 v[84:85], v[44:45], v[42:43], v[82:83] op_sel_hi:[1,0,1]
	v_pk_fma_f32 v[42:43], v[44:45], v[42:43], v[82:83] neg_lo:[0,0,1] neg_hi:[0,0,1]
	v_mov_b32_e32 v43, v85
	s_delay_alu instid0(VALU_DEP_1)
	v_pk_add_f32 v[40:41], v[40:41], v[42:43] neg_lo:[0,1] neg_hi:[0,1]
.LBB157_814:                            ;   in Loop: Header=BB157_3 Depth=1
	s_or_b32 exec_lo, exec_lo, s1
	s_barrier_signal -1
	s_barrier_wait -1
	s_and_saveexec_b32 s1, s48
; %bb.815:                              ;   in Loop: Header=BB157_3 Depth=1
	v_pk_add_f32 v[42:43], v[40:41], 0 neg_lo:[1,1] neg_hi:[1,1]
	ds_store_b64 v50, v[42:43]
; %bb.816:                              ;   in Loop: Header=BB157_3 Depth=1
	s_or_b32 exec_lo, exec_lo, s1
	s_wait_dscnt 0x0
	;; [unrolled: 26-line block ×3, first 2 shown]
	s_barrier_signal -1
	s_barrier_wait -1
	s_barrier_signal -1
	s_barrier_wait -1
	s_and_saveexec_b32 s1, s4
; %bb.821:                              ;   in Loop: Header=BB157_3 Depth=1
	ds_store_b64 v53, v[40:41] offset:7744
; %bb.822:                              ;   in Loop: Header=BB157_3 Depth=1
	s_or_b32 exec_lo, exec_lo, s1
	s_wait_dscnt 0x0
	s_barrier_signal -1
	s_barrier_wait -1
	s_barrier_signal -1
	s_barrier_wait -1
	s_and_saveexec_b32 s1, s11
; %bb.823:                              ;   in Loop: Header=BB157_3 Depth=1
	v_add_nc_u32_e64 v3, 0x1000, 0
	ds_store_2addr_b64 v3, v[34:35], v[34:35] offset0:138 offset1:203
; %bb.824:                              ;   in Loop: Header=BB157_3 Depth=1
	s_or_b32 exec_lo, exec_lo, s1
	v_dual_mov_b32 v40, 0 :: v_dual_mov_b32 v41, 0
	s_wait_dscnt 0x0
	s_barrier_signal -1
	s_barrier_wait -1
	global_wb scope:SCOPE_DEV
	s_wait_storecnt 0x0
	global_inv scope:SCOPE_DEV
	s_and_saveexec_b32 s1, s3
	s_cbranch_execz .LBB157_828
; %bb.825:                              ;   in Loop: Header=BB157_3 Depth=1
	ds_load_b64 v[40:41], v46 offset:5184
	ds_load_b64 v[42:43], v47 offset:5712
	s_wait_dscnt 0x0
	v_pk_mul_f32 v[44:45], v[42:43], v[40:41] op_sel:[1,1] op_sel_hi:[0,1]
	s_delay_alu instid0(VALU_DEP_1) | instskip(SKIP_1) | instid1(VALU_DEP_2)
	v_pk_fma_f32 v[82:83], v[42:43], v[40:41], v[44:45] op_sel_hi:[1,0,1]
	v_pk_fma_f32 v[40:41], v[42:43], v[40:41], v[44:45] neg_lo:[0,0,1] neg_hi:[0,0,1]
	v_mov_b32_e32 v41, v83
	s_delay_alu instid0(VALU_DEP_1)
	v_pk_add_f32 v[40:41], v[40:41], 0 op_sel_hi:[1,0]
	s_and_saveexec_b32 s8, s12
	s_cbranch_execz .LBB157_827
; %bb.826:                              ;   in Loop: Header=BB157_3 Depth=1
	ds_load_b64 v[42:43], v48 offset:5696
	ds_load_b64 v[44:45], v7 offset:5720
	s_wait_dscnt 0x0
	v_pk_mul_f32 v[82:83], v[44:45], v[42:43] op_sel:[1,1] op_sel_hi:[0,1]
	s_delay_alu instid0(VALU_DEP_1) | instskip(SKIP_1) | instid1(VALU_DEP_2)
	v_pk_fma_f32 v[84:85], v[44:45], v[42:43], v[82:83] op_sel_hi:[1,0,1]
	v_pk_fma_f32 v[42:43], v[44:45], v[42:43], v[82:83] neg_lo:[0,0,1] neg_hi:[0,0,1]
	v_mov_b32_e32 v43, v85
	s_delay_alu instid0(VALU_DEP_1)
	v_pk_add_f32 v[40:41], v[40:41], v[42:43]
.LBB157_827:                            ;   in Loop: Header=BB157_3 Depth=1
	s_or_b32 exec_lo, exec_lo, s8
.LBB157_828:                            ;   in Loop: Header=BB157_3 Depth=1
	s_delay_alu instid0(SALU_CYCLE_1)
	s_or_b32 exec_lo, exec_lo, s1
	s_and_saveexec_b32 s1, vcc_hi
; %bb.829:                              ;   in Loop: Header=BB157_3 Depth=1
	s_delay_alu instid0(VALU_DEP_1)
	v_pk_add_f32 v[42:43], v[40:41], 0 neg_lo:[1,1] neg_hi:[1,1]
	ds_store_b64 v5, v[42:43]
; %bb.830:                              ;   in Loop: Header=BB157_3 Depth=1
	s_or_b32 exec_lo, exec_lo, s1
	s_wait_loadcnt_dscnt 0x0
	s_barrier_signal -1
	s_barrier_wait -1
	s_and_saveexec_b32 s1, s43
	s_cbranch_execz .LBB157_832
; %bb.831:                              ;   in Loop: Header=BB157_3 Depth=1
	ds_load_b64 v[42:43], v7 offset:4672
	ds_load_b64 v[44:45], v5
	s_wait_dscnt 0x0
	v_pk_mul_f32 v[82:83], v[44:45], v[42:43] op_sel_hi:[1,0]
	s_delay_alu instid0(VALU_DEP_1) | instskip(SKIP_1) | instid1(VALU_DEP_2)
	v_pk_fma_f32 v[84:85], v[44:45], v[42:43], v[82:83] op_sel:[1,1,0] op_sel_hi:[0,1,1]
	v_pk_fma_f32 v[42:43], v[44:45], v[42:43], v[82:83] op_sel:[1,1,0] op_sel_hi:[0,1,1] neg_lo:[0,0,1] neg_hi:[0,0,1]
	v_pk_add_f32 v[44:45], v[40:41], v[84:85] neg_lo:[0,1] neg_hi:[0,1]
	s_delay_alu instid0(VALU_DEP_2) | instskip(NEXT) | instid1(VALU_DEP_2)
	v_pk_add_f32 v[40:41], v[40:41], v[42:43]
	v_mov_b32_e32 v41, v45
.LBB157_832:                            ;   in Loop: Header=BB157_3 Depth=1
	s_or_b32 exec_lo, exec_lo, s1
	s_barrier_signal -1
	s_barrier_wait -1
	s_and_saveexec_b32 s1, s43
; %bb.833:                              ;   in Loop: Header=BB157_3 Depth=1
	v_pk_add_f32 v[42:43], v[40:41], 0 neg_lo:[1,1] neg_hi:[1,1]
	ds_store_b64 v5, v[42:43]
; %bb.834:                              ;   in Loop: Header=BB157_3 Depth=1
	s_or_b32 exec_lo, exec_lo, s1
	s_wait_dscnt 0x0
	s_barrier_signal -1
	s_barrier_wait -1
	s_barrier_signal -1
	s_barrier_wait -1
	s_and_saveexec_b32 s1, s3
; %bb.835:                              ;   in Loop: Header=BB157_3 Depth=1
	ds_store_b64 v49, v[40:41] offset:5696
; %bb.836:                              ;   in Loop: Header=BB157_3 Depth=1
	s_or_b32 exec_lo, exec_lo, s1
	s_wait_dscnt 0x0
	s_barrier_signal -1
	s_barrier_wait -1
	s_barrier_signal -1
	s_barrier_wait -1
	s_and_saveexec_b32 s1, s11
; %bb.837:                              ;   in Loop: Header=BB157_3 Depth=1
	v_add_nc_u32_e64 v3, 0x1000, 0
	ds_store_2addr_b64 v3, v[34:35], v[34:35] offset0:8 offset1:73
; %bb.838:                              ;   in Loop: Header=BB157_3 Depth=1
	s_or_b32 exec_lo, exec_lo, s1
	v_mov_b64_e32 v[40:41], 0
	s_wait_dscnt 0x0
	s_barrier_signal -1
	s_barrier_wait -1
	global_wb scope:SCOPE_DEV
	s_wait_storecnt 0x0
	global_inv scope:SCOPE_DEV
	s_and_saveexec_b32 s1, s5
	s_cbranch_execz .LBB157_848
; %bb.839:                              ;   in Loop: Header=BB157_3 Depth=1
	ds_load_b64 v[40:41], v55 offset:4096
	ds_load_b64 v[42:43], v56 offset:7744
	s_wait_dscnt 0x0
	v_dual_mul_f32 v3, v43, v41 :: v_dual_mul_f32 v41, v42, v41
	s_delay_alu instid0(VALU_DEP_1) | instskip(NEXT) | instid1(VALU_DEP_1)
	v_dual_fma_f32 v3, v42, v40, -v3 :: v_dual_fmac_f32 v41, v43, v40
	v_dual_add_f32 v40, 0, v3 :: v_dual_add_f32 v41, 0, v41
	s_and_saveexec_b32 s8, s15
	s_cbranch_execnz .LBB157_1042
; %bb.840:                              ;   in Loop: Header=BB157_3 Depth=1
	s_or_b32 exec_lo, exec_lo, s8
	s_and_saveexec_b32 s8, s16
	s_cbranch_execnz .LBB157_1043
.LBB157_841:                            ;   in Loop: Header=BB157_3 Depth=1
	s_or_b32 exec_lo, exec_lo, s8
	s_and_saveexec_b32 s8, s17
	s_cbranch_execnz .LBB157_1044
.LBB157_842:                            ;   in Loop: Header=BB157_3 Depth=1
	s_or_b32 exec_lo, exec_lo, s8
	s_and_saveexec_b32 s8, s18
	s_cbranch_execnz .LBB157_1045
.LBB157_843:                            ;   in Loop: Header=BB157_3 Depth=1
	s_or_b32 exec_lo, exec_lo, s8
	s_and_saveexec_b32 s8, s19
	s_cbranch_execnz .LBB157_1046
.LBB157_844:                            ;   in Loop: Header=BB157_3 Depth=1
	s_or_b32 exec_lo, exec_lo, s8
	s_and_saveexec_b32 s8, s4
	s_cbranch_execnz .LBB157_1047
.LBB157_845:                            ;   in Loop: Header=BB157_3 Depth=1
	s_or_b32 exec_lo, exec_lo, s8
	s_and_saveexec_b32 s8, s14
	s_cbranch_execz .LBB157_847
.LBB157_846:                            ;   in Loop: Header=BB157_3 Depth=1
	ds_load_b64 v[42:43], v48 offset:7680
	ds_load_b64 v[44:45], v7 offset:7800
	s_wait_dscnt 0x0
	v_pk_mul_f32 v[82:83], v[44:45], v[42:43] op_sel:[1,1] op_sel_hi:[0,1]
	s_delay_alu instid0(VALU_DEP_1) | instskip(SKIP_1) | instid1(VALU_DEP_2)
	v_pk_fma_f32 v[84:85], v[44:45], v[42:43], v[82:83] op_sel_hi:[1,0,1]
	v_pk_fma_f32 v[42:43], v[44:45], v[42:43], v[82:83] neg_lo:[0,0,1] neg_hi:[0,0,1]
	v_mov_b32_e32 v43, v85
	s_delay_alu instid0(VALU_DEP_1)
	v_pk_add_f32 v[40:41], v[40:41], v[42:43]
.LBB157_847:                            ;   in Loop: Header=BB157_3 Depth=1
	s_or_b32 exec_lo, exec_lo, s8
.LBB157_848:                            ;   in Loop: Header=BB157_3 Depth=1
	s_delay_alu instid0(SALU_CYCLE_1)
	s_or_b32 exec_lo, exec_lo, s1
	s_and_saveexec_b32 s1, s50
; %bb.849:                              ;   in Loop: Header=BB157_3 Depth=1
	s_delay_alu instid0(VALU_DEP_1)
	v_pk_add_f32 v[42:43], v[40:41], 0 neg_lo:[1,1] neg_hi:[1,1]
	ds_store_b64 v54, v[42:43]
; %bb.850:                              ;   in Loop: Header=BB157_3 Depth=1
	s_or_b32 exec_lo, exec_lo, s1
	s_wait_loadcnt_dscnt 0x0
	s_barrier_signal -1
	s_barrier_wait -1
	s_and_saveexec_b32 s1, s51
	s_cbranch_execz .LBB157_852
; %bb.851:                              ;   in Loop: Header=BB157_3 Depth=1
	ds_load_b64 v[42:43], v55 offset:3584
	ds_load_b64 v[44:45], v54
	s_wait_dscnt 0x0
	v_pk_mul_f32 v[82:83], v[44:45], v[42:43] op_sel:[1,1] op_sel_hi:[0,1]
	s_delay_alu instid0(VALU_DEP_1) | instskip(SKIP_1) | instid1(VALU_DEP_2)
	v_pk_fma_f32 v[84:85], v[44:45], v[42:43], v[82:83] op_sel_hi:[1,0,1]
	v_pk_fma_f32 v[42:43], v[44:45], v[42:43], v[82:83] neg_lo:[0,0,1] neg_hi:[0,0,1]
	v_mov_b32_e32 v43, v85
	s_delay_alu instid0(VALU_DEP_1)
	v_pk_add_f32 v[40:41], v[40:41], v[42:43] neg_lo:[0,1] neg_hi:[0,1]
.LBB157_852:                            ;   in Loop: Header=BB157_3 Depth=1
	s_or_b32 exec_lo, exec_lo, s1
	s_barrier_signal -1
	s_barrier_wait -1
	s_and_saveexec_b32 s1, s52
; %bb.853:                              ;   in Loop: Header=BB157_3 Depth=1
	v_pk_add_f32 v[42:43], v[40:41], 0 neg_lo:[1,1] neg_hi:[1,1]
	ds_store_b64 v54, v[42:43]
; %bb.854:                              ;   in Loop: Header=BB157_3 Depth=1
	s_or_b32 exec_lo, exec_lo, s1
	s_wait_dscnt 0x0
	s_barrier_signal -1
	s_barrier_wait -1
	s_and_saveexec_b32 s1, s53
	s_cbranch_execz .LBB157_856
; %bb.855:                              ;   in Loop: Header=BB157_3 Depth=1
	ds_load_b64 v[42:43], v55 offset:3072
	ds_load_b64 v[44:45], v54
	s_wait_dscnt 0x0
	v_dual_mul_f32 v3, v45, v43 :: v_dual_mul_f32 v43, v44, v43
	s_delay_alu instid0(VALU_DEP_1) | instskip(NEXT) | instid1(VALU_DEP_1)
	v_fmac_f32_e32 v43, v45, v42
	v_dual_fma_f32 v3, v44, v42, -v3 :: v_dual_sub_f32 v41, v41, v43
	s_delay_alu instid0(VALU_DEP_1)
	v_sub_f32_e32 v40, v40, v3
.LBB157_856:                            ;   in Loop: Header=BB157_3 Depth=1
	s_or_b32 exec_lo, exec_lo, s1
	s_barrier_signal -1
	s_barrier_wait -1
	s_and_saveexec_b32 s1, s54
; %bb.857:                              ;   in Loop: Header=BB157_3 Depth=1
	v_pk_add_f32 v[42:43], v[40:41], 0 neg_lo:[1,1] neg_hi:[1,1]
	ds_store_b64 v54, v[42:43]
; %bb.858:                              ;   in Loop: Header=BB157_3 Depth=1
	s_or_b32 exec_lo, exec_lo, s1
	s_wait_dscnt 0x0
	s_barrier_signal -1
	s_barrier_wait -1
	s_and_saveexec_b32 s1, s55
	s_cbranch_execz .LBB157_860
; %bb.859:                              ;   in Loop: Header=BB157_3 Depth=1
	ds_load_b64 v[42:43], v55 offset:2560
	ds_load_b64 v[44:45], v54
	s_wait_dscnt 0x0
	v_dual_mul_f32 v3, v45, v43 :: v_dual_mul_f32 v83, v44, v43
	s_delay_alu instid0(VALU_DEP_1) | instskip(NEXT) | instid1(VALU_DEP_2)
	v_fma_f32 v82, v44, v42, -v3
	v_fmac_f32_e32 v83, v45, v42
	s_delay_alu instid0(VALU_DEP_1)
	v_pk_add_f32 v[40:41], v[40:41], v[82:83] neg_lo:[0,1] neg_hi:[0,1]
.LBB157_860:                            ;   in Loop: Header=BB157_3 Depth=1
	s_or_b32 exec_lo, exec_lo, s1
	s_barrier_signal -1
	s_barrier_wait -1
	s_and_saveexec_b32 s1, s56
; %bb.861:                              ;   in Loop: Header=BB157_3 Depth=1
	v_pk_add_f32 v[42:43], v[40:41], 0 neg_lo:[1,1] neg_hi:[1,1]
	ds_store_b64 v54, v[42:43]
; %bb.862:                              ;   in Loop: Header=BB157_3 Depth=1
	s_or_b32 exec_lo, exec_lo, s1
	s_wait_dscnt 0x0
	s_barrier_signal -1
	s_barrier_wait -1
	s_and_saveexec_b32 s1, s57
	s_cbranch_execz .LBB157_864
; %bb.863:                              ;   in Loop: Header=BB157_3 Depth=1
	ds_load_b64 v[42:43], v55 offset:2048
	ds_load_b64 v[44:45], v54
	s_wait_dscnt 0x0
	v_pk_mul_f32 v[82:83], v[44:45], v[42:43] op_sel:[1,1] op_sel_hi:[0,1]
	s_delay_alu instid0(VALU_DEP_1) | instskip(SKIP_1) | instid1(VALU_DEP_2)
	v_pk_fma_f32 v[84:85], v[44:45], v[42:43], v[82:83] op_sel_hi:[1,0,1]
	v_pk_fma_f32 v[42:43], v[44:45], v[42:43], v[82:83] neg_lo:[0,0,1] neg_hi:[0,0,1]
	v_mov_b32_e32 v43, v85
	s_delay_alu instid0(VALU_DEP_1)
	v_pk_add_f32 v[40:41], v[40:41], v[42:43] neg_lo:[0,1] neg_hi:[0,1]
.LBB157_864:                            ;   in Loop: Header=BB157_3 Depth=1
	s_or_b32 exec_lo, exec_lo, s1
	s_barrier_signal -1
	s_barrier_wait -1
	s_and_saveexec_b32 s1, s58
; %bb.865:                              ;   in Loop: Header=BB157_3 Depth=1
	v_pk_add_f32 v[42:43], v[40:41], 0 neg_lo:[1,1] neg_hi:[1,1]
	ds_store_b64 v54, v[42:43]
; %bb.866:                              ;   in Loop: Header=BB157_3 Depth=1
	s_or_b32 exec_lo, exec_lo, s1
	s_wait_dscnt 0x0
	s_barrier_signal -1
	s_barrier_wait -1
	s_and_saveexec_b32 s1, s59
	s_cbranch_execz .LBB157_868
; %bb.867:                              ;   in Loop: Header=BB157_3 Depth=1
	ds_load_b64 v[42:43], v55 offset:1536
	ds_load_b64 v[44:45], v54
	s_wait_dscnt 0x0
	v_pk_mul_f32 v[82:83], v[44:45], v[42:43] op_sel:[1,1] op_sel_hi:[0,1]
	s_delay_alu instid0(VALU_DEP_1) | instskip(SKIP_1) | instid1(VALU_DEP_2)
	v_pk_fma_f32 v[84:85], v[44:45], v[42:43], v[82:83] op_sel_hi:[1,0,1]
	v_pk_fma_f32 v[42:43], v[44:45], v[42:43], v[82:83] neg_lo:[0,0,1] neg_hi:[0,0,1]
	v_mov_b32_e32 v43, v85
	s_delay_alu instid0(VALU_DEP_1)
	v_pk_add_f32 v[40:41], v[40:41], v[42:43] neg_lo:[0,1] neg_hi:[0,1]
.LBB157_868:                            ;   in Loop: Header=BB157_3 Depth=1
	;; [unrolled: 26-line block ×4, first 2 shown]
	s_or_b32 exec_lo, exec_lo, s1
	s_barrier_signal -1
	s_barrier_wait -1
	s_and_saveexec_b32 s1, s63
; %bb.877:                              ;   in Loop: Header=BB157_3 Depth=1
	v_pk_add_f32 v[42:43], v[40:41], 0 neg_lo:[1,1] neg_hi:[1,1]
	ds_store_b64 v54, v[42:43]
; %bb.878:                              ;   in Loop: Header=BB157_3 Depth=1
	s_or_b32 exec_lo, exec_lo, s1
	s_wait_dscnt 0x0
	s_barrier_signal -1
	s_barrier_wait -1
	s_barrier_signal -1
	s_barrier_wait -1
	s_and_saveexec_b32 s1, s5
; %bb.879:                              ;   in Loop: Header=BB157_3 Depth=1
	ds_store_b64 v57, v[40:41] offset:7680
; %bb.880:                              ;   in Loop: Header=BB157_3 Depth=1
	s_or_b32 exec_lo, exec_lo, s1
	s_wait_dscnt 0x0
	s_barrier_signal -1
	s_barrier_wait -1
	s_barrier_signal -1
	s_barrier_wait -1
	s_and_saveexec_b32 s1, s11
; %bb.881:                              ;   in Loop: Header=BB157_3 Depth=1
	v_add_nc_u32_e64 v3, 0x800, 0
	ds_store_2addr_b64 v3, v[34:35], v[34:35] offset0:134 offset1:199
; %bb.882:                              ;   in Loop: Header=BB157_3 Depth=1
	s_or_b32 exec_lo, exec_lo, s1
	v_dual_mov_b32 v40, 0 :: v_dual_mov_b32 v41, 0
	s_wait_dscnt 0x0
	s_barrier_signal -1
	s_barrier_wait -1
	global_wb scope:SCOPE_DEV
	s_wait_storecnt 0x0
	global_inv scope:SCOPE_DEV
	s_and_saveexec_b32 s1, s3
	s_cbranch_execz .LBB157_886
; %bb.883:                              ;   in Loop: Header=BB157_3 Depth=1
	ds_load_b64 v[40:41], v46 offset:3104
	ds_load_b64 v[42:43], v47 offset:3632
	s_wait_dscnt 0x0
	v_pk_mul_f32 v[44:45], v[42:43], v[40:41] op_sel:[1,1] op_sel_hi:[0,1]
	s_delay_alu instid0(VALU_DEP_1) | instskip(SKIP_1) | instid1(VALU_DEP_2)
	v_pk_fma_f32 v[82:83], v[42:43], v[40:41], v[44:45] op_sel_hi:[1,0,1]
	v_pk_fma_f32 v[40:41], v[42:43], v[40:41], v[44:45] neg_lo:[0,0,1] neg_hi:[0,0,1]
	v_mov_b32_e32 v41, v83
	s_delay_alu instid0(VALU_DEP_1)
	v_pk_add_f32 v[40:41], v[40:41], 0 op_sel_hi:[1,0]
	s_and_saveexec_b32 s8, s12
	s_cbranch_execz .LBB157_885
; %bb.884:                              ;   in Loop: Header=BB157_3 Depth=1
	ds_load_b64 v[42:43], v48 offset:3616
	ds_load_b64 v[44:45], v7 offset:3640
	s_wait_dscnt 0x0
	v_pk_mul_f32 v[82:83], v[44:45], v[42:43] op_sel:[1,1] op_sel_hi:[0,1]
	s_delay_alu instid0(VALU_DEP_1) | instskip(SKIP_1) | instid1(VALU_DEP_2)
	v_pk_fma_f32 v[84:85], v[44:45], v[42:43], v[82:83] op_sel_hi:[1,0,1]
	v_pk_fma_f32 v[42:43], v[44:45], v[42:43], v[82:83] neg_lo:[0,0,1] neg_hi:[0,0,1]
	v_mov_b32_e32 v43, v85
	s_delay_alu instid0(VALU_DEP_1)
	v_pk_add_f32 v[40:41], v[40:41], v[42:43]
.LBB157_885:                            ;   in Loop: Header=BB157_3 Depth=1
	s_or_b32 exec_lo, exec_lo, s8
.LBB157_886:                            ;   in Loop: Header=BB157_3 Depth=1
	s_delay_alu instid0(SALU_CYCLE_1)
	s_or_b32 exec_lo, exec_lo, s1
	s_and_saveexec_b32 s1, vcc_hi
; %bb.887:                              ;   in Loop: Header=BB157_3 Depth=1
	s_delay_alu instid0(VALU_DEP_1)
	v_pk_add_f32 v[42:43], v[40:41], 0 neg_lo:[1,1] neg_hi:[1,1]
	ds_store_b64 v5, v[42:43]
; %bb.888:                              ;   in Loop: Header=BB157_3 Depth=1
	s_or_b32 exec_lo, exec_lo, s1
	s_wait_loadcnt_dscnt 0x0
	s_barrier_signal -1
	s_barrier_wait -1
	s_and_saveexec_b32 s1, s43
	s_cbranch_execz .LBB157_890
; %bb.889:                              ;   in Loop: Header=BB157_3 Depth=1
	ds_load_b64 v[42:43], v7 offset:2592
	ds_load_b64 v[44:45], v5
	s_wait_dscnt 0x0
	v_pk_mul_f32 v[82:83], v[44:45], v[42:43] op_sel_hi:[1,0]
	s_delay_alu instid0(VALU_DEP_1) | instskip(SKIP_1) | instid1(VALU_DEP_2)
	v_pk_fma_f32 v[84:85], v[44:45], v[42:43], v[82:83] op_sel:[1,1,0] op_sel_hi:[0,1,1]
	v_pk_fma_f32 v[42:43], v[44:45], v[42:43], v[82:83] op_sel:[1,1,0] op_sel_hi:[0,1,1] neg_lo:[0,0,1] neg_hi:[0,0,1]
	v_pk_add_f32 v[44:45], v[40:41], v[84:85] neg_lo:[0,1] neg_hi:[0,1]
	s_delay_alu instid0(VALU_DEP_2) | instskip(NEXT) | instid1(VALU_DEP_2)
	v_pk_add_f32 v[40:41], v[40:41], v[42:43]
	v_mov_b32_e32 v41, v45
.LBB157_890:                            ;   in Loop: Header=BB157_3 Depth=1
	s_or_b32 exec_lo, exec_lo, s1
	s_barrier_signal -1
	s_barrier_wait -1
	s_and_saveexec_b32 s1, s43
; %bb.891:                              ;   in Loop: Header=BB157_3 Depth=1
	v_pk_add_f32 v[42:43], v[40:41], 0 neg_lo:[1,1] neg_hi:[1,1]
	ds_store_b64 v5, v[42:43]
; %bb.892:                              ;   in Loop: Header=BB157_3 Depth=1
	s_or_b32 exec_lo, exec_lo, s1
	s_wait_dscnt 0x0
	s_barrier_signal -1
	s_barrier_wait -1
	s_barrier_signal -1
	s_barrier_wait -1
	s_and_saveexec_b32 s1, s3
; %bb.893:                              ;   in Loop: Header=BB157_3 Depth=1
	ds_store_b64 v49, v[40:41] offset:3616
; %bb.894:                              ;   in Loop: Header=BB157_3 Depth=1
	s_or_b32 exec_lo, exec_lo, s1
	s_wait_dscnt 0x0
	s_barrier_signal -1
	s_barrier_wait -1
	s_barrier_signal -1
	s_barrier_wait -1
	s_and_saveexec_b32 s1, s11
; %bb.895:                              ;   in Loop: Header=BB157_3 Depth=1
	v_add_nc_u32_e64 v3, 0x800, 0
	ds_store_2addr_b64 v3, v[34:35], v[34:35] offset0:4 offset1:69
; %bb.896:                              ;   in Loop: Header=BB157_3 Depth=1
	s_or_b32 exec_lo, exec_lo, s1
	v_mov_b64_e32 v[40:41], 0
	s_wait_dscnt 0x0
	s_barrier_signal -1
	s_barrier_wait -1
	global_wb scope:SCOPE_DEV
	s_wait_storecnt 0x0
	global_inv scope:SCOPE_DEV
	s_and_saveexec_b32 s1, s4
	s_cbranch_execz .LBB157_902
; %bb.897:                              ;   in Loop: Header=BB157_3 Depth=1
	ds_load_b64 v[40:41], v51 offset:2048
	ds_load_b64 v[42:43], v52 offset:3616
	s_wait_dscnt 0x0
	v_dual_mul_f32 v3, v43, v41 :: v_dual_mul_f32 v41, v42, v41
	s_delay_alu instid0(VALU_DEP_1) | instskip(NEXT) | instid1(VALU_DEP_1)
	v_dual_fma_f32 v3, v42, v40, -v3 :: v_dual_fmac_f32 v41, v43, v40
	v_dual_add_f32 v40, 0, v3 :: v_dual_add_f32 v41, 0, v41
	s_and_saveexec_b32 s8, s13
	s_cbranch_execnz .LBB157_1048
; %bb.898:                              ;   in Loop: Header=BB157_3 Depth=1
	s_or_b32 exec_lo, exec_lo, s8
	s_and_saveexec_b32 s8, s14
	s_cbranch_execnz .LBB157_1049
.LBB157_899:                            ;   in Loop: Header=BB157_3 Depth=1
	s_or_b32 exec_lo, exec_lo, s8
	s_and_saveexec_b32 s8, s3
	s_cbranch_execz .LBB157_901
.LBB157_900:                            ;   in Loop: Header=BB157_3 Depth=1
	ds_load_b64 v[42:43], v48 offset:3584
	ds_load_b64 v[44:45], v7 offset:3640
	s_wait_dscnt 0x0
	v_pk_mul_f32 v[82:83], v[44:45], v[42:43] op_sel:[1,1] op_sel_hi:[0,1]
	s_delay_alu instid0(VALU_DEP_1) | instskip(SKIP_1) | instid1(VALU_DEP_2)
	v_pk_fma_f32 v[84:85], v[44:45], v[42:43], v[82:83] op_sel_hi:[1,0,1]
	v_pk_fma_f32 v[42:43], v[44:45], v[42:43], v[82:83] neg_lo:[0,0,1] neg_hi:[0,0,1]
	v_mov_b32_e32 v43, v85
	s_delay_alu instid0(VALU_DEP_1)
	v_pk_add_f32 v[40:41], v[40:41], v[42:43]
.LBB157_901:                            ;   in Loop: Header=BB157_3 Depth=1
	s_or_b32 exec_lo, exec_lo, s8
.LBB157_902:                            ;   in Loop: Header=BB157_3 Depth=1
	s_delay_alu instid0(SALU_CYCLE_1)
	s_or_b32 exec_lo, exec_lo, s1
	s_and_saveexec_b32 s1, s44
; %bb.903:                              ;   in Loop: Header=BB157_3 Depth=1
	s_delay_alu instid0(VALU_DEP_1)
	v_pk_add_f32 v[42:43], v[40:41], 0 neg_lo:[1,1] neg_hi:[1,1]
	ds_store_b64 v50, v[42:43]
; %bb.904:                              ;   in Loop: Header=BB157_3 Depth=1
	s_or_b32 exec_lo, exec_lo, s1
	s_wait_loadcnt_dscnt 0x0
	s_barrier_signal -1
	s_barrier_wait -1
	s_and_saveexec_b32 s1, s45
	s_cbranch_execz .LBB157_906
; %bb.905:                              ;   in Loop: Header=BB157_3 Depth=1
	ds_load_b64 v[42:43], v51 offset:1536
	ds_load_b64 v[44:45], v50
	s_wait_dscnt 0x0
	v_pk_mul_f32 v[82:83], v[44:45], v[42:43] op_sel:[1,1] op_sel_hi:[0,1]
	s_delay_alu instid0(VALU_DEP_1) | instskip(SKIP_1) | instid1(VALU_DEP_2)
	v_pk_fma_f32 v[84:85], v[44:45], v[42:43], v[82:83] op_sel_hi:[1,0,1]
	v_pk_fma_f32 v[42:43], v[44:45], v[42:43], v[82:83] neg_lo:[0,0,1] neg_hi:[0,0,1]
	v_mov_b32_e32 v43, v85
	s_delay_alu instid0(VALU_DEP_1)
	v_pk_add_f32 v[40:41], v[40:41], v[42:43] neg_lo:[0,1] neg_hi:[0,1]
.LBB157_906:                            ;   in Loop: Header=BB157_3 Depth=1
	s_or_b32 exec_lo, exec_lo, s1
	s_barrier_signal -1
	s_barrier_wait -1
	s_and_saveexec_b32 s1, s46
; %bb.907:                              ;   in Loop: Header=BB157_3 Depth=1
	v_pk_add_f32 v[42:43], v[40:41], 0 neg_lo:[1,1] neg_hi:[1,1]
	ds_store_b64 v50, v[42:43]
; %bb.908:                              ;   in Loop: Header=BB157_3 Depth=1
	s_or_b32 exec_lo, exec_lo, s1
	s_wait_dscnt 0x0
	s_barrier_signal -1
	s_barrier_wait -1
	s_and_saveexec_b32 s1, s47
	s_cbranch_execz .LBB157_910
; %bb.909:                              ;   in Loop: Header=BB157_3 Depth=1
	ds_load_b64 v[42:43], v51 offset:1024
	ds_load_b64 v[44:45], v50
	s_wait_dscnt 0x0
	v_pk_mul_f32 v[82:83], v[44:45], v[42:43] op_sel:[1,1] op_sel_hi:[0,1]
	s_delay_alu instid0(VALU_DEP_1) | instskip(SKIP_1) | instid1(VALU_DEP_2)
	v_pk_fma_f32 v[84:85], v[44:45], v[42:43], v[82:83] op_sel_hi:[1,0,1]
	v_pk_fma_f32 v[42:43], v[44:45], v[42:43], v[82:83] neg_lo:[0,0,1] neg_hi:[0,0,1]
	v_mov_b32_e32 v43, v85
	s_delay_alu instid0(VALU_DEP_1)
	v_pk_add_f32 v[40:41], v[40:41], v[42:43] neg_lo:[0,1] neg_hi:[0,1]
.LBB157_910:                            ;   in Loop: Header=BB157_3 Depth=1
	s_or_b32 exec_lo, exec_lo, s1
	s_barrier_signal -1
	s_barrier_wait -1
	s_and_saveexec_b32 s1, s48
; %bb.911:                              ;   in Loop: Header=BB157_3 Depth=1
	v_pk_add_f32 v[42:43], v[40:41], 0 neg_lo:[1,1] neg_hi:[1,1]
	ds_store_b64 v50, v[42:43]
; %bb.912:                              ;   in Loop: Header=BB157_3 Depth=1
	s_or_b32 exec_lo, exec_lo, s1
	s_wait_dscnt 0x0
	;; [unrolled: 26-line block ×3, first 2 shown]
	s_barrier_signal -1
	s_barrier_wait -1
	s_barrier_signal -1
	s_barrier_wait -1
	s_and_saveexec_b32 s1, s4
; %bb.917:                              ;   in Loop: Header=BB157_3 Depth=1
	ds_store_b64 v53, v[40:41] offset:3584
; %bb.918:                              ;   in Loop: Header=BB157_3 Depth=1
	s_or_b32 exec_lo, exec_lo, s1
	s_wait_dscnt 0x0
	s_barrier_signal -1
	s_barrier_wait -1
	s_barrier_signal -1
	s_barrier_wait -1
	s_and_saveexec_b32 s1, s11
; %bb.919:                              ;   in Loop: Header=BB157_3 Depth=1
	ds_store_2addr_b64 v7, v[34:35], v[34:35] offset0:130 offset1:195
; %bb.920:                              ;   in Loop: Header=BB157_3 Depth=1
	s_or_b32 exec_lo, exec_lo, s1
	v_dual_mov_b32 v40, 0 :: v_dual_mov_b32 v41, 0
	s_wait_dscnt 0x0
	s_barrier_signal -1
	s_barrier_wait -1
	global_wb scope:SCOPE_DEV
	s_wait_storecnt 0x0
	global_inv scope:SCOPE_DEV
	s_and_saveexec_b32 s1, s3
	s_cbranch_execz .LBB157_924
; %bb.921:                              ;   in Loop: Header=BB157_3 Depth=1
	ds_load_b64 v[40:41], v46 offset:1024
	ds_load_b64 v[42:43], v47 offset:1552
	s_wait_dscnt 0x0
	v_pk_mul_f32 v[44:45], v[42:43], v[40:41] op_sel:[1,1] op_sel_hi:[0,1]
	s_delay_alu instid0(VALU_DEP_1) | instskip(SKIP_1) | instid1(VALU_DEP_2)
	v_pk_fma_f32 v[82:83], v[42:43], v[40:41], v[44:45] op_sel_hi:[1,0,1]
	v_pk_fma_f32 v[40:41], v[42:43], v[40:41], v[44:45] neg_lo:[0,0,1] neg_hi:[0,0,1]
	v_mov_b32_e32 v41, v83
	s_delay_alu instid0(VALU_DEP_1)
	v_pk_add_f32 v[40:41], v[40:41], 0 op_sel_hi:[1,0]
	s_and_saveexec_b32 s8, s12
	s_cbranch_execz .LBB157_923
; %bb.922:                              ;   in Loop: Header=BB157_3 Depth=1
	ds_load_b64 v[42:43], v48 offset:1536
	ds_load_b64 v[44:45], v7 offset:1560
	s_wait_dscnt 0x0
	v_pk_mul_f32 v[82:83], v[44:45], v[42:43] op_sel:[1,1] op_sel_hi:[0,1]
	s_delay_alu instid0(VALU_DEP_1) | instskip(SKIP_1) | instid1(VALU_DEP_2)
	v_pk_fma_f32 v[84:85], v[44:45], v[42:43], v[82:83] op_sel_hi:[1,0,1]
	v_pk_fma_f32 v[42:43], v[44:45], v[42:43], v[82:83] neg_lo:[0,0,1] neg_hi:[0,0,1]
	v_mov_b32_e32 v43, v85
	s_delay_alu instid0(VALU_DEP_1)
	v_pk_add_f32 v[40:41], v[40:41], v[42:43]
.LBB157_923:                            ;   in Loop: Header=BB157_3 Depth=1
	s_or_b32 exec_lo, exec_lo, s8
.LBB157_924:                            ;   in Loop: Header=BB157_3 Depth=1
	s_delay_alu instid0(SALU_CYCLE_1)
	s_or_b32 exec_lo, exec_lo, s1
	s_and_saveexec_b32 s1, vcc_hi
; %bb.925:                              ;   in Loop: Header=BB157_3 Depth=1
	s_delay_alu instid0(VALU_DEP_1)
	v_pk_add_f32 v[42:43], v[40:41], 0 neg_lo:[1,1] neg_hi:[1,1]
	ds_store_b64 v5, v[42:43]
; %bb.926:                              ;   in Loop: Header=BB157_3 Depth=1
	s_or_b32 exec_lo, exec_lo, s1
	s_wait_loadcnt_dscnt 0x0
	s_barrier_signal -1
	s_barrier_wait -1
	s_and_saveexec_b32 s1, s43
	s_cbranch_execz .LBB157_928
; %bb.927:                              ;   in Loop: Header=BB157_3 Depth=1
	ds_load_b64 v[42:43], v7 offset:512
	ds_load_b64 v[44:45], v5
	s_wait_dscnt 0x0
	v_pk_mul_f32 v[82:83], v[44:45], v[42:43] op_sel_hi:[1,0]
	s_delay_alu instid0(VALU_DEP_1) | instskip(SKIP_1) | instid1(VALU_DEP_2)
	v_pk_fma_f32 v[84:85], v[44:45], v[42:43], v[82:83] op_sel:[1,1,0] op_sel_hi:[0,1,1]
	v_pk_fma_f32 v[42:43], v[44:45], v[42:43], v[82:83] op_sel:[1,1,0] op_sel_hi:[0,1,1] neg_lo:[0,0,1] neg_hi:[0,0,1]
	v_pk_add_f32 v[44:45], v[40:41], v[84:85] neg_lo:[0,1] neg_hi:[0,1]
	s_delay_alu instid0(VALU_DEP_2) | instskip(NEXT) | instid1(VALU_DEP_2)
	v_pk_add_f32 v[40:41], v[40:41], v[42:43]
	v_mov_b32_e32 v41, v45
.LBB157_928:                            ;   in Loop: Header=BB157_3 Depth=1
	s_or_b32 exec_lo, exec_lo, s1
	s_barrier_signal -1
	s_barrier_wait -1
	s_and_saveexec_b32 s1, s43
; %bb.929:                              ;   in Loop: Header=BB157_3 Depth=1
	v_pk_add_f32 v[42:43], v[40:41], 0 neg_lo:[1,1] neg_hi:[1,1]
	ds_store_b64 v5, v[42:43]
; %bb.930:                              ;   in Loop: Header=BB157_3 Depth=1
	s_or_b32 exec_lo, exec_lo, s1
	s_wait_dscnt 0x0
	s_barrier_signal -1
	s_barrier_wait -1
	s_barrier_signal -1
	s_barrier_wait -1
	s_and_saveexec_b32 s1, s3
; %bb.931:                              ;   in Loop: Header=BB157_3 Depth=1
	ds_store_b64 v49, v[40:41] offset:1536
; %bb.932:                              ;   in Loop: Header=BB157_3 Depth=1
	s_or_b32 exec_lo, exec_lo, s1
	s_wait_dscnt 0x0
	s_barrier_signal -1
	s_barrier_wait -1
	s_barrier_signal -1
	s_barrier_wait -1
	s_and_saveexec_b32 s1, s11
; %bb.933:                              ;   in Loop: Header=BB157_3 Depth=1
	ds_store_2addr_b64 v7, v[34:35], v[34:35] offset1:65
; %bb.934:                              ;   in Loop: Header=BB157_3 Depth=1
	s_or_b32 exec_lo, exec_lo, s1
.LBB157_935:                            ;   in Loop: Header=BB157_3 Depth=1
	v_add_nc_u64_e32 v[38:39], s[74:75], v[38:39]
	v_mov_b64_e32 v[40:41], 0
	s_wait_dscnt 0x0
	s_barrier_signal -1
	s_barrier_wait -1
	s_wait_xcnt 0x0
	s_and_saveexec_b32 s1, s26
	s_cbranch_execz .LBB157_937
; %bb.936:                              ;   in Loop: Header=BB157_3 Depth=1
	v_lshl_add_u64 v[40:41], v[26:27], 3, v[38:39]
	v_readlane_b32 s8, v92, 22
	v_readlane_b32 s9, v92, 23
	flat_load_b64 v[40:41], v[40:41]
	v_mov_b64_e32 v[42:43], s[8:9]
	v_readlane_b32 s8, v92, 24
	v_readlane_b32 s9, v92, 25
	s_delay_alu instid0(VALU_DEP_1) | instskip(SKIP_1) | instid1(VALU_DEP_4)
	v_mov_b64_e32 v[44:45], s[8:9]
	s_wait_loadcnt_dscnt 0x0
	v_pk_mul_f32 v[42:43], v[42:43], v[40:41]
	s_delay_alu instid0(VALU_DEP_1)
	v_pk_fma_f32 v[40:41], v[44:45], v[40:41], v[42:43] op_sel:[0,0,1] op_sel_hi:[1,1,0] neg_lo:[1,0,0] neg_hi:[1,0,0]
.LBB157_937:                            ;   in Loop: Header=BB157_3 Depth=1
	s_or_b32 exec_lo, exec_lo, s1
	s_delay_alu instid0(SALU_CYCLE_1)
	s_and_not1_b32 vcc_lo, exec_lo, s27
	s_cbranch_vccnz .LBB157_956
; %bb.938:                              ;   in Loop: Header=BB157_3 Depth=1
	v_lshl_add_u64 v[36:37], v[8:9], 3, v[36:37]
	v_mov_b32_e32 v3, -1
	s_lshl_b64 s[8:9], s[76:77], 2
	s_mov_b32 s1, 0
	s_add_nc_u64 s[98:99], s[86:87], s[8:9]
	s_branch .LBB157_940
.LBB157_939:                            ;   in Loop: Header=BB157_940 Depth=2
	s_or_b32 exec_lo, exec_lo, s8
	s_add_co_i32 s1, s1, 1
	s_delay_alu instid0(SALU_CYCLE_1)
	s_cmp_eq_u32 s1, s100
	s_cbranch_scc1 .LBB157_956
.LBB157_940:                            ;   Parent Loop BB157_3 Depth=1
                                        ; =>  This Loop Header: Depth=2
                                        ;       Child Loop BB157_942 Depth 3
	v_cmp_gt_i32_e32 vcc_lo, s1, v3
	s_and_b32 s9, s34, vcc_lo
	s_delay_alu instid0(SALU_CYCLE_1)
	s_and_saveexec_b32 s8, s9
	s_cbranch_execz .LBB157_943
; %bb.941:                              ;   in Loop: Header=BB157_940 Depth=2
	global_load_b32 v3, v7, s[98:99]
	s_wait_loadcnt 0x0
	v_cmp_le_i32_e32 vcc_lo, s1, v3
	s_cbranch_vccnz .LBB157_943
.LBB157_942:                            ;   Parent Loop BB157_3 Depth=1
                                        ;     Parent Loop BB157_940 Depth=2
                                        ; =>    This Inner Loop Header: Depth=3
	global_wb scope:SCOPE_DEV
	s_wait_storecnt 0x0
	global_inv scope:SCOPE_DEV
	global_load_b32 v3, v7, s[98:99]
	s_wait_loadcnt 0x0
	v_cmp_gt_i32_e32 vcc_lo, s1, v3
	s_cbranch_vccnz .LBB157_942
.LBB157_943:                            ;   in Loop: Header=BB157_940 Depth=2
	s_or_b32 exec_lo, exec_lo, s8
	s_sub_co_i32 s8, s101, s1
	global_wb scope:SCOPE_DEV
	s_wait_storecnt 0x0
	global_inv scope:SCOPE_DEV
	s_lshl_b32 s66, s8, 6
	s_wait_loadcnt 0x0
	s_barrier_signal -1
	s_barrier_wait -1
	s_and_saveexec_b32 s9, s35
	s_cbranch_execz .LBB157_948
; %bb.944:                              ;   in Loop: Header=BB157_940 Depth=2
	s_ashr_i32 vcc_lo, s66, 31
	s_delay_alu instid0(SALU_CYCLE_1) | instskip(NEXT) | instid1(VALU_DEP_1)
	v_dual_mov_b32 v43, vcc_lo :: v_dual_bitop2_b32 v42, s66, v6 bitop3:0x54
	v_cmp_le_i64_e32 vcc_lo, s[78:79], v[42:43]
	s_and_saveexec_b32 s10, vcc_lo
	s_delay_alu instid0(SALU_CYCLE_1)
	s_xor_b32 vcc_lo, exec_lo, s10
; %bb.945:                              ;   in Loop: Header=BB157_940 Depth=2
	ds_store_b64 v67, v[32:33]
                                        ; implicit-def: $vgpr42_vgpr43
; %bb.946:                              ;   in Loop: Header=BB157_940 Depth=2
	s_and_not1_saveexec_b32 s10, vcc_lo
	s_cbranch_execz .LBB157_948
; %bb.947:                              ;   in Loop: Header=BB157_940 Depth=2
	v_mul_u64_e32 v[42:43], s[84:85], v[42:43]
	s_delay_alu instid0(VALU_DEP_1)
	v_lshl_add_u64 v[42:43], v[42:43], 3, v[38:39]
	flat_load_b64 v[42:43], v[42:43]
	s_wait_loadcnt_dscnt 0x0
	ds_store_b64 v67, v[42:43]
.LBB157_948:                            ;   in Loop: Header=BB157_940 Depth=2
	s_or_b32 exec_lo, exec_lo, s9
	v_add_nc_u32_e32 v42, s66, v2
	s_cmp_eq_u32 s8, s29
	s_wait_dscnt 0x0
	s_cselect_b32 vcc_lo, -1, 0
	s_barrier_signal -1
	v_ashrrev_i32_e32 v43, 31, v42
	v_cmp_gt_i32_e64 s66, s78, v42
	s_barrier_wait -1
	s_delay_alu instid0(VALU_DEP_2) | instskip(SKIP_1) | instid1(VALU_DEP_1)
	v_mul_u64_e32 v[44:45], s[80:81], v[42:43]
	s_and_b32 s9, s2, s66
	v_lshl_add_u64 v[44:45], v[44:45], 3, v[36:37]
	s_and_saveexec_b32 s8, s9
	s_cbranch_execz .LBB157_950
; %bb.949:                              ;   in Loop: Header=BB157_940 Depth=2
	s_delay_alu instid0(VALU_DEP_1) | instskip(SKIP_4) | instid1(VALU_DEP_1)
	v_dual_cndmask_b32 v83, v45, v13 :: v_dual_cndmask_b32 v82, v44, v12
	ds_load_b64 v[84:85], v68
	flat_load_b64 v[82:83], v[82:83]
	s_wait_loadcnt_dscnt 0x0
	v_dual_mul_f32 v43, v85, v83 :: v_dual_mul_f32 v81, v84, v83
	v_dual_fma_f32 v43, v84, v82, -v43 :: v_dual_fmac_f32 v81, v85, v82
	s_delay_alu instid0(VALU_DEP_1)
	v_dual_add_f32 v40, v40, v43 :: v_dual_add_f32 v41, v41, v81
.LBB157_950:                            ;   in Loop: Header=BB157_940 Depth=2
	s_or_b32 exec_lo, exec_lo, s8
	v_add_nc_u32_e32 v43, 16, v42
	s_delay_alu instid0(VALU_DEP_1) | instskip(SKIP_1) | instid1(SALU_CYCLE_1)
	v_cmp_gt_i32_e64 s66, s78, v43
	s_and_b32 s9, s2, s66
	s_and_saveexec_b32 s8, s9
	s_cbranch_execz .LBB157_952
; %bb.951:                              ;   in Loop: Header=BB157_940 Depth=2
	v_add_nc_u64_e32 v[82:83], s[92:93], v[44:45]
	ds_load_b64 v[84:85], v68 offset:128
	v_dual_cndmask_b32 v83, v83, v15 :: v_dual_cndmask_b32 v82, v82, v14
	flat_load_b64 v[82:83], v[82:83]
	s_wait_loadcnt_dscnt 0x0
	v_dual_mul_f32 v43, v85, v83 :: v_dual_mul_f32 v81, v84, v83
	s_delay_alu instid0(VALU_DEP_1) | instskip(NEXT) | instid1(VALU_DEP_1)
	v_dual_fma_f32 v43, v84, v82, -v43 :: v_dual_fmac_f32 v81, v85, v82
	v_dual_add_f32 v40, v40, v43 :: v_dual_add_f32 v41, v41, v81
.LBB157_952:                            ;   in Loop: Header=BB157_940 Depth=2
	s_or_b32 exec_lo, exec_lo, s8
	v_add_nc_u32_e32 v43, 32, v42
	s_delay_alu instid0(VALU_DEP_1) | instskip(SKIP_1) | instid1(SALU_CYCLE_1)
	v_cmp_gt_i32_e64 s66, s78, v43
	s_and_b32 s9, s2, s66
	s_and_saveexec_b32 s8, s9
	s_cbranch_execz .LBB157_954
; %bb.953:                              ;   in Loop: Header=BB157_940 Depth=2
	v_add_nc_u64_e32 v[82:83], s[94:95], v[44:45]
	ds_load_b64 v[84:85], v68 offset:256
	v_dual_cndmask_b32 v83, v83, v17 :: v_dual_cndmask_b32 v82, v82, v16
	flat_load_b64 v[82:83], v[82:83]
	s_wait_loadcnt_dscnt 0x0
	v_dual_mul_f32 v43, v85, v83 :: v_dual_mul_f32 v87, v84, v83
	s_delay_alu instid0(VALU_DEP_1) | instskip(NEXT) | instid1(VALU_DEP_2)
	v_fma_f32 v86, v84, v82, -v43
	v_fmac_f32_e32 v87, v85, v82
	s_delay_alu instid0(VALU_DEP_1)
	v_pk_add_f32 v[40:41], v[40:41], v[86:87]
.LBB157_954:                            ;   in Loop: Header=BB157_940 Depth=2
	s_or_b32 exec_lo, exec_lo, s8
	v_add_nc_u32_e32 v42, 48, v42
	s_delay_alu instid0(VALU_DEP_1) | instskip(SKIP_1) | instid1(SALU_CYCLE_1)
	v_cmp_gt_i32_e64 s66, s78, v42
	s_and_b32 s9, s2, s66
	s_and_saveexec_b32 s8, s9
	s_cbranch_execz .LBB157_939
; %bb.955:                              ;   in Loop: Header=BB157_940 Depth=2
	v_add_nc_u64_e32 v[42:43], s[96:97], v[44:45]
	ds_load_b64 v[44:45], v68 offset:384
	v_dual_cndmask_b32 v43, v43, v19 :: v_dual_cndmask_b32 v42, v42, v18
	flat_load_b64 v[42:43], v[42:43]
	s_wait_loadcnt_dscnt 0x0
	v_pk_mul_f32 v[82:83], v[44:45], v[42:43] op_sel:[1,1] op_sel_hi:[0,1]
	s_delay_alu instid0(VALU_DEP_1) | instskip(SKIP_1) | instid1(VALU_DEP_2)
	v_pk_fma_f32 v[84:85], v[44:45], v[42:43], v[82:83] op_sel_hi:[1,0,1]
	v_pk_fma_f32 v[42:43], v[44:45], v[42:43], v[82:83] neg_lo:[0,0,1] neg_hi:[0,0,1]
	v_mov_b32_e32 v43, v85
	s_delay_alu instid0(VALU_DEP_1)
	v_pk_add_f32 v[40:41], v[40:41], v[42:43]
	s_branch .LBB157_939
.LBB157_956:                            ;   in Loop: Header=BB157_3 Depth=1
	ds_store_b64 v71, v[40:41]
	s_wait_dscnt 0x0
	s_barrier_signal -1
	s_barrier_wait -1
	s_and_saveexec_b32 s1, s7
	s_cbranch_execz .LBB157_958
; %bb.957:                              ;   in Loop: Header=BB157_3 Depth=1
	ds_load_2addr_stride64_b64 v[42:45], v72 offset0:1 offset1:2
	ds_load_2addr_stride64_b64 v[82:85], v72 offset0:3 offset1:4
	;; [unrolled: 1-line block ×3, first 2 shown]
	s_wait_dscnt 0x2
	v_pk_add_f32 v[36:37], v[40:41], v[42:43]
	ds_load_2addr_stride64_b64 v[40:43], v72 offset0:7 offset1:8
	v_pk_add_f32 v[36:37], v[36:37], v[44:45]
	ds_load_b64 v[44:45], v72 offset:7680
	s_wait_dscnt 0x3
	v_pk_add_f32 v[36:37], v[36:37], v[82:83]
	s_delay_alu instid0(VALU_DEP_1) | instskip(SKIP_3) | instid1(VALU_DEP_1)
	v_pk_add_f32 v[36:37], v[36:37], v[84:85]
	ds_load_2addr_stride64_b64 v[82:85], v72 offset0:9 offset1:10
	s_wait_dscnt 0x3
	v_pk_add_f32 v[36:37], v[36:37], v[86:87]
	v_pk_add_f32 v[36:37], v[36:37], v[88:89]
	ds_load_2addr_stride64_b64 v[86:89], v72 offset0:11 offset1:12
	s_wait_dscnt 0x3
	v_pk_add_f32 v[36:37], v[36:37], v[40:41]
	s_delay_alu instid0(VALU_DEP_1) | instskip(SKIP_3) | instid1(VALU_DEP_1)
	v_pk_add_f32 v[36:37], v[36:37], v[42:43]
	ds_load_2addr_stride64_b64 v[40:43], v72 offset0:13 offset1:14
	s_wait_dscnt 0x2
	v_pk_add_f32 v[36:37], v[36:37], v[82:83]
	v_pk_add_f32 v[36:37], v[36:37], v[84:85]
	s_wait_dscnt 0x1
	s_delay_alu instid0(VALU_DEP_1) | instskip(NEXT) | instid1(VALU_DEP_1)
	v_pk_add_f32 v[36:37], v[36:37], v[86:87]
	v_pk_add_f32 v[36:37], v[36:37], v[88:89]
	s_wait_dscnt 0x0
	s_delay_alu instid0(VALU_DEP_1) | instskip(NEXT) | instid1(VALU_DEP_1)
	v_pk_add_f32 v[36:37], v[36:37], v[40:41]
	v_pk_add_f32 v[36:37], v[36:37], v[42:43]
	s_delay_alu instid0(VALU_DEP_1) | instskip(NEXT) | instid1(VALU_DEP_1)
	v_pk_add_f32 v[36:37], v[36:37], v[44:45]
	v_cndmask_b32_e64 v41, -v37, 0, s24
	s_delay_alu instid0(VALU_DEP_2)
	v_cndmask_b32_e64 v40, -v36, 0, s24
.LBB157_958:                            ;   in Loop: Header=BB157_3 Depth=1
	s_or_b32 exec_lo, exec_lo, s1
	s_delay_alu instid0(SALU_CYCLE_1)
	s_and_not1_b32 vcc_lo, exec_lo, s104
	s_cbranch_vccnz .LBB157_971
; %bb.959:                              ;   in Loop: Header=BB157_3 Depth=1
	s_and_saveexec_b32 s1, s7
; %bb.960:                              ;   in Loop: Header=BB157_3 Depth=1
	ds_store_b64 v74, v[40:41]
; %bb.961:                              ;   in Loop: Header=BB157_3 Depth=1
	s_or_b32 exec_lo, exec_lo, s1
	v_mov_b64_e32 v[36:37], 0
	s_wait_dscnt 0x0
	s_barrier_signal -1
	s_barrier_wait -1
	s_mov_b32 s1, exec_lo
	v_readlane_b32 s8, v91, 7
	s_and_b32 s8, s1, s8
	s_delay_alu instid0(SALU_CYCLE_1)
	s_mov_b32 exec_lo, s8
	s_cbranch_execz .LBB157_963
; %bb.962:                              ;   in Loop: Header=BB157_3 Depth=1
	ds_load_b64 v[36:37], v73
	ds_load_b64 v[42:43], v68
	s_wait_dscnt 0x0
	v_dual_mul_f32 v3, v43, v37 :: v_dual_mul_f32 v37, v42, v37
	s_delay_alu instid0(VALU_DEP_1) | instskip(NEXT) | instid1(VALU_DEP_1)
	v_dual_fma_f32 v3, v42, v36, -v3 :: v_dual_fmac_f32 v37, v43, v36
	v_dual_add_f32 v36, 0, v3 :: v_dual_add_f32 v37, 0, v37
.LBB157_963:                            ;   in Loop: Header=BB157_3 Depth=1
	s_or_b32 exec_lo, exec_lo, s1
	s_delay_alu instid0(SALU_CYCLE_1) | instskip(SKIP_2) | instid1(SALU_CYCLE_1)
	s_mov_b32 s1, exec_lo
	v_readlane_b32 s8, v92, 26
	s_and_b32 s8, s1, s8
	s_mov_b32 exec_lo, s8
	s_cbranch_execz .LBB157_965
; %bb.964:                              ;   in Loop: Header=BB157_3 Depth=1
	ds_load_b64 v[42:43], v73 offset:8192
	ds_load_b64 v[44:45], v68 offset:128
	s_wait_dscnt 0x0
	v_dual_mul_f32 v3, v45, v43 :: v_dual_mul_f32 v83, v44, v43
	s_delay_alu instid0(VALU_DEP_1) | instskip(NEXT) | instid1(VALU_DEP_2)
	v_fma_f32 v82, v44, v42, -v3
	v_fmac_f32_e32 v83, v45, v42
	s_delay_alu instid0(VALU_DEP_1)
	v_pk_add_f32 v[36:37], v[36:37], v[82:83]
.LBB157_965:                            ;   in Loop: Header=BB157_3 Depth=1
	s_or_b32 exec_lo, exec_lo, s1
	s_delay_alu instid0(SALU_CYCLE_1) | instskip(SKIP_2) | instid1(SALU_CYCLE_1)
	s_mov_b32 s1, exec_lo
	v_readlane_b32 s8, v91, 2
	s_and_b32 s8, s1, s8
	s_mov_b32 exec_lo, s8
	s_cbranch_execz .LBB157_967
; %bb.966:                              ;   in Loop: Header=BB157_3 Depth=1
	ds_load_b64 v[42:43], v73 offset:16384
	ds_load_b64 v[44:45], v68 offset:256
	s_wait_dscnt 0x0
	v_pk_mul_f32 v[82:83], v[44:45], v[42:43] op_sel:[1,1] op_sel_hi:[0,1]
	s_delay_alu instid0(VALU_DEP_1) | instskip(SKIP_1) | instid1(VALU_DEP_2)
	v_pk_fma_f32 v[84:85], v[44:45], v[42:43], v[82:83] op_sel_hi:[1,0,1]
	v_pk_fma_f32 v[42:43], v[44:45], v[42:43], v[82:83] neg_lo:[0,0,1] neg_hi:[0,0,1]
	v_mov_b32_e32 v43, v85
	s_delay_alu instid0(VALU_DEP_1)
	v_pk_add_f32 v[36:37], v[36:37], v[42:43]
.LBB157_967:                            ;   in Loop: Header=BB157_3 Depth=1
	s_or_b32 exec_lo, exec_lo, s1
	s_delay_alu instid0(SALU_CYCLE_1) | instskip(SKIP_2) | instid1(SALU_CYCLE_1)
	s_mov_b32 s1, exec_lo
	v_readlane_b32 s8, v91, 8
	s_and_b32 s8, s1, s8
	s_mov_b32 exec_lo, s8
	s_cbranch_execz .LBB157_969
; %bb.968:                              ;   in Loop: Header=BB157_3 Depth=1
	ds_load_b64 v[42:43], v73 offset:24576
	ds_load_b64 v[44:45], v68 offset:384
	s_wait_dscnt 0x0
	v_pk_mul_f32 v[82:83], v[44:45], v[42:43] op_sel:[1,1] op_sel_hi:[0,1]
	s_delay_alu instid0(VALU_DEP_1) | instskip(SKIP_1) | instid1(VALU_DEP_2)
	v_pk_fma_f32 v[84:85], v[44:45], v[42:43], v[82:83] op_sel_hi:[1,0,1]
	v_pk_fma_f32 v[42:43], v[44:45], v[42:43], v[82:83] neg_lo:[0,0,1] neg_hi:[0,0,1]
	v_mov_b32_e32 v43, v85
	s_delay_alu instid0(VALU_DEP_1)
	v_pk_add_f32 v[36:37], v[36:37], v[42:43]
.LBB157_969:                            ;   in Loop: Header=BB157_3 Depth=1
	s_or_b32 exec_lo, exec_lo, s1
	s_mov_b32 s1, 0
	s_mov_b32 s66, 0
	ds_store_b64 v71, v[36:37]
	s_wait_dscnt 0x0
	s_barrier_signal -1
	s_barrier_wait -1
                                        ; implicit-def: $vgpr42_vgpr43
	s_and_saveexec_b32 s8, s7
	s_cbranch_execz .LBB157_996
; %bb.970:                              ;   in Loop: Header=BB157_3 Depth=1
	ds_load_2addr_stride64_b64 v[42:45], v72 offset0:1 offset1:2
	ds_load_2addr_stride64_b64 v[82:85], v72 offset0:3 offset1:4
	ds_load_2addr_stride64_b64 v[86:89], v72 offset0:5 offset1:6
	s_mov_b32 s66, exec_lo
	s_wait_dscnt 0x2
	v_pk_add_f32 v[36:37], v[36:37], v[42:43]
	s_delay_alu instid0(VALU_DEP_1) | instskip(SKIP_3) | instid1(VALU_DEP_1)
	v_pk_add_f32 v[36:37], v[36:37], v[44:45]
	ds_load_2addr_stride64_b64 v[42:45], v72 offset0:7 offset1:8
	s_wait_dscnt 0x2
	v_pk_add_f32 v[36:37], v[36:37], v[82:83]
	v_pk_add_f32 v[36:37], v[36:37], v[84:85]
	ds_load_2addr_stride64_b64 v[82:85], v72 offset0:9 offset1:10
	s_wait_dscnt 0x2
	v_pk_add_f32 v[36:37], v[36:37], v[86:87]
	s_delay_alu instid0(VALU_DEP_1) | instskip(SKIP_3) | instid1(VALU_DEP_1)
	v_pk_add_f32 v[36:37], v[36:37], v[88:89]
	ds_load_2addr_stride64_b64 v[86:89], v72 offset0:11 offset1:12
	s_wait_dscnt 0x2
	v_pk_add_f32 v[36:37], v[36:37], v[42:43]
	v_pk_add_f32 v[36:37], v[36:37], v[44:45]
	ds_load_2addr_stride64_b64 v[42:45], v72 offset0:13 offset1:14
	s_wait_dscnt 0x2
	v_pk_add_f32 v[36:37], v[36:37], v[82:83]
	ds_load_b64 v[82:83], v72 offset:7680
	v_pk_add_f32 v[36:37], v[36:37], v[84:85]
	s_wait_dscnt 0x2
	s_delay_alu instid0(VALU_DEP_1) | instskip(NEXT) | instid1(VALU_DEP_1)
	v_pk_add_f32 v[36:37], v[36:37], v[86:87]
	v_pk_add_f32 v[36:37], v[36:37], v[88:89]
	s_wait_dscnt 0x1
	s_delay_alu instid0(VALU_DEP_1) | instskip(NEXT) | instid1(VALU_DEP_1)
	v_pk_add_f32 v[36:37], v[36:37], v[42:43]
	v_pk_add_f32 v[36:37], v[36:37], v[44:45]
	s_wait_dscnt 0x0
	s_delay_alu instid0(VALU_DEP_1) | instskip(SKIP_1) | instid1(SALU_CYCLE_1)
	v_pk_add_f32 v[42:43], v[36:37], v[82:83]
	s_or_b32 exec_lo, exec_lo, s8
	s_and_b32 vcc_lo, exec_lo, s1
	s_cbranch_vccnz .LBB157_972
	s_branch .LBB157_997
.LBB157_971:                            ;   in Loop: Header=BB157_3 Depth=1
	s_mov_b32 s66, 0
                                        ; implicit-def: $vgpr42_vgpr43
	s_cbranch_execz .LBB157_997
.LBB157_972:                            ;   in Loop: Header=BB157_3 Depth=1
	v_dual_mov_b32 v3, v79 :: v_dual_mov_b32 v36, v78
	s_mov_b32 s1, 63
	s_branch .LBB157_974
.LBB157_973:                            ;   in Loop: Header=BB157_974 Depth=2
	s_or_b32 exec_lo, exec_lo, s9
	v_add_nc_u32_e32 v36, 0xfffff800, v36
	v_add_nc_u32_e32 v3, 4, v3
	s_add_co_i32 s1, s1, -4
	s_cmp_lg_u32 s8, 0
	s_barrier_signal -1
	s_barrier_wait -1
	s_cbranch_scc0 .LBB157_990
.LBB157_974:                            ;   Parent Loop BB157_3 Depth=1
                                        ; =>  This Inner Loop Header: Depth=2
	s_delay_alu instid0(VALU_DEP_1) | instskip(SKIP_1) | instid1(SALU_CYCLE_1)
	v_cmp_eq_u32_e32 vcc_lo, 0, v3
	s_and_b32 s9, s7, vcc_lo
	s_and_saveexec_b32 s8, s9
; %bb.975:                              ;   in Loop: Header=BB157_974 Depth=2
	ds_store_b64 v7, v[40:41] offset:41472
; %bb.976:                              ;   in Loop: Header=BB157_974 Depth=2
	s_or_b32 exec_lo, exec_lo, s8
	v_cmp_gt_u32_e32 vcc_lo, s1, v4
	s_wait_dscnt 0x0
	s_barrier_signal -1
	s_barrier_wait -1
	s_and_b32 s9, s7, vcc_lo
	s_delay_alu instid0(SALU_CYCLE_1)
	s_and_saveexec_b32 s8, s9
	s_cbranch_execz .LBB157_978
; %bb.977:                              ;   in Loop: Header=BB157_974 Depth=2
	ds_load_b64 v[42:43], v36 offset:1536
	ds_load_b64 v[44:45], v7 offset:41472
	s_wait_dscnt 0x0
	v_pk_mul_f32 v[82:83], v[44:45], v[42:43] op_sel:[1,1] op_sel_hi:[0,1]
	s_delay_alu instid0(VALU_DEP_1) | instskip(SKIP_1) | instid1(VALU_DEP_2)
	v_pk_fma_f32 v[84:85], v[44:45], v[42:43], v[82:83] op_sel_hi:[1,0,1]
	v_pk_fma_f32 v[42:43], v[44:45], v[42:43], v[82:83] neg_lo:[0,0,1] neg_hi:[0,0,1]
	v_mov_b32_e32 v43, v85
	s_delay_alu instid0(VALU_DEP_1)
	v_pk_add_f32 v[40:41], v[40:41], v[42:43]
.LBB157_978:                            ;   in Loop: Header=BB157_974 Depth=2
	s_or_b32 exec_lo, exec_lo, s8
	s_add_co_i32 s8, s1, -1
	s_delay_alu instid0(SALU_CYCLE_1) | instskip(SKIP_3) | instid1(SALU_CYCLE_1)
	v_cmp_eq_u32_e32 vcc_lo, s8, v4
	s_barrier_signal -1
	s_barrier_wait -1
	s_and_b32 s10, s7, vcc_lo
	s_and_saveexec_b32 s9, s10
; %bb.979:                              ;   in Loop: Header=BB157_974 Depth=2
	ds_store_b64 v7, v[40:41] offset:41472
; %bb.980:                              ;   in Loop: Header=BB157_974 Depth=2
	s_or_b32 exec_lo, exec_lo, s9
	v_cmp_gt_u32_e32 vcc_lo, s8, v4
	s_wait_dscnt 0x0
	s_barrier_signal -1
	s_barrier_wait -1
	s_and_b32 s9, s7, vcc_lo
	s_delay_alu instid0(SALU_CYCLE_1)
	s_and_saveexec_b32 s8, s9
	s_cbranch_execz .LBB157_982
; %bb.981:                              ;   in Loop: Header=BB157_974 Depth=2
	ds_load_b64 v[42:43], v36 offset:1024
	ds_load_b64 v[44:45], v7 offset:41472
	s_wait_dscnt 0x0
	v_pk_mul_f32 v[82:83], v[44:45], v[42:43] op_sel:[1,1] op_sel_hi:[0,1]
	s_delay_alu instid0(VALU_DEP_1) | instskip(SKIP_1) | instid1(VALU_DEP_2)
	v_pk_fma_f32 v[84:85], v[44:45], v[42:43], v[82:83] op_sel_hi:[1,0,1]
	v_pk_fma_f32 v[42:43], v[44:45], v[42:43], v[82:83] neg_lo:[0,0,1] neg_hi:[0,0,1]
	v_mov_b32_e32 v43, v85
	s_delay_alu instid0(VALU_DEP_1)
	v_pk_add_f32 v[40:41], v[40:41], v[42:43]
.LBB157_982:                            ;   in Loop: Header=BB157_974 Depth=2
	s_or_b32 exec_lo, exec_lo, s8
	s_add_co_i32 s8, s1, -2
	s_delay_alu instid0(SALU_CYCLE_1) | instskip(SKIP_3) | instid1(SALU_CYCLE_1)
	v_cmp_eq_u32_e32 vcc_lo, s8, v4
	s_barrier_signal -1
	s_barrier_wait -1
	s_and_b32 s10, s7, vcc_lo
	s_and_saveexec_b32 s9, s10
; %bb.983:                              ;   in Loop: Header=BB157_974 Depth=2
	ds_store_b64 v7, v[40:41] offset:41472
; %bb.984:                              ;   in Loop: Header=BB157_974 Depth=2
	s_or_b32 exec_lo, exec_lo, s9
	v_cmp_gt_u32_e32 vcc_lo, s8, v4
	s_wait_dscnt 0x0
	s_barrier_signal -1
	s_barrier_wait -1
	s_and_b32 s9, s7, vcc_lo
	s_delay_alu instid0(SALU_CYCLE_1)
	s_and_saveexec_b32 s8, s9
	s_cbranch_execz .LBB157_986
; %bb.985:                              ;   in Loop: Header=BB157_974 Depth=2
	ds_load_b64 v[42:43], v36 offset:512
	ds_load_b64 v[44:45], v7 offset:41472
	s_wait_dscnt 0x0
	v_pk_mul_f32 v[82:83], v[44:45], v[42:43] op_sel:[1,1] op_sel_hi:[0,1]
	s_delay_alu instid0(VALU_DEP_1) | instskip(SKIP_1) | instid1(VALU_DEP_2)
	v_pk_fma_f32 v[84:85], v[44:45], v[42:43], v[82:83] op_sel_hi:[1,0,1]
	v_pk_fma_f32 v[42:43], v[44:45], v[42:43], v[82:83] neg_lo:[0,0,1] neg_hi:[0,0,1]
	v_mov_b32_e32 v43, v85
	s_delay_alu instid0(VALU_DEP_1)
	v_pk_add_f32 v[40:41], v[40:41], v[42:43]
.LBB157_986:                            ;   in Loop: Header=BB157_974 Depth=2
	s_or_b32 exec_lo, exec_lo, s8
	s_add_co_i32 s8, s1, -3
	s_delay_alu instid0(SALU_CYCLE_1) | instskip(SKIP_3) | instid1(SALU_CYCLE_1)
	v_cmp_eq_u32_e32 vcc_lo, s8, v4
	s_barrier_signal -1
	s_barrier_wait -1
	s_and_b32 s10, s7, vcc_lo
	s_and_saveexec_b32 s9, s10
; %bb.987:                              ;   in Loop: Header=BB157_974 Depth=2
	ds_store_b64 v7, v[40:41] offset:41472
; %bb.988:                              ;   in Loop: Header=BB157_974 Depth=2
	s_or_b32 exec_lo, exec_lo, s9
	v_cmp_gt_u32_e32 vcc_lo, s8, v4
	s_wait_dscnt 0x0
	s_barrier_signal -1
	s_barrier_wait -1
	s_and_b32 s10, s7, vcc_lo
	s_delay_alu instid0(SALU_CYCLE_1)
	s_and_saveexec_b32 s9, s10
	s_cbranch_execz .LBB157_973
; %bb.989:                              ;   in Loop: Header=BB157_974 Depth=2
	ds_load_b64 v[42:43], v36
	ds_load_b64 v[44:45], v7 offset:41472
	s_wait_dscnt 0x0
	v_pk_mul_f32 v[82:83], v[44:45], v[42:43] op_sel:[1,1] op_sel_hi:[0,1]
	s_delay_alu instid0(VALU_DEP_1) | instskip(SKIP_1) | instid1(VALU_DEP_2)
	v_pk_fma_f32 v[84:85], v[44:45], v[42:43], v[82:83] op_sel_hi:[1,0,1]
	v_pk_fma_f32 v[42:43], v[44:45], v[42:43], v[82:83] neg_lo:[0,0,1] neg_hi:[0,0,1]
	v_mov_b32_e32 v43, v85
	s_delay_alu instid0(VALU_DEP_1)
	v_pk_add_f32 v[40:41], v[40:41], v[42:43]
	s_branch .LBB157_973
.LBB157_990:                            ;   in Loop: Header=BB157_3 Depth=1
	s_and_b32 vcc_lo, exec_lo, s102
	s_mov_b32 s1, -1
	s_cbranch_vccnz .LBB157_998
; %bb.991:                              ;   in Loop: Header=BB157_3 Depth=1
	s_and_not1_b32 vcc_lo, exec_lo, s1
	s_cbranch_vccz .LBB157_999
.LBB157_992:                            ;   in Loop: Header=BB157_3 Depth=1
	s_and_saveexec_b32 s1, s66
	s_cbranch_execz .LBB157_994
.LBB157_993:                            ;   in Loop: Header=BB157_3 Depth=1
	v_lshl_add_u64 v[36:37], v[0:1], 3, v[38:39]
	flat_store_b64 v[36:37], v[40:41]
.LBB157_994:                            ;   in Loop: Header=BB157_3 Depth=1
	s_wait_xcnt 0x0
	s_or_b32 exec_lo, exec_lo, s1
	global_wb scope:SCOPE_DEV
	s_wait_storecnt_dscnt 0x0
	global_inv scope:SCOPE_DEV
	s_wait_loadcnt 0x0
	s_barrier_signal -1
	s_barrier_wait -1
	s_and_saveexec_b32 s1, s34
	s_cbranch_execz .LBB157_2
; %bb.995:                              ;   in Loop: Header=BB157_3 Depth=1
	s_lshl_b64 s[8:9], s[76:77], 2
	s_delay_alu instid0(SALU_CYCLE_1)
	s_add_nc_u64 s[8:9], s[86:87], s[8:9]
	global_load_b32 v3, v7, s[8:9]
	s_wait_loadcnt 0x0
	v_add_nc_u32_e32 v3, 1, v3
	global_store_b32 v7, v3, s[8:9]
	s_branch .LBB157_2
.LBB157_996:                            ;   in Loop: Header=BB157_3 Depth=1
	s_or_b32 exec_lo, exec_lo, s8
	s_delay_alu instid0(SALU_CYCLE_1)
	s_and_b32 vcc_lo, exec_lo, s1
	s_cbranch_vccnz .LBB157_972
.LBB157_997:                            ;   in Loop: Header=BB157_3 Depth=1
	v_mov_b64_e32 v[40:41], v[42:43]
	s_and_saveexec_b32 s1, s66
	s_cbranch_execnz .LBB157_993
	s_branch .LBB157_994
.LBB157_998:                            ;   in Loop: Header=BB157_3 Depth=1
	s_and_not1_b32 s8, s66, exec_lo
	s_and_b32 s9, s7, exec_lo
	s_delay_alu instid0(SALU_CYCLE_1)
	s_or_b32 s66, s8, s9
	s_cbranch_execnz .LBB157_992
.LBB157_999:                            ;   in Loop: Header=BB157_3 Depth=1
	v_readlane_b32 s8, v92, 10
	s_and_not1_b32 s1, s66, exec_lo
	s_and_b32 s8, s8, exec_lo
	s_delay_alu instid0(SALU_CYCLE_1) | instskip(NEXT) | instid1(SALU_CYCLE_1)
	s_or_b32 s66, s1, s8
	s_and_saveexec_b32 s1, s66
	s_cbranch_execnz .LBB157_993
	s_branch .LBB157_994
.LBB157_1000:                           ;   in Loop: Header=BB157_3 Depth=1
	ds_load_b64 v[42:43], v51 offset:31680
	ds_load_b64 v[44:45], v52 offset:32744
	s_wait_dscnt 0x0
	v_dual_mul_f32 v3, v45, v43 :: v_dual_mul_f32 v43, v44, v43
	s_delay_alu instid0(VALU_DEP_1) | instskip(NEXT) | instid1(VALU_DEP_1)
	v_fmac_f32_e32 v43, v45, v42
	v_dual_fma_f32 v3, v44, v42, -v3 :: v_dual_add_f32 v41, v41, v43
	s_delay_alu instid0(VALU_DEP_1)
	v_add_f32_e32 v40, v40, v3
	s_or_b32 exec_lo, exec_lo, s8
	s_and_saveexec_b32 s8, s14
	s_cbranch_execz .LBB157_87
.LBB157_1001:                           ;   in Loop: Header=BB157_3 Depth=1
	ds_load_b64 v[42:43], v51 offset:32192
	ds_load_b64 v[44:45], v52 offset:32752
	s_wait_dscnt 0x0
	v_dual_mul_f32 v3, v45, v43 :: v_dual_mul_f32 v83, v44, v43
	s_delay_alu instid0(VALU_DEP_1) | instskip(NEXT) | instid1(VALU_DEP_2)
	v_fma_f32 v82, v44, v42, -v3
	v_fmac_f32_e32 v83, v45, v42
	s_delay_alu instid0(VALU_DEP_1)
	v_pk_add_f32 v[40:41], v[40:41], v[82:83]
	s_or_b32 exec_lo, exec_lo, s8
	s_and_saveexec_b32 s8, s3
	s_cbranch_execnz .LBB157_88
	s_branch .LBB157_89
.LBB157_1002:                           ;   in Loop: Header=BB157_3 Depth=1
	ds_load_b64 v[42:43], v55 offset:29568
	ds_load_b64 v[44:45], v56 offset:32712
	s_wait_dscnt 0x0
	v_dual_mul_f32 v3, v45, v43 :: v_dual_mul_f32 v43, v44, v43
	s_delay_alu instid0(VALU_DEP_1) | instskip(NEXT) | instid1(VALU_DEP_1)
	v_fmac_f32_e32 v43, v45, v42
	v_dual_fma_f32 v3, v44, v42, -v3 :: v_dual_add_f32 v41, v41, v43
	s_delay_alu instid0(VALU_DEP_1)
	v_add_f32_e32 v40, v40, v3
	s_or_b32 exec_lo, exec_lo, s8
	s_and_saveexec_b32 s8, s16
	s_cbranch_execz .LBB157_125
.LBB157_1003:                           ;   in Loop: Header=BB157_3 Depth=1
	ds_load_b64 v[42:43], v55 offset:30080
	ds_load_b64 v[44:45], v56 offset:32720
	s_wait_dscnt 0x0
	v_dual_mul_f32 v3, v45, v43 :: v_dual_mul_f32 v43, v44, v43
	s_delay_alu instid0(VALU_DEP_1) | instskip(NEXT) | instid1(VALU_DEP_1)
	v_fmac_f32_e32 v43, v45, v42
	v_dual_fma_f32 v3, v44, v42, -v3 :: v_dual_add_f32 v41, v41, v43
	s_delay_alu instid0(VALU_DEP_1)
	v_add_f32_e32 v40, v40, v3
	s_or_b32 exec_lo, exec_lo, s8
	s_and_saveexec_b32 s8, s17
	s_cbranch_execz .LBB157_126
.LBB157_1004:                           ;   in Loop: Header=BB157_3 Depth=1
	ds_load_b64 v[42:43], v55 offset:30592
	ds_load_b64 v[44:45], v56 offset:32728
	s_wait_dscnt 0x0
	v_dual_mul_f32 v3, v45, v43 :: v_dual_mul_f32 v43, v44, v43
	s_delay_alu instid0(VALU_DEP_1) | instskip(NEXT) | instid1(VALU_DEP_1)
	v_fmac_f32_e32 v43, v45, v42
	v_dual_fma_f32 v3, v44, v42, -v3 :: v_dual_add_f32 v41, v41, v43
	s_delay_alu instid0(VALU_DEP_1)
	v_add_f32_e32 v40, v40, v3
	s_or_b32 exec_lo, exec_lo, s8
	s_and_saveexec_b32 s8, s18
	s_cbranch_execz .LBB157_127
.LBB157_1005:                           ;   in Loop: Header=BB157_3 Depth=1
	ds_load_b64 v[42:43], v55 offset:31104
	ds_load_b64 v[44:45], v56 offset:32736
	s_wait_dscnt 0x0
	v_dual_mul_f32 v3, v45, v43 :: v_dual_mul_f32 v83, v44, v43
	s_delay_alu instid0(VALU_DEP_1) | instskip(NEXT) | instid1(VALU_DEP_2)
	v_fma_f32 v82, v44, v42, -v3
	v_fmac_f32_e32 v83, v45, v42
	s_delay_alu instid0(VALU_DEP_1)
	v_pk_add_f32 v[40:41], v[40:41], v[82:83]
	s_or_b32 exec_lo, exec_lo, s8
	s_and_saveexec_b32 s8, s19
	s_cbranch_execz .LBB157_128
.LBB157_1006:                           ;   in Loop: Header=BB157_3 Depth=1
	ds_load_b64 v[42:43], v55 offset:31616
	ds_load_b64 v[44:45], v56 offset:32744
	s_wait_dscnt 0x0
	v_pk_mul_f32 v[82:83], v[44:45], v[42:43] op_sel:[1,1] op_sel_hi:[0,1]
	s_delay_alu instid0(VALU_DEP_1) | instskip(SKIP_1) | instid1(VALU_DEP_2)
	v_pk_fma_f32 v[84:85], v[44:45], v[42:43], v[82:83] op_sel_hi:[1,0,1]
	v_pk_fma_f32 v[42:43], v[44:45], v[42:43], v[82:83] neg_lo:[0,0,1] neg_hi:[0,0,1]
	v_mov_b32_e32 v43, v85
	s_delay_alu instid0(VALU_DEP_1)
	v_pk_add_f32 v[40:41], v[40:41], v[42:43]
	s_or_b32 exec_lo, exec_lo, s8
	s_and_saveexec_b32 s8, s4
	s_cbranch_execz .LBB157_129
.LBB157_1007:                           ;   in Loop: Header=BB157_3 Depth=1
	ds_load_b64 v[42:43], v55 offset:32128
	ds_load_b64 v[44:45], v56 offset:32752
	s_wait_dscnt 0x0
	v_pk_mul_f32 v[82:83], v[44:45], v[42:43] op_sel:[1,1] op_sel_hi:[0,1]
	s_delay_alu instid0(VALU_DEP_1) | instskip(SKIP_1) | instid1(VALU_DEP_2)
	v_pk_fma_f32 v[84:85], v[44:45], v[42:43], v[82:83] op_sel_hi:[1,0,1]
	v_pk_fma_f32 v[42:43], v[44:45], v[42:43], v[82:83] neg_lo:[0,0,1] neg_hi:[0,0,1]
	v_mov_b32_e32 v43, v85
	s_delay_alu instid0(VALU_DEP_1)
	v_pk_add_f32 v[40:41], v[40:41], v[42:43]
	s_or_b32 exec_lo, exec_lo, s8
	s_and_saveexec_b32 s8, s14
	s_cbranch_execnz .LBB157_130
	s_branch .LBB157_131
.LBB157_1008:                           ;   in Loop: Header=BB157_3 Depth=1
	ds_load_b64 v[42:43], v51 offset:27520
	ds_load_b64 v[44:45], v52 offset:28584
	s_wait_dscnt 0x0
	v_dual_mul_f32 v3, v45, v43 :: v_dual_mul_f32 v43, v44, v43
	s_delay_alu instid0(VALU_DEP_1) | instskip(NEXT) | instid1(VALU_DEP_1)
	v_fmac_f32_e32 v43, v45, v42
	v_dual_fma_f32 v3, v44, v42, -v3 :: v_dual_add_f32 v41, v41, v43
	s_delay_alu instid0(VALU_DEP_1)
	v_add_f32_e32 v40, v40, v3
	s_or_b32 exec_lo, exec_lo, s8
	s_and_saveexec_b32 s8, s14
	s_cbranch_execz .LBB157_183
.LBB157_1009:                           ;   in Loop: Header=BB157_3 Depth=1
	ds_load_b64 v[42:43], v51 offset:28032
	ds_load_b64 v[44:45], v52 offset:28592
	s_wait_dscnt 0x0
	v_dual_mul_f32 v3, v45, v43 :: v_dual_mul_f32 v83, v44, v43
	s_delay_alu instid0(VALU_DEP_1) | instskip(NEXT) | instid1(VALU_DEP_2)
	v_fma_f32 v82, v44, v42, -v3
	v_fmac_f32_e32 v83, v45, v42
	s_delay_alu instid0(VALU_DEP_1)
	v_pk_add_f32 v[40:41], v[40:41], v[82:83]
	s_or_b32 exec_lo, exec_lo, s8
	s_and_saveexec_b32 s8, s3
	s_cbranch_execnz .LBB157_184
	s_branch .LBB157_185
.LBB157_1010:                           ;   in Loop: Header=BB157_3 Depth=1
	ds_load_b64 v[42:43], v59 offset:30464
	ds_load_b64 v[44:45], v60 offset:32728
	s_wait_dscnt 0x0
	v_dual_mul_f32 v3, v45, v43 :: v_dual_mul_f32 v43, v44, v43
	s_delay_alu instid0(VALU_DEP_1) | instskip(NEXT) | instid1(VALU_DEP_1)
	v_fmac_f32_e32 v43, v45, v42
	v_dual_fma_f32 v3, v44, v42, -v3 :: v_dual_add_f32 v41, v41, v43
	s_delay_alu instid0(VALU_DEP_1)
	v_add_f32_e32 v40, v40, v3
	s_or_b32 exec_lo, exec_lo, s1
	s_and_saveexec_b32 s1, s5
	s_cbranch_execz .LBB157_241
.LBB157_1011:                           ;   in Loop: Header=BB157_3 Depth=1
	ds_load_b64 v[42:43], v59 offset:30976
	ds_load_b64 v[44:45], v60 offset:32736
	s_wait_dscnt 0x0
	v_dual_mul_f32 v3, v45, v43 :: v_dual_mul_f32 v43, v44, v43
	s_delay_alu instid0(VALU_DEP_1) | instskip(NEXT) | instid1(VALU_DEP_1)
	v_fmac_f32_e32 v43, v45, v42
	v_dual_fma_f32 v3, v44, v42, -v3 :: v_dual_add_f32 v41, v41, v43
	s_delay_alu instid0(VALU_DEP_1)
	v_add_f32_e32 v40, v40, v3
	s_or_b32 exec_lo, exec_lo, s1
	s_and_saveexec_b32 s1, s16
	s_cbranch_execz .LBB157_242
.LBB157_1012:                           ;   in Loop: Header=BB157_3 Depth=1
	ds_load_b64 v[42:43], v59 offset:31488
	ds_load_b64 v[44:45], v60 offset:32744
	s_wait_dscnt 0x0
	v_dual_mul_f32 v3, v45, v43 :: v_dual_mul_f32 v43, v44, v43
	s_delay_alu instid0(VALU_DEP_1) | instskip(NEXT) | instid1(VALU_DEP_1)
	v_fmac_f32_e32 v43, v45, v42
	v_dual_fma_f32 v3, v44, v42, -v3 :: v_dual_add_f32 v41, v41, v43
	s_delay_alu instid0(VALU_DEP_1)
	v_add_f32_e32 v40, v40, v3
	s_or_b32 exec_lo, exec_lo, s1
	s_and_saveexec_b32 s1, s18
	s_cbranch_execz .LBB157_243
.LBB157_1013:                           ;   in Loop: Header=BB157_3 Depth=1
	ds_load_b64 v[42:43], v59 offset:32000
	ds_load_b64 v[44:45], v60 offset:32752
	s_wait_dscnt 0x0
	v_dual_mul_f32 v3, v45, v43 :: v_dual_mul_f32 v83, v44, v43
	s_delay_alu instid0(VALU_DEP_1) | instskip(NEXT) | instid1(VALU_DEP_2)
	v_fma_f32 v82, v44, v42, -v3
	v_fmac_f32_e32 v83, v45, v42
	s_delay_alu instid0(VALU_DEP_1)
	v_pk_add_f32 v[40:41], v[40:41], v[82:83]
	s_or_b32 exec_lo, exec_lo, s1
	s_and_saveexec_b32 s1, s4
	s_cbranch_execnz .LBB157_244
	s_branch .LBB157_245
.LBB157_1014:                           ;   in Loop: Header=BB157_3 Depth=1
	ds_load_b64 v[42:43], v51 offset:23360
	ds_load_b64 v[44:45], v52 offset:24424
	s_wait_dscnt 0x0
	v_dual_mul_f32 v3, v45, v43 :: v_dual_mul_f32 v43, v44, v43
	s_delay_alu instid0(VALU_DEP_1) | instskip(NEXT) | instid1(VALU_DEP_1)
	v_fmac_f32_e32 v43, v45, v42
	v_dual_fma_f32 v3, v44, v42, -v3 :: v_dual_add_f32 v41, v41, v43
	s_delay_alu instid0(VALU_DEP_1)
	v_add_f32_e32 v40, v40, v3
	s_or_b32 exec_lo, exec_lo, s8
	s_and_saveexec_b32 s8, s14
	s_cbranch_execz .LBB157_329
.LBB157_1015:                           ;   in Loop: Header=BB157_3 Depth=1
	ds_load_b64 v[42:43], v51 offset:23872
	ds_load_b64 v[44:45], v52 offset:24432
	s_wait_dscnt 0x0
	v_dual_mul_f32 v3, v45, v43 :: v_dual_mul_f32 v83, v44, v43
	s_delay_alu instid0(VALU_DEP_1) | instskip(NEXT) | instid1(VALU_DEP_2)
	v_fma_f32 v82, v44, v42, -v3
	v_fmac_f32_e32 v83, v45, v42
	s_delay_alu instid0(VALU_DEP_1)
	v_pk_add_f32 v[40:41], v[40:41], v[82:83]
	s_or_b32 exec_lo, exec_lo, s8
	s_and_saveexec_b32 s8, s3
	s_cbranch_execnz .LBB157_330
	s_branch .LBB157_331
.LBB157_1016:                           ;   in Loop: Header=BB157_3 Depth=1
	ds_load_b64 v[42:43], v55 offset:21248
	ds_load_b64 v[44:45], v56 offset:24392
	s_wait_dscnt 0x0
	v_dual_mul_f32 v3, v45, v43 :: v_dual_mul_f32 v43, v44, v43
	s_delay_alu instid0(VALU_DEP_1) | instskip(NEXT) | instid1(VALU_DEP_1)
	v_fmac_f32_e32 v43, v45, v42
	v_dual_fma_f32 v3, v44, v42, -v3 :: v_dual_add_f32 v41, v41, v43
	s_delay_alu instid0(VALU_DEP_1)
	v_add_f32_e32 v40, v40, v3
	s_or_b32 exec_lo, exec_lo, s8
	s_and_saveexec_b32 s8, s16
	s_cbranch_execz .LBB157_367
.LBB157_1017:                           ;   in Loop: Header=BB157_3 Depth=1
	ds_load_b64 v[42:43], v55 offset:21760
	ds_load_b64 v[44:45], v56 offset:24400
	s_wait_dscnt 0x0
	v_dual_mul_f32 v3, v45, v43 :: v_dual_mul_f32 v43, v44, v43
	s_delay_alu instid0(VALU_DEP_1) | instskip(NEXT) | instid1(VALU_DEP_1)
	v_fmac_f32_e32 v43, v45, v42
	v_dual_fma_f32 v3, v44, v42, -v3 :: v_dual_add_f32 v41, v41, v43
	s_delay_alu instid0(VALU_DEP_1)
	v_add_f32_e32 v40, v40, v3
	s_or_b32 exec_lo, exec_lo, s8
	s_and_saveexec_b32 s8, s17
	s_cbranch_execz .LBB157_368
.LBB157_1018:                           ;   in Loop: Header=BB157_3 Depth=1
	ds_load_b64 v[42:43], v55 offset:22272
	ds_load_b64 v[44:45], v56 offset:24408
	s_wait_dscnt 0x0
	v_dual_mul_f32 v3, v45, v43 :: v_dual_mul_f32 v43, v44, v43
	s_delay_alu instid0(VALU_DEP_1) | instskip(NEXT) | instid1(VALU_DEP_1)
	v_fmac_f32_e32 v43, v45, v42
	v_dual_fma_f32 v3, v44, v42, -v3 :: v_dual_add_f32 v41, v41, v43
	s_delay_alu instid0(VALU_DEP_1)
	v_add_f32_e32 v40, v40, v3
	s_or_b32 exec_lo, exec_lo, s8
	s_and_saveexec_b32 s8, s18
	s_cbranch_execz .LBB157_369
.LBB157_1019:                           ;   in Loop: Header=BB157_3 Depth=1
	ds_load_b64 v[42:43], v55 offset:22784
	ds_load_b64 v[44:45], v56 offset:24416
	s_wait_dscnt 0x0
	v_dual_mul_f32 v3, v45, v43 :: v_dual_mul_f32 v83, v44, v43
	s_delay_alu instid0(VALU_DEP_1) | instskip(NEXT) | instid1(VALU_DEP_2)
	v_fma_f32 v82, v44, v42, -v3
	v_fmac_f32_e32 v83, v45, v42
	s_delay_alu instid0(VALU_DEP_1)
	v_pk_add_f32 v[40:41], v[40:41], v[82:83]
	s_or_b32 exec_lo, exec_lo, s8
	s_and_saveexec_b32 s8, s19
	s_cbranch_execz .LBB157_370
.LBB157_1020:                           ;   in Loop: Header=BB157_3 Depth=1
	ds_load_b64 v[42:43], v55 offset:23296
	ds_load_b64 v[44:45], v56 offset:24424
	s_wait_dscnt 0x0
	v_pk_mul_f32 v[82:83], v[44:45], v[42:43] op_sel:[1,1] op_sel_hi:[0,1]
	s_delay_alu instid0(VALU_DEP_1) | instskip(SKIP_1) | instid1(VALU_DEP_2)
	v_pk_fma_f32 v[84:85], v[44:45], v[42:43], v[82:83] op_sel_hi:[1,0,1]
	v_pk_fma_f32 v[42:43], v[44:45], v[42:43], v[82:83] neg_lo:[0,0,1] neg_hi:[0,0,1]
	v_mov_b32_e32 v43, v85
	s_delay_alu instid0(VALU_DEP_1)
	v_pk_add_f32 v[40:41], v[40:41], v[42:43]
	s_or_b32 exec_lo, exec_lo, s8
	s_and_saveexec_b32 s8, s4
	s_cbranch_execz .LBB157_371
.LBB157_1021:                           ;   in Loop: Header=BB157_3 Depth=1
	ds_load_b64 v[42:43], v55 offset:23808
	ds_load_b64 v[44:45], v56 offset:24432
	s_wait_dscnt 0x0
	v_pk_mul_f32 v[82:83], v[44:45], v[42:43] op_sel:[1,1] op_sel_hi:[0,1]
	s_delay_alu instid0(VALU_DEP_1) | instskip(SKIP_1) | instid1(VALU_DEP_2)
	v_pk_fma_f32 v[84:85], v[44:45], v[42:43], v[82:83] op_sel_hi:[1,0,1]
	v_pk_fma_f32 v[42:43], v[44:45], v[42:43], v[82:83] neg_lo:[0,0,1] neg_hi:[0,0,1]
	v_mov_b32_e32 v43, v85
	s_delay_alu instid0(VALU_DEP_1)
	v_pk_add_f32 v[40:41], v[40:41], v[42:43]
	s_or_b32 exec_lo, exec_lo, s8
	s_and_saveexec_b32 s8, s14
	s_cbranch_execnz .LBB157_372
	s_branch .LBB157_373
.LBB157_1022:                           ;   in Loop: Header=BB157_3 Depth=1
	ds_load_b64 v[42:43], v51 offset:19200
	ds_load_b64 v[44:45], v52 offset:20264
	s_wait_dscnt 0x0
	v_dual_mul_f32 v3, v45, v43 :: v_dual_mul_f32 v43, v44, v43
	s_delay_alu instid0(VALU_DEP_1) | instskip(NEXT) | instid1(VALU_DEP_1)
	v_fmac_f32_e32 v43, v45, v42
	v_dual_fma_f32 v3, v44, v42, -v3 :: v_dual_add_f32 v41, v41, v43
	s_delay_alu instid0(VALU_DEP_1)
	v_add_f32_e32 v40, v40, v3
	s_or_b32 exec_lo, exec_lo, s8
	s_and_saveexec_b32 s8, s14
	s_cbranch_execz .LBB157_425
.LBB157_1023:                           ;   in Loop: Header=BB157_3 Depth=1
	ds_load_b64 v[42:43], v51 offset:19712
	ds_load_b64 v[44:45], v52 offset:20272
	s_wait_dscnt 0x0
	v_dual_mul_f32 v3, v45, v43 :: v_dual_mul_f32 v83, v44, v43
	s_delay_alu instid0(VALU_DEP_1) | instskip(NEXT) | instid1(VALU_DEP_2)
	v_fma_f32 v82, v44, v42, -v3
	v_fmac_f32_e32 v83, v45, v42
	s_delay_alu instid0(VALU_DEP_1)
	v_pk_add_f32 v[40:41], v[40:41], v[82:83]
	s_or_b32 exec_lo, exec_lo, s8
	s_and_saveexec_b32 s8, s3
	s_cbranch_execnz .LBB157_426
	s_branch .LBB157_427
.LBB157_1024:                           ;   in Loop: Header=BB157_3 Depth=1
	ds_load_b64 v[42:43], v64 offset:31232
	ds_load_b64 v[44:45], v65 offset:32744
	s_wait_dscnt 0x0
	v_pk_mul_f32 v[82:83], v[44:45], v[42:43] op_sel:[1,1] op_sel_hi:[0,1]
	s_delay_alu instid0(VALU_DEP_1) | instskip(SKIP_1) | instid1(VALU_DEP_2)
	v_pk_fma_f32 v[84:85], v[44:45], v[42:43], v[82:83] op_sel_hi:[1,0,1]
	v_pk_fma_f32 v[42:43], v[44:45], v[42:43], v[82:83] neg_lo:[0,0,1] neg_hi:[0,0,1]
	v_mov_b32_e32 v43, v85
	s_delay_alu instid0(VALU_DEP_1)
	v_pk_add_f32 v[40:41], v[40:41], v[42:43]
	s_or_b32 exec_lo, exec_lo, s1
	s_and_saveexec_b32 s1, s5
	s_cbranch_execz .LBB157_519
.LBB157_1025:                           ;   in Loop: Header=BB157_3 Depth=1
	ds_load_b64 v[42:43], v64 offset:31744
	ds_load_b64 v[44:45], v65 offset:32752
	s_wait_dscnt 0x0
	v_pk_mul_f32 v[82:83], v[44:45], v[42:43] op_sel:[1,1] op_sel_hi:[0,1]
	s_delay_alu instid0(VALU_DEP_1) | instskip(SKIP_1) | instid1(VALU_DEP_2)
	v_pk_fma_f32 v[84:85], v[44:45], v[42:43], v[82:83] op_sel_hi:[1,0,1]
	v_pk_fma_f32 v[42:43], v[44:45], v[42:43], v[82:83] neg_lo:[0,0,1] neg_hi:[0,0,1]
	v_mov_b32_e32 v43, v85
	s_delay_alu instid0(VALU_DEP_1) | instskip(SKIP_2) | instid1(SALU_CYCLE_1)
	v_pk_add_f32 v[40:41], v[40:41], v[42:43]
	s_or_b32 exec_lo, exec_lo, s1
	s_and_saveexec_b32 s1, s18
	s_xor_b32 s1, exec_lo, s1
	s_cbranch_execnz .LBB157_520
	s_branch .LBB157_521
.LBB157_1026:                           ;   in Loop: Header=BB157_3 Depth=1
	ds_load_b64 v[42:43], v51 offset:15040
	ds_load_b64 v[44:45], v52 offset:16104
	s_wait_dscnt 0x0
	v_dual_mul_f32 v3, v45, v43 :: v_dual_mul_f32 v43, v44, v43
	s_delay_alu instid0(VALU_DEP_1) | instskip(NEXT) | instid1(VALU_DEP_1)
	v_fmac_f32_e32 v43, v45, v42
	v_dual_fma_f32 v3, v44, v42, -v3 :: v_dual_add_f32 v41, v41, v43
	s_delay_alu instid0(VALU_DEP_1)
	v_add_f32_e32 v40, v40, v3
	s_or_b32 exec_lo, exec_lo, s8
	s_and_saveexec_b32 s8, s14
	s_cbranch_execz .LBB157_561
.LBB157_1027:                           ;   in Loop: Header=BB157_3 Depth=1
	ds_load_b64 v[42:43], v51 offset:15552
	ds_load_b64 v[44:45], v52 offset:16112
	s_wait_dscnt 0x0
	v_dual_mul_f32 v3, v45, v43 :: v_dual_mul_f32 v83, v44, v43
	s_delay_alu instid0(VALU_DEP_1) | instskip(NEXT) | instid1(VALU_DEP_2)
	v_fma_f32 v82, v44, v42, -v3
	v_fmac_f32_e32 v83, v45, v42
	s_delay_alu instid0(VALU_DEP_1)
	v_pk_add_f32 v[40:41], v[40:41], v[82:83]
	s_or_b32 exec_lo, exec_lo, s8
	s_and_saveexec_b32 s8, s3
	s_cbranch_execnz .LBB157_562
	s_branch .LBB157_563
.LBB157_1028:                           ;   in Loop: Header=BB157_3 Depth=1
	ds_load_b64 v[42:43], v55 offset:12928
	ds_load_b64 v[44:45], v56 offset:16072
	s_wait_dscnt 0x0
	v_dual_mul_f32 v3, v45, v43 :: v_dual_mul_f32 v43, v44, v43
	s_delay_alu instid0(VALU_DEP_1) | instskip(NEXT) | instid1(VALU_DEP_1)
	v_fmac_f32_e32 v43, v45, v42
	v_dual_fma_f32 v3, v44, v42, -v3 :: v_dual_add_f32 v41, v41, v43
	s_delay_alu instid0(VALU_DEP_1)
	v_add_f32_e32 v40, v40, v3
	s_or_b32 exec_lo, exec_lo, s8
	s_and_saveexec_b32 s8, s16
	s_cbranch_execz .LBB157_599
.LBB157_1029:                           ;   in Loop: Header=BB157_3 Depth=1
	ds_load_b64 v[42:43], v55 offset:13440
	ds_load_b64 v[44:45], v56 offset:16080
	s_wait_dscnt 0x0
	v_dual_mul_f32 v3, v45, v43 :: v_dual_mul_f32 v43, v44, v43
	s_delay_alu instid0(VALU_DEP_1) | instskip(NEXT) | instid1(VALU_DEP_1)
	v_fmac_f32_e32 v43, v45, v42
	v_dual_fma_f32 v3, v44, v42, -v3 :: v_dual_add_f32 v41, v41, v43
	s_delay_alu instid0(VALU_DEP_1)
	v_add_f32_e32 v40, v40, v3
	s_or_b32 exec_lo, exec_lo, s8
	s_and_saveexec_b32 s8, s17
	s_cbranch_execz .LBB157_600
.LBB157_1030:                           ;   in Loop: Header=BB157_3 Depth=1
	ds_load_b64 v[42:43], v55 offset:13952
	ds_load_b64 v[44:45], v56 offset:16088
	s_wait_dscnt 0x0
	v_dual_mul_f32 v3, v45, v43 :: v_dual_mul_f32 v43, v44, v43
	s_delay_alu instid0(VALU_DEP_1) | instskip(NEXT) | instid1(VALU_DEP_1)
	v_fmac_f32_e32 v43, v45, v42
	v_dual_fma_f32 v3, v44, v42, -v3 :: v_dual_add_f32 v41, v41, v43
	s_delay_alu instid0(VALU_DEP_1)
	v_add_f32_e32 v40, v40, v3
	s_or_b32 exec_lo, exec_lo, s8
	s_and_saveexec_b32 s8, s18
	s_cbranch_execz .LBB157_601
.LBB157_1031:                           ;   in Loop: Header=BB157_3 Depth=1
	ds_load_b64 v[42:43], v55 offset:14464
	ds_load_b64 v[44:45], v56 offset:16096
	s_wait_dscnt 0x0
	v_dual_mul_f32 v3, v45, v43 :: v_dual_mul_f32 v83, v44, v43
	s_delay_alu instid0(VALU_DEP_1) | instskip(NEXT) | instid1(VALU_DEP_2)
	v_fma_f32 v82, v44, v42, -v3
	v_fmac_f32_e32 v83, v45, v42
	s_delay_alu instid0(VALU_DEP_1)
	v_pk_add_f32 v[40:41], v[40:41], v[82:83]
	s_or_b32 exec_lo, exec_lo, s8
	s_and_saveexec_b32 s8, s19
	s_cbranch_execz .LBB157_602
.LBB157_1032:                           ;   in Loop: Header=BB157_3 Depth=1
	ds_load_b64 v[42:43], v55 offset:14976
	ds_load_b64 v[44:45], v56 offset:16104
	s_wait_dscnt 0x0
	v_pk_mul_f32 v[82:83], v[44:45], v[42:43] op_sel:[1,1] op_sel_hi:[0,1]
	s_delay_alu instid0(VALU_DEP_1) | instskip(SKIP_1) | instid1(VALU_DEP_2)
	v_pk_fma_f32 v[84:85], v[44:45], v[42:43], v[82:83] op_sel_hi:[1,0,1]
	v_pk_fma_f32 v[42:43], v[44:45], v[42:43], v[82:83] neg_lo:[0,0,1] neg_hi:[0,0,1]
	v_mov_b32_e32 v43, v85
	s_delay_alu instid0(VALU_DEP_1)
	v_pk_add_f32 v[40:41], v[40:41], v[42:43]
	s_or_b32 exec_lo, exec_lo, s8
	s_and_saveexec_b32 s8, s4
	s_cbranch_execz .LBB157_603
.LBB157_1033:                           ;   in Loop: Header=BB157_3 Depth=1
	ds_load_b64 v[42:43], v55 offset:15488
	ds_load_b64 v[44:45], v56 offset:16112
	s_wait_dscnt 0x0
	v_pk_mul_f32 v[82:83], v[44:45], v[42:43] op_sel:[1,1] op_sel_hi:[0,1]
	s_delay_alu instid0(VALU_DEP_1) | instskip(SKIP_1) | instid1(VALU_DEP_2)
	v_pk_fma_f32 v[84:85], v[44:45], v[42:43], v[82:83] op_sel_hi:[1,0,1]
	v_pk_fma_f32 v[42:43], v[44:45], v[42:43], v[82:83] neg_lo:[0,0,1] neg_hi:[0,0,1]
	v_mov_b32_e32 v43, v85
	s_delay_alu instid0(VALU_DEP_1)
	v_pk_add_f32 v[40:41], v[40:41], v[42:43]
	s_or_b32 exec_lo, exec_lo, s8
	s_and_saveexec_b32 s8, s14
	s_cbranch_execnz .LBB157_604
	s_branch .LBB157_605
.LBB157_1034:                           ;   in Loop: Header=BB157_3 Depth=1
	ds_load_b64 v[42:43], v51 offset:10880
	ds_load_b64 v[44:45], v52 offset:11944
	s_wait_dscnt 0x0
	v_dual_mul_f32 v3, v45, v43 :: v_dual_mul_f32 v43, v44, v43
	s_delay_alu instid0(VALU_DEP_1) | instskip(NEXT) | instid1(VALU_DEP_1)
	v_fmac_f32_e32 v43, v45, v42
	v_dual_fma_f32 v3, v44, v42, -v3 :: v_dual_add_f32 v41, v41, v43
	s_delay_alu instid0(VALU_DEP_1)
	v_add_f32_e32 v40, v40, v3
	s_or_b32 exec_lo, exec_lo, s8
	s_and_saveexec_b32 s8, s14
	s_cbranch_execz .LBB157_657
.LBB157_1035:                           ;   in Loop: Header=BB157_3 Depth=1
	ds_load_b64 v[42:43], v51 offset:11392
	ds_load_b64 v[44:45], v52 offset:11952
	s_wait_dscnt 0x0
	v_dual_mul_f32 v3, v45, v43 :: v_dual_mul_f32 v83, v44, v43
	s_delay_alu instid0(VALU_DEP_1) | instskip(NEXT) | instid1(VALU_DEP_2)
	v_fma_f32 v82, v44, v42, -v3
	v_fmac_f32_e32 v83, v45, v42
	s_delay_alu instid0(VALU_DEP_1)
	v_pk_add_f32 v[40:41], v[40:41], v[82:83]
	s_or_b32 exec_lo, exec_lo, s8
	s_and_saveexec_b32 s8, s3
	s_cbranch_execnz .LBB157_658
	s_branch .LBB157_659
.LBB157_1036:                           ;   in Loop: Header=BB157_3 Depth=1
	ds_load_b64 v[42:43], v59 offset:13824
	ds_load_b64 v[44:45], v60 offset:16088
	s_wait_dscnt 0x0
	v_dual_mul_f32 v3, v45, v43 :: v_dual_mul_f32 v43, v44, v43
	s_delay_alu instid0(VALU_DEP_1) | instskip(NEXT) | instid1(VALU_DEP_1)
	v_fmac_f32_e32 v43, v45, v42
	v_dual_fma_f32 v3, v44, v42, -v3 :: v_dual_add_f32 v41, v41, v43
	s_delay_alu instid0(VALU_DEP_1)
	v_add_f32_e32 v40, v40, v3
	s_or_b32 exec_lo, exec_lo, s1
	s_and_saveexec_b32 s1, s5
	s_cbranch_execz .LBB157_715
.LBB157_1037:                           ;   in Loop: Header=BB157_3 Depth=1
	ds_load_b64 v[42:43], v59 offset:14336
	ds_load_b64 v[44:45], v60 offset:16096
	s_wait_dscnt 0x0
	v_dual_mul_f32 v3, v45, v43 :: v_dual_mul_f32 v43, v44, v43
	s_delay_alu instid0(VALU_DEP_1) | instskip(NEXT) | instid1(VALU_DEP_1)
	v_fmac_f32_e32 v43, v45, v42
	v_dual_fma_f32 v3, v44, v42, -v3 :: v_dual_add_f32 v41, v41, v43
	s_delay_alu instid0(VALU_DEP_1)
	v_add_f32_e32 v40, v40, v3
	s_or_b32 exec_lo, exec_lo, s1
	s_and_saveexec_b32 s1, s16
	s_cbranch_execz .LBB157_716
.LBB157_1038:                           ;   in Loop: Header=BB157_3 Depth=1
	ds_load_b64 v[42:43], v59 offset:14848
	ds_load_b64 v[44:45], v60 offset:16104
	s_wait_dscnt 0x0
	v_dual_mul_f32 v3, v45, v43 :: v_dual_mul_f32 v43, v44, v43
	s_delay_alu instid0(VALU_DEP_1) | instskip(NEXT) | instid1(VALU_DEP_1)
	v_fmac_f32_e32 v43, v45, v42
	v_dual_fma_f32 v3, v44, v42, -v3 :: v_dual_add_f32 v41, v41, v43
	s_delay_alu instid0(VALU_DEP_1)
	v_add_f32_e32 v40, v40, v3
	s_or_b32 exec_lo, exec_lo, s1
	s_and_saveexec_b32 s1, s18
	s_cbranch_execz .LBB157_717
.LBB157_1039:                           ;   in Loop: Header=BB157_3 Depth=1
	ds_load_b64 v[42:43], v59 offset:15360
	ds_load_b64 v[44:45], v60 offset:16112
	s_wait_dscnt 0x0
	v_dual_mul_f32 v3, v45, v43 :: v_dual_mul_f32 v83, v44, v43
	s_delay_alu instid0(VALU_DEP_1) | instskip(NEXT) | instid1(VALU_DEP_2)
	v_fma_f32 v82, v44, v42, -v3
	v_fmac_f32_e32 v83, v45, v42
	s_delay_alu instid0(VALU_DEP_1)
	v_pk_add_f32 v[40:41], v[40:41], v[82:83]
	s_or_b32 exec_lo, exec_lo, s1
	s_and_saveexec_b32 s1, s4
	s_cbranch_execnz .LBB157_718
	s_branch .LBB157_719
.LBB157_1040:                           ;   in Loop: Header=BB157_3 Depth=1
	ds_load_b64 v[42:43], v51 offset:6720
	ds_load_b64 v[44:45], v52 offset:7784
	s_wait_dscnt 0x0
	v_dual_mul_f32 v3, v45, v43 :: v_dual_mul_f32 v43, v44, v43
	s_delay_alu instid0(VALU_DEP_1) | instskip(NEXT) | instid1(VALU_DEP_1)
	v_fmac_f32_e32 v43, v45, v42
	v_dual_fma_f32 v3, v44, v42, -v3 :: v_dual_add_f32 v41, v41, v43
	s_delay_alu instid0(VALU_DEP_1)
	v_add_f32_e32 v40, v40, v3
	s_or_b32 exec_lo, exec_lo, s8
	s_and_saveexec_b32 s8, s14
	s_cbranch_execz .LBB157_803
.LBB157_1041:                           ;   in Loop: Header=BB157_3 Depth=1
	ds_load_b64 v[42:43], v51 offset:7232
	ds_load_b64 v[44:45], v52 offset:7792
	s_wait_dscnt 0x0
	v_dual_mul_f32 v3, v45, v43 :: v_dual_mul_f32 v83, v44, v43
	s_delay_alu instid0(VALU_DEP_1) | instskip(NEXT) | instid1(VALU_DEP_2)
	v_fma_f32 v82, v44, v42, -v3
	v_fmac_f32_e32 v83, v45, v42
	s_delay_alu instid0(VALU_DEP_1)
	v_pk_add_f32 v[40:41], v[40:41], v[82:83]
	s_or_b32 exec_lo, exec_lo, s8
	s_and_saveexec_b32 s8, s3
	s_cbranch_execnz .LBB157_804
	s_branch .LBB157_805
.LBB157_1042:                           ;   in Loop: Header=BB157_3 Depth=1
	ds_load_b64 v[42:43], v55 offset:4608
	ds_load_b64 v[44:45], v56 offset:7752
	s_wait_dscnt 0x0
	v_dual_mul_f32 v3, v45, v43 :: v_dual_mul_f32 v43, v44, v43
	s_delay_alu instid0(VALU_DEP_1) | instskip(NEXT) | instid1(VALU_DEP_1)
	v_fmac_f32_e32 v43, v45, v42
	v_dual_fma_f32 v3, v44, v42, -v3 :: v_dual_add_f32 v41, v41, v43
	s_delay_alu instid0(VALU_DEP_1)
	v_add_f32_e32 v40, v40, v3
	s_or_b32 exec_lo, exec_lo, s8
	s_and_saveexec_b32 s8, s16
	s_cbranch_execz .LBB157_841
.LBB157_1043:                           ;   in Loop: Header=BB157_3 Depth=1
	ds_load_b64 v[42:43], v55 offset:5120
	ds_load_b64 v[44:45], v56 offset:7760
	s_wait_dscnt 0x0
	v_dual_mul_f32 v3, v45, v43 :: v_dual_mul_f32 v43, v44, v43
	s_delay_alu instid0(VALU_DEP_1) | instskip(NEXT) | instid1(VALU_DEP_1)
	v_fmac_f32_e32 v43, v45, v42
	v_dual_fma_f32 v3, v44, v42, -v3 :: v_dual_add_f32 v41, v41, v43
	s_delay_alu instid0(VALU_DEP_1)
	v_add_f32_e32 v40, v40, v3
	s_or_b32 exec_lo, exec_lo, s8
	s_and_saveexec_b32 s8, s17
	s_cbranch_execz .LBB157_842
.LBB157_1044:                           ;   in Loop: Header=BB157_3 Depth=1
	ds_load_b64 v[42:43], v55 offset:5632
	ds_load_b64 v[44:45], v56 offset:7768
	s_wait_dscnt 0x0
	v_dual_mul_f32 v3, v45, v43 :: v_dual_mul_f32 v43, v44, v43
	s_delay_alu instid0(VALU_DEP_1) | instskip(NEXT) | instid1(VALU_DEP_1)
	v_fmac_f32_e32 v43, v45, v42
	v_dual_fma_f32 v3, v44, v42, -v3 :: v_dual_add_f32 v41, v41, v43
	s_delay_alu instid0(VALU_DEP_1)
	v_add_f32_e32 v40, v40, v3
	s_or_b32 exec_lo, exec_lo, s8
	s_and_saveexec_b32 s8, s18
	s_cbranch_execz .LBB157_843
.LBB157_1045:                           ;   in Loop: Header=BB157_3 Depth=1
	ds_load_b64 v[42:43], v55 offset:6144
	ds_load_b64 v[44:45], v56 offset:7776
	s_wait_dscnt 0x0
	v_dual_mul_f32 v3, v45, v43 :: v_dual_mul_f32 v83, v44, v43
	s_delay_alu instid0(VALU_DEP_1) | instskip(NEXT) | instid1(VALU_DEP_2)
	v_fma_f32 v82, v44, v42, -v3
	v_fmac_f32_e32 v83, v45, v42
	s_delay_alu instid0(VALU_DEP_1)
	v_pk_add_f32 v[40:41], v[40:41], v[82:83]
	s_or_b32 exec_lo, exec_lo, s8
	s_and_saveexec_b32 s8, s19
	s_cbranch_execz .LBB157_844
.LBB157_1046:                           ;   in Loop: Header=BB157_3 Depth=1
	ds_load_b64 v[42:43], v55 offset:6656
	ds_load_b64 v[44:45], v56 offset:7784
	s_wait_dscnt 0x0
	v_pk_mul_f32 v[82:83], v[44:45], v[42:43] op_sel:[1,1] op_sel_hi:[0,1]
	s_delay_alu instid0(VALU_DEP_1) | instskip(SKIP_1) | instid1(VALU_DEP_2)
	v_pk_fma_f32 v[84:85], v[44:45], v[42:43], v[82:83] op_sel_hi:[1,0,1]
	v_pk_fma_f32 v[42:43], v[44:45], v[42:43], v[82:83] neg_lo:[0,0,1] neg_hi:[0,0,1]
	v_mov_b32_e32 v43, v85
	s_delay_alu instid0(VALU_DEP_1)
	v_pk_add_f32 v[40:41], v[40:41], v[42:43]
	s_or_b32 exec_lo, exec_lo, s8
	s_and_saveexec_b32 s8, s4
	s_cbranch_execz .LBB157_845
.LBB157_1047:                           ;   in Loop: Header=BB157_3 Depth=1
	ds_load_b64 v[42:43], v55 offset:7168
	ds_load_b64 v[44:45], v56 offset:7792
	s_wait_dscnt 0x0
	v_pk_mul_f32 v[82:83], v[44:45], v[42:43] op_sel:[1,1] op_sel_hi:[0,1]
	s_delay_alu instid0(VALU_DEP_1) | instskip(SKIP_1) | instid1(VALU_DEP_2)
	v_pk_fma_f32 v[84:85], v[44:45], v[42:43], v[82:83] op_sel_hi:[1,0,1]
	v_pk_fma_f32 v[42:43], v[44:45], v[42:43], v[82:83] neg_lo:[0,0,1] neg_hi:[0,0,1]
	v_mov_b32_e32 v43, v85
	s_delay_alu instid0(VALU_DEP_1)
	v_pk_add_f32 v[40:41], v[40:41], v[42:43]
	s_or_b32 exec_lo, exec_lo, s8
	s_and_saveexec_b32 s8, s14
	s_cbranch_execnz .LBB157_846
	s_branch .LBB157_847
.LBB157_1048:                           ;   in Loop: Header=BB157_3 Depth=1
	ds_load_b64 v[42:43], v51 offset:2560
	ds_load_b64 v[44:45], v52 offset:3624
	s_wait_dscnt 0x0
	v_dual_mul_f32 v3, v45, v43 :: v_dual_mul_f32 v43, v44, v43
	s_delay_alu instid0(VALU_DEP_1) | instskip(NEXT) | instid1(VALU_DEP_1)
	v_fmac_f32_e32 v43, v45, v42
	v_dual_fma_f32 v3, v44, v42, -v3 :: v_dual_add_f32 v41, v41, v43
	s_delay_alu instid0(VALU_DEP_1)
	v_add_f32_e32 v40, v40, v3
	s_or_b32 exec_lo, exec_lo, s8
	s_and_saveexec_b32 s8, s14
	s_cbranch_execz .LBB157_899
.LBB157_1049:                           ;   in Loop: Header=BB157_3 Depth=1
	ds_load_b64 v[42:43], v51 offset:3072
	ds_load_b64 v[44:45], v52 offset:3632
	s_wait_dscnt 0x0
	v_dual_mul_f32 v3, v45, v43 :: v_dual_mul_f32 v83, v44, v43
	s_delay_alu instid0(VALU_DEP_1) | instskip(NEXT) | instid1(VALU_DEP_2)
	v_fma_f32 v82, v44, v42, -v3
	v_fmac_f32_e32 v83, v45, v42
	s_delay_alu instid0(VALU_DEP_1)
	v_pk_add_f32 v[40:41], v[40:41], v[82:83]
	s_or_b32 exec_lo, exec_lo, s8
	s_and_saveexec_b32 s8, s3
	s_cbranch_execnz .LBB157_900
	s_branch .LBB157_901
.LBB157_1050:
	s_endpgm
	.section	.rodata,"a",@progbits
	.p2align	6, 0x0
	.amdhsa_kernel _ZL19rocblas_trsv_deviceILi64ELi16ELb0ELb0ELb0ELb1E19rocblas_complex_numIfES1_PKPKS1_PKPS1_EviT7_lllT6_T8_lllPii
		.amdhsa_group_segment_fixed_size 41480
		.amdhsa_private_segment_fixed_size 48
		.amdhsa_kernarg_size 352
		.amdhsa_user_sgpr_count 2
		.amdhsa_user_sgpr_dispatch_ptr 0
		.amdhsa_user_sgpr_queue_ptr 0
		.amdhsa_user_sgpr_kernarg_segment_ptr 1
		.amdhsa_user_sgpr_dispatch_id 0
		.amdhsa_user_sgpr_kernarg_preload_length 0
		.amdhsa_user_sgpr_kernarg_preload_offset 0
		.amdhsa_user_sgpr_private_segment_size 0
		.amdhsa_wavefront_size32 1
		.amdhsa_uses_dynamic_stack 0
		.amdhsa_enable_private_segment 1
		.amdhsa_system_sgpr_workgroup_id_x 1
		.amdhsa_system_sgpr_workgroup_id_y 0
		.amdhsa_system_sgpr_workgroup_id_z 1
		.amdhsa_system_sgpr_workgroup_info 0
		.amdhsa_system_vgpr_workitem_id 1
		.amdhsa_next_free_vgpr 93
		.amdhsa_next_free_sgpr 105
		.amdhsa_named_barrier_count 0
		.amdhsa_reserve_vcc 1
		.amdhsa_float_round_mode_32 0
		.amdhsa_float_round_mode_16_64 0
		.amdhsa_float_denorm_mode_32 3
		.amdhsa_float_denorm_mode_16_64 3
		.amdhsa_fp16_overflow 0
		.amdhsa_memory_ordered 1
		.amdhsa_forward_progress 1
		.amdhsa_inst_pref_size 255
		.amdhsa_round_robin_scheduling 0
		.amdhsa_exception_fp_ieee_invalid_op 0
		.amdhsa_exception_fp_denorm_src 0
		.amdhsa_exception_fp_ieee_div_zero 0
		.amdhsa_exception_fp_ieee_overflow 0
		.amdhsa_exception_fp_ieee_underflow 0
		.amdhsa_exception_fp_ieee_inexact 0
		.amdhsa_exception_int_div_zero 0
	.end_amdhsa_kernel
	.section	.text._ZL19rocblas_trsv_deviceILi64ELi16ELb0ELb0ELb0ELb1E19rocblas_complex_numIfES1_PKPKS1_PKPS1_EviT7_lllT6_T8_lllPii,"axG",@progbits,_ZL19rocblas_trsv_deviceILi64ELi16ELb0ELb0ELb0ELb1E19rocblas_complex_numIfES1_PKPKS1_PKPS1_EviT7_lllT6_T8_lllPii,comdat
.Lfunc_end157:
	.size	_ZL19rocblas_trsv_deviceILi64ELi16ELb0ELb0ELb0ELb1E19rocblas_complex_numIfES1_PKPKS1_PKPS1_EviT7_lllT6_T8_lllPii, .Lfunc_end157-_ZL19rocblas_trsv_deviceILi64ELi16ELb0ELb0ELb0ELb1E19rocblas_complex_numIfES1_PKPKS1_PKPS1_EviT7_lllT6_T8_lllPii
                                        ; -- End function
	.set _ZL19rocblas_trsv_deviceILi64ELi16ELb0ELb0ELb0ELb1E19rocblas_complex_numIfES1_PKPKS1_PKPS1_EviT7_lllT6_T8_lllPii.num_vgpr, 93
	.set _ZL19rocblas_trsv_deviceILi64ELi16ELb0ELb0ELb0ELb1E19rocblas_complex_numIfES1_PKPKS1_PKPS1_EviT7_lllT6_T8_lllPii.num_agpr, 0
	.set _ZL19rocblas_trsv_deviceILi64ELi16ELb0ELb0ELb0ELb1E19rocblas_complex_numIfES1_PKPKS1_PKPS1_EviT7_lllT6_T8_lllPii.numbered_sgpr, 105
	.set _ZL19rocblas_trsv_deviceILi64ELi16ELb0ELb0ELb0ELb1E19rocblas_complex_numIfES1_PKPKS1_PKPS1_EviT7_lllT6_T8_lllPii.num_named_barrier, 0
	.set _ZL19rocblas_trsv_deviceILi64ELi16ELb0ELb0ELb0ELb1E19rocblas_complex_numIfES1_PKPKS1_PKPS1_EviT7_lllT6_T8_lllPii.private_seg_size, 48
	.set _ZL19rocblas_trsv_deviceILi64ELi16ELb0ELb0ELb0ELb1E19rocblas_complex_numIfES1_PKPKS1_PKPS1_EviT7_lllT6_T8_lllPii.uses_vcc, 1
	.set _ZL19rocblas_trsv_deviceILi64ELi16ELb0ELb0ELb0ELb1E19rocblas_complex_numIfES1_PKPKS1_PKPS1_EviT7_lllT6_T8_lllPii.uses_flat_scratch, 0
	.set _ZL19rocblas_trsv_deviceILi64ELi16ELb0ELb0ELb0ELb1E19rocblas_complex_numIfES1_PKPKS1_PKPS1_EviT7_lllT6_T8_lllPii.has_dyn_sized_stack, 0
	.set _ZL19rocblas_trsv_deviceILi64ELi16ELb0ELb0ELb0ELb1E19rocblas_complex_numIfES1_PKPKS1_PKPS1_EviT7_lllT6_T8_lllPii.has_recursion, 0
	.set _ZL19rocblas_trsv_deviceILi64ELi16ELb0ELb0ELb0ELb1E19rocblas_complex_numIfES1_PKPKS1_PKPS1_EviT7_lllT6_T8_lllPii.has_indirect_call, 0
	.section	.AMDGPU.csdata,"",@progbits
; Kernel info:
; codeLenInByte = 38472
; TotalNumSgprs: 107
; NumVgprs: 93
; ScratchSize: 48
; MemoryBound: 0
; FloatMode: 240
; IeeeMode: 1
; LDSByteSize: 41480 bytes/workgroup (compile time only)
; SGPRBlocks: 0
; VGPRBlocks: 5
; NumSGPRsForWavesPerEU: 107
; NumVGPRsForWavesPerEU: 93
; NamedBarCnt: 0
; Occupancy: 10
; WaveLimiterHint : 1
; COMPUTE_PGM_RSRC2:SCRATCH_EN: 1
; COMPUTE_PGM_RSRC2:USER_SGPR: 2
; COMPUTE_PGM_RSRC2:TRAP_HANDLER: 0
; COMPUTE_PGM_RSRC2:TGID_X_EN: 1
; COMPUTE_PGM_RSRC2:TGID_Y_EN: 0
; COMPUTE_PGM_RSRC2:TGID_Z_EN: 1
; COMPUTE_PGM_RSRC2:TIDIG_COMP_CNT: 1
	.section	.text._ZL19rocblas_trsv_deviceILi64ELi16ELb0ELb1ELb0ELb1E19rocblas_complex_numIfES1_PKPKS1_PKPS1_EviT7_lllT6_T8_lllPii,"axG",@progbits,_ZL19rocblas_trsv_deviceILi64ELi16ELb0ELb1ELb0ELb1E19rocblas_complex_numIfES1_PKPKS1_PKPS1_EviT7_lllT6_T8_lllPii,comdat
	.globl	_ZL19rocblas_trsv_deviceILi64ELi16ELb0ELb1ELb0ELb1E19rocblas_complex_numIfES1_PKPKS1_PKPS1_EviT7_lllT6_T8_lllPii ; -- Begin function _ZL19rocblas_trsv_deviceILi64ELi16ELb0ELb1ELb0ELb1E19rocblas_complex_numIfES1_PKPKS1_PKPS1_EviT7_lllT6_T8_lllPii
	.p2align	8
	.type	_ZL19rocblas_trsv_deviceILi64ELi16ELb0ELb1ELb0ELb1E19rocblas_complex_numIfES1_PKPKS1_PKPS1_EviT7_lllT6_T8_lllPii,@function
_ZL19rocblas_trsv_deviceILi64ELi16ELb0ELb1ELb0ELb1E19rocblas_complex_numIfES1_PKPKS1_PKPS1_EviT7_lllT6_T8_lllPii: ; @_ZL19rocblas_trsv_deviceILi64ELi16ELb0ELb1ELb0ELb1E19rocblas_complex_numIfES1_PKPKS1_PKPS1_EviT7_lllT6_T8_lllPii
; %bb.0:
	s_load_b32 s63, s[0:1], 0x58
	s_bfe_u32 s2, ttmp6, 0x40014
	s_lshr_b32 s3, ttmp7, 16
	s_add_co_i32 s2, s2, 1
	s_bfe_u32 s5, ttmp6, 0x40008
	s_mul_i32 s4, s3, s2
	s_getreg_b32 s2, hwreg(HW_REG_IB_STS2, 6, 4)
	s_add_co_i32 s5, s5, s4
	s_cmp_eq_u32 s2, 0
	s_mov_b32 s73, 0
	s_cselect_b32 s72, s3, s5
	s_wait_kmcnt 0x0
	s_cmp_ge_u32 s72, s63
	s_cbranch_scc1 .LBB158_1112
; %bb.1:
	s_clause 0x4
	s_load_b32 s3, s[0:1], 0x6c
	s_load_b32 s86, s[0:1], 0x0
	s_load_b64 s[14:15], s[0:1], 0x18
	s_load_b64 s[36:37], s[0:1], 0x28
	;; [unrolled: 1-line block ×3, first 2 shown]
	s_bfe_u32 s5, ttmp6, 0x4000c
	s_and_b32 s4, ttmp6, 15
	s_add_co_i32 s5, s5, 1
	v_and_b32_e32 v4, 0x3ff, v0
	s_mul_i32 s5, ttmp9, s5
	v_bfe_u32 v2, v0, 10, 10
	s_add_co_i32 s4, s4, s5
	s_cmp_eq_u32 s2, 0
	v_dual_mov_b32 v1, 0 :: v_dual_lshlrev_b32 v3, 6, v4
	s_cselect_b32 s87, ttmp9, s4
	v_add_nc_u32_e32 v24, 16, v2
	v_lshl_add_u32 v35, v2, 6, v4
	s_delay_alu instid0(VALU_DEP_3)
	v_dual_mov_b32 v7, v1 :: v_dual_add_nc_u32 v12, v2, v3
	s_wait_kmcnt 0x0
	s_and_b32 s2, s3, 0xffff
	s_add_co_i32 s3, s86, -1
	s_ashr_i32 s4, s86, 31
	s_ashr_i32 s5, s3, 31
	s_lshr_b32 s4, s4, 26
	s_lshr_b32 s5, s5, 26
	s_add_co_i32 s4, s86, s4
	s_add_co_i32 s3, s3, s5
	s_and_not1_b32 s4, s4, 63
	s_ashr_i32 s3, s3, 6
	s_sub_co_i32 s13, s86, s4
	s_cmp_eq_u32 s3, s87
	v_sub_co_u32 v5, s5, s87, 1
	s_cselect_b32 s3, -1, 0
	s_cmp_lg_u32 s13, 0
	v_mad_u32_u24 v6, v2, s2, v4
	s_cselect_b32 s4, -1, 0
	s_lshl_b32 s18, s87, 6
	s_and_b32 s21, s4, s3
	s_xor_b32 s2, s5, -1
	s_xor_b32 s89, s21, -1
	s_cmp_lt_i32 s87, 5
	v_add_nc_u32_e32 v13, v24, v3
	v_lshl_add_u32 v14, v24, 6, v4
	s_cselect_b32 vcc_lo, -1, 0
	s_add_nc_u64 s[4:5], s[14:15], 1
	v_cndmask_b32_e32 v29, v35, v12, vcc_lo
	s_or_b32 vcc_lo, vcc_lo, s21
	s_delay_alu instid0(SALU_CYCLE_1) | instskip(SKIP_2) | instid1(VALU_DEP_2)
	v_dual_lshrrev_b32 v12, 10, v0 :: v_dual_cndmask_b32 v34, v14, v13, vcc_lo
	v_dual_lshrrev_b32 v13, 1, v35 :: v_dual_bitop2_b32 v14, 1, v0 bitop3:0x40
	s_ashr_i32 s19, s18, 31
	v_bitop3_b32 v40, v0, v12, 0x3ff bitop3:0xa8
	s_mul_u64 s[16:17], s[4:5], s[18:19]
	s_delay_alu instid0(VALU_DEP_2) | instskip(SKIP_3) | instid1(VALU_DEP_4)
	v_lshlrev_b32_e32 v12, 9, v13
	v_lshl_add_u32 v52, v13, 3, 0x8000
	v_cmp_gt_u32_e64 s3, 4, v35
	v_cmp_eq_u32_e64 s4, 1, v14
	v_dual_lshlrev_b32 v53, 3, v14 :: v_dual_sub_nc_u32 v54, 0, v12
	v_dual_lshlrev_b32 v55, 3, v4 :: v_dual_lshrrev_b32 v13, 2, v35
	v_cmp_eq_u32_e64 s5, 0, v14
	s_and_b32 s91, s4, s3
	v_cmp_eq_u32_e64 s4, 0, v2
	v_cmp_gt_u32_e64 s6, 2, v4
	v_dual_sub_nc_u32 v56, v53, v12 :: v_dual_lshlrev_b32 v14, 9, v13
	v_and_b32_e32 v12, 3, v0
	s_and_b32 s92, s5, s3
	s_and_b32 s93, s4, s6
	v_cmp_gt_u32_e64 s5, 16, v35
	v_sub_nc_u32_e32 v60, 0, v14
	v_cmp_eq_u32_e64 s6, 3, v12
	v_lshlrev_b32_e32 v59, 3, v12
	v_lshl_add_u32 v58, v13, 3, 0x8000
	v_cmp_ne_u32_e64 s7, 3, v12
	v_cmp_gt_u32_e64 s8, 2, v12
	s_and_b32 s94, s6, s5
	v_cmp_eq_u32_e64 s6, 2, v12
	v_cmp_eq_u32_e64 s10, 1, v12
	;; [unrolled: 1-line block ×3, first 2 shown]
	v_dual_sub_nc_u32 v61, v59, v14 :: v_dual_bitop2_b32 v12, -8, v35 bitop3:0x40
	v_lshlrev_b32_e32 v13, 6, v35
	s_and_b32 s96, s6, s5
	v_cmp_gt_u32_e64 s6, 4, v4
	v_dual_add_nc_u32 v30, 32, v2 :: v_dual_bitop2_b32 v14, 7, v0 bitop3:0x40
	v_add_nc_u32_e32 v32, 48, v2
	s_and_b32 s95, s7, s5
	s_and_b32 s97, s8, s5
	;; [unrolled: 1-line block ×3, first 2 shown]
	v_cmp_gt_u32_e64 s6, 64, v35
	v_dual_add_nc_u32 v15, v30, v3 :: v_dual_add_nc_u32 v3, v32, v3
	v_lshl_add_u32 v17, v32, 6, v4
	v_add_nc_u32_e32 v62, 0x8000, v12
	v_and_b32_e32 v12, 0xfffffe00, v13
	v_lshrrev_b32_e32 v13, 4, v35
	v_cmp_eq_u32_e64 s7, 7, v14
	v_cmp_ne_u32_e64 s8, 7, v14
	s_and_b32 s98, s10, s5
	v_dual_lshlrev_b32 v63, 3, v14 :: v_dual_sub_nc_u32 v64, 0, v12
	s_and_b32 s101, s7, s6
	v_cmp_gt_u32_e64 s7, 6, v14
	s_and_b32 s102, s8, s6
	v_cmp_eq_u32_e64 s8, 5, v14
	v_cmp_eq_u32_e64 s10, 6, v14
	v_sub_nc_u32_e32 v65, v63, v12
	s_and_b32 s104, s7, s6
	v_cmp_eq_u32_e64 s7, 4, v14
	s_and_b32 vcc_hi, s8, s6
	v_cmp_eq_u32_e64 s8, 3, v14
	s_and_b32 s103, s10, s6
	v_cmp_gt_u32_e64 s10, 5, v14
	s_and_b32 s39, s7, s6
	v_cmp_gt_u32_e64 s7, 3, v14
	s_and_b32 s41, s8, s6
	v_cmp_gt_u32_e64 s8, 2, v14
	v_lshl_add_u32 v66, v13, 3, 0x8000
	v_lshlrev_b32_e32 v13, 9, v13
	s_and_b32 s42, s7, s6
	v_cmp_eq_u32_e64 s7, 0, v14
	s_and_b32 s44, s8, s6
	v_cmp_gt_u32_e64 s8, 8, v4
	v_dual_sub_nc_u32 v68, 0, v13 :: v_dual_bitop2_b32 v12, 15, v0 bitop3:0x40
	s_and_b32 s99, s11, s5
	v_cmp_gt_u32_e64 s11, 4, v14
	s_and_b32 s38, s10, s6
	v_cmp_eq_u32_e64 s10, 2, v14
	s_and_b32 s46, s7, s6
	s_and_b32 s47, s4, s8
	v_cmp_gt_u32_e64 s7, 0x100, v35
	v_cmp_eq_u32_e64 s8, 15, v12
                                        ; implicit-def: $vgpr109 : SGPR spill to VGPR lane
	s_and_b32 s40, s11, s6
	v_writelane_b32 v109, s2, 0
	v_cmp_eq_u32_e64 s11, 1, v14
	s_and_b32 s43, s10, s6
	v_cmp_ne_u32_e64 s10, 15, v12
	s_and_b32 s8, s8, s7
	v_cmp_gt_u32_e64 s12, 14, v12
	v_writelane_b32 v109, s8, 1
	s_and_b32 s45, s11, s6
	v_cmp_eq_u32_e64 s11, 14, v12
	s_and_b32 s8, s10, s7
	v_lshlrev_b32_e32 v67, 3, v12
	v_writelane_b32 v109, s8, 2
	v_cmp_eq_u32_e64 s8, 13, v12
	s_and_b32 s10, s11, s7
	v_cmp_eq_u32_e64 s11, 12, v12
	v_dual_add_nc_u32 v28, s18, v2 :: v_dual_add_nc_u32 v26, s18, v4
	v_writelane_b32 v109, s10, 3
	s_and_b32 s10, s12, s7
	s_and_b32 s8, s8, s7
	v_cmp_eq_u32_e64 s12, 11, v12
	s_and_b32 s55, s11, s7
	v_writelane_b32 v109, s10, 4
	v_cmp_gt_u32_e64 s10, 13, v12
	v_cmp_gt_u32_e64 s11, 10, v12
	s_and_b32 s57, s12, s7
	v_cmp_gt_u32_e64 s12, 9, v12
	v_writelane_b32 v109, s8, 5
	v_cmp_gt_u32_e64 s8, 12, v12
	s_and_b32 s54, s10, s7
	v_cmp_gt_u32_e64 s10, 11, v12
	s_and_b32 s60, s11, s7
	s_and_b32 s20, s12, s7
	s_and_b32 s56, s8, s7
	v_cmp_eq_u32_e64 s8, 10, v12
	s_and_b32 s58, s10, s7
	v_cmp_eq_u32_e64 s10, 9, v12
	v_cmp_eq_u32_e64 s11, 7, v12
	;; [unrolled: 1-line block ×3, first 2 shown]
	s_and_b32 s59, s8, s7
	v_cmp_eq_u32_e64 s8, 8, v12
	s_and_b32 s61, s10, s7
	v_cmp_gt_u32_e64 s10, 8, v12
	s_and_b32 s27, s11, s7
	s_and_b32 s31, s12, s7
	;; [unrolled: 1-line block ×3, first 2 shown]
	v_cmp_gt_u32_e64 s8, 7, v12
	s_and_b32 s25, s10, s7
	v_cmp_gt_u32_e64 s10, 6, v12
	v_cmp_gt_u32_e64 s11, 5, v12
	;; [unrolled: 1-line block ×3, first 2 shown]
	s_and_b32 s29, s8, s7
	v_cmp_eq_u32_e64 s8, 5, v12
	s_and_b32 s34, s10, s7
	v_cmp_eq_u32_e64 s10, 4, v12
	s_and_b32 s80, s11, s7
	s_and_b32 s74, s12, s7
	;; [unrolled: 1-line block ×3, first 2 shown]
	v_cmp_eq_u32_e64 s8, 3, v12
	s_and_b32 s81, s10, s7
	v_cmp_gt_u32_e64 s10, 3, v12
	v_cmp_eq_u32_e64 s11, 2, v12
	v_cmp_eq_u32_e64 s12, 1, v12
	s_and_b32 s75, s8, s7
	v_cmp_gt_u32_e64 s8, 2, v12
	s_and_b32 s24, s10, s7
	v_cmp_eq_u32_e64 s10, 0, v12
	v_dual_lshrrev_b32 v12, 5, v35 :: v_dual_bitop2_b32 v69, 31, v0 bitop3:0x40
	v_sub_nc_u32_e32 v70, v67, v13
	s_and_b32 s28, s8, s7
	v_cmp_gt_u32_e64 s8, 16, v4
	s_and_b32 s33, s10, s7
	v_cmp_le_i32_e64 s10, s13, v4
	v_dual_lshlrev_b32 v0, 9, v12 :: v_dual_lshlrev_b32 v71, 3, v69
	s_and_b32 s88, s4, s8
	v_cmp_gt_u32_e64 s8, 32, v4
	v_lshl_add_u32 v16, v30, 6, v4
	s_and_b32 s49, s10, s21
	v_subrev_nc_u32_e32 v8, 64, v28
	s_xor_b32 s90, vcc_lo, -1
	v_cmp_gt_i32_e64 s9, s13, v4
	s_and_b32 s26, s11, s7
	v_dual_sub_nc_u32 v73, 0, v0 :: v_dual_sub_nc_u32 v74, v71, v0
	s_xor_b32 s11, s49, -1
	s_and_b32 s8, s4, s8
	v_dual_add_nc_u32 v0, s18, v6 :: v_dual_cndmask_b32 v38, v16, v15, vcc_lo
	v_cndmask_b32_e32 v39, v17, v3, vcc_lo
	v_cmp_le_i32_e32 vcc_lo, s13, v2
	s_and_b32 s30, s12, s7
	v_writelane_b32 v109, s8, 6
	s_and_b32 s50, s4, s11
	s_xor_b32 s52, s37, 0x80000000
	s_cmp_gt_i32 s87, 0
	v_dual_ashrrev_i32 v27, 31, v26 :: v_dual_ashrrev_i32 v9, 31, v8
	v_cmp_gt_i32_e64 s2, s86, v26
	s_cselect_b32 s51, -1, 0
	v_add_nc_u64_e32 v[22:23], s[18:19], v[6:7]
	v_subrev_nc_u32_e32 v14, 48, v28
	v_cmp_le_i32_e64 s11, s13, v24
	v_cmp_le_i32_e64 s12, s13, v30
	;; [unrolled: 1-line block ×3, first 2 shown]
	s_or_b32 s18, vcc_lo, s10
	v_cmp_gt_i32_e32 vcc_lo, s86, v8
	s_and_b32 s9, s4, s9
	v_mul_u64_e32 v[10:11], s[14:15], v[26:27]
	v_writelane_b32 v109, s9, 7
	v_lshl_add_u32 v72, v12, 3, 0x8000
	v_mul_u64_e32 v[12:13], s[76:77], v[26:27]
	v_subrev_nc_u32_e32 v27, 32, v28
	s_or_b32 s19, s11, s10
	s_or_b32 s12, s12, s10
	;; [unrolled: 1-line block ×3, first 2 shown]
	v_cmp_gt_i32_e64 s10, s86, v14
	s_and_b32 s9, vcc_lo, s2
	v_cmp_gt_i32_e64 s11, s86, v27
	v_writelane_b32 v109, s9, 8
	s_load_b64 s[78:79], s[0:1], 0x50
	s_and_b32 s9, s10, s2
	s_clause 0x1
	s_load_b128 s[64:67], s[0:1], 0x8
	s_load_b128 s[68:71], s[0:1], 0x30
	v_writelane_b32 v109, s9, 9
	s_wait_xcnt 0x0
	v_cmp_ge_u32_e64 s0, v4, v2
	s_and_b32 s9, s11, s2
	v_cmp_ge_u32_e64 s1, v4, v24
	v_cmp_ge_u32_e64 s8, v4, v30
	v_writelane_b32 v109, s9, 10
	s_or_b32 s9, s18, s0
	s_mov_b32 s53, s37
	s_mov_b32 s37, s36
	v_add_max_i32_e64 v41, v28, -16, v26
	v_writelane_b32 v109, s9, 11
	s_or_b32 s9, s19, s1
	v_dual_lshlrev_b32 v82, 3, v29 :: v_dual_bitop2_b32 v42, v24, v4 bitop3:0x54
	v_dual_mov_b32 v36, 0 :: v_dual_bitop2_b32 v43, v30, v4 bitop3:0x54
	v_writelane_b32 v109, s9, 12
	s_or_b32 s9, s12, s8
                                        ; implicit-def: $vgpr108 : SGPR spill to VGPR lane
	v_mad_u32_u24 v57, 0x1f8, v4, v55
	v_dual_lshlrev_b32 v85, 3, v38 :: v_dual_bitop2_b32 v44, v32, v4 bitop3:0x54
	v_writelane_b32 v109, s9, 13
	v_cmp_ge_u32_e64 s9, v4, v32
	s_delay_alu instid0(VALU_DEP_4) | instskip(SKIP_3) | instid1(VALU_DEP_3)
	v_mad_i32_i24 v75, 0xfffffe08, v4, v57
	v_dual_mov_b32 v33, v1 :: v_dual_mov_b32 v3, v1
	v_mul_i32_i24_e32 v91, 0xfffffe08, v4
	s_or_b32 s10, s13, s9
	v_mad_u32_u24 v7, 0x1f8, v4, v75
	v_writelane_b32 v109, s10, 14
	v_cmp_le_i32_e64 s10, s86, v41
	v_dual_mov_b32 v25, v1 :: v_dual_mov_b32 v31, v1
	s_delay_alu instid0(VALU_DEP_4)
	v_mad_i32_i24 v76, 0xfffffe08, v4, v7
	v_writelane_b32 v109, s52, 15
	v_mul_u64_e32 v[18:19], s[14:15], v[32:33]
	v_mul_u64_e32 v[20:21], s[14:15], v[2:3]
	v_mad_u32_u24 v33, 0x1f8, v4, v91
	v_mad_u32_u24 v77, 0x1f8, v4, v76
	v_writelane_b32 v109, s53, 16
	v_mul_u64_e32 v[14:15], s[14:15], v[24:25]
	v_mul_u64_e32 v[16:17], s[14:15], v[30:31]
	;; [unrolled: 1-line block ×3, first 2 shown]
	v_mad_i32_i24 v78, 0xfffffe08, v4, v77
	v_writelane_b32 v109, s36, 17
	v_mbcnt_lo_u32_b32 v25, -1, 0
	v_mad_u32 v97, v33, 7, v55
	v_mul_u64_e32 v[32:33], s[76:77], v[0:1]
	v_mad_u32_u24 v79, 0x1f8, v4, v78
	v_writelane_b32 v109, s37, 18
	v_dual_lshlrev_b32 v83, 3, v34 :: v_dual_lshlrev_b32 v37, 20, v25
	v_lshlrev_b32_e32 v87, 3, v39
	s_delay_alu instid0(VALU_DEP_4)
	v_mad_i32_i24 v80, 0xfffffe08, v4, v79
	v_writelane_b32 v109, s10, 19
	v_cmp_gt_u32_e64 s10, 64, v40
	v_add_nc_u64_e32 v[24:25], src_flat_scratch_base_lo, v[36:37]
	v_mov_b32_e32 v36, 8
	v_mad_u32_u24 v3, 0x1f8, v4, v80
	v_lshlrev_b32_e32 v28, 3, v2
	v_writelane_b32 v109, s10, 20
	v_cmp_gt_u32_e64 s10, 64, v42
	v_add_nc_u64_e32 v[26:27], src_flat_scratch_base_lo, v[36:37]
	v_mad_i32_i24 v81, 0xfffffe08, v4, v3
	v_mov_b32_e32 v36, 16
	v_or_b32_e32 v89, 0xa000, v28
	v_writelane_b32 v109, s10, 21
	v_cmp_gt_u32_e64 s10, 64, v43
	v_mad_u32_u24 v84, 0x1f8, v4, v81
	v_cmp_lt_u32_e32 vcc_lo, 0x3ff, v35
	v_mov_b64_e32 v[38:39], 0x3f800000
	v_lshl_add_u32 v92, v6, 3, 0xa000
	v_writelane_b32 v109, s10, 22
	v_cmp_gt_u32_e64 s10, 0xf0, v35
	v_mad_i32_i24 v86, 0xfffffe08, v4, v84
	v_lshl_add_u32 v93, v35, 3, 0x8000
	v_add_nc_u32_e32 v94, 0x8000, v55
	v_lshl_add_u32 v95, v2, 9, v81
	v_writelane_b32 v109, s10, 23
	v_cmp_gt_u32_e64 s10, 0xe0, v35
	v_mad_u32_u24 v88, 0x1f8, v4, v86
	v_dual_add_nc_u32 v96, v89, v55 :: v_dual_lshlrev_b32 v34, 3, v4
	s_lshl_b64 s[82:83], s[16:17], 3
	v_writelane_b32 v109, s10, 24
	v_cmp_gt_u32_e64 s10, 0xd0, v35
	v_add_nc_u32_e32 v90, v88, v28
	v_add_nc_u64_e32 v[28:29], src_flat_scratch_base_lo, v[36:37]
	v_mov_b32_e32 v36, 24
	v_or_b32_e32 v98, 0x3800, v71
	v_writelane_b32 v109, s10, 25
	v_cmp_gt_u32_e64 s10, 0xc0, v35
	v_subrev_nc_u32_e32 v99, 31, v69
	v_add_nc_u64_e32 v[30:31], src_flat_scratch_base_lo, v[36:37]
	v_mov_b64_e32 v[36:37], 0
	v_cmp_eq_u32_e64 s11, 0, v40
	v_writelane_b32 v109, s10, 26
	v_cmp_gt_u32_e64 s10, 0xb0, v35
	v_cmp_gt_u32_e64 s14, 2, v35
	v_cmp_gt_u32_e64 s15, 12, v35
	v_cmp_gt_u32_e64 s16, 8, v35
	v_cmp_gt_u32_e64 s17, 56, v35
	v_writelane_b32 v109, s10, 27
	v_cmp_gt_u32_e64 s10, 0xa0, v35
	v_cmp_gt_u32_e64 s18, 48, v35
	;; [unrolled: 1-line block ×5, first 2 shown]
	v_writelane_b32 v109, s10, 28
	v_cmp_gt_u32_e64 s10, 0x90, v35
	v_cmp_gt_u32_e64 s35, 0x400, v35
	v_cmp_eq_u32_e64 s36, 0, v6
	v_cmp_gt_u32_e64 s37, 64, v6
	s_xor_b32 s12, vcc_lo, -1
	v_writelane_b32 v109, s10, 29
	v_cmp_gt_u32_e64 s10, 0x80, v35
	s_wait_kmcnt 0x0
	s_lshl_b64 s[66:67], s[66:67], 3
	s_lshl_b64 s[70:71], s[70:71], 3
	v_writelane_b32 v109, s10, 30
	v_cmp_gt_u32_e64 s10, 0x70, v35
	s_delay_alu instid0(VALU_DEP_1) | instskip(SKIP_1) | instid1(VALU_DEP_1)
	v_writelane_b32 v109, s10, 31
	v_cmp_gt_u32_e64 s10, 0x60, v35
	v_writelane_b32 v108, s10, 0
	v_cmp_gt_u32_e64 s10, 0x50, v35
	s_delay_alu instid0(VALU_DEP_1) | instskip(SKIP_1) | instid1(VALU_DEP_1)
	v_writelane_b32 v108, s10, 1
	v_cmp_gt_u32_e64 s10, 0x3e0, v35
	;; [unrolled: 5-line block ×13, first 2 shown]
	v_writelane_b32 v108, s10, 24
	v_cmp_gt_u32_e64 s10, 0x120, v35
	s_delay_alu instid0(VALU_DEP_1)
	v_writelane_b32 v108, s10, 25
	s_branch .LBB158_3
.LBB158_2:                              ;   in Loop: Header=BB158_3 Depth=1
	s_wait_xcnt 0x0
	s_or_b32 exec_lo, exec_lo, s10
	s_add_co_i32 s72, s72, 0x10000
	global_wb scope:SCOPE_DEV
	s_wait_storecnt 0x0
	global_inv scope:SCOPE_DEV
	s_cmp_lt_u32 s72, s63
	s_cbranch_scc0 .LBB158_1112
.LBB158_3:                              ; =>This Loop Header: Depth=1
                                        ;     Child Loop BB158_539 Depth 2
                                        ;     Child Loop BB158_987 Depth 2
                                        ;       Child Loop BB158_989 Depth 3
                                        ;     Child Loop BB158_1018 Depth 2
	v_mov_b32_e32 v0, s72
	v_readlane_b32 s10, v109, 0
	s_clause 0x1
	global_load_b64 v[40:41], v0, s[64:65] scale_offset
	global_load_b64 v[42:43], v0, s[68:69] scale_offset
	s_and_not1_b32 vcc_lo, exec_lo, s10
	s_wait_loadcnt 0x1
	v_add_nc_u64_e32 v[44:45], s[66:67], v[40:41]
	s_delay_alu instid0(VALU_DEP_1)
	v_lshl_add_u64 v[40:41], v[10:11], 3, v[44:45]
	s_cbranch_vccnz .LBB158_15
; %bb.4:                                ;   in Loop: Header=BB158_3 Depth=1
	s_delay_alu instid0(VALU_DEP_1)
	v_lshl_add_u64 v[46:47], v[8:9], 3, v[40:41]
	v_dual_mov_b32 v48, 0 :: v_dual_mov_b32 v50, 0
	v_mov_b32_e32 v51, 0
	s_wait_loadcnt 0x0
	s_barrier_signal -1
	s_barrier_wait -1
	s_wait_xcnt 0x0
	s_mov_b32 s10, exec_lo
	v_readlane_b32 s13, v109, 8
	s_and_b32 s13, s10, s13
	s_delay_alu instid0(SALU_CYCLE_1)
	s_mov_b32 exec_lo, s13
	s_cbranch_execz .LBB158_6
; %bb.5:                                ;   in Loop: Header=BB158_3 Depth=1
	flat_load_b64 v[50:51], v[46:47]
.LBB158_6:                              ;   in Loop: Header=BB158_3 Depth=1
	s_wait_xcnt 0x0
	s_or_b32 exec_lo, exec_lo, s10
	v_mov_b32_e32 v49, 0
	s_wait_loadcnt_dscnt 0x0
	scratch_store_b64 off, v[50:51], off
	s_wait_storecnt 0x0
	s_barrier_signal -1
	s_barrier_wait -1
	s_wait_xcnt 0x0
	s_mov_b32 s10, exec_lo
	v_readlane_b32 s13, v109, 9
	s_and_b32 s13, s10, s13
	s_delay_alu instid0(SALU_CYCLE_1)
	s_mov_b32 exec_lo, s13
	s_cbranch_execz .LBB158_8
; %bb.7:                                ;   in Loop: Header=BB158_3 Depth=1
	flat_load_b64 v[48:49], v[46:47] offset:128
.LBB158_8:                              ;   in Loop: Header=BB158_3 Depth=1
	s_wait_xcnt 0x0
	s_or_b32 exec_lo, exec_lo, s10
	s_wait_loadcnt_dscnt 0x0
	scratch_store_b64 off, v[48:49], off offset:8
	s_wait_xcnt 0x0
	v_dual_mov_b32 v48, 0 :: v_dual_mov_b32 v49, 0
	s_wait_storecnt 0x0
	s_barrier_signal -1
	s_barrier_wait -1
	s_mov_b32 s10, exec_lo
	v_readlane_b32 s13, v109, 10
	s_and_b32 s13, s10, s13
	s_delay_alu instid0(SALU_CYCLE_1)
	s_mov_b32 exec_lo, s13
	s_cbranch_execz .LBB158_10
; %bb.9:                                ;   in Loop: Header=BB158_3 Depth=1
	flat_load_b64 v[48:49], v[46:47] offset:256
.LBB158_10:                             ;   in Loop: Header=BB158_3 Depth=1
	s_wait_xcnt 0x0
	s_or_b32 exec_lo, exec_lo, s10
	s_wait_loadcnt_dscnt 0x0
	scratch_store_b64 off, v[48:49], off offset:16
	s_wait_storecnt 0x0
	s_barrier_signal -1
	s_barrier_wait -1
	s_wait_xcnt 0x0
	s_mov_b32 s10, exec_lo
	v_readlane_b32 s13, v109, 19
	s_and_b32 s13, s10, s13
	s_delay_alu instid0(SALU_CYCLE_1)
	s_xor_b32 s10, s13, s10
	s_mov_b32 exec_lo, s13
	s_cbranch_execz .LBB158_12
; %bb.11:                               ;   in Loop: Header=BB158_3 Depth=1
	scratch_store_b64 off, v[36:37], off offset:24
                                        ; implicit-def: $vgpr46_vgpr47
.LBB158_12:                             ;   in Loop: Header=BB158_3 Depth=1
	s_wait_xcnt 0x0
	s_and_not1_saveexec_b32 s10, s10
	s_cbranch_execz .LBB158_14
; %bb.13:                               ;   in Loop: Header=BB158_3 Depth=1
	flat_load_b64 v[46:47], v[46:47] offset:384
	s_wait_loadcnt_dscnt 0x0
	scratch_store_b64 off, v[46:47], off offset:24
.LBB158_14:                             ;   in Loop: Header=BB158_3 Depth=1
	s_wait_xcnt 0x0
	s_or_b32 exec_lo, exec_lo, s10
.LBB158_15:                             ;   in Loop: Header=BB158_3 Depth=1
	v_add_nc_u64_e32 v[44:45], s[82:83], v[44:45]
	v_mov_b32_e32 v35, v1
	s_and_not1_b32 vcc_lo, exec_lo, s89
	s_mov_b32 s10, -1
	s_delay_alu instid0(VALU_DEP_1)
	v_add_nc_u64_e32 v[44:45], v[44:45], v[34:35]
	s_cbranch_vccnz .LBB158_26
; %bb.16:                               ;   in Loop: Header=BB158_3 Depth=1
	s_wait_xcnt 0x0
	s_and_saveexec_b32 s10, s0
	s_delay_alu instid0(SALU_CYCLE_1)
	s_xor_b32 s10, exec_lo, s10
	s_cbranch_execnz .LBB158_1039
; %bb.17:                               ;   in Loop: Header=BB158_3 Depth=1
	s_and_not1_saveexec_b32 s10, s10
	s_cbranch_execnz .LBB158_1042
.LBB158_18:                             ;   in Loop: Header=BB158_3 Depth=1
	s_or_b32 exec_lo, exec_lo, s10
	s_and_saveexec_b32 s10, s1
	s_delay_alu instid0(SALU_CYCLE_1)
	s_xor_b32 s10, exec_lo, s10
	s_cbranch_execnz .LBB158_1043
.LBB158_19:                             ;   in Loop: Header=BB158_3 Depth=1
	s_and_not1_saveexec_b32 s10, s10
	s_cbranch_execnz .LBB158_1046
.LBB158_20:                             ;   in Loop: Header=BB158_3 Depth=1
	s_or_b32 exec_lo, exec_lo, s10
	s_and_saveexec_b32 s10, s8
	s_delay_alu instid0(SALU_CYCLE_1)
	s_xor_b32 s10, exec_lo, s10
	s_cbranch_execnz .LBB158_1047
.LBB158_21:                             ;   in Loop: Header=BB158_3 Depth=1
	s_and_not1_saveexec_b32 s10, s10
	s_cbranch_execnz .LBB158_1050
.LBB158_22:                             ;   in Loop: Header=BB158_3 Depth=1
	s_or_b32 exec_lo, exec_lo, s10
	s_and_saveexec_b32 s10, s9
	s_delay_alu instid0(SALU_CYCLE_1)
	s_xor_b32 s10, exec_lo, s10
	s_cbranch_execnz .LBB158_1051
.LBB158_23:                             ;   in Loop: Header=BB158_3 Depth=1
	s_and_not1_saveexec_b32 s10, s10
	s_cbranch_execz .LBB158_25
.LBB158_24:                             ;   in Loop: Header=BB158_3 Depth=1
	v_lshl_add_u64 v[46:47], v[18:19], 3, v[44:45]
	flat_load_b64 v[46:47], v[46:47]
	s_wait_loadcnt_dscnt 0x0
	v_pk_add_f32 v[46:47], v[46:47], 0 neg_lo:[1,1] neg_hi:[1,1]
	ds_store_b64 v87, v[46:47]
.LBB158_25:                             ;   in Loop: Header=BB158_3 Depth=1
	s_or_b32 exec_lo, exec_lo, s10
	s_mov_b32 s10, 0
.LBB158_26:                             ;   in Loop: Header=BB158_3 Depth=1
	s_delay_alu instid0(SALU_CYCLE_1)
	s_and_b32 vcc_lo, exec_lo, s10
	s_cbranch_vccz .LBB158_52
; %bb.27:                               ;   in Loop: Header=BB158_3 Depth=1
	s_wait_xcnt 0x0
	s_mov_b32 s10, exec_lo
	v_readlane_b32 s13, v109, 11
	s_and_b32 s13, s10, s13
	s_delay_alu instid0(SALU_CYCLE_1)
	s_xor_b32 s10, s13, s10
	s_mov_b32 exec_lo, s13
	s_cbranch_execz .LBB158_31
; %bb.28:                               ;   in Loop: Header=BB158_3 Depth=1
	v_readlane_b32 s52, v109, 20
	s_and_saveexec_b32 s13, s52
; %bb.29:                               ;   in Loop: Header=BB158_3 Depth=1
	ds_store_b64 v90, v[36:37]
; %bb.30:                               ;   in Loop: Header=BB158_3 Depth=1
	s_or_b32 exec_lo, exec_lo, s13
.LBB158_31:                             ;   in Loop: Header=BB158_3 Depth=1
	s_and_not1_saveexec_b32 s10, s10
	s_cbranch_execz .LBB158_33
; %bb.32:                               ;   in Loop: Header=BB158_3 Depth=1
	v_lshl_add_u64 v[46:47], v[20:21], 3, v[44:45]
	flat_load_b64 v[46:47], v[46:47]
	s_wait_loadcnt_dscnt 0x0
	v_pk_add_f32 v[46:47], v[46:47], 0 neg_lo:[1,1] neg_hi:[1,1]
	ds_store_b64 v90, v[46:47]
.LBB158_33:                             ;   in Loop: Header=BB158_3 Depth=1
	s_or_b32 exec_lo, exec_lo, s10
	s_delay_alu instid0(SALU_CYCLE_1) | instskip(SKIP_2) | instid1(SALU_CYCLE_1)
	s_mov_b32 s10, exec_lo
	v_readlane_b32 s13, v109, 12
	s_and_b32 s13, s10, s13
	s_xor_b32 s10, s13, s10
	s_mov_b32 exec_lo, s13
	s_cbranch_execz .LBB158_37
; %bb.34:                               ;   in Loop: Header=BB158_3 Depth=1
	v_readlane_b32 s52, v109, 21
	s_and_saveexec_b32 s13, s52
; %bb.35:                               ;   in Loop: Header=BB158_3 Depth=1
	ds_store_b64 v83, v[36:37]
; %bb.36:                               ;   in Loop: Header=BB158_3 Depth=1
	s_or_b32 exec_lo, exec_lo, s13
.LBB158_37:                             ;   in Loop: Header=BB158_3 Depth=1
	s_and_not1_saveexec_b32 s10, s10
	s_cbranch_execz .LBB158_39
; %bb.38:                               ;   in Loop: Header=BB158_3 Depth=1
	v_lshl_add_u64 v[46:47], v[14:15], 3, v[44:45]
	flat_load_b64 v[46:47], v[46:47]
	s_wait_loadcnt_dscnt 0x0
	v_pk_add_f32 v[46:47], v[46:47], 0 neg_lo:[1,1] neg_hi:[1,1]
	ds_store_b64 v83, v[46:47]
.LBB158_39:                             ;   in Loop: Header=BB158_3 Depth=1
	s_or_b32 exec_lo, exec_lo, s10
	s_delay_alu instid0(SALU_CYCLE_1) | instskip(SKIP_2) | instid1(SALU_CYCLE_1)
	s_mov_b32 s10, exec_lo
	v_readlane_b32 s13, v109, 13
	s_and_b32 s13, s10, s13
	;; [unrolled: 25-line block ×3, first 2 shown]
	s_xor_b32 s10, s13, s10
	s_mov_b32 exec_lo, s13
	s_cbranch_execz .LBB158_49
; %bb.46:                               ;   in Loop: Header=BB158_3 Depth=1
	v_readlane_b32 s52, v108, 12
	s_and_saveexec_b32 s13, s52
; %bb.47:                               ;   in Loop: Header=BB158_3 Depth=1
	ds_store_b64 v87, v[36:37]
; %bb.48:                               ;   in Loop: Header=BB158_3 Depth=1
	s_or_b32 exec_lo, exec_lo, s13
                                        ; implicit-def: $vgpr44_vgpr45
.LBB158_49:                             ;   in Loop: Header=BB158_3 Depth=1
	s_and_not1_saveexec_b32 s10, s10
	s_cbranch_execz .LBB158_51
; %bb.50:                               ;   in Loop: Header=BB158_3 Depth=1
	v_lshl_add_u64 v[44:45], v[18:19], 3, v[44:45]
	flat_load_b64 v[44:45], v[44:45]
	s_wait_loadcnt_dscnt 0x0
	v_pk_add_f32 v[44:45], v[44:45], 0 neg_lo:[1,1] neg_hi:[1,1]
	ds_store_b64 v87, v[44:45]
.LBB158_51:                             ;   in Loop: Header=BB158_3 Depth=1
	s_or_b32 exec_lo, exec_lo, s10
.LBB158_52:                             ;   in Loop: Header=BB158_3 Depth=1
	s_delay_alu instid0(SALU_CYCLE_1)
	s_and_not1_b32 vcc_lo, exec_lo, s90
	s_wait_storecnt 0x0
	s_wait_loadcnt_dscnt 0x0
	s_barrier_signal -1
	s_barrier_wait -1
	s_cbranch_vccnz .LBB158_982
; %bb.53:                               ;   in Loop: Header=BB158_3 Depth=1
	s_wait_xcnt 0x0
	s_and_saveexec_b32 s10, s11
	s_cbranch_execz .LBB158_55
; %bb.54:                               ;   in Loop: Header=BB158_3 Depth=1
	ds_load_b64 v[44:45], v1 offset:32752
	v_add_nc_u32_e64 v0, 0x7800, 0
	ds_store_b64 v1, v[38:39] offset:32760
	s_wait_dscnt 0x1
	ds_store_2addr_b64 v0, v[38:39], v[44:45] offset0:190 offset1:191
.LBB158_55:                             ;   in Loop: Header=BB158_3 Depth=1
	s_or_b32 exec_lo, exec_lo, s10
	v_dual_mov_b32 v44, 0 :: v_dual_mov_b32 v45, 0
	s_wait_dscnt 0x0
	s_barrier_signal -1
	s_barrier_wait -1
	global_wb scope:SCOPE_DEV
	s_wait_storecnt 0x0
	global_inv scope:SCOPE_DEV
	s_and_saveexec_b32 s13, s3
	s_cbranch_execz .LBB158_59
; %bb.56:                               ;   in Loop: Header=BB158_3 Depth=1
	ds_load_b64 v[44:45], v53 offset:32224
	ds_load_b64 v[46:47], v54 offset:32752
	s_wait_dscnt 0x0
	v_pk_mul_f32 v[48:49], v[46:47], v[44:45] op_sel:[1,1] op_sel_hi:[0,1]
	s_delay_alu instid0(VALU_DEP_1) | instskip(SKIP_1) | instid1(VALU_DEP_2)
	v_pk_fma_f32 v[50:51], v[46:47], v[44:45], v[48:49] op_sel_hi:[1,0,1]
	v_pk_fma_f32 v[44:45], v[46:47], v[44:45], v[48:49] neg_lo:[0,0,1] neg_hi:[0,0,1]
	v_mov_b32_e32 v45, v51
	s_delay_alu instid0(VALU_DEP_1)
	v_pk_add_f32 v[44:45], v[44:45], 0 op_sel_hi:[1,0]
	s_and_saveexec_b32 s10, s14
	s_cbranch_execz .LBB158_58
; %bb.57:                               ;   in Loop: Header=BB158_3 Depth=1
	ds_load_b64 v[46:47], v55 offset:32736
	ds_load_b64 v[48:49], v1 offset:32760
	s_wait_dscnt 0x0
	v_pk_mul_f32 v[50:51], v[48:49], v[46:47] op_sel:[1,1] op_sel_hi:[0,1]
	s_delay_alu instid0(VALU_DEP_1) | instskip(SKIP_1) | instid1(VALU_DEP_2)
	v_pk_fma_f32 v[100:101], v[48:49], v[46:47], v[50:51] op_sel_hi:[1,0,1]
	v_pk_fma_f32 v[46:47], v[48:49], v[46:47], v[50:51] neg_lo:[0,0,1] neg_hi:[0,0,1]
	v_mov_b32_e32 v47, v101
	s_delay_alu instid0(VALU_DEP_1)
	v_pk_add_f32 v[44:45], v[44:45], v[46:47]
.LBB158_58:                             ;   in Loop: Header=BB158_3 Depth=1
	s_or_b32 exec_lo, exec_lo, s10
.LBB158_59:                             ;   in Loop: Header=BB158_3 Depth=1
	s_delay_alu instid0(SALU_CYCLE_1)
	s_or_b32 exec_lo, exec_lo, s13
	s_and_saveexec_b32 s10, s91
; %bb.60:                               ;   in Loop: Header=BB158_3 Depth=1
	s_delay_alu instid0(VALU_DEP_1)
	v_pk_add_f32 v[46:47], v[44:45], 0 neg_lo:[1,1] neg_hi:[1,1]
	ds_store_b64 v52, v[46:47]
; %bb.61:                               ;   in Loop: Header=BB158_3 Depth=1
	s_or_b32 exec_lo, exec_lo, s10
	s_wait_loadcnt_dscnt 0x0
	s_barrier_signal -1
	s_barrier_wait -1
	s_and_saveexec_b32 s10, s92
	s_cbranch_execz .LBB158_63
; %bb.62:                               ;   in Loop: Header=BB158_3 Depth=1
	ds_load_b64 v[46:47], v1 offset:31712
	ds_load_b64 v[48:49], v52
	s_wait_dscnt 0x0
	v_pk_mul_f32 v[50:51], v[48:49], v[46:47] op_sel_hi:[1,0]
	s_delay_alu instid0(VALU_DEP_1) | instskip(SKIP_1) | instid1(VALU_DEP_2)
	v_pk_fma_f32 v[100:101], v[48:49], v[46:47], v[50:51] op_sel:[1,1,0] op_sel_hi:[0,1,1]
	v_pk_fma_f32 v[46:47], v[48:49], v[46:47], v[50:51] op_sel:[1,1,0] op_sel_hi:[0,1,1] neg_lo:[0,0,1] neg_hi:[0,0,1]
	v_pk_add_f32 v[48:49], v[44:45], v[100:101] neg_lo:[0,1] neg_hi:[0,1]
	s_delay_alu instid0(VALU_DEP_2) | instskip(NEXT) | instid1(VALU_DEP_2)
	v_pk_add_f32 v[44:45], v[44:45], v[46:47]
	v_mov_b32_e32 v45, v49
.LBB158_63:                             ;   in Loop: Header=BB158_3 Depth=1
	s_or_b32 exec_lo, exec_lo, s10
	s_barrier_signal -1
	s_barrier_wait -1
	s_and_saveexec_b32 s10, s92
; %bb.64:                               ;   in Loop: Header=BB158_3 Depth=1
	v_pk_add_f32 v[46:47], v[44:45], 0 neg_lo:[1,1] neg_hi:[1,1]
	ds_store_b64 v52, v[46:47]
; %bb.65:                               ;   in Loop: Header=BB158_3 Depth=1
	s_or_b32 exec_lo, exec_lo, s10
	s_wait_dscnt 0x0
	s_barrier_signal -1
	s_barrier_wait -1
	s_barrier_signal -1
	s_barrier_wait -1
	s_and_saveexec_b32 s10, s3
; %bb.66:                               ;   in Loop: Header=BB158_3 Depth=1
	ds_store_b64 v56, v[44:45] offset:32736
; %bb.67:                               ;   in Loop: Header=BB158_3 Depth=1
	s_or_b32 exec_lo, exec_lo, s10
	s_wait_dscnt 0x0
	s_barrier_signal -1
	s_barrier_wait -1
	s_barrier_signal -1
	s_barrier_wait -1
	s_and_saveexec_b32 s10, s93
	s_cbranch_execz .LBB158_69
; %bb.68:                               ;   in Loop: Header=BB158_3 Depth=1
	ds_load_b64 v[44:45], v57 offset:32224
	s_wait_dscnt 0x0
	ds_store_b64 v55, v[44:45] offset:31216
	ds_load_b64 v[44:45], v57 offset:32232
	s_wait_dscnt 0x0
	ds_store_b64 v55, v[44:45] offset:31728
.LBB158_69:                             ;   in Loop: Header=BB158_3 Depth=1
	s_or_b32 exec_lo, exec_lo, s10
	s_wait_dscnt 0x0
	s_barrier_signal -1
	s_barrier_wait -1
	s_and_saveexec_b32 s10, s11
	s_cbranch_execz .LBB158_71
; %bb.70:                               ;   in Loop: Header=BB158_3 Depth=1
	ds_load_b64 v[44:45], v1 offset:31712
	v_add_nc_u32_e64 v0, 0x7800, 0
	ds_store_b64 v1, v[38:39] offset:31720
	s_wait_dscnt 0x1
	ds_store_2addr_b64 v0, v[38:39], v[44:45] offset0:60 offset1:61
.LBB158_71:                             ;   in Loop: Header=BB158_3 Depth=1
	s_or_b32 exec_lo, exec_lo, s10
	v_mov_b64_e32 v[44:45], 0
	s_wait_dscnt 0x0
	s_barrier_signal -1
	s_barrier_wait -1
	global_wb scope:SCOPE_DEV
	s_wait_storecnt 0x0
	global_inv scope:SCOPE_DEV
	s_and_saveexec_b32 s13, s5
	s_cbranch_execz .LBB158_77
; %bb.72:                               ;   in Loop: Header=BB158_3 Depth=1
	ds_load_b64 v[44:45], v59 offset:31168
	ds_load_b64 v[46:47], v60 offset:32736
	s_wait_dscnt 0x0
	v_dual_mul_f32 v0, v47, v45 :: v_dual_mul_f32 v35, v46, v45
	s_delay_alu instid0(VALU_DEP_1) | instskip(NEXT) | instid1(VALU_DEP_1)
	v_dual_fma_f32 v0, v46, v44, -v0 :: v_dual_fmac_f32 v35, v47, v44
	v_dual_add_f32 v44, 0, v0 :: v_dual_add_f32 v45, 0, v35
	s_and_saveexec_b32 s10, s15
	s_cbranch_execnz .LBB158_1062
; %bb.73:                               ;   in Loop: Header=BB158_3 Depth=1
	s_or_b32 exec_lo, exec_lo, s10
	s_and_saveexec_b32 s10, s16
	s_cbranch_execnz .LBB158_1063
.LBB158_74:                             ;   in Loop: Header=BB158_3 Depth=1
	s_or_b32 exec_lo, exec_lo, s10
	s_and_saveexec_b32 s10, s3
	s_cbranch_execz .LBB158_76
.LBB158_75:                             ;   in Loop: Header=BB158_3 Depth=1
	ds_load_b64 v[46:47], v75 offset:32704
	ds_load_b64 v[48:49], v1 offset:32760
	s_wait_dscnt 0x0
	v_pk_mul_f32 v[50:51], v[48:49], v[46:47] op_sel:[1,1] op_sel_hi:[0,1]
	s_delay_alu instid0(VALU_DEP_1) | instskip(SKIP_1) | instid1(VALU_DEP_2)
	v_pk_fma_f32 v[100:101], v[48:49], v[46:47], v[50:51] op_sel_hi:[1,0,1]
	v_pk_fma_f32 v[46:47], v[48:49], v[46:47], v[50:51] neg_lo:[0,0,1] neg_hi:[0,0,1]
	v_mov_b32_e32 v47, v101
	s_delay_alu instid0(VALU_DEP_1)
	v_pk_add_f32 v[44:45], v[44:45], v[46:47]
.LBB158_76:                             ;   in Loop: Header=BB158_3 Depth=1
	s_or_b32 exec_lo, exec_lo, s10
.LBB158_77:                             ;   in Loop: Header=BB158_3 Depth=1
	s_delay_alu instid0(SALU_CYCLE_1)
	s_or_b32 exec_lo, exec_lo, s13
	s_and_saveexec_b32 s10, s94
; %bb.78:                               ;   in Loop: Header=BB158_3 Depth=1
	s_delay_alu instid0(VALU_DEP_1)
	v_pk_add_f32 v[46:47], v[44:45], 0 neg_lo:[1,1] neg_hi:[1,1]
	ds_store_b64 v58, v[46:47]
; %bb.79:                               ;   in Loop: Header=BB158_3 Depth=1
	s_or_b32 exec_lo, exec_lo, s10
	s_wait_loadcnt_dscnt 0x0
	s_barrier_signal -1
	s_barrier_wait -1
	s_and_saveexec_b32 s10, s95
	s_cbranch_execz .LBB158_81
; %bb.80:                               ;   in Loop: Header=BB158_3 Depth=1
	ds_load_b64 v[46:47], v59 offset:30656
	ds_load_b64 v[48:49], v58
	s_wait_dscnt 0x0
	v_pk_mul_f32 v[50:51], v[48:49], v[46:47] op_sel:[1,1] op_sel_hi:[0,1]
	s_delay_alu instid0(VALU_DEP_1) | instskip(SKIP_1) | instid1(VALU_DEP_2)
	v_pk_fma_f32 v[100:101], v[48:49], v[46:47], v[50:51] op_sel_hi:[1,0,1]
	v_pk_fma_f32 v[46:47], v[48:49], v[46:47], v[50:51] neg_lo:[0,0,1] neg_hi:[0,0,1]
	v_mov_b32_e32 v47, v101
	s_delay_alu instid0(VALU_DEP_1)
	v_pk_add_f32 v[44:45], v[44:45], v[46:47] neg_lo:[0,1] neg_hi:[0,1]
.LBB158_81:                             ;   in Loop: Header=BB158_3 Depth=1
	s_or_b32 exec_lo, exec_lo, s10
	s_barrier_signal -1
	s_barrier_wait -1
	s_and_saveexec_b32 s10, s96
; %bb.82:                               ;   in Loop: Header=BB158_3 Depth=1
	v_pk_add_f32 v[46:47], v[44:45], 0 neg_lo:[1,1] neg_hi:[1,1]
	ds_store_b64 v58, v[46:47]
; %bb.83:                               ;   in Loop: Header=BB158_3 Depth=1
	s_or_b32 exec_lo, exec_lo, s10
	s_wait_dscnt 0x0
	s_barrier_signal -1
	s_barrier_wait -1
	s_and_saveexec_b32 s10, s97
	s_cbranch_execz .LBB158_85
; %bb.84:                               ;   in Loop: Header=BB158_3 Depth=1
	ds_load_b64 v[46:47], v59 offset:30144
	ds_load_b64 v[48:49], v58
	s_wait_dscnt 0x0
	v_pk_mul_f32 v[50:51], v[48:49], v[46:47] op_sel:[1,1] op_sel_hi:[0,1]
	s_delay_alu instid0(VALU_DEP_1) | instskip(SKIP_1) | instid1(VALU_DEP_2)
	v_pk_fma_f32 v[100:101], v[48:49], v[46:47], v[50:51] op_sel_hi:[1,0,1]
	v_pk_fma_f32 v[46:47], v[48:49], v[46:47], v[50:51] neg_lo:[0,0,1] neg_hi:[0,0,1]
	v_mov_b32_e32 v47, v101
	s_delay_alu instid0(VALU_DEP_1)
	v_pk_add_f32 v[44:45], v[44:45], v[46:47] neg_lo:[0,1] neg_hi:[0,1]
.LBB158_85:                             ;   in Loop: Header=BB158_3 Depth=1
	s_or_b32 exec_lo, exec_lo, s10
	s_barrier_signal -1
	s_barrier_wait -1
	s_and_saveexec_b32 s10, s98
; %bb.86:                               ;   in Loop: Header=BB158_3 Depth=1
	v_pk_add_f32 v[46:47], v[44:45], 0 neg_lo:[1,1] neg_hi:[1,1]
	ds_store_b64 v58, v[46:47]
; %bb.87:                               ;   in Loop: Header=BB158_3 Depth=1
	s_or_b32 exec_lo, exec_lo, s10
	s_wait_dscnt 0x0
	;; [unrolled: 26-line block ×3, first 2 shown]
	s_barrier_signal -1
	s_barrier_wait -1
	s_barrier_signal -1
	s_barrier_wait -1
	s_and_saveexec_b32 s10, s5
; %bb.92:                               ;   in Loop: Header=BB158_3 Depth=1
	ds_store_b64 v61, v[44:45] offset:32704
; %bb.93:                               ;   in Loop: Header=BB158_3 Depth=1
	s_or_b32 exec_lo, exec_lo, s10
	s_wait_dscnt 0x0
	s_barrier_signal -1
	s_barrier_wait -1
	s_barrier_signal -1
	s_barrier_wait -1
	s_and_saveexec_b32 s10, s100
	s_cbranch_execz .LBB158_95
; %bb.94:                               ;   in Loop: Header=BB158_3 Depth=1
	ds_load_b64 v[44:45], v7 offset:31168
	s_wait_dscnt 0x0
	ds_store_b64 v76, v[44:45] offset:29152
	ds_load_b64 v[44:45], v7 offset:31176
	s_wait_dscnt 0x0
	ds_store_b64 v76, v[44:45] offset:29664
	;; [unrolled: 3-line block ×4, first 2 shown]
.LBB158_95:                             ;   in Loop: Header=BB158_3 Depth=1
	s_or_b32 exec_lo, exec_lo, s10
	s_wait_dscnt 0x0
	s_barrier_signal -1
	s_barrier_wait -1
	s_and_saveexec_b32 s10, s11
	s_cbranch_execz .LBB158_97
; %bb.96:                               ;   in Loop: Header=BB158_3 Depth=1
	ds_load_b64 v[44:45], v1 offset:30672
	v_add_nc_u32_e64 v0, 0x7000, 0
	ds_store_b64 v1, v[38:39] offset:30680
	s_wait_dscnt 0x1
	ds_store_2addr_b64 v0, v[38:39], v[44:45] offset0:186 offset1:187
.LBB158_97:                             ;   in Loop: Header=BB158_3 Depth=1
	s_or_b32 exec_lo, exec_lo, s10
	v_dual_mov_b32 v44, 0 :: v_dual_mov_b32 v45, 0
	s_wait_dscnt 0x0
	s_barrier_signal -1
	s_barrier_wait -1
	global_wb scope:SCOPE_DEV
	s_wait_storecnt 0x0
	global_inv scope:SCOPE_DEV
	s_and_saveexec_b32 s13, s3
	s_cbranch_execz .LBB158_101
; %bb.98:                               ;   in Loop: Header=BB158_3 Depth=1
	ds_load_b64 v[44:45], v53 offset:30144
	ds_load_b64 v[46:47], v54 offset:30672
	s_wait_dscnt 0x0
	v_pk_mul_f32 v[48:49], v[46:47], v[44:45] op_sel:[1,1] op_sel_hi:[0,1]
	s_delay_alu instid0(VALU_DEP_1) | instskip(SKIP_1) | instid1(VALU_DEP_2)
	v_pk_fma_f32 v[50:51], v[46:47], v[44:45], v[48:49] op_sel_hi:[1,0,1]
	v_pk_fma_f32 v[44:45], v[46:47], v[44:45], v[48:49] neg_lo:[0,0,1] neg_hi:[0,0,1]
	v_mov_b32_e32 v45, v51
	s_delay_alu instid0(VALU_DEP_1)
	v_pk_add_f32 v[44:45], v[44:45], 0 op_sel_hi:[1,0]
	s_and_saveexec_b32 s10, s14
	s_cbranch_execz .LBB158_100
; %bb.99:                               ;   in Loop: Header=BB158_3 Depth=1
	ds_load_b64 v[46:47], v76 offset:30656
	ds_load_b64 v[48:49], v1 offset:30680
	s_wait_dscnt 0x0
	v_pk_mul_f32 v[50:51], v[48:49], v[46:47] op_sel:[1,1] op_sel_hi:[0,1]
	s_delay_alu instid0(VALU_DEP_1) | instskip(SKIP_1) | instid1(VALU_DEP_2)
	v_pk_fma_f32 v[100:101], v[48:49], v[46:47], v[50:51] op_sel_hi:[1,0,1]
	v_pk_fma_f32 v[46:47], v[48:49], v[46:47], v[50:51] neg_lo:[0,0,1] neg_hi:[0,0,1]
	v_mov_b32_e32 v47, v101
	s_delay_alu instid0(VALU_DEP_1)
	v_pk_add_f32 v[44:45], v[44:45], v[46:47]
.LBB158_100:                            ;   in Loop: Header=BB158_3 Depth=1
	s_or_b32 exec_lo, exec_lo, s10
.LBB158_101:                            ;   in Loop: Header=BB158_3 Depth=1
	s_delay_alu instid0(SALU_CYCLE_1)
	s_or_b32 exec_lo, exec_lo, s13
	s_and_saveexec_b32 s10, s91
; %bb.102:                              ;   in Loop: Header=BB158_3 Depth=1
	s_delay_alu instid0(VALU_DEP_1)
	v_pk_add_f32 v[46:47], v[44:45], 0 neg_lo:[1,1] neg_hi:[1,1]
	ds_store_b64 v52, v[46:47]
; %bb.103:                              ;   in Loop: Header=BB158_3 Depth=1
	s_or_b32 exec_lo, exec_lo, s10
	s_wait_loadcnt_dscnt 0x0
	s_barrier_signal -1
	s_barrier_wait -1
	s_and_saveexec_b32 s10, s92
	s_cbranch_execz .LBB158_105
; %bb.104:                              ;   in Loop: Header=BB158_3 Depth=1
	ds_load_b64 v[46:47], v1 offset:29632
	ds_load_b64 v[48:49], v52
	s_wait_dscnt 0x0
	v_pk_mul_f32 v[50:51], v[48:49], v[46:47] op_sel_hi:[1,0]
	s_delay_alu instid0(VALU_DEP_1) | instskip(SKIP_1) | instid1(VALU_DEP_2)
	v_pk_fma_f32 v[100:101], v[48:49], v[46:47], v[50:51] op_sel:[1,1,0] op_sel_hi:[0,1,1]
	v_pk_fma_f32 v[46:47], v[48:49], v[46:47], v[50:51] op_sel:[1,1,0] op_sel_hi:[0,1,1] neg_lo:[0,0,1] neg_hi:[0,0,1]
	v_pk_add_f32 v[48:49], v[44:45], v[100:101] neg_lo:[0,1] neg_hi:[0,1]
	s_delay_alu instid0(VALU_DEP_2) | instskip(NEXT) | instid1(VALU_DEP_2)
	v_pk_add_f32 v[44:45], v[44:45], v[46:47]
	v_mov_b32_e32 v45, v49
.LBB158_105:                            ;   in Loop: Header=BB158_3 Depth=1
	s_or_b32 exec_lo, exec_lo, s10
	s_barrier_signal -1
	s_barrier_wait -1
	s_and_saveexec_b32 s10, s92
; %bb.106:                              ;   in Loop: Header=BB158_3 Depth=1
	v_pk_add_f32 v[46:47], v[44:45], 0 neg_lo:[1,1] neg_hi:[1,1]
	ds_store_b64 v52, v[46:47]
; %bb.107:                              ;   in Loop: Header=BB158_3 Depth=1
	s_or_b32 exec_lo, exec_lo, s10
	s_wait_dscnt 0x0
	s_barrier_signal -1
	s_barrier_wait -1
	s_barrier_signal -1
	s_barrier_wait -1
	s_and_saveexec_b32 s10, s3
; %bb.108:                              ;   in Loop: Header=BB158_3 Depth=1
	ds_store_b64 v56, v[44:45] offset:30656
; %bb.109:                              ;   in Loop: Header=BB158_3 Depth=1
	s_or_b32 exec_lo, exec_lo, s10
	s_wait_dscnt 0x0
	s_barrier_signal -1
	s_barrier_wait -1
	s_barrier_signal -1
	s_barrier_wait -1
	s_and_saveexec_b32 s10, s93
	s_cbranch_execz .LBB158_111
; %bb.110:                              ;   in Loop: Header=BB158_3 Depth=1
	ds_load_b64 v[44:45], v77 offset:30144
	s_wait_dscnt 0x0
	ds_store_b64 v76, v[44:45] offset:29136
	ds_load_b64 v[44:45], v77 offset:30152
	s_wait_dscnt 0x0
	ds_store_b64 v76, v[44:45] offset:29648
.LBB158_111:                            ;   in Loop: Header=BB158_3 Depth=1
	s_or_b32 exec_lo, exec_lo, s10
	s_wait_dscnt 0x0
	s_barrier_signal -1
	s_barrier_wait -1
	s_and_saveexec_b32 s10, s11
	s_cbranch_execz .LBB158_113
; %bb.112:                              ;   in Loop: Header=BB158_3 Depth=1
	ds_load_b64 v[44:45], v1 offset:29632
	v_add_nc_u32_e64 v0, 0x7000, 0
	ds_store_b64 v1, v[38:39] offset:29640
	s_wait_dscnt 0x1
	ds_store_2addr_b64 v0, v[38:39], v[44:45] offset0:56 offset1:57
.LBB158_113:                            ;   in Loop: Header=BB158_3 Depth=1
	s_or_b32 exec_lo, exec_lo, s10
	v_mov_b64_e32 v[44:45], 0
	s_wait_dscnt 0x0
	s_barrier_signal -1
	s_barrier_wait -1
	global_wb scope:SCOPE_DEV
	s_wait_storecnt 0x0
	global_inv scope:SCOPE_DEV
	s_and_saveexec_b32 s13, s6
	s_cbranch_execz .LBB158_123
; %bb.114:                              ;   in Loop: Header=BB158_3 Depth=1
	ds_load_b64 v[44:45], v63 offset:29056
	ds_load_b64 v[46:47], v64 offset:32704
	s_wait_dscnt 0x0
	v_dual_mul_f32 v0, v47, v45 :: v_dual_mul_f32 v35, v46, v45
	s_delay_alu instid0(VALU_DEP_1) | instskip(NEXT) | instid1(VALU_DEP_1)
	v_dual_fma_f32 v0, v46, v44, -v0 :: v_dual_fmac_f32 v35, v47, v44
	v_dual_add_f32 v44, 0, v0 :: v_dual_add_f32 v45, 0, v35
	s_and_saveexec_b32 s10, s17
	s_cbranch_execnz .LBB158_1064
; %bb.115:                              ;   in Loop: Header=BB158_3 Depth=1
	s_or_b32 exec_lo, exec_lo, s10
	s_and_saveexec_b32 s10, s18
	s_cbranch_execnz .LBB158_1065
.LBB158_116:                            ;   in Loop: Header=BB158_3 Depth=1
	s_or_b32 exec_lo, exec_lo, s10
	s_and_saveexec_b32 s10, s19
	s_cbranch_execnz .LBB158_1066
.LBB158_117:                            ;   in Loop: Header=BB158_3 Depth=1
	s_or_b32 exec_lo, exec_lo, s10
	s_and_saveexec_b32 s10, s21
	s_cbranch_execnz .LBB158_1067
.LBB158_118:                            ;   in Loop: Header=BB158_3 Depth=1
	s_or_b32 exec_lo, exec_lo, s10
	s_and_saveexec_b32 s10, s22
	s_cbranch_execnz .LBB158_1068
.LBB158_119:                            ;   in Loop: Header=BB158_3 Depth=1
	s_or_b32 exec_lo, exec_lo, s10
	s_and_saveexec_b32 s10, s5
	s_cbranch_execnz .LBB158_1069
.LBB158_120:                            ;   in Loop: Header=BB158_3 Depth=1
	s_or_b32 exec_lo, exec_lo, s10
	s_and_saveexec_b32 s10, s16
	s_cbranch_execz .LBB158_122
.LBB158_121:                            ;   in Loop: Header=BB158_3 Depth=1
	ds_load_b64 v[46:47], v78 offset:32640
	ds_load_b64 v[48:49], v1 offset:32760
	s_wait_dscnt 0x0
	v_pk_mul_f32 v[50:51], v[48:49], v[46:47] op_sel:[1,1] op_sel_hi:[0,1]
	s_delay_alu instid0(VALU_DEP_1) | instskip(SKIP_1) | instid1(VALU_DEP_2)
	v_pk_fma_f32 v[100:101], v[48:49], v[46:47], v[50:51] op_sel_hi:[1,0,1]
	v_pk_fma_f32 v[46:47], v[48:49], v[46:47], v[50:51] neg_lo:[0,0,1] neg_hi:[0,0,1]
	v_mov_b32_e32 v47, v101
	s_delay_alu instid0(VALU_DEP_1)
	v_pk_add_f32 v[44:45], v[44:45], v[46:47]
.LBB158_122:                            ;   in Loop: Header=BB158_3 Depth=1
	s_or_b32 exec_lo, exec_lo, s10
.LBB158_123:                            ;   in Loop: Header=BB158_3 Depth=1
	s_delay_alu instid0(SALU_CYCLE_1)
	s_or_b32 exec_lo, exec_lo, s13
	s_and_saveexec_b32 s10, s101
; %bb.124:                              ;   in Loop: Header=BB158_3 Depth=1
	s_delay_alu instid0(VALU_DEP_1)
	v_pk_add_f32 v[46:47], v[44:45], 0 neg_lo:[1,1] neg_hi:[1,1]
	ds_store_b64 v62, v[46:47]
; %bb.125:                              ;   in Loop: Header=BB158_3 Depth=1
	s_or_b32 exec_lo, exec_lo, s10
	s_wait_loadcnt_dscnt 0x0
	s_barrier_signal -1
	s_barrier_wait -1
	s_and_saveexec_b32 s10, s102
	s_cbranch_execz .LBB158_127
; %bb.126:                              ;   in Loop: Header=BB158_3 Depth=1
	ds_load_b64 v[46:47], v63 offset:28544
	ds_load_b64 v[48:49], v62
	s_wait_dscnt 0x0
	v_pk_mul_f32 v[50:51], v[48:49], v[46:47] op_sel:[1,1] op_sel_hi:[0,1]
	s_delay_alu instid0(VALU_DEP_1) | instskip(SKIP_1) | instid1(VALU_DEP_2)
	v_pk_fma_f32 v[100:101], v[48:49], v[46:47], v[50:51] op_sel_hi:[1,0,1]
	v_pk_fma_f32 v[46:47], v[48:49], v[46:47], v[50:51] neg_lo:[0,0,1] neg_hi:[0,0,1]
	v_mov_b32_e32 v47, v101
	s_delay_alu instid0(VALU_DEP_1)
	v_pk_add_f32 v[44:45], v[44:45], v[46:47] neg_lo:[0,1] neg_hi:[0,1]
.LBB158_127:                            ;   in Loop: Header=BB158_3 Depth=1
	s_or_b32 exec_lo, exec_lo, s10
	s_barrier_signal -1
	s_barrier_wait -1
	s_and_saveexec_b32 s10, s103
; %bb.128:                              ;   in Loop: Header=BB158_3 Depth=1
	v_pk_add_f32 v[46:47], v[44:45], 0 neg_lo:[1,1] neg_hi:[1,1]
	ds_store_b64 v62, v[46:47]
; %bb.129:                              ;   in Loop: Header=BB158_3 Depth=1
	s_or_b32 exec_lo, exec_lo, s10
	s_wait_dscnt 0x0
	s_barrier_signal -1
	s_barrier_wait -1
	s_and_saveexec_b32 s10, s104
	s_cbranch_execz .LBB158_131
; %bb.130:                              ;   in Loop: Header=BB158_3 Depth=1
	ds_load_b64 v[46:47], v63 offset:28032
	ds_load_b64 v[48:49], v62
	s_wait_dscnt 0x0
	v_dual_mul_f32 v0, v49, v47 :: v_dual_mul_f32 v35, v48, v47
	s_delay_alu instid0(VALU_DEP_1) | instskip(NEXT) | instid1(VALU_DEP_1)
	v_dual_fma_f32 v0, v48, v46, -v0 :: v_dual_fmac_f32 v35, v49, v46
	v_dual_sub_f32 v44, v44, v0 :: v_dual_sub_f32 v45, v45, v35
.LBB158_131:                            ;   in Loop: Header=BB158_3 Depth=1
	s_or_b32 exec_lo, exec_lo, s10
	s_barrier_signal -1
	s_barrier_wait -1
	s_and_saveexec_b32 s10, vcc_hi
; %bb.132:                              ;   in Loop: Header=BB158_3 Depth=1
	v_pk_add_f32 v[46:47], v[44:45], 0 neg_lo:[1,1] neg_hi:[1,1]
	ds_store_b64 v62, v[46:47]
; %bb.133:                              ;   in Loop: Header=BB158_3 Depth=1
	s_or_b32 exec_lo, exec_lo, s10
	s_wait_dscnt 0x0
	s_barrier_signal -1
	s_barrier_wait -1
	s_and_saveexec_b32 s10, s38
	s_cbranch_execz .LBB158_135
; %bb.134:                              ;   in Loop: Header=BB158_3 Depth=1
	ds_load_b64 v[46:47], v63 offset:27520
	ds_load_b64 v[48:49], v62
	s_wait_dscnt 0x0
	v_dual_mul_f32 v0, v49, v47 :: v_dual_mul_f32 v51, v48, v47
	s_delay_alu instid0(VALU_DEP_1) | instskip(NEXT) | instid1(VALU_DEP_1)
	v_dual_fma_f32 v50, v48, v46, -v0 :: v_dual_fmac_f32 v51, v49, v46
	v_pk_add_f32 v[44:45], v[44:45], v[50:51] neg_lo:[0,1] neg_hi:[0,1]
.LBB158_135:                            ;   in Loop: Header=BB158_3 Depth=1
	s_or_b32 exec_lo, exec_lo, s10
	s_barrier_signal -1
	s_barrier_wait -1
	s_and_saveexec_b32 s10, s39
; %bb.136:                              ;   in Loop: Header=BB158_3 Depth=1
	v_pk_add_f32 v[46:47], v[44:45], 0 neg_lo:[1,1] neg_hi:[1,1]
	ds_store_b64 v62, v[46:47]
; %bb.137:                              ;   in Loop: Header=BB158_3 Depth=1
	s_or_b32 exec_lo, exec_lo, s10
	s_wait_dscnt 0x0
	s_barrier_signal -1
	s_barrier_wait -1
	s_and_saveexec_b32 s10, s40
	s_cbranch_execz .LBB158_139
; %bb.138:                              ;   in Loop: Header=BB158_3 Depth=1
	ds_load_b64 v[46:47], v63 offset:27008
	ds_load_b64 v[48:49], v62
	s_wait_dscnt 0x0
	v_pk_mul_f32 v[50:51], v[48:49], v[46:47] op_sel:[1,1] op_sel_hi:[0,1]
	s_delay_alu instid0(VALU_DEP_1) | instskip(SKIP_1) | instid1(VALU_DEP_2)
	v_pk_fma_f32 v[100:101], v[48:49], v[46:47], v[50:51] op_sel_hi:[1,0,1]
	v_pk_fma_f32 v[46:47], v[48:49], v[46:47], v[50:51] neg_lo:[0,0,1] neg_hi:[0,0,1]
	v_mov_b32_e32 v47, v101
	s_delay_alu instid0(VALU_DEP_1)
	v_pk_add_f32 v[44:45], v[44:45], v[46:47] neg_lo:[0,1] neg_hi:[0,1]
.LBB158_139:                            ;   in Loop: Header=BB158_3 Depth=1
	s_or_b32 exec_lo, exec_lo, s10
	s_barrier_signal -1
	s_barrier_wait -1
	s_and_saveexec_b32 s10, s41
; %bb.140:                              ;   in Loop: Header=BB158_3 Depth=1
	v_pk_add_f32 v[46:47], v[44:45], 0 neg_lo:[1,1] neg_hi:[1,1]
	ds_store_b64 v62, v[46:47]
; %bb.141:                              ;   in Loop: Header=BB158_3 Depth=1
	s_or_b32 exec_lo, exec_lo, s10
	s_wait_dscnt 0x0
	s_barrier_signal -1
	s_barrier_wait -1
	s_and_saveexec_b32 s10, s42
	s_cbranch_execz .LBB158_143
; %bb.142:                              ;   in Loop: Header=BB158_3 Depth=1
	ds_load_b64 v[46:47], v63 offset:26496
	ds_load_b64 v[48:49], v62
	s_wait_dscnt 0x0
	v_pk_mul_f32 v[50:51], v[48:49], v[46:47] op_sel:[1,1] op_sel_hi:[0,1]
	s_delay_alu instid0(VALU_DEP_1) | instskip(SKIP_1) | instid1(VALU_DEP_2)
	v_pk_fma_f32 v[100:101], v[48:49], v[46:47], v[50:51] op_sel_hi:[1,0,1]
	v_pk_fma_f32 v[46:47], v[48:49], v[46:47], v[50:51] neg_lo:[0,0,1] neg_hi:[0,0,1]
	v_mov_b32_e32 v47, v101
	s_delay_alu instid0(VALU_DEP_1)
	v_pk_add_f32 v[44:45], v[44:45], v[46:47] neg_lo:[0,1] neg_hi:[0,1]
.LBB158_143:                            ;   in Loop: Header=BB158_3 Depth=1
	;; [unrolled: 26-line block ×4, first 2 shown]
	s_or_b32 exec_lo, exec_lo, s10
	s_barrier_signal -1
	s_barrier_wait -1
	s_and_saveexec_b32 s10, s46
; %bb.152:                              ;   in Loop: Header=BB158_3 Depth=1
	v_pk_add_f32 v[46:47], v[44:45], 0 neg_lo:[1,1] neg_hi:[1,1]
	ds_store_b64 v62, v[46:47]
; %bb.153:                              ;   in Loop: Header=BB158_3 Depth=1
	s_or_b32 exec_lo, exec_lo, s10
	s_wait_dscnt 0x0
	s_barrier_signal -1
	s_barrier_wait -1
	s_barrier_signal -1
	s_barrier_wait -1
	s_and_saveexec_b32 s10, s6
; %bb.154:                              ;   in Loop: Header=BB158_3 Depth=1
	ds_store_b64 v65, v[44:45] offset:32640
; %bb.155:                              ;   in Loop: Header=BB158_3 Depth=1
	s_or_b32 exec_lo, exec_lo, s10
	s_wait_dscnt 0x0
	s_barrier_signal -1
	s_barrier_wait -1
	s_barrier_signal -1
	s_barrier_wait -1
	s_and_saveexec_b32 s10, s47
	s_cbranch_execz .LBB158_157
; %bb.156:                              ;   in Loop: Header=BB158_3 Depth=1
	ds_load_b64 v[44:45], v79 offset:29056
	s_wait_dscnt 0x0
	ds_store_b64 v80, v[44:45] offset:25024
	ds_load_b64 v[44:45], v79 offset:29064
	s_wait_dscnt 0x0
	ds_store_b64 v80, v[44:45] offset:25536
	ds_load_b64 v[44:45], v79 offset:29072
	s_wait_dscnt 0x0
	ds_store_b64 v80, v[44:45] offset:26048
	ds_load_b64 v[44:45], v79 offset:29080
	s_wait_dscnt 0x0
	ds_store_b64 v80, v[44:45] offset:26560
	ds_load_b64 v[44:45], v79 offset:29088
	s_wait_dscnt 0x0
	ds_store_b64 v80, v[44:45] offset:27072
	ds_load_b64 v[44:45], v79 offset:29096
	s_wait_dscnt 0x0
	ds_store_b64 v80, v[44:45] offset:27584
	ds_load_b64 v[44:45], v79 offset:29104
	s_wait_dscnt 0x0
	ds_store_b64 v80, v[44:45] offset:28096
	ds_load_b64 v[44:45], v79 offset:29112
	s_wait_dscnt 0x0
	ds_store_b64 v80, v[44:45] offset:28608
.LBB158_157:                            ;   in Loop: Header=BB158_3 Depth=1
	s_or_b32 exec_lo, exec_lo, s10
	s_wait_dscnt 0x0
	s_barrier_signal -1
	s_barrier_wait -1
	s_and_saveexec_b32 s10, s11
	s_cbranch_execz .LBB158_159
; %bb.158:                              ;   in Loop: Header=BB158_3 Depth=1
	ds_load_b64 v[44:45], v1 offset:28592
	v_add_nc_u32_e64 v0, 0x6800, 0
	ds_store_b64 v1, v[38:39] offset:28600
	s_wait_dscnt 0x1
	ds_store_2addr_b64 v0, v[38:39], v[44:45] offset0:182 offset1:183
.LBB158_159:                            ;   in Loop: Header=BB158_3 Depth=1
	s_or_b32 exec_lo, exec_lo, s10
	v_dual_mov_b32 v44, 0 :: v_dual_mov_b32 v45, 0
	s_wait_dscnt 0x0
	s_barrier_signal -1
	s_barrier_wait -1
	global_wb scope:SCOPE_DEV
	s_wait_storecnt 0x0
	global_inv scope:SCOPE_DEV
	s_and_saveexec_b32 s13, s3
	s_cbranch_execz .LBB158_163
; %bb.160:                              ;   in Loop: Header=BB158_3 Depth=1
	ds_load_b64 v[44:45], v53 offset:28064
	ds_load_b64 v[46:47], v54 offset:28592
	s_wait_dscnt 0x0
	v_pk_mul_f32 v[48:49], v[46:47], v[44:45] op_sel:[1,1] op_sel_hi:[0,1]
	s_delay_alu instid0(VALU_DEP_1) | instskip(SKIP_1) | instid1(VALU_DEP_2)
	v_pk_fma_f32 v[50:51], v[46:47], v[44:45], v[48:49] op_sel_hi:[1,0,1]
	v_pk_fma_f32 v[44:45], v[46:47], v[44:45], v[48:49] neg_lo:[0,0,1] neg_hi:[0,0,1]
	v_mov_b32_e32 v45, v51
	s_delay_alu instid0(VALU_DEP_1)
	v_pk_add_f32 v[44:45], v[44:45], 0 op_sel_hi:[1,0]
	s_and_saveexec_b32 s10, s14
	s_cbranch_execz .LBB158_162
; %bb.161:                              ;   in Loop: Header=BB158_3 Depth=1
	ds_load_b64 v[46:47], v80 offset:28576
	ds_load_b64 v[48:49], v1 offset:28600
	s_wait_dscnt 0x0
	v_pk_mul_f32 v[50:51], v[48:49], v[46:47] op_sel:[1,1] op_sel_hi:[0,1]
	s_delay_alu instid0(VALU_DEP_1) | instskip(SKIP_1) | instid1(VALU_DEP_2)
	v_pk_fma_f32 v[100:101], v[48:49], v[46:47], v[50:51] op_sel_hi:[1,0,1]
	v_pk_fma_f32 v[46:47], v[48:49], v[46:47], v[50:51] neg_lo:[0,0,1] neg_hi:[0,0,1]
	v_mov_b32_e32 v47, v101
	s_delay_alu instid0(VALU_DEP_1)
	v_pk_add_f32 v[44:45], v[44:45], v[46:47]
.LBB158_162:                            ;   in Loop: Header=BB158_3 Depth=1
	s_or_b32 exec_lo, exec_lo, s10
.LBB158_163:                            ;   in Loop: Header=BB158_3 Depth=1
	s_delay_alu instid0(SALU_CYCLE_1)
	s_or_b32 exec_lo, exec_lo, s13
	s_and_saveexec_b32 s10, s91
; %bb.164:                              ;   in Loop: Header=BB158_3 Depth=1
	s_delay_alu instid0(VALU_DEP_1)
	v_pk_add_f32 v[46:47], v[44:45], 0 neg_lo:[1,1] neg_hi:[1,1]
	ds_store_b64 v52, v[46:47]
; %bb.165:                              ;   in Loop: Header=BB158_3 Depth=1
	s_or_b32 exec_lo, exec_lo, s10
	s_wait_loadcnt_dscnt 0x0
	s_barrier_signal -1
	s_barrier_wait -1
	s_and_saveexec_b32 s10, s92
	s_cbranch_execz .LBB158_167
; %bb.166:                              ;   in Loop: Header=BB158_3 Depth=1
	ds_load_b64 v[46:47], v1 offset:27552
	ds_load_b64 v[48:49], v52
	s_wait_dscnt 0x0
	v_pk_mul_f32 v[50:51], v[48:49], v[46:47] op_sel_hi:[1,0]
	s_delay_alu instid0(VALU_DEP_1) | instskip(SKIP_1) | instid1(VALU_DEP_2)
	v_pk_fma_f32 v[100:101], v[48:49], v[46:47], v[50:51] op_sel:[1,1,0] op_sel_hi:[0,1,1]
	v_pk_fma_f32 v[46:47], v[48:49], v[46:47], v[50:51] op_sel:[1,1,0] op_sel_hi:[0,1,1] neg_lo:[0,0,1] neg_hi:[0,0,1]
	v_pk_add_f32 v[48:49], v[44:45], v[100:101] neg_lo:[0,1] neg_hi:[0,1]
	s_delay_alu instid0(VALU_DEP_2) | instskip(NEXT) | instid1(VALU_DEP_2)
	v_pk_add_f32 v[44:45], v[44:45], v[46:47]
	v_mov_b32_e32 v45, v49
.LBB158_167:                            ;   in Loop: Header=BB158_3 Depth=1
	s_or_b32 exec_lo, exec_lo, s10
	s_barrier_signal -1
	s_barrier_wait -1
	s_and_saveexec_b32 s10, s92
; %bb.168:                              ;   in Loop: Header=BB158_3 Depth=1
	v_pk_add_f32 v[46:47], v[44:45], 0 neg_lo:[1,1] neg_hi:[1,1]
	ds_store_b64 v52, v[46:47]
; %bb.169:                              ;   in Loop: Header=BB158_3 Depth=1
	s_or_b32 exec_lo, exec_lo, s10
	s_wait_dscnt 0x0
	s_barrier_signal -1
	s_barrier_wait -1
	s_barrier_signal -1
	s_barrier_wait -1
	s_and_saveexec_b32 s10, s3
; %bb.170:                              ;   in Loop: Header=BB158_3 Depth=1
	ds_store_b64 v56, v[44:45] offset:28576
; %bb.171:                              ;   in Loop: Header=BB158_3 Depth=1
	s_or_b32 exec_lo, exec_lo, s10
	s_wait_dscnt 0x0
	s_barrier_signal -1
	s_barrier_wait -1
	s_barrier_signal -1
	s_barrier_wait -1
	s_and_saveexec_b32 s10, s93
	s_cbranch_execz .LBB158_173
; %bb.172:                              ;   in Loop: Header=BB158_3 Depth=1
	ds_load_b64 v[44:45], v3 offset:28064
	s_wait_dscnt 0x0
	ds_store_b64 v80, v[44:45] offset:27056
	ds_load_b64 v[44:45], v3 offset:28072
	s_wait_dscnt 0x0
	ds_store_b64 v80, v[44:45] offset:27568
.LBB158_173:                            ;   in Loop: Header=BB158_3 Depth=1
	s_or_b32 exec_lo, exec_lo, s10
	s_wait_dscnt 0x0
	s_barrier_signal -1
	s_barrier_wait -1
	s_and_saveexec_b32 s10, s11
	s_cbranch_execz .LBB158_175
; %bb.174:                              ;   in Loop: Header=BB158_3 Depth=1
	ds_load_b64 v[44:45], v1 offset:27552
	v_add_nc_u32_e64 v0, 0x6800, 0
	ds_store_b64 v1, v[38:39] offset:27560
	s_wait_dscnt 0x1
	ds_store_2addr_b64 v0, v[38:39], v[44:45] offset0:52 offset1:53
.LBB158_175:                            ;   in Loop: Header=BB158_3 Depth=1
	s_or_b32 exec_lo, exec_lo, s10
	v_mov_b64_e32 v[44:45], 0
	s_wait_dscnt 0x0
	s_barrier_signal -1
	s_barrier_wait -1
	global_wb scope:SCOPE_DEV
	s_wait_storecnt 0x0
	global_inv scope:SCOPE_DEV
	s_and_saveexec_b32 s13, s5
	s_cbranch_execz .LBB158_181
; %bb.176:                              ;   in Loop: Header=BB158_3 Depth=1
	ds_load_b64 v[44:45], v59 offset:27008
	ds_load_b64 v[46:47], v60 offset:28576
	s_wait_dscnt 0x0
	v_dual_mul_f32 v0, v47, v45 :: v_dual_mul_f32 v35, v46, v45
	s_delay_alu instid0(VALU_DEP_1) | instskip(NEXT) | instid1(VALU_DEP_1)
	v_dual_fma_f32 v0, v46, v44, -v0 :: v_dual_fmac_f32 v35, v47, v44
	v_dual_add_f32 v44, 0, v0 :: v_dual_add_f32 v45, 0, v35
	s_and_saveexec_b32 s10, s15
	s_cbranch_execnz .LBB158_1070
; %bb.177:                              ;   in Loop: Header=BB158_3 Depth=1
	s_or_b32 exec_lo, exec_lo, s10
	s_and_saveexec_b32 s10, s16
	s_cbranch_execnz .LBB158_1071
.LBB158_178:                            ;   in Loop: Header=BB158_3 Depth=1
	s_or_b32 exec_lo, exec_lo, s10
	s_and_saveexec_b32 s10, s3
	s_cbranch_execz .LBB158_180
.LBB158_179:                            ;   in Loop: Header=BB158_3 Depth=1
	ds_load_b64 v[46:47], v81 offset:28544
	ds_load_b64 v[48:49], v1 offset:28600
	s_wait_dscnt 0x0
	v_pk_mul_f32 v[50:51], v[48:49], v[46:47] op_sel:[1,1] op_sel_hi:[0,1]
	s_delay_alu instid0(VALU_DEP_1) | instskip(SKIP_1) | instid1(VALU_DEP_2)
	v_pk_fma_f32 v[100:101], v[48:49], v[46:47], v[50:51] op_sel_hi:[1,0,1]
	v_pk_fma_f32 v[46:47], v[48:49], v[46:47], v[50:51] neg_lo:[0,0,1] neg_hi:[0,0,1]
	v_mov_b32_e32 v47, v101
	s_delay_alu instid0(VALU_DEP_1)
	v_pk_add_f32 v[44:45], v[44:45], v[46:47]
.LBB158_180:                            ;   in Loop: Header=BB158_3 Depth=1
	s_or_b32 exec_lo, exec_lo, s10
.LBB158_181:                            ;   in Loop: Header=BB158_3 Depth=1
	s_delay_alu instid0(SALU_CYCLE_1)
	s_or_b32 exec_lo, exec_lo, s13
	s_and_saveexec_b32 s10, s94
; %bb.182:                              ;   in Loop: Header=BB158_3 Depth=1
	s_delay_alu instid0(VALU_DEP_1)
	v_pk_add_f32 v[46:47], v[44:45], 0 neg_lo:[1,1] neg_hi:[1,1]
	ds_store_b64 v58, v[46:47]
; %bb.183:                              ;   in Loop: Header=BB158_3 Depth=1
	s_or_b32 exec_lo, exec_lo, s10
	s_wait_loadcnt_dscnt 0x0
	s_barrier_signal -1
	s_barrier_wait -1
	s_and_saveexec_b32 s10, s95
	s_cbranch_execz .LBB158_185
; %bb.184:                              ;   in Loop: Header=BB158_3 Depth=1
	ds_load_b64 v[46:47], v59 offset:26496
	ds_load_b64 v[48:49], v58
	s_wait_dscnt 0x0
	v_pk_mul_f32 v[50:51], v[48:49], v[46:47] op_sel:[1,1] op_sel_hi:[0,1]
	s_delay_alu instid0(VALU_DEP_1) | instskip(SKIP_1) | instid1(VALU_DEP_2)
	v_pk_fma_f32 v[100:101], v[48:49], v[46:47], v[50:51] op_sel_hi:[1,0,1]
	v_pk_fma_f32 v[46:47], v[48:49], v[46:47], v[50:51] neg_lo:[0,0,1] neg_hi:[0,0,1]
	v_mov_b32_e32 v47, v101
	s_delay_alu instid0(VALU_DEP_1)
	v_pk_add_f32 v[44:45], v[44:45], v[46:47] neg_lo:[0,1] neg_hi:[0,1]
.LBB158_185:                            ;   in Loop: Header=BB158_3 Depth=1
	s_or_b32 exec_lo, exec_lo, s10
	s_barrier_signal -1
	s_barrier_wait -1
	s_and_saveexec_b32 s10, s96
; %bb.186:                              ;   in Loop: Header=BB158_3 Depth=1
	v_pk_add_f32 v[46:47], v[44:45], 0 neg_lo:[1,1] neg_hi:[1,1]
	ds_store_b64 v58, v[46:47]
; %bb.187:                              ;   in Loop: Header=BB158_3 Depth=1
	s_or_b32 exec_lo, exec_lo, s10
	s_wait_dscnt 0x0
	s_barrier_signal -1
	s_barrier_wait -1
	s_and_saveexec_b32 s10, s97
	s_cbranch_execz .LBB158_189
; %bb.188:                              ;   in Loop: Header=BB158_3 Depth=1
	ds_load_b64 v[46:47], v59 offset:25984
	ds_load_b64 v[48:49], v58
	s_wait_dscnt 0x0
	v_pk_mul_f32 v[50:51], v[48:49], v[46:47] op_sel:[1,1] op_sel_hi:[0,1]
	s_delay_alu instid0(VALU_DEP_1) | instskip(SKIP_1) | instid1(VALU_DEP_2)
	v_pk_fma_f32 v[100:101], v[48:49], v[46:47], v[50:51] op_sel_hi:[1,0,1]
	v_pk_fma_f32 v[46:47], v[48:49], v[46:47], v[50:51] neg_lo:[0,0,1] neg_hi:[0,0,1]
	v_mov_b32_e32 v47, v101
	s_delay_alu instid0(VALU_DEP_1)
	v_pk_add_f32 v[44:45], v[44:45], v[46:47] neg_lo:[0,1] neg_hi:[0,1]
.LBB158_189:                            ;   in Loop: Header=BB158_3 Depth=1
	s_or_b32 exec_lo, exec_lo, s10
	s_barrier_signal -1
	s_barrier_wait -1
	s_and_saveexec_b32 s10, s98
; %bb.190:                              ;   in Loop: Header=BB158_3 Depth=1
	v_pk_add_f32 v[46:47], v[44:45], 0 neg_lo:[1,1] neg_hi:[1,1]
	ds_store_b64 v58, v[46:47]
; %bb.191:                              ;   in Loop: Header=BB158_3 Depth=1
	s_or_b32 exec_lo, exec_lo, s10
	s_wait_dscnt 0x0
	;; [unrolled: 26-line block ×3, first 2 shown]
	s_barrier_signal -1
	s_barrier_wait -1
	s_barrier_signal -1
	s_barrier_wait -1
	s_and_saveexec_b32 s10, s5
; %bb.196:                              ;   in Loop: Header=BB158_3 Depth=1
	ds_store_b64 v61, v[44:45] offset:28544
; %bb.197:                              ;   in Loop: Header=BB158_3 Depth=1
	s_or_b32 exec_lo, exec_lo, s10
	s_wait_dscnt 0x0
	s_barrier_signal -1
	s_barrier_wait -1
	s_barrier_signal -1
	s_barrier_wait -1
	s_and_saveexec_b32 s10, s100
	s_cbranch_execz .LBB158_199
; %bb.198:                              ;   in Loop: Header=BB158_3 Depth=1
	ds_load_b64 v[44:45], v84 offset:27008
	s_wait_dscnt 0x0
	ds_store_b64 v86, v[44:45] offset:24992
	ds_load_b64 v[44:45], v84 offset:27016
	s_wait_dscnt 0x0
	ds_store_b64 v86, v[44:45] offset:25504
	;; [unrolled: 3-line block ×4, first 2 shown]
.LBB158_199:                            ;   in Loop: Header=BB158_3 Depth=1
	s_or_b32 exec_lo, exec_lo, s10
	s_wait_dscnt 0x0
	s_barrier_signal -1
	s_barrier_wait -1
	s_and_saveexec_b32 s10, s11
	s_cbranch_execz .LBB158_201
; %bb.200:                              ;   in Loop: Header=BB158_3 Depth=1
	ds_load_b64 v[44:45], v1 offset:26512
	v_add_nc_u32_e64 v0, 0x6000, 0
	ds_store_b64 v1, v[38:39] offset:26520
	s_wait_dscnt 0x1
	ds_store_2addr_b64 v0, v[38:39], v[44:45] offset0:178 offset1:179
.LBB158_201:                            ;   in Loop: Header=BB158_3 Depth=1
	s_or_b32 exec_lo, exec_lo, s10
	v_dual_mov_b32 v44, 0 :: v_dual_mov_b32 v45, 0
	s_wait_dscnt 0x0
	s_barrier_signal -1
	s_barrier_wait -1
	global_wb scope:SCOPE_DEV
	s_wait_storecnt 0x0
	global_inv scope:SCOPE_DEV
	s_and_saveexec_b32 s13, s3
	s_cbranch_execz .LBB158_205
; %bb.202:                              ;   in Loop: Header=BB158_3 Depth=1
	ds_load_b64 v[44:45], v53 offset:25984
	ds_load_b64 v[46:47], v54 offset:26512
	s_wait_dscnt 0x0
	v_pk_mul_f32 v[48:49], v[46:47], v[44:45] op_sel:[1,1] op_sel_hi:[0,1]
	s_delay_alu instid0(VALU_DEP_1) | instskip(SKIP_1) | instid1(VALU_DEP_2)
	v_pk_fma_f32 v[50:51], v[46:47], v[44:45], v[48:49] op_sel_hi:[1,0,1]
	v_pk_fma_f32 v[44:45], v[46:47], v[44:45], v[48:49] neg_lo:[0,0,1] neg_hi:[0,0,1]
	v_mov_b32_e32 v45, v51
	s_delay_alu instid0(VALU_DEP_1)
	v_pk_add_f32 v[44:45], v[44:45], 0 op_sel_hi:[1,0]
	s_and_saveexec_b32 s10, s14
	s_cbranch_execz .LBB158_204
; %bb.203:                              ;   in Loop: Header=BB158_3 Depth=1
	ds_load_b64 v[46:47], v86 offset:26496
	ds_load_b64 v[48:49], v1 offset:26520
	s_wait_dscnt 0x0
	v_pk_mul_f32 v[50:51], v[48:49], v[46:47] op_sel:[1,1] op_sel_hi:[0,1]
	s_delay_alu instid0(VALU_DEP_1) | instskip(SKIP_1) | instid1(VALU_DEP_2)
	v_pk_fma_f32 v[100:101], v[48:49], v[46:47], v[50:51] op_sel_hi:[1,0,1]
	v_pk_fma_f32 v[46:47], v[48:49], v[46:47], v[50:51] neg_lo:[0,0,1] neg_hi:[0,0,1]
	v_mov_b32_e32 v47, v101
	s_delay_alu instid0(VALU_DEP_1)
	v_pk_add_f32 v[44:45], v[44:45], v[46:47]
.LBB158_204:                            ;   in Loop: Header=BB158_3 Depth=1
	s_or_b32 exec_lo, exec_lo, s10
.LBB158_205:                            ;   in Loop: Header=BB158_3 Depth=1
	s_delay_alu instid0(SALU_CYCLE_1)
	s_or_b32 exec_lo, exec_lo, s13
	s_and_saveexec_b32 s10, s91
; %bb.206:                              ;   in Loop: Header=BB158_3 Depth=1
	s_delay_alu instid0(VALU_DEP_1)
	v_pk_add_f32 v[46:47], v[44:45], 0 neg_lo:[1,1] neg_hi:[1,1]
	ds_store_b64 v52, v[46:47]
; %bb.207:                              ;   in Loop: Header=BB158_3 Depth=1
	s_or_b32 exec_lo, exec_lo, s10
	s_wait_loadcnt_dscnt 0x0
	s_barrier_signal -1
	s_barrier_wait -1
	s_and_saveexec_b32 s10, s92
	s_cbranch_execz .LBB158_209
; %bb.208:                              ;   in Loop: Header=BB158_3 Depth=1
	ds_load_b64 v[46:47], v1 offset:25472
	ds_load_b64 v[48:49], v52
	s_wait_dscnt 0x0
	v_pk_mul_f32 v[50:51], v[48:49], v[46:47] op_sel_hi:[1,0]
	s_delay_alu instid0(VALU_DEP_1) | instskip(SKIP_1) | instid1(VALU_DEP_2)
	v_pk_fma_f32 v[100:101], v[48:49], v[46:47], v[50:51] op_sel:[1,1,0] op_sel_hi:[0,1,1]
	v_pk_fma_f32 v[46:47], v[48:49], v[46:47], v[50:51] op_sel:[1,1,0] op_sel_hi:[0,1,1] neg_lo:[0,0,1] neg_hi:[0,0,1]
	v_pk_add_f32 v[48:49], v[44:45], v[100:101] neg_lo:[0,1] neg_hi:[0,1]
	s_delay_alu instid0(VALU_DEP_2) | instskip(NEXT) | instid1(VALU_DEP_2)
	v_pk_add_f32 v[44:45], v[44:45], v[46:47]
	v_mov_b32_e32 v45, v49
.LBB158_209:                            ;   in Loop: Header=BB158_3 Depth=1
	s_or_b32 exec_lo, exec_lo, s10
	s_barrier_signal -1
	s_barrier_wait -1
	s_and_saveexec_b32 s10, s92
; %bb.210:                              ;   in Loop: Header=BB158_3 Depth=1
	v_pk_add_f32 v[46:47], v[44:45], 0 neg_lo:[1,1] neg_hi:[1,1]
	ds_store_b64 v52, v[46:47]
; %bb.211:                              ;   in Loop: Header=BB158_3 Depth=1
	s_or_b32 exec_lo, exec_lo, s10
	s_wait_dscnt 0x0
	s_barrier_signal -1
	s_barrier_wait -1
	s_barrier_signal -1
	s_barrier_wait -1
	s_and_saveexec_b32 s10, s3
; %bb.212:                              ;   in Loop: Header=BB158_3 Depth=1
	ds_store_b64 v56, v[44:45] offset:26496
; %bb.213:                              ;   in Loop: Header=BB158_3 Depth=1
	s_or_b32 exec_lo, exec_lo, s10
	s_wait_dscnt 0x0
	s_barrier_signal -1
	s_barrier_wait -1
	s_barrier_signal -1
	s_barrier_wait -1
	s_and_saveexec_b32 s10, s93
	s_cbranch_execz .LBB158_215
; %bb.214:                              ;   in Loop: Header=BB158_3 Depth=1
	ds_load_b64 v[44:45], v88 offset:25984
	s_wait_dscnt 0x0
	ds_store_b64 v86, v[44:45] offset:24976
	ds_load_b64 v[44:45], v88 offset:25992
	s_wait_dscnt 0x0
	ds_store_b64 v86, v[44:45] offset:25488
.LBB158_215:                            ;   in Loop: Header=BB158_3 Depth=1
	s_or_b32 exec_lo, exec_lo, s10
	s_wait_dscnt 0x0
	s_barrier_signal -1
	s_barrier_wait -1
	s_and_saveexec_b32 s10, s11
	s_cbranch_execz .LBB158_217
; %bb.216:                              ;   in Loop: Header=BB158_3 Depth=1
	ds_load_b64 v[44:45], v1 offset:25472
	v_add_nc_u32_e64 v0, 0x6000, 0
	ds_store_b64 v1, v[38:39] offset:25480
	s_wait_dscnt 0x1
	ds_store_2addr_b64 v0, v[38:39], v[44:45] offset0:48 offset1:49
.LBB158_217:                            ;   in Loop: Header=BB158_3 Depth=1
	s_or_b32 exec_lo, exec_lo, s10
	v_mov_b64_e32 v[44:45], 0
	s_wait_dscnt 0x0
	s_barrier_signal -1
	s_barrier_wait -1
	global_wb scope:SCOPE_DEV
	s_wait_storecnt 0x0
	global_inv scope:SCOPE_DEV
	s_and_saveexec_b32 s62, s7
	s_cbranch_execz .LBB158_245
; %bb.218:                              ;   in Loop: Header=BB158_3 Depth=1
	ds_load_b64 v[44:45], v67 offset:24832
	ds_load_b64 v[46:47], v68 offset:32640
	s_wait_dscnt 0x0
	v_dual_mul_f32 v0, v47, v45 :: v_dual_mul_f32 v35, v46, v45
	s_delay_alu instid0(VALU_DEP_1) | instskip(NEXT) | instid1(VALU_DEP_1)
	v_dual_fma_f32 v0, v46, v44, -v0 :: v_dual_fmac_f32 v35, v47, v44
	v_dual_add_f32 v44, 0, v0 :: v_dual_add_f32 v45, 0, v35
	s_mov_b32 s10, exec_lo
	v_readlane_b32 s13, v109, 23
	s_and_b32 s13, s10, s13
	s_delay_alu instid0(SALU_CYCLE_1)
	s_mov_b32 exec_lo, s13
	s_cbranch_execz .LBB158_220
; %bb.219:                              ;   in Loop: Header=BB158_3 Depth=1
	ds_load_b64 v[46:47], v67 offset:25344
	ds_load_b64 v[48:49], v68 offset:32648
	s_wait_dscnt 0x0
	v_dual_mul_f32 v0, v49, v47 :: v_dual_mul_f32 v35, v48, v47
	s_delay_alu instid0(VALU_DEP_1) | instskip(NEXT) | instid1(VALU_DEP_1)
	v_dual_fma_f32 v0, v48, v46, -v0 :: v_dual_fmac_f32 v35, v49, v46
	v_dual_add_f32 v44, v44, v0 :: v_dual_add_f32 v45, v45, v35
.LBB158_220:                            ;   in Loop: Header=BB158_3 Depth=1
	s_or_b32 exec_lo, exec_lo, s10
	s_delay_alu instid0(SALU_CYCLE_1) | instskip(SKIP_2) | instid1(SALU_CYCLE_1)
	s_mov_b32 s10, exec_lo
	v_readlane_b32 s13, v109, 24
	s_and_b32 s13, s10, s13
	s_mov_b32 exec_lo, s13
	s_cbranch_execz .LBB158_222
; %bb.221:                              ;   in Loop: Header=BB158_3 Depth=1
	ds_load_b64 v[46:47], v67 offset:25856
	ds_load_b64 v[48:49], v68 offset:32656
	s_wait_dscnt 0x0
	v_dual_mul_f32 v0, v49, v47 :: v_dual_mul_f32 v35, v48, v47
	s_delay_alu instid0(VALU_DEP_1) | instskip(NEXT) | instid1(VALU_DEP_1)
	v_dual_fma_f32 v0, v48, v46, -v0 :: v_dual_fmac_f32 v35, v49, v46
	v_dual_add_f32 v44, v44, v0 :: v_dual_add_f32 v45, v45, v35
.LBB158_222:                            ;   in Loop: Header=BB158_3 Depth=1
	s_or_b32 exec_lo, exec_lo, s10
	s_delay_alu instid0(SALU_CYCLE_1) | instskip(SKIP_2) | instid1(SALU_CYCLE_1)
	s_mov_b32 s10, exec_lo
	v_readlane_b32 s13, v109, 25
	s_and_b32 s13, s10, s13
	;; [unrolled: 16-line block ×10, first 2 shown]
	s_mov_b32 exec_lo, s13
	s_cbranch_execnz .LBB158_1072
; %bb.239:                              ;   in Loop: Header=BB158_3 Depth=1
	s_or_b32 exec_lo, exec_lo, s10
	s_and_saveexec_b32 s10, s6
	s_cbranch_execnz .LBB158_1073
.LBB158_240:                            ;   in Loop: Header=BB158_3 Depth=1
	s_or_b32 exec_lo, exec_lo, s10
	s_and_saveexec_b32 s10, s18
	s_cbranch_execnz .LBB158_1074
.LBB158_241:                            ;   in Loop: Header=BB158_3 Depth=1
	s_or_b32 exec_lo, exec_lo, s10
	s_and_saveexec_b32 s10, s21
	s_cbranch_execnz .LBB158_1075
.LBB158_242:                            ;   in Loop: Header=BB158_3 Depth=1
	s_or_b32 exec_lo, exec_lo, s10
	s_and_saveexec_b32 s10, s5
	s_cbranch_execz .LBB158_244
.LBB158_243:                            ;   in Loop: Header=BB158_3 Depth=1
	ds_load_b64 v[46:47], v55 offset:32512
	ds_load_b64 v[48:49], v1 offset:32760
	s_wait_dscnt 0x0
	v_pk_mul_f32 v[50:51], v[48:49], v[46:47] op_sel:[1,1] op_sel_hi:[0,1]
	s_delay_alu instid0(VALU_DEP_1) | instskip(SKIP_1) | instid1(VALU_DEP_2)
	v_pk_fma_f32 v[100:101], v[48:49], v[46:47], v[50:51] op_sel_hi:[1,0,1]
	v_pk_fma_f32 v[46:47], v[48:49], v[46:47], v[50:51] neg_lo:[0,0,1] neg_hi:[0,0,1]
	v_mov_b32_e32 v47, v101
	s_delay_alu instid0(VALU_DEP_1)
	v_pk_add_f32 v[44:45], v[44:45], v[46:47]
.LBB158_244:                            ;   in Loop: Header=BB158_3 Depth=1
	s_or_b32 exec_lo, exec_lo, s10
.LBB158_245:                            ;   in Loop: Header=BB158_3 Depth=1
	s_delay_alu instid0(SALU_CYCLE_1) | instskip(NEXT) | instid1(SALU_CYCLE_1)
	s_or_b32 exec_lo, exec_lo, s62
	s_mov_b32 s10, exec_lo
	v_readlane_b32 s13, v109, 1
	s_and_b32 s13, s10, s13
	s_delay_alu instid0(SALU_CYCLE_1)
	s_mov_b32 exec_lo, s13
; %bb.246:                              ;   in Loop: Header=BB158_3 Depth=1
	v_pk_add_f32 v[46:47], v[44:45], 0 neg_lo:[1,1] neg_hi:[1,1]
	ds_store_b64 v66, v[46:47]
; %bb.247:                              ;   in Loop: Header=BB158_3 Depth=1
	s_or_b32 exec_lo, exec_lo, s10
	s_wait_loadcnt_dscnt 0x0
	s_barrier_signal -1
	s_barrier_wait -1
	s_mov_b32 s10, exec_lo
	v_readlane_b32 s13, v109, 2
	s_and_b32 s13, s10, s13
	s_delay_alu instid0(SALU_CYCLE_1)
	s_mov_b32 exec_lo, s13
	s_cbranch_execz .LBB158_249
; %bb.248:                              ;   in Loop: Header=BB158_3 Depth=1
	ds_load_b64 v[46:47], v67 offset:24320
	ds_load_b64 v[48:49], v66
	s_wait_dscnt 0x0
	v_pk_mul_f32 v[50:51], v[48:49], v[46:47] op_sel:[1,1] op_sel_hi:[0,1]
	s_delay_alu instid0(VALU_DEP_1) | instskip(SKIP_1) | instid1(VALU_DEP_2)
	v_pk_fma_f32 v[100:101], v[48:49], v[46:47], v[50:51] op_sel_hi:[1,0,1]
	v_pk_fma_f32 v[46:47], v[48:49], v[46:47], v[50:51] neg_lo:[0,0,1] neg_hi:[0,0,1]
	v_mov_b32_e32 v47, v101
	s_delay_alu instid0(VALU_DEP_1)
	v_pk_add_f32 v[44:45], v[44:45], v[46:47] neg_lo:[0,1] neg_hi:[0,1]
.LBB158_249:                            ;   in Loop: Header=BB158_3 Depth=1
	s_or_b32 exec_lo, exec_lo, s10
	s_barrier_signal -1
	s_barrier_wait -1
	s_mov_b32 s10, exec_lo
	v_readlane_b32 s13, v109, 3
	s_and_b32 s13, s10, s13
	s_delay_alu instid0(SALU_CYCLE_1)
	s_mov_b32 exec_lo, s13
; %bb.250:                              ;   in Loop: Header=BB158_3 Depth=1
	v_pk_add_f32 v[46:47], v[44:45], 0 neg_lo:[1,1] neg_hi:[1,1]
	ds_store_b64 v66, v[46:47]
; %bb.251:                              ;   in Loop: Header=BB158_3 Depth=1
	s_or_b32 exec_lo, exec_lo, s10
	s_wait_dscnt 0x0
	s_barrier_signal -1
	s_barrier_wait -1
	s_mov_b32 s10, exec_lo
	v_readlane_b32 s13, v109, 4
	s_and_b32 s13, s10, s13
	s_delay_alu instid0(SALU_CYCLE_1)
	s_mov_b32 exec_lo, s13
	s_cbranch_execz .LBB158_253
; %bb.252:                              ;   in Loop: Header=BB158_3 Depth=1
	ds_load_b64 v[46:47], v67 offset:23808
	ds_load_b64 v[48:49], v66
	s_wait_dscnt 0x0
	v_pk_mul_f32 v[50:51], v[48:49], v[46:47] op_sel:[1,1] op_sel_hi:[0,1]
	s_delay_alu instid0(VALU_DEP_1) | instskip(SKIP_1) | instid1(VALU_DEP_2)
	v_pk_fma_f32 v[100:101], v[48:49], v[46:47], v[50:51] op_sel_hi:[1,0,1]
	v_pk_fma_f32 v[46:47], v[48:49], v[46:47], v[50:51] neg_lo:[0,0,1] neg_hi:[0,0,1]
	v_mov_b32_e32 v47, v101
	s_delay_alu instid0(VALU_DEP_1)
	v_pk_add_f32 v[44:45], v[44:45], v[46:47] neg_lo:[0,1] neg_hi:[0,1]
.LBB158_253:                            ;   in Loop: Header=BB158_3 Depth=1
	s_or_b32 exec_lo, exec_lo, s10
	s_barrier_signal -1
	s_barrier_wait -1
	s_mov_b32 s10, exec_lo
	v_readlane_b32 s13, v109, 5
	s_and_b32 s13, s10, s13
	s_delay_alu instid0(SALU_CYCLE_1)
	s_mov_b32 exec_lo, s13
; %bb.254:                              ;   in Loop: Header=BB158_3 Depth=1
	v_pk_add_f32 v[46:47], v[44:45], 0 neg_lo:[1,1] neg_hi:[1,1]
	ds_store_b64 v66, v[46:47]
; %bb.255:                              ;   in Loop: Header=BB158_3 Depth=1
	s_or_b32 exec_lo, exec_lo, s10
	s_wait_dscnt 0x0
	s_barrier_signal -1
	s_barrier_wait -1
	s_and_saveexec_b32 s10, s54
	s_cbranch_execz .LBB158_257
; %bb.256:                              ;   in Loop: Header=BB158_3 Depth=1
	ds_load_b64 v[46:47], v67 offset:23296
	ds_load_b64 v[48:49], v66
	s_wait_dscnt 0x0
	v_pk_mul_f32 v[50:51], v[48:49], v[46:47] op_sel:[1,1] op_sel_hi:[0,1]
	s_delay_alu instid0(VALU_DEP_1) | instskip(SKIP_1) | instid1(VALU_DEP_2)
	v_pk_fma_f32 v[100:101], v[48:49], v[46:47], v[50:51] op_sel_hi:[1,0,1]
	v_pk_fma_f32 v[46:47], v[48:49], v[46:47], v[50:51] neg_lo:[0,0,1] neg_hi:[0,0,1]
	v_mov_b32_e32 v47, v101
	s_delay_alu instid0(VALU_DEP_1)
	v_pk_add_f32 v[44:45], v[44:45], v[46:47] neg_lo:[0,1] neg_hi:[0,1]
.LBB158_257:                            ;   in Loop: Header=BB158_3 Depth=1
	s_or_b32 exec_lo, exec_lo, s10
	s_barrier_signal -1
	s_barrier_wait -1
	s_and_saveexec_b32 s10, s55
; %bb.258:                              ;   in Loop: Header=BB158_3 Depth=1
	v_pk_add_f32 v[46:47], v[44:45], 0 neg_lo:[1,1] neg_hi:[1,1]
	ds_store_b64 v66, v[46:47]
; %bb.259:                              ;   in Loop: Header=BB158_3 Depth=1
	s_or_b32 exec_lo, exec_lo, s10
	s_wait_dscnt 0x0
	s_barrier_signal -1
	s_barrier_wait -1
	s_and_saveexec_b32 s10, s56
	s_cbranch_execz .LBB158_261
; %bb.260:                              ;   in Loop: Header=BB158_3 Depth=1
	ds_load_b64 v[46:47], v67 offset:22784
	ds_load_b64 v[48:49], v66
	s_wait_dscnt 0x0
	v_dual_mul_f32 v0, v49, v47 :: v_dual_mul_f32 v35, v48, v47
	s_delay_alu instid0(VALU_DEP_1) | instskip(NEXT) | instid1(VALU_DEP_1)
	v_dual_fma_f32 v0, v48, v46, -v0 :: v_dual_fmac_f32 v35, v49, v46
	v_dual_sub_f32 v44, v44, v0 :: v_dual_sub_f32 v45, v45, v35
.LBB158_261:                            ;   in Loop: Header=BB158_3 Depth=1
	s_or_b32 exec_lo, exec_lo, s10
	s_barrier_signal -1
	s_barrier_wait -1
	s_and_saveexec_b32 s10, s57
; %bb.262:                              ;   in Loop: Header=BB158_3 Depth=1
	v_pk_add_f32 v[46:47], v[44:45], 0 neg_lo:[1,1] neg_hi:[1,1]
	ds_store_b64 v66, v[46:47]
; %bb.263:                              ;   in Loop: Header=BB158_3 Depth=1
	s_or_b32 exec_lo, exec_lo, s10
	s_wait_dscnt 0x0
	s_barrier_signal -1
	s_barrier_wait -1
	s_and_saveexec_b32 s10, s58
	s_cbranch_execz .LBB158_265
; %bb.264:                              ;   in Loop: Header=BB158_3 Depth=1
	ds_load_b64 v[46:47], v67 offset:22272
	ds_load_b64 v[48:49], v66
	s_wait_dscnt 0x0
	v_dual_mul_f32 v0, v49, v47 :: v_dual_mul_f32 v51, v48, v47
	s_delay_alu instid0(VALU_DEP_1) | instskip(NEXT) | instid1(VALU_DEP_1)
	v_dual_fma_f32 v50, v48, v46, -v0 :: v_dual_fmac_f32 v51, v49, v46
	v_pk_add_f32 v[44:45], v[44:45], v[50:51] neg_lo:[0,1] neg_hi:[0,1]
.LBB158_265:                            ;   in Loop: Header=BB158_3 Depth=1
	s_or_b32 exec_lo, exec_lo, s10
	s_barrier_signal -1
	s_barrier_wait -1
	s_and_saveexec_b32 s10, s59
; %bb.266:                              ;   in Loop: Header=BB158_3 Depth=1
	v_pk_add_f32 v[46:47], v[44:45], 0 neg_lo:[1,1] neg_hi:[1,1]
	ds_store_b64 v66, v[46:47]
; %bb.267:                              ;   in Loop: Header=BB158_3 Depth=1
	s_or_b32 exec_lo, exec_lo, s10
	s_wait_dscnt 0x0
	s_barrier_signal -1
	s_barrier_wait -1
	s_and_saveexec_b32 s10, s60
	s_cbranch_execz .LBB158_269
; %bb.268:                              ;   in Loop: Header=BB158_3 Depth=1
	ds_load_b64 v[46:47], v67 offset:21760
	ds_load_b64 v[48:49], v66
	s_wait_dscnt 0x0
	v_pk_mul_f32 v[50:51], v[48:49], v[46:47] op_sel:[1,1] op_sel_hi:[0,1]
	s_delay_alu instid0(VALU_DEP_1) | instskip(SKIP_1) | instid1(VALU_DEP_2)
	v_pk_fma_f32 v[100:101], v[48:49], v[46:47], v[50:51] op_sel_hi:[1,0,1]
	v_pk_fma_f32 v[46:47], v[48:49], v[46:47], v[50:51] neg_lo:[0,0,1] neg_hi:[0,0,1]
	v_mov_b32_e32 v47, v101
	s_delay_alu instid0(VALU_DEP_1)
	v_pk_add_f32 v[44:45], v[44:45], v[46:47] neg_lo:[0,1] neg_hi:[0,1]
.LBB158_269:                            ;   in Loop: Header=BB158_3 Depth=1
	s_or_b32 exec_lo, exec_lo, s10
	s_barrier_signal -1
	s_barrier_wait -1
	s_and_saveexec_b32 s10, s61
; %bb.270:                              ;   in Loop: Header=BB158_3 Depth=1
	v_pk_add_f32 v[46:47], v[44:45], 0 neg_lo:[1,1] neg_hi:[1,1]
	ds_store_b64 v66, v[46:47]
; %bb.271:                              ;   in Loop: Header=BB158_3 Depth=1
	s_or_b32 exec_lo, exec_lo, s10
	s_wait_dscnt 0x0
	s_barrier_signal -1
	s_barrier_wait -1
	s_and_saveexec_b32 s10, s20
	s_cbranch_execz .LBB158_273
; %bb.272:                              ;   in Loop: Header=BB158_3 Depth=1
	ds_load_b64 v[46:47], v67 offset:21248
	ds_load_b64 v[48:49], v66
	s_wait_dscnt 0x0
	v_pk_mul_f32 v[50:51], v[48:49], v[46:47] op_sel:[1,1] op_sel_hi:[0,1]
	s_delay_alu instid0(VALU_DEP_1) | instskip(SKIP_1) | instid1(VALU_DEP_2)
	v_pk_fma_f32 v[100:101], v[48:49], v[46:47], v[50:51] op_sel_hi:[1,0,1]
	v_pk_fma_f32 v[46:47], v[48:49], v[46:47], v[50:51] neg_lo:[0,0,1] neg_hi:[0,0,1]
	v_mov_b32_e32 v47, v101
	s_delay_alu instid0(VALU_DEP_1)
	v_pk_add_f32 v[44:45], v[44:45], v[46:47] neg_lo:[0,1] neg_hi:[0,1]
.LBB158_273:                            ;   in Loop: Header=BB158_3 Depth=1
	;; [unrolled: 26-line block ×4, first 2 shown]
	s_or_b32 exec_lo, exec_lo, s10
	s_barrier_signal -1
	s_barrier_wait -1
	s_and_saveexec_b32 s10, s31
; %bb.282:                              ;   in Loop: Header=BB158_3 Depth=1
	v_pk_add_f32 v[46:47], v[44:45], 0 neg_lo:[1,1] neg_hi:[1,1]
	ds_store_b64 v66, v[46:47]
; %bb.283:                              ;   in Loop: Header=BB158_3 Depth=1
	s_or_b32 exec_lo, exec_lo, s10
	s_wait_dscnt 0x0
	s_barrier_signal -1
	s_barrier_wait -1
	s_and_saveexec_b32 s10, s34
	s_cbranch_execz .LBB158_285
; %bb.284:                              ;   in Loop: Header=BB158_3 Depth=1
	ds_load_b64 v[46:47], v67 offset:19712
	ds_load_b64 v[48:49], v66
	s_wait_dscnt 0x0
	v_dual_mul_f32 v0, v49, v47 :: v_dual_mul_f32 v35, v48, v47
	s_delay_alu instid0(VALU_DEP_1) | instskip(NEXT) | instid1(VALU_DEP_1)
	v_dual_fma_f32 v0, v48, v46, -v0 :: v_dual_fmac_f32 v35, v49, v46
	v_dual_sub_f32 v44, v44, v0 :: v_dual_sub_f32 v45, v45, v35
.LBB158_285:                            ;   in Loop: Header=BB158_3 Depth=1
	s_or_b32 exec_lo, exec_lo, s10
	s_barrier_signal -1
	s_barrier_wait -1
	s_and_saveexec_b32 s10, s48
; %bb.286:                              ;   in Loop: Header=BB158_3 Depth=1
	v_pk_add_f32 v[46:47], v[44:45], 0 neg_lo:[1,1] neg_hi:[1,1]
	ds_store_b64 v66, v[46:47]
; %bb.287:                              ;   in Loop: Header=BB158_3 Depth=1
	s_or_b32 exec_lo, exec_lo, s10
	s_wait_dscnt 0x0
	s_barrier_signal -1
	s_barrier_wait -1
	s_and_saveexec_b32 s10, s80
	s_cbranch_execz .LBB158_289
; %bb.288:                              ;   in Loop: Header=BB158_3 Depth=1
	ds_load_b64 v[46:47], v67 offset:19200
	ds_load_b64 v[48:49], v66
	s_wait_dscnt 0x0
	v_dual_mul_f32 v0, v49, v47 :: v_dual_mul_f32 v51, v48, v47
	s_delay_alu instid0(VALU_DEP_1) | instskip(NEXT) | instid1(VALU_DEP_1)
	v_dual_fma_f32 v50, v48, v46, -v0 :: v_dual_fmac_f32 v51, v49, v46
	v_pk_add_f32 v[44:45], v[44:45], v[50:51] neg_lo:[0,1] neg_hi:[0,1]
.LBB158_289:                            ;   in Loop: Header=BB158_3 Depth=1
	s_or_b32 exec_lo, exec_lo, s10
	s_barrier_signal -1
	s_barrier_wait -1
	s_and_saveexec_b32 s10, s81
; %bb.290:                              ;   in Loop: Header=BB158_3 Depth=1
	v_pk_add_f32 v[46:47], v[44:45], 0 neg_lo:[1,1] neg_hi:[1,1]
	ds_store_b64 v66, v[46:47]
; %bb.291:                              ;   in Loop: Header=BB158_3 Depth=1
	s_or_b32 exec_lo, exec_lo, s10
	s_wait_dscnt 0x0
	s_barrier_signal -1
	s_barrier_wait -1
	s_and_saveexec_b32 s10, s74
	s_cbranch_execz .LBB158_293
; %bb.292:                              ;   in Loop: Header=BB158_3 Depth=1
	ds_load_b64 v[46:47], v67 offset:18688
	ds_load_b64 v[48:49], v66
	s_wait_dscnt 0x0
	v_pk_mul_f32 v[50:51], v[48:49], v[46:47] op_sel:[1,1] op_sel_hi:[0,1]
	s_delay_alu instid0(VALU_DEP_1) | instskip(SKIP_1) | instid1(VALU_DEP_2)
	v_pk_fma_f32 v[100:101], v[48:49], v[46:47], v[50:51] op_sel_hi:[1,0,1]
	v_pk_fma_f32 v[46:47], v[48:49], v[46:47], v[50:51] neg_lo:[0,0,1] neg_hi:[0,0,1]
	v_mov_b32_e32 v47, v101
	s_delay_alu instid0(VALU_DEP_1)
	v_pk_add_f32 v[44:45], v[44:45], v[46:47] neg_lo:[0,1] neg_hi:[0,1]
.LBB158_293:                            ;   in Loop: Header=BB158_3 Depth=1
	s_or_b32 exec_lo, exec_lo, s10
	s_barrier_signal -1
	s_barrier_wait -1
	s_and_saveexec_b32 s10, s75
; %bb.294:                              ;   in Loop: Header=BB158_3 Depth=1
	v_pk_add_f32 v[46:47], v[44:45], 0 neg_lo:[1,1] neg_hi:[1,1]
	ds_store_b64 v66, v[46:47]
; %bb.295:                              ;   in Loop: Header=BB158_3 Depth=1
	s_or_b32 exec_lo, exec_lo, s10
	s_wait_dscnt 0x0
	s_barrier_signal -1
	s_barrier_wait -1
	s_and_saveexec_b32 s10, s24
	s_cbranch_execz .LBB158_297
; %bb.296:                              ;   in Loop: Header=BB158_3 Depth=1
	ds_load_b64 v[46:47], v67 offset:18176
	ds_load_b64 v[48:49], v66
	s_wait_dscnt 0x0
	v_pk_mul_f32 v[50:51], v[48:49], v[46:47] op_sel:[1,1] op_sel_hi:[0,1]
	s_delay_alu instid0(VALU_DEP_1) | instskip(SKIP_1) | instid1(VALU_DEP_2)
	v_pk_fma_f32 v[100:101], v[48:49], v[46:47], v[50:51] op_sel_hi:[1,0,1]
	v_pk_fma_f32 v[46:47], v[48:49], v[46:47], v[50:51] neg_lo:[0,0,1] neg_hi:[0,0,1]
	v_mov_b32_e32 v47, v101
	s_delay_alu instid0(VALU_DEP_1)
	v_pk_add_f32 v[44:45], v[44:45], v[46:47] neg_lo:[0,1] neg_hi:[0,1]
.LBB158_297:                            ;   in Loop: Header=BB158_3 Depth=1
	;; [unrolled: 26-line block ×4, first 2 shown]
	s_or_b32 exec_lo, exec_lo, s10
	s_barrier_signal -1
	s_barrier_wait -1
	s_and_saveexec_b32 s10, s33
; %bb.306:                              ;   in Loop: Header=BB158_3 Depth=1
	v_pk_add_f32 v[46:47], v[44:45], 0 neg_lo:[1,1] neg_hi:[1,1]
	ds_store_b64 v66, v[46:47]
; %bb.307:                              ;   in Loop: Header=BB158_3 Depth=1
	s_or_b32 exec_lo, exec_lo, s10
	s_wait_dscnt 0x0
	s_barrier_signal -1
	s_barrier_wait -1
	s_barrier_signal -1
	s_barrier_wait -1
	s_and_saveexec_b32 s10, s7
; %bb.308:                              ;   in Loop: Header=BB158_3 Depth=1
	ds_store_b64 v70, v[44:45] offset:32512
; %bb.309:                              ;   in Loop: Header=BB158_3 Depth=1
	s_or_b32 exec_lo, exec_lo, s10
	s_wait_dscnt 0x0
	s_barrier_signal -1
	s_barrier_wait -1
	s_barrier_signal -1
	s_barrier_wait -1
	s_and_saveexec_b32 s13, s88
	s_cbranch_execz .LBB158_311
; %bb.310:                              ;   in Loop: Header=BB158_3 Depth=1
	ds_load_b64 v[44:45], v57 offset:24832
	s_wait_dscnt 0x0
	ds_store_b64 v75, v[44:45] offset:16768
	ds_load_b64 v[44:45], v57 offset:24840
	s_wait_dscnt 0x0
	ds_store_b64 v75, v[44:45] offset:17280
	;; [unrolled: 3-line block ×16, first 2 shown]
.LBB158_311:                            ;   in Loop: Header=BB158_3 Depth=1
	s_or_b32 exec_lo, exec_lo, s13
	s_wait_dscnt 0x0
	s_barrier_signal -1
	s_barrier_wait -1
	s_and_saveexec_b32 s10, s11
	s_cbranch_execz .LBB158_313
; %bb.312:                              ;   in Loop: Header=BB158_3 Depth=1
	ds_load_b64 v[44:45], v1 offset:24432
	v_add_nc_u32_e64 v0, 0x5800, 0
	ds_store_b64 v1, v[38:39] offset:24440
	s_wait_dscnt 0x1
	ds_store_2addr_b64 v0, v[38:39], v[44:45] offset0:174 offset1:175
.LBB158_313:                            ;   in Loop: Header=BB158_3 Depth=1
	s_or_b32 exec_lo, exec_lo, s10
	v_dual_mov_b32 v44, 0 :: v_dual_mov_b32 v45, 0
	s_wait_dscnt 0x0
	s_barrier_signal -1
	s_barrier_wait -1
	global_wb scope:SCOPE_DEV
	s_wait_storecnt 0x0
	global_inv scope:SCOPE_DEV
	s_and_saveexec_b32 s13, s3
	s_cbranch_execz .LBB158_317
; %bb.314:                              ;   in Loop: Header=BB158_3 Depth=1
	ds_load_b64 v[44:45], v53 offset:23904
	ds_load_b64 v[46:47], v54 offset:24432
	s_wait_dscnt 0x0
	v_pk_mul_f32 v[48:49], v[46:47], v[44:45] op_sel:[1,1] op_sel_hi:[0,1]
	s_delay_alu instid0(VALU_DEP_1) | instskip(SKIP_1) | instid1(VALU_DEP_2)
	v_pk_fma_f32 v[50:51], v[46:47], v[44:45], v[48:49] op_sel_hi:[1,0,1]
	v_pk_fma_f32 v[44:45], v[46:47], v[44:45], v[48:49] neg_lo:[0,0,1] neg_hi:[0,0,1]
	v_mov_b32_e32 v45, v51
	s_delay_alu instid0(VALU_DEP_1)
	v_pk_add_f32 v[44:45], v[44:45], 0 op_sel_hi:[1,0]
	s_and_saveexec_b32 s10, s14
	s_cbranch_execz .LBB158_316
; %bb.315:                              ;   in Loop: Header=BB158_3 Depth=1
	ds_load_b64 v[46:47], v55 offset:24416
	ds_load_b64 v[48:49], v1 offset:24440
	s_wait_dscnt 0x0
	v_pk_mul_f32 v[50:51], v[48:49], v[46:47] op_sel:[1,1] op_sel_hi:[0,1]
	s_delay_alu instid0(VALU_DEP_1) | instskip(SKIP_1) | instid1(VALU_DEP_2)
	v_pk_fma_f32 v[100:101], v[48:49], v[46:47], v[50:51] op_sel_hi:[1,0,1]
	v_pk_fma_f32 v[46:47], v[48:49], v[46:47], v[50:51] neg_lo:[0,0,1] neg_hi:[0,0,1]
	v_mov_b32_e32 v47, v101
	s_delay_alu instid0(VALU_DEP_1)
	v_pk_add_f32 v[44:45], v[44:45], v[46:47]
.LBB158_316:                            ;   in Loop: Header=BB158_3 Depth=1
	s_or_b32 exec_lo, exec_lo, s10
.LBB158_317:                            ;   in Loop: Header=BB158_3 Depth=1
	s_delay_alu instid0(SALU_CYCLE_1)
	s_or_b32 exec_lo, exec_lo, s13
	s_and_saveexec_b32 s10, s91
; %bb.318:                              ;   in Loop: Header=BB158_3 Depth=1
	s_delay_alu instid0(VALU_DEP_1)
	v_pk_add_f32 v[46:47], v[44:45], 0 neg_lo:[1,1] neg_hi:[1,1]
	ds_store_b64 v52, v[46:47]
; %bb.319:                              ;   in Loop: Header=BB158_3 Depth=1
	s_or_b32 exec_lo, exec_lo, s10
	s_wait_loadcnt_dscnt 0x0
	s_barrier_signal -1
	s_barrier_wait -1
	s_and_saveexec_b32 s10, s92
	s_cbranch_execz .LBB158_321
; %bb.320:                              ;   in Loop: Header=BB158_3 Depth=1
	ds_load_b64 v[46:47], v1 offset:23392
	ds_load_b64 v[48:49], v52
	s_wait_dscnt 0x0
	v_pk_mul_f32 v[50:51], v[48:49], v[46:47] op_sel_hi:[1,0]
	s_delay_alu instid0(VALU_DEP_1) | instskip(SKIP_1) | instid1(VALU_DEP_2)
	v_pk_fma_f32 v[100:101], v[48:49], v[46:47], v[50:51] op_sel:[1,1,0] op_sel_hi:[0,1,1]
	v_pk_fma_f32 v[46:47], v[48:49], v[46:47], v[50:51] op_sel:[1,1,0] op_sel_hi:[0,1,1] neg_lo:[0,0,1] neg_hi:[0,0,1]
	v_pk_add_f32 v[48:49], v[44:45], v[100:101] neg_lo:[0,1] neg_hi:[0,1]
	s_delay_alu instid0(VALU_DEP_2) | instskip(NEXT) | instid1(VALU_DEP_2)
	v_pk_add_f32 v[44:45], v[44:45], v[46:47]
	v_mov_b32_e32 v45, v49
.LBB158_321:                            ;   in Loop: Header=BB158_3 Depth=1
	s_or_b32 exec_lo, exec_lo, s10
	s_barrier_signal -1
	s_barrier_wait -1
	s_and_saveexec_b32 s10, s92
; %bb.322:                              ;   in Loop: Header=BB158_3 Depth=1
	v_pk_add_f32 v[46:47], v[44:45], 0 neg_lo:[1,1] neg_hi:[1,1]
	ds_store_b64 v52, v[46:47]
; %bb.323:                              ;   in Loop: Header=BB158_3 Depth=1
	s_or_b32 exec_lo, exec_lo, s10
	s_wait_dscnt 0x0
	s_barrier_signal -1
	s_barrier_wait -1
	s_barrier_signal -1
	s_barrier_wait -1
	s_and_saveexec_b32 s10, s3
; %bb.324:                              ;   in Loop: Header=BB158_3 Depth=1
	ds_store_b64 v56, v[44:45] offset:24416
; %bb.325:                              ;   in Loop: Header=BB158_3 Depth=1
	s_or_b32 exec_lo, exec_lo, s10
	s_wait_dscnt 0x0
	s_barrier_signal -1
	s_barrier_wait -1
	s_barrier_signal -1
	s_barrier_wait -1
	s_and_saveexec_b32 s10, s93
	s_cbranch_execz .LBB158_327
; %bb.326:                              ;   in Loop: Header=BB158_3 Depth=1
	ds_load_b64 v[44:45], v57 offset:23904
	s_wait_dscnt 0x0
	ds_store_b64 v55, v[44:45] offset:22896
	ds_load_b64 v[44:45], v57 offset:23912
	s_wait_dscnt 0x0
	ds_store_b64 v55, v[44:45] offset:23408
.LBB158_327:                            ;   in Loop: Header=BB158_3 Depth=1
	s_or_b32 exec_lo, exec_lo, s10
	s_wait_dscnt 0x0
	s_barrier_signal -1
	s_barrier_wait -1
	s_and_saveexec_b32 s10, s11
	s_cbranch_execz .LBB158_329
; %bb.328:                              ;   in Loop: Header=BB158_3 Depth=1
	ds_load_b64 v[44:45], v1 offset:23392
	v_add_nc_u32_e64 v0, 0x5800, 0
	ds_store_b64 v1, v[38:39] offset:23400
	s_wait_dscnt 0x1
	ds_store_2addr_b64 v0, v[38:39], v[44:45] offset0:44 offset1:45
.LBB158_329:                            ;   in Loop: Header=BB158_3 Depth=1
	s_or_b32 exec_lo, exec_lo, s10
	v_mov_b64_e32 v[44:45], 0
	s_wait_dscnt 0x0
	s_barrier_signal -1
	s_barrier_wait -1
	global_wb scope:SCOPE_DEV
	s_wait_storecnt 0x0
	global_inv scope:SCOPE_DEV
	s_and_saveexec_b32 s13, s5
	s_cbranch_execz .LBB158_335
; %bb.330:                              ;   in Loop: Header=BB158_3 Depth=1
	ds_load_b64 v[44:45], v59 offset:22848
	ds_load_b64 v[46:47], v60 offset:24416
	s_wait_dscnt 0x0
	v_dual_mul_f32 v0, v47, v45 :: v_dual_mul_f32 v35, v46, v45
	s_delay_alu instid0(VALU_DEP_1) | instskip(NEXT) | instid1(VALU_DEP_1)
	v_dual_fma_f32 v0, v46, v44, -v0 :: v_dual_fmac_f32 v35, v47, v44
	v_dual_add_f32 v44, 0, v0 :: v_dual_add_f32 v45, 0, v35
	s_and_saveexec_b32 s10, s15
	s_cbranch_execnz .LBB158_1076
; %bb.331:                              ;   in Loop: Header=BB158_3 Depth=1
	s_or_b32 exec_lo, exec_lo, s10
	s_and_saveexec_b32 s10, s16
	s_cbranch_execnz .LBB158_1077
.LBB158_332:                            ;   in Loop: Header=BB158_3 Depth=1
	s_or_b32 exec_lo, exec_lo, s10
	s_and_saveexec_b32 s10, s3
	s_cbranch_execz .LBB158_334
.LBB158_333:                            ;   in Loop: Header=BB158_3 Depth=1
	ds_load_b64 v[46:47], v75 offset:24384
	ds_load_b64 v[48:49], v1 offset:24440
	s_wait_dscnt 0x0
	v_pk_mul_f32 v[50:51], v[48:49], v[46:47] op_sel:[1,1] op_sel_hi:[0,1]
	s_delay_alu instid0(VALU_DEP_1) | instskip(SKIP_1) | instid1(VALU_DEP_2)
	v_pk_fma_f32 v[100:101], v[48:49], v[46:47], v[50:51] op_sel_hi:[1,0,1]
	v_pk_fma_f32 v[46:47], v[48:49], v[46:47], v[50:51] neg_lo:[0,0,1] neg_hi:[0,0,1]
	v_mov_b32_e32 v47, v101
	s_delay_alu instid0(VALU_DEP_1)
	v_pk_add_f32 v[44:45], v[44:45], v[46:47]
.LBB158_334:                            ;   in Loop: Header=BB158_3 Depth=1
	s_or_b32 exec_lo, exec_lo, s10
.LBB158_335:                            ;   in Loop: Header=BB158_3 Depth=1
	s_delay_alu instid0(SALU_CYCLE_1)
	s_or_b32 exec_lo, exec_lo, s13
	s_and_saveexec_b32 s10, s94
; %bb.336:                              ;   in Loop: Header=BB158_3 Depth=1
	s_delay_alu instid0(VALU_DEP_1)
	v_pk_add_f32 v[46:47], v[44:45], 0 neg_lo:[1,1] neg_hi:[1,1]
	ds_store_b64 v58, v[46:47]
; %bb.337:                              ;   in Loop: Header=BB158_3 Depth=1
	s_or_b32 exec_lo, exec_lo, s10
	s_wait_loadcnt_dscnt 0x0
	s_barrier_signal -1
	s_barrier_wait -1
	s_and_saveexec_b32 s10, s95
	s_cbranch_execz .LBB158_339
; %bb.338:                              ;   in Loop: Header=BB158_3 Depth=1
	ds_load_b64 v[46:47], v59 offset:22336
	ds_load_b64 v[48:49], v58
	s_wait_dscnt 0x0
	v_pk_mul_f32 v[50:51], v[48:49], v[46:47] op_sel:[1,1] op_sel_hi:[0,1]
	s_delay_alu instid0(VALU_DEP_1) | instskip(SKIP_1) | instid1(VALU_DEP_2)
	v_pk_fma_f32 v[100:101], v[48:49], v[46:47], v[50:51] op_sel_hi:[1,0,1]
	v_pk_fma_f32 v[46:47], v[48:49], v[46:47], v[50:51] neg_lo:[0,0,1] neg_hi:[0,0,1]
	v_mov_b32_e32 v47, v101
	s_delay_alu instid0(VALU_DEP_1)
	v_pk_add_f32 v[44:45], v[44:45], v[46:47] neg_lo:[0,1] neg_hi:[0,1]
.LBB158_339:                            ;   in Loop: Header=BB158_3 Depth=1
	s_or_b32 exec_lo, exec_lo, s10
	s_barrier_signal -1
	s_barrier_wait -1
	s_and_saveexec_b32 s10, s96
; %bb.340:                              ;   in Loop: Header=BB158_3 Depth=1
	v_pk_add_f32 v[46:47], v[44:45], 0 neg_lo:[1,1] neg_hi:[1,1]
	ds_store_b64 v58, v[46:47]
; %bb.341:                              ;   in Loop: Header=BB158_3 Depth=1
	s_or_b32 exec_lo, exec_lo, s10
	s_wait_dscnt 0x0
	s_barrier_signal -1
	s_barrier_wait -1
	s_and_saveexec_b32 s10, s97
	s_cbranch_execz .LBB158_343
; %bb.342:                              ;   in Loop: Header=BB158_3 Depth=1
	ds_load_b64 v[46:47], v59 offset:21824
	ds_load_b64 v[48:49], v58
	s_wait_dscnt 0x0
	v_pk_mul_f32 v[50:51], v[48:49], v[46:47] op_sel:[1,1] op_sel_hi:[0,1]
	s_delay_alu instid0(VALU_DEP_1) | instskip(SKIP_1) | instid1(VALU_DEP_2)
	v_pk_fma_f32 v[100:101], v[48:49], v[46:47], v[50:51] op_sel_hi:[1,0,1]
	v_pk_fma_f32 v[46:47], v[48:49], v[46:47], v[50:51] neg_lo:[0,0,1] neg_hi:[0,0,1]
	v_mov_b32_e32 v47, v101
	s_delay_alu instid0(VALU_DEP_1)
	v_pk_add_f32 v[44:45], v[44:45], v[46:47] neg_lo:[0,1] neg_hi:[0,1]
.LBB158_343:                            ;   in Loop: Header=BB158_3 Depth=1
	s_or_b32 exec_lo, exec_lo, s10
	s_barrier_signal -1
	s_barrier_wait -1
	s_and_saveexec_b32 s10, s98
; %bb.344:                              ;   in Loop: Header=BB158_3 Depth=1
	v_pk_add_f32 v[46:47], v[44:45], 0 neg_lo:[1,1] neg_hi:[1,1]
	ds_store_b64 v58, v[46:47]
; %bb.345:                              ;   in Loop: Header=BB158_3 Depth=1
	s_or_b32 exec_lo, exec_lo, s10
	s_wait_dscnt 0x0
	;; [unrolled: 26-line block ×3, first 2 shown]
	s_barrier_signal -1
	s_barrier_wait -1
	s_barrier_signal -1
	s_barrier_wait -1
	s_and_saveexec_b32 s10, s5
; %bb.350:                              ;   in Loop: Header=BB158_3 Depth=1
	ds_store_b64 v61, v[44:45] offset:24384
; %bb.351:                              ;   in Loop: Header=BB158_3 Depth=1
	s_or_b32 exec_lo, exec_lo, s10
	s_wait_dscnt 0x0
	s_barrier_signal -1
	s_barrier_wait -1
	s_barrier_signal -1
	s_barrier_wait -1
	s_and_saveexec_b32 s10, s100
	s_cbranch_execz .LBB158_353
; %bb.352:                              ;   in Loop: Header=BB158_3 Depth=1
	ds_load_b64 v[44:45], v7 offset:22848
	s_wait_dscnt 0x0
	ds_store_b64 v76, v[44:45] offset:20832
	ds_load_b64 v[44:45], v7 offset:22856
	s_wait_dscnt 0x0
	ds_store_b64 v76, v[44:45] offset:21344
	;; [unrolled: 3-line block ×4, first 2 shown]
.LBB158_353:                            ;   in Loop: Header=BB158_3 Depth=1
	s_or_b32 exec_lo, exec_lo, s10
	s_wait_dscnt 0x0
	s_barrier_signal -1
	s_barrier_wait -1
	s_and_saveexec_b32 s10, s11
	s_cbranch_execz .LBB158_355
; %bb.354:                              ;   in Loop: Header=BB158_3 Depth=1
	ds_load_b64 v[44:45], v1 offset:22352
	v_add_nc_u32_e64 v0, 0x5000, 0
	ds_store_b64 v1, v[38:39] offset:22360
	s_wait_dscnt 0x1
	ds_store_2addr_b64 v0, v[38:39], v[44:45] offset0:170 offset1:171
.LBB158_355:                            ;   in Loop: Header=BB158_3 Depth=1
	s_or_b32 exec_lo, exec_lo, s10
	v_dual_mov_b32 v44, 0 :: v_dual_mov_b32 v45, 0
	s_wait_dscnt 0x0
	s_barrier_signal -1
	s_barrier_wait -1
	global_wb scope:SCOPE_DEV
	s_wait_storecnt 0x0
	global_inv scope:SCOPE_DEV
	s_and_saveexec_b32 s13, s3
	s_cbranch_execz .LBB158_359
; %bb.356:                              ;   in Loop: Header=BB158_3 Depth=1
	ds_load_b64 v[44:45], v53 offset:21824
	ds_load_b64 v[46:47], v54 offset:22352
	s_wait_dscnt 0x0
	v_pk_mul_f32 v[48:49], v[46:47], v[44:45] op_sel:[1,1] op_sel_hi:[0,1]
	s_delay_alu instid0(VALU_DEP_1) | instskip(SKIP_1) | instid1(VALU_DEP_2)
	v_pk_fma_f32 v[50:51], v[46:47], v[44:45], v[48:49] op_sel_hi:[1,0,1]
	v_pk_fma_f32 v[44:45], v[46:47], v[44:45], v[48:49] neg_lo:[0,0,1] neg_hi:[0,0,1]
	v_mov_b32_e32 v45, v51
	s_delay_alu instid0(VALU_DEP_1)
	v_pk_add_f32 v[44:45], v[44:45], 0 op_sel_hi:[1,0]
	s_and_saveexec_b32 s10, s14
	s_cbranch_execz .LBB158_358
; %bb.357:                              ;   in Loop: Header=BB158_3 Depth=1
	ds_load_b64 v[46:47], v76 offset:22336
	ds_load_b64 v[48:49], v1 offset:22360
	s_wait_dscnt 0x0
	v_pk_mul_f32 v[50:51], v[48:49], v[46:47] op_sel:[1,1] op_sel_hi:[0,1]
	s_delay_alu instid0(VALU_DEP_1) | instskip(SKIP_1) | instid1(VALU_DEP_2)
	v_pk_fma_f32 v[100:101], v[48:49], v[46:47], v[50:51] op_sel_hi:[1,0,1]
	v_pk_fma_f32 v[46:47], v[48:49], v[46:47], v[50:51] neg_lo:[0,0,1] neg_hi:[0,0,1]
	v_mov_b32_e32 v47, v101
	s_delay_alu instid0(VALU_DEP_1)
	v_pk_add_f32 v[44:45], v[44:45], v[46:47]
.LBB158_358:                            ;   in Loop: Header=BB158_3 Depth=1
	s_or_b32 exec_lo, exec_lo, s10
.LBB158_359:                            ;   in Loop: Header=BB158_3 Depth=1
	s_delay_alu instid0(SALU_CYCLE_1)
	s_or_b32 exec_lo, exec_lo, s13
	s_and_saveexec_b32 s10, s91
; %bb.360:                              ;   in Loop: Header=BB158_3 Depth=1
	s_delay_alu instid0(VALU_DEP_1)
	v_pk_add_f32 v[46:47], v[44:45], 0 neg_lo:[1,1] neg_hi:[1,1]
	ds_store_b64 v52, v[46:47]
; %bb.361:                              ;   in Loop: Header=BB158_3 Depth=1
	s_or_b32 exec_lo, exec_lo, s10
	s_wait_loadcnt_dscnt 0x0
	s_barrier_signal -1
	s_barrier_wait -1
	s_and_saveexec_b32 s10, s92
	s_cbranch_execz .LBB158_363
; %bb.362:                              ;   in Loop: Header=BB158_3 Depth=1
	ds_load_b64 v[46:47], v1 offset:21312
	ds_load_b64 v[48:49], v52
	s_wait_dscnt 0x0
	v_pk_mul_f32 v[50:51], v[48:49], v[46:47] op_sel_hi:[1,0]
	s_delay_alu instid0(VALU_DEP_1) | instskip(SKIP_1) | instid1(VALU_DEP_2)
	v_pk_fma_f32 v[100:101], v[48:49], v[46:47], v[50:51] op_sel:[1,1,0] op_sel_hi:[0,1,1]
	v_pk_fma_f32 v[46:47], v[48:49], v[46:47], v[50:51] op_sel:[1,1,0] op_sel_hi:[0,1,1] neg_lo:[0,0,1] neg_hi:[0,0,1]
	v_pk_add_f32 v[48:49], v[44:45], v[100:101] neg_lo:[0,1] neg_hi:[0,1]
	s_delay_alu instid0(VALU_DEP_2) | instskip(NEXT) | instid1(VALU_DEP_2)
	v_pk_add_f32 v[44:45], v[44:45], v[46:47]
	v_mov_b32_e32 v45, v49
.LBB158_363:                            ;   in Loop: Header=BB158_3 Depth=1
	s_or_b32 exec_lo, exec_lo, s10
	s_barrier_signal -1
	s_barrier_wait -1
	s_and_saveexec_b32 s10, s92
; %bb.364:                              ;   in Loop: Header=BB158_3 Depth=1
	v_pk_add_f32 v[46:47], v[44:45], 0 neg_lo:[1,1] neg_hi:[1,1]
	ds_store_b64 v52, v[46:47]
; %bb.365:                              ;   in Loop: Header=BB158_3 Depth=1
	s_or_b32 exec_lo, exec_lo, s10
	s_wait_dscnt 0x0
	s_barrier_signal -1
	s_barrier_wait -1
	s_barrier_signal -1
	s_barrier_wait -1
	s_and_saveexec_b32 s10, s3
; %bb.366:                              ;   in Loop: Header=BB158_3 Depth=1
	ds_store_b64 v56, v[44:45] offset:22336
; %bb.367:                              ;   in Loop: Header=BB158_3 Depth=1
	s_or_b32 exec_lo, exec_lo, s10
	s_wait_dscnt 0x0
	s_barrier_signal -1
	s_barrier_wait -1
	s_barrier_signal -1
	s_barrier_wait -1
	s_and_saveexec_b32 s10, s93
	s_cbranch_execz .LBB158_369
; %bb.368:                              ;   in Loop: Header=BB158_3 Depth=1
	ds_load_b64 v[44:45], v77 offset:21824
	s_wait_dscnt 0x0
	ds_store_b64 v76, v[44:45] offset:20816
	ds_load_b64 v[44:45], v77 offset:21832
	s_wait_dscnt 0x0
	ds_store_b64 v76, v[44:45] offset:21328
.LBB158_369:                            ;   in Loop: Header=BB158_3 Depth=1
	s_or_b32 exec_lo, exec_lo, s10
	s_wait_dscnt 0x0
	s_barrier_signal -1
	s_barrier_wait -1
	s_and_saveexec_b32 s10, s11
	s_cbranch_execz .LBB158_371
; %bb.370:                              ;   in Loop: Header=BB158_3 Depth=1
	ds_load_b64 v[44:45], v1 offset:21312
	v_add_nc_u32_e64 v0, 0x5000, 0
	ds_store_b64 v1, v[38:39] offset:21320
	s_wait_dscnt 0x1
	ds_store_2addr_b64 v0, v[38:39], v[44:45] offset0:40 offset1:41
.LBB158_371:                            ;   in Loop: Header=BB158_3 Depth=1
	s_or_b32 exec_lo, exec_lo, s10
	v_mov_b64_e32 v[44:45], 0
	s_wait_dscnt 0x0
	s_barrier_signal -1
	s_barrier_wait -1
	global_wb scope:SCOPE_DEV
	s_wait_storecnt 0x0
	global_inv scope:SCOPE_DEV
	s_and_saveexec_b32 s13, s6
	s_cbranch_execz .LBB158_381
; %bb.372:                              ;   in Loop: Header=BB158_3 Depth=1
	ds_load_b64 v[44:45], v63 offset:20736
	ds_load_b64 v[46:47], v64 offset:24384
	s_wait_dscnt 0x0
	v_dual_mul_f32 v0, v47, v45 :: v_dual_mul_f32 v35, v46, v45
	s_delay_alu instid0(VALU_DEP_1) | instskip(NEXT) | instid1(VALU_DEP_1)
	v_dual_fma_f32 v0, v46, v44, -v0 :: v_dual_fmac_f32 v35, v47, v44
	v_dual_add_f32 v44, 0, v0 :: v_dual_add_f32 v45, 0, v35
	s_and_saveexec_b32 s10, s17
	s_cbranch_execnz .LBB158_1078
; %bb.373:                              ;   in Loop: Header=BB158_3 Depth=1
	s_or_b32 exec_lo, exec_lo, s10
	s_and_saveexec_b32 s10, s18
	s_cbranch_execnz .LBB158_1079
.LBB158_374:                            ;   in Loop: Header=BB158_3 Depth=1
	s_or_b32 exec_lo, exec_lo, s10
	s_and_saveexec_b32 s10, s19
	s_cbranch_execnz .LBB158_1080
.LBB158_375:                            ;   in Loop: Header=BB158_3 Depth=1
	s_or_b32 exec_lo, exec_lo, s10
	s_and_saveexec_b32 s10, s21
	s_cbranch_execnz .LBB158_1081
.LBB158_376:                            ;   in Loop: Header=BB158_3 Depth=1
	s_or_b32 exec_lo, exec_lo, s10
	s_and_saveexec_b32 s10, s22
	s_cbranch_execnz .LBB158_1082
.LBB158_377:                            ;   in Loop: Header=BB158_3 Depth=1
	s_or_b32 exec_lo, exec_lo, s10
	s_and_saveexec_b32 s10, s5
	s_cbranch_execnz .LBB158_1083
.LBB158_378:                            ;   in Loop: Header=BB158_3 Depth=1
	s_or_b32 exec_lo, exec_lo, s10
	s_and_saveexec_b32 s10, s16
	s_cbranch_execz .LBB158_380
.LBB158_379:                            ;   in Loop: Header=BB158_3 Depth=1
	ds_load_b64 v[46:47], v78 offset:24320
	ds_load_b64 v[48:49], v1 offset:24440
	s_wait_dscnt 0x0
	v_pk_mul_f32 v[50:51], v[48:49], v[46:47] op_sel:[1,1] op_sel_hi:[0,1]
	s_delay_alu instid0(VALU_DEP_1) | instskip(SKIP_1) | instid1(VALU_DEP_2)
	v_pk_fma_f32 v[100:101], v[48:49], v[46:47], v[50:51] op_sel_hi:[1,0,1]
	v_pk_fma_f32 v[46:47], v[48:49], v[46:47], v[50:51] neg_lo:[0,0,1] neg_hi:[0,0,1]
	v_mov_b32_e32 v47, v101
	s_delay_alu instid0(VALU_DEP_1)
	v_pk_add_f32 v[44:45], v[44:45], v[46:47]
.LBB158_380:                            ;   in Loop: Header=BB158_3 Depth=1
	s_or_b32 exec_lo, exec_lo, s10
.LBB158_381:                            ;   in Loop: Header=BB158_3 Depth=1
	s_delay_alu instid0(SALU_CYCLE_1)
	s_or_b32 exec_lo, exec_lo, s13
	s_and_saveexec_b32 s10, s101
; %bb.382:                              ;   in Loop: Header=BB158_3 Depth=1
	s_delay_alu instid0(VALU_DEP_1)
	v_pk_add_f32 v[46:47], v[44:45], 0 neg_lo:[1,1] neg_hi:[1,1]
	ds_store_b64 v62, v[46:47]
; %bb.383:                              ;   in Loop: Header=BB158_3 Depth=1
	s_or_b32 exec_lo, exec_lo, s10
	s_wait_loadcnt_dscnt 0x0
	s_barrier_signal -1
	s_barrier_wait -1
	s_and_saveexec_b32 s10, s102
	s_cbranch_execz .LBB158_385
; %bb.384:                              ;   in Loop: Header=BB158_3 Depth=1
	ds_load_b64 v[46:47], v63 offset:20224
	ds_load_b64 v[48:49], v62
	s_wait_dscnt 0x0
	v_pk_mul_f32 v[50:51], v[48:49], v[46:47] op_sel:[1,1] op_sel_hi:[0,1]
	s_delay_alu instid0(VALU_DEP_1) | instskip(SKIP_1) | instid1(VALU_DEP_2)
	v_pk_fma_f32 v[100:101], v[48:49], v[46:47], v[50:51] op_sel_hi:[1,0,1]
	v_pk_fma_f32 v[46:47], v[48:49], v[46:47], v[50:51] neg_lo:[0,0,1] neg_hi:[0,0,1]
	v_mov_b32_e32 v47, v101
	s_delay_alu instid0(VALU_DEP_1)
	v_pk_add_f32 v[44:45], v[44:45], v[46:47] neg_lo:[0,1] neg_hi:[0,1]
.LBB158_385:                            ;   in Loop: Header=BB158_3 Depth=1
	s_or_b32 exec_lo, exec_lo, s10
	s_barrier_signal -1
	s_barrier_wait -1
	s_and_saveexec_b32 s10, s103
; %bb.386:                              ;   in Loop: Header=BB158_3 Depth=1
	v_pk_add_f32 v[46:47], v[44:45], 0 neg_lo:[1,1] neg_hi:[1,1]
	ds_store_b64 v62, v[46:47]
; %bb.387:                              ;   in Loop: Header=BB158_3 Depth=1
	s_or_b32 exec_lo, exec_lo, s10
	s_wait_dscnt 0x0
	s_barrier_signal -1
	s_barrier_wait -1
	s_and_saveexec_b32 s10, s104
	s_cbranch_execz .LBB158_389
; %bb.388:                              ;   in Loop: Header=BB158_3 Depth=1
	ds_load_b64 v[46:47], v63 offset:19712
	ds_load_b64 v[48:49], v62
	s_wait_dscnt 0x0
	v_dual_mul_f32 v0, v49, v47 :: v_dual_mul_f32 v35, v48, v47
	s_delay_alu instid0(VALU_DEP_1) | instskip(NEXT) | instid1(VALU_DEP_1)
	v_dual_fma_f32 v0, v48, v46, -v0 :: v_dual_fmac_f32 v35, v49, v46
	v_dual_sub_f32 v44, v44, v0 :: v_dual_sub_f32 v45, v45, v35
.LBB158_389:                            ;   in Loop: Header=BB158_3 Depth=1
	s_or_b32 exec_lo, exec_lo, s10
	s_barrier_signal -1
	s_barrier_wait -1
	s_and_saveexec_b32 s10, vcc_hi
; %bb.390:                              ;   in Loop: Header=BB158_3 Depth=1
	v_pk_add_f32 v[46:47], v[44:45], 0 neg_lo:[1,1] neg_hi:[1,1]
	ds_store_b64 v62, v[46:47]
; %bb.391:                              ;   in Loop: Header=BB158_3 Depth=1
	s_or_b32 exec_lo, exec_lo, s10
	s_wait_dscnt 0x0
	s_barrier_signal -1
	s_barrier_wait -1
	s_and_saveexec_b32 s10, s38
	s_cbranch_execz .LBB158_393
; %bb.392:                              ;   in Loop: Header=BB158_3 Depth=1
	ds_load_b64 v[46:47], v63 offset:19200
	ds_load_b64 v[48:49], v62
	s_wait_dscnt 0x0
	v_dual_mul_f32 v0, v49, v47 :: v_dual_mul_f32 v51, v48, v47
	s_delay_alu instid0(VALU_DEP_1) | instskip(NEXT) | instid1(VALU_DEP_1)
	v_dual_fma_f32 v50, v48, v46, -v0 :: v_dual_fmac_f32 v51, v49, v46
	v_pk_add_f32 v[44:45], v[44:45], v[50:51] neg_lo:[0,1] neg_hi:[0,1]
.LBB158_393:                            ;   in Loop: Header=BB158_3 Depth=1
	s_or_b32 exec_lo, exec_lo, s10
	s_barrier_signal -1
	s_barrier_wait -1
	s_and_saveexec_b32 s10, s39
; %bb.394:                              ;   in Loop: Header=BB158_3 Depth=1
	v_pk_add_f32 v[46:47], v[44:45], 0 neg_lo:[1,1] neg_hi:[1,1]
	ds_store_b64 v62, v[46:47]
; %bb.395:                              ;   in Loop: Header=BB158_3 Depth=1
	s_or_b32 exec_lo, exec_lo, s10
	s_wait_dscnt 0x0
	s_barrier_signal -1
	s_barrier_wait -1
	s_and_saveexec_b32 s10, s40
	s_cbranch_execz .LBB158_397
; %bb.396:                              ;   in Loop: Header=BB158_3 Depth=1
	ds_load_b64 v[46:47], v63 offset:18688
	ds_load_b64 v[48:49], v62
	s_wait_dscnt 0x0
	v_pk_mul_f32 v[50:51], v[48:49], v[46:47] op_sel:[1,1] op_sel_hi:[0,1]
	s_delay_alu instid0(VALU_DEP_1) | instskip(SKIP_1) | instid1(VALU_DEP_2)
	v_pk_fma_f32 v[100:101], v[48:49], v[46:47], v[50:51] op_sel_hi:[1,0,1]
	v_pk_fma_f32 v[46:47], v[48:49], v[46:47], v[50:51] neg_lo:[0,0,1] neg_hi:[0,0,1]
	v_mov_b32_e32 v47, v101
	s_delay_alu instid0(VALU_DEP_1)
	v_pk_add_f32 v[44:45], v[44:45], v[46:47] neg_lo:[0,1] neg_hi:[0,1]
.LBB158_397:                            ;   in Loop: Header=BB158_3 Depth=1
	s_or_b32 exec_lo, exec_lo, s10
	s_barrier_signal -1
	s_barrier_wait -1
	s_and_saveexec_b32 s10, s41
; %bb.398:                              ;   in Loop: Header=BB158_3 Depth=1
	v_pk_add_f32 v[46:47], v[44:45], 0 neg_lo:[1,1] neg_hi:[1,1]
	ds_store_b64 v62, v[46:47]
; %bb.399:                              ;   in Loop: Header=BB158_3 Depth=1
	s_or_b32 exec_lo, exec_lo, s10
	s_wait_dscnt 0x0
	s_barrier_signal -1
	s_barrier_wait -1
	s_and_saveexec_b32 s10, s42
	s_cbranch_execz .LBB158_401
; %bb.400:                              ;   in Loop: Header=BB158_3 Depth=1
	ds_load_b64 v[46:47], v63 offset:18176
	ds_load_b64 v[48:49], v62
	s_wait_dscnt 0x0
	v_pk_mul_f32 v[50:51], v[48:49], v[46:47] op_sel:[1,1] op_sel_hi:[0,1]
	s_delay_alu instid0(VALU_DEP_1) | instskip(SKIP_1) | instid1(VALU_DEP_2)
	v_pk_fma_f32 v[100:101], v[48:49], v[46:47], v[50:51] op_sel_hi:[1,0,1]
	v_pk_fma_f32 v[46:47], v[48:49], v[46:47], v[50:51] neg_lo:[0,0,1] neg_hi:[0,0,1]
	v_mov_b32_e32 v47, v101
	s_delay_alu instid0(VALU_DEP_1)
	v_pk_add_f32 v[44:45], v[44:45], v[46:47] neg_lo:[0,1] neg_hi:[0,1]
.LBB158_401:                            ;   in Loop: Header=BB158_3 Depth=1
	;; [unrolled: 26-line block ×4, first 2 shown]
	s_or_b32 exec_lo, exec_lo, s10
	s_barrier_signal -1
	s_barrier_wait -1
	s_and_saveexec_b32 s10, s46
; %bb.410:                              ;   in Loop: Header=BB158_3 Depth=1
	v_pk_add_f32 v[46:47], v[44:45], 0 neg_lo:[1,1] neg_hi:[1,1]
	ds_store_b64 v62, v[46:47]
; %bb.411:                              ;   in Loop: Header=BB158_3 Depth=1
	s_or_b32 exec_lo, exec_lo, s10
	s_wait_dscnt 0x0
	s_barrier_signal -1
	s_barrier_wait -1
	s_barrier_signal -1
	s_barrier_wait -1
	s_and_saveexec_b32 s10, s6
; %bb.412:                              ;   in Loop: Header=BB158_3 Depth=1
	ds_store_b64 v65, v[44:45] offset:24320
; %bb.413:                              ;   in Loop: Header=BB158_3 Depth=1
	s_or_b32 exec_lo, exec_lo, s10
	s_wait_dscnt 0x0
	s_barrier_signal -1
	s_barrier_wait -1
	s_barrier_signal -1
	s_barrier_wait -1
	s_and_saveexec_b32 s10, s47
	s_cbranch_execz .LBB158_415
; %bb.414:                              ;   in Loop: Header=BB158_3 Depth=1
	ds_load_b64 v[44:45], v79 offset:20736
	s_wait_dscnt 0x0
	ds_store_b64 v80, v[44:45] offset:16704
	ds_load_b64 v[44:45], v79 offset:20744
	s_wait_dscnt 0x0
	ds_store_b64 v80, v[44:45] offset:17216
	;; [unrolled: 3-line block ×8, first 2 shown]
.LBB158_415:                            ;   in Loop: Header=BB158_3 Depth=1
	s_or_b32 exec_lo, exec_lo, s10
	s_wait_dscnt 0x0
	s_barrier_signal -1
	s_barrier_wait -1
	s_and_saveexec_b32 s10, s11
	s_cbranch_execz .LBB158_417
; %bb.416:                              ;   in Loop: Header=BB158_3 Depth=1
	ds_load_b64 v[44:45], v1 offset:20272
	v_add_nc_u32_e64 v0, 0x4800, 0
	ds_store_b64 v1, v[38:39] offset:20280
	s_wait_dscnt 0x1
	ds_store_2addr_b64 v0, v[38:39], v[44:45] offset0:166 offset1:167
.LBB158_417:                            ;   in Loop: Header=BB158_3 Depth=1
	s_or_b32 exec_lo, exec_lo, s10
	v_dual_mov_b32 v44, 0 :: v_dual_mov_b32 v45, 0
	s_wait_dscnt 0x0
	s_barrier_signal -1
	s_barrier_wait -1
	global_wb scope:SCOPE_DEV
	s_wait_storecnt 0x0
	global_inv scope:SCOPE_DEV
	s_and_saveexec_b32 s13, s3
	s_cbranch_execz .LBB158_421
; %bb.418:                              ;   in Loop: Header=BB158_3 Depth=1
	ds_load_b64 v[44:45], v53 offset:19744
	ds_load_b64 v[46:47], v54 offset:20272
	s_wait_dscnt 0x0
	v_pk_mul_f32 v[48:49], v[46:47], v[44:45] op_sel:[1,1] op_sel_hi:[0,1]
	s_delay_alu instid0(VALU_DEP_1) | instskip(SKIP_1) | instid1(VALU_DEP_2)
	v_pk_fma_f32 v[50:51], v[46:47], v[44:45], v[48:49] op_sel_hi:[1,0,1]
	v_pk_fma_f32 v[44:45], v[46:47], v[44:45], v[48:49] neg_lo:[0,0,1] neg_hi:[0,0,1]
	v_mov_b32_e32 v45, v51
	s_delay_alu instid0(VALU_DEP_1)
	v_pk_add_f32 v[44:45], v[44:45], 0 op_sel_hi:[1,0]
	s_and_saveexec_b32 s10, s14
	s_cbranch_execz .LBB158_420
; %bb.419:                              ;   in Loop: Header=BB158_3 Depth=1
	ds_load_b64 v[46:47], v80 offset:20256
	ds_load_b64 v[48:49], v1 offset:20280
	s_wait_dscnt 0x0
	v_pk_mul_f32 v[50:51], v[48:49], v[46:47] op_sel:[1,1] op_sel_hi:[0,1]
	s_delay_alu instid0(VALU_DEP_1) | instskip(SKIP_1) | instid1(VALU_DEP_2)
	v_pk_fma_f32 v[100:101], v[48:49], v[46:47], v[50:51] op_sel_hi:[1,0,1]
	v_pk_fma_f32 v[46:47], v[48:49], v[46:47], v[50:51] neg_lo:[0,0,1] neg_hi:[0,0,1]
	v_mov_b32_e32 v47, v101
	s_delay_alu instid0(VALU_DEP_1)
	v_pk_add_f32 v[44:45], v[44:45], v[46:47]
.LBB158_420:                            ;   in Loop: Header=BB158_3 Depth=1
	s_or_b32 exec_lo, exec_lo, s10
.LBB158_421:                            ;   in Loop: Header=BB158_3 Depth=1
	s_delay_alu instid0(SALU_CYCLE_1)
	s_or_b32 exec_lo, exec_lo, s13
	s_and_saveexec_b32 s10, s91
; %bb.422:                              ;   in Loop: Header=BB158_3 Depth=1
	s_delay_alu instid0(VALU_DEP_1)
	v_pk_add_f32 v[46:47], v[44:45], 0 neg_lo:[1,1] neg_hi:[1,1]
	ds_store_b64 v52, v[46:47]
; %bb.423:                              ;   in Loop: Header=BB158_3 Depth=1
	s_or_b32 exec_lo, exec_lo, s10
	s_wait_loadcnt_dscnt 0x0
	s_barrier_signal -1
	s_barrier_wait -1
	s_and_saveexec_b32 s10, s92
	s_cbranch_execz .LBB158_425
; %bb.424:                              ;   in Loop: Header=BB158_3 Depth=1
	ds_load_b64 v[46:47], v1 offset:19232
	ds_load_b64 v[48:49], v52
	s_wait_dscnt 0x0
	v_pk_mul_f32 v[50:51], v[48:49], v[46:47] op_sel_hi:[1,0]
	s_delay_alu instid0(VALU_DEP_1) | instskip(SKIP_1) | instid1(VALU_DEP_2)
	v_pk_fma_f32 v[100:101], v[48:49], v[46:47], v[50:51] op_sel:[1,1,0] op_sel_hi:[0,1,1]
	v_pk_fma_f32 v[46:47], v[48:49], v[46:47], v[50:51] op_sel:[1,1,0] op_sel_hi:[0,1,1] neg_lo:[0,0,1] neg_hi:[0,0,1]
	v_pk_add_f32 v[48:49], v[44:45], v[100:101] neg_lo:[0,1] neg_hi:[0,1]
	s_delay_alu instid0(VALU_DEP_2) | instskip(NEXT) | instid1(VALU_DEP_2)
	v_pk_add_f32 v[44:45], v[44:45], v[46:47]
	v_mov_b32_e32 v45, v49
.LBB158_425:                            ;   in Loop: Header=BB158_3 Depth=1
	s_or_b32 exec_lo, exec_lo, s10
	s_barrier_signal -1
	s_barrier_wait -1
	s_and_saveexec_b32 s10, s92
; %bb.426:                              ;   in Loop: Header=BB158_3 Depth=1
	v_pk_add_f32 v[46:47], v[44:45], 0 neg_lo:[1,1] neg_hi:[1,1]
	ds_store_b64 v52, v[46:47]
; %bb.427:                              ;   in Loop: Header=BB158_3 Depth=1
	s_or_b32 exec_lo, exec_lo, s10
	s_wait_dscnt 0x0
	s_barrier_signal -1
	s_barrier_wait -1
	s_barrier_signal -1
	s_barrier_wait -1
	s_and_saveexec_b32 s10, s3
; %bb.428:                              ;   in Loop: Header=BB158_3 Depth=1
	ds_store_b64 v56, v[44:45] offset:20256
; %bb.429:                              ;   in Loop: Header=BB158_3 Depth=1
	s_or_b32 exec_lo, exec_lo, s10
	s_wait_dscnt 0x0
	s_barrier_signal -1
	s_barrier_wait -1
	s_barrier_signal -1
	s_barrier_wait -1
	s_and_saveexec_b32 s10, s93
	s_cbranch_execz .LBB158_431
; %bb.430:                              ;   in Loop: Header=BB158_3 Depth=1
	ds_load_b64 v[44:45], v3 offset:19744
	s_wait_dscnt 0x0
	ds_store_b64 v80, v[44:45] offset:18736
	ds_load_b64 v[44:45], v3 offset:19752
	s_wait_dscnt 0x0
	ds_store_b64 v80, v[44:45] offset:19248
.LBB158_431:                            ;   in Loop: Header=BB158_3 Depth=1
	s_or_b32 exec_lo, exec_lo, s10
	s_wait_dscnt 0x0
	s_barrier_signal -1
	s_barrier_wait -1
	s_and_saveexec_b32 s10, s11
	s_cbranch_execz .LBB158_433
; %bb.432:                              ;   in Loop: Header=BB158_3 Depth=1
	ds_load_b64 v[44:45], v1 offset:19232
	v_add_nc_u32_e64 v0, 0x4800, 0
	ds_store_b64 v1, v[38:39] offset:19240
	s_wait_dscnt 0x1
	ds_store_2addr_b64 v0, v[38:39], v[44:45] offset0:36 offset1:37
.LBB158_433:                            ;   in Loop: Header=BB158_3 Depth=1
	s_or_b32 exec_lo, exec_lo, s10
	v_mov_b64_e32 v[44:45], 0
	s_wait_dscnt 0x0
	s_barrier_signal -1
	s_barrier_wait -1
	global_wb scope:SCOPE_DEV
	s_wait_storecnt 0x0
	global_inv scope:SCOPE_DEV
	s_and_saveexec_b32 s13, s5
	s_cbranch_execz .LBB158_439
; %bb.434:                              ;   in Loop: Header=BB158_3 Depth=1
	ds_load_b64 v[44:45], v59 offset:18688
	ds_load_b64 v[46:47], v60 offset:20256
	s_wait_dscnt 0x0
	v_dual_mul_f32 v0, v47, v45 :: v_dual_mul_f32 v35, v46, v45
	s_delay_alu instid0(VALU_DEP_1) | instskip(NEXT) | instid1(VALU_DEP_1)
	v_dual_fma_f32 v0, v46, v44, -v0 :: v_dual_fmac_f32 v35, v47, v44
	v_dual_add_f32 v44, 0, v0 :: v_dual_add_f32 v45, 0, v35
	s_and_saveexec_b32 s10, s15
	s_cbranch_execnz .LBB158_1084
; %bb.435:                              ;   in Loop: Header=BB158_3 Depth=1
	s_or_b32 exec_lo, exec_lo, s10
	s_and_saveexec_b32 s10, s16
	s_cbranch_execnz .LBB158_1085
.LBB158_436:                            ;   in Loop: Header=BB158_3 Depth=1
	s_or_b32 exec_lo, exec_lo, s10
	s_and_saveexec_b32 s10, s3
	s_cbranch_execz .LBB158_438
.LBB158_437:                            ;   in Loop: Header=BB158_3 Depth=1
	ds_load_b64 v[46:47], v81 offset:20224
	ds_load_b64 v[48:49], v1 offset:20280
	s_wait_dscnt 0x0
	v_pk_mul_f32 v[50:51], v[48:49], v[46:47] op_sel:[1,1] op_sel_hi:[0,1]
	s_delay_alu instid0(VALU_DEP_1) | instskip(SKIP_1) | instid1(VALU_DEP_2)
	v_pk_fma_f32 v[100:101], v[48:49], v[46:47], v[50:51] op_sel_hi:[1,0,1]
	v_pk_fma_f32 v[46:47], v[48:49], v[46:47], v[50:51] neg_lo:[0,0,1] neg_hi:[0,0,1]
	v_mov_b32_e32 v47, v101
	s_delay_alu instid0(VALU_DEP_1)
	v_pk_add_f32 v[44:45], v[44:45], v[46:47]
.LBB158_438:                            ;   in Loop: Header=BB158_3 Depth=1
	s_or_b32 exec_lo, exec_lo, s10
.LBB158_439:                            ;   in Loop: Header=BB158_3 Depth=1
	s_delay_alu instid0(SALU_CYCLE_1)
	s_or_b32 exec_lo, exec_lo, s13
	s_and_saveexec_b32 s10, s94
; %bb.440:                              ;   in Loop: Header=BB158_3 Depth=1
	s_delay_alu instid0(VALU_DEP_1)
	v_pk_add_f32 v[46:47], v[44:45], 0 neg_lo:[1,1] neg_hi:[1,1]
	ds_store_b64 v58, v[46:47]
; %bb.441:                              ;   in Loop: Header=BB158_3 Depth=1
	s_or_b32 exec_lo, exec_lo, s10
	s_wait_loadcnt_dscnt 0x0
	s_barrier_signal -1
	s_barrier_wait -1
	s_and_saveexec_b32 s10, s95
	s_cbranch_execz .LBB158_443
; %bb.442:                              ;   in Loop: Header=BB158_3 Depth=1
	ds_load_b64 v[46:47], v59 offset:18176
	ds_load_b64 v[48:49], v58
	s_wait_dscnt 0x0
	v_pk_mul_f32 v[50:51], v[48:49], v[46:47] op_sel:[1,1] op_sel_hi:[0,1]
	s_delay_alu instid0(VALU_DEP_1) | instskip(SKIP_1) | instid1(VALU_DEP_2)
	v_pk_fma_f32 v[100:101], v[48:49], v[46:47], v[50:51] op_sel_hi:[1,0,1]
	v_pk_fma_f32 v[46:47], v[48:49], v[46:47], v[50:51] neg_lo:[0,0,1] neg_hi:[0,0,1]
	v_mov_b32_e32 v47, v101
	s_delay_alu instid0(VALU_DEP_1)
	v_pk_add_f32 v[44:45], v[44:45], v[46:47] neg_lo:[0,1] neg_hi:[0,1]
.LBB158_443:                            ;   in Loop: Header=BB158_3 Depth=1
	s_or_b32 exec_lo, exec_lo, s10
	s_barrier_signal -1
	s_barrier_wait -1
	s_and_saveexec_b32 s10, s96
; %bb.444:                              ;   in Loop: Header=BB158_3 Depth=1
	v_pk_add_f32 v[46:47], v[44:45], 0 neg_lo:[1,1] neg_hi:[1,1]
	ds_store_b64 v58, v[46:47]
; %bb.445:                              ;   in Loop: Header=BB158_3 Depth=1
	s_or_b32 exec_lo, exec_lo, s10
	s_wait_dscnt 0x0
	s_barrier_signal -1
	s_barrier_wait -1
	s_and_saveexec_b32 s10, s97
	s_cbranch_execz .LBB158_447
; %bb.446:                              ;   in Loop: Header=BB158_3 Depth=1
	ds_load_b64 v[46:47], v59 offset:17664
	ds_load_b64 v[48:49], v58
	s_wait_dscnt 0x0
	v_pk_mul_f32 v[50:51], v[48:49], v[46:47] op_sel:[1,1] op_sel_hi:[0,1]
	s_delay_alu instid0(VALU_DEP_1) | instskip(SKIP_1) | instid1(VALU_DEP_2)
	v_pk_fma_f32 v[100:101], v[48:49], v[46:47], v[50:51] op_sel_hi:[1,0,1]
	v_pk_fma_f32 v[46:47], v[48:49], v[46:47], v[50:51] neg_lo:[0,0,1] neg_hi:[0,0,1]
	v_mov_b32_e32 v47, v101
	s_delay_alu instid0(VALU_DEP_1)
	v_pk_add_f32 v[44:45], v[44:45], v[46:47] neg_lo:[0,1] neg_hi:[0,1]
.LBB158_447:                            ;   in Loop: Header=BB158_3 Depth=1
	s_or_b32 exec_lo, exec_lo, s10
	s_barrier_signal -1
	s_barrier_wait -1
	s_and_saveexec_b32 s10, s98
; %bb.448:                              ;   in Loop: Header=BB158_3 Depth=1
	v_pk_add_f32 v[46:47], v[44:45], 0 neg_lo:[1,1] neg_hi:[1,1]
	ds_store_b64 v58, v[46:47]
; %bb.449:                              ;   in Loop: Header=BB158_3 Depth=1
	s_or_b32 exec_lo, exec_lo, s10
	s_wait_dscnt 0x0
	s_barrier_signal -1
	s_barrier_wait -1
	s_and_saveexec_b32 s10, s99
	s_cbranch_execz .LBB158_451
; %bb.450:                              ;   in Loop: Header=BB158_3 Depth=1
	ds_load_b64 v[46:47], v1 offset:17152
	ds_load_b64 v[48:49], v58
	s_wait_dscnt 0x0
	v_pk_mul_f32 v[50:51], v[48:49], v[46:47] op_sel:[1,1] op_sel_hi:[0,1]
	s_delay_alu instid0(VALU_DEP_1) | instskip(SKIP_1) | instid1(VALU_DEP_2)
	v_pk_fma_f32 v[100:101], v[48:49], v[46:47], v[50:51] op_sel_hi:[1,0,1]
	v_pk_fma_f32 v[46:47], v[48:49], v[46:47], v[50:51] neg_lo:[0,0,1] neg_hi:[0,0,1]
	v_mov_b32_e32 v47, v101
	s_delay_alu instid0(VALU_DEP_1)
	v_pk_add_f32 v[44:45], v[44:45], v[46:47] neg_lo:[0,1] neg_hi:[0,1]
.LBB158_451:                            ;   in Loop: Header=BB158_3 Depth=1
	s_or_b32 exec_lo, exec_lo, s10
	s_barrier_signal -1
	s_barrier_wait -1
	s_and_saveexec_b32 s10, s99
; %bb.452:                              ;   in Loop: Header=BB158_3 Depth=1
	v_pk_add_f32 v[46:47], v[44:45], 0 neg_lo:[1,1] neg_hi:[1,1]
	ds_store_b64 v58, v[46:47]
; %bb.453:                              ;   in Loop: Header=BB158_3 Depth=1
	s_or_b32 exec_lo, exec_lo, s10
	s_wait_dscnt 0x0
	s_barrier_signal -1
	s_barrier_wait -1
	s_barrier_signal -1
	s_barrier_wait -1
	s_and_saveexec_b32 s10, s5
; %bb.454:                              ;   in Loop: Header=BB158_3 Depth=1
	ds_store_b64 v61, v[44:45] offset:20224
; %bb.455:                              ;   in Loop: Header=BB158_3 Depth=1
	s_or_b32 exec_lo, exec_lo, s10
	s_wait_dscnt 0x0
	s_barrier_signal -1
	s_barrier_wait -1
	s_barrier_signal -1
	s_barrier_wait -1
	s_and_saveexec_b32 s10, s100
	s_cbranch_execz .LBB158_457
; %bb.456:                              ;   in Loop: Header=BB158_3 Depth=1
	ds_load_b64 v[44:45], v84 offset:18688
	s_wait_dscnt 0x0
	ds_store_b64 v86, v[44:45] offset:16672
	ds_load_b64 v[44:45], v84 offset:18696
	s_wait_dscnt 0x0
	ds_store_b64 v86, v[44:45] offset:17184
	;; [unrolled: 3-line block ×4, first 2 shown]
.LBB158_457:                            ;   in Loop: Header=BB158_3 Depth=1
	s_or_b32 exec_lo, exec_lo, s10
	s_wait_dscnt 0x0
	s_barrier_signal -1
	s_barrier_wait -1
	s_and_saveexec_b32 s10, s11
	s_cbranch_execz .LBB158_459
; %bb.458:                              ;   in Loop: Header=BB158_3 Depth=1
	ds_load_b64 v[44:45], v1 offset:18192
	v_add_nc_u32_e64 v0, 0x4000, 0
	ds_store_b64 v1, v[38:39] offset:18200
	s_wait_dscnt 0x1
	ds_store_2addr_b64 v0, v[38:39], v[44:45] offset0:162 offset1:163
.LBB158_459:                            ;   in Loop: Header=BB158_3 Depth=1
	s_or_b32 exec_lo, exec_lo, s10
	v_dual_mov_b32 v44, 0 :: v_dual_mov_b32 v45, 0
	s_wait_dscnt 0x0
	s_barrier_signal -1
	s_barrier_wait -1
	global_wb scope:SCOPE_DEV
	s_wait_storecnt 0x0
	global_inv scope:SCOPE_DEV
	s_and_saveexec_b32 s13, s3
	s_cbranch_execz .LBB158_463
; %bb.460:                              ;   in Loop: Header=BB158_3 Depth=1
	ds_load_b64 v[44:45], v53 offset:17664
	ds_load_b64 v[46:47], v54 offset:18192
	s_wait_dscnt 0x0
	v_pk_mul_f32 v[48:49], v[46:47], v[44:45] op_sel:[1,1] op_sel_hi:[0,1]
	s_delay_alu instid0(VALU_DEP_1) | instskip(SKIP_1) | instid1(VALU_DEP_2)
	v_pk_fma_f32 v[50:51], v[46:47], v[44:45], v[48:49] op_sel_hi:[1,0,1]
	v_pk_fma_f32 v[44:45], v[46:47], v[44:45], v[48:49] neg_lo:[0,0,1] neg_hi:[0,0,1]
	v_mov_b32_e32 v45, v51
	s_delay_alu instid0(VALU_DEP_1)
	v_pk_add_f32 v[44:45], v[44:45], 0 op_sel_hi:[1,0]
	s_and_saveexec_b32 s10, s14
	s_cbranch_execz .LBB158_462
; %bb.461:                              ;   in Loop: Header=BB158_3 Depth=1
	ds_load_b64 v[46:47], v86 offset:18176
	ds_load_b64 v[48:49], v1 offset:18200
	s_wait_dscnt 0x0
	v_pk_mul_f32 v[50:51], v[48:49], v[46:47] op_sel:[1,1] op_sel_hi:[0,1]
	s_delay_alu instid0(VALU_DEP_1) | instskip(SKIP_1) | instid1(VALU_DEP_2)
	v_pk_fma_f32 v[100:101], v[48:49], v[46:47], v[50:51] op_sel_hi:[1,0,1]
	v_pk_fma_f32 v[46:47], v[48:49], v[46:47], v[50:51] neg_lo:[0,0,1] neg_hi:[0,0,1]
	v_mov_b32_e32 v47, v101
	s_delay_alu instid0(VALU_DEP_1)
	v_pk_add_f32 v[44:45], v[44:45], v[46:47]
.LBB158_462:                            ;   in Loop: Header=BB158_3 Depth=1
	s_or_b32 exec_lo, exec_lo, s10
.LBB158_463:                            ;   in Loop: Header=BB158_3 Depth=1
	s_delay_alu instid0(SALU_CYCLE_1)
	s_or_b32 exec_lo, exec_lo, s13
	s_and_saveexec_b32 s10, s91
; %bb.464:                              ;   in Loop: Header=BB158_3 Depth=1
	s_delay_alu instid0(VALU_DEP_1)
	v_pk_add_f32 v[46:47], v[44:45], 0 neg_lo:[1,1] neg_hi:[1,1]
	ds_store_b64 v52, v[46:47]
; %bb.465:                              ;   in Loop: Header=BB158_3 Depth=1
	s_or_b32 exec_lo, exec_lo, s10
	s_wait_loadcnt_dscnt 0x0
	s_barrier_signal -1
	s_barrier_wait -1
	s_and_saveexec_b32 s10, s92
	s_cbranch_execz .LBB158_467
; %bb.466:                              ;   in Loop: Header=BB158_3 Depth=1
	ds_load_b64 v[46:47], v1 offset:17152
	ds_load_b64 v[48:49], v52
	s_wait_dscnt 0x0
	v_pk_mul_f32 v[50:51], v[48:49], v[46:47] op_sel_hi:[1,0]
	s_delay_alu instid0(VALU_DEP_1) | instskip(SKIP_1) | instid1(VALU_DEP_2)
	v_pk_fma_f32 v[100:101], v[48:49], v[46:47], v[50:51] op_sel:[1,1,0] op_sel_hi:[0,1,1]
	v_pk_fma_f32 v[46:47], v[48:49], v[46:47], v[50:51] op_sel:[1,1,0] op_sel_hi:[0,1,1] neg_lo:[0,0,1] neg_hi:[0,0,1]
	v_pk_add_f32 v[48:49], v[44:45], v[100:101] neg_lo:[0,1] neg_hi:[0,1]
	s_delay_alu instid0(VALU_DEP_2) | instskip(NEXT) | instid1(VALU_DEP_2)
	v_pk_add_f32 v[44:45], v[44:45], v[46:47]
	v_mov_b32_e32 v45, v49
.LBB158_467:                            ;   in Loop: Header=BB158_3 Depth=1
	s_or_b32 exec_lo, exec_lo, s10
	s_barrier_signal -1
	s_barrier_wait -1
	s_and_saveexec_b32 s10, s92
; %bb.468:                              ;   in Loop: Header=BB158_3 Depth=1
	v_pk_add_f32 v[46:47], v[44:45], 0 neg_lo:[1,1] neg_hi:[1,1]
	ds_store_b64 v52, v[46:47]
; %bb.469:                              ;   in Loop: Header=BB158_3 Depth=1
	s_or_b32 exec_lo, exec_lo, s10
	s_wait_dscnt 0x0
	s_barrier_signal -1
	s_barrier_wait -1
	s_barrier_signal -1
	s_barrier_wait -1
	s_and_saveexec_b32 s10, s3
; %bb.470:                              ;   in Loop: Header=BB158_3 Depth=1
	ds_store_b64 v56, v[44:45] offset:18176
; %bb.471:                              ;   in Loop: Header=BB158_3 Depth=1
	s_or_b32 exec_lo, exec_lo, s10
	s_wait_dscnt 0x0
	s_barrier_signal -1
	s_barrier_wait -1
	s_barrier_signal -1
	s_barrier_wait -1
	s_and_saveexec_b32 s10, s93
	s_cbranch_execz .LBB158_473
; %bb.472:                              ;   in Loop: Header=BB158_3 Depth=1
	ds_load_b64 v[44:45], v88 offset:17664
	s_wait_dscnt 0x0
	ds_store_b64 v86, v[44:45] offset:16656
	ds_load_b64 v[44:45], v88 offset:17672
	s_wait_dscnt 0x0
	ds_store_b64 v86, v[44:45] offset:17168
.LBB158_473:                            ;   in Loop: Header=BB158_3 Depth=1
	s_or_b32 exec_lo, exec_lo, s10
	s_wait_dscnt 0x0
	s_barrier_signal -1
	s_barrier_wait -1
	s_and_saveexec_b32 s10, s11
	s_cbranch_execz .LBB158_475
; %bb.474:                              ;   in Loop: Header=BB158_3 Depth=1
	ds_load_b64 v[44:45], v1 offset:17152
	v_add_nc_u32_e64 v0, 0x4000, 0
	ds_store_b64 v1, v[38:39] offset:17160
	s_wait_dscnt 0x1
	ds_store_2addr_b64 v0, v[38:39], v[44:45] offset0:32 offset1:33
.LBB158_475:                            ;   in Loop: Header=BB158_3 Depth=1
	s_or_b32 exec_lo, exec_lo, s10
	v_mov_b64_e32 v[44:45], 0
	s_wait_dscnt 0x0
	s_barrier_signal -1
	s_barrier_wait -1
	global_wb scope:SCOPE_DEV
	s_wait_storecnt 0x0
	global_inv scope:SCOPE_DEV
	s_and_saveexec_b32 s62, s35
	s_cbranch_execz .LBB158_537
; %bb.476:                              ;   in Loop: Header=BB158_3 Depth=1
	ds_load_b64 v[44:45], v71 offset:16384
	ds_load_b64 v[46:47], v73 offset:32512
	s_wait_dscnt 0x0
	v_dual_mul_f32 v0, v47, v45 :: v_dual_mul_f32 v35, v46, v45
	s_delay_alu instid0(VALU_DEP_1) | instskip(NEXT) | instid1(VALU_DEP_1)
	v_dual_fma_f32 v0, v46, v44, -v0 :: v_dual_fmac_f32 v35, v47, v44
	v_dual_add_f32 v44, 0, v0 :: v_dual_add_f32 v45, 0, v35
	s_mov_b32 s10, exec_lo
	v_readlane_b32 s13, v108, 2
	s_and_b32 s13, s10, s13
	s_delay_alu instid0(SALU_CYCLE_1)
	s_mov_b32 exec_lo, s13
	s_cbranch_execz .LBB158_478
; %bb.477:                              ;   in Loop: Header=BB158_3 Depth=1
	ds_load_b64 v[46:47], v71 offset:16896
	ds_load_b64 v[48:49], v73 offset:32520
	s_wait_dscnt 0x0
	v_dual_mul_f32 v0, v49, v47 :: v_dual_mul_f32 v35, v48, v47
	s_delay_alu instid0(VALU_DEP_1) | instskip(NEXT) | instid1(VALU_DEP_1)
	v_dual_fma_f32 v0, v48, v46, -v0 :: v_dual_fmac_f32 v35, v49, v46
	v_dual_add_f32 v44, v44, v0 :: v_dual_add_f32 v45, v45, v35
.LBB158_478:                            ;   in Loop: Header=BB158_3 Depth=1
	s_or_b32 exec_lo, exec_lo, s10
	s_delay_alu instid0(SALU_CYCLE_1) | instskip(SKIP_2) | instid1(SALU_CYCLE_1)
	s_mov_b32 s10, exec_lo
	v_readlane_b32 s13, v108, 3
	s_and_b32 s13, s10, s13
	s_mov_b32 exec_lo, s13
	s_cbranch_execz .LBB158_480
; %bb.479:                              ;   in Loop: Header=BB158_3 Depth=1
	ds_load_b64 v[46:47], v71 offset:17408
	ds_load_b64 v[48:49], v73 offset:32528
	s_wait_dscnt 0x0
	v_dual_mul_f32 v0, v49, v47 :: v_dual_mul_f32 v35, v48, v47
	s_delay_alu instid0(VALU_DEP_1) | instskip(NEXT) | instid1(VALU_DEP_1)
	v_dual_fma_f32 v0, v48, v46, -v0 :: v_dual_fmac_f32 v35, v49, v46
	v_dual_add_f32 v44, v44, v0 :: v_dual_add_f32 v45, v45, v35
.LBB158_480:                            ;   in Loop: Header=BB158_3 Depth=1
	s_or_b32 exec_lo, exec_lo, s10
	s_delay_alu instid0(SALU_CYCLE_1) | instskip(SKIP_2) | instid1(SALU_CYCLE_1)
	s_mov_b32 s10, exec_lo
	v_readlane_b32 s13, v108, 4
	s_and_b32 s13, s10, s13
	;; [unrolled: 16-line block ×22, first 2 shown]
	s_mov_b32 exec_lo, s13
	s_cbranch_execz .LBB158_522
; %bb.521:                              ;   in Loop: Header=BB158_3 Depth=1
	ds_load_b64 v[46:47], v71 offset:28160
	ds_load_b64 v[48:49], v73 offset:32696
	s_wait_dscnt 0x0
	v_dual_mul_f32 v0, v49, v47 :: v_dual_mul_f32 v35, v48, v47
	s_delay_alu instid0(VALU_DEP_1) | instskip(NEXT) | instid1(VALU_DEP_1)
	v_dual_fma_f32 v0, v48, v46, -v0 :: v_dual_fmac_f32 v35, v49, v46
	v_dual_add_f32 v44, v44, v0 :: v_dual_add_f32 v45, v45, v35
.LBB158_522:                            ;   in Loop: Header=BB158_3 Depth=1
	s_or_b32 exec_lo, exec_lo, s10
	s_and_saveexec_b32 s10, s7
	s_cbranch_execz .LBB158_524
; %bb.523:                              ;   in Loop: Header=BB158_3 Depth=1
	ds_load_b64 v[46:47], v71 offset:28672
	ds_load_b64 v[48:49], v73 offset:32704
	s_wait_dscnt 0x0
	v_dual_mul_f32 v0, v49, v47 :: v_dual_mul_f32 v35, v48, v47
	s_delay_alu instid0(VALU_DEP_1) | instskip(NEXT) | instid1(VALU_DEP_1)
	v_dual_fma_f32 v0, v48, v46, -v0 :: v_dual_fmac_f32 v35, v49, v46
	v_dual_add_f32 v44, v44, v0 :: v_dual_add_f32 v45, v45, v35
.LBB158_524:                            ;   in Loop: Header=BB158_3 Depth=1
	s_or_b32 exec_lo, exec_lo, s10
	s_delay_alu instid0(SALU_CYCLE_1) | instskip(SKIP_2) | instid1(SALU_CYCLE_1)
	s_mov_b32 s10, exec_lo
	v_readlane_b32 s13, v109, 24
	s_and_b32 s13, s10, s13
	s_mov_b32 exec_lo, s13
	s_cbranch_execz .LBB158_526
; %bb.525:                              ;   in Loop: Header=BB158_3 Depth=1
	ds_load_b64 v[46:47], v71 offset:29184
	ds_load_b64 v[48:49], v73 offset:32712
	s_wait_dscnt 0x0
	v_dual_mul_f32 v0, v49, v47 :: v_dual_mul_f32 v35, v48, v47
	s_delay_alu instid0(VALU_DEP_1) | instskip(NEXT) | instid1(VALU_DEP_1)
	v_dual_fma_f32 v0, v48, v46, -v0 :: v_dual_fmac_f32 v35, v49, v46
	v_dual_add_f32 v44, v44, v0 :: v_dual_add_f32 v45, v45, v35
.LBB158_526:                            ;   in Loop: Header=BB158_3 Depth=1
	s_or_b32 exec_lo, exec_lo, s10
	s_delay_alu instid0(SALU_CYCLE_1) | instskip(SKIP_2) | instid1(SALU_CYCLE_1)
	s_mov_b32 s10, exec_lo
	v_readlane_b32 s13, v109, 26
	s_and_b32 s13, s10, s13
	s_mov_b32 exec_lo, s13
	;; [unrolled: 16-line block ×4, first 2 shown]
	s_cbranch_execz .LBB158_532
; %bb.531:                              ;   in Loop: Header=BB158_3 Depth=1
	ds_load_b64 v[46:47], v71 offset:30720
	ds_load_b64 v[48:49], v73 offset:32736
	s_wait_dscnt 0x0
	v_dual_mul_f32 v0, v49, v47 :: v_dual_mul_f32 v51, v48, v47
	s_delay_alu instid0(VALU_DEP_1) | instskip(NEXT) | instid1(VALU_DEP_1)
	v_dual_fma_f32 v50, v48, v46, -v0 :: v_dual_fmac_f32 v51, v49, v46
	v_pk_add_f32 v[44:45], v[44:45], v[50:51]
.LBB158_532:                            ;   in Loop: Header=BB158_3 Depth=1
	s_or_b32 exec_lo, exec_lo, s10
	s_delay_alu instid0(SALU_CYCLE_1) | instskip(SKIP_2) | instid1(SALU_CYCLE_1)
	s_mov_b32 s10, exec_lo
	v_readlane_b32 s13, v108, 0
	s_and_b32 s13, s10, s13
	s_mov_b32 exec_lo, s13
	s_cbranch_execnz .LBB158_1086
; %bb.533:                              ;   in Loop: Header=BB158_3 Depth=1
	s_or_b32 exec_lo, exec_lo, s10
	s_and_saveexec_b32 s10, s6
	s_cbranch_execnz .LBB158_1087
.LBB158_534:                            ;   in Loop: Header=BB158_3 Depth=1
	s_or_b32 exec_lo, exec_lo, s10
	s_and_saveexec_b32 s10, s21
	s_delay_alu instid0(SALU_CYCLE_1)
	s_xor_b32 s10, exec_lo, s10
	s_cbranch_execz .LBB158_536
.LBB158_535:                            ;   in Loop: Header=BB158_3 Depth=1
	ds_load_b64 v[46:47], v71 offset:32256
	ds_load_b64 v[48:49], v73 offset:32760
	s_wait_dscnt 0x0
	v_pk_mul_f32 v[50:51], v[48:49], v[46:47] op_sel:[1,1] op_sel_hi:[0,1]
	s_delay_alu instid0(VALU_DEP_1) | instskip(SKIP_1) | instid1(VALU_DEP_2)
	v_pk_fma_f32 v[100:101], v[48:49], v[46:47], v[50:51] op_sel_hi:[1,0,1]
	v_pk_fma_f32 v[46:47], v[48:49], v[46:47], v[50:51] neg_lo:[0,0,1] neg_hi:[0,0,1]
	v_mov_b32_e32 v47, v101
	s_delay_alu instid0(VALU_DEP_1)
	v_pk_add_f32 v[44:45], v[44:45], v[46:47]
.LBB158_536:                            ;   in Loop: Header=BB158_3 Depth=1
	s_or_b32 exec_lo, exec_lo, s10
.LBB158_537:                            ;   in Loop: Header=BB158_3 Depth=1
	s_delay_alu instid0(SALU_CYCLE_1)
	s_or_b32 exec_lo, exec_lo, s62
	v_dual_mov_b32 v0, v99 :: v_dual_mov_b32 v35, v98
	s_mov_b32 s13, 31
	s_branch .LBB158_539
.LBB158_538:                            ;   in Loop: Header=BB158_539 Depth=2
	s_or_b32 exec_lo, exec_lo, s10
	v_add_nc_u32_e32 v35, 0xfffff800, v35
	v_add_nc_u32_e32 v0, 4, v0
	s_add_co_i32 s13, s13, -4
	s_cmp_eq_u32 s62, 0
	s_barrier_signal -1
	s_barrier_wait -1
	s_cbranch_scc1 .LBB158_555
.LBB158_539:                            ;   Parent Loop BB158_3 Depth=1
                                        ; =>  This Inner Loop Header: Depth=2
	s_delay_alu instid0(VALU_DEP_1) | instskip(SKIP_1) | instid1(SALU_CYCLE_1)
	v_cmp_eq_u32_e32 vcc_lo, 0, v0
	s_and_b32 s62, s12, vcc_lo
	s_and_saveexec_b32 s10, s62
; %bb.540:                              ;   in Loop: Header=BB158_539 Depth=2
	v_pk_add_f32 v[46:47], v[44:45], 0 neg_lo:[1,1] neg_hi:[1,1]
	ds_store_b64 v72, v[46:47]
; %bb.541:                              ;   in Loop: Header=BB158_539 Depth=2
	s_or_b32 exec_lo, exec_lo, s10
	v_cmp_gt_u32_e32 vcc_lo, s13, v69
	s_wait_loadcnt_dscnt 0x0
	s_barrier_signal -1
	s_barrier_wait -1
	s_and_b32 s62, s12, vcc_lo
	s_delay_alu instid0(SALU_CYCLE_1)
	s_and_saveexec_b32 s10, s62
	s_cbranch_execz .LBB158_543
; %bb.542:                              ;   in Loop: Header=BB158_539 Depth=2
	ds_load_b64 v[46:47], v35 offset:1536
	ds_load_b64 v[48:49], v72
	s_wait_dscnt 0x0
	v_pk_mul_f32 v[50:51], v[48:49], v[46:47] op_sel:[1,1] op_sel_hi:[0,1]
	s_delay_alu instid0(VALU_DEP_1) | instskip(SKIP_1) | instid1(VALU_DEP_2)
	v_pk_fma_f32 v[100:101], v[48:49], v[46:47], v[50:51] op_sel_hi:[1,0,1]
	v_pk_fma_f32 v[46:47], v[48:49], v[46:47], v[50:51] neg_lo:[0,0,1] neg_hi:[0,0,1]
	v_mov_b32_e32 v47, v101
	s_delay_alu instid0(VALU_DEP_1)
	v_pk_add_f32 v[44:45], v[44:45], v[46:47] neg_lo:[0,1] neg_hi:[0,1]
.LBB158_543:                            ;   in Loop: Header=BB158_539 Depth=2
	s_or_b32 exec_lo, exec_lo, s10
	s_add_co_i32 s10, s13, -1
	s_delay_alu instid0(SALU_CYCLE_1) | instskip(SKIP_3) | instid1(SALU_CYCLE_1)
	v_cmp_eq_u32_e32 vcc_lo, s10, v69
	s_barrier_signal -1
	s_barrier_wait -1
	s_and_b32 s84, s12, vcc_lo
	s_and_saveexec_b32 s62, s84
; %bb.544:                              ;   in Loop: Header=BB158_539 Depth=2
	v_pk_add_f32 v[46:47], v[44:45], 0 neg_lo:[1,1] neg_hi:[1,1]
	ds_store_b64 v72, v[46:47]
; %bb.545:                              ;   in Loop: Header=BB158_539 Depth=2
	s_or_b32 exec_lo, exec_lo, s62
	v_cmp_gt_u32_e32 vcc_lo, s10, v69
	s_wait_dscnt 0x0
	s_barrier_signal -1
	s_barrier_wait -1
	s_and_b32 s62, s12, vcc_lo
	s_delay_alu instid0(SALU_CYCLE_1)
	s_and_saveexec_b32 s10, s62
	s_cbranch_execz .LBB158_547
; %bb.546:                              ;   in Loop: Header=BB158_539 Depth=2
	ds_load_b64 v[46:47], v35 offset:1024
	ds_load_b64 v[48:49], v72
	s_wait_dscnt 0x0
	v_pk_mul_f32 v[50:51], v[48:49], v[46:47] op_sel:[1,1] op_sel_hi:[0,1]
	s_delay_alu instid0(VALU_DEP_1) | instskip(SKIP_1) | instid1(VALU_DEP_2)
	v_pk_fma_f32 v[100:101], v[48:49], v[46:47], v[50:51] op_sel_hi:[1,0,1]
	v_pk_fma_f32 v[46:47], v[48:49], v[46:47], v[50:51] neg_lo:[0,0,1] neg_hi:[0,0,1]
	v_mov_b32_e32 v47, v101
	s_delay_alu instid0(VALU_DEP_1)
	v_pk_add_f32 v[44:45], v[44:45], v[46:47] neg_lo:[0,1] neg_hi:[0,1]
.LBB158_547:                            ;   in Loop: Header=BB158_539 Depth=2
	s_or_b32 exec_lo, exec_lo, s10
	s_add_co_i32 s10, s13, -2
	s_delay_alu instid0(SALU_CYCLE_1) | instskip(SKIP_3) | instid1(SALU_CYCLE_1)
	v_cmp_eq_u32_e32 vcc_lo, s10, v69
	s_barrier_signal -1
	s_barrier_wait -1
	s_and_b32 s84, s12, vcc_lo
	s_and_saveexec_b32 s62, s84
; %bb.548:                              ;   in Loop: Header=BB158_539 Depth=2
	v_pk_add_f32 v[46:47], v[44:45], 0 neg_lo:[1,1] neg_hi:[1,1]
	ds_store_b64 v72, v[46:47]
; %bb.549:                              ;   in Loop: Header=BB158_539 Depth=2
	s_or_b32 exec_lo, exec_lo, s62
	v_cmp_gt_u32_e32 vcc_lo, s10, v69
	s_wait_dscnt 0x0
	;; [unrolled: 33-line block ×3, first 2 shown]
	s_barrier_signal -1
	s_barrier_wait -1
	s_and_b32 s84, s12, vcc_lo
	s_delay_alu instid0(SALU_CYCLE_1)
	s_and_saveexec_b32 s10, s84
	s_cbranch_execz .LBB158_538
; %bb.554:                              ;   in Loop: Header=BB158_539 Depth=2
	ds_load_b64 v[46:47], v35
	ds_load_b64 v[48:49], v72
	s_wait_dscnt 0x0
	v_pk_mul_f32 v[50:51], v[48:49], v[46:47] op_sel:[1,1] op_sel_hi:[0,1]
	s_delay_alu instid0(VALU_DEP_1) | instskip(SKIP_1) | instid1(VALU_DEP_2)
	v_pk_fma_f32 v[100:101], v[48:49], v[46:47], v[50:51] op_sel_hi:[1,0,1]
	v_pk_fma_f32 v[46:47], v[48:49], v[46:47], v[50:51] neg_lo:[0,0,1] neg_hi:[0,0,1]
	v_mov_b32_e32 v47, v101
	s_delay_alu instid0(VALU_DEP_1)
	v_pk_add_f32 v[44:45], v[44:45], v[46:47] neg_lo:[0,1] neg_hi:[0,1]
	s_branch .LBB158_538
.LBB158_555:                            ;   in Loop: Header=BB158_3 Depth=1
	s_and_saveexec_b32 s10, s35
; %bb.556:                              ;   in Loop: Header=BB158_3 Depth=1
	ds_store_b64 v74, v[44:45] offset:32256
; %bb.557:                              ;   in Loop: Header=BB158_3 Depth=1
	s_or_b32 exec_lo, exec_lo, s10
	s_wait_dscnt 0x0
	s_barrier_signal -1
	s_barrier_wait -1
	s_barrier_signal -1
	s_barrier_wait -1
	s_mov_b32 s13, exec_lo
	v_readlane_b32 s10, v109, 6
	s_and_b32 s10, s13, s10
	s_delay_alu instid0(SALU_CYCLE_1)
	s_mov_b32 exec_lo, s10
	s_cbranch_execz .LBB158_559
; %bb.558:                              ;   in Loop: Header=BB158_3 Depth=1
	ds_load_b64 v[44:45], v88 offset:16384
	v_add_nc_u32_e32 v0, v88, v91
	s_wait_dscnt 0x0
	ds_store_b64 v0, v[44:45] offset:256
	ds_load_b64 v[44:45], v88 offset:16392
	s_wait_dscnt 0x0
	ds_store_b64 v0, v[44:45] offset:768
	ds_load_b64 v[44:45], v88 offset:16400
	;; [unrolled: 3-line block ×31, first 2 shown]
	s_wait_dscnt 0x0
	ds_store_b64 v0, v[44:45] offset:16128
.LBB158_559:                            ;   in Loop: Header=BB158_3 Depth=1
	s_or_b32 exec_lo, exec_lo, s13
	s_wait_dscnt 0x0
	s_barrier_signal -1
	s_barrier_wait -1
	s_and_saveexec_b32 s10, s11
	s_cbranch_execz .LBB158_561
; %bb.560:                              ;   in Loop: Header=BB158_3 Depth=1
	ds_load_b64 v[44:45], v1 offset:16112
	v_add_nc_u32_e64 v0, 0x3800, 0
	ds_store_b64 v1, v[38:39] offset:16120
	s_wait_dscnt 0x1
	ds_store_2addr_b64 v0, v[38:39], v[44:45] offset0:158 offset1:159
.LBB158_561:                            ;   in Loop: Header=BB158_3 Depth=1
	s_or_b32 exec_lo, exec_lo, s10
	v_dual_mov_b32 v44, 0 :: v_dual_mov_b32 v45, 0
	s_wait_dscnt 0x0
	s_barrier_signal -1
	s_barrier_wait -1
	global_wb scope:SCOPE_DEV
	s_wait_storecnt 0x0
	global_inv scope:SCOPE_DEV
	s_and_saveexec_b32 s13, s3
	s_cbranch_execz .LBB158_565
; %bb.562:                              ;   in Loop: Header=BB158_3 Depth=1
	ds_load_b64 v[44:45], v53 offset:15584
	ds_load_b64 v[46:47], v54 offset:16112
	s_wait_dscnt 0x0
	v_pk_mul_f32 v[48:49], v[46:47], v[44:45] op_sel:[1,1] op_sel_hi:[0,1]
	s_delay_alu instid0(VALU_DEP_1) | instskip(SKIP_1) | instid1(VALU_DEP_2)
	v_pk_fma_f32 v[50:51], v[46:47], v[44:45], v[48:49] op_sel_hi:[1,0,1]
	v_pk_fma_f32 v[44:45], v[46:47], v[44:45], v[48:49] neg_lo:[0,0,1] neg_hi:[0,0,1]
	v_mov_b32_e32 v45, v51
	s_delay_alu instid0(VALU_DEP_1)
	v_pk_add_f32 v[44:45], v[44:45], 0 op_sel_hi:[1,0]
	s_and_saveexec_b32 s10, s14
	s_cbranch_execz .LBB158_564
; %bb.563:                              ;   in Loop: Header=BB158_3 Depth=1
	ds_load_b64 v[46:47], v55 offset:16096
	ds_load_b64 v[48:49], v1 offset:16120
	s_wait_dscnt 0x0
	v_pk_mul_f32 v[50:51], v[48:49], v[46:47] op_sel:[1,1] op_sel_hi:[0,1]
	s_delay_alu instid0(VALU_DEP_1) | instskip(SKIP_1) | instid1(VALU_DEP_2)
	v_pk_fma_f32 v[100:101], v[48:49], v[46:47], v[50:51] op_sel_hi:[1,0,1]
	v_pk_fma_f32 v[46:47], v[48:49], v[46:47], v[50:51] neg_lo:[0,0,1] neg_hi:[0,0,1]
	v_mov_b32_e32 v47, v101
	s_delay_alu instid0(VALU_DEP_1)
	v_pk_add_f32 v[44:45], v[44:45], v[46:47]
.LBB158_564:                            ;   in Loop: Header=BB158_3 Depth=1
	s_or_b32 exec_lo, exec_lo, s10
.LBB158_565:                            ;   in Loop: Header=BB158_3 Depth=1
	s_delay_alu instid0(SALU_CYCLE_1)
	s_or_b32 exec_lo, exec_lo, s13
	s_and_saveexec_b32 s10, s91
; %bb.566:                              ;   in Loop: Header=BB158_3 Depth=1
	s_delay_alu instid0(VALU_DEP_1)
	v_pk_add_f32 v[46:47], v[44:45], 0 neg_lo:[1,1] neg_hi:[1,1]
	ds_store_b64 v52, v[46:47]
; %bb.567:                              ;   in Loop: Header=BB158_3 Depth=1
	s_or_b32 exec_lo, exec_lo, s10
	s_wait_loadcnt_dscnt 0x0
	s_barrier_signal -1
	s_barrier_wait -1
	s_and_saveexec_b32 s10, s92
	s_cbranch_execz .LBB158_569
; %bb.568:                              ;   in Loop: Header=BB158_3 Depth=1
	ds_load_b64 v[46:47], v1 offset:15072
	ds_load_b64 v[48:49], v52
	s_wait_dscnt 0x0
	v_pk_mul_f32 v[50:51], v[48:49], v[46:47] op_sel_hi:[1,0]
	s_delay_alu instid0(VALU_DEP_1) | instskip(SKIP_1) | instid1(VALU_DEP_2)
	v_pk_fma_f32 v[100:101], v[48:49], v[46:47], v[50:51] op_sel:[1,1,0] op_sel_hi:[0,1,1]
	v_pk_fma_f32 v[46:47], v[48:49], v[46:47], v[50:51] op_sel:[1,1,0] op_sel_hi:[0,1,1] neg_lo:[0,0,1] neg_hi:[0,0,1]
	v_pk_add_f32 v[48:49], v[44:45], v[100:101] neg_lo:[0,1] neg_hi:[0,1]
	s_delay_alu instid0(VALU_DEP_2) | instskip(NEXT) | instid1(VALU_DEP_2)
	v_pk_add_f32 v[44:45], v[44:45], v[46:47]
	v_mov_b32_e32 v45, v49
.LBB158_569:                            ;   in Loop: Header=BB158_3 Depth=1
	s_or_b32 exec_lo, exec_lo, s10
	s_barrier_signal -1
	s_barrier_wait -1
	s_and_saveexec_b32 s10, s92
; %bb.570:                              ;   in Loop: Header=BB158_3 Depth=1
	v_pk_add_f32 v[46:47], v[44:45], 0 neg_lo:[1,1] neg_hi:[1,1]
	ds_store_b64 v52, v[46:47]
; %bb.571:                              ;   in Loop: Header=BB158_3 Depth=1
	s_or_b32 exec_lo, exec_lo, s10
	s_wait_dscnt 0x0
	s_barrier_signal -1
	s_barrier_wait -1
	s_barrier_signal -1
	s_barrier_wait -1
	s_and_saveexec_b32 s10, s3
; %bb.572:                              ;   in Loop: Header=BB158_3 Depth=1
	ds_store_b64 v56, v[44:45] offset:16096
; %bb.573:                              ;   in Loop: Header=BB158_3 Depth=1
	s_or_b32 exec_lo, exec_lo, s10
	s_wait_dscnt 0x0
	s_barrier_signal -1
	s_barrier_wait -1
	s_barrier_signal -1
	s_barrier_wait -1
	s_and_saveexec_b32 s10, s93
	s_cbranch_execz .LBB158_575
; %bb.574:                              ;   in Loop: Header=BB158_3 Depth=1
	ds_load_b64 v[44:45], v57 offset:15584
	s_wait_dscnt 0x0
	ds_store_b64 v55, v[44:45] offset:14576
	ds_load_b64 v[44:45], v57 offset:15592
	s_wait_dscnt 0x0
	ds_store_b64 v55, v[44:45] offset:15088
.LBB158_575:                            ;   in Loop: Header=BB158_3 Depth=1
	s_or_b32 exec_lo, exec_lo, s10
	s_wait_dscnt 0x0
	s_barrier_signal -1
	s_barrier_wait -1
	s_and_saveexec_b32 s10, s11
	s_cbranch_execz .LBB158_577
; %bb.576:                              ;   in Loop: Header=BB158_3 Depth=1
	ds_load_b64 v[44:45], v1 offset:15072
	v_add_nc_u32_e64 v0, 0x3800, 0
	ds_store_b64 v1, v[38:39] offset:15080
	s_wait_dscnt 0x1
	ds_store_2addr_b64 v0, v[38:39], v[44:45] offset0:28 offset1:29
.LBB158_577:                            ;   in Loop: Header=BB158_3 Depth=1
	s_or_b32 exec_lo, exec_lo, s10
	v_mov_b64_e32 v[44:45], 0
	s_wait_dscnt 0x0
	s_barrier_signal -1
	s_barrier_wait -1
	global_wb scope:SCOPE_DEV
	s_wait_storecnt 0x0
	global_inv scope:SCOPE_DEV
	s_and_saveexec_b32 s13, s5
	s_cbranch_execz .LBB158_583
; %bb.578:                              ;   in Loop: Header=BB158_3 Depth=1
	ds_load_b64 v[44:45], v59 offset:14528
	ds_load_b64 v[46:47], v60 offset:16096
	s_wait_dscnt 0x0
	v_dual_mul_f32 v0, v47, v45 :: v_dual_mul_f32 v35, v46, v45
	s_delay_alu instid0(VALU_DEP_1) | instskip(NEXT) | instid1(VALU_DEP_1)
	v_dual_fma_f32 v0, v46, v44, -v0 :: v_dual_fmac_f32 v35, v47, v44
	v_dual_add_f32 v44, 0, v0 :: v_dual_add_f32 v45, 0, v35
	s_and_saveexec_b32 s10, s15
	s_cbranch_execnz .LBB158_1088
; %bb.579:                              ;   in Loop: Header=BB158_3 Depth=1
	s_or_b32 exec_lo, exec_lo, s10
	s_and_saveexec_b32 s10, s16
	s_cbranch_execnz .LBB158_1089
.LBB158_580:                            ;   in Loop: Header=BB158_3 Depth=1
	s_or_b32 exec_lo, exec_lo, s10
	s_and_saveexec_b32 s10, s3
	s_cbranch_execz .LBB158_582
.LBB158_581:                            ;   in Loop: Header=BB158_3 Depth=1
	ds_load_b64 v[46:47], v75 offset:16064
	ds_load_b64 v[48:49], v1 offset:16120
	s_wait_dscnt 0x0
	v_pk_mul_f32 v[50:51], v[48:49], v[46:47] op_sel:[1,1] op_sel_hi:[0,1]
	s_delay_alu instid0(VALU_DEP_1) | instskip(SKIP_1) | instid1(VALU_DEP_2)
	v_pk_fma_f32 v[100:101], v[48:49], v[46:47], v[50:51] op_sel_hi:[1,0,1]
	v_pk_fma_f32 v[46:47], v[48:49], v[46:47], v[50:51] neg_lo:[0,0,1] neg_hi:[0,0,1]
	v_mov_b32_e32 v47, v101
	s_delay_alu instid0(VALU_DEP_1)
	v_pk_add_f32 v[44:45], v[44:45], v[46:47]
.LBB158_582:                            ;   in Loop: Header=BB158_3 Depth=1
	s_or_b32 exec_lo, exec_lo, s10
.LBB158_583:                            ;   in Loop: Header=BB158_3 Depth=1
	s_delay_alu instid0(SALU_CYCLE_1)
	s_or_b32 exec_lo, exec_lo, s13
	s_and_saveexec_b32 s10, s94
; %bb.584:                              ;   in Loop: Header=BB158_3 Depth=1
	s_delay_alu instid0(VALU_DEP_1)
	v_pk_add_f32 v[46:47], v[44:45], 0 neg_lo:[1,1] neg_hi:[1,1]
	ds_store_b64 v58, v[46:47]
; %bb.585:                              ;   in Loop: Header=BB158_3 Depth=1
	s_or_b32 exec_lo, exec_lo, s10
	s_wait_loadcnt_dscnt 0x0
	s_barrier_signal -1
	s_barrier_wait -1
	s_and_saveexec_b32 s10, s95
	s_cbranch_execz .LBB158_587
; %bb.586:                              ;   in Loop: Header=BB158_3 Depth=1
	ds_load_b64 v[46:47], v59 offset:14016
	ds_load_b64 v[48:49], v58
	s_wait_dscnt 0x0
	v_pk_mul_f32 v[50:51], v[48:49], v[46:47] op_sel:[1,1] op_sel_hi:[0,1]
	s_delay_alu instid0(VALU_DEP_1) | instskip(SKIP_1) | instid1(VALU_DEP_2)
	v_pk_fma_f32 v[100:101], v[48:49], v[46:47], v[50:51] op_sel_hi:[1,0,1]
	v_pk_fma_f32 v[46:47], v[48:49], v[46:47], v[50:51] neg_lo:[0,0,1] neg_hi:[0,0,1]
	v_mov_b32_e32 v47, v101
	s_delay_alu instid0(VALU_DEP_1)
	v_pk_add_f32 v[44:45], v[44:45], v[46:47] neg_lo:[0,1] neg_hi:[0,1]
.LBB158_587:                            ;   in Loop: Header=BB158_3 Depth=1
	s_or_b32 exec_lo, exec_lo, s10
	s_barrier_signal -1
	s_barrier_wait -1
	s_and_saveexec_b32 s10, s96
; %bb.588:                              ;   in Loop: Header=BB158_3 Depth=1
	v_pk_add_f32 v[46:47], v[44:45], 0 neg_lo:[1,1] neg_hi:[1,1]
	ds_store_b64 v58, v[46:47]
; %bb.589:                              ;   in Loop: Header=BB158_3 Depth=1
	s_or_b32 exec_lo, exec_lo, s10
	s_wait_dscnt 0x0
	s_barrier_signal -1
	s_barrier_wait -1
	s_and_saveexec_b32 s10, s97
	s_cbranch_execz .LBB158_591
; %bb.590:                              ;   in Loop: Header=BB158_3 Depth=1
	ds_load_b64 v[46:47], v59 offset:13504
	ds_load_b64 v[48:49], v58
	s_wait_dscnt 0x0
	v_pk_mul_f32 v[50:51], v[48:49], v[46:47] op_sel:[1,1] op_sel_hi:[0,1]
	s_delay_alu instid0(VALU_DEP_1) | instskip(SKIP_1) | instid1(VALU_DEP_2)
	v_pk_fma_f32 v[100:101], v[48:49], v[46:47], v[50:51] op_sel_hi:[1,0,1]
	v_pk_fma_f32 v[46:47], v[48:49], v[46:47], v[50:51] neg_lo:[0,0,1] neg_hi:[0,0,1]
	v_mov_b32_e32 v47, v101
	s_delay_alu instid0(VALU_DEP_1)
	v_pk_add_f32 v[44:45], v[44:45], v[46:47] neg_lo:[0,1] neg_hi:[0,1]
.LBB158_591:                            ;   in Loop: Header=BB158_3 Depth=1
	s_or_b32 exec_lo, exec_lo, s10
	s_barrier_signal -1
	s_barrier_wait -1
	s_and_saveexec_b32 s10, s98
; %bb.592:                              ;   in Loop: Header=BB158_3 Depth=1
	v_pk_add_f32 v[46:47], v[44:45], 0 neg_lo:[1,1] neg_hi:[1,1]
	ds_store_b64 v58, v[46:47]
; %bb.593:                              ;   in Loop: Header=BB158_3 Depth=1
	s_or_b32 exec_lo, exec_lo, s10
	s_wait_dscnt 0x0
	s_barrier_signal -1
	s_barrier_wait -1
	s_and_saveexec_b32 s10, s99
	s_cbranch_execz .LBB158_595
; %bb.594:                              ;   in Loop: Header=BB158_3 Depth=1
	ds_load_b64 v[46:47], v1 offset:12992
	ds_load_b64 v[48:49], v58
	s_wait_dscnt 0x0
	v_pk_mul_f32 v[50:51], v[48:49], v[46:47] op_sel:[1,1] op_sel_hi:[0,1]
	s_delay_alu instid0(VALU_DEP_1) | instskip(SKIP_1) | instid1(VALU_DEP_2)
	v_pk_fma_f32 v[100:101], v[48:49], v[46:47], v[50:51] op_sel_hi:[1,0,1]
	v_pk_fma_f32 v[46:47], v[48:49], v[46:47], v[50:51] neg_lo:[0,0,1] neg_hi:[0,0,1]
	v_mov_b32_e32 v47, v101
	s_delay_alu instid0(VALU_DEP_1)
	v_pk_add_f32 v[44:45], v[44:45], v[46:47] neg_lo:[0,1] neg_hi:[0,1]
.LBB158_595:                            ;   in Loop: Header=BB158_3 Depth=1
	s_or_b32 exec_lo, exec_lo, s10
	s_barrier_signal -1
	s_barrier_wait -1
	s_and_saveexec_b32 s10, s99
; %bb.596:                              ;   in Loop: Header=BB158_3 Depth=1
	v_pk_add_f32 v[46:47], v[44:45], 0 neg_lo:[1,1] neg_hi:[1,1]
	ds_store_b64 v58, v[46:47]
; %bb.597:                              ;   in Loop: Header=BB158_3 Depth=1
	s_or_b32 exec_lo, exec_lo, s10
	s_wait_dscnt 0x0
	s_barrier_signal -1
	s_barrier_wait -1
	s_barrier_signal -1
	s_barrier_wait -1
	s_and_saveexec_b32 s10, s5
; %bb.598:                              ;   in Loop: Header=BB158_3 Depth=1
	ds_store_b64 v61, v[44:45] offset:16064
; %bb.599:                              ;   in Loop: Header=BB158_3 Depth=1
	s_or_b32 exec_lo, exec_lo, s10
	s_wait_dscnt 0x0
	s_barrier_signal -1
	s_barrier_wait -1
	s_barrier_signal -1
	s_barrier_wait -1
	s_and_saveexec_b32 s10, s100
	s_cbranch_execz .LBB158_601
; %bb.600:                              ;   in Loop: Header=BB158_3 Depth=1
	ds_load_b64 v[44:45], v7 offset:14528
	s_wait_dscnt 0x0
	ds_store_b64 v76, v[44:45] offset:12512
	ds_load_b64 v[44:45], v7 offset:14536
	s_wait_dscnt 0x0
	ds_store_b64 v76, v[44:45] offset:13024
	;; [unrolled: 3-line block ×4, first 2 shown]
.LBB158_601:                            ;   in Loop: Header=BB158_3 Depth=1
	s_or_b32 exec_lo, exec_lo, s10
	s_wait_dscnt 0x0
	s_barrier_signal -1
	s_barrier_wait -1
	s_and_saveexec_b32 s10, s11
	s_cbranch_execz .LBB158_603
; %bb.602:                              ;   in Loop: Header=BB158_3 Depth=1
	ds_load_b64 v[44:45], v1 offset:14032
	v_add_nc_u32_e64 v0, 0x3000, 0
	ds_store_b64 v1, v[38:39] offset:14040
	s_wait_dscnt 0x1
	ds_store_2addr_b64 v0, v[38:39], v[44:45] offset0:154 offset1:155
.LBB158_603:                            ;   in Loop: Header=BB158_3 Depth=1
	s_or_b32 exec_lo, exec_lo, s10
	v_dual_mov_b32 v44, 0 :: v_dual_mov_b32 v45, 0
	s_wait_dscnt 0x0
	s_barrier_signal -1
	s_barrier_wait -1
	global_wb scope:SCOPE_DEV
	s_wait_storecnt 0x0
	global_inv scope:SCOPE_DEV
	s_and_saveexec_b32 s13, s3
	s_cbranch_execz .LBB158_607
; %bb.604:                              ;   in Loop: Header=BB158_3 Depth=1
	ds_load_b64 v[44:45], v53 offset:13504
	ds_load_b64 v[46:47], v54 offset:14032
	s_wait_dscnt 0x0
	v_pk_mul_f32 v[48:49], v[46:47], v[44:45] op_sel:[1,1] op_sel_hi:[0,1]
	s_delay_alu instid0(VALU_DEP_1) | instskip(SKIP_1) | instid1(VALU_DEP_2)
	v_pk_fma_f32 v[50:51], v[46:47], v[44:45], v[48:49] op_sel_hi:[1,0,1]
	v_pk_fma_f32 v[44:45], v[46:47], v[44:45], v[48:49] neg_lo:[0,0,1] neg_hi:[0,0,1]
	v_mov_b32_e32 v45, v51
	s_delay_alu instid0(VALU_DEP_1)
	v_pk_add_f32 v[44:45], v[44:45], 0 op_sel_hi:[1,0]
	s_and_saveexec_b32 s10, s14
	s_cbranch_execz .LBB158_606
; %bb.605:                              ;   in Loop: Header=BB158_3 Depth=1
	ds_load_b64 v[46:47], v76 offset:14016
	ds_load_b64 v[48:49], v1 offset:14040
	s_wait_dscnt 0x0
	v_pk_mul_f32 v[50:51], v[48:49], v[46:47] op_sel:[1,1] op_sel_hi:[0,1]
	s_delay_alu instid0(VALU_DEP_1) | instskip(SKIP_1) | instid1(VALU_DEP_2)
	v_pk_fma_f32 v[100:101], v[48:49], v[46:47], v[50:51] op_sel_hi:[1,0,1]
	v_pk_fma_f32 v[46:47], v[48:49], v[46:47], v[50:51] neg_lo:[0,0,1] neg_hi:[0,0,1]
	v_mov_b32_e32 v47, v101
	s_delay_alu instid0(VALU_DEP_1)
	v_pk_add_f32 v[44:45], v[44:45], v[46:47]
.LBB158_606:                            ;   in Loop: Header=BB158_3 Depth=1
	s_or_b32 exec_lo, exec_lo, s10
.LBB158_607:                            ;   in Loop: Header=BB158_3 Depth=1
	s_delay_alu instid0(SALU_CYCLE_1)
	s_or_b32 exec_lo, exec_lo, s13
	s_and_saveexec_b32 s10, s91
; %bb.608:                              ;   in Loop: Header=BB158_3 Depth=1
	s_delay_alu instid0(VALU_DEP_1)
	v_pk_add_f32 v[46:47], v[44:45], 0 neg_lo:[1,1] neg_hi:[1,1]
	ds_store_b64 v52, v[46:47]
; %bb.609:                              ;   in Loop: Header=BB158_3 Depth=1
	s_or_b32 exec_lo, exec_lo, s10
	s_wait_loadcnt_dscnt 0x0
	s_barrier_signal -1
	s_barrier_wait -1
	s_and_saveexec_b32 s10, s92
	s_cbranch_execz .LBB158_611
; %bb.610:                              ;   in Loop: Header=BB158_3 Depth=1
	ds_load_b64 v[46:47], v1 offset:12992
	ds_load_b64 v[48:49], v52
	s_wait_dscnt 0x0
	v_pk_mul_f32 v[50:51], v[48:49], v[46:47] op_sel_hi:[1,0]
	s_delay_alu instid0(VALU_DEP_1) | instskip(SKIP_1) | instid1(VALU_DEP_2)
	v_pk_fma_f32 v[100:101], v[48:49], v[46:47], v[50:51] op_sel:[1,1,0] op_sel_hi:[0,1,1]
	v_pk_fma_f32 v[46:47], v[48:49], v[46:47], v[50:51] op_sel:[1,1,0] op_sel_hi:[0,1,1] neg_lo:[0,0,1] neg_hi:[0,0,1]
	v_pk_add_f32 v[48:49], v[44:45], v[100:101] neg_lo:[0,1] neg_hi:[0,1]
	s_delay_alu instid0(VALU_DEP_2) | instskip(NEXT) | instid1(VALU_DEP_2)
	v_pk_add_f32 v[44:45], v[44:45], v[46:47]
	v_mov_b32_e32 v45, v49
.LBB158_611:                            ;   in Loop: Header=BB158_3 Depth=1
	s_or_b32 exec_lo, exec_lo, s10
	s_barrier_signal -1
	s_barrier_wait -1
	s_and_saveexec_b32 s10, s92
; %bb.612:                              ;   in Loop: Header=BB158_3 Depth=1
	v_pk_add_f32 v[46:47], v[44:45], 0 neg_lo:[1,1] neg_hi:[1,1]
	ds_store_b64 v52, v[46:47]
; %bb.613:                              ;   in Loop: Header=BB158_3 Depth=1
	s_or_b32 exec_lo, exec_lo, s10
	s_wait_dscnt 0x0
	s_barrier_signal -1
	s_barrier_wait -1
	s_barrier_signal -1
	s_barrier_wait -1
	s_and_saveexec_b32 s10, s3
; %bb.614:                              ;   in Loop: Header=BB158_3 Depth=1
	ds_store_b64 v56, v[44:45] offset:14016
; %bb.615:                              ;   in Loop: Header=BB158_3 Depth=1
	s_or_b32 exec_lo, exec_lo, s10
	s_wait_dscnt 0x0
	s_barrier_signal -1
	s_barrier_wait -1
	s_barrier_signal -1
	s_barrier_wait -1
	s_and_saveexec_b32 s10, s93
	s_cbranch_execz .LBB158_617
; %bb.616:                              ;   in Loop: Header=BB158_3 Depth=1
	ds_load_b64 v[44:45], v77 offset:13504
	s_wait_dscnt 0x0
	ds_store_b64 v76, v[44:45] offset:12496
	ds_load_b64 v[44:45], v77 offset:13512
	s_wait_dscnt 0x0
	ds_store_b64 v76, v[44:45] offset:13008
.LBB158_617:                            ;   in Loop: Header=BB158_3 Depth=1
	s_or_b32 exec_lo, exec_lo, s10
	s_wait_dscnt 0x0
	s_barrier_signal -1
	s_barrier_wait -1
	s_and_saveexec_b32 s10, s11
	s_cbranch_execz .LBB158_619
; %bb.618:                              ;   in Loop: Header=BB158_3 Depth=1
	ds_load_b64 v[44:45], v1 offset:12992
	v_add_nc_u32_e64 v0, 0x3000, 0
	ds_store_b64 v1, v[38:39] offset:13000
	s_wait_dscnt 0x1
	ds_store_2addr_b64 v0, v[38:39], v[44:45] offset0:24 offset1:25
.LBB158_619:                            ;   in Loop: Header=BB158_3 Depth=1
	s_or_b32 exec_lo, exec_lo, s10
	v_mov_b64_e32 v[44:45], 0
	s_wait_dscnt 0x0
	s_barrier_signal -1
	s_barrier_wait -1
	global_wb scope:SCOPE_DEV
	s_wait_storecnt 0x0
	global_inv scope:SCOPE_DEV
	s_and_saveexec_b32 s13, s6
	s_cbranch_execz .LBB158_629
; %bb.620:                              ;   in Loop: Header=BB158_3 Depth=1
	ds_load_b64 v[44:45], v63 offset:12416
	ds_load_b64 v[46:47], v64 offset:16064
	s_wait_dscnt 0x0
	v_dual_mul_f32 v0, v47, v45 :: v_dual_mul_f32 v35, v46, v45
	s_delay_alu instid0(VALU_DEP_1) | instskip(NEXT) | instid1(VALU_DEP_1)
	v_dual_fma_f32 v0, v46, v44, -v0 :: v_dual_fmac_f32 v35, v47, v44
	v_dual_add_f32 v44, 0, v0 :: v_dual_add_f32 v45, 0, v35
	s_and_saveexec_b32 s10, s17
	s_cbranch_execnz .LBB158_1090
; %bb.621:                              ;   in Loop: Header=BB158_3 Depth=1
	s_or_b32 exec_lo, exec_lo, s10
	s_and_saveexec_b32 s10, s18
	s_cbranch_execnz .LBB158_1091
.LBB158_622:                            ;   in Loop: Header=BB158_3 Depth=1
	s_or_b32 exec_lo, exec_lo, s10
	s_and_saveexec_b32 s10, s19
	s_cbranch_execnz .LBB158_1092
.LBB158_623:                            ;   in Loop: Header=BB158_3 Depth=1
	s_or_b32 exec_lo, exec_lo, s10
	s_and_saveexec_b32 s10, s21
	s_cbranch_execnz .LBB158_1093
.LBB158_624:                            ;   in Loop: Header=BB158_3 Depth=1
	s_or_b32 exec_lo, exec_lo, s10
	s_and_saveexec_b32 s10, s22
	s_cbranch_execnz .LBB158_1094
.LBB158_625:                            ;   in Loop: Header=BB158_3 Depth=1
	s_or_b32 exec_lo, exec_lo, s10
	s_and_saveexec_b32 s10, s5
	s_cbranch_execnz .LBB158_1095
.LBB158_626:                            ;   in Loop: Header=BB158_3 Depth=1
	s_or_b32 exec_lo, exec_lo, s10
	s_and_saveexec_b32 s10, s16
	s_cbranch_execz .LBB158_628
.LBB158_627:                            ;   in Loop: Header=BB158_3 Depth=1
	ds_load_b64 v[46:47], v78 offset:16000
	ds_load_b64 v[48:49], v1 offset:16120
	s_wait_dscnt 0x0
	v_pk_mul_f32 v[50:51], v[48:49], v[46:47] op_sel:[1,1] op_sel_hi:[0,1]
	s_delay_alu instid0(VALU_DEP_1) | instskip(SKIP_1) | instid1(VALU_DEP_2)
	v_pk_fma_f32 v[100:101], v[48:49], v[46:47], v[50:51] op_sel_hi:[1,0,1]
	v_pk_fma_f32 v[46:47], v[48:49], v[46:47], v[50:51] neg_lo:[0,0,1] neg_hi:[0,0,1]
	v_mov_b32_e32 v47, v101
	s_delay_alu instid0(VALU_DEP_1)
	v_pk_add_f32 v[44:45], v[44:45], v[46:47]
.LBB158_628:                            ;   in Loop: Header=BB158_3 Depth=1
	s_or_b32 exec_lo, exec_lo, s10
.LBB158_629:                            ;   in Loop: Header=BB158_3 Depth=1
	s_delay_alu instid0(SALU_CYCLE_1)
	s_or_b32 exec_lo, exec_lo, s13
	s_and_saveexec_b32 s10, s101
; %bb.630:                              ;   in Loop: Header=BB158_3 Depth=1
	s_delay_alu instid0(VALU_DEP_1)
	v_pk_add_f32 v[46:47], v[44:45], 0 neg_lo:[1,1] neg_hi:[1,1]
	ds_store_b64 v62, v[46:47]
; %bb.631:                              ;   in Loop: Header=BB158_3 Depth=1
	s_or_b32 exec_lo, exec_lo, s10
	s_wait_loadcnt_dscnt 0x0
	s_barrier_signal -1
	s_barrier_wait -1
	s_and_saveexec_b32 s10, s102
	s_cbranch_execz .LBB158_633
; %bb.632:                              ;   in Loop: Header=BB158_3 Depth=1
	ds_load_b64 v[46:47], v63 offset:11904
	ds_load_b64 v[48:49], v62
	s_wait_dscnt 0x0
	v_pk_mul_f32 v[50:51], v[48:49], v[46:47] op_sel:[1,1] op_sel_hi:[0,1]
	s_delay_alu instid0(VALU_DEP_1) | instskip(SKIP_1) | instid1(VALU_DEP_2)
	v_pk_fma_f32 v[100:101], v[48:49], v[46:47], v[50:51] op_sel_hi:[1,0,1]
	v_pk_fma_f32 v[46:47], v[48:49], v[46:47], v[50:51] neg_lo:[0,0,1] neg_hi:[0,0,1]
	v_mov_b32_e32 v47, v101
	s_delay_alu instid0(VALU_DEP_1)
	v_pk_add_f32 v[44:45], v[44:45], v[46:47] neg_lo:[0,1] neg_hi:[0,1]
.LBB158_633:                            ;   in Loop: Header=BB158_3 Depth=1
	s_or_b32 exec_lo, exec_lo, s10
	s_barrier_signal -1
	s_barrier_wait -1
	s_and_saveexec_b32 s10, s103
; %bb.634:                              ;   in Loop: Header=BB158_3 Depth=1
	v_pk_add_f32 v[46:47], v[44:45], 0 neg_lo:[1,1] neg_hi:[1,1]
	ds_store_b64 v62, v[46:47]
; %bb.635:                              ;   in Loop: Header=BB158_3 Depth=1
	s_or_b32 exec_lo, exec_lo, s10
	s_wait_dscnt 0x0
	s_barrier_signal -1
	s_barrier_wait -1
	s_and_saveexec_b32 s10, s104
	s_cbranch_execz .LBB158_637
; %bb.636:                              ;   in Loop: Header=BB158_3 Depth=1
	ds_load_b64 v[46:47], v63 offset:11392
	ds_load_b64 v[48:49], v62
	s_wait_dscnt 0x0
	v_dual_mul_f32 v0, v49, v47 :: v_dual_mul_f32 v35, v48, v47
	s_delay_alu instid0(VALU_DEP_1) | instskip(NEXT) | instid1(VALU_DEP_1)
	v_dual_fma_f32 v0, v48, v46, -v0 :: v_dual_fmac_f32 v35, v49, v46
	v_dual_sub_f32 v44, v44, v0 :: v_dual_sub_f32 v45, v45, v35
.LBB158_637:                            ;   in Loop: Header=BB158_3 Depth=1
	s_or_b32 exec_lo, exec_lo, s10
	s_barrier_signal -1
	s_barrier_wait -1
	s_and_saveexec_b32 s10, vcc_hi
; %bb.638:                              ;   in Loop: Header=BB158_3 Depth=1
	v_pk_add_f32 v[46:47], v[44:45], 0 neg_lo:[1,1] neg_hi:[1,1]
	ds_store_b64 v62, v[46:47]
; %bb.639:                              ;   in Loop: Header=BB158_3 Depth=1
	s_or_b32 exec_lo, exec_lo, s10
	s_wait_dscnt 0x0
	s_barrier_signal -1
	s_barrier_wait -1
	s_and_saveexec_b32 s10, s38
	s_cbranch_execz .LBB158_641
; %bb.640:                              ;   in Loop: Header=BB158_3 Depth=1
	ds_load_b64 v[46:47], v63 offset:10880
	ds_load_b64 v[48:49], v62
	s_wait_dscnt 0x0
	v_dual_mul_f32 v0, v49, v47 :: v_dual_mul_f32 v51, v48, v47
	s_delay_alu instid0(VALU_DEP_1) | instskip(NEXT) | instid1(VALU_DEP_1)
	v_dual_fma_f32 v50, v48, v46, -v0 :: v_dual_fmac_f32 v51, v49, v46
	v_pk_add_f32 v[44:45], v[44:45], v[50:51] neg_lo:[0,1] neg_hi:[0,1]
.LBB158_641:                            ;   in Loop: Header=BB158_3 Depth=1
	s_or_b32 exec_lo, exec_lo, s10
	s_barrier_signal -1
	s_barrier_wait -1
	s_and_saveexec_b32 s10, s39
; %bb.642:                              ;   in Loop: Header=BB158_3 Depth=1
	v_pk_add_f32 v[46:47], v[44:45], 0 neg_lo:[1,1] neg_hi:[1,1]
	ds_store_b64 v62, v[46:47]
; %bb.643:                              ;   in Loop: Header=BB158_3 Depth=1
	s_or_b32 exec_lo, exec_lo, s10
	s_wait_dscnt 0x0
	s_barrier_signal -1
	s_barrier_wait -1
	s_and_saveexec_b32 s10, s40
	s_cbranch_execz .LBB158_645
; %bb.644:                              ;   in Loop: Header=BB158_3 Depth=1
	ds_load_b64 v[46:47], v63 offset:10368
	ds_load_b64 v[48:49], v62
	s_wait_dscnt 0x0
	v_pk_mul_f32 v[50:51], v[48:49], v[46:47] op_sel:[1,1] op_sel_hi:[0,1]
	s_delay_alu instid0(VALU_DEP_1) | instskip(SKIP_1) | instid1(VALU_DEP_2)
	v_pk_fma_f32 v[100:101], v[48:49], v[46:47], v[50:51] op_sel_hi:[1,0,1]
	v_pk_fma_f32 v[46:47], v[48:49], v[46:47], v[50:51] neg_lo:[0,0,1] neg_hi:[0,0,1]
	v_mov_b32_e32 v47, v101
	s_delay_alu instid0(VALU_DEP_1)
	v_pk_add_f32 v[44:45], v[44:45], v[46:47] neg_lo:[0,1] neg_hi:[0,1]
.LBB158_645:                            ;   in Loop: Header=BB158_3 Depth=1
	s_or_b32 exec_lo, exec_lo, s10
	s_barrier_signal -1
	s_barrier_wait -1
	s_and_saveexec_b32 s10, s41
; %bb.646:                              ;   in Loop: Header=BB158_3 Depth=1
	v_pk_add_f32 v[46:47], v[44:45], 0 neg_lo:[1,1] neg_hi:[1,1]
	ds_store_b64 v62, v[46:47]
; %bb.647:                              ;   in Loop: Header=BB158_3 Depth=1
	s_or_b32 exec_lo, exec_lo, s10
	s_wait_dscnt 0x0
	s_barrier_signal -1
	s_barrier_wait -1
	s_and_saveexec_b32 s10, s42
	s_cbranch_execz .LBB158_649
; %bb.648:                              ;   in Loop: Header=BB158_3 Depth=1
	ds_load_b64 v[46:47], v63 offset:9856
	ds_load_b64 v[48:49], v62
	s_wait_dscnt 0x0
	v_pk_mul_f32 v[50:51], v[48:49], v[46:47] op_sel:[1,1] op_sel_hi:[0,1]
	s_delay_alu instid0(VALU_DEP_1) | instskip(SKIP_1) | instid1(VALU_DEP_2)
	v_pk_fma_f32 v[100:101], v[48:49], v[46:47], v[50:51] op_sel_hi:[1,0,1]
	v_pk_fma_f32 v[46:47], v[48:49], v[46:47], v[50:51] neg_lo:[0,0,1] neg_hi:[0,0,1]
	v_mov_b32_e32 v47, v101
	s_delay_alu instid0(VALU_DEP_1)
	v_pk_add_f32 v[44:45], v[44:45], v[46:47] neg_lo:[0,1] neg_hi:[0,1]
.LBB158_649:                            ;   in Loop: Header=BB158_3 Depth=1
	;; [unrolled: 26-line block ×4, first 2 shown]
	s_or_b32 exec_lo, exec_lo, s10
	s_barrier_signal -1
	s_barrier_wait -1
	s_and_saveexec_b32 s10, s46
; %bb.658:                              ;   in Loop: Header=BB158_3 Depth=1
	v_pk_add_f32 v[46:47], v[44:45], 0 neg_lo:[1,1] neg_hi:[1,1]
	ds_store_b64 v62, v[46:47]
; %bb.659:                              ;   in Loop: Header=BB158_3 Depth=1
	s_or_b32 exec_lo, exec_lo, s10
	s_wait_dscnt 0x0
	s_barrier_signal -1
	s_barrier_wait -1
	s_barrier_signal -1
	s_barrier_wait -1
	s_and_saveexec_b32 s10, s6
; %bb.660:                              ;   in Loop: Header=BB158_3 Depth=1
	ds_store_b64 v65, v[44:45] offset:16000
; %bb.661:                              ;   in Loop: Header=BB158_3 Depth=1
	s_or_b32 exec_lo, exec_lo, s10
	s_wait_dscnt 0x0
	s_barrier_signal -1
	s_barrier_wait -1
	s_barrier_signal -1
	s_barrier_wait -1
	s_and_saveexec_b32 s10, s47
	s_cbranch_execz .LBB158_663
; %bb.662:                              ;   in Loop: Header=BB158_3 Depth=1
	ds_load_b64 v[44:45], v79 offset:12416
	s_wait_dscnt 0x0
	ds_store_b64 v80, v[44:45] offset:8384
	ds_load_b64 v[44:45], v79 offset:12424
	s_wait_dscnt 0x0
	ds_store_b64 v80, v[44:45] offset:8896
	;; [unrolled: 3-line block ×8, first 2 shown]
.LBB158_663:                            ;   in Loop: Header=BB158_3 Depth=1
	s_or_b32 exec_lo, exec_lo, s10
	s_wait_dscnt 0x0
	s_barrier_signal -1
	s_barrier_wait -1
	s_and_saveexec_b32 s10, s11
	s_cbranch_execz .LBB158_665
; %bb.664:                              ;   in Loop: Header=BB158_3 Depth=1
	ds_load_b64 v[44:45], v1 offset:11952
	v_add_nc_u32_e64 v0, 0x2800, 0
	ds_store_b64 v1, v[38:39] offset:11960
	s_wait_dscnt 0x1
	ds_store_2addr_b64 v0, v[38:39], v[44:45] offset0:150 offset1:151
.LBB158_665:                            ;   in Loop: Header=BB158_3 Depth=1
	s_or_b32 exec_lo, exec_lo, s10
	v_dual_mov_b32 v44, 0 :: v_dual_mov_b32 v45, 0
	s_wait_dscnt 0x0
	s_barrier_signal -1
	s_barrier_wait -1
	global_wb scope:SCOPE_DEV
	s_wait_storecnt 0x0
	global_inv scope:SCOPE_DEV
	s_and_saveexec_b32 s13, s3
	s_cbranch_execz .LBB158_669
; %bb.666:                              ;   in Loop: Header=BB158_3 Depth=1
	ds_load_b64 v[44:45], v53 offset:11424
	ds_load_b64 v[46:47], v54 offset:11952
	s_wait_dscnt 0x0
	v_pk_mul_f32 v[48:49], v[46:47], v[44:45] op_sel:[1,1] op_sel_hi:[0,1]
	s_delay_alu instid0(VALU_DEP_1) | instskip(SKIP_1) | instid1(VALU_DEP_2)
	v_pk_fma_f32 v[50:51], v[46:47], v[44:45], v[48:49] op_sel_hi:[1,0,1]
	v_pk_fma_f32 v[44:45], v[46:47], v[44:45], v[48:49] neg_lo:[0,0,1] neg_hi:[0,0,1]
	v_mov_b32_e32 v45, v51
	s_delay_alu instid0(VALU_DEP_1)
	v_pk_add_f32 v[44:45], v[44:45], 0 op_sel_hi:[1,0]
	s_and_saveexec_b32 s10, s14
	s_cbranch_execz .LBB158_668
; %bb.667:                              ;   in Loop: Header=BB158_3 Depth=1
	ds_load_b64 v[46:47], v80 offset:11936
	ds_load_b64 v[48:49], v1 offset:11960
	s_wait_dscnt 0x0
	v_pk_mul_f32 v[50:51], v[48:49], v[46:47] op_sel:[1,1] op_sel_hi:[0,1]
	s_delay_alu instid0(VALU_DEP_1) | instskip(SKIP_1) | instid1(VALU_DEP_2)
	v_pk_fma_f32 v[100:101], v[48:49], v[46:47], v[50:51] op_sel_hi:[1,0,1]
	v_pk_fma_f32 v[46:47], v[48:49], v[46:47], v[50:51] neg_lo:[0,0,1] neg_hi:[0,0,1]
	v_mov_b32_e32 v47, v101
	s_delay_alu instid0(VALU_DEP_1)
	v_pk_add_f32 v[44:45], v[44:45], v[46:47]
.LBB158_668:                            ;   in Loop: Header=BB158_3 Depth=1
	s_or_b32 exec_lo, exec_lo, s10
.LBB158_669:                            ;   in Loop: Header=BB158_3 Depth=1
	s_delay_alu instid0(SALU_CYCLE_1)
	s_or_b32 exec_lo, exec_lo, s13
	s_and_saveexec_b32 s10, s91
; %bb.670:                              ;   in Loop: Header=BB158_3 Depth=1
	s_delay_alu instid0(VALU_DEP_1)
	v_pk_add_f32 v[46:47], v[44:45], 0 neg_lo:[1,1] neg_hi:[1,1]
	ds_store_b64 v52, v[46:47]
; %bb.671:                              ;   in Loop: Header=BB158_3 Depth=1
	s_or_b32 exec_lo, exec_lo, s10
	s_wait_loadcnt_dscnt 0x0
	s_barrier_signal -1
	s_barrier_wait -1
	s_and_saveexec_b32 s10, s92
	s_cbranch_execz .LBB158_673
; %bb.672:                              ;   in Loop: Header=BB158_3 Depth=1
	ds_load_b64 v[46:47], v1 offset:10912
	ds_load_b64 v[48:49], v52
	s_wait_dscnt 0x0
	v_pk_mul_f32 v[50:51], v[48:49], v[46:47] op_sel_hi:[1,0]
	s_delay_alu instid0(VALU_DEP_1) | instskip(SKIP_1) | instid1(VALU_DEP_2)
	v_pk_fma_f32 v[100:101], v[48:49], v[46:47], v[50:51] op_sel:[1,1,0] op_sel_hi:[0,1,1]
	v_pk_fma_f32 v[46:47], v[48:49], v[46:47], v[50:51] op_sel:[1,1,0] op_sel_hi:[0,1,1] neg_lo:[0,0,1] neg_hi:[0,0,1]
	v_pk_add_f32 v[48:49], v[44:45], v[100:101] neg_lo:[0,1] neg_hi:[0,1]
	s_delay_alu instid0(VALU_DEP_2) | instskip(NEXT) | instid1(VALU_DEP_2)
	v_pk_add_f32 v[44:45], v[44:45], v[46:47]
	v_mov_b32_e32 v45, v49
.LBB158_673:                            ;   in Loop: Header=BB158_3 Depth=1
	s_or_b32 exec_lo, exec_lo, s10
	s_barrier_signal -1
	s_barrier_wait -1
	s_and_saveexec_b32 s10, s92
; %bb.674:                              ;   in Loop: Header=BB158_3 Depth=1
	v_pk_add_f32 v[46:47], v[44:45], 0 neg_lo:[1,1] neg_hi:[1,1]
	ds_store_b64 v52, v[46:47]
; %bb.675:                              ;   in Loop: Header=BB158_3 Depth=1
	s_or_b32 exec_lo, exec_lo, s10
	s_wait_dscnt 0x0
	s_barrier_signal -1
	s_barrier_wait -1
	s_barrier_signal -1
	s_barrier_wait -1
	s_and_saveexec_b32 s10, s3
; %bb.676:                              ;   in Loop: Header=BB158_3 Depth=1
	ds_store_b64 v56, v[44:45] offset:11936
; %bb.677:                              ;   in Loop: Header=BB158_3 Depth=1
	s_or_b32 exec_lo, exec_lo, s10
	s_wait_dscnt 0x0
	s_barrier_signal -1
	s_barrier_wait -1
	s_barrier_signal -1
	s_barrier_wait -1
	s_and_saveexec_b32 s10, s93
	s_cbranch_execz .LBB158_679
; %bb.678:                              ;   in Loop: Header=BB158_3 Depth=1
	ds_load_b64 v[44:45], v3 offset:11424
	s_wait_dscnt 0x0
	ds_store_b64 v80, v[44:45] offset:10416
	ds_load_b64 v[44:45], v3 offset:11432
	s_wait_dscnt 0x0
	ds_store_b64 v80, v[44:45] offset:10928
.LBB158_679:                            ;   in Loop: Header=BB158_3 Depth=1
	s_or_b32 exec_lo, exec_lo, s10
	s_wait_dscnt 0x0
	s_barrier_signal -1
	s_barrier_wait -1
	s_and_saveexec_b32 s10, s11
	s_cbranch_execz .LBB158_681
; %bb.680:                              ;   in Loop: Header=BB158_3 Depth=1
	ds_load_b64 v[44:45], v1 offset:10912
	v_add_nc_u32_e64 v0, 0x2800, 0
	ds_store_b64 v1, v[38:39] offset:10920
	s_wait_dscnt 0x1
	ds_store_2addr_b64 v0, v[38:39], v[44:45] offset0:20 offset1:21
.LBB158_681:                            ;   in Loop: Header=BB158_3 Depth=1
	s_or_b32 exec_lo, exec_lo, s10
	v_mov_b64_e32 v[44:45], 0
	s_wait_dscnt 0x0
	s_barrier_signal -1
	s_barrier_wait -1
	global_wb scope:SCOPE_DEV
	s_wait_storecnt 0x0
	global_inv scope:SCOPE_DEV
	s_and_saveexec_b32 s13, s5
	s_cbranch_execz .LBB158_687
; %bb.682:                              ;   in Loop: Header=BB158_3 Depth=1
	ds_load_b64 v[44:45], v59 offset:10368
	ds_load_b64 v[46:47], v60 offset:11936
	s_wait_dscnt 0x0
	v_dual_mul_f32 v0, v47, v45 :: v_dual_mul_f32 v35, v46, v45
	s_delay_alu instid0(VALU_DEP_1) | instskip(NEXT) | instid1(VALU_DEP_1)
	v_dual_fma_f32 v0, v46, v44, -v0 :: v_dual_fmac_f32 v35, v47, v44
	v_dual_add_f32 v44, 0, v0 :: v_dual_add_f32 v45, 0, v35
	s_and_saveexec_b32 s10, s15
	s_cbranch_execnz .LBB158_1096
; %bb.683:                              ;   in Loop: Header=BB158_3 Depth=1
	s_or_b32 exec_lo, exec_lo, s10
	s_and_saveexec_b32 s10, s16
	s_cbranch_execnz .LBB158_1097
.LBB158_684:                            ;   in Loop: Header=BB158_3 Depth=1
	s_or_b32 exec_lo, exec_lo, s10
	s_and_saveexec_b32 s10, s3
	s_cbranch_execz .LBB158_686
.LBB158_685:                            ;   in Loop: Header=BB158_3 Depth=1
	ds_load_b64 v[46:47], v81 offset:11904
	ds_load_b64 v[48:49], v1 offset:11960
	s_wait_dscnt 0x0
	v_pk_mul_f32 v[50:51], v[48:49], v[46:47] op_sel:[1,1] op_sel_hi:[0,1]
	s_delay_alu instid0(VALU_DEP_1) | instskip(SKIP_1) | instid1(VALU_DEP_2)
	v_pk_fma_f32 v[100:101], v[48:49], v[46:47], v[50:51] op_sel_hi:[1,0,1]
	v_pk_fma_f32 v[46:47], v[48:49], v[46:47], v[50:51] neg_lo:[0,0,1] neg_hi:[0,0,1]
	v_mov_b32_e32 v47, v101
	s_delay_alu instid0(VALU_DEP_1)
	v_pk_add_f32 v[44:45], v[44:45], v[46:47]
.LBB158_686:                            ;   in Loop: Header=BB158_3 Depth=1
	s_or_b32 exec_lo, exec_lo, s10
.LBB158_687:                            ;   in Loop: Header=BB158_3 Depth=1
	s_delay_alu instid0(SALU_CYCLE_1)
	s_or_b32 exec_lo, exec_lo, s13
	s_and_saveexec_b32 s10, s94
; %bb.688:                              ;   in Loop: Header=BB158_3 Depth=1
	s_delay_alu instid0(VALU_DEP_1)
	v_pk_add_f32 v[46:47], v[44:45], 0 neg_lo:[1,1] neg_hi:[1,1]
	ds_store_b64 v58, v[46:47]
; %bb.689:                              ;   in Loop: Header=BB158_3 Depth=1
	s_or_b32 exec_lo, exec_lo, s10
	s_wait_loadcnt_dscnt 0x0
	s_barrier_signal -1
	s_barrier_wait -1
	s_and_saveexec_b32 s10, s95
	s_cbranch_execz .LBB158_691
; %bb.690:                              ;   in Loop: Header=BB158_3 Depth=1
	ds_load_b64 v[46:47], v59 offset:9856
	ds_load_b64 v[48:49], v58
	s_wait_dscnt 0x0
	v_pk_mul_f32 v[50:51], v[48:49], v[46:47] op_sel:[1,1] op_sel_hi:[0,1]
	s_delay_alu instid0(VALU_DEP_1) | instskip(SKIP_1) | instid1(VALU_DEP_2)
	v_pk_fma_f32 v[100:101], v[48:49], v[46:47], v[50:51] op_sel_hi:[1,0,1]
	v_pk_fma_f32 v[46:47], v[48:49], v[46:47], v[50:51] neg_lo:[0,0,1] neg_hi:[0,0,1]
	v_mov_b32_e32 v47, v101
	s_delay_alu instid0(VALU_DEP_1)
	v_pk_add_f32 v[44:45], v[44:45], v[46:47] neg_lo:[0,1] neg_hi:[0,1]
.LBB158_691:                            ;   in Loop: Header=BB158_3 Depth=1
	s_or_b32 exec_lo, exec_lo, s10
	s_barrier_signal -1
	s_barrier_wait -1
	s_and_saveexec_b32 s10, s96
; %bb.692:                              ;   in Loop: Header=BB158_3 Depth=1
	v_pk_add_f32 v[46:47], v[44:45], 0 neg_lo:[1,1] neg_hi:[1,1]
	ds_store_b64 v58, v[46:47]
; %bb.693:                              ;   in Loop: Header=BB158_3 Depth=1
	s_or_b32 exec_lo, exec_lo, s10
	s_wait_dscnt 0x0
	s_barrier_signal -1
	s_barrier_wait -1
	s_and_saveexec_b32 s10, s97
	s_cbranch_execz .LBB158_695
; %bb.694:                              ;   in Loop: Header=BB158_3 Depth=1
	ds_load_b64 v[46:47], v59 offset:9344
	ds_load_b64 v[48:49], v58
	s_wait_dscnt 0x0
	v_pk_mul_f32 v[50:51], v[48:49], v[46:47] op_sel:[1,1] op_sel_hi:[0,1]
	s_delay_alu instid0(VALU_DEP_1) | instskip(SKIP_1) | instid1(VALU_DEP_2)
	v_pk_fma_f32 v[100:101], v[48:49], v[46:47], v[50:51] op_sel_hi:[1,0,1]
	v_pk_fma_f32 v[46:47], v[48:49], v[46:47], v[50:51] neg_lo:[0,0,1] neg_hi:[0,0,1]
	v_mov_b32_e32 v47, v101
	s_delay_alu instid0(VALU_DEP_1)
	v_pk_add_f32 v[44:45], v[44:45], v[46:47] neg_lo:[0,1] neg_hi:[0,1]
.LBB158_695:                            ;   in Loop: Header=BB158_3 Depth=1
	s_or_b32 exec_lo, exec_lo, s10
	s_barrier_signal -1
	s_barrier_wait -1
	s_and_saveexec_b32 s10, s98
; %bb.696:                              ;   in Loop: Header=BB158_3 Depth=1
	v_pk_add_f32 v[46:47], v[44:45], 0 neg_lo:[1,1] neg_hi:[1,1]
	ds_store_b64 v58, v[46:47]
; %bb.697:                              ;   in Loop: Header=BB158_3 Depth=1
	s_or_b32 exec_lo, exec_lo, s10
	s_wait_dscnt 0x0
	s_barrier_signal -1
	s_barrier_wait -1
	s_and_saveexec_b32 s10, s99
	s_cbranch_execz .LBB158_699
; %bb.698:                              ;   in Loop: Header=BB158_3 Depth=1
	ds_load_b64 v[46:47], v1 offset:8832
	ds_load_b64 v[48:49], v58
	s_wait_dscnt 0x0
	v_pk_mul_f32 v[50:51], v[48:49], v[46:47] op_sel:[1,1] op_sel_hi:[0,1]
	s_delay_alu instid0(VALU_DEP_1) | instskip(SKIP_1) | instid1(VALU_DEP_2)
	v_pk_fma_f32 v[100:101], v[48:49], v[46:47], v[50:51] op_sel_hi:[1,0,1]
	v_pk_fma_f32 v[46:47], v[48:49], v[46:47], v[50:51] neg_lo:[0,0,1] neg_hi:[0,0,1]
	v_mov_b32_e32 v47, v101
	s_delay_alu instid0(VALU_DEP_1)
	v_pk_add_f32 v[44:45], v[44:45], v[46:47] neg_lo:[0,1] neg_hi:[0,1]
.LBB158_699:                            ;   in Loop: Header=BB158_3 Depth=1
	s_or_b32 exec_lo, exec_lo, s10
	s_barrier_signal -1
	s_barrier_wait -1
	s_and_saveexec_b32 s10, s99
; %bb.700:                              ;   in Loop: Header=BB158_3 Depth=1
	v_pk_add_f32 v[46:47], v[44:45], 0 neg_lo:[1,1] neg_hi:[1,1]
	ds_store_b64 v58, v[46:47]
; %bb.701:                              ;   in Loop: Header=BB158_3 Depth=1
	s_or_b32 exec_lo, exec_lo, s10
	s_wait_dscnt 0x0
	s_barrier_signal -1
	s_barrier_wait -1
	s_barrier_signal -1
	s_barrier_wait -1
	s_and_saveexec_b32 s10, s5
; %bb.702:                              ;   in Loop: Header=BB158_3 Depth=1
	ds_store_b64 v61, v[44:45] offset:11904
; %bb.703:                              ;   in Loop: Header=BB158_3 Depth=1
	s_or_b32 exec_lo, exec_lo, s10
	s_wait_dscnt 0x0
	s_barrier_signal -1
	s_barrier_wait -1
	s_barrier_signal -1
	s_barrier_wait -1
	s_and_saveexec_b32 s10, s100
	s_cbranch_execz .LBB158_705
; %bb.704:                              ;   in Loop: Header=BB158_3 Depth=1
	ds_load_b64 v[44:45], v84 offset:10368
	s_wait_dscnt 0x0
	ds_store_b64 v86, v[44:45] offset:8352
	ds_load_b64 v[44:45], v84 offset:10376
	s_wait_dscnt 0x0
	ds_store_b64 v86, v[44:45] offset:8864
	ds_load_b64 v[44:45], v84 offset:10384
	s_wait_dscnt 0x0
	ds_store_b64 v86, v[44:45] offset:9376
	ds_load_b64 v[44:45], v84 offset:10392
	s_wait_dscnt 0x0
	ds_store_b64 v86, v[44:45] offset:9888
.LBB158_705:                            ;   in Loop: Header=BB158_3 Depth=1
	s_or_b32 exec_lo, exec_lo, s10
	s_wait_dscnt 0x0
	s_barrier_signal -1
	s_barrier_wait -1
	s_and_saveexec_b32 s10, s11
	s_cbranch_execz .LBB158_707
; %bb.706:                              ;   in Loop: Header=BB158_3 Depth=1
	ds_load_b64 v[44:45], v1 offset:9872
	v_add_nc_u32_e64 v0, 0x2000, 0
	ds_store_b64 v1, v[38:39] offset:9880
	s_wait_dscnt 0x1
	ds_store_2addr_b64 v0, v[38:39], v[44:45] offset0:146 offset1:147
.LBB158_707:                            ;   in Loop: Header=BB158_3 Depth=1
	s_or_b32 exec_lo, exec_lo, s10
	v_dual_mov_b32 v44, 0 :: v_dual_mov_b32 v45, 0
	s_wait_dscnt 0x0
	s_barrier_signal -1
	s_barrier_wait -1
	global_wb scope:SCOPE_DEV
	s_wait_storecnt 0x0
	global_inv scope:SCOPE_DEV
	s_and_saveexec_b32 s13, s3
	s_cbranch_execz .LBB158_711
; %bb.708:                              ;   in Loop: Header=BB158_3 Depth=1
	ds_load_b64 v[44:45], v53 offset:9344
	ds_load_b64 v[46:47], v54 offset:9872
	s_wait_dscnt 0x0
	v_pk_mul_f32 v[48:49], v[46:47], v[44:45] op_sel:[1,1] op_sel_hi:[0,1]
	s_delay_alu instid0(VALU_DEP_1) | instskip(SKIP_1) | instid1(VALU_DEP_2)
	v_pk_fma_f32 v[50:51], v[46:47], v[44:45], v[48:49] op_sel_hi:[1,0,1]
	v_pk_fma_f32 v[44:45], v[46:47], v[44:45], v[48:49] neg_lo:[0,0,1] neg_hi:[0,0,1]
	v_mov_b32_e32 v45, v51
	s_delay_alu instid0(VALU_DEP_1)
	v_pk_add_f32 v[44:45], v[44:45], 0 op_sel_hi:[1,0]
	s_and_saveexec_b32 s10, s14
	s_cbranch_execz .LBB158_710
; %bb.709:                              ;   in Loop: Header=BB158_3 Depth=1
	ds_load_b64 v[46:47], v86 offset:9856
	ds_load_b64 v[48:49], v1 offset:9880
	s_wait_dscnt 0x0
	v_pk_mul_f32 v[50:51], v[48:49], v[46:47] op_sel:[1,1] op_sel_hi:[0,1]
	s_delay_alu instid0(VALU_DEP_1) | instskip(SKIP_1) | instid1(VALU_DEP_2)
	v_pk_fma_f32 v[100:101], v[48:49], v[46:47], v[50:51] op_sel_hi:[1,0,1]
	v_pk_fma_f32 v[46:47], v[48:49], v[46:47], v[50:51] neg_lo:[0,0,1] neg_hi:[0,0,1]
	v_mov_b32_e32 v47, v101
	s_delay_alu instid0(VALU_DEP_1)
	v_pk_add_f32 v[44:45], v[44:45], v[46:47]
.LBB158_710:                            ;   in Loop: Header=BB158_3 Depth=1
	s_or_b32 exec_lo, exec_lo, s10
.LBB158_711:                            ;   in Loop: Header=BB158_3 Depth=1
	s_delay_alu instid0(SALU_CYCLE_1)
	s_or_b32 exec_lo, exec_lo, s13
	s_and_saveexec_b32 s10, s91
; %bb.712:                              ;   in Loop: Header=BB158_3 Depth=1
	s_delay_alu instid0(VALU_DEP_1)
	v_pk_add_f32 v[46:47], v[44:45], 0 neg_lo:[1,1] neg_hi:[1,1]
	ds_store_b64 v52, v[46:47]
; %bb.713:                              ;   in Loop: Header=BB158_3 Depth=1
	s_or_b32 exec_lo, exec_lo, s10
	s_wait_loadcnt_dscnt 0x0
	s_barrier_signal -1
	s_barrier_wait -1
	s_and_saveexec_b32 s10, s92
	s_cbranch_execz .LBB158_715
; %bb.714:                              ;   in Loop: Header=BB158_3 Depth=1
	ds_load_b64 v[46:47], v1 offset:8832
	ds_load_b64 v[48:49], v52
	s_wait_dscnt 0x0
	v_pk_mul_f32 v[50:51], v[48:49], v[46:47] op_sel_hi:[1,0]
	s_delay_alu instid0(VALU_DEP_1) | instskip(SKIP_1) | instid1(VALU_DEP_2)
	v_pk_fma_f32 v[100:101], v[48:49], v[46:47], v[50:51] op_sel:[1,1,0] op_sel_hi:[0,1,1]
	v_pk_fma_f32 v[46:47], v[48:49], v[46:47], v[50:51] op_sel:[1,1,0] op_sel_hi:[0,1,1] neg_lo:[0,0,1] neg_hi:[0,0,1]
	v_pk_add_f32 v[48:49], v[44:45], v[100:101] neg_lo:[0,1] neg_hi:[0,1]
	s_delay_alu instid0(VALU_DEP_2) | instskip(NEXT) | instid1(VALU_DEP_2)
	v_pk_add_f32 v[44:45], v[44:45], v[46:47]
	v_mov_b32_e32 v45, v49
.LBB158_715:                            ;   in Loop: Header=BB158_3 Depth=1
	s_or_b32 exec_lo, exec_lo, s10
	s_barrier_signal -1
	s_barrier_wait -1
	s_and_saveexec_b32 s10, s92
; %bb.716:                              ;   in Loop: Header=BB158_3 Depth=1
	v_pk_add_f32 v[46:47], v[44:45], 0 neg_lo:[1,1] neg_hi:[1,1]
	ds_store_b64 v52, v[46:47]
; %bb.717:                              ;   in Loop: Header=BB158_3 Depth=1
	s_or_b32 exec_lo, exec_lo, s10
	s_wait_dscnt 0x0
	s_barrier_signal -1
	s_barrier_wait -1
	s_barrier_signal -1
	s_barrier_wait -1
	s_and_saveexec_b32 s10, s3
; %bb.718:                              ;   in Loop: Header=BB158_3 Depth=1
	ds_store_b64 v56, v[44:45] offset:9856
; %bb.719:                              ;   in Loop: Header=BB158_3 Depth=1
	s_or_b32 exec_lo, exec_lo, s10
	s_wait_dscnt 0x0
	s_barrier_signal -1
	s_barrier_wait -1
	s_barrier_signal -1
	s_barrier_wait -1
	s_and_saveexec_b32 s10, s93
	s_cbranch_execz .LBB158_721
; %bb.720:                              ;   in Loop: Header=BB158_3 Depth=1
	ds_load_b64 v[44:45], v88 offset:9344
	s_wait_dscnt 0x0
	ds_store_b64 v86, v[44:45] offset:8336
	ds_load_b64 v[44:45], v88 offset:9352
	s_wait_dscnt 0x0
	ds_store_b64 v86, v[44:45] offset:8848
.LBB158_721:                            ;   in Loop: Header=BB158_3 Depth=1
	s_or_b32 exec_lo, exec_lo, s10
	s_wait_dscnt 0x0
	s_barrier_signal -1
	s_barrier_wait -1
	s_and_saveexec_b32 s10, s11
	s_cbranch_execz .LBB158_723
; %bb.722:                              ;   in Loop: Header=BB158_3 Depth=1
	ds_load_b64 v[44:45], v1 offset:8832
	v_add_nc_u32_e64 v0, 0x2000, 0
	ds_store_b64 v1, v[38:39] offset:8840
	s_wait_dscnt 0x1
	ds_store_2addr_b64 v0, v[38:39], v[44:45] offset0:16 offset1:17
.LBB158_723:                            ;   in Loop: Header=BB158_3 Depth=1
	s_or_b32 exec_lo, exec_lo, s10
	v_mov_b64_e32 v[44:45], 0
	s_wait_dscnt 0x0
	s_barrier_signal -1
	s_barrier_wait -1
	global_wb scope:SCOPE_DEV
	s_wait_storecnt 0x0
	global_inv scope:SCOPE_DEV
	s_and_saveexec_b32 s62, s7
	s_cbranch_execz .LBB158_751
; %bb.724:                              ;   in Loop: Header=BB158_3 Depth=1
	ds_load_b64 v[44:45], v67 offset:8192
	ds_load_b64 v[46:47], v68 offset:16000
	s_wait_dscnt 0x0
	v_dual_mul_f32 v0, v47, v45 :: v_dual_mul_f32 v35, v46, v45
	s_delay_alu instid0(VALU_DEP_1) | instskip(NEXT) | instid1(VALU_DEP_1)
	v_dual_fma_f32 v0, v46, v44, -v0 :: v_dual_fmac_f32 v35, v47, v44
	v_dual_add_f32 v44, 0, v0 :: v_dual_add_f32 v45, 0, v35
	s_mov_b32 s10, exec_lo
	v_readlane_b32 s13, v109, 23
	s_and_b32 s13, s10, s13
	s_delay_alu instid0(SALU_CYCLE_1)
	s_mov_b32 exec_lo, s13
	s_cbranch_execz .LBB158_726
; %bb.725:                              ;   in Loop: Header=BB158_3 Depth=1
	ds_load_b64 v[46:47], v67 offset:8704
	ds_load_b64 v[48:49], v68 offset:16008
	s_wait_dscnt 0x0
	v_dual_mul_f32 v0, v49, v47 :: v_dual_mul_f32 v35, v48, v47
	s_delay_alu instid0(VALU_DEP_1) | instskip(NEXT) | instid1(VALU_DEP_1)
	v_dual_fma_f32 v0, v48, v46, -v0 :: v_dual_fmac_f32 v35, v49, v46
	v_dual_add_f32 v44, v44, v0 :: v_dual_add_f32 v45, v45, v35
.LBB158_726:                            ;   in Loop: Header=BB158_3 Depth=1
	s_or_b32 exec_lo, exec_lo, s10
	s_delay_alu instid0(SALU_CYCLE_1) | instskip(SKIP_2) | instid1(SALU_CYCLE_1)
	s_mov_b32 s10, exec_lo
	v_readlane_b32 s13, v109, 24
	s_and_b32 s13, s10, s13
	s_mov_b32 exec_lo, s13
	s_cbranch_execz .LBB158_728
; %bb.727:                              ;   in Loop: Header=BB158_3 Depth=1
	ds_load_b64 v[46:47], v67 offset:9216
	ds_load_b64 v[48:49], v68 offset:16016
	s_wait_dscnt 0x0
	v_dual_mul_f32 v0, v49, v47 :: v_dual_mul_f32 v35, v48, v47
	s_delay_alu instid0(VALU_DEP_1) | instskip(NEXT) | instid1(VALU_DEP_1)
	v_dual_fma_f32 v0, v48, v46, -v0 :: v_dual_fmac_f32 v35, v49, v46
	v_dual_add_f32 v44, v44, v0 :: v_dual_add_f32 v45, v45, v35
.LBB158_728:                            ;   in Loop: Header=BB158_3 Depth=1
	s_or_b32 exec_lo, exec_lo, s10
	s_delay_alu instid0(SALU_CYCLE_1) | instskip(SKIP_2) | instid1(SALU_CYCLE_1)
	s_mov_b32 s10, exec_lo
	v_readlane_b32 s13, v109, 25
	s_and_b32 s13, s10, s13
	;; [unrolled: 16-line block ×10, first 2 shown]
	s_mov_b32 exec_lo, s13
	s_cbranch_execnz .LBB158_1098
; %bb.745:                              ;   in Loop: Header=BB158_3 Depth=1
	s_or_b32 exec_lo, exec_lo, s10
	s_and_saveexec_b32 s10, s6
	s_cbranch_execnz .LBB158_1099
.LBB158_746:                            ;   in Loop: Header=BB158_3 Depth=1
	s_or_b32 exec_lo, exec_lo, s10
	s_and_saveexec_b32 s10, s18
	s_cbranch_execnz .LBB158_1100
.LBB158_747:                            ;   in Loop: Header=BB158_3 Depth=1
	s_or_b32 exec_lo, exec_lo, s10
	s_and_saveexec_b32 s10, s21
	s_cbranch_execnz .LBB158_1101
.LBB158_748:                            ;   in Loop: Header=BB158_3 Depth=1
	s_or_b32 exec_lo, exec_lo, s10
	s_and_saveexec_b32 s10, s5
	s_cbranch_execz .LBB158_750
.LBB158_749:                            ;   in Loop: Header=BB158_3 Depth=1
	ds_load_b64 v[46:47], v55 offset:15872
	ds_load_b64 v[48:49], v1 offset:16120
	s_wait_dscnt 0x0
	v_pk_mul_f32 v[50:51], v[48:49], v[46:47] op_sel:[1,1] op_sel_hi:[0,1]
	s_delay_alu instid0(VALU_DEP_1) | instskip(SKIP_1) | instid1(VALU_DEP_2)
	v_pk_fma_f32 v[100:101], v[48:49], v[46:47], v[50:51] op_sel_hi:[1,0,1]
	v_pk_fma_f32 v[46:47], v[48:49], v[46:47], v[50:51] neg_lo:[0,0,1] neg_hi:[0,0,1]
	v_mov_b32_e32 v47, v101
	s_delay_alu instid0(VALU_DEP_1)
	v_pk_add_f32 v[44:45], v[44:45], v[46:47]
.LBB158_750:                            ;   in Loop: Header=BB158_3 Depth=1
	s_or_b32 exec_lo, exec_lo, s10
.LBB158_751:                            ;   in Loop: Header=BB158_3 Depth=1
	s_delay_alu instid0(SALU_CYCLE_1) | instskip(NEXT) | instid1(SALU_CYCLE_1)
	s_or_b32 exec_lo, exec_lo, s62
	s_mov_b32 s10, exec_lo
	v_readlane_b32 s13, v109, 1
	s_and_b32 s13, s10, s13
	s_delay_alu instid0(SALU_CYCLE_1)
	s_mov_b32 exec_lo, s13
; %bb.752:                              ;   in Loop: Header=BB158_3 Depth=1
	v_pk_add_f32 v[46:47], v[44:45], 0 neg_lo:[1,1] neg_hi:[1,1]
	ds_store_b64 v66, v[46:47]
; %bb.753:                              ;   in Loop: Header=BB158_3 Depth=1
	s_or_b32 exec_lo, exec_lo, s10
	s_wait_loadcnt_dscnt 0x0
	s_barrier_signal -1
	s_barrier_wait -1
	s_mov_b32 s10, exec_lo
	v_readlane_b32 s13, v109, 2
	s_and_b32 s13, s10, s13
	s_delay_alu instid0(SALU_CYCLE_1)
	s_mov_b32 exec_lo, s13
	s_cbranch_execz .LBB158_755
; %bb.754:                              ;   in Loop: Header=BB158_3 Depth=1
	ds_load_b64 v[46:47], v67 offset:7680
	ds_load_b64 v[48:49], v66
	s_wait_dscnt 0x0
	v_pk_mul_f32 v[50:51], v[48:49], v[46:47] op_sel:[1,1] op_sel_hi:[0,1]
	s_delay_alu instid0(VALU_DEP_1) | instskip(SKIP_1) | instid1(VALU_DEP_2)
	v_pk_fma_f32 v[100:101], v[48:49], v[46:47], v[50:51] op_sel_hi:[1,0,1]
	v_pk_fma_f32 v[46:47], v[48:49], v[46:47], v[50:51] neg_lo:[0,0,1] neg_hi:[0,0,1]
	v_mov_b32_e32 v47, v101
	s_delay_alu instid0(VALU_DEP_1)
	v_pk_add_f32 v[44:45], v[44:45], v[46:47] neg_lo:[0,1] neg_hi:[0,1]
.LBB158_755:                            ;   in Loop: Header=BB158_3 Depth=1
	s_or_b32 exec_lo, exec_lo, s10
	s_barrier_signal -1
	s_barrier_wait -1
	s_mov_b32 s10, exec_lo
	v_readlane_b32 s13, v109, 3
	s_and_b32 s13, s10, s13
	s_delay_alu instid0(SALU_CYCLE_1)
	s_mov_b32 exec_lo, s13
; %bb.756:                              ;   in Loop: Header=BB158_3 Depth=1
	v_pk_add_f32 v[46:47], v[44:45], 0 neg_lo:[1,1] neg_hi:[1,1]
	ds_store_b64 v66, v[46:47]
; %bb.757:                              ;   in Loop: Header=BB158_3 Depth=1
	s_or_b32 exec_lo, exec_lo, s10
	s_wait_dscnt 0x0
	s_barrier_signal -1
	s_barrier_wait -1
	s_mov_b32 s10, exec_lo
	v_readlane_b32 s13, v109, 4
	s_and_b32 s13, s10, s13
	s_delay_alu instid0(SALU_CYCLE_1)
	s_mov_b32 exec_lo, s13
	s_cbranch_execz .LBB158_759
; %bb.758:                              ;   in Loop: Header=BB158_3 Depth=1
	ds_load_b64 v[46:47], v67 offset:7168
	ds_load_b64 v[48:49], v66
	s_wait_dscnt 0x0
	v_pk_mul_f32 v[50:51], v[48:49], v[46:47] op_sel:[1,1] op_sel_hi:[0,1]
	s_delay_alu instid0(VALU_DEP_1) | instskip(SKIP_1) | instid1(VALU_DEP_2)
	v_pk_fma_f32 v[100:101], v[48:49], v[46:47], v[50:51] op_sel_hi:[1,0,1]
	v_pk_fma_f32 v[46:47], v[48:49], v[46:47], v[50:51] neg_lo:[0,0,1] neg_hi:[0,0,1]
	v_mov_b32_e32 v47, v101
	s_delay_alu instid0(VALU_DEP_1)
	v_pk_add_f32 v[44:45], v[44:45], v[46:47] neg_lo:[0,1] neg_hi:[0,1]
.LBB158_759:                            ;   in Loop: Header=BB158_3 Depth=1
	s_or_b32 exec_lo, exec_lo, s10
	s_barrier_signal -1
	s_barrier_wait -1
	s_mov_b32 s10, exec_lo
	v_readlane_b32 s13, v109, 5
	s_and_b32 s13, s10, s13
	s_delay_alu instid0(SALU_CYCLE_1)
	s_mov_b32 exec_lo, s13
; %bb.760:                              ;   in Loop: Header=BB158_3 Depth=1
	v_pk_add_f32 v[46:47], v[44:45], 0 neg_lo:[1,1] neg_hi:[1,1]
	ds_store_b64 v66, v[46:47]
; %bb.761:                              ;   in Loop: Header=BB158_3 Depth=1
	s_or_b32 exec_lo, exec_lo, s10
	s_wait_dscnt 0x0
	s_barrier_signal -1
	s_barrier_wait -1
	s_and_saveexec_b32 s10, s54
	s_cbranch_execz .LBB158_763
; %bb.762:                              ;   in Loop: Header=BB158_3 Depth=1
	ds_load_b64 v[46:47], v67 offset:6656
	ds_load_b64 v[48:49], v66
	s_wait_dscnt 0x0
	v_pk_mul_f32 v[50:51], v[48:49], v[46:47] op_sel:[1,1] op_sel_hi:[0,1]
	s_delay_alu instid0(VALU_DEP_1) | instskip(SKIP_1) | instid1(VALU_DEP_2)
	v_pk_fma_f32 v[100:101], v[48:49], v[46:47], v[50:51] op_sel_hi:[1,0,1]
	v_pk_fma_f32 v[46:47], v[48:49], v[46:47], v[50:51] neg_lo:[0,0,1] neg_hi:[0,0,1]
	v_mov_b32_e32 v47, v101
	s_delay_alu instid0(VALU_DEP_1)
	v_pk_add_f32 v[44:45], v[44:45], v[46:47] neg_lo:[0,1] neg_hi:[0,1]
.LBB158_763:                            ;   in Loop: Header=BB158_3 Depth=1
	s_or_b32 exec_lo, exec_lo, s10
	s_barrier_signal -1
	s_barrier_wait -1
	s_and_saveexec_b32 s10, s55
; %bb.764:                              ;   in Loop: Header=BB158_3 Depth=1
	v_pk_add_f32 v[46:47], v[44:45], 0 neg_lo:[1,1] neg_hi:[1,1]
	ds_store_b64 v66, v[46:47]
; %bb.765:                              ;   in Loop: Header=BB158_3 Depth=1
	s_or_b32 exec_lo, exec_lo, s10
	s_wait_dscnt 0x0
	s_barrier_signal -1
	s_barrier_wait -1
	s_and_saveexec_b32 s10, s56
	s_cbranch_execz .LBB158_767
; %bb.766:                              ;   in Loop: Header=BB158_3 Depth=1
	ds_load_b64 v[46:47], v67 offset:6144
	ds_load_b64 v[48:49], v66
	s_wait_dscnt 0x0
	v_dual_mul_f32 v0, v49, v47 :: v_dual_mul_f32 v35, v48, v47
	s_delay_alu instid0(VALU_DEP_1) | instskip(NEXT) | instid1(VALU_DEP_1)
	v_dual_fma_f32 v0, v48, v46, -v0 :: v_dual_fmac_f32 v35, v49, v46
	v_dual_sub_f32 v44, v44, v0 :: v_dual_sub_f32 v45, v45, v35
.LBB158_767:                            ;   in Loop: Header=BB158_3 Depth=1
	s_or_b32 exec_lo, exec_lo, s10
	s_barrier_signal -1
	s_barrier_wait -1
	s_and_saveexec_b32 s10, s57
; %bb.768:                              ;   in Loop: Header=BB158_3 Depth=1
	v_pk_add_f32 v[46:47], v[44:45], 0 neg_lo:[1,1] neg_hi:[1,1]
	ds_store_b64 v66, v[46:47]
; %bb.769:                              ;   in Loop: Header=BB158_3 Depth=1
	s_or_b32 exec_lo, exec_lo, s10
	s_wait_dscnt 0x0
	s_barrier_signal -1
	s_barrier_wait -1
	s_and_saveexec_b32 s10, s58
	s_cbranch_execz .LBB158_771
; %bb.770:                              ;   in Loop: Header=BB158_3 Depth=1
	ds_load_b64 v[46:47], v67 offset:5632
	ds_load_b64 v[48:49], v66
	s_wait_dscnt 0x0
	v_dual_mul_f32 v0, v49, v47 :: v_dual_mul_f32 v51, v48, v47
	s_delay_alu instid0(VALU_DEP_1) | instskip(NEXT) | instid1(VALU_DEP_1)
	v_dual_fma_f32 v50, v48, v46, -v0 :: v_dual_fmac_f32 v51, v49, v46
	v_pk_add_f32 v[44:45], v[44:45], v[50:51] neg_lo:[0,1] neg_hi:[0,1]
.LBB158_771:                            ;   in Loop: Header=BB158_3 Depth=1
	s_or_b32 exec_lo, exec_lo, s10
	s_barrier_signal -1
	s_barrier_wait -1
	s_and_saveexec_b32 s10, s59
; %bb.772:                              ;   in Loop: Header=BB158_3 Depth=1
	v_pk_add_f32 v[46:47], v[44:45], 0 neg_lo:[1,1] neg_hi:[1,1]
	ds_store_b64 v66, v[46:47]
; %bb.773:                              ;   in Loop: Header=BB158_3 Depth=1
	s_or_b32 exec_lo, exec_lo, s10
	s_wait_dscnt 0x0
	s_barrier_signal -1
	s_barrier_wait -1
	s_and_saveexec_b32 s10, s60
	s_cbranch_execz .LBB158_775
; %bb.774:                              ;   in Loop: Header=BB158_3 Depth=1
	ds_load_b64 v[46:47], v67 offset:5120
	ds_load_b64 v[48:49], v66
	s_wait_dscnt 0x0
	v_pk_mul_f32 v[50:51], v[48:49], v[46:47] op_sel:[1,1] op_sel_hi:[0,1]
	s_delay_alu instid0(VALU_DEP_1) | instskip(SKIP_1) | instid1(VALU_DEP_2)
	v_pk_fma_f32 v[100:101], v[48:49], v[46:47], v[50:51] op_sel_hi:[1,0,1]
	v_pk_fma_f32 v[46:47], v[48:49], v[46:47], v[50:51] neg_lo:[0,0,1] neg_hi:[0,0,1]
	v_mov_b32_e32 v47, v101
	s_delay_alu instid0(VALU_DEP_1)
	v_pk_add_f32 v[44:45], v[44:45], v[46:47] neg_lo:[0,1] neg_hi:[0,1]
.LBB158_775:                            ;   in Loop: Header=BB158_3 Depth=1
	s_or_b32 exec_lo, exec_lo, s10
	s_barrier_signal -1
	s_barrier_wait -1
	s_and_saveexec_b32 s10, s61
; %bb.776:                              ;   in Loop: Header=BB158_3 Depth=1
	v_pk_add_f32 v[46:47], v[44:45], 0 neg_lo:[1,1] neg_hi:[1,1]
	ds_store_b64 v66, v[46:47]
; %bb.777:                              ;   in Loop: Header=BB158_3 Depth=1
	s_or_b32 exec_lo, exec_lo, s10
	s_wait_dscnt 0x0
	s_barrier_signal -1
	s_barrier_wait -1
	s_and_saveexec_b32 s10, s20
	s_cbranch_execz .LBB158_779
; %bb.778:                              ;   in Loop: Header=BB158_3 Depth=1
	ds_load_b64 v[46:47], v67 offset:4608
	ds_load_b64 v[48:49], v66
	s_wait_dscnt 0x0
	v_pk_mul_f32 v[50:51], v[48:49], v[46:47] op_sel:[1,1] op_sel_hi:[0,1]
	s_delay_alu instid0(VALU_DEP_1) | instskip(SKIP_1) | instid1(VALU_DEP_2)
	v_pk_fma_f32 v[100:101], v[48:49], v[46:47], v[50:51] op_sel_hi:[1,0,1]
	v_pk_fma_f32 v[46:47], v[48:49], v[46:47], v[50:51] neg_lo:[0,0,1] neg_hi:[0,0,1]
	v_mov_b32_e32 v47, v101
	s_delay_alu instid0(VALU_DEP_1)
	v_pk_add_f32 v[44:45], v[44:45], v[46:47] neg_lo:[0,1] neg_hi:[0,1]
.LBB158_779:                            ;   in Loop: Header=BB158_3 Depth=1
	;; [unrolled: 26-line block ×4, first 2 shown]
	s_or_b32 exec_lo, exec_lo, s10
	s_barrier_signal -1
	s_barrier_wait -1
	s_and_saveexec_b32 s10, s31
; %bb.788:                              ;   in Loop: Header=BB158_3 Depth=1
	v_pk_add_f32 v[46:47], v[44:45], 0 neg_lo:[1,1] neg_hi:[1,1]
	ds_store_b64 v66, v[46:47]
; %bb.789:                              ;   in Loop: Header=BB158_3 Depth=1
	s_or_b32 exec_lo, exec_lo, s10
	s_wait_dscnt 0x0
	s_barrier_signal -1
	s_barrier_wait -1
	s_and_saveexec_b32 s10, s34
	s_cbranch_execz .LBB158_791
; %bb.790:                              ;   in Loop: Header=BB158_3 Depth=1
	ds_load_b64 v[46:47], v67 offset:3072
	ds_load_b64 v[48:49], v66
	s_wait_dscnt 0x0
	v_dual_mul_f32 v0, v49, v47 :: v_dual_mul_f32 v35, v48, v47
	s_delay_alu instid0(VALU_DEP_1) | instskip(NEXT) | instid1(VALU_DEP_1)
	v_dual_fma_f32 v0, v48, v46, -v0 :: v_dual_fmac_f32 v35, v49, v46
	v_dual_sub_f32 v44, v44, v0 :: v_dual_sub_f32 v45, v45, v35
.LBB158_791:                            ;   in Loop: Header=BB158_3 Depth=1
	s_or_b32 exec_lo, exec_lo, s10
	s_barrier_signal -1
	s_barrier_wait -1
	s_and_saveexec_b32 s10, s48
; %bb.792:                              ;   in Loop: Header=BB158_3 Depth=1
	v_pk_add_f32 v[46:47], v[44:45], 0 neg_lo:[1,1] neg_hi:[1,1]
	ds_store_b64 v66, v[46:47]
; %bb.793:                              ;   in Loop: Header=BB158_3 Depth=1
	s_or_b32 exec_lo, exec_lo, s10
	s_wait_dscnt 0x0
	s_barrier_signal -1
	s_barrier_wait -1
	s_and_saveexec_b32 s10, s80
	s_cbranch_execz .LBB158_795
; %bb.794:                              ;   in Loop: Header=BB158_3 Depth=1
	ds_load_b64 v[46:47], v67 offset:2560
	ds_load_b64 v[48:49], v66
	s_wait_dscnt 0x0
	v_dual_mul_f32 v0, v49, v47 :: v_dual_mul_f32 v51, v48, v47
	s_delay_alu instid0(VALU_DEP_1) | instskip(NEXT) | instid1(VALU_DEP_1)
	v_dual_fma_f32 v50, v48, v46, -v0 :: v_dual_fmac_f32 v51, v49, v46
	v_pk_add_f32 v[44:45], v[44:45], v[50:51] neg_lo:[0,1] neg_hi:[0,1]
.LBB158_795:                            ;   in Loop: Header=BB158_3 Depth=1
	s_or_b32 exec_lo, exec_lo, s10
	s_barrier_signal -1
	s_barrier_wait -1
	s_and_saveexec_b32 s10, s81
; %bb.796:                              ;   in Loop: Header=BB158_3 Depth=1
	v_pk_add_f32 v[46:47], v[44:45], 0 neg_lo:[1,1] neg_hi:[1,1]
	ds_store_b64 v66, v[46:47]
; %bb.797:                              ;   in Loop: Header=BB158_3 Depth=1
	s_or_b32 exec_lo, exec_lo, s10
	s_wait_dscnt 0x0
	s_barrier_signal -1
	s_barrier_wait -1
	s_and_saveexec_b32 s10, s74
	s_cbranch_execz .LBB158_799
; %bb.798:                              ;   in Loop: Header=BB158_3 Depth=1
	ds_load_b64 v[46:47], v67 offset:2048
	ds_load_b64 v[48:49], v66
	s_wait_dscnt 0x0
	v_pk_mul_f32 v[50:51], v[48:49], v[46:47] op_sel:[1,1] op_sel_hi:[0,1]
	s_delay_alu instid0(VALU_DEP_1) | instskip(SKIP_1) | instid1(VALU_DEP_2)
	v_pk_fma_f32 v[100:101], v[48:49], v[46:47], v[50:51] op_sel_hi:[1,0,1]
	v_pk_fma_f32 v[46:47], v[48:49], v[46:47], v[50:51] neg_lo:[0,0,1] neg_hi:[0,0,1]
	v_mov_b32_e32 v47, v101
	s_delay_alu instid0(VALU_DEP_1)
	v_pk_add_f32 v[44:45], v[44:45], v[46:47] neg_lo:[0,1] neg_hi:[0,1]
.LBB158_799:                            ;   in Loop: Header=BB158_3 Depth=1
	s_or_b32 exec_lo, exec_lo, s10
	s_barrier_signal -1
	s_barrier_wait -1
	s_and_saveexec_b32 s10, s75
; %bb.800:                              ;   in Loop: Header=BB158_3 Depth=1
	v_pk_add_f32 v[46:47], v[44:45], 0 neg_lo:[1,1] neg_hi:[1,1]
	ds_store_b64 v66, v[46:47]
; %bb.801:                              ;   in Loop: Header=BB158_3 Depth=1
	s_or_b32 exec_lo, exec_lo, s10
	s_wait_dscnt 0x0
	s_barrier_signal -1
	s_barrier_wait -1
	s_and_saveexec_b32 s10, s24
	s_cbranch_execz .LBB158_803
; %bb.802:                              ;   in Loop: Header=BB158_3 Depth=1
	ds_load_b64 v[46:47], v67 offset:1536
	ds_load_b64 v[48:49], v66
	s_wait_dscnt 0x0
	v_pk_mul_f32 v[50:51], v[48:49], v[46:47] op_sel:[1,1] op_sel_hi:[0,1]
	s_delay_alu instid0(VALU_DEP_1) | instskip(SKIP_1) | instid1(VALU_DEP_2)
	v_pk_fma_f32 v[100:101], v[48:49], v[46:47], v[50:51] op_sel_hi:[1,0,1]
	v_pk_fma_f32 v[46:47], v[48:49], v[46:47], v[50:51] neg_lo:[0,0,1] neg_hi:[0,0,1]
	v_mov_b32_e32 v47, v101
	s_delay_alu instid0(VALU_DEP_1)
	v_pk_add_f32 v[44:45], v[44:45], v[46:47] neg_lo:[0,1] neg_hi:[0,1]
.LBB158_803:                            ;   in Loop: Header=BB158_3 Depth=1
	;; [unrolled: 26-line block ×4, first 2 shown]
	s_or_b32 exec_lo, exec_lo, s10
	s_barrier_signal -1
	s_barrier_wait -1
	s_and_saveexec_b32 s10, s33
; %bb.812:                              ;   in Loop: Header=BB158_3 Depth=1
	v_pk_add_f32 v[46:47], v[44:45], 0 neg_lo:[1,1] neg_hi:[1,1]
	ds_store_b64 v66, v[46:47]
; %bb.813:                              ;   in Loop: Header=BB158_3 Depth=1
	s_or_b32 exec_lo, exec_lo, s10
	s_wait_dscnt 0x0
	s_barrier_signal -1
	s_barrier_wait -1
	s_barrier_signal -1
	s_barrier_wait -1
	s_and_saveexec_b32 s10, s7
; %bb.814:                              ;   in Loop: Header=BB158_3 Depth=1
	ds_store_b64 v70, v[44:45] offset:15872
; %bb.815:                              ;   in Loop: Header=BB158_3 Depth=1
	s_or_b32 exec_lo, exec_lo, s10
	s_wait_dscnt 0x0
	s_barrier_signal -1
	s_barrier_wait -1
	s_barrier_signal -1
	s_barrier_wait -1
	s_and_saveexec_b32 s13, s88
	s_cbranch_execz .LBB158_817
; %bb.816:                              ;   in Loop: Header=BB158_3 Depth=1
	ds_load_b64 v[44:45], v57 offset:8192
	s_wait_dscnt 0x0
	ds_store_b64 v75, v[44:45] offset:128
	ds_load_b64 v[44:45], v57 offset:8200
	s_wait_dscnt 0x0
	ds_store_b64 v75, v[44:45] offset:640
	;; [unrolled: 3-line block ×16, first 2 shown]
.LBB158_817:                            ;   in Loop: Header=BB158_3 Depth=1
	s_or_b32 exec_lo, exec_lo, s13
	s_wait_dscnt 0x0
	s_barrier_signal -1
	s_barrier_wait -1
	s_and_saveexec_b32 s10, s11
	s_cbranch_execz .LBB158_819
; %bb.818:                              ;   in Loop: Header=BB158_3 Depth=1
	ds_load_b64 v[44:45], v1 offset:7792
	v_add_nc_u32_e64 v0, 0x1800, 0
	ds_store_b64 v1, v[38:39] offset:7800
	s_wait_dscnt 0x1
	ds_store_2addr_b64 v0, v[38:39], v[44:45] offset0:142 offset1:143
.LBB158_819:                            ;   in Loop: Header=BB158_3 Depth=1
	s_or_b32 exec_lo, exec_lo, s10
	v_dual_mov_b32 v44, 0 :: v_dual_mov_b32 v45, 0
	s_wait_dscnt 0x0
	s_barrier_signal -1
	s_barrier_wait -1
	global_wb scope:SCOPE_DEV
	s_wait_storecnt 0x0
	global_inv scope:SCOPE_DEV
	s_and_saveexec_b32 s13, s3
	s_cbranch_execz .LBB158_823
; %bb.820:                              ;   in Loop: Header=BB158_3 Depth=1
	ds_load_b64 v[44:45], v53 offset:7264
	ds_load_b64 v[46:47], v54 offset:7792
	s_wait_dscnt 0x0
	v_pk_mul_f32 v[48:49], v[46:47], v[44:45] op_sel:[1,1] op_sel_hi:[0,1]
	s_delay_alu instid0(VALU_DEP_1) | instskip(SKIP_1) | instid1(VALU_DEP_2)
	v_pk_fma_f32 v[50:51], v[46:47], v[44:45], v[48:49] op_sel_hi:[1,0,1]
	v_pk_fma_f32 v[44:45], v[46:47], v[44:45], v[48:49] neg_lo:[0,0,1] neg_hi:[0,0,1]
	v_mov_b32_e32 v45, v51
	s_delay_alu instid0(VALU_DEP_1)
	v_pk_add_f32 v[44:45], v[44:45], 0 op_sel_hi:[1,0]
	s_and_saveexec_b32 s10, s14
	s_cbranch_execz .LBB158_822
; %bb.821:                              ;   in Loop: Header=BB158_3 Depth=1
	ds_load_b64 v[46:47], v55 offset:7776
	ds_load_b64 v[48:49], v1 offset:7800
	s_wait_dscnt 0x0
	v_pk_mul_f32 v[50:51], v[48:49], v[46:47] op_sel:[1,1] op_sel_hi:[0,1]
	s_delay_alu instid0(VALU_DEP_1) | instskip(SKIP_1) | instid1(VALU_DEP_2)
	v_pk_fma_f32 v[100:101], v[48:49], v[46:47], v[50:51] op_sel_hi:[1,0,1]
	v_pk_fma_f32 v[46:47], v[48:49], v[46:47], v[50:51] neg_lo:[0,0,1] neg_hi:[0,0,1]
	v_mov_b32_e32 v47, v101
	s_delay_alu instid0(VALU_DEP_1)
	v_pk_add_f32 v[44:45], v[44:45], v[46:47]
.LBB158_822:                            ;   in Loop: Header=BB158_3 Depth=1
	s_or_b32 exec_lo, exec_lo, s10
.LBB158_823:                            ;   in Loop: Header=BB158_3 Depth=1
	s_delay_alu instid0(SALU_CYCLE_1)
	s_or_b32 exec_lo, exec_lo, s13
	s_and_saveexec_b32 s10, s91
; %bb.824:                              ;   in Loop: Header=BB158_3 Depth=1
	s_delay_alu instid0(VALU_DEP_1)
	v_pk_add_f32 v[46:47], v[44:45], 0 neg_lo:[1,1] neg_hi:[1,1]
	ds_store_b64 v52, v[46:47]
; %bb.825:                              ;   in Loop: Header=BB158_3 Depth=1
	s_or_b32 exec_lo, exec_lo, s10
	s_wait_loadcnt_dscnt 0x0
	s_barrier_signal -1
	s_barrier_wait -1
	s_and_saveexec_b32 s10, s92
	s_cbranch_execz .LBB158_827
; %bb.826:                              ;   in Loop: Header=BB158_3 Depth=1
	ds_load_b64 v[46:47], v1 offset:6752
	ds_load_b64 v[48:49], v52
	s_wait_dscnt 0x0
	v_pk_mul_f32 v[50:51], v[48:49], v[46:47] op_sel_hi:[1,0]
	s_delay_alu instid0(VALU_DEP_1) | instskip(SKIP_1) | instid1(VALU_DEP_2)
	v_pk_fma_f32 v[100:101], v[48:49], v[46:47], v[50:51] op_sel:[1,1,0] op_sel_hi:[0,1,1]
	v_pk_fma_f32 v[46:47], v[48:49], v[46:47], v[50:51] op_sel:[1,1,0] op_sel_hi:[0,1,1] neg_lo:[0,0,1] neg_hi:[0,0,1]
	v_pk_add_f32 v[48:49], v[44:45], v[100:101] neg_lo:[0,1] neg_hi:[0,1]
	s_delay_alu instid0(VALU_DEP_2) | instskip(NEXT) | instid1(VALU_DEP_2)
	v_pk_add_f32 v[44:45], v[44:45], v[46:47]
	v_mov_b32_e32 v45, v49
.LBB158_827:                            ;   in Loop: Header=BB158_3 Depth=1
	s_or_b32 exec_lo, exec_lo, s10
	s_barrier_signal -1
	s_barrier_wait -1
	s_and_saveexec_b32 s10, s92
; %bb.828:                              ;   in Loop: Header=BB158_3 Depth=1
	v_pk_add_f32 v[46:47], v[44:45], 0 neg_lo:[1,1] neg_hi:[1,1]
	ds_store_b64 v52, v[46:47]
; %bb.829:                              ;   in Loop: Header=BB158_3 Depth=1
	s_or_b32 exec_lo, exec_lo, s10
	s_wait_dscnt 0x0
	s_barrier_signal -1
	s_barrier_wait -1
	s_barrier_signal -1
	s_barrier_wait -1
	s_and_saveexec_b32 s10, s3
; %bb.830:                              ;   in Loop: Header=BB158_3 Depth=1
	ds_store_b64 v56, v[44:45] offset:7776
; %bb.831:                              ;   in Loop: Header=BB158_3 Depth=1
	s_or_b32 exec_lo, exec_lo, s10
	s_wait_dscnt 0x0
	s_barrier_signal -1
	s_barrier_wait -1
	s_barrier_signal -1
	s_barrier_wait -1
	s_and_saveexec_b32 s10, s93
	s_cbranch_execz .LBB158_833
; %bb.832:                              ;   in Loop: Header=BB158_3 Depth=1
	ds_load_b64 v[44:45], v57 offset:7264
	s_wait_dscnt 0x0
	ds_store_b64 v55, v[44:45] offset:6256
	ds_load_b64 v[44:45], v57 offset:7272
	s_wait_dscnt 0x0
	ds_store_b64 v55, v[44:45] offset:6768
.LBB158_833:                            ;   in Loop: Header=BB158_3 Depth=1
	s_or_b32 exec_lo, exec_lo, s10
	s_wait_dscnt 0x0
	s_barrier_signal -1
	s_barrier_wait -1
	s_and_saveexec_b32 s10, s11
	s_cbranch_execz .LBB158_835
; %bb.834:                              ;   in Loop: Header=BB158_3 Depth=1
	ds_load_b64 v[44:45], v1 offset:6752
	v_add_nc_u32_e64 v0, 0x1800, 0
	ds_store_b64 v1, v[38:39] offset:6760
	s_wait_dscnt 0x1
	ds_store_2addr_b64 v0, v[38:39], v[44:45] offset0:12 offset1:13
.LBB158_835:                            ;   in Loop: Header=BB158_3 Depth=1
	s_or_b32 exec_lo, exec_lo, s10
	v_mov_b64_e32 v[44:45], 0
	s_wait_dscnt 0x0
	s_barrier_signal -1
	s_barrier_wait -1
	global_wb scope:SCOPE_DEV
	s_wait_storecnt 0x0
	global_inv scope:SCOPE_DEV
	s_and_saveexec_b32 s13, s5
	s_cbranch_execz .LBB158_841
; %bb.836:                              ;   in Loop: Header=BB158_3 Depth=1
	ds_load_b64 v[44:45], v59 offset:6208
	ds_load_b64 v[46:47], v60 offset:7776
	s_wait_dscnt 0x0
	v_dual_mul_f32 v0, v47, v45 :: v_dual_mul_f32 v35, v46, v45
	s_delay_alu instid0(VALU_DEP_1) | instskip(NEXT) | instid1(VALU_DEP_1)
	v_dual_fma_f32 v0, v46, v44, -v0 :: v_dual_fmac_f32 v35, v47, v44
	v_dual_add_f32 v44, 0, v0 :: v_dual_add_f32 v45, 0, v35
	s_and_saveexec_b32 s10, s15
	s_cbranch_execnz .LBB158_1102
; %bb.837:                              ;   in Loop: Header=BB158_3 Depth=1
	s_or_b32 exec_lo, exec_lo, s10
	s_and_saveexec_b32 s10, s16
	s_cbranch_execnz .LBB158_1103
.LBB158_838:                            ;   in Loop: Header=BB158_3 Depth=1
	s_or_b32 exec_lo, exec_lo, s10
	s_and_saveexec_b32 s10, s3
	s_cbranch_execz .LBB158_840
.LBB158_839:                            ;   in Loop: Header=BB158_3 Depth=1
	ds_load_b64 v[46:47], v75 offset:7744
	ds_load_b64 v[48:49], v1 offset:7800
	s_wait_dscnt 0x0
	v_pk_mul_f32 v[50:51], v[48:49], v[46:47] op_sel:[1,1] op_sel_hi:[0,1]
	s_delay_alu instid0(VALU_DEP_1) | instskip(SKIP_1) | instid1(VALU_DEP_2)
	v_pk_fma_f32 v[100:101], v[48:49], v[46:47], v[50:51] op_sel_hi:[1,0,1]
	v_pk_fma_f32 v[46:47], v[48:49], v[46:47], v[50:51] neg_lo:[0,0,1] neg_hi:[0,0,1]
	v_mov_b32_e32 v47, v101
	s_delay_alu instid0(VALU_DEP_1)
	v_pk_add_f32 v[44:45], v[44:45], v[46:47]
.LBB158_840:                            ;   in Loop: Header=BB158_3 Depth=1
	s_or_b32 exec_lo, exec_lo, s10
.LBB158_841:                            ;   in Loop: Header=BB158_3 Depth=1
	s_delay_alu instid0(SALU_CYCLE_1)
	s_or_b32 exec_lo, exec_lo, s13
	s_and_saveexec_b32 s10, s94
; %bb.842:                              ;   in Loop: Header=BB158_3 Depth=1
	s_delay_alu instid0(VALU_DEP_1)
	v_pk_add_f32 v[46:47], v[44:45], 0 neg_lo:[1,1] neg_hi:[1,1]
	ds_store_b64 v58, v[46:47]
; %bb.843:                              ;   in Loop: Header=BB158_3 Depth=1
	s_or_b32 exec_lo, exec_lo, s10
	s_wait_loadcnt_dscnt 0x0
	s_barrier_signal -1
	s_barrier_wait -1
	s_and_saveexec_b32 s10, s95
	s_cbranch_execz .LBB158_845
; %bb.844:                              ;   in Loop: Header=BB158_3 Depth=1
	ds_load_b64 v[46:47], v59 offset:5696
	ds_load_b64 v[48:49], v58
	s_wait_dscnt 0x0
	v_pk_mul_f32 v[50:51], v[48:49], v[46:47] op_sel:[1,1] op_sel_hi:[0,1]
	s_delay_alu instid0(VALU_DEP_1) | instskip(SKIP_1) | instid1(VALU_DEP_2)
	v_pk_fma_f32 v[100:101], v[48:49], v[46:47], v[50:51] op_sel_hi:[1,0,1]
	v_pk_fma_f32 v[46:47], v[48:49], v[46:47], v[50:51] neg_lo:[0,0,1] neg_hi:[0,0,1]
	v_mov_b32_e32 v47, v101
	s_delay_alu instid0(VALU_DEP_1)
	v_pk_add_f32 v[44:45], v[44:45], v[46:47] neg_lo:[0,1] neg_hi:[0,1]
.LBB158_845:                            ;   in Loop: Header=BB158_3 Depth=1
	s_or_b32 exec_lo, exec_lo, s10
	s_barrier_signal -1
	s_barrier_wait -1
	s_and_saveexec_b32 s10, s96
; %bb.846:                              ;   in Loop: Header=BB158_3 Depth=1
	v_pk_add_f32 v[46:47], v[44:45], 0 neg_lo:[1,1] neg_hi:[1,1]
	ds_store_b64 v58, v[46:47]
; %bb.847:                              ;   in Loop: Header=BB158_3 Depth=1
	s_or_b32 exec_lo, exec_lo, s10
	s_wait_dscnt 0x0
	s_barrier_signal -1
	s_barrier_wait -1
	s_and_saveexec_b32 s10, s97
	s_cbranch_execz .LBB158_849
; %bb.848:                              ;   in Loop: Header=BB158_3 Depth=1
	ds_load_b64 v[46:47], v59 offset:5184
	ds_load_b64 v[48:49], v58
	s_wait_dscnt 0x0
	v_pk_mul_f32 v[50:51], v[48:49], v[46:47] op_sel:[1,1] op_sel_hi:[0,1]
	s_delay_alu instid0(VALU_DEP_1) | instskip(SKIP_1) | instid1(VALU_DEP_2)
	v_pk_fma_f32 v[100:101], v[48:49], v[46:47], v[50:51] op_sel_hi:[1,0,1]
	v_pk_fma_f32 v[46:47], v[48:49], v[46:47], v[50:51] neg_lo:[0,0,1] neg_hi:[0,0,1]
	v_mov_b32_e32 v47, v101
	s_delay_alu instid0(VALU_DEP_1)
	v_pk_add_f32 v[44:45], v[44:45], v[46:47] neg_lo:[0,1] neg_hi:[0,1]
.LBB158_849:                            ;   in Loop: Header=BB158_3 Depth=1
	s_or_b32 exec_lo, exec_lo, s10
	s_barrier_signal -1
	s_barrier_wait -1
	s_and_saveexec_b32 s10, s98
; %bb.850:                              ;   in Loop: Header=BB158_3 Depth=1
	v_pk_add_f32 v[46:47], v[44:45], 0 neg_lo:[1,1] neg_hi:[1,1]
	ds_store_b64 v58, v[46:47]
; %bb.851:                              ;   in Loop: Header=BB158_3 Depth=1
	s_or_b32 exec_lo, exec_lo, s10
	s_wait_dscnt 0x0
	;; [unrolled: 26-line block ×3, first 2 shown]
	s_barrier_signal -1
	s_barrier_wait -1
	s_barrier_signal -1
	s_barrier_wait -1
	s_and_saveexec_b32 s10, s5
; %bb.856:                              ;   in Loop: Header=BB158_3 Depth=1
	ds_store_b64 v61, v[44:45] offset:7744
; %bb.857:                              ;   in Loop: Header=BB158_3 Depth=1
	s_or_b32 exec_lo, exec_lo, s10
	s_wait_dscnt 0x0
	s_barrier_signal -1
	s_barrier_wait -1
	s_barrier_signal -1
	s_barrier_wait -1
	s_and_saveexec_b32 s10, s100
	s_cbranch_execz .LBB158_859
; %bb.858:                              ;   in Loop: Header=BB158_3 Depth=1
	ds_load_b64 v[44:45], v7 offset:6208
	s_wait_dscnt 0x0
	ds_store_b64 v76, v[44:45] offset:4192
	ds_load_b64 v[44:45], v7 offset:6216
	s_wait_dscnt 0x0
	ds_store_b64 v76, v[44:45] offset:4704
	;; [unrolled: 3-line block ×4, first 2 shown]
.LBB158_859:                            ;   in Loop: Header=BB158_3 Depth=1
	s_or_b32 exec_lo, exec_lo, s10
	s_wait_dscnt 0x0
	s_barrier_signal -1
	s_barrier_wait -1
	s_and_saveexec_b32 s10, s11
	s_cbranch_execz .LBB158_861
; %bb.860:                              ;   in Loop: Header=BB158_3 Depth=1
	ds_load_b64 v[44:45], v1 offset:5712
	v_add_nc_u32_e64 v0, 0x1000, 0
	ds_store_b64 v1, v[38:39] offset:5720
	s_wait_dscnt 0x1
	ds_store_2addr_b64 v0, v[38:39], v[44:45] offset0:138 offset1:139
.LBB158_861:                            ;   in Loop: Header=BB158_3 Depth=1
	s_or_b32 exec_lo, exec_lo, s10
	v_dual_mov_b32 v44, 0 :: v_dual_mov_b32 v45, 0
	s_wait_dscnt 0x0
	s_barrier_signal -1
	s_barrier_wait -1
	global_wb scope:SCOPE_DEV
	s_wait_storecnt 0x0
	global_inv scope:SCOPE_DEV
	s_and_saveexec_b32 s13, s3
	s_cbranch_execz .LBB158_865
; %bb.862:                              ;   in Loop: Header=BB158_3 Depth=1
	ds_load_b64 v[44:45], v53 offset:5184
	ds_load_b64 v[46:47], v54 offset:5712
	s_wait_dscnt 0x0
	v_pk_mul_f32 v[48:49], v[46:47], v[44:45] op_sel:[1,1] op_sel_hi:[0,1]
	s_delay_alu instid0(VALU_DEP_1) | instskip(SKIP_1) | instid1(VALU_DEP_2)
	v_pk_fma_f32 v[50:51], v[46:47], v[44:45], v[48:49] op_sel_hi:[1,0,1]
	v_pk_fma_f32 v[44:45], v[46:47], v[44:45], v[48:49] neg_lo:[0,0,1] neg_hi:[0,0,1]
	v_mov_b32_e32 v45, v51
	s_delay_alu instid0(VALU_DEP_1)
	v_pk_add_f32 v[44:45], v[44:45], 0 op_sel_hi:[1,0]
	s_and_saveexec_b32 s10, s14
	s_cbranch_execz .LBB158_864
; %bb.863:                              ;   in Loop: Header=BB158_3 Depth=1
	ds_load_b64 v[46:47], v76 offset:5696
	ds_load_b64 v[48:49], v1 offset:5720
	s_wait_dscnt 0x0
	v_pk_mul_f32 v[50:51], v[48:49], v[46:47] op_sel:[1,1] op_sel_hi:[0,1]
	s_delay_alu instid0(VALU_DEP_1) | instskip(SKIP_1) | instid1(VALU_DEP_2)
	v_pk_fma_f32 v[100:101], v[48:49], v[46:47], v[50:51] op_sel_hi:[1,0,1]
	v_pk_fma_f32 v[46:47], v[48:49], v[46:47], v[50:51] neg_lo:[0,0,1] neg_hi:[0,0,1]
	v_mov_b32_e32 v47, v101
	s_delay_alu instid0(VALU_DEP_1)
	v_pk_add_f32 v[44:45], v[44:45], v[46:47]
.LBB158_864:                            ;   in Loop: Header=BB158_3 Depth=1
	s_or_b32 exec_lo, exec_lo, s10
.LBB158_865:                            ;   in Loop: Header=BB158_3 Depth=1
	s_delay_alu instid0(SALU_CYCLE_1)
	s_or_b32 exec_lo, exec_lo, s13
	s_and_saveexec_b32 s10, s91
; %bb.866:                              ;   in Loop: Header=BB158_3 Depth=1
	s_delay_alu instid0(VALU_DEP_1)
	v_pk_add_f32 v[46:47], v[44:45], 0 neg_lo:[1,1] neg_hi:[1,1]
	ds_store_b64 v52, v[46:47]
; %bb.867:                              ;   in Loop: Header=BB158_3 Depth=1
	s_or_b32 exec_lo, exec_lo, s10
	s_wait_loadcnt_dscnt 0x0
	s_barrier_signal -1
	s_barrier_wait -1
	s_and_saveexec_b32 s10, s92
	s_cbranch_execz .LBB158_869
; %bb.868:                              ;   in Loop: Header=BB158_3 Depth=1
	ds_load_b64 v[46:47], v1 offset:4672
	ds_load_b64 v[48:49], v52
	s_wait_dscnt 0x0
	v_pk_mul_f32 v[50:51], v[48:49], v[46:47] op_sel_hi:[1,0]
	s_delay_alu instid0(VALU_DEP_1) | instskip(SKIP_1) | instid1(VALU_DEP_2)
	v_pk_fma_f32 v[100:101], v[48:49], v[46:47], v[50:51] op_sel:[1,1,0] op_sel_hi:[0,1,1]
	v_pk_fma_f32 v[46:47], v[48:49], v[46:47], v[50:51] op_sel:[1,1,0] op_sel_hi:[0,1,1] neg_lo:[0,0,1] neg_hi:[0,0,1]
	v_pk_add_f32 v[48:49], v[44:45], v[100:101] neg_lo:[0,1] neg_hi:[0,1]
	s_delay_alu instid0(VALU_DEP_2) | instskip(NEXT) | instid1(VALU_DEP_2)
	v_pk_add_f32 v[44:45], v[44:45], v[46:47]
	v_mov_b32_e32 v45, v49
.LBB158_869:                            ;   in Loop: Header=BB158_3 Depth=1
	s_or_b32 exec_lo, exec_lo, s10
	s_barrier_signal -1
	s_barrier_wait -1
	s_and_saveexec_b32 s10, s92
; %bb.870:                              ;   in Loop: Header=BB158_3 Depth=1
	v_pk_add_f32 v[46:47], v[44:45], 0 neg_lo:[1,1] neg_hi:[1,1]
	ds_store_b64 v52, v[46:47]
; %bb.871:                              ;   in Loop: Header=BB158_3 Depth=1
	s_or_b32 exec_lo, exec_lo, s10
	s_wait_dscnt 0x0
	s_barrier_signal -1
	s_barrier_wait -1
	s_barrier_signal -1
	s_barrier_wait -1
	s_and_saveexec_b32 s10, s3
; %bb.872:                              ;   in Loop: Header=BB158_3 Depth=1
	ds_store_b64 v56, v[44:45] offset:5696
; %bb.873:                              ;   in Loop: Header=BB158_3 Depth=1
	s_or_b32 exec_lo, exec_lo, s10
	s_wait_dscnt 0x0
	s_barrier_signal -1
	s_barrier_wait -1
	s_barrier_signal -1
	s_barrier_wait -1
	s_and_saveexec_b32 s10, s93
	s_cbranch_execz .LBB158_875
; %bb.874:                              ;   in Loop: Header=BB158_3 Depth=1
	ds_load_b64 v[44:45], v77 offset:5184
	s_wait_dscnt 0x0
	ds_store_b64 v76, v[44:45] offset:4176
	ds_load_b64 v[44:45], v77 offset:5192
	s_wait_dscnt 0x0
	ds_store_b64 v76, v[44:45] offset:4688
.LBB158_875:                            ;   in Loop: Header=BB158_3 Depth=1
	s_or_b32 exec_lo, exec_lo, s10
	s_wait_dscnt 0x0
	s_barrier_signal -1
	s_barrier_wait -1
	s_and_saveexec_b32 s10, s11
	s_cbranch_execz .LBB158_877
; %bb.876:                              ;   in Loop: Header=BB158_3 Depth=1
	ds_load_b64 v[44:45], v1 offset:4672
	v_add_nc_u32_e64 v0, 0x1000, 0
	ds_store_b64 v1, v[38:39] offset:4680
	s_wait_dscnt 0x1
	ds_store_2addr_b64 v0, v[38:39], v[44:45] offset0:8 offset1:9
.LBB158_877:                            ;   in Loop: Header=BB158_3 Depth=1
	s_or_b32 exec_lo, exec_lo, s10
	v_mov_b64_e32 v[44:45], 0
	s_wait_dscnt 0x0
	s_barrier_signal -1
	s_barrier_wait -1
	global_wb scope:SCOPE_DEV
	s_wait_storecnt 0x0
	global_inv scope:SCOPE_DEV
	s_and_saveexec_b32 s13, s6
	s_cbranch_execz .LBB158_887
; %bb.878:                              ;   in Loop: Header=BB158_3 Depth=1
	ds_load_b64 v[44:45], v63 offset:4096
	ds_load_b64 v[46:47], v64 offset:7744
	s_wait_dscnt 0x0
	v_dual_mul_f32 v0, v47, v45 :: v_dual_mul_f32 v35, v46, v45
	s_delay_alu instid0(VALU_DEP_1) | instskip(NEXT) | instid1(VALU_DEP_1)
	v_dual_fma_f32 v0, v46, v44, -v0 :: v_dual_fmac_f32 v35, v47, v44
	v_dual_add_f32 v44, 0, v0 :: v_dual_add_f32 v45, 0, v35
	s_and_saveexec_b32 s10, s17
	s_cbranch_execnz .LBB158_1104
; %bb.879:                              ;   in Loop: Header=BB158_3 Depth=1
	s_or_b32 exec_lo, exec_lo, s10
	s_and_saveexec_b32 s10, s18
	s_cbranch_execnz .LBB158_1105
.LBB158_880:                            ;   in Loop: Header=BB158_3 Depth=1
	s_or_b32 exec_lo, exec_lo, s10
	s_and_saveexec_b32 s10, s19
	s_cbranch_execnz .LBB158_1106
.LBB158_881:                            ;   in Loop: Header=BB158_3 Depth=1
	s_or_b32 exec_lo, exec_lo, s10
	s_and_saveexec_b32 s10, s21
	s_cbranch_execnz .LBB158_1107
.LBB158_882:                            ;   in Loop: Header=BB158_3 Depth=1
	s_or_b32 exec_lo, exec_lo, s10
	s_and_saveexec_b32 s10, s22
	s_cbranch_execnz .LBB158_1108
.LBB158_883:                            ;   in Loop: Header=BB158_3 Depth=1
	s_or_b32 exec_lo, exec_lo, s10
	s_and_saveexec_b32 s10, s5
	s_cbranch_execnz .LBB158_1109
.LBB158_884:                            ;   in Loop: Header=BB158_3 Depth=1
	s_or_b32 exec_lo, exec_lo, s10
	s_and_saveexec_b32 s10, s16
	s_cbranch_execz .LBB158_886
.LBB158_885:                            ;   in Loop: Header=BB158_3 Depth=1
	ds_load_b64 v[46:47], v78 offset:7680
	ds_load_b64 v[48:49], v1 offset:7800
	s_wait_dscnt 0x0
	v_pk_mul_f32 v[50:51], v[48:49], v[46:47] op_sel:[1,1] op_sel_hi:[0,1]
	s_delay_alu instid0(VALU_DEP_1) | instskip(SKIP_1) | instid1(VALU_DEP_2)
	v_pk_fma_f32 v[100:101], v[48:49], v[46:47], v[50:51] op_sel_hi:[1,0,1]
	v_pk_fma_f32 v[46:47], v[48:49], v[46:47], v[50:51] neg_lo:[0,0,1] neg_hi:[0,0,1]
	v_mov_b32_e32 v47, v101
	s_delay_alu instid0(VALU_DEP_1)
	v_pk_add_f32 v[44:45], v[44:45], v[46:47]
.LBB158_886:                            ;   in Loop: Header=BB158_3 Depth=1
	s_or_b32 exec_lo, exec_lo, s10
.LBB158_887:                            ;   in Loop: Header=BB158_3 Depth=1
	s_delay_alu instid0(SALU_CYCLE_1)
	s_or_b32 exec_lo, exec_lo, s13
	s_and_saveexec_b32 s10, s101
; %bb.888:                              ;   in Loop: Header=BB158_3 Depth=1
	s_delay_alu instid0(VALU_DEP_1)
	v_pk_add_f32 v[46:47], v[44:45], 0 neg_lo:[1,1] neg_hi:[1,1]
	ds_store_b64 v62, v[46:47]
; %bb.889:                              ;   in Loop: Header=BB158_3 Depth=1
	s_or_b32 exec_lo, exec_lo, s10
	s_wait_loadcnt_dscnt 0x0
	s_barrier_signal -1
	s_barrier_wait -1
	s_and_saveexec_b32 s10, s102
	s_cbranch_execz .LBB158_891
; %bb.890:                              ;   in Loop: Header=BB158_3 Depth=1
	ds_load_b64 v[46:47], v63 offset:3584
	ds_load_b64 v[48:49], v62
	s_wait_dscnt 0x0
	v_pk_mul_f32 v[50:51], v[48:49], v[46:47] op_sel:[1,1] op_sel_hi:[0,1]
	s_delay_alu instid0(VALU_DEP_1) | instskip(SKIP_1) | instid1(VALU_DEP_2)
	v_pk_fma_f32 v[100:101], v[48:49], v[46:47], v[50:51] op_sel_hi:[1,0,1]
	v_pk_fma_f32 v[46:47], v[48:49], v[46:47], v[50:51] neg_lo:[0,0,1] neg_hi:[0,0,1]
	v_mov_b32_e32 v47, v101
	s_delay_alu instid0(VALU_DEP_1)
	v_pk_add_f32 v[44:45], v[44:45], v[46:47] neg_lo:[0,1] neg_hi:[0,1]
.LBB158_891:                            ;   in Loop: Header=BB158_3 Depth=1
	s_or_b32 exec_lo, exec_lo, s10
	s_barrier_signal -1
	s_barrier_wait -1
	s_and_saveexec_b32 s10, s103
; %bb.892:                              ;   in Loop: Header=BB158_3 Depth=1
	v_pk_add_f32 v[46:47], v[44:45], 0 neg_lo:[1,1] neg_hi:[1,1]
	ds_store_b64 v62, v[46:47]
; %bb.893:                              ;   in Loop: Header=BB158_3 Depth=1
	s_or_b32 exec_lo, exec_lo, s10
	s_wait_dscnt 0x0
	s_barrier_signal -1
	s_barrier_wait -1
	s_and_saveexec_b32 s10, s104
	s_cbranch_execz .LBB158_895
; %bb.894:                              ;   in Loop: Header=BB158_3 Depth=1
	ds_load_b64 v[46:47], v63 offset:3072
	ds_load_b64 v[48:49], v62
	s_wait_dscnt 0x0
	v_dual_mul_f32 v0, v49, v47 :: v_dual_mul_f32 v35, v48, v47
	s_delay_alu instid0(VALU_DEP_1) | instskip(NEXT) | instid1(VALU_DEP_1)
	v_dual_fma_f32 v0, v48, v46, -v0 :: v_dual_fmac_f32 v35, v49, v46
	v_dual_sub_f32 v44, v44, v0 :: v_dual_sub_f32 v45, v45, v35
.LBB158_895:                            ;   in Loop: Header=BB158_3 Depth=1
	s_or_b32 exec_lo, exec_lo, s10
	s_barrier_signal -1
	s_barrier_wait -1
	s_and_saveexec_b32 s10, vcc_hi
; %bb.896:                              ;   in Loop: Header=BB158_3 Depth=1
	v_pk_add_f32 v[46:47], v[44:45], 0 neg_lo:[1,1] neg_hi:[1,1]
	ds_store_b64 v62, v[46:47]
; %bb.897:                              ;   in Loop: Header=BB158_3 Depth=1
	s_or_b32 exec_lo, exec_lo, s10
	s_wait_dscnt 0x0
	s_barrier_signal -1
	s_barrier_wait -1
	s_and_saveexec_b32 s10, s38
	s_cbranch_execz .LBB158_899
; %bb.898:                              ;   in Loop: Header=BB158_3 Depth=1
	ds_load_b64 v[46:47], v63 offset:2560
	ds_load_b64 v[48:49], v62
	s_wait_dscnt 0x0
	v_dual_mul_f32 v0, v49, v47 :: v_dual_mul_f32 v51, v48, v47
	s_delay_alu instid0(VALU_DEP_1) | instskip(NEXT) | instid1(VALU_DEP_1)
	v_dual_fma_f32 v50, v48, v46, -v0 :: v_dual_fmac_f32 v51, v49, v46
	v_pk_add_f32 v[44:45], v[44:45], v[50:51] neg_lo:[0,1] neg_hi:[0,1]
.LBB158_899:                            ;   in Loop: Header=BB158_3 Depth=1
	s_or_b32 exec_lo, exec_lo, s10
	s_barrier_signal -1
	s_barrier_wait -1
	s_and_saveexec_b32 s10, s39
; %bb.900:                              ;   in Loop: Header=BB158_3 Depth=1
	v_pk_add_f32 v[46:47], v[44:45], 0 neg_lo:[1,1] neg_hi:[1,1]
	ds_store_b64 v62, v[46:47]
; %bb.901:                              ;   in Loop: Header=BB158_3 Depth=1
	s_or_b32 exec_lo, exec_lo, s10
	s_wait_dscnt 0x0
	s_barrier_signal -1
	s_barrier_wait -1
	s_and_saveexec_b32 s10, s40
	s_cbranch_execz .LBB158_903
; %bb.902:                              ;   in Loop: Header=BB158_3 Depth=1
	ds_load_b64 v[46:47], v63 offset:2048
	ds_load_b64 v[48:49], v62
	s_wait_dscnt 0x0
	v_pk_mul_f32 v[50:51], v[48:49], v[46:47] op_sel:[1,1] op_sel_hi:[0,1]
	s_delay_alu instid0(VALU_DEP_1) | instskip(SKIP_1) | instid1(VALU_DEP_2)
	v_pk_fma_f32 v[100:101], v[48:49], v[46:47], v[50:51] op_sel_hi:[1,0,1]
	v_pk_fma_f32 v[46:47], v[48:49], v[46:47], v[50:51] neg_lo:[0,0,1] neg_hi:[0,0,1]
	v_mov_b32_e32 v47, v101
	s_delay_alu instid0(VALU_DEP_1)
	v_pk_add_f32 v[44:45], v[44:45], v[46:47] neg_lo:[0,1] neg_hi:[0,1]
.LBB158_903:                            ;   in Loop: Header=BB158_3 Depth=1
	s_or_b32 exec_lo, exec_lo, s10
	s_barrier_signal -1
	s_barrier_wait -1
	s_and_saveexec_b32 s10, s41
; %bb.904:                              ;   in Loop: Header=BB158_3 Depth=1
	v_pk_add_f32 v[46:47], v[44:45], 0 neg_lo:[1,1] neg_hi:[1,1]
	ds_store_b64 v62, v[46:47]
; %bb.905:                              ;   in Loop: Header=BB158_3 Depth=1
	s_or_b32 exec_lo, exec_lo, s10
	s_wait_dscnt 0x0
	s_barrier_signal -1
	s_barrier_wait -1
	s_and_saveexec_b32 s10, s42
	s_cbranch_execz .LBB158_907
; %bb.906:                              ;   in Loop: Header=BB158_3 Depth=1
	ds_load_b64 v[46:47], v63 offset:1536
	ds_load_b64 v[48:49], v62
	s_wait_dscnt 0x0
	v_pk_mul_f32 v[50:51], v[48:49], v[46:47] op_sel:[1,1] op_sel_hi:[0,1]
	s_delay_alu instid0(VALU_DEP_1) | instskip(SKIP_1) | instid1(VALU_DEP_2)
	v_pk_fma_f32 v[100:101], v[48:49], v[46:47], v[50:51] op_sel_hi:[1,0,1]
	v_pk_fma_f32 v[46:47], v[48:49], v[46:47], v[50:51] neg_lo:[0,0,1] neg_hi:[0,0,1]
	v_mov_b32_e32 v47, v101
	s_delay_alu instid0(VALU_DEP_1)
	v_pk_add_f32 v[44:45], v[44:45], v[46:47] neg_lo:[0,1] neg_hi:[0,1]
.LBB158_907:                            ;   in Loop: Header=BB158_3 Depth=1
	s_or_b32 exec_lo, exec_lo, s10
	s_barrier_signal -1
	s_barrier_wait -1
	s_and_saveexec_b32 s10, s43
; %bb.908:                              ;   in Loop: Header=BB158_3 Depth=1
	v_pk_add_f32 v[46:47], v[44:45], 0 neg_lo:[1,1] neg_hi:[1,1]
	ds_store_b64 v62, v[46:47]
; %bb.909:                              ;   in Loop: Header=BB158_3 Depth=1
	s_or_b32 exec_lo, exec_lo, s10
	s_wait_dscnt 0x0
	s_barrier_signal -1
	s_barrier_wait -1
	s_and_saveexec_b32 s10, s44
	s_cbranch_execz .LBB158_911
; %bb.910:                              ;   in Loop: Header=BB158_3 Depth=1
	ds_load_b64 v[46:47], v63 offset:1024
	ds_load_b64 v[48:49], v62
	s_wait_dscnt 0x0
	v_pk_mul_f32 v[50:51], v[48:49], v[46:47] op_sel:[1,1] op_sel_hi:[0,1]
	s_delay_alu instid0(VALU_DEP_1) | instskip(SKIP_1) | instid1(VALU_DEP_2)
	v_pk_fma_f32 v[100:101], v[48:49], v[46:47], v[50:51] op_sel_hi:[1,0,1]
	v_pk_fma_f32 v[46:47], v[48:49], v[46:47], v[50:51] neg_lo:[0,0,1] neg_hi:[0,0,1]
	v_mov_b32_e32 v47, v101
	s_delay_alu instid0(VALU_DEP_1)
	v_pk_add_f32 v[44:45], v[44:45], v[46:47] neg_lo:[0,1] neg_hi:[0,1]
.LBB158_911:                            ;   in Loop: Header=BB158_3 Depth=1
	s_or_b32 exec_lo, exec_lo, s10
	s_barrier_signal -1
	s_barrier_wait -1
	s_and_saveexec_b32 s10, s45
; %bb.912:                              ;   in Loop: Header=BB158_3 Depth=1
	v_pk_add_f32 v[46:47], v[44:45], 0 neg_lo:[1,1] neg_hi:[1,1]
	ds_store_b64 v62, v[46:47]
; %bb.913:                              ;   in Loop: Header=BB158_3 Depth=1
	s_or_b32 exec_lo, exec_lo, s10
	s_wait_dscnt 0x0
	s_barrier_signal -1
	s_barrier_wait -1
	s_and_saveexec_b32 s10, s46
	s_cbranch_execz .LBB158_915
; %bb.914:                              ;   in Loop: Header=BB158_3 Depth=1
	ds_load_b64 v[46:47], v1 offset:512
	ds_load_b64 v[48:49], v62
	s_wait_dscnt 0x0
	v_pk_mul_f32 v[50:51], v[48:49], v[46:47] op_sel:[1,1] op_sel_hi:[0,1]
	s_delay_alu instid0(VALU_DEP_1) | instskip(SKIP_1) | instid1(VALU_DEP_2)
	v_pk_fma_f32 v[100:101], v[48:49], v[46:47], v[50:51] op_sel_hi:[1,0,1]
	v_pk_fma_f32 v[46:47], v[48:49], v[46:47], v[50:51] neg_lo:[0,0,1] neg_hi:[0,0,1]
	v_mov_b32_e32 v47, v101
	s_delay_alu instid0(VALU_DEP_1)
	v_pk_add_f32 v[44:45], v[44:45], v[46:47] neg_lo:[0,1] neg_hi:[0,1]
.LBB158_915:                            ;   in Loop: Header=BB158_3 Depth=1
	s_or_b32 exec_lo, exec_lo, s10
	s_barrier_signal -1
	s_barrier_wait -1
	s_and_saveexec_b32 s10, s46
; %bb.916:                              ;   in Loop: Header=BB158_3 Depth=1
	v_pk_add_f32 v[46:47], v[44:45], 0 neg_lo:[1,1] neg_hi:[1,1]
	ds_store_b64 v62, v[46:47]
; %bb.917:                              ;   in Loop: Header=BB158_3 Depth=1
	s_or_b32 exec_lo, exec_lo, s10
	s_wait_dscnt 0x0
	s_barrier_signal -1
	s_barrier_wait -1
	s_barrier_signal -1
	s_barrier_wait -1
	s_and_saveexec_b32 s10, s6
; %bb.918:                              ;   in Loop: Header=BB158_3 Depth=1
	ds_store_b64 v65, v[44:45] offset:7680
; %bb.919:                              ;   in Loop: Header=BB158_3 Depth=1
	s_or_b32 exec_lo, exec_lo, s10
	s_wait_dscnt 0x0
	s_barrier_signal -1
	s_barrier_wait -1
	s_barrier_signal -1
	s_barrier_wait -1
	s_and_saveexec_b32 s10, s47
	s_cbranch_execz .LBB158_921
; %bb.920:                              ;   in Loop: Header=BB158_3 Depth=1
	ds_load_b64 v[44:45], v79 offset:4096
	s_wait_dscnt 0x0
	ds_store_b64 v80, v[44:45] offset:64
	ds_load_b64 v[44:45], v79 offset:4104
	s_wait_dscnt 0x0
	ds_store_b64 v80, v[44:45] offset:576
	;; [unrolled: 3-line block ×8, first 2 shown]
.LBB158_921:                            ;   in Loop: Header=BB158_3 Depth=1
	s_or_b32 exec_lo, exec_lo, s10
	s_wait_dscnt 0x0
	s_barrier_signal -1
	s_barrier_wait -1
	s_and_saveexec_b32 s10, s11
	s_cbranch_execz .LBB158_923
; %bb.922:                              ;   in Loop: Header=BB158_3 Depth=1
	ds_load_b64 v[44:45], v1 offset:3632
	v_add_nc_u32_e64 v0, 0x800, 0
	ds_store_b64 v1, v[38:39] offset:3640
	s_wait_dscnt 0x1
	ds_store_2addr_b64 v0, v[38:39], v[44:45] offset0:134 offset1:135
.LBB158_923:                            ;   in Loop: Header=BB158_3 Depth=1
	s_or_b32 exec_lo, exec_lo, s10
	v_dual_mov_b32 v44, 0 :: v_dual_mov_b32 v45, 0
	s_wait_dscnt 0x0
	s_barrier_signal -1
	s_barrier_wait -1
	global_wb scope:SCOPE_DEV
	s_wait_storecnt 0x0
	global_inv scope:SCOPE_DEV
	s_and_saveexec_b32 s13, s3
	s_cbranch_execz .LBB158_927
; %bb.924:                              ;   in Loop: Header=BB158_3 Depth=1
	ds_load_b64 v[44:45], v53 offset:3104
	ds_load_b64 v[46:47], v54 offset:3632
	s_wait_dscnt 0x0
	v_pk_mul_f32 v[48:49], v[46:47], v[44:45] op_sel:[1,1] op_sel_hi:[0,1]
	s_delay_alu instid0(VALU_DEP_1) | instskip(SKIP_1) | instid1(VALU_DEP_2)
	v_pk_fma_f32 v[50:51], v[46:47], v[44:45], v[48:49] op_sel_hi:[1,0,1]
	v_pk_fma_f32 v[44:45], v[46:47], v[44:45], v[48:49] neg_lo:[0,0,1] neg_hi:[0,0,1]
	v_mov_b32_e32 v45, v51
	s_delay_alu instid0(VALU_DEP_1)
	v_pk_add_f32 v[44:45], v[44:45], 0 op_sel_hi:[1,0]
	s_and_saveexec_b32 s10, s14
	s_cbranch_execz .LBB158_926
; %bb.925:                              ;   in Loop: Header=BB158_3 Depth=1
	ds_load_b64 v[46:47], v80 offset:3616
	ds_load_b64 v[48:49], v1 offset:3640
	s_wait_dscnt 0x0
	v_pk_mul_f32 v[50:51], v[48:49], v[46:47] op_sel:[1,1] op_sel_hi:[0,1]
	s_delay_alu instid0(VALU_DEP_1) | instskip(SKIP_1) | instid1(VALU_DEP_2)
	v_pk_fma_f32 v[100:101], v[48:49], v[46:47], v[50:51] op_sel_hi:[1,0,1]
	v_pk_fma_f32 v[46:47], v[48:49], v[46:47], v[50:51] neg_lo:[0,0,1] neg_hi:[0,0,1]
	v_mov_b32_e32 v47, v101
	s_delay_alu instid0(VALU_DEP_1)
	v_pk_add_f32 v[44:45], v[44:45], v[46:47]
.LBB158_926:                            ;   in Loop: Header=BB158_3 Depth=1
	s_or_b32 exec_lo, exec_lo, s10
.LBB158_927:                            ;   in Loop: Header=BB158_3 Depth=1
	s_delay_alu instid0(SALU_CYCLE_1)
	s_or_b32 exec_lo, exec_lo, s13
	s_and_saveexec_b32 s10, s91
; %bb.928:                              ;   in Loop: Header=BB158_3 Depth=1
	s_delay_alu instid0(VALU_DEP_1)
	v_pk_add_f32 v[46:47], v[44:45], 0 neg_lo:[1,1] neg_hi:[1,1]
	ds_store_b64 v52, v[46:47]
; %bb.929:                              ;   in Loop: Header=BB158_3 Depth=1
	s_or_b32 exec_lo, exec_lo, s10
	s_wait_loadcnt_dscnt 0x0
	s_barrier_signal -1
	s_barrier_wait -1
	s_and_saveexec_b32 s10, s92
	s_cbranch_execz .LBB158_931
; %bb.930:                              ;   in Loop: Header=BB158_3 Depth=1
	ds_load_b64 v[46:47], v1 offset:2592
	ds_load_b64 v[48:49], v52
	s_wait_dscnt 0x0
	v_pk_mul_f32 v[50:51], v[48:49], v[46:47] op_sel_hi:[1,0]
	s_delay_alu instid0(VALU_DEP_1) | instskip(SKIP_1) | instid1(VALU_DEP_2)
	v_pk_fma_f32 v[100:101], v[48:49], v[46:47], v[50:51] op_sel:[1,1,0] op_sel_hi:[0,1,1]
	v_pk_fma_f32 v[46:47], v[48:49], v[46:47], v[50:51] op_sel:[1,1,0] op_sel_hi:[0,1,1] neg_lo:[0,0,1] neg_hi:[0,0,1]
	v_pk_add_f32 v[48:49], v[44:45], v[100:101] neg_lo:[0,1] neg_hi:[0,1]
	s_delay_alu instid0(VALU_DEP_2) | instskip(NEXT) | instid1(VALU_DEP_2)
	v_pk_add_f32 v[44:45], v[44:45], v[46:47]
	v_mov_b32_e32 v45, v49
.LBB158_931:                            ;   in Loop: Header=BB158_3 Depth=1
	s_or_b32 exec_lo, exec_lo, s10
	s_barrier_signal -1
	s_barrier_wait -1
	s_and_saveexec_b32 s10, s92
; %bb.932:                              ;   in Loop: Header=BB158_3 Depth=1
	v_pk_add_f32 v[46:47], v[44:45], 0 neg_lo:[1,1] neg_hi:[1,1]
	ds_store_b64 v52, v[46:47]
; %bb.933:                              ;   in Loop: Header=BB158_3 Depth=1
	s_or_b32 exec_lo, exec_lo, s10
	s_wait_dscnt 0x0
	s_barrier_signal -1
	s_barrier_wait -1
	s_barrier_signal -1
	s_barrier_wait -1
	s_and_saveexec_b32 s10, s3
; %bb.934:                              ;   in Loop: Header=BB158_3 Depth=1
	ds_store_b64 v56, v[44:45] offset:3616
; %bb.935:                              ;   in Loop: Header=BB158_3 Depth=1
	s_or_b32 exec_lo, exec_lo, s10
	s_wait_dscnt 0x0
	s_barrier_signal -1
	s_barrier_wait -1
	s_barrier_signal -1
	s_barrier_wait -1
	s_and_saveexec_b32 s10, s93
	s_cbranch_execz .LBB158_937
; %bb.936:                              ;   in Loop: Header=BB158_3 Depth=1
	ds_load_b64 v[44:45], v3 offset:3104
	s_wait_dscnt 0x0
	ds_store_b64 v80, v[44:45] offset:2096
	ds_load_b64 v[44:45], v3 offset:3112
	s_wait_dscnt 0x0
	ds_store_b64 v80, v[44:45] offset:2608
.LBB158_937:                            ;   in Loop: Header=BB158_3 Depth=1
	s_or_b32 exec_lo, exec_lo, s10
	s_wait_dscnt 0x0
	s_barrier_signal -1
	s_barrier_wait -1
	s_and_saveexec_b32 s10, s11
	s_cbranch_execz .LBB158_939
; %bb.938:                              ;   in Loop: Header=BB158_3 Depth=1
	ds_load_b64 v[44:45], v1 offset:2592
	v_add_nc_u32_e64 v0, 0x800, 0
	ds_store_b64 v1, v[38:39] offset:2600
	s_wait_dscnt 0x1
	ds_store_2addr_b64 v0, v[38:39], v[44:45] offset0:4 offset1:5
.LBB158_939:                            ;   in Loop: Header=BB158_3 Depth=1
	s_or_b32 exec_lo, exec_lo, s10
	v_mov_b64_e32 v[44:45], 0
	s_wait_dscnt 0x0
	s_barrier_signal -1
	s_barrier_wait -1
	global_wb scope:SCOPE_DEV
	s_wait_storecnt 0x0
	global_inv scope:SCOPE_DEV
	s_and_saveexec_b32 s13, s5
	s_cbranch_execz .LBB158_945
; %bb.940:                              ;   in Loop: Header=BB158_3 Depth=1
	ds_load_b64 v[44:45], v59 offset:2048
	ds_load_b64 v[46:47], v60 offset:3616
	s_wait_dscnt 0x0
	v_dual_mul_f32 v0, v47, v45 :: v_dual_mul_f32 v35, v46, v45
	s_delay_alu instid0(VALU_DEP_1) | instskip(NEXT) | instid1(VALU_DEP_1)
	v_dual_fma_f32 v0, v46, v44, -v0 :: v_dual_fmac_f32 v35, v47, v44
	v_dual_add_f32 v44, 0, v0 :: v_dual_add_f32 v45, 0, v35
	s_and_saveexec_b32 s10, s15
	s_cbranch_execnz .LBB158_1110
; %bb.941:                              ;   in Loop: Header=BB158_3 Depth=1
	s_or_b32 exec_lo, exec_lo, s10
	s_and_saveexec_b32 s10, s16
	s_cbranch_execnz .LBB158_1111
.LBB158_942:                            ;   in Loop: Header=BB158_3 Depth=1
	s_or_b32 exec_lo, exec_lo, s10
	s_and_saveexec_b32 s10, s3
	s_cbranch_execz .LBB158_944
.LBB158_943:                            ;   in Loop: Header=BB158_3 Depth=1
	ds_load_b64 v[46:47], v81 offset:3584
	ds_load_b64 v[48:49], v1 offset:3640
	s_wait_dscnt 0x0
	v_pk_mul_f32 v[50:51], v[48:49], v[46:47] op_sel:[1,1] op_sel_hi:[0,1]
	s_delay_alu instid0(VALU_DEP_1) | instskip(SKIP_1) | instid1(VALU_DEP_2)
	v_pk_fma_f32 v[100:101], v[48:49], v[46:47], v[50:51] op_sel_hi:[1,0,1]
	v_pk_fma_f32 v[46:47], v[48:49], v[46:47], v[50:51] neg_lo:[0,0,1] neg_hi:[0,0,1]
	v_mov_b32_e32 v47, v101
	s_delay_alu instid0(VALU_DEP_1)
	v_pk_add_f32 v[44:45], v[44:45], v[46:47]
.LBB158_944:                            ;   in Loop: Header=BB158_3 Depth=1
	s_or_b32 exec_lo, exec_lo, s10
.LBB158_945:                            ;   in Loop: Header=BB158_3 Depth=1
	s_delay_alu instid0(SALU_CYCLE_1)
	s_or_b32 exec_lo, exec_lo, s13
	s_and_saveexec_b32 s10, s94
; %bb.946:                              ;   in Loop: Header=BB158_3 Depth=1
	s_delay_alu instid0(VALU_DEP_1)
	v_pk_add_f32 v[46:47], v[44:45], 0 neg_lo:[1,1] neg_hi:[1,1]
	ds_store_b64 v58, v[46:47]
; %bb.947:                              ;   in Loop: Header=BB158_3 Depth=1
	s_or_b32 exec_lo, exec_lo, s10
	s_wait_loadcnt_dscnt 0x0
	s_barrier_signal -1
	s_barrier_wait -1
	s_and_saveexec_b32 s10, s95
	s_cbranch_execz .LBB158_949
; %bb.948:                              ;   in Loop: Header=BB158_3 Depth=1
	ds_load_b64 v[46:47], v59 offset:1536
	ds_load_b64 v[48:49], v58
	s_wait_dscnt 0x0
	v_pk_mul_f32 v[50:51], v[48:49], v[46:47] op_sel:[1,1] op_sel_hi:[0,1]
	s_delay_alu instid0(VALU_DEP_1) | instskip(SKIP_1) | instid1(VALU_DEP_2)
	v_pk_fma_f32 v[100:101], v[48:49], v[46:47], v[50:51] op_sel_hi:[1,0,1]
	v_pk_fma_f32 v[46:47], v[48:49], v[46:47], v[50:51] neg_lo:[0,0,1] neg_hi:[0,0,1]
	v_mov_b32_e32 v47, v101
	s_delay_alu instid0(VALU_DEP_1)
	v_pk_add_f32 v[44:45], v[44:45], v[46:47] neg_lo:[0,1] neg_hi:[0,1]
.LBB158_949:                            ;   in Loop: Header=BB158_3 Depth=1
	s_or_b32 exec_lo, exec_lo, s10
	s_barrier_signal -1
	s_barrier_wait -1
	s_and_saveexec_b32 s10, s96
; %bb.950:                              ;   in Loop: Header=BB158_3 Depth=1
	v_pk_add_f32 v[46:47], v[44:45], 0 neg_lo:[1,1] neg_hi:[1,1]
	ds_store_b64 v58, v[46:47]
; %bb.951:                              ;   in Loop: Header=BB158_3 Depth=1
	s_or_b32 exec_lo, exec_lo, s10
	s_wait_dscnt 0x0
	s_barrier_signal -1
	s_barrier_wait -1
	s_and_saveexec_b32 s10, s97
	s_cbranch_execz .LBB158_953
; %bb.952:                              ;   in Loop: Header=BB158_3 Depth=1
	ds_load_b64 v[46:47], v59 offset:1024
	ds_load_b64 v[48:49], v58
	s_wait_dscnt 0x0
	v_pk_mul_f32 v[50:51], v[48:49], v[46:47] op_sel:[1,1] op_sel_hi:[0,1]
	s_delay_alu instid0(VALU_DEP_1) | instskip(SKIP_1) | instid1(VALU_DEP_2)
	v_pk_fma_f32 v[100:101], v[48:49], v[46:47], v[50:51] op_sel_hi:[1,0,1]
	v_pk_fma_f32 v[46:47], v[48:49], v[46:47], v[50:51] neg_lo:[0,0,1] neg_hi:[0,0,1]
	v_mov_b32_e32 v47, v101
	s_delay_alu instid0(VALU_DEP_1)
	v_pk_add_f32 v[44:45], v[44:45], v[46:47] neg_lo:[0,1] neg_hi:[0,1]
.LBB158_953:                            ;   in Loop: Header=BB158_3 Depth=1
	s_or_b32 exec_lo, exec_lo, s10
	s_barrier_signal -1
	s_barrier_wait -1
	s_and_saveexec_b32 s10, s98
; %bb.954:                              ;   in Loop: Header=BB158_3 Depth=1
	v_pk_add_f32 v[46:47], v[44:45], 0 neg_lo:[1,1] neg_hi:[1,1]
	ds_store_b64 v58, v[46:47]
; %bb.955:                              ;   in Loop: Header=BB158_3 Depth=1
	s_or_b32 exec_lo, exec_lo, s10
	s_wait_dscnt 0x0
	;; [unrolled: 26-line block ×3, first 2 shown]
	s_barrier_signal -1
	s_barrier_wait -1
	s_barrier_signal -1
	s_barrier_wait -1
	s_and_saveexec_b32 s10, s5
; %bb.960:                              ;   in Loop: Header=BB158_3 Depth=1
	ds_store_b64 v61, v[44:45] offset:3584
; %bb.961:                              ;   in Loop: Header=BB158_3 Depth=1
	s_or_b32 exec_lo, exec_lo, s10
	s_wait_dscnt 0x0
	s_barrier_signal -1
	s_barrier_wait -1
	s_barrier_signal -1
	s_barrier_wait -1
	s_and_saveexec_b32 s10, s100
	s_cbranch_execz .LBB158_963
; %bb.962:                              ;   in Loop: Header=BB158_3 Depth=1
	ds_load_b64 v[44:45], v84 offset:2048
	s_wait_dscnt 0x0
	ds_store_b64 v86, v[44:45] offset:32
	ds_load_b64 v[44:45], v84 offset:2056
	s_wait_dscnt 0x0
	ds_store_b64 v86, v[44:45] offset:544
	;; [unrolled: 3-line block ×4, first 2 shown]
.LBB158_963:                            ;   in Loop: Header=BB158_3 Depth=1
	s_or_b32 exec_lo, exec_lo, s10
	s_wait_dscnt 0x0
	s_barrier_signal -1
	s_barrier_wait -1
	s_and_saveexec_b32 s10, s11
	s_cbranch_execz .LBB158_965
; %bb.964:                              ;   in Loop: Header=BB158_3 Depth=1
	ds_load_b64 v[44:45], v1 offset:1552
	ds_store_b64 v1, v[38:39] offset:1560
	s_wait_dscnt 0x1
	ds_store_2addr_b64 v1, v[38:39], v[44:45] offset0:130 offset1:131
.LBB158_965:                            ;   in Loop: Header=BB158_3 Depth=1
	s_or_b32 exec_lo, exec_lo, s10
	v_dual_mov_b32 v44, 0 :: v_dual_mov_b32 v45, 0
	s_wait_dscnt 0x0
	s_barrier_signal -1
	s_barrier_wait -1
	global_wb scope:SCOPE_DEV
	s_wait_storecnt 0x0
	global_inv scope:SCOPE_DEV
	s_and_saveexec_b32 s13, s3
	s_cbranch_execz .LBB158_969
; %bb.966:                              ;   in Loop: Header=BB158_3 Depth=1
	ds_load_b64 v[44:45], v53 offset:1024
	ds_load_b64 v[46:47], v54 offset:1552
	s_wait_dscnt 0x0
	v_pk_mul_f32 v[48:49], v[46:47], v[44:45] op_sel:[1,1] op_sel_hi:[0,1]
	s_delay_alu instid0(VALU_DEP_1) | instskip(SKIP_1) | instid1(VALU_DEP_2)
	v_pk_fma_f32 v[50:51], v[46:47], v[44:45], v[48:49] op_sel_hi:[1,0,1]
	v_pk_fma_f32 v[44:45], v[46:47], v[44:45], v[48:49] neg_lo:[0,0,1] neg_hi:[0,0,1]
	v_mov_b32_e32 v45, v51
	s_delay_alu instid0(VALU_DEP_1)
	v_pk_add_f32 v[44:45], v[44:45], 0 op_sel_hi:[1,0]
	s_and_saveexec_b32 s10, s14
	s_cbranch_execz .LBB158_968
; %bb.967:                              ;   in Loop: Header=BB158_3 Depth=1
	ds_load_b64 v[46:47], v86 offset:1536
	ds_load_b64 v[48:49], v1 offset:1560
	s_wait_dscnt 0x0
	v_pk_mul_f32 v[50:51], v[48:49], v[46:47] op_sel:[1,1] op_sel_hi:[0,1]
	s_delay_alu instid0(VALU_DEP_1) | instskip(SKIP_1) | instid1(VALU_DEP_2)
	v_pk_fma_f32 v[100:101], v[48:49], v[46:47], v[50:51] op_sel_hi:[1,0,1]
	v_pk_fma_f32 v[46:47], v[48:49], v[46:47], v[50:51] neg_lo:[0,0,1] neg_hi:[0,0,1]
	v_mov_b32_e32 v47, v101
	s_delay_alu instid0(VALU_DEP_1)
	v_pk_add_f32 v[44:45], v[44:45], v[46:47]
.LBB158_968:                            ;   in Loop: Header=BB158_3 Depth=1
	s_or_b32 exec_lo, exec_lo, s10
.LBB158_969:                            ;   in Loop: Header=BB158_3 Depth=1
	s_delay_alu instid0(SALU_CYCLE_1)
	s_or_b32 exec_lo, exec_lo, s13
	s_and_saveexec_b32 s10, s91
; %bb.970:                              ;   in Loop: Header=BB158_3 Depth=1
	s_delay_alu instid0(VALU_DEP_1)
	v_pk_add_f32 v[46:47], v[44:45], 0 neg_lo:[1,1] neg_hi:[1,1]
	ds_store_b64 v52, v[46:47]
; %bb.971:                              ;   in Loop: Header=BB158_3 Depth=1
	s_or_b32 exec_lo, exec_lo, s10
	s_wait_loadcnt_dscnt 0x0
	s_barrier_signal -1
	s_barrier_wait -1
	s_and_saveexec_b32 s10, s92
	s_cbranch_execz .LBB158_973
; %bb.972:                              ;   in Loop: Header=BB158_3 Depth=1
	ds_load_b64 v[46:47], v1 offset:512
	ds_load_b64 v[48:49], v52
	s_wait_dscnt 0x0
	v_pk_mul_f32 v[50:51], v[48:49], v[46:47] op_sel_hi:[1,0]
	s_delay_alu instid0(VALU_DEP_1) | instskip(SKIP_1) | instid1(VALU_DEP_2)
	v_pk_fma_f32 v[100:101], v[48:49], v[46:47], v[50:51] op_sel:[1,1,0] op_sel_hi:[0,1,1]
	v_pk_fma_f32 v[46:47], v[48:49], v[46:47], v[50:51] op_sel:[1,1,0] op_sel_hi:[0,1,1] neg_lo:[0,0,1] neg_hi:[0,0,1]
	v_pk_add_f32 v[48:49], v[44:45], v[100:101] neg_lo:[0,1] neg_hi:[0,1]
	s_delay_alu instid0(VALU_DEP_2) | instskip(NEXT) | instid1(VALU_DEP_2)
	v_pk_add_f32 v[44:45], v[44:45], v[46:47]
	v_mov_b32_e32 v45, v49
.LBB158_973:                            ;   in Loop: Header=BB158_3 Depth=1
	s_or_b32 exec_lo, exec_lo, s10
	s_barrier_signal -1
	s_barrier_wait -1
	s_and_saveexec_b32 s10, s92
; %bb.974:                              ;   in Loop: Header=BB158_3 Depth=1
	v_pk_add_f32 v[46:47], v[44:45], 0 neg_lo:[1,1] neg_hi:[1,1]
	ds_store_b64 v52, v[46:47]
; %bb.975:                              ;   in Loop: Header=BB158_3 Depth=1
	s_or_b32 exec_lo, exec_lo, s10
	s_wait_dscnt 0x0
	s_barrier_signal -1
	s_barrier_wait -1
	s_barrier_signal -1
	s_barrier_wait -1
	s_and_saveexec_b32 s10, s3
; %bb.976:                              ;   in Loop: Header=BB158_3 Depth=1
	ds_store_b64 v56, v[44:45] offset:1536
; %bb.977:                              ;   in Loop: Header=BB158_3 Depth=1
	s_or_b32 exec_lo, exec_lo, s10
	s_wait_dscnt 0x0
	s_barrier_signal -1
	s_barrier_wait -1
	s_barrier_signal -1
	s_barrier_wait -1
	s_and_saveexec_b32 s10, s93
	s_cbranch_execz .LBB158_979
; %bb.978:                              ;   in Loop: Header=BB158_3 Depth=1
	ds_load_b64 v[44:45], v88 offset:1024
	s_wait_dscnt 0x0
	ds_store_b64 v86, v[44:45] offset:16
	ds_load_b64 v[44:45], v88 offset:1032
	s_wait_dscnt 0x0
	ds_store_b64 v86, v[44:45] offset:528
.LBB158_979:                            ;   in Loop: Header=BB158_3 Depth=1
	s_or_b32 exec_lo, exec_lo, s10
	s_wait_dscnt 0x0
	s_barrier_signal -1
	s_barrier_wait -1
	s_and_saveexec_b32 s10, s11
	s_cbranch_execz .LBB158_981
; %bb.980:                              ;   in Loop: Header=BB158_3 Depth=1
	ds_load_b64 v[44:45], v1 offset:512
	ds_store_b64 v1, v[38:39] offset:520
	s_wait_dscnt 0x1
	ds_store_2addr_b64 v1, v[38:39], v[44:45] offset1:1
.LBB158_981:                            ;   in Loop: Header=BB158_3 Depth=1
	s_or_b32 exec_lo, exec_lo, s10
.LBB158_982:                            ;   in Loop: Header=BB158_3 Depth=1
	v_add_nc_u64_e32 v[42:43], s[70:71], v[42:43]
	v_mov_b64_e32 v[44:45], 0
	s_wait_dscnt 0x0
	s_barrier_signal -1
	s_barrier_wait -1
	s_wait_xcnt 0x0
	s_and_saveexec_b32 s10, s50
	s_cbranch_execz .LBB158_984
; %bb.983:                              ;   in Loop: Header=BB158_3 Depth=1
	v_lshl_add_u64 v[44:45], v[12:13], 3, v[42:43]
	v_readlane_b32 s52, v109, 15
	v_readlane_b32 s53, v109, 16
	flat_load_b64 v[44:45], v[44:45]
	v_mov_b64_e32 v[46:47], s[52:53]
	v_readlane_b32 s52, v109, 17
	v_readlane_b32 s53, v109, 18
	s_delay_alu instid0(VALU_DEP_1) | instskip(SKIP_1) | instid1(VALU_DEP_4)
	v_mov_b64_e32 v[48:49], s[52:53]
	s_wait_loadcnt_dscnt 0x0
	v_pk_mul_f32 v[46:47], v[46:47], v[44:45]
	s_delay_alu instid0(VALU_DEP_1)
	v_pk_fma_f32 v[44:45], v[48:49], v[44:45], v[46:47] op_sel:[0,0,1] op_sel_hi:[1,1,0] neg_lo:[1,0,0] neg_hi:[1,0,0]
.LBB158_984:                            ;   in Loop: Header=BB158_3 Depth=1
	s_or_b32 exec_lo, exec_lo, s10
	s_delay_alu instid0(SALU_CYCLE_1)
	s_and_not1_b32 vcc_lo, exec_lo, s51
	s_cbranch_vccnz .LBB158_1003
; %bb.985:                              ;   in Loop: Header=BB158_3 Depth=1
	v_mov_b32_e32 v35, -1
	s_lshl_b64 s[84:85], s[72:73], 2
	s_mov_b32 s13, 0
	s_add_nc_u64 s[84:85], s[78:79], s[84:85]
	s_branch .LBB158_987
.LBB158_986:                            ;   in Loop: Header=BB158_987 Depth=2
	s_or_b32 exec_lo, exec_lo, s10
	s_add_co_i32 s13, s13, 1
	s_delay_alu instid0(SALU_CYCLE_1)
	s_cmp_eq_u32 s13, s87
	s_cbranch_scc1 .LBB158_1003
.LBB158_987:                            ;   Parent Loop BB158_3 Depth=1
                                        ; =>  This Loop Header: Depth=2
                                        ;       Child Loop BB158_989 Depth 3
	v_cmp_gt_i32_e32 vcc_lo, s13, v35
	s_and_b32 s62, s36, vcc_lo
	s_delay_alu instid0(SALU_CYCLE_1)
	s_and_saveexec_b32 s10, s62
	s_cbranch_execz .LBB158_990
; %bb.988:                              ;   in Loop: Header=BB158_987 Depth=2
	global_load_b32 v35, v1, s[84:85]
	s_wait_loadcnt 0x0
	v_cmp_le_i32_e32 vcc_lo, s13, v35
	s_cbranch_vccnz .LBB158_990
.LBB158_989:                            ;   Parent Loop BB158_3 Depth=1
                                        ;     Parent Loop BB158_987 Depth=2
                                        ; =>    This Inner Loop Header: Depth=3
	global_wb scope:SCOPE_DEV
	s_wait_storecnt 0x0
	global_inv scope:SCOPE_DEV
	global_load_b32 v35, v1, s[84:85]
	s_wait_loadcnt 0x0
	v_cmp_gt_i32_e32 vcc_lo, s13, v35
	s_cbranch_vccnz .LBB158_989
.LBB158_990:                            ;   in Loop: Header=BB158_987 Depth=2
	s_or_b32 exec_lo, exec_lo, s10
	s_lshl_b32 s62, s13, 6
	global_wb scope:SCOPE_DEV
	s_wait_storecnt 0x0
	global_inv scope:SCOPE_DEV
	s_wait_loadcnt 0x0
	s_barrier_signal -1
	s_barrier_wait -1
	s_and_saveexec_b32 s10, s37
	s_cbranch_execz .LBB158_995
; %bb.991:                              ;   in Loop: Header=BB158_987 Depth=2
	v_or_b32_e32 v0, s62, v6
	s_delay_alu instid0(VALU_DEP_1) | instskip(SKIP_1) | instid1(SALU_CYCLE_1)
	v_cmp_le_i32_e32 vcc_lo, s86, v0
	s_and_saveexec_b32 s52, vcc_lo
	s_xor_b32 vcc_lo, exec_lo, s52
; %bb.992:                              ;   in Loop: Header=BB158_987 Depth=2
	ds_store_b64 v92, v[36:37]
; %bb.993:                              ;   in Loop: Header=BB158_987 Depth=2
	s_and_not1_saveexec_b32 s52, vcc_lo
	s_cbranch_execz .LBB158_995
; %bb.994:                              ;   in Loop: Header=BB158_987 Depth=2
	v_mul_u64_e32 v[46:47], s[76:77], v[0:1]
	s_delay_alu instid0(VALU_DEP_1)
	v_lshl_add_u64 v[46:47], v[46:47], 3, v[42:43]
	flat_load_b64 v[46:47], v[46:47]
	s_wait_loadcnt_dscnt 0x0
	ds_store_b64 v92, v[46:47]
.LBB158_995:                            ;   in Loop: Header=BB158_987 Depth=2
	s_or_b32 exec_lo, exec_lo, s10
	v_add_nc_u32_e32 v0, s62, v2
	s_wait_dscnt 0x0
	v_cmp_eq_u32_e32 vcc_lo, s13, v5
	s_barrier_signal -1
	s_barrier_wait -1
	v_cmp_gt_i32_e64 s62, s86, v0
	v_lshl_add_u64 v[46:47], v[0:1], 3, v[40:41]
	s_and_b32 s52, s62, s2
	s_delay_alu instid0(SALU_CYCLE_1)
	s_and_saveexec_b32 s10, s52
	s_cbranch_execz .LBB158_997
; %bb.996:                              ;   in Loop: Header=BB158_987 Depth=2
	s_delay_alu instid0(VALU_DEP_1) | instskip(SKIP_4) | instid1(VALU_DEP_1)
	v_dual_cndmask_b32 v49, v47, v25 :: v_dual_cndmask_b32 v48, v46, v24
	ds_load_b64 v[50:51], v89
	flat_load_b64 v[48:49], v[48:49]
	s_wait_loadcnt_dscnt 0x0
	v_dual_mul_f32 v100, v51, v49 :: v_dual_mul_f32 v49, v50, v49
	v_dual_fma_f32 v50, v50, v48, -v100 :: v_dual_fmac_f32 v49, v51, v48
	s_delay_alu instid0(VALU_DEP_1)
	v_dual_add_f32 v44, v44, v50 :: v_dual_add_f32 v45, v45, v49
.LBB158_997:                            ;   in Loop: Header=BB158_987 Depth=2
	s_or_b32 exec_lo, exec_lo, s10
	v_add_nc_u32_e32 v48, 16, v0
	s_delay_alu instid0(VALU_DEP_1) | instskip(SKIP_1) | instid1(SALU_CYCLE_1)
	v_cmp_gt_i32_e64 s62, s86, v48
	s_and_b32 s52, s62, s2
	s_and_saveexec_b32 s10, s52
	s_cbranch_execz .LBB158_999
; %bb.998:                              ;   in Loop: Header=BB158_987 Depth=2
	v_add_nc_u64_e32 v[48:49], 0x80, v[46:47]
	ds_load_b64 v[50:51], v89 offset:128
	v_dual_cndmask_b32 v49, v49, v27 :: v_dual_cndmask_b32 v48, v48, v26
	flat_load_b64 v[48:49], v[48:49]
	s_wait_loadcnt_dscnt 0x0
	v_dual_mul_f32 v100, v51, v49 :: v_dual_mul_f32 v49, v50, v49
	s_delay_alu instid0(VALU_DEP_1) | instskip(NEXT) | instid1(VALU_DEP_1)
	v_dual_fma_f32 v50, v50, v48, -v100 :: v_dual_fmac_f32 v49, v51, v48
	v_dual_add_f32 v44, v44, v50 :: v_dual_add_f32 v45, v45, v49
.LBB158_999:                            ;   in Loop: Header=BB158_987 Depth=2
	s_or_b32 exec_lo, exec_lo, s10
	v_add_nc_u32_e32 v48, 32, v0
	s_delay_alu instid0(VALU_DEP_1) | instskip(SKIP_1) | instid1(SALU_CYCLE_1)
	v_cmp_gt_i32_e64 s62, s86, v48
	s_and_b32 s52, s62, s2
	s_and_saveexec_b32 s10, s52
	s_cbranch_execz .LBB158_1001
; %bb.1000:                             ;   in Loop: Header=BB158_987 Depth=2
	v_add_nc_u64_e32 v[48:49], 0x100, v[46:47]
	ds_load_b64 v[50:51], v89 offset:256
	v_dual_cndmask_b32 v49, v49, v29 :: v_dual_cndmask_b32 v48, v48, v28
	flat_load_b64 v[48:49], v[48:49]
	s_wait_loadcnt_dscnt 0x0
	v_dual_mul_f32 v100, v51, v49 :: v_dual_mul_f32 v101, v50, v49
	s_delay_alu instid0(VALU_DEP_1) | instskip(NEXT) | instid1(VALU_DEP_1)
	v_dual_fma_f32 v100, v50, v48, -v100 :: v_dual_fmac_f32 v101, v51, v48
	v_pk_add_f32 v[44:45], v[44:45], v[100:101]
.LBB158_1001:                           ;   in Loop: Header=BB158_987 Depth=2
	s_or_b32 exec_lo, exec_lo, s10
	v_add_nc_u32_e32 v0, 48, v0
	s_delay_alu instid0(VALU_DEP_1) | instskip(SKIP_1) | instid1(SALU_CYCLE_1)
	v_cmp_gt_i32_e64 s62, s86, v0
	s_and_b32 s52, s62, s2
	s_and_saveexec_b32 s10, s52
	s_cbranch_execz .LBB158_986
; %bb.1002:                             ;   in Loop: Header=BB158_987 Depth=2
	v_add_nc_u64_e32 v[46:47], 0x180, v[46:47]
	ds_load_b64 v[48:49], v89 offset:384
	v_dual_cndmask_b32 v47, v47, v31 :: v_dual_cndmask_b32 v46, v46, v30
	flat_load_b64 v[46:47], v[46:47]
	s_wait_loadcnt_dscnt 0x0
	v_pk_mul_f32 v[50:51], v[48:49], v[46:47] op_sel:[1,1] op_sel_hi:[0,1]
	s_delay_alu instid0(VALU_DEP_1) | instskip(SKIP_1) | instid1(VALU_DEP_2)
	v_pk_fma_f32 v[100:101], v[48:49], v[46:47], v[50:51] op_sel_hi:[1,0,1]
	v_pk_fma_f32 v[46:47], v[48:49], v[46:47], v[50:51] neg_lo:[0,0,1] neg_hi:[0,0,1]
	v_mov_b32_e32 v47, v101
	s_delay_alu instid0(VALU_DEP_1)
	v_pk_add_f32 v[44:45], v[44:45], v[46:47]
	s_branch .LBB158_986
.LBB158_1003:                           ;   in Loop: Header=BB158_3 Depth=1
	ds_store_b64 v93, v[44:45]
	s_wait_dscnt 0x0
	s_barrier_signal -1
	s_barrier_wait -1
	s_and_saveexec_b32 s13, s4
	s_cbranch_execz .LBB158_1005
; %bb.1004:                             ;   in Loop: Header=BB158_3 Depth=1
	ds_load_2addr_stride64_b64 v[46:49], v94 offset0:1 offset1:2
	ds_load_2addr_stride64_b64 v[100:103], v94 offset0:3 offset1:4
	;; [unrolled: 1-line block ×3, first 2 shown]
	s_wait_dscnt 0x2
	v_pk_add_f32 v[40:41], v[44:45], v[46:47]
	ds_load_2addr_stride64_b64 v[44:47], v94 offset0:7 offset1:8
	v_pk_add_f32 v[40:41], v[40:41], v[48:49]
	ds_load_2addr_stride64_b64 v[48:51], v94 offset0:9 offset1:10
	s_wait_dscnt 0x3
	v_pk_add_f32 v[40:41], v[40:41], v[100:101]
	s_delay_alu instid0(VALU_DEP_1) | instskip(SKIP_3) | instid1(VALU_DEP_1)
	v_pk_add_f32 v[40:41], v[40:41], v[102:103]
	ds_load_2addr_stride64_b64 v[100:103], v94 offset0:11 offset1:12
	s_wait_dscnt 0x3
	v_pk_add_f32 v[40:41], v[40:41], v[104:105]
	v_pk_add_f32 v[40:41], v[40:41], v[106:107]
	s_wait_dscnt 0x2
	s_delay_alu instid0(VALU_DEP_1) | instskip(NEXT) | instid1(VALU_DEP_1)
	v_pk_add_f32 v[40:41], v[40:41], v[44:45]
	v_pk_add_f32 v[40:41], v[40:41], v[46:47]
	ds_load_2addr_stride64_b64 v[44:47], v94 offset0:13 offset1:14
	s_wait_dscnt 0x2
	v_pk_add_f32 v[40:41], v[40:41], v[48:49]
	ds_load_b64 v[48:49], v94 offset:7680
	v_pk_add_f32 v[40:41], v[40:41], v[50:51]
	s_wait_dscnt 0x2
	s_delay_alu instid0(VALU_DEP_1) | instskip(NEXT) | instid1(VALU_DEP_1)
	v_pk_add_f32 v[40:41], v[40:41], v[100:101]
	v_pk_add_f32 v[40:41], v[40:41], v[102:103]
	s_wait_dscnt 0x1
	s_delay_alu instid0(VALU_DEP_1) | instskip(NEXT) | instid1(VALU_DEP_1)
	v_pk_add_f32 v[40:41], v[40:41], v[44:45]
	v_pk_add_f32 v[40:41], v[40:41], v[46:47]
	s_wait_dscnt 0x0
	s_delay_alu instid0(VALU_DEP_1) | instskip(NEXT) | instid1(VALU_DEP_1)
	v_pk_add_f32 v[40:41], v[40:41], v[48:49]
	v_cndmask_b32_e64 v45, -v41, 0, s49
	s_delay_alu instid0(VALU_DEP_2)
	v_cndmask_b32_e64 v44, -v40, 0, s49
.LBB158_1005:                           ;   in Loop: Header=BB158_3 Depth=1
	s_or_b32 exec_lo, exec_lo, s13
	s_delay_alu instid0(SALU_CYCLE_1)
	s_and_not1_b32 vcc_lo, exec_lo, s90
	s_cbranch_vccnz .LBB158_1015
; %bb.1006:                             ;   in Loop: Header=BB158_3 Depth=1
	s_and_saveexec_b32 s10, s4
; %bb.1007:                             ;   in Loop: Header=BB158_3 Depth=1
	ds_store_b64 v96, v[44:45]
; %bb.1008:                             ;   in Loop: Header=BB158_3 Depth=1
	s_or_b32 exec_lo, exec_lo, s10
	v_mov_b64_e32 v[40:41], 0
	s_wait_dscnt 0x0
	s_barrier_signal -1
	s_barrier_wait -1
	s_and_saveexec_b32 s10, s0
	s_cbranch_execnz .LBB158_1054
; %bb.1009:                             ;   in Loop: Header=BB158_3 Depth=1
	s_or_b32 exec_lo, exec_lo, s10
	s_and_saveexec_b32 s10, s1
	s_cbranch_execnz .LBB158_1055
.LBB158_1010:                           ;   in Loop: Header=BB158_3 Depth=1
	s_or_b32 exec_lo, exec_lo, s10
	s_and_saveexec_b32 s10, s8
	s_cbranch_execnz .LBB158_1056
.LBB158_1011:                           ;   in Loop: Header=BB158_3 Depth=1
	s_or_b32 exec_lo, exec_lo, s10
	s_and_saveexec_b32 s10, s9
	s_cbranch_execz .LBB158_1013
.LBB158_1012:                           ;   in Loop: Header=BB158_3 Depth=1
	ds_load_b64 v[46:47], v95 offset:24576
	ds_load_b64 v[48:49], v89 offset:384
	s_wait_dscnt 0x0
	v_pk_mul_f32 v[50:51], v[48:49], v[46:47] op_sel:[1,1] op_sel_hi:[0,1]
	s_delay_alu instid0(VALU_DEP_1) | instskip(SKIP_1) | instid1(VALU_DEP_2)
	v_pk_fma_f32 v[100:101], v[48:49], v[46:47], v[50:51] op_sel_hi:[1,0,1]
	v_pk_fma_f32 v[46:47], v[48:49], v[46:47], v[50:51] neg_lo:[0,0,1] neg_hi:[0,0,1]
	v_mov_b32_e32 v47, v101
	s_delay_alu instid0(VALU_DEP_1)
	v_pk_add_f32 v[40:41], v[40:41], v[46:47]
.LBB158_1013:                           ;   in Loop: Header=BB158_3 Depth=1
	s_or_b32 exec_lo, exec_lo, s10
	s_mov_b32 s13, 0
	s_mov_b32 s62, 0
	ds_store_b64 v93, v[40:41]
	s_wait_dscnt 0x0
	s_barrier_signal -1
	s_barrier_wait -1
                                        ; implicit-def: $vgpr46_vgpr47
	s_and_saveexec_b32 s84, s4
	s_cbranch_execz .LBB158_1057
; %bb.1014:                             ;   in Loop: Header=BB158_3 Depth=1
	ds_load_2addr_stride64_b64 v[46:49], v94 offset0:1 offset1:2
	ds_load_2addr_stride64_b64 v[100:103], v94 offset0:3 offset1:4
	;; [unrolled: 1-line block ×3, first 2 shown]
	ds_load_b64 v[50:51], v94 offset:7680
	s_mov_b32 s62, exec_lo
	s_wait_dscnt 0x3
	v_pk_add_f32 v[40:41], v[40:41], v[46:47]
	s_delay_alu instid0(VALU_DEP_1) | instskip(SKIP_3) | instid1(VALU_DEP_1)
	v_pk_add_f32 v[40:41], v[40:41], v[48:49]
	ds_load_2addr_stride64_b64 v[46:49], v94 offset0:7 offset1:8
	s_wait_dscnt 0x3
	v_pk_add_f32 v[40:41], v[40:41], v[100:101]
	v_pk_add_f32 v[40:41], v[40:41], v[102:103]
	ds_load_2addr_stride64_b64 v[100:103], v94 offset0:9 offset1:10
	s_wait_dscnt 0x3
	v_pk_add_f32 v[40:41], v[40:41], v[104:105]
	s_delay_alu instid0(VALU_DEP_1) | instskip(SKIP_3) | instid1(VALU_DEP_1)
	v_pk_add_f32 v[40:41], v[40:41], v[106:107]
	ds_load_2addr_stride64_b64 v[104:107], v94 offset0:11 offset1:12
	s_wait_dscnt 0x2
	v_pk_add_f32 v[40:41], v[40:41], v[46:47]
	v_pk_add_f32 v[40:41], v[40:41], v[48:49]
	ds_load_2addr_stride64_b64 v[46:49], v94 offset0:13 offset1:14
	s_wait_dscnt 0x2
	v_pk_add_f32 v[40:41], v[40:41], v[100:101]
	s_delay_alu instid0(VALU_DEP_1) | instskip(SKIP_1) | instid1(VALU_DEP_1)
	v_pk_add_f32 v[40:41], v[40:41], v[102:103]
	s_wait_dscnt 0x1
	v_pk_add_f32 v[40:41], v[40:41], v[104:105]
	s_delay_alu instid0(VALU_DEP_1) | instskip(SKIP_1) | instid1(VALU_DEP_1)
	v_pk_add_f32 v[40:41], v[40:41], v[106:107]
	s_wait_dscnt 0x0
	v_pk_add_f32 v[40:41], v[40:41], v[46:47]
	s_delay_alu instid0(VALU_DEP_1) | instskip(NEXT) | instid1(VALU_DEP_1)
	v_pk_add_f32 v[40:41], v[40:41], v[48:49]
	v_pk_add_f32 v[46:47], v[40:41], v[50:51]
	s_or_b32 exec_lo, exec_lo, s84
	s_delay_alu instid0(SALU_CYCLE_1)
	s_and_b32 vcc_lo, exec_lo, s13
	s_cbranch_vccnz .LBB158_1016
	s_branch .LBB158_1058
.LBB158_1015:                           ;   in Loop: Header=BB158_3 Depth=1
	s_mov_b32 s62, 0
                                        ; implicit-def: $vgpr46_vgpr47
	s_cbranch_execz .LBB158_1058
.LBB158_1016:                           ;   in Loop: Header=BB158_3 Depth=1
	v_dual_mov_b32 v0, v4 :: v_dual_mov_b32 v35, v97
	s_mov_b32 s13, 0
	s_branch .LBB158_1018
.LBB158_1017:                           ;   in Loop: Header=BB158_1018 Depth=2
	s_or_b32 exec_lo, exec_lo, s10
	v_add_nc_u32_e32 v35, 0x800, v35
	v_add_nc_u32_e32 v0, -4, v0
	s_add_co_i32 s13, s13, 4
	s_delay_alu instid0(SALU_CYCLE_1)
	s_cmp_lg_u32 s13, 64
	s_barrier_signal -1
	s_barrier_wait -1
	s_cbranch_scc0 .LBB158_1034
.LBB158_1018:                           ;   Parent Loop BB158_3 Depth=1
                                        ; =>  This Inner Loop Header: Depth=2
	s_delay_alu instid0(VALU_DEP_1) | instskip(SKIP_1) | instid1(SALU_CYCLE_1)
	v_cmp_eq_u32_e32 vcc_lo, 0, v0
	s_and_b32 s52, s4, vcc_lo
	s_and_saveexec_b32 s10, s52
; %bb.1019:                             ;   in Loop: Header=BB158_1018 Depth=2
	ds_store_b64 v1, v[44:45] offset:41472
; %bb.1020:                             ;   in Loop: Header=BB158_1018 Depth=2
	s_or_b32 exec_lo, exec_lo, s10
	v_cmp_lt_u32_e32 vcc_lo, s13, v4
	s_wait_dscnt 0x0
	s_barrier_signal -1
	s_barrier_wait -1
	s_and_b32 s52, s4, vcc_lo
	s_delay_alu instid0(SALU_CYCLE_1)
	s_and_saveexec_b32 s10, s52
	s_cbranch_execz .LBB158_1022
; %bb.1021:                             ;   in Loop: Header=BB158_1018 Depth=2
	ds_load_b64 v[40:41], v35
	ds_load_b64 v[46:47], v1 offset:41472
	s_wait_dscnt 0x0
	v_pk_mul_f32 v[48:49], v[46:47], v[40:41] op_sel:[1,1] op_sel_hi:[0,1]
	s_delay_alu instid0(VALU_DEP_1) | instskip(SKIP_1) | instid1(VALU_DEP_2)
	v_pk_fma_f32 v[50:51], v[46:47], v[40:41], v[48:49] op_sel_hi:[1,0,1]
	v_pk_fma_f32 v[40:41], v[46:47], v[40:41], v[48:49] neg_lo:[0,0,1] neg_hi:[0,0,1]
	v_mov_b32_e32 v41, v51
	s_delay_alu instid0(VALU_DEP_1)
	v_pk_add_f32 v[44:45], v[44:45], v[40:41]
.LBB158_1022:                           ;   in Loop: Header=BB158_1018 Depth=2
	s_or_b32 exec_lo, exec_lo, s10
	s_or_b32 s10, s13, 1
	s_delay_alu instid0(SALU_CYCLE_1) | instskip(SKIP_3) | instid1(SALU_CYCLE_1)
	v_cmp_eq_u32_e32 vcc_lo, s10, v4
	s_barrier_signal -1
	s_barrier_wait -1
	s_and_b32 s52, s4, vcc_lo
	s_and_saveexec_b32 s84, s52
; %bb.1023:                             ;   in Loop: Header=BB158_1018 Depth=2
	ds_store_b64 v1, v[44:45] offset:41472
; %bb.1024:                             ;   in Loop: Header=BB158_1018 Depth=2
	s_or_b32 exec_lo, exec_lo, s84
	v_cmp_lt_u32_e32 vcc_lo, s10, v4
	s_wait_dscnt 0x0
	s_barrier_signal -1
	s_barrier_wait -1
	s_and_b32 s52, s4, vcc_lo
	s_delay_alu instid0(SALU_CYCLE_1)
	s_and_saveexec_b32 s10, s52
	s_cbranch_execz .LBB158_1026
; %bb.1025:                             ;   in Loop: Header=BB158_1018 Depth=2
	ds_load_b64 v[40:41], v35 offset:512
	ds_load_b64 v[46:47], v1 offset:41472
	s_wait_dscnt 0x0
	v_pk_mul_f32 v[48:49], v[46:47], v[40:41] op_sel:[1,1] op_sel_hi:[0,1]
	s_delay_alu instid0(VALU_DEP_1) | instskip(SKIP_1) | instid1(VALU_DEP_2)
	v_pk_fma_f32 v[50:51], v[46:47], v[40:41], v[48:49] op_sel_hi:[1,0,1]
	v_pk_fma_f32 v[40:41], v[46:47], v[40:41], v[48:49] neg_lo:[0,0,1] neg_hi:[0,0,1]
	v_mov_b32_e32 v41, v51
	s_delay_alu instid0(VALU_DEP_1)
	v_pk_add_f32 v[44:45], v[44:45], v[40:41]
.LBB158_1026:                           ;   in Loop: Header=BB158_1018 Depth=2
	s_or_b32 exec_lo, exec_lo, s10
	s_or_b32 s10, s13, 2
	s_delay_alu instid0(SALU_CYCLE_1) | instskip(SKIP_3) | instid1(SALU_CYCLE_1)
	v_cmp_eq_u32_e32 vcc_lo, s10, v4
	s_barrier_signal -1
	s_barrier_wait -1
	s_and_b32 s52, s4, vcc_lo
	s_and_saveexec_b32 s84, s52
; %bb.1027:                             ;   in Loop: Header=BB158_1018 Depth=2
	ds_store_b64 v1, v[44:45] offset:41472
; %bb.1028:                             ;   in Loop: Header=BB158_1018 Depth=2
	s_or_b32 exec_lo, exec_lo, s84
	v_cmp_lt_u32_e32 vcc_lo, s10, v4
	s_wait_dscnt 0x0
	s_barrier_signal -1
	s_barrier_wait -1
	s_and_b32 s52, s4, vcc_lo
	s_delay_alu instid0(SALU_CYCLE_1)
	s_and_saveexec_b32 s10, s52
	s_cbranch_execz .LBB158_1030
; %bb.1029:                             ;   in Loop: Header=BB158_1018 Depth=2
	ds_load_b64 v[40:41], v35 offset:1024
	ds_load_b64 v[46:47], v1 offset:41472
	s_wait_dscnt 0x0
	v_pk_mul_f32 v[48:49], v[46:47], v[40:41] op_sel:[1,1] op_sel_hi:[0,1]
	s_delay_alu instid0(VALU_DEP_1) | instskip(SKIP_1) | instid1(VALU_DEP_2)
	v_pk_fma_f32 v[50:51], v[46:47], v[40:41], v[48:49] op_sel_hi:[1,0,1]
	v_pk_fma_f32 v[40:41], v[46:47], v[40:41], v[48:49] neg_lo:[0,0,1] neg_hi:[0,0,1]
	v_mov_b32_e32 v41, v51
	s_delay_alu instid0(VALU_DEP_1)
	v_pk_add_f32 v[44:45], v[44:45], v[40:41]
.LBB158_1030:                           ;   in Loop: Header=BB158_1018 Depth=2
	s_or_b32 exec_lo, exec_lo, s10
	s_or_b32 s10, s13, 3
	s_delay_alu instid0(SALU_CYCLE_1) | instskip(SKIP_3) | instid1(SALU_CYCLE_1)
	v_cmp_eq_u32_e32 vcc_lo, s10, v4
	s_barrier_signal -1
	s_barrier_wait -1
	s_and_b32 s52, s4, vcc_lo
	s_and_saveexec_b32 s84, s52
; %bb.1031:                             ;   in Loop: Header=BB158_1018 Depth=2
	ds_store_b64 v1, v[44:45] offset:41472
; %bb.1032:                             ;   in Loop: Header=BB158_1018 Depth=2
	s_or_b32 exec_lo, exec_lo, s84
	v_cmp_lt_u32_e32 vcc_lo, s10, v4
	s_wait_dscnt 0x0
	s_barrier_signal -1
	s_barrier_wait -1
	s_and_b32 s52, s4, vcc_lo
	s_delay_alu instid0(SALU_CYCLE_1)
	s_and_saveexec_b32 s10, s52
	s_cbranch_execz .LBB158_1017
; %bb.1033:                             ;   in Loop: Header=BB158_1018 Depth=2
	ds_load_b64 v[40:41], v35 offset:1536
	ds_load_b64 v[46:47], v1 offset:41472
	s_wait_dscnt 0x0
	v_pk_mul_f32 v[48:49], v[46:47], v[40:41] op_sel:[1,1] op_sel_hi:[0,1]
	s_delay_alu instid0(VALU_DEP_1) | instskip(SKIP_1) | instid1(VALU_DEP_2)
	v_pk_fma_f32 v[50:51], v[46:47], v[40:41], v[48:49] op_sel_hi:[1,0,1]
	v_pk_fma_f32 v[40:41], v[46:47], v[40:41], v[48:49] neg_lo:[0,0,1] neg_hi:[0,0,1]
	v_mov_b32_e32 v41, v51
	s_delay_alu instid0(VALU_DEP_1)
	v_pk_add_f32 v[44:45], v[44:45], v[40:41]
	s_branch .LBB158_1017
.LBB158_1034:                           ;   in Loop: Header=BB158_3 Depth=1
	s_and_b32 vcc_lo, exec_lo, s89
	s_mov_b32 s10, -1
	s_cbranch_vccz .LBB158_1036
; %bb.1035:                             ;   in Loop: Header=BB158_3 Depth=1
	s_and_not1_b32 s13, s62, exec_lo
	s_and_b32 s52, s4, exec_lo
	s_mov_b32 s10, 0
	s_or_b32 s62, s13, s52
.LBB158_1036:                           ;   in Loop: Header=BB158_3 Depth=1
	s_and_not1_b32 vcc_lo, exec_lo, s10
	s_cbranch_vccnz .LBB158_1038
; %bb.1037:                             ;   in Loop: Header=BB158_3 Depth=1
	v_readlane_b32 s13, v109, 7
	s_and_not1_b32 s10, s62, exec_lo
	s_and_b32 s13, s13, exec_lo
	s_delay_alu instid0(SALU_CYCLE_1)
	s_or_b32 s62, s10, s13
.LBB158_1038:                           ;   in Loop: Header=BB158_3 Depth=1
	v_mov_b64_e32 v[40:41], v[22:23]
	s_and_saveexec_b32 s10, s62
	s_cbranch_execnz .LBB158_1059
	s_branch .LBB158_1060
.LBB158_1039:                           ;   in Loop: Header=BB158_3 Depth=1
	v_readlane_b32 s52, v109, 20
	s_and_saveexec_b32 s13, s52
; %bb.1040:                             ;   in Loop: Header=BB158_3 Depth=1
	ds_store_b64 v82, v[36:37]
; %bb.1041:                             ;   in Loop: Header=BB158_3 Depth=1
	s_or_b32 exec_lo, exec_lo, s13
	s_and_not1_saveexec_b32 s10, s10
	s_cbranch_execz .LBB158_18
.LBB158_1042:                           ;   in Loop: Header=BB158_3 Depth=1
	v_lshl_add_u64 v[46:47], v[20:21], 3, v[44:45]
	flat_load_b64 v[46:47], v[46:47]
	s_wait_loadcnt_dscnt 0x0
	v_pk_add_f32 v[46:47], v[46:47], 0 neg_lo:[1,1] neg_hi:[1,1]
	ds_store_b64 v82, v[46:47]
	s_or_b32 exec_lo, exec_lo, s10
	s_and_saveexec_b32 s10, s1
	s_delay_alu instid0(SALU_CYCLE_1)
	s_xor_b32 s10, exec_lo, s10
	s_cbranch_execz .LBB158_19
.LBB158_1043:                           ;   in Loop: Header=BB158_3 Depth=1
	v_readlane_b32 s52, v109, 21
	s_and_saveexec_b32 s13, s52
; %bb.1044:                             ;   in Loop: Header=BB158_3 Depth=1
	ds_store_b64 v83, v[36:37]
; %bb.1045:                             ;   in Loop: Header=BB158_3 Depth=1
	s_or_b32 exec_lo, exec_lo, s13
	s_and_not1_saveexec_b32 s10, s10
	s_cbranch_execz .LBB158_20
.LBB158_1046:                           ;   in Loop: Header=BB158_3 Depth=1
	v_lshl_add_u64 v[46:47], v[14:15], 3, v[44:45]
	flat_load_b64 v[46:47], v[46:47]
	s_wait_loadcnt_dscnt 0x0
	v_pk_add_f32 v[46:47], v[46:47], 0 neg_lo:[1,1] neg_hi:[1,1]
	ds_store_b64 v83, v[46:47]
	s_or_b32 exec_lo, exec_lo, s10
	s_and_saveexec_b32 s10, s8
	s_delay_alu instid0(SALU_CYCLE_1)
	s_xor_b32 s10, exec_lo, s10
	s_cbranch_execz .LBB158_21
.LBB158_1047:                           ;   in Loop: Header=BB158_3 Depth=1
	v_readlane_b32 s52, v109, 22
	s_and_saveexec_b32 s13, s52
; %bb.1048:                             ;   in Loop: Header=BB158_3 Depth=1
	ds_store_b64 v85, v[36:37]
; %bb.1049:                             ;   in Loop: Header=BB158_3 Depth=1
	s_or_b32 exec_lo, exec_lo, s13
	s_and_not1_saveexec_b32 s10, s10
	s_cbranch_execz .LBB158_22
.LBB158_1050:                           ;   in Loop: Header=BB158_3 Depth=1
	v_lshl_add_u64 v[46:47], v[16:17], 3, v[44:45]
	flat_load_b64 v[46:47], v[46:47]
	s_wait_loadcnt_dscnt 0x0
	v_pk_add_f32 v[46:47], v[46:47], 0 neg_lo:[1,1] neg_hi:[1,1]
	ds_store_b64 v85, v[46:47]
	s_or_b32 exec_lo, exec_lo, s10
	s_and_saveexec_b32 s10, s9
	s_delay_alu instid0(SALU_CYCLE_1)
	s_xor_b32 s10, exec_lo, s10
	s_cbranch_execz .LBB158_23
.LBB158_1051:                           ;   in Loop: Header=BB158_3 Depth=1
	v_readlane_b32 s52, v108, 12
	s_and_saveexec_b32 s13, s52
; %bb.1052:                             ;   in Loop: Header=BB158_3 Depth=1
	ds_store_b64 v87, v[36:37]
; %bb.1053:                             ;   in Loop: Header=BB158_3 Depth=1
	s_or_b32 exec_lo, exec_lo, s13
	s_and_not1_saveexec_b32 s10, s10
	s_cbranch_execnz .LBB158_24
	s_branch .LBB158_25
.LBB158_1054:                           ;   in Loop: Header=BB158_3 Depth=1
	ds_load_b64 v[40:41], v95
	ds_load_b64 v[46:47], v89
	s_wait_dscnt 0x0
	v_dual_mul_f32 v0, v47, v41 :: v_dual_mul_f32 v35, v46, v41
	s_delay_alu instid0(VALU_DEP_1) | instskip(NEXT) | instid1(VALU_DEP_1)
	v_dual_fma_f32 v0, v46, v40, -v0 :: v_dual_fmac_f32 v35, v47, v40
	v_dual_add_f32 v40, 0, v0 :: v_dual_add_f32 v41, 0, v35
	s_or_b32 exec_lo, exec_lo, s10
	s_and_saveexec_b32 s10, s1
	s_cbranch_execz .LBB158_1010
.LBB158_1055:                           ;   in Loop: Header=BB158_3 Depth=1
	ds_load_b64 v[46:47], v95 offset:8192
	ds_load_b64 v[48:49], v89 offset:128
	s_wait_dscnt 0x0
	v_dual_mul_f32 v0, v49, v47 :: v_dual_mul_f32 v51, v48, v47
	s_delay_alu instid0(VALU_DEP_1) | instskip(NEXT) | instid1(VALU_DEP_1)
	v_dual_fma_f32 v50, v48, v46, -v0 :: v_dual_fmac_f32 v51, v49, v46
	v_pk_add_f32 v[40:41], v[40:41], v[50:51]
	s_or_b32 exec_lo, exec_lo, s10
	s_and_saveexec_b32 s10, s8
	s_cbranch_execz .LBB158_1011
.LBB158_1056:                           ;   in Loop: Header=BB158_3 Depth=1
	ds_load_b64 v[46:47], v95 offset:16384
	ds_load_b64 v[48:49], v89 offset:256
	s_wait_dscnt 0x0
	v_pk_mul_f32 v[50:51], v[48:49], v[46:47] op_sel:[1,1] op_sel_hi:[0,1]
	s_delay_alu instid0(VALU_DEP_1) | instskip(SKIP_1) | instid1(VALU_DEP_2)
	v_pk_fma_f32 v[100:101], v[48:49], v[46:47], v[50:51] op_sel_hi:[1,0,1]
	v_pk_fma_f32 v[46:47], v[48:49], v[46:47], v[50:51] neg_lo:[0,0,1] neg_hi:[0,0,1]
	v_mov_b32_e32 v47, v101
	s_delay_alu instid0(VALU_DEP_1)
	v_pk_add_f32 v[40:41], v[40:41], v[46:47]
	s_or_b32 exec_lo, exec_lo, s10
	s_and_saveexec_b32 s10, s9
	s_cbranch_execnz .LBB158_1012
	s_branch .LBB158_1013
.LBB158_1057:                           ;   in Loop: Header=BB158_3 Depth=1
	s_or_b32 exec_lo, exec_lo, s84
	s_delay_alu instid0(SALU_CYCLE_1)
	s_and_b32 vcc_lo, exec_lo, s13
	s_cbranch_vccnz .LBB158_1016
.LBB158_1058:                           ;   in Loop: Header=BB158_3 Depth=1
	v_mov_b64_e32 v[44:45], v[46:47]
	v_mov_b64_e32 v[40:41], v[32:33]
	s_and_saveexec_b32 s10, s62
	s_cbranch_execz .LBB158_1060
.LBB158_1059:                           ;   in Loop: Header=BB158_3 Depth=1
	s_delay_alu instid0(VALU_DEP_1)
	v_lshl_add_u64 v[40:41], v[40:41], 3, v[42:43]
	flat_store_b64 v[40:41], v[44:45]
.LBB158_1060:                           ;   in Loop: Header=BB158_3 Depth=1
	s_wait_xcnt 0x0
	s_or_b32 exec_lo, exec_lo, s10
	global_wb scope:SCOPE_DEV
	s_wait_storecnt_dscnt 0x0
	global_inv scope:SCOPE_DEV
	s_wait_loadcnt 0x0
	s_barrier_signal -1
	s_barrier_wait -1
	s_and_saveexec_b32 s10, s36
	s_cbranch_execz .LBB158_2
; %bb.1061:                             ;   in Loop: Header=BB158_3 Depth=1
	s_lshl_b64 s[84:85], s[72:73], 2
	s_delay_alu instid0(SALU_CYCLE_1)
	s_add_nc_u64 s[84:85], s[78:79], s[84:85]
	global_load_b32 v0, v1, s[84:85]
	s_wait_loadcnt 0x0
	v_add_nc_u32_e32 v0, 1, v0
	global_store_b32 v1, v0, s[84:85]
	s_branch .LBB158_2
.LBB158_1062:                           ;   in Loop: Header=BB158_3 Depth=1
	ds_load_b64 v[46:47], v59 offset:31680
	ds_load_b64 v[48:49], v60 offset:32744
	s_wait_dscnt 0x0
	v_dual_mul_f32 v0, v49, v47 :: v_dual_mul_f32 v35, v48, v47
	s_delay_alu instid0(VALU_DEP_1) | instskip(NEXT) | instid1(VALU_DEP_1)
	v_dual_fma_f32 v0, v48, v46, -v0 :: v_dual_fmac_f32 v35, v49, v46
	v_dual_add_f32 v44, v44, v0 :: v_dual_add_f32 v45, v45, v35
	s_or_b32 exec_lo, exec_lo, s10
	s_and_saveexec_b32 s10, s16
	s_cbranch_execz .LBB158_74
.LBB158_1063:                           ;   in Loop: Header=BB158_3 Depth=1
	ds_load_b64 v[46:47], v59 offset:32192
	ds_load_b64 v[48:49], v60 offset:32752
	s_wait_dscnt 0x0
	v_dual_mul_f32 v0, v49, v47 :: v_dual_mul_f32 v51, v48, v47
	s_delay_alu instid0(VALU_DEP_1) | instskip(NEXT) | instid1(VALU_DEP_1)
	v_dual_fma_f32 v50, v48, v46, -v0 :: v_dual_fmac_f32 v51, v49, v46
	v_pk_add_f32 v[44:45], v[44:45], v[50:51]
	s_or_b32 exec_lo, exec_lo, s10
	s_and_saveexec_b32 s10, s3
	s_cbranch_execnz .LBB158_75
	s_branch .LBB158_76
.LBB158_1064:                           ;   in Loop: Header=BB158_3 Depth=1
	ds_load_b64 v[46:47], v63 offset:29568
	ds_load_b64 v[48:49], v64 offset:32712
	s_wait_dscnt 0x0
	v_dual_mul_f32 v0, v49, v47 :: v_dual_mul_f32 v35, v48, v47
	s_delay_alu instid0(VALU_DEP_1) | instskip(NEXT) | instid1(VALU_DEP_1)
	v_dual_fma_f32 v0, v48, v46, -v0 :: v_dual_fmac_f32 v35, v49, v46
	v_dual_add_f32 v44, v44, v0 :: v_dual_add_f32 v45, v45, v35
	s_or_b32 exec_lo, exec_lo, s10
	s_and_saveexec_b32 s10, s18
	s_cbranch_execz .LBB158_116
.LBB158_1065:                           ;   in Loop: Header=BB158_3 Depth=1
	ds_load_b64 v[46:47], v63 offset:30080
	ds_load_b64 v[48:49], v64 offset:32720
	s_wait_dscnt 0x0
	v_dual_mul_f32 v0, v49, v47 :: v_dual_mul_f32 v35, v48, v47
	s_delay_alu instid0(VALU_DEP_1) | instskip(NEXT) | instid1(VALU_DEP_1)
	v_dual_fma_f32 v0, v48, v46, -v0 :: v_dual_fmac_f32 v35, v49, v46
	v_dual_add_f32 v44, v44, v0 :: v_dual_add_f32 v45, v45, v35
	s_or_b32 exec_lo, exec_lo, s10
	s_and_saveexec_b32 s10, s19
	s_cbranch_execz .LBB158_117
.LBB158_1066:                           ;   in Loop: Header=BB158_3 Depth=1
	ds_load_b64 v[46:47], v63 offset:30592
	ds_load_b64 v[48:49], v64 offset:32728
	s_wait_dscnt 0x0
	v_dual_mul_f32 v0, v49, v47 :: v_dual_mul_f32 v35, v48, v47
	s_delay_alu instid0(VALU_DEP_1) | instskip(NEXT) | instid1(VALU_DEP_1)
	v_dual_fma_f32 v0, v48, v46, -v0 :: v_dual_fmac_f32 v35, v49, v46
	v_dual_add_f32 v44, v44, v0 :: v_dual_add_f32 v45, v45, v35
	s_or_b32 exec_lo, exec_lo, s10
	s_and_saveexec_b32 s10, s21
	s_cbranch_execz .LBB158_118
.LBB158_1067:                           ;   in Loop: Header=BB158_3 Depth=1
	ds_load_b64 v[46:47], v63 offset:31104
	ds_load_b64 v[48:49], v64 offset:32736
	s_wait_dscnt 0x0
	v_dual_mul_f32 v0, v49, v47 :: v_dual_mul_f32 v51, v48, v47
	s_delay_alu instid0(VALU_DEP_1) | instskip(NEXT) | instid1(VALU_DEP_1)
	v_dual_fma_f32 v50, v48, v46, -v0 :: v_dual_fmac_f32 v51, v49, v46
	v_pk_add_f32 v[44:45], v[44:45], v[50:51]
	s_or_b32 exec_lo, exec_lo, s10
	s_and_saveexec_b32 s10, s22
	s_cbranch_execz .LBB158_119
.LBB158_1068:                           ;   in Loop: Header=BB158_3 Depth=1
	ds_load_b64 v[46:47], v63 offset:31616
	ds_load_b64 v[48:49], v64 offset:32744
	s_wait_dscnt 0x0
	v_pk_mul_f32 v[50:51], v[48:49], v[46:47] op_sel:[1,1] op_sel_hi:[0,1]
	s_delay_alu instid0(VALU_DEP_1) | instskip(SKIP_1) | instid1(VALU_DEP_2)
	v_pk_fma_f32 v[100:101], v[48:49], v[46:47], v[50:51] op_sel_hi:[1,0,1]
	v_pk_fma_f32 v[46:47], v[48:49], v[46:47], v[50:51] neg_lo:[0,0,1] neg_hi:[0,0,1]
	v_mov_b32_e32 v47, v101
	s_delay_alu instid0(VALU_DEP_1)
	v_pk_add_f32 v[44:45], v[44:45], v[46:47]
	s_or_b32 exec_lo, exec_lo, s10
	s_and_saveexec_b32 s10, s5
	s_cbranch_execz .LBB158_120
.LBB158_1069:                           ;   in Loop: Header=BB158_3 Depth=1
	ds_load_b64 v[46:47], v63 offset:32128
	ds_load_b64 v[48:49], v64 offset:32752
	s_wait_dscnt 0x0
	v_pk_mul_f32 v[50:51], v[48:49], v[46:47] op_sel:[1,1] op_sel_hi:[0,1]
	s_delay_alu instid0(VALU_DEP_1) | instskip(SKIP_1) | instid1(VALU_DEP_2)
	v_pk_fma_f32 v[100:101], v[48:49], v[46:47], v[50:51] op_sel_hi:[1,0,1]
	v_pk_fma_f32 v[46:47], v[48:49], v[46:47], v[50:51] neg_lo:[0,0,1] neg_hi:[0,0,1]
	v_mov_b32_e32 v47, v101
	s_delay_alu instid0(VALU_DEP_1)
	v_pk_add_f32 v[44:45], v[44:45], v[46:47]
	s_or_b32 exec_lo, exec_lo, s10
	s_and_saveexec_b32 s10, s16
	s_cbranch_execnz .LBB158_121
	s_branch .LBB158_122
.LBB158_1070:                           ;   in Loop: Header=BB158_3 Depth=1
	ds_load_b64 v[46:47], v59 offset:27520
	ds_load_b64 v[48:49], v60 offset:28584
	s_wait_dscnt 0x0
	v_dual_mul_f32 v0, v49, v47 :: v_dual_mul_f32 v35, v48, v47
	s_delay_alu instid0(VALU_DEP_1) | instskip(NEXT) | instid1(VALU_DEP_1)
	v_dual_fma_f32 v0, v48, v46, -v0 :: v_dual_fmac_f32 v35, v49, v46
	v_dual_add_f32 v44, v44, v0 :: v_dual_add_f32 v45, v45, v35
	s_or_b32 exec_lo, exec_lo, s10
	s_and_saveexec_b32 s10, s16
	s_cbranch_execz .LBB158_178
.LBB158_1071:                           ;   in Loop: Header=BB158_3 Depth=1
	ds_load_b64 v[46:47], v59 offset:28032
	ds_load_b64 v[48:49], v60 offset:28592
	s_wait_dscnt 0x0
	v_dual_mul_f32 v0, v49, v47 :: v_dual_mul_f32 v51, v48, v47
	s_delay_alu instid0(VALU_DEP_1) | instskip(NEXT) | instid1(VALU_DEP_1)
	v_dual_fma_f32 v50, v48, v46, -v0 :: v_dual_fmac_f32 v51, v49, v46
	v_pk_add_f32 v[44:45], v[44:45], v[50:51]
	s_or_b32 exec_lo, exec_lo, s10
	s_and_saveexec_b32 s10, s3
	s_cbranch_execnz .LBB158_179
	s_branch .LBB158_180
.LBB158_1072:                           ;   in Loop: Header=BB158_3 Depth=1
	ds_load_b64 v[46:47], v67 offset:30464
	ds_load_b64 v[48:49], v68 offset:32728
	s_wait_dscnt 0x0
	v_dual_mul_f32 v0, v49, v47 :: v_dual_mul_f32 v35, v48, v47
	s_delay_alu instid0(VALU_DEP_1) | instskip(NEXT) | instid1(VALU_DEP_1)
	v_dual_fma_f32 v0, v48, v46, -v0 :: v_dual_fmac_f32 v35, v49, v46
	v_dual_add_f32 v44, v44, v0 :: v_dual_add_f32 v45, v45, v35
	s_or_b32 exec_lo, exec_lo, s10
	s_and_saveexec_b32 s10, s6
	s_cbranch_execz .LBB158_240
.LBB158_1073:                           ;   in Loop: Header=BB158_3 Depth=1
	ds_load_b64 v[46:47], v67 offset:30976
	ds_load_b64 v[48:49], v68 offset:32736
	s_wait_dscnt 0x0
	v_dual_mul_f32 v0, v49, v47 :: v_dual_mul_f32 v35, v48, v47
	s_delay_alu instid0(VALU_DEP_1) | instskip(NEXT) | instid1(VALU_DEP_1)
	v_dual_fma_f32 v0, v48, v46, -v0 :: v_dual_fmac_f32 v35, v49, v46
	v_dual_add_f32 v44, v44, v0 :: v_dual_add_f32 v45, v45, v35
	s_or_b32 exec_lo, exec_lo, s10
	s_and_saveexec_b32 s10, s18
	s_cbranch_execz .LBB158_241
.LBB158_1074:                           ;   in Loop: Header=BB158_3 Depth=1
	ds_load_b64 v[46:47], v67 offset:31488
	ds_load_b64 v[48:49], v68 offset:32744
	s_wait_dscnt 0x0
	v_dual_mul_f32 v0, v49, v47 :: v_dual_mul_f32 v35, v48, v47
	s_delay_alu instid0(VALU_DEP_1) | instskip(NEXT) | instid1(VALU_DEP_1)
	v_dual_fma_f32 v0, v48, v46, -v0 :: v_dual_fmac_f32 v35, v49, v46
	v_dual_add_f32 v44, v44, v0 :: v_dual_add_f32 v45, v45, v35
	s_or_b32 exec_lo, exec_lo, s10
	s_and_saveexec_b32 s10, s21
	s_cbranch_execz .LBB158_242
.LBB158_1075:                           ;   in Loop: Header=BB158_3 Depth=1
	ds_load_b64 v[46:47], v67 offset:32000
	ds_load_b64 v[48:49], v68 offset:32752
	s_wait_dscnt 0x0
	v_dual_mul_f32 v0, v49, v47 :: v_dual_mul_f32 v51, v48, v47
	s_delay_alu instid0(VALU_DEP_1) | instskip(NEXT) | instid1(VALU_DEP_1)
	v_dual_fma_f32 v50, v48, v46, -v0 :: v_dual_fmac_f32 v51, v49, v46
	v_pk_add_f32 v[44:45], v[44:45], v[50:51]
	s_or_b32 exec_lo, exec_lo, s10
	s_and_saveexec_b32 s10, s5
	s_cbranch_execnz .LBB158_243
	s_branch .LBB158_244
.LBB158_1076:                           ;   in Loop: Header=BB158_3 Depth=1
	ds_load_b64 v[46:47], v59 offset:23360
	ds_load_b64 v[48:49], v60 offset:24424
	s_wait_dscnt 0x0
	v_dual_mul_f32 v0, v49, v47 :: v_dual_mul_f32 v35, v48, v47
	s_delay_alu instid0(VALU_DEP_1) | instskip(NEXT) | instid1(VALU_DEP_1)
	v_dual_fma_f32 v0, v48, v46, -v0 :: v_dual_fmac_f32 v35, v49, v46
	v_dual_add_f32 v44, v44, v0 :: v_dual_add_f32 v45, v45, v35
	s_or_b32 exec_lo, exec_lo, s10
	s_and_saveexec_b32 s10, s16
	s_cbranch_execz .LBB158_332
.LBB158_1077:                           ;   in Loop: Header=BB158_3 Depth=1
	ds_load_b64 v[46:47], v59 offset:23872
	ds_load_b64 v[48:49], v60 offset:24432
	s_wait_dscnt 0x0
	v_dual_mul_f32 v0, v49, v47 :: v_dual_mul_f32 v51, v48, v47
	s_delay_alu instid0(VALU_DEP_1) | instskip(NEXT) | instid1(VALU_DEP_1)
	v_dual_fma_f32 v50, v48, v46, -v0 :: v_dual_fmac_f32 v51, v49, v46
	v_pk_add_f32 v[44:45], v[44:45], v[50:51]
	s_or_b32 exec_lo, exec_lo, s10
	s_and_saveexec_b32 s10, s3
	s_cbranch_execnz .LBB158_333
	s_branch .LBB158_334
.LBB158_1078:                           ;   in Loop: Header=BB158_3 Depth=1
	ds_load_b64 v[46:47], v63 offset:21248
	ds_load_b64 v[48:49], v64 offset:24392
	s_wait_dscnt 0x0
	v_dual_mul_f32 v0, v49, v47 :: v_dual_mul_f32 v35, v48, v47
	s_delay_alu instid0(VALU_DEP_1) | instskip(NEXT) | instid1(VALU_DEP_1)
	v_dual_fma_f32 v0, v48, v46, -v0 :: v_dual_fmac_f32 v35, v49, v46
	v_dual_add_f32 v44, v44, v0 :: v_dual_add_f32 v45, v45, v35
	s_or_b32 exec_lo, exec_lo, s10
	s_and_saveexec_b32 s10, s18
	s_cbranch_execz .LBB158_374
.LBB158_1079:                           ;   in Loop: Header=BB158_3 Depth=1
	ds_load_b64 v[46:47], v63 offset:21760
	ds_load_b64 v[48:49], v64 offset:24400
	s_wait_dscnt 0x0
	v_dual_mul_f32 v0, v49, v47 :: v_dual_mul_f32 v35, v48, v47
	s_delay_alu instid0(VALU_DEP_1) | instskip(NEXT) | instid1(VALU_DEP_1)
	v_dual_fma_f32 v0, v48, v46, -v0 :: v_dual_fmac_f32 v35, v49, v46
	v_dual_add_f32 v44, v44, v0 :: v_dual_add_f32 v45, v45, v35
	s_or_b32 exec_lo, exec_lo, s10
	s_and_saveexec_b32 s10, s19
	s_cbranch_execz .LBB158_375
.LBB158_1080:                           ;   in Loop: Header=BB158_3 Depth=1
	ds_load_b64 v[46:47], v63 offset:22272
	ds_load_b64 v[48:49], v64 offset:24408
	s_wait_dscnt 0x0
	v_dual_mul_f32 v0, v49, v47 :: v_dual_mul_f32 v35, v48, v47
	s_delay_alu instid0(VALU_DEP_1) | instskip(NEXT) | instid1(VALU_DEP_1)
	v_dual_fma_f32 v0, v48, v46, -v0 :: v_dual_fmac_f32 v35, v49, v46
	v_dual_add_f32 v44, v44, v0 :: v_dual_add_f32 v45, v45, v35
	s_or_b32 exec_lo, exec_lo, s10
	s_and_saveexec_b32 s10, s21
	s_cbranch_execz .LBB158_376
.LBB158_1081:                           ;   in Loop: Header=BB158_3 Depth=1
	ds_load_b64 v[46:47], v63 offset:22784
	ds_load_b64 v[48:49], v64 offset:24416
	s_wait_dscnt 0x0
	v_dual_mul_f32 v0, v49, v47 :: v_dual_mul_f32 v51, v48, v47
	s_delay_alu instid0(VALU_DEP_1) | instskip(NEXT) | instid1(VALU_DEP_1)
	v_dual_fma_f32 v50, v48, v46, -v0 :: v_dual_fmac_f32 v51, v49, v46
	v_pk_add_f32 v[44:45], v[44:45], v[50:51]
	s_or_b32 exec_lo, exec_lo, s10
	s_and_saveexec_b32 s10, s22
	s_cbranch_execz .LBB158_377
.LBB158_1082:                           ;   in Loop: Header=BB158_3 Depth=1
	ds_load_b64 v[46:47], v63 offset:23296
	ds_load_b64 v[48:49], v64 offset:24424
	s_wait_dscnt 0x0
	v_pk_mul_f32 v[50:51], v[48:49], v[46:47] op_sel:[1,1] op_sel_hi:[0,1]
	s_delay_alu instid0(VALU_DEP_1) | instskip(SKIP_1) | instid1(VALU_DEP_2)
	v_pk_fma_f32 v[100:101], v[48:49], v[46:47], v[50:51] op_sel_hi:[1,0,1]
	v_pk_fma_f32 v[46:47], v[48:49], v[46:47], v[50:51] neg_lo:[0,0,1] neg_hi:[0,0,1]
	v_mov_b32_e32 v47, v101
	s_delay_alu instid0(VALU_DEP_1)
	v_pk_add_f32 v[44:45], v[44:45], v[46:47]
	s_or_b32 exec_lo, exec_lo, s10
	s_and_saveexec_b32 s10, s5
	s_cbranch_execz .LBB158_378
.LBB158_1083:                           ;   in Loop: Header=BB158_3 Depth=1
	ds_load_b64 v[46:47], v63 offset:23808
	ds_load_b64 v[48:49], v64 offset:24432
	s_wait_dscnt 0x0
	v_pk_mul_f32 v[50:51], v[48:49], v[46:47] op_sel:[1,1] op_sel_hi:[0,1]
	s_delay_alu instid0(VALU_DEP_1) | instskip(SKIP_1) | instid1(VALU_DEP_2)
	v_pk_fma_f32 v[100:101], v[48:49], v[46:47], v[50:51] op_sel_hi:[1,0,1]
	v_pk_fma_f32 v[46:47], v[48:49], v[46:47], v[50:51] neg_lo:[0,0,1] neg_hi:[0,0,1]
	v_mov_b32_e32 v47, v101
	s_delay_alu instid0(VALU_DEP_1)
	v_pk_add_f32 v[44:45], v[44:45], v[46:47]
	s_or_b32 exec_lo, exec_lo, s10
	s_and_saveexec_b32 s10, s16
	s_cbranch_execnz .LBB158_379
	s_branch .LBB158_380
.LBB158_1084:                           ;   in Loop: Header=BB158_3 Depth=1
	ds_load_b64 v[46:47], v59 offset:19200
	ds_load_b64 v[48:49], v60 offset:20264
	s_wait_dscnt 0x0
	v_dual_mul_f32 v0, v49, v47 :: v_dual_mul_f32 v35, v48, v47
	s_delay_alu instid0(VALU_DEP_1) | instskip(NEXT) | instid1(VALU_DEP_1)
	v_dual_fma_f32 v0, v48, v46, -v0 :: v_dual_fmac_f32 v35, v49, v46
	v_dual_add_f32 v44, v44, v0 :: v_dual_add_f32 v45, v45, v35
	s_or_b32 exec_lo, exec_lo, s10
	s_and_saveexec_b32 s10, s16
	s_cbranch_execz .LBB158_436
.LBB158_1085:                           ;   in Loop: Header=BB158_3 Depth=1
	ds_load_b64 v[46:47], v59 offset:19712
	ds_load_b64 v[48:49], v60 offset:20272
	s_wait_dscnt 0x0
	v_dual_mul_f32 v0, v49, v47 :: v_dual_mul_f32 v51, v48, v47
	s_delay_alu instid0(VALU_DEP_1) | instskip(NEXT) | instid1(VALU_DEP_1)
	v_dual_fma_f32 v50, v48, v46, -v0 :: v_dual_fmac_f32 v51, v49, v46
	v_pk_add_f32 v[44:45], v[44:45], v[50:51]
	s_or_b32 exec_lo, exec_lo, s10
	s_and_saveexec_b32 s10, s3
	s_cbranch_execnz .LBB158_437
	s_branch .LBB158_438
.LBB158_1086:                           ;   in Loop: Header=BB158_3 Depth=1
	ds_load_b64 v[46:47], v71 offset:31232
	ds_load_b64 v[48:49], v73 offset:32744
	s_wait_dscnt 0x0
	v_pk_mul_f32 v[50:51], v[48:49], v[46:47] op_sel:[1,1] op_sel_hi:[0,1]
	s_delay_alu instid0(VALU_DEP_1) | instskip(SKIP_1) | instid1(VALU_DEP_2)
	v_pk_fma_f32 v[100:101], v[48:49], v[46:47], v[50:51] op_sel_hi:[1,0,1]
	v_pk_fma_f32 v[46:47], v[48:49], v[46:47], v[50:51] neg_lo:[0,0,1] neg_hi:[0,0,1]
	v_mov_b32_e32 v47, v101
	s_delay_alu instid0(VALU_DEP_1)
	v_pk_add_f32 v[44:45], v[44:45], v[46:47]
	s_or_b32 exec_lo, exec_lo, s10
	s_and_saveexec_b32 s10, s6
	s_cbranch_execz .LBB158_534
.LBB158_1087:                           ;   in Loop: Header=BB158_3 Depth=1
	ds_load_b64 v[46:47], v71 offset:31744
	ds_load_b64 v[48:49], v73 offset:32752
	s_wait_dscnt 0x0
	v_pk_mul_f32 v[50:51], v[48:49], v[46:47] op_sel:[1,1] op_sel_hi:[0,1]
	s_delay_alu instid0(VALU_DEP_1) | instskip(SKIP_1) | instid1(VALU_DEP_2)
	v_pk_fma_f32 v[100:101], v[48:49], v[46:47], v[50:51] op_sel_hi:[1,0,1]
	v_pk_fma_f32 v[46:47], v[48:49], v[46:47], v[50:51] neg_lo:[0,0,1] neg_hi:[0,0,1]
	v_mov_b32_e32 v47, v101
	s_delay_alu instid0(VALU_DEP_1) | instskip(SKIP_2) | instid1(SALU_CYCLE_1)
	v_pk_add_f32 v[44:45], v[44:45], v[46:47]
	s_or_b32 exec_lo, exec_lo, s10
	s_and_saveexec_b32 s10, s21
	s_xor_b32 s10, exec_lo, s10
	s_cbranch_execnz .LBB158_535
	s_branch .LBB158_536
.LBB158_1088:                           ;   in Loop: Header=BB158_3 Depth=1
	ds_load_b64 v[46:47], v59 offset:15040
	ds_load_b64 v[48:49], v60 offset:16104
	s_wait_dscnt 0x0
	v_dual_mul_f32 v0, v49, v47 :: v_dual_mul_f32 v35, v48, v47
	s_delay_alu instid0(VALU_DEP_1) | instskip(NEXT) | instid1(VALU_DEP_1)
	v_dual_fma_f32 v0, v48, v46, -v0 :: v_dual_fmac_f32 v35, v49, v46
	v_dual_add_f32 v44, v44, v0 :: v_dual_add_f32 v45, v45, v35
	s_or_b32 exec_lo, exec_lo, s10
	s_and_saveexec_b32 s10, s16
	s_cbranch_execz .LBB158_580
.LBB158_1089:                           ;   in Loop: Header=BB158_3 Depth=1
	ds_load_b64 v[46:47], v59 offset:15552
	ds_load_b64 v[48:49], v60 offset:16112
	s_wait_dscnt 0x0
	v_dual_mul_f32 v0, v49, v47 :: v_dual_mul_f32 v51, v48, v47
	s_delay_alu instid0(VALU_DEP_1) | instskip(NEXT) | instid1(VALU_DEP_1)
	v_dual_fma_f32 v50, v48, v46, -v0 :: v_dual_fmac_f32 v51, v49, v46
	v_pk_add_f32 v[44:45], v[44:45], v[50:51]
	s_or_b32 exec_lo, exec_lo, s10
	s_and_saveexec_b32 s10, s3
	s_cbranch_execnz .LBB158_581
	s_branch .LBB158_582
.LBB158_1090:                           ;   in Loop: Header=BB158_3 Depth=1
	ds_load_b64 v[46:47], v63 offset:12928
	ds_load_b64 v[48:49], v64 offset:16072
	s_wait_dscnt 0x0
	v_dual_mul_f32 v0, v49, v47 :: v_dual_mul_f32 v35, v48, v47
	s_delay_alu instid0(VALU_DEP_1) | instskip(NEXT) | instid1(VALU_DEP_1)
	v_dual_fma_f32 v0, v48, v46, -v0 :: v_dual_fmac_f32 v35, v49, v46
	v_dual_add_f32 v44, v44, v0 :: v_dual_add_f32 v45, v45, v35
	s_or_b32 exec_lo, exec_lo, s10
	s_and_saveexec_b32 s10, s18
	s_cbranch_execz .LBB158_622
.LBB158_1091:                           ;   in Loop: Header=BB158_3 Depth=1
	ds_load_b64 v[46:47], v63 offset:13440
	ds_load_b64 v[48:49], v64 offset:16080
	s_wait_dscnt 0x0
	v_dual_mul_f32 v0, v49, v47 :: v_dual_mul_f32 v35, v48, v47
	s_delay_alu instid0(VALU_DEP_1) | instskip(NEXT) | instid1(VALU_DEP_1)
	v_dual_fma_f32 v0, v48, v46, -v0 :: v_dual_fmac_f32 v35, v49, v46
	v_dual_add_f32 v44, v44, v0 :: v_dual_add_f32 v45, v45, v35
	s_or_b32 exec_lo, exec_lo, s10
	s_and_saveexec_b32 s10, s19
	s_cbranch_execz .LBB158_623
.LBB158_1092:                           ;   in Loop: Header=BB158_3 Depth=1
	ds_load_b64 v[46:47], v63 offset:13952
	ds_load_b64 v[48:49], v64 offset:16088
	s_wait_dscnt 0x0
	v_dual_mul_f32 v0, v49, v47 :: v_dual_mul_f32 v35, v48, v47
	s_delay_alu instid0(VALU_DEP_1) | instskip(NEXT) | instid1(VALU_DEP_1)
	v_dual_fma_f32 v0, v48, v46, -v0 :: v_dual_fmac_f32 v35, v49, v46
	v_dual_add_f32 v44, v44, v0 :: v_dual_add_f32 v45, v45, v35
	s_or_b32 exec_lo, exec_lo, s10
	s_and_saveexec_b32 s10, s21
	s_cbranch_execz .LBB158_624
.LBB158_1093:                           ;   in Loop: Header=BB158_3 Depth=1
	ds_load_b64 v[46:47], v63 offset:14464
	ds_load_b64 v[48:49], v64 offset:16096
	s_wait_dscnt 0x0
	v_dual_mul_f32 v0, v49, v47 :: v_dual_mul_f32 v51, v48, v47
	s_delay_alu instid0(VALU_DEP_1) | instskip(NEXT) | instid1(VALU_DEP_1)
	v_dual_fma_f32 v50, v48, v46, -v0 :: v_dual_fmac_f32 v51, v49, v46
	v_pk_add_f32 v[44:45], v[44:45], v[50:51]
	s_or_b32 exec_lo, exec_lo, s10
	s_and_saveexec_b32 s10, s22
	s_cbranch_execz .LBB158_625
.LBB158_1094:                           ;   in Loop: Header=BB158_3 Depth=1
	ds_load_b64 v[46:47], v63 offset:14976
	ds_load_b64 v[48:49], v64 offset:16104
	s_wait_dscnt 0x0
	v_pk_mul_f32 v[50:51], v[48:49], v[46:47] op_sel:[1,1] op_sel_hi:[0,1]
	s_delay_alu instid0(VALU_DEP_1) | instskip(SKIP_1) | instid1(VALU_DEP_2)
	v_pk_fma_f32 v[100:101], v[48:49], v[46:47], v[50:51] op_sel_hi:[1,0,1]
	v_pk_fma_f32 v[46:47], v[48:49], v[46:47], v[50:51] neg_lo:[0,0,1] neg_hi:[0,0,1]
	v_mov_b32_e32 v47, v101
	s_delay_alu instid0(VALU_DEP_1)
	v_pk_add_f32 v[44:45], v[44:45], v[46:47]
	s_or_b32 exec_lo, exec_lo, s10
	s_and_saveexec_b32 s10, s5
	s_cbranch_execz .LBB158_626
.LBB158_1095:                           ;   in Loop: Header=BB158_3 Depth=1
	ds_load_b64 v[46:47], v63 offset:15488
	ds_load_b64 v[48:49], v64 offset:16112
	s_wait_dscnt 0x0
	v_pk_mul_f32 v[50:51], v[48:49], v[46:47] op_sel:[1,1] op_sel_hi:[0,1]
	s_delay_alu instid0(VALU_DEP_1) | instskip(SKIP_1) | instid1(VALU_DEP_2)
	v_pk_fma_f32 v[100:101], v[48:49], v[46:47], v[50:51] op_sel_hi:[1,0,1]
	v_pk_fma_f32 v[46:47], v[48:49], v[46:47], v[50:51] neg_lo:[0,0,1] neg_hi:[0,0,1]
	v_mov_b32_e32 v47, v101
	s_delay_alu instid0(VALU_DEP_1)
	v_pk_add_f32 v[44:45], v[44:45], v[46:47]
	s_or_b32 exec_lo, exec_lo, s10
	s_and_saveexec_b32 s10, s16
	s_cbranch_execnz .LBB158_627
	s_branch .LBB158_628
.LBB158_1096:                           ;   in Loop: Header=BB158_3 Depth=1
	ds_load_b64 v[46:47], v59 offset:10880
	ds_load_b64 v[48:49], v60 offset:11944
	s_wait_dscnt 0x0
	v_dual_mul_f32 v0, v49, v47 :: v_dual_mul_f32 v35, v48, v47
	s_delay_alu instid0(VALU_DEP_1) | instskip(NEXT) | instid1(VALU_DEP_1)
	v_dual_fma_f32 v0, v48, v46, -v0 :: v_dual_fmac_f32 v35, v49, v46
	v_dual_add_f32 v44, v44, v0 :: v_dual_add_f32 v45, v45, v35
	s_or_b32 exec_lo, exec_lo, s10
	s_and_saveexec_b32 s10, s16
	s_cbranch_execz .LBB158_684
.LBB158_1097:                           ;   in Loop: Header=BB158_3 Depth=1
	ds_load_b64 v[46:47], v59 offset:11392
	ds_load_b64 v[48:49], v60 offset:11952
	s_wait_dscnt 0x0
	v_dual_mul_f32 v0, v49, v47 :: v_dual_mul_f32 v51, v48, v47
	s_delay_alu instid0(VALU_DEP_1) | instskip(NEXT) | instid1(VALU_DEP_1)
	v_dual_fma_f32 v50, v48, v46, -v0 :: v_dual_fmac_f32 v51, v49, v46
	v_pk_add_f32 v[44:45], v[44:45], v[50:51]
	s_or_b32 exec_lo, exec_lo, s10
	s_and_saveexec_b32 s10, s3
	s_cbranch_execnz .LBB158_685
	s_branch .LBB158_686
.LBB158_1098:                           ;   in Loop: Header=BB158_3 Depth=1
	ds_load_b64 v[46:47], v67 offset:13824
	ds_load_b64 v[48:49], v68 offset:16088
	s_wait_dscnt 0x0
	v_dual_mul_f32 v0, v49, v47 :: v_dual_mul_f32 v35, v48, v47
	s_delay_alu instid0(VALU_DEP_1) | instskip(NEXT) | instid1(VALU_DEP_1)
	v_dual_fma_f32 v0, v48, v46, -v0 :: v_dual_fmac_f32 v35, v49, v46
	v_dual_add_f32 v44, v44, v0 :: v_dual_add_f32 v45, v45, v35
	s_or_b32 exec_lo, exec_lo, s10
	s_and_saveexec_b32 s10, s6
	s_cbranch_execz .LBB158_746
.LBB158_1099:                           ;   in Loop: Header=BB158_3 Depth=1
	ds_load_b64 v[46:47], v67 offset:14336
	ds_load_b64 v[48:49], v68 offset:16096
	s_wait_dscnt 0x0
	v_dual_mul_f32 v0, v49, v47 :: v_dual_mul_f32 v35, v48, v47
	s_delay_alu instid0(VALU_DEP_1) | instskip(NEXT) | instid1(VALU_DEP_1)
	v_dual_fma_f32 v0, v48, v46, -v0 :: v_dual_fmac_f32 v35, v49, v46
	v_dual_add_f32 v44, v44, v0 :: v_dual_add_f32 v45, v45, v35
	s_or_b32 exec_lo, exec_lo, s10
	s_and_saveexec_b32 s10, s18
	s_cbranch_execz .LBB158_747
.LBB158_1100:                           ;   in Loop: Header=BB158_3 Depth=1
	ds_load_b64 v[46:47], v67 offset:14848
	ds_load_b64 v[48:49], v68 offset:16104
	s_wait_dscnt 0x0
	v_dual_mul_f32 v0, v49, v47 :: v_dual_mul_f32 v35, v48, v47
	s_delay_alu instid0(VALU_DEP_1) | instskip(NEXT) | instid1(VALU_DEP_1)
	v_dual_fma_f32 v0, v48, v46, -v0 :: v_dual_fmac_f32 v35, v49, v46
	v_dual_add_f32 v44, v44, v0 :: v_dual_add_f32 v45, v45, v35
	s_or_b32 exec_lo, exec_lo, s10
	s_and_saveexec_b32 s10, s21
	s_cbranch_execz .LBB158_748
.LBB158_1101:                           ;   in Loop: Header=BB158_3 Depth=1
	ds_load_b64 v[46:47], v67 offset:15360
	ds_load_b64 v[48:49], v68 offset:16112
	s_wait_dscnt 0x0
	v_dual_mul_f32 v0, v49, v47 :: v_dual_mul_f32 v51, v48, v47
	s_delay_alu instid0(VALU_DEP_1) | instskip(NEXT) | instid1(VALU_DEP_1)
	v_dual_fma_f32 v50, v48, v46, -v0 :: v_dual_fmac_f32 v51, v49, v46
	v_pk_add_f32 v[44:45], v[44:45], v[50:51]
	s_or_b32 exec_lo, exec_lo, s10
	s_and_saveexec_b32 s10, s5
	s_cbranch_execnz .LBB158_749
	s_branch .LBB158_750
.LBB158_1102:                           ;   in Loop: Header=BB158_3 Depth=1
	ds_load_b64 v[46:47], v59 offset:6720
	ds_load_b64 v[48:49], v60 offset:7784
	s_wait_dscnt 0x0
	v_dual_mul_f32 v0, v49, v47 :: v_dual_mul_f32 v35, v48, v47
	s_delay_alu instid0(VALU_DEP_1) | instskip(NEXT) | instid1(VALU_DEP_1)
	v_dual_fma_f32 v0, v48, v46, -v0 :: v_dual_fmac_f32 v35, v49, v46
	v_dual_add_f32 v44, v44, v0 :: v_dual_add_f32 v45, v45, v35
	s_or_b32 exec_lo, exec_lo, s10
	s_and_saveexec_b32 s10, s16
	s_cbranch_execz .LBB158_838
.LBB158_1103:                           ;   in Loop: Header=BB158_3 Depth=1
	ds_load_b64 v[46:47], v59 offset:7232
	ds_load_b64 v[48:49], v60 offset:7792
	s_wait_dscnt 0x0
	v_dual_mul_f32 v0, v49, v47 :: v_dual_mul_f32 v51, v48, v47
	s_delay_alu instid0(VALU_DEP_1) | instskip(NEXT) | instid1(VALU_DEP_1)
	v_dual_fma_f32 v50, v48, v46, -v0 :: v_dual_fmac_f32 v51, v49, v46
	v_pk_add_f32 v[44:45], v[44:45], v[50:51]
	s_or_b32 exec_lo, exec_lo, s10
	s_and_saveexec_b32 s10, s3
	s_cbranch_execnz .LBB158_839
	s_branch .LBB158_840
.LBB158_1104:                           ;   in Loop: Header=BB158_3 Depth=1
	ds_load_b64 v[46:47], v63 offset:4608
	ds_load_b64 v[48:49], v64 offset:7752
	s_wait_dscnt 0x0
	v_dual_mul_f32 v0, v49, v47 :: v_dual_mul_f32 v35, v48, v47
	s_delay_alu instid0(VALU_DEP_1) | instskip(NEXT) | instid1(VALU_DEP_1)
	v_dual_fma_f32 v0, v48, v46, -v0 :: v_dual_fmac_f32 v35, v49, v46
	v_dual_add_f32 v44, v44, v0 :: v_dual_add_f32 v45, v45, v35
	s_or_b32 exec_lo, exec_lo, s10
	s_and_saveexec_b32 s10, s18
	s_cbranch_execz .LBB158_880
.LBB158_1105:                           ;   in Loop: Header=BB158_3 Depth=1
	ds_load_b64 v[46:47], v63 offset:5120
	ds_load_b64 v[48:49], v64 offset:7760
	s_wait_dscnt 0x0
	v_dual_mul_f32 v0, v49, v47 :: v_dual_mul_f32 v35, v48, v47
	s_delay_alu instid0(VALU_DEP_1) | instskip(NEXT) | instid1(VALU_DEP_1)
	v_dual_fma_f32 v0, v48, v46, -v0 :: v_dual_fmac_f32 v35, v49, v46
	v_dual_add_f32 v44, v44, v0 :: v_dual_add_f32 v45, v45, v35
	s_or_b32 exec_lo, exec_lo, s10
	s_and_saveexec_b32 s10, s19
	s_cbranch_execz .LBB158_881
.LBB158_1106:                           ;   in Loop: Header=BB158_3 Depth=1
	ds_load_b64 v[46:47], v63 offset:5632
	ds_load_b64 v[48:49], v64 offset:7768
	s_wait_dscnt 0x0
	v_dual_mul_f32 v0, v49, v47 :: v_dual_mul_f32 v35, v48, v47
	s_delay_alu instid0(VALU_DEP_1) | instskip(NEXT) | instid1(VALU_DEP_1)
	v_dual_fma_f32 v0, v48, v46, -v0 :: v_dual_fmac_f32 v35, v49, v46
	v_dual_add_f32 v44, v44, v0 :: v_dual_add_f32 v45, v45, v35
	s_or_b32 exec_lo, exec_lo, s10
	s_and_saveexec_b32 s10, s21
	s_cbranch_execz .LBB158_882
.LBB158_1107:                           ;   in Loop: Header=BB158_3 Depth=1
	ds_load_b64 v[46:47], v63 offset:6144
	ds_load_b64 v[48:49], v64 offset:7776
	s_wait_dscnt 0x0
	v_dual_mul_f32 v0, v49, v47 :: v_dual_mul_f32 v51, v48, v47
	s_delay_alu instid0(VALU_DEP_1) | instskip(NEXT) | instid1(VALU_DEP_1)
	v_dual_fma_f32 v50, v48, v46, -v0 :: v_dual_fmac_f32 v51, v49, v46
	v_pk_add_f32 v[44:45], v[44:45], v[50:51]
	s_or_b32 exec_lo, exec_lo, s10
	s_and_saveexec_b32 s10, s22
	s_cbranch_execz .LBB158_883
.LBB158_1108:                           ;   in Loop: Header=BB158_3 Depth=1
	ds_load_b64 v[46:47], v63 offset:6656
	ds_load_b64 v[48:49], v64 offset:7784
	s_wait_dscnt 0x0
	v_pk_mul_f32 v[50:51], v[48:49], v[46:47] op_sel:[1,1] op_sel_hi:[0,1]
	s_delay_alu instid0(VALU_DEP_1) | instskip(SKIP_1) | instid1(VALU_DEP_2)
	v_pk_fma_f32 v[100:101], v[48:49], v[46:47], v[50:51] op_sel_hi:[1,0,1]
	v_pk_fma_f32 v[46:47], v[48:49], v[46:47], v[50:51] neg_lo:[0,0,1] neg_hi:[0,0,1]
	v_mov_b32_e32 v47, v101
	s_delay_alu instid0(VALU_DEP_1)
	v_pk_add_f32 v[44:45], v[44:45], v[46:47]
	s_or_b32 exec_lo, exec_lo, s10
	s_and_saveexec_b32 s10, s5
	s_cbranch_execz .LBB158_884
.LBB158_1109:                           ;   in Loop: Header=BB158_3 Depth=1
	ds_load_b64 v[46:47], v63 offset:7168
	ds_load_b64 v[48:49], v64 offset:7792
	s_wait_dscnt 0x0
	v_pk_mul_f32 v[50:51], v[48:49], v[46:47] op_sel:[1,1] op_sel_hi:[0,1]
	s_delay_alu instid0(VALU_DEP_1) | instskip(SKIP_1) | instid1(VALU_DEP_2)
	v_pk_fma_f32 v[100:101], v[48:49], v[46:47], v[50:51] op_sel_hi:[1,0,1]
	v_pk_fma_f32 v[46:47], v[48:49], v[46:47], v[50:51] neg_lo:[0,0,1] neg_hi:[0,0,1]
	v_mov_b32_e32 v47, v101
	s_delay_alu instid0(VALU_DEP_1)
	v_pk_add_f32 v[44:45], v[44:45], v[46:47]
	s_or_b32 exec_lo, exec_lo, s10
	s_and_saveexec_b32 s10, s16
	s_cbranch_execnz .LBB158_885
	s_branch .LBB158_886
.LBB158_1110:                           ;   in Loop: Header=BB158_3 Depth=1
	ds_load_b64 v[46:47], v59 offset:2560
	ds_load_b64 v[48:49], v60 offset:3624
	s_wait_dscnt 0x0
	v_dual_mul_f32 v0, v49, v47 :: v_dual_mul_f32 v35, v48, v47
	s_delay_alu instid0(VALU_DEP_1) | instskip(NEXT) | instid1(VALU_DEP_1)
	v_dual_fma_f32 v0, v48, v46, -v0 :: v_dual_fmac_f32 v35, v49, v46
	v_dual_add_f32 v44, v44, v0 :: v_dual_add_f32 v45, v45, v35
	s_or_b32 exec_lo, exec_lo, s10
	s_and_saveexec_b32 s10, s16
	s_cbranch_execz .LBB158_942
.LBB158_1111:                           ;   in Loop: Header=BB158_3 Depth=1
	ds_load_b64 v[46:47], v59 offset:3072
	ds_load_b64 v[48:49], v60 offset:3632
	s_wait_dscnt 0x0
	v_dual_mul_f32 v0, v49, v47 :: v_dual_mul_f32 v51, v48, v47
	s_delay_alu instid0(VALU_DEP_1) | instskip(NEXT) | instid1(VALU_DEP_1)
	v_dual_fma_f32 v50, v48, v46, -v0 :: v_dual_fmac_f32 v51, v49, v46
	v_pk_add_f32 v[44:45], v[44:45], v[50:51]
	s_or_b32 exec_lo, exec_lo, s10
	s_and_saveexec_b32 s10, s3
	s_cbranch_execnz .LBB158_943
	s_branch .LBB158_944
.LBB158_1112:
	s_endpgm
	.section	.rodata,"a",@progbits
	.p2align	6, 0x0
	.amdhsa_kernel _ZL19rocblas_trsv_deviceILi64ELi16ELb0ELb1ELb0ELb1E19rocblas_complex_numIfES1_PKPKS1_PKPS1_EviT7_lllT6_T8_lllPii
		.amdhsa_group_segment_fixed_size 41480
		.amdhsa_private_segment_fixed_size 48
		.amdhsa_kernarg_size 352
		.amdhsa_user_sgpr_count 2
		.amdhsa_user_sgpr_dispatch_ptr 0
		.amdhsa_user_sgpr_queue_ptr 0
		.amdhsa_user_sgpr_kernarg_segment_ptr 1
		.amdhsa_user_sgpr_dispatch_id 0
		.amdhsa_user_sgpr_kernarg_preload_length 0
		.amdhsa_user_sgpr_kernarg_preload_offset 0
		.amdhsa_user_sgpr_private_segment_size 0
		.amdhsa_wavefront_size32 1
		.amdhsa_uses_dynamic_stack 0
		.amdhsa_enable_private_segment 1
		.amdhsa_system_sgpr_workgroup_id_x 1
		.amdhsa_system_sgpr_workgroup_id_y 0
		.amdhsa_system_sgpr_workgroup_id_z 1
		.amdhsa_system_sgpr_workgroup_info 0
		.amdhsa_system_vgpr_workitem_id 1
		.amdhsa_next_free_vgpr 110
		.amdhsa_next_free_sgpr 105
		.amdhsa_named_barrier_count 0
		.amdhsa_reserve_vcc 1
		.amdhsa_float_round_mode_32 0
		.amdhsa_float_round_mode_16_64 0
		.amdhsa_float_denorm_mode_32 3
		.amdhsa_float_denorm_mode_16_64 3
		.amdhsa_fp16_overflow 0
		.amdhsa_memory_ordered 1
		.amdhsa_forward_progress 1
		.amdhsa_inst_pref_size 255
		.amdhsa_round_robin_scheduling 0
		.amdhsa_exception_fp_ieee_invalid_op 0
		.amdhsa_exception_fp_denorm_src 0
		.amdhsa_exception_fp_ieee_div_zero 0
		.amdhsa_exception_fp_ieee_overflow 0
		.amdhsa_exception_fp_ieee_underflow 0
		.amdhsa_exception_fp_ieee_inexact 0
		.amdhsa_exception_int_div_zero 0
	.end_amdhsa_kernel
	.section	.text._ZL19rocblas_trsv_deviceILi64ELi16ELb0ELb1ELb0ELb1E19rocblas_complex_numIfES1_PKPKS1_PKPS1_EviT7_lllT6_T8_lllPii,"axG",@progbits,_ZL19rocblas_trsv_deviceILi64ELi16ELb0ELb1ELb0ELb1E19rocblas_complex_numIfES1_PKPKS1_PKPS1_EviT7_lllT6_T8_lllPii,comdat
.Lfunc_end158:
	.size	_ZL19rocblas_trsv_deviceILi64ELi16ELb0ELb1ELb0ELb1E19rocblas_complex_numIfES1_PKPKS1_PKPS1_EviT7_lllT6_T8_lllPii, .Lfunc_end158-_ZL19rocblas_trsv_deviceILi64ELi16ELb0ELb1ELb0ELb1E19rocblas_complex_numIfES1_PKPKS1_PKPS1_EviT7_lllT6_T8_lllPii
                                        ; -- End function
	.set _ZL19rocblas_trsv_deviceILi64ELi16ELb0ELb1ELb0ELb1E19rocblas_complex_numIfES1_PKPKS1_PKPS1_EviT7_lllT6_T8_lllPii.num_vgpr, 110
	.set _ZL19rocblas_trsv_deviceILi64ELi16ELb0ELb1ELb0ELb1E19rocblas_complex_numIfES1_PKPKS1_PKPS1_EviT7_lllT6_T8_lllPii.num_agpr, 0
	.set _ZL19rocblas_trsv_deviceILi64ELi16ELb0ELb1ELb0ELb1E19rocblas_complex_numIfES1_PKPKS1_PKPS1_EviT7_lllT6_T8_lllPii.numbered_sgpr, 105
	.set _ZL19rocblas_trsv_deviceILi64ELi16ELb0ELb1ELb0ELb1E19rocblas_complex_numIfES1_PKPKS1_PKPS1_EviT7_lllT6_T8_lllPii.num_named_barrier, 0
	.set _ZL19rocblas_trsv_deviceILi64ELi16ELb0ELb1ELb0ELb1E19rocblas_complex_numIfES1_PKPKS1_PKPS1_EviT7_lllT6_T8_lllPii.private_seg_size, 48
	.set _ZL19rocblas_trsv_deviceILi64ELi16ELb0ELb1ELb0ELb1E19rocblas_complex_numIfES1_PKPKS1_PKPS1_EviT7_lllT6_T8_lllPii.uses_vcc, 1
	.set _ZL19rocblas_trsv_deviceILi64ELi16ELb0ELb1ELb0ELb1E19rocblas_complex_numIfES1_PKPKS1_PKPS1_EviT7_lllT6_T8_lllPii.uses_flat_scratch, 0
	.set _ZL19rocblas_trsv_deviceILi64ELi16ELb0ELb1ELb0ELb1E19rocblas_complex_numIfES1_PKPKS1_PKPS1_EviT7_lllT6_T8_lllPii.has_dyn_sized_stack, 0
	.set _ZL19rocblas_trsv_deviceILi64ELi16ELb0ELb1ELb0ELb1E19rocblas_complex_numIfES1_PKPKS1_PKPS1_EviT7_lllT6_T8_lllPii.has_recursion, 0
	.set _ZL19rocblas_trsv_deviceILi64ELi16ELb0ELb1ELb0ELb1E19rocblas_complex_numIfES1_PKPKS1_PKPS1_EviT7_lllT6_T8_lllPii.has_indirect_call, 0
	.section	.AMDGPU.csdata,"",@progbits
; Kernel info:
; codeLenInByte = 42156
; TotalNumSgprs: 107
; NumVgprs: 110
; ScratchSize: 48
; MemoryBound: 0
; FloatMode: 240
; IeeeMode: 1
; LDSByteSize: 41480 bytes/workgroup (compile time only)
; SGPRBlocks: 0
; VGPRBlocks: 6
; NumSGPRsForWavesPerEU: 107
; NumVGPRsForWavesPerEU: 110
; NamedBarCnt: 0
; Occupancy: 9
; WaveLimiterHint : 1
; COMPUTE_PGM_RSRC2:SCRATCH_EN: 1
; COMPUTE_PGM_RSRC2:USER_SGPR: 2
; COMPUTE_PGM_RSRC2:TRAP_HANDLER: 0
; COMPUTE_PGM_RSRC2:TGID_X_EN: 1
; COMPUTE_PGM_RSRC2:TGID_Y_EN: 0
; COMPUTE_PGM_RSRC2:TGID_Z_EN: 1
; COMPUTE_PGM_RSRC2:TIDIG_COMP_CNT: 1
	.section	.text._ZL19rocblas_trsv_deviceILi64ELi16ELb0ELb1ELb1ELb1E19rocblas_complex_numIfES1_PKPKS1_PKPS1_EviT7_lllT6_T8_lllPii,"axG",@progbits,_ZL19rocblas_trsv_deviceILi64ELi16ELb0ELb1ELb1ELb1E19rocblas_complex_numIfES1_PKPKS1_PKPS1_EviT7_lllT6_T8_lllPii,comdat
	.globl	_ZL19rocblas_trsv_deviceILi64ELi16ELb0ELb1ELb1ELb1E19rocblas_complex_numIfES1_PKPKS1_PKPS1_EviT7_lllT6_T8_lllPii ; -- Begin function _ZL19rocblas_trsv_deviceILi64ELi16ELb0ELb1ELb1ELb1E19rocblas_complex_numIfES1_PKPKS1_PKPS1_EviT7_lllT6_T8_lllPii
	.p2align	8
	.type	_ZL19rocblas_trsv_deviceILi64ELi16ELb0ELb1ELb1ELb1E19rocblas_complex_numIfES1_PKPKS1_PKPS1_EviT7_lllT6_T8_lllPii,@function
_ZL19rocblas_trsv_deviceILi64ELi16ELb0ELb1ELb1ELb1E19rocblas_complex_numIfES1_PKPKS1_PKPS1_EviT7_lllT6_T8_lllPii: ; @_ZL19rocblas_trsv_deviceILi64ELi16ELb0ELb1ELb1ELb1E19rocblas_complex_numIfES1_PKPKS1_PKPS1_EviT7_lllT6_T8_lllPii
; %bb.0:
	s_load_b32 s84, s[0:1], 0x58
	s_bfe_u32 s2, ttmp6, 0x40014
	s_lshr_b32 s3, ttmp7, 16
	s_add_co_i32 s2, s2, 1
	s_bfe_u32 s5, ttmp6, 0x40008
	s_mul_i32 s4, s3, s2
	s_getreg_b32 s2, hwreg(HW_REG_IB_STS2, 6, 4)
	s_add_co_i32 s5, s5, s4
	s_cmp_eq_u32 s2, 0
	s_mov_b32 s63, 0
	s_cselect_b32 s62, s3, s5
	s_wait_kmcnt 0x0
	s_cmp_ge_u32 s62, s84
	s_cbranch_scc1 .LBB159_1126
; %bb.1:
	s_clause 0x4
	s_load_b32 s3, s[0:1], 0x6c
	s_load_b32 s85, s[0:1], 0x0
	s_load_b64 s[14:15], s[0:1], 0x18
	s_load_b64 s[34:35], s[0:1], 0x28
	;; [unrolled: 1-line block ×3, first 2 shown]
	s_bfe_u32 s5, ttmp6, 0x4000c
	s_and_b32 s4, ttmp6, 15
	s_add_co_i32 s5, s5, 1
	v_bfe_u32 v2, v0, 10, 10
	s_mul_i32 s5, ttmp9, s5
	v_and_b32_e32 v4, 0x3ff, v0
	s_add_co_i32 s4, s4, s5
	s_cmp_eq_u32 s2, 0
	v_mov_b32_e32 v1, 0
	s_cselect_b32 s86, ttmp9, s4
	v_dual_lshlrev_b32 v14, 6, v4 :: v_dual_add_nc_u32 v24, 16, v2
	v_lshl_add_u32 v27, v2, 6, v4
	s_delay_alu instid0(VALU_DEP_3)
	v_dual_mov_b32 v7, v1 :: v_dual_lshlrev_b32 v54, 3, v4
	s_wait_kmcnt 0x0
	s_and_b32 s2, s3, 0xffff
	s_add_co_i32 s3, s85, -1
	s_ashr_i32 s4, s85, 31
	s_ashr_i32 s5, s3, 31
	s_lshr_b32 s4, s4, 26
	s_lshr_b32 s5, s5, 26
	s_add_co_i32 s4, s85, s4
	s_add_co_i32 s3, s3, s5
	s_and_not1_b32 s4, s4, 63
	s_ashr_i32 s3, s3, 6
	s_sub_co_i32 s20, s85, s4
	s_cmp_eq_u32 s3, s86
	v_sub_co_u32 v5, s5, s86, 1
	s_cselect_b32 s3, -1, 0
	s_cmp_lg_u32 s20, 0
	v_mad_u32_u24 v6, v2, s2, v4
	s_cselect_b32 s4, -1, 0
	s_lshl_b32 s18, s86, 6
	s_and_b32 s13, s4, s3
	v_dual_add_nc_u32 v3, s18, v2 :: v_dual_add_nc_u32 v12, s18, v4
	s_xor_b32 s2, s5, -1
	s_xor_b32 s88, s13, -1
	v_add_nc_u32_e32 v15, v2, v14
	s_delay_alu instid0(VALU_DEP_2)
	v_subrev_nc_u32_e32 v8, 64, v3
	v_ashrrev_i32_e32 v13, 31, v12
	s_cmp_lt_i32 s86, 5
	v_add_nc_u32_e32 v16, v24, v14
	v_lshl_add_u32 v17, v24, 6, v4
	v_ashrrev_i32_e32 v9, 31, v8
	s_cselect_b32 vcc_lo, -1, 0
	s_add_nc_u64 s[4:5], s[14:15], 1
	v_cndmask_b32_e32 v26, v27, v15, vcc_lo
	s_or_b32 vcc_lo, vcc_lo, s13
	v_dual_cndmask_b32 v32, v17, v16 :: v_dual_lshrrev_b32 v15, 1, v27
	v_dual_lshrrev_b32 v16, 10, v0 :: v_dual_bitop2_b32 v17, 1, v0 bitop3:0x40
	s_ashr_i32 s19, s18, 31
	s_delay_alu instid0(VALU_DEP_2) | instskip(SKIP_1) | instid1(VALU_DEP_2)
	v_lshlrev_b32_e32 v18, 9, v15
	s_mul_u64 s[16:17], s[4:5], s[18:19]
	v_bitop3_b32 v33, v0, v16, 0x3ff bitop3:0xa8
	v_lshlrev_b32_e32 v52, 3, v17
	v_cmp_gt_u32_e64 s3, 4, v27
	v_sub_nc_u32_e32 v53, 0, v18
	v_cmp_eq_u32_e64 s5, 1, v17
	v_cmp_eq_u32_e64 s6, 0, v17
	v_dual_sub_nc_u32 v55, v52, v18 :: v_dual_bitop2_b32 v16, 3, v0 bitop3:0x40
	v_lshl_add_u32 v51, v15, 3, 0x8000
	v_cmp_eq_u32_e64 s4, 0, v2
	v_cmp_gt_u32_e64 s7, 2, v4
	s_and_b32 s90, s5, s3
	s_and_b32 s91, s6, s3
	v_lshrrev_b32_e32 v15, 2, v27
	v_cmp_gt_u32_e64 s5, 16, v27
	v_cmp_eq_u32_e64 s6, 3, v16
	s_and_b32 s92, s4, s7
	v_dual_lshlrev_b32 v58, 3, v16 :: v_dual_lshlrev_b32 v17, 9, v15
	v_lshl_add_u32 v57, v15, 3, 0x8000
	v_cmp_ne_u32_e64 s7, 3, v16
	s_and_b32 s93, s6, s5
	v_cmp_eq_u32_e64 s6, 2, v16
	v_dual_lshlrev_b32 v15, 6, v27 :: v_dual_sub_nc_u32 v59, 0, v17
	v_sub_nc_u32_e32 v62, v58, v17
	v_cmp_gt_u32_e64 s8, 2, v16
	v_cmp_eq_u32_e64 s10, 1, v16
	s_and_b32 s94, s7, s5
	v_cmp_eq_u32_e64 s7, 0, v16
	s_and_b32 s95, s6, s5
	v_cmp_gt_u32_e64 s6, 4, v4
	v_and_b32_e32 v16, -8, v27
	v_and_b32_e32 v15, 0xfffffe00, v15
	v_and_b32_e32 v17, 7, v0
	s_and_b32 s98, s7, s5
	s_and_b32 s99, s4, s6
	v_cmp_gt_u32_e64 s6, 64, v27
	v_sub_nc_u32_e32 v67, 0, v15
	v_cmp_eq_u32_e64 s7, 7, v17
	s_and_b32 s96, s8, s5
	v_cmp_ne_u32_e64 s8, 7, v17
	s_and_b32 s97, s10, s5
	v_lshlrev_b32_e32 v66, 3, v17
	s_and_b32 s100, s7, s6
	v_cmp_eq_u32_e64 s7, 5, v17
	s_and_b32 s101, s8, s6
	v_cmp_gt_u32_e64 s8, 5, v17
	v_cmp_eq_u32_e64 s10, 6, v17
	v_cmp_gt_u32_e64 s11, 6, v17
	s_and_b32 s104, s7, s6
	v_cmp_gt_u32_e64 s7, 4, v17
	s_and_b32 vcc_hi, s8, s6
	v_cmp_gt_u32_e64 s8, 3, v17
	s_and_b32 s102, s10, s6
	v_cmp_eq_u32_e64 s10, 4, v17
	s_and_b32 s38, s7, s6
	v_cmp_eq_u32_e64 s7, 2, v17
	s_and_b32 s40, s8, s6
	v_cmp_eq_u32_e64 s8, 1, v17
	v_dual_sub_nc_u32 v69, v66, v15 :: v_dual_bitop2_b32 v15, 15, v0 bitop3:0x40
	s_and_b32 s41, s7, s6
	v_cmp_gt_u32_e64 s7, 8, v4
	s_and_b32 s103, s11, s6
	v_cmp_eq_u32_e64 s11, 3, v17
	s_and_b32 s37, s10, s6
	v_cmp_gt_u32_e64 s10, 2, v17
	s_and_b32 s43, s8, s6
	s_and_b32 s45, s4, s7
	v_cmp_gt_u32_e64 s7, 0x100, v27
	v_cmp_eq_u32_e64 s8, 15, v15
                                        ; implicit-def: $vgpr109 : SGPR spill to VGPR lane
	s_and_b32 s39, s11, s6
	v_writelane_b32 v109, s2, 0
	v_cmp_eq_u32_e64 s11, 0, v17
	s_and_b32 s42, s10, s6
	v_cmp_ne_u32_e64 s10, 15, v15
	s_and_b32 s8, s8, s7
	v_cmp_gt_u32_e64 s12, 14, v15
	v_writelane_b32 v109, s8, 1
	s_and_b32 s44, s11, s6
	v_cmp_eq_u32_e64 s11, 14, v15
	s_and_b32 s8, s10, s7
	v_lshlrev_b32_e32 v72, 3, v15
	v_writelane_b32 v109, s8, 2
	v_cmp_eq_u32_e64 s8, 13, v15
	s_and_b32 s10, s11, s7
	v_cmp_eq_u32_e64 s11, 12, v15
	v_cmp_gt_i32_e64 s9, s20, v4
	v_writelane_b32 v109, s10, 3
	s_and_b32 s10, s12, s7
	s_and_b32 s8, s8, s7
	v_cmp_eq_u32_e64 s12, 11, v15
	s_and_b32 s53, s11, s7
	v_writelane_b32 v109, s10, 4
	v_cmp_gt_u32_e64 s10, 13, v15
	v_cmp_gt_u32_e64 s11, 10, v15
	s_and_b32 s55, s12, s7
	v_cmp_gt_u32_e64 s12, 9, v15
	v_writelane_b32 v109, s8, 5
	v_cmp_gt_u32_e64 s8, 12, v15
	s_and_b32 s52, s10, s7
	v_cmp_gt_u32_e64 s10, 11, v15
	s_and_b32 s58, s11, s7
	s_and_b32 s60, s12, s7
	;; [unrolled: 1-line block ×3, first 2 shown]
	v_cmp_eq_u32_e64 s8, 10, v15
	s_and_b32 s56, s10, s7
	v_cmp_eq_u32_e64 s10, 9, v15
	v_cmp_eq_u32_e64 s11, 7, v15
	;; [unrolled: 1-line block ×3, first 2 shown]
	s_and_b32 s57, s8, s7
	v_cmp_eq_u32_e64 s8, 8, v15
	s_and_b32 s59, s10, s7
	v_cmp_gt_u32_e64 s10, 8, v15
	s_and_b32 s26, s11, s7
	s_and_b32 s30, s12, s7
	s_and_b32 s22, s8, s7
	v_cmp_gt_u32_e64 s8, 7, v15
	s_and_b32 s24, s10, s7
	v_cmp_gt_u32_e64 s10, 6, v15
	v_cmp_gt_u32_e64 s11, 5, v15
	;; [unrolled: 1-line block ×3, first 2 shown]
	s_and_b32 s28, s8, s7
	v_cmp_eq_u32_e64 s8, 5, v15
	s_and_b32 s33, s10, s7
	v_cmp_eq_u32_e64 s10, 4, v15
	s_and_b32 s78, s11, s7
	s_and_b32 s72, s12, s7
	;; [unrolled: 1-line block ×3, first 2 shown]
	v_cmp_eq_u32_e64 s8, 3, v15
	s_and_b32 s79, s10, s7
	v_cmp_gt_u32_e64 s10, 3, v15
	v_cmp_eq_u32_e64 s11, 2, v15
	v_cmp_eq_u32_e64 s12, 1, v15
	s_and_b32 s73, s8, s7
	v_cmp_gt_u32_e64 s8, 2, v15
	s_and_b32 s23, s10, s7
	v_cmp_eq_u32_e64 s10, 0, v15
	v_dual_lshrrev_b32 v15, 5, v27 :: v_dual_bitop2_b32 v74, 31, v0 bitop3:0x40
	v_add_nc_u32_e32 v28, 32, v2
	s_and_b32 s27, s8, s7
	v_cmp_gt_u32_e64 s8, 16, v4
	s_delay_alu instid0(VALU_DEP_3)
	v_lshlrev_b32_e32 v0, 9, v15
	v_lshl_add_u32 v77, v15, 3, 0x8000
	v_add_nc_u32_e32 v15, v28, v14
	v_add_nc_u32_e32 v65, 0x8000, v16
	v_lshrrev_b32_e32 v16, 4, v27
	s_and_b32 s31, s10, s7
	v_cmp_le_i32_e64 s10, s20, v4
	s_and_b32 s87, s4, s8
	v_cmp_gt_u32_e64 s8, 32, v4
	v_lshl_add_u32 v71, v16, 3, 0x8000
	v_dual_lshlrev_b32 v16, 9, v16 :: v_dual_lshlrev_b32 v76, 3, v74
	s_and_b32 s46, s10, s13
	s_and_b32 s25, s11, s7
	s_xor_b32 s11, s46, -1
	s_and_b32 s8, s4, s8
	s_xor_b32 s89, vcc_lo, -1
	v_sub_nc_u32_e32 v73, 0, v16
	s_and_b32 s29, s12, s7
	v_dual_sub_nc_u32 v75, v72, v16 :: v_dual_add_nc_u32 v30, 48, v2
	v_writelane_b32 v109, s8, 6
	s_and_b32 s48, s4, s11
	s_xor_b32 s50, s35, 0x80000000
	s_cmp_gt_i32 s86, 0
	v_cmp_gt_i32_e64 s2, s85, v12
	s_cselect_b32 s49, -1, 0
	s_and_b32 s9, s4, s9
	v_add_nc_u64_e32 v[22:23], s[18:19], v[6:7]
	v_subrev_nc_u32_e32 v7, 48, v3
	v_writelane_b32 v109, s9, 7
	v_lshl_add_u32 v16, v28, 6, v4
	v_cmp_gt_i32_e64 s9, s85, v8
	v_dual_mov_b32 v25, v1 :: v_dual_mov_b32 v29, v1
	v_dual_add_nc_u32 v37, v30, v14 :: v_dual_mov_b32 v31, v1
	v_lshl_add_u32 v38, v30, 6, v4
	v_dual_sub_nc_u32 v78, 0, v0 :: v_dual_sub_nc_u32 v79, v76, v0
	v_dual_add_nc_u32 v0, s18, v6 :: v_dual_add_nc_u32 v35, -16, v3
	v_subrev_nc_u32_e32 v34, 32, v3
	v_cmp_gt_i32_e64 s11, s85, v7
	v_dual_mov_b32 v3, v1 :: v_dual_cndmask_b32 v36, v16, v15
	v_mul_u64_e32 v[14:15], s[14:15], v[24:25]
	v_dual_cndmask_b32 v25, v38, v37 :: v_dual_lshlrev_b32 v82, 3, v26
	v_cmp_le_i32_e32 vcc_lo, s20, v28
	s_and_b32 s9, s9, s2
	v_mul_u64_e32 v[10:11], s[14:15], v[12:13]
	v_writelane_b32 v109, s9, 8
	v_mul_u64_e32 v[16:17], s[14:15], v[28:29]
	v_mul_u64_e32 v[18:19], s[14:15], v[30:31]
	;; [unrolled: 1-line block ×3, first 2 shown]
	v_cmp_le_i32_e64 s12, s20, v24
	v_cmp_le_i32_e64 s13, s20, v2
	v_cmp_le_i32_e64 s14, s20, v30
	s_or_b32 s15, vcc_lo, s10
	v_cmp_gt_i32_e32 vcc_lo, s85, v34
	s_and_b32 s9, s11, s2
	s_or_b32 s13, s13, s10
	v_writelane_b32 v109, s9, 9
	s_or_b32 s12, s12, s10
	s_or_b32 s14, s14, s10
	v_cmp_gt_i32_e64 s10, s85, v35
	s_and_b32 s9, vcc_lo, s2
	s_load_b64 s[76:77], s[0:1], 0x50
	v_writelane_b32 v109, s9, 10
	s_clause 0x1
	s_load_b128 s[64:67], s[0:1], 0x8
	s_load_b128 s[68:71], s[0:1], 0x30
	s_wait_xcnt 0x0
	v_cmp_ge_u32_e64 s0, v4, v2
	s_and_b32 s9, s10, s2
	v_cmp_ge_u32_e64 s1, v4, v24
	v_writelane_b32 v109, s9, 11
	v_cmp_ge_u32_e64 s8, v4, v28
	s_or_b32 s9, s13, s0
	s_mov_b32 s51, s35
	s_mov_b32 s35, s34
	v_writelane_b32 v109, s9, 12
	s_or_b32 s9, s12, s1
	v_dual_lshlrev_b32 v24, 3, v2 :: v_dual_bitop2_b32 v35, v24, v4 bitop3:0x54
	v_cmp_gt_u32_e64 s12, 64, v33
	v_writelane_b32 v109, s9, 13
	s_or_b32 s9, s15, s8
                                        ; implicit-def: $vgpr108 : SGPR spill to VGPR lane
	v_mad_u32_u24 v56, 0x1f8, v4, v54
	v_or_b32_e32 v89, 0xa000, v24
	v_or_b32_e32 v37, v28, v4
	v_writelane_b32 v109, s9, 14
	v_cmp_ge_u32_e64 s9, v4, v30
	v_mad_i32_i24 v60, 0xfffffe08, v4, v56
	v_dual_add_nc_u32 v96, v89, v54 :: v_dual_bitop2_b32 v39, v30, v4 bitop3:0x54
	v_lshlrev_b32_e32 v26, 3, v4
	s_or_b32 s10, s14, s9
	s_delay_alu instid0(VALU_DEP_3)
	v_mad_u32_u24 v61, 0x1f8, v4, v60
	v_writelane_b32 v109, s10, 15
	v_mul_i32_i24_e32 v88, 0xfffffe08, v4
	v_mul_u64_e32 v[12:13], s[74:75], v[12:13]
	v_mul_u64_e32 v[22:23], s[74:75], v[22:23]
	v_mad_i32_i24 v63, 0xfffffe08, v4, v61
	v_writelane_b32 v109, s50, 16
	v_dual_lshlrev_b32 v84, 3, v32 :: v_dual_lshlrev_b32 v87, 3, v25
	v_mov_b64_e32 v[28:29], 0
	s_delay_alu instid0(VALU_DEP_4)
	v_mad_u32_u24 v64, 0x1f8, v4, v63
	v_writelane_b32 v109, s51, 17
	v_cmp_lt_u32_e32 vcc_lo, 0x3ff, v27
	v_mov_b64_e32 v[30:31], 0x3f800000
	v_lshlrev_b32_e32 v86, 3, v36
	v_mad_i32_i24 v68, 0xfffffe08, v4, v64
	v_writelane_b32 v109, s34, 18
	s_lshl_b64 s[80:81], s[16:17], 3
	v_lshl_add_u32 v92, v6, 3, 0xa000
	v_lshl_add_u32 v93, v27, 3, 0x8000
	v_mad_u32_u24 v70, 0x1f8, v4, v68
	v_writelane_b32 v109, s35, 19
	v_add_nc_u32_e32 v94, 0x8000, v54
	v_or_b32_e32 v97, 0x3800, v76
	v_subrev_nc_u32_e32 v98, 31, v74
	v_mad_i32_i24 v7, 0xfffffe08, v4, v70
	v_writelane_b32 v109, s12, 20
	v_cmp_gt_u32_e64 s12, 64, v35
	v_cmp_eq_u32_e64 s10, 0, v33
	v_cmp_gt_u32_e64 s13, 2, v27
	v_mad_u32_u24 v3, 0x1f8, v4, v7
	v_cmp_gt_u32_e64 s14, 12, v27
	v_writelane_b32 v109, s12, 21
	v_cmp_gt_u32_e64 s12, 64, v37
	v_cmp_gt_u32_e64 s15, 8, v27
	v_mad_i32_i24 v80, 0xfffffe08, v4, v3
	v_cmp_gt_u32_e64 s16, 56, v27
	v_cmp_gt_u32_e64 s17, 48, v27
	v_writelane_b32 v109, s12, 22
	v_cmp_gt_u32_e64 s12, 0xf0, v27
	v_mad_u32_u24 v81, 0x1f8, v4, v80
	v_lshl_add_u32 v95, v2, 9, v80
	v_cmp_gt_u32_e64 s18, 40, v27
	v_cmp_gt_u32_e64 s20, 32, v27
	v_writelane_b32 v109, s12, 23
	v_cmp_gt_u32_e64 s12, 0xe0, v27
	v_mad_i32_i24 v83, 0xfffffe08, v4, v81
	v_cmp_gt_u32_e64 s21, 24, v27
	v_cmp_gt_u32_e64 s34, 0x400, v27
	v_cmp_eq_u32_e64 s35, 0, v6
	v_writelane_b32 v109, s12, 24
	v_cmp_gt_u32_e64 s12, 0xd0, v27
	v_mad_u32_u24 v85, 0x1f8, v4, v83
	v_cmp_gt_u32_e64 s36, 64, v6
	s_xor_b32 s11, vcc_lo, -1
	s_wait_kmcnt 0x0
	s_lshl_b64 s[66:67], s[66:67], 3
	v_writelane_b32 v109, s12, 25
	v_cmp_gt_u32_e64 s12, 0xc0, v27
	v_add_nc_u32_e32 v90, v85, v24
	v_mad_u32_u24 v24, 0x1f8, v4, v88
	s_lshl_b64 s[70:71], s[70:71], 3
                                        ; implicit-def: $vgpr32
                                        ; implicit-def: $vgpr34
                                        ; implicit-def: $vgpr36
                                        ; implicit-def: $vgpr38
	v_writelane_b32 v109, s12, 26
	v_cmp_gt_u32_e64 s12, 0xb0, v27
	s_delay_alu instid0(VALU_DEP_3) | instskip(SKIP_1) | instid1(VALU_DEP_3)
	v_mad_u32 v91, v24, 7, v54
	v_mul_u64_e32 v[24:25], s[74:75], v[0:1]
	v_writelane_b32 v109, s12, 27
	v_cmp_gt_u32_e64 s12, 0xa0, v27
	s_delay_alu instid0(VALU_DEP_1) | instskip(SKIP_1) | instid1(VALU_DEP_1)
	v_writelane_b32 v109, s12, 28
	v_cmp_gt_u32_e64 s12, 0x90, v27
	v_writelane_b32 v109, s12, 29
	v_cmp_gt_u32_e64 s12, 0x80, v27
	s_delay_alu instid0(VALU_DEP_1) | instskip(SKIP_1) | instid1(VALU_DEP_1)
	v_writelane_b32 v109, s12, 30
	v_cmp_gt_u32_e64 s12, 0x70, v27
	;; [unrolled: 5-line block ×15, first 2 shown]
	v_writelane_b32 v108, s12, 25
	s_branch .LBB159_3
.LBB159_2:                              ;   in Loop: Header=BB159_3 Depth=1
	s_wait_xcnt 0x0
	s_or_b32 exec_lo, exec_lo, s12
	s_add_co_i32 s62, s62, 0x10000
	global_wb scope:SCOPE_DEV
	s_wait_storecnt 0x0
	global_inv scope:SCOPE_DEV
	s_cmp_lt_u32 s62, s84
	s_cbranch_scc0 .LBB159_1126
.LBB159_3:                              ; =>This Loop Header: Depth=1
                                        ;     Child Loop BB159_537 Depth 2
                                        ;     Child Loop BB159_986 Depth 2
                                        ;       Child Loop BB159_988 Depth 3
                                        ;     Child Loop BB159_1032 Depth 2
	v_mov_b32_e32 v0, s62
	v_readlane_b32 s12, v109, 0
	s_clause 0x1
	global_load_b64 v[40:41], v0, s[64:65] scale_offset
	global_load_b64 v[42:43], v0, s[68:69] scale_offset
	s_and_not1_b32 vcc_lo, exec_lo, s12
	s_wait_loadcnt 0x1
	v_add_nc_u64_e32 v[44:45], s[66:67], v[40:41]
	s_delay_alu instid0(VALU_DEP_1)
	v_lshl_add_u64 v[40:41], v[10:11], 3, v[44:45]
	s_cbranch_vccnz .LBB159_13
; %bb.4:                                ;   in Loop: Header=BB159_3 Depth=1
	s_delay_alu instid0(VALU_DEP_1)
	v_lshl_add_u64 v[46:47], v[8:9], 3, v[40:41]
	v_dual_mov_b32 v34, 0 :: v_dual_mov_b32 v32, 0
	v_mov_b32_e32 v33, 0
	s_wait_loadcnt 0x0
	s_barrier_signal -1
	s_barrier_wait -1
	s_wait_xcnt 0x0
	s_mov_b32 s12, exec_lo
	v_readlane_b32 s19, v109, 8
	s_and_b32 s19, s12, s19
	s_delay_alu instid0(SALU_CYCLE_1)
	s_mov_b32 exec_lo, s19
	s_cbranch_execz .LBB159_6
; %bb.5:                                ;   in Loop: Header=BB159_3 Depth=1
	flat_load_b64 v[32:33], v[46:47]
.LBB159_6:                              ;   in Loop: Header=BB159_3 Depth=1
	s_wait_xcnt 0x0
	s_or_b32 exec_lo, exec_lo, s12
	v_mov_b32_e32 v35, 0
	s_wait_loadcnt_dscnt 0x0
	s_barrier_signal -1
	s_barrier_wait -1
	s_mov_b32 s12, exec_lo
	v_readlane_b32 s19, v109, 9
	s_and_b32 s19, s12, s19
	s_delay_alu instid0(SALU_CYCLE_1)
	s_mov_b32 exec_lo, s19
	s_cbranch_execz .LBB159_8
; %bb.7:                                ;   in Loop: Header=BB159_3 Depth=1
	flat_load_b64 v[34:35], v[46:47] offset:128
.LBB159_8:                              ;   in Loop: Header=BB159_3 Depth=1
	s_wait_xcnt 0x0
	s_or_b32 exec_lo, exec_lo, s12
	v_dual_mov_b32 v39, 0 :: v_dual_mov_b32 v36, 0
	v_mov_b32_e32 v37, 0
	s_wait_loadcnt_dscnt 0x0
	s_barrier_signal -1
	s_barrier_wait -1
	s_mov_b32 s12, exec_lo
	v_readlane_b32 s19, v109, 10
	s_and_b32 s19, s12, s19
	s_delay_alu instid0(SALU_CYCLE_1)
	s_mov_b32 exec_lo, s19
	s_cbranch_execz .LBB159_10
; %bb.9:                                ;   in Loop: Header=BB159_3 Depth=1
	flat_load_b64 v[36:37], v[46:47] offset:256
.LBB159_10:                             ;   in Loop: Header=BB159_3 Depth=1
	s_wait_xcnt 0x0
	s_or_b32 exec_lo, exec_lo, s12
	v_mov_b32_e32 v38, 0
	s_wait_loadcnt_dscnt 0x0
	s_barrier_signal -1
	s_barrier_wait -1
	s_mov_b32 s12, exec_lo
	v_readlane_b32 s19, v109, 11
	s_and_b32 s19, s12, s19
	s_delay_alu instid0(SALU_CYCLE_1)
	s_mov_b32 exec_lo, s19
	s_cbranch_execz .LBB159_12
; %bb.11:                               ;   in Loop: Header=BB159_3 Depth=1
	flat_load_b64 v[38:39], v[46:47] offset:384
.LBB159_12:                             ;   in Loop: Header=BB159_3 Depth=1
	s_wait_xcnt 0x0
	s_or_b32 exec_lo, exec_lo, s12
.LBB159_13:                             ;   in Loop: Header=BB159_3 Depth=1
	v_add_nc_u64_e32 v[44:45], s[80:81], v[44:45]
	v_mov_b32_e32 v27, v1
	s_and_not1_b32 vcc_lo, exec_lo, s88
	s_mov_b32 s12, -1
	s_delay_alu instid0(VALU_DEP_1)
	v_add_nc_u64_e32 v[44:45], v[44:45], v[26:27]
	s_cbranch_vccnz .LBB159_24
; %bb.14:                               ;   in Loop: Header=BB159_3 Depth=1
	s_wait_xcnt 0x0
	s_and_saveexec_b32 s12, s0
	s_delay_alu instid0(SALU_CYCLE_1)
	s_xor_b32 s12, exec_lo, s12
	s_cbranch_execnz .LBB159_1053
; %bb.15:                               ;   in Loop: Header=BB159_3 Depth=1
	s_and_not1_saveexec_b32 s12, s12
	s_cbranch_execnz .LBB159_1056
.LBB159_16:                             ;   in Loop: Header=BB159_3 Depth=1
	s_or_b32 exec_lo, exec_lo, s12
	s_and_saveexec_b32 s12, s1
	s_delay_alu instid0(SALU_CYCLE_1)
	s_xor_b32 s12, exec_lo, s12
	s_cbranch_execnz .LBB159_1057
.LBB159_17:                             ;   in Loop: Header=BB159_3 Depth=1
	s_and_not1_saveexec_b32 s12, s12
	s_cbranch_execnz .LBB159_1060
.LBB159_18:                             ;   in Loop: Header=BB159_3 Depth=1
	s_or_b32 exec_lo, exec_lo, s12
	s_and_saveexec_b32 s12, s8
	s_delay_alu instid0(SALU_CYCLE_1)
	s_xor_b32 s12, exec_lo, s12
	s_cbranch_execnz .LBB159_1061
.LBB159_19:                             ;   in Loop: Header=BB159_3 Depth=1
	s_and_not1_saveexec_b32 s12, s12
	s_cbranch_execnz .LBB159_1064
.LBB159_20:                             ;   in Loop: Header=BB159_3 Depth=1
	s_or_b32 exec_lo, exec_lo, s12
	s_and_saveexec_b32 s12, s9
	s_delay_alu instid0(SALU_CYCLE_1)
	s_xor_b32 s12, exec_lo, s12
	s_cbranch_execnz .LBB159_1065
.LBB159_21:                             ;   in Loop: Header=BB159_3 Depth=1
	s_and_not1_saveexec_b32 s12, s12
	s_cbranch_execz .LBB159_23
.LBB159_22:                             ;   in Loop: Header=BB159_3 Depth=1
	v_lshl_add_u64 v[46:47], v[18:19], 3, v[44:45]
	flat_load_b64 v[46:47], v[46:47]
	s_wait_loadcnt_dscnt 0x0
	v_xor_b32_e32 v46, 0x80000000, v46
	ds_store_b64 v87, v[46:47]
.LBB159_23:                             ;   in Loop: Header=BB159_3 Depth=1
	s_or_b32 exec_lo, exec_lo, s12
	s_mov_b32 s12, 0
.LBB159_24:                             ;   in Loop: Header=BB159_3 Depth=1
	s_delay_alu instid0(SALU_CYCLE_1)
	s_and_b32 vcc_lo, exec_lo, s12
	s_cbranch_vccz .LBB159_50
; %bb.25:                               ;   in Loop: Header=BB159_3 Depth=1
	s_wait_xcnt 0x0
	s_mov_b32 s12, exec_lo
	v_readlane_b32 s19, v109, 12
	s_and_b32 s19, s12, s19
	s_delay_alu instid0(SALU_CYCLE_1)
	s_xor_b32 s12, s19, s12
	s_mov_b32 exec_lo, s19
	s_cbranch_execz .LBB159_29
; %bb.26:                               ;   in Loop: Header=BB159_3 Depth=1
	v_readlane_b32 s50, v109, 20
	s_and_saveexec_b32 s19, s50
; %bb.27:                               ;   in Loop: Header=BB159_3 Depth=1
	ds_store_b64 v90, v[28:29]
; %bb.28:                               ;   in Loop: Header=BB159_3 Depth=1
	s_or_b32 exec_lo, exec_lo, s19
.LBB159_29:                             ;   in Loop: Header=BB159_3 Depth=1
	s_and_not1_saveexec_b32 s12, s12
	s_cbranch_execz .LBB159_31
; %bb.30:                               ;   in Loop: Header=BB159_3 Depth=1
	v_lshl_add_u64 v[46:47], v[20:21], 3, v[44:45]
	flat_load_b64 v[46:47], v[46:47]
	s_wait_loadcnt_dscnt 0x0
	v_xor_b32_e32 v46, 0x80000000, v46
	ds_store_b64 v90, v[46:47]
.LBB159_31:                             ;   in Loop: Header=BB159_3 Depth=1
	s_or_b32 exec_lo, exec_lo, s12
	s_delay_alu instid0(SALU_CYCLE_1) | instskip(SKIP_2) | instid1(SALU_CYCLE_1)
	s_mov_b32 s12, exec_lo
	v_readlane_b32 s19, v109, 13
	s_and_b32 s19, s12, s19
	s_xor_b32 s12, s19, s12
	s_mov_b32 exec_lo, s19
	s_cbranch_execz .LBB159_35
; %bb.32:                               ;   in Loop: Header=BB159_3 Depth=1
	v_readlane_b32 s50, v109, 21
	s_and_saveexec_b32 s19, s50
; %bb.33:                               ;   in Loop: Header=BB159_3 Depth=1
	ds_store_b64 v84, v[28:29]
; %bb.34:                               ;   in Loop: Header=BB159_3 Depth=1
	s_or_b32 exec_lo, exec_lo, s19
.LBB159_35:                             ;   in Loop: Header=BB159_3 Depth=1
	s_and_not1_saveexec_b32 s12, s12
	s_cbranch_execz .LBB159_37
; %bb.36:                               ;   in Loop: Header=BB159_3 Depth=1
	v_lshl_add_u64 v[46:47], v[14:15], 3, v[44:45]
	flat_load_b64 v[46:47], v[46:47]
	s_wait_loadcnt_dscnt 0x0
	v_xor_b32_e32 v46, 0x80000000, v46
	ds_store_b64 v84, v[46:47]
.LBB159_37:                             ;   in Loop: Header=BB159_3 Depth=1
	s_or_b32 exec_lo, exec_lo, s12
	s_delay_alu instid0(SALU_CYCLE_1) | instskip(SKIP_2) | instid1(SALU_CYCLE_1)
	s_mov_b32 s12, exec_lo
	v_readlane_b32 s19, v109, 14
	s_and_b32 s19, s12, s19
	;; [unrolled: 25-line block ×3, first 2 shown]
	s_xor_b32 s12, s19, s12
	s_mov_b32 exec_lo, s19
	s_cbranch_execz .LBB159_47
; %bb.44:                               ;   in Loop: Header=BB159_3 Depth=1
	v_readlane_b32 s50, v108, 12
	s_and_saveexec_b32 s19, s50
; %bb.45:                               ;   in Loop: Header=BB159_3 Depth=1
	ds_store_b64 v87, v[28:29]
; %bb.46:                               ;   in Loop: Header=BB159_3 Depth=1
	s_or_b32 exec_lo, exec_lo, s19
                                        ; implicit-def: $vgpr44_vgpr45
.LBB159_47:                             ;   in Loop: Header=BB159_3 Depth=1
	s_and_not1_saveexec_b32 s12, s12
	s_cbranch_execz .LBB159_49
; %bb.48:                               ;   in Loop: Header=BB159_3 Depth=1
	v_lshl_add_u64 v[44:45], v[18:19], 3, v[44:45]
	flat_load_b64 v[44:45], v[44:45]
	s_wait_loadcnt_dscnt 0x0
	v_xor_b32_e32 v44, 0x80000000, v44
	ds_store_b64 v87, v[44:45]
.LBB159_49:                             ;   in Loop: Header=BB159_3 Depth=1
	s_or_b32 exec_lo, exec_lo, s12
.LBB159_50:                             ;   in Loop: Header=BB159_3 Depth=1
	s_delay_alu instid0(SALU_CYCLE_1)
	s_and_not1_b32 vcc_lo, exec_lo, s89
	s_wait_loadcnt_dscnt 0x0
	s_barrier_signal -1
	s_barrier_wait -1
	s_cbranch_vccnz .LBB159_980
; %bb.51:                               ;   in Loop: Header=BB159_3 Depth=1
	s_wait_xcnt 0x0
	s_and_saveexec_b32 s12, s10
	s_cbranch_execz .LBB159_53
; %bb.52:                               ;   in Loop: Header=BB159_3 Depth=1
	ds_load_b64 v[44:45], v1 offset:32752
	v_add_nc_u32_e64 v0, 0x7800, 0
	ds_store_b64 v1, v[30:31] offset:32760
	s_wait_dscnt 0x1
	ds_store_2addr_b64 v0, v[30:31], v[44:45] offset0:190 offset1:191
.LBB159_53:                             ;   in Loop: Header=BB159_3 Depth=1
	s_or_b32 exec_lo, exec_lo, s12
	v_dual_mov_b32 v44, 0 :: v_dual_mov_b32 v45, 0
	s_wait_dscnt 0x0
	s_barrier_signal -1
	s_barrier_wait -1
	global_wb scope:SCOPE_DEV
	s_wait_storecnt 0x0
	global_inv scope:SCOPE_DEV
	s_and_saveexec_b32 s12, s3
	s_cbranch_execz .LBB159_57
; %bb.54:                               ;   in Loop: Header=BB159_3 Depth=1
	ds_load_b64 v[44:45], v52 offset:32224
	ds_load_b64 v[46:47], v53 offset:32752
	s_wait_dscnt 0x0
	v_pk_mul_f32 v[48:49], v[46:47], v[44:45] op_sel:[1,1] op_sel_hi:[0,1]
	s_delay_alu instid0(VALU_DEP_1) | instskip(SKIP_1) | instid1(VALU_DEP_2)
	v_pk_fma_f32 v[100:101], v[46:47], v[44:45], v[48:49] op_sel_hi:[1,0,1]
	v_pk_fma_f32 v[44:45], v[46:47], v[44:45], v[48:49] neg_lo:[0,0,1] neg_hi:[0,0,1]
	v_mov_b32_e32 v45, v101
	s_delay_alu instid0(VALU_DEP_1)
	v_pk_add_f32 v[44:45], v[44:45], 0 op_sel_hi:[1,0]
	s_and_saveexec_b32 s19, s13
	s_cbranch_execz .LBB159_56
; %bb.55:                               ;   in Loop: Header=BB159_3 Depth=1
	ds_load_b64 v[46:47], v54 offset:32736
	ds_load_b64 v[48:49], v1 offset:32760
	s_wait_dscnt 0x0
	v_pk_mul_f32 v[100:101], v[48:49], v[46:47] op_sel:[1,1] op_sel_hi:[0,1]
	s_delay_alu instid0(VALU_DEP_1) | instskip(SKIP_1) | instid1(VALU_DEP_2)
	v_pk_fma_f32 v[102:103], v[48:49], v[46:47], v[100:101] op_sel_hi:[1,0,1]
	v_pk_fma_f32 v[46:47], v[48:49], v[46:47], v[100:101] neg_lo:[0,0,1] neg_hi:[0,0,1]
	v_mov_b32_e32 v47, v103
	s_delay_alu instid0(VALU_DEP_1)
	v_pk_add_f32 v[44:45], v[44:45], v[46:47]
.LBB159_56:                             ;   in Loop: Header=BB159_3 Depth=1
	s_or_b32 exec_lo, exec_lo, s19
.LBB159_57:                             ;   in Loop: Header=BB159_3 Depth=1
	s_delay_alu instid0(SALU_CYCLE_1)
	s_or_b32 exec_lo, exec_lo, s12
	s_and_saveexec_b32 s12, s90
; %bb.58:                               ;   in Loop: Header=BB159_3 Depth=1
	s_delay_alu instid0(VALU_DEP_1)
	v_pk_add_f32 v[46:47], v[44:45], 0 neg_lo:[1,1] neg_hi:[1,1]
	ds_store_b64 v51, v[46:47]
; %bb.59:                               ;   in Loop: Header=BB159_3 Depth=1
	s_or_b32 exec_lo, exec_lo, s12
	s_wait_loadcnt_dscnt 0x0
	s_barrier_signal -1
	s_barrier_wait -1
	s_and_saveexec_b32 s12, s91
	s_cbranch_execz .LBB159_61
; %bb.60:                               ;   in Loop: Header=BB159_3 Depth=1
	ds_load_b64 v[46:47], v1 offset:31712
	ds_load_b64 v[48:49], v51
	s_wait_dscnt 0x0
	v_pk_mul_f32 v[100:101], v[48:49], v[46:47] op_sel_hi:[1,0]
	s_delay_alu instid0(VALU_DEP_1) | instskip(SKIP_1) | instid1(VALU_DEP_2)
	v_pk_fma_f32 v[102:103], v[48:49], v[46:47], v[100:101] op_sel:[1,1,0] op_sel_hi:[0,1,1]
	v_pk_fma_f32 v[46:47], v[48:49], v[46:47], v[100:101] op_sel:[1,1,0] op_sel_hi:[0,1,1] neg_lo:[0,0,1] neg_hi:[0,0,1]
	v_pk_add_f32 v[48:49], v[44:45], v[102:103] neg_lo:[0,1] neg_hi:[0,1]
	s_delay_alu instid0(VALU_DEP_2) | instskip(NEXT) | instid1(VALU_DEP_2)
	v_pk_add_f32 v[44:45], v[44:45], v[46:47]
	v_mov_b32_e32 v45, v49
.LBB159_61:                             ;   in Loop: Header=BB159_3 Depth=1
	s_or_b32 exec_lo, exec_lo, s12
	s_barrier_signal -1
	s_barrier_wait -1
	s_and_saveexec_b32 s12, s91
; %bb.62:                               ;   in Loop: Header=BB159_3 Depth=1
	v_pk_add_f32 v[46:47], v[44:45], 0 neg_lo:[1,1] neg_hi:[1,1]
	ds_store_b64 v51, v[46:47]
; %bb.63:                               ;   in Loop: Header=BB159_3 Depth=1
	s_or_b32 exec_lo, exec_lo, s12
	s_wait_dscnt 0x0
	s_barrier_signal -1
	s_barrier_wait -1
	s_barrier_signal -1
	s_barrier_wait -1
	s_and_saveexec_b32 s12, s3
; %bb.64:                               ;   in Loop: Header=BB159_3 Depth=1
	ds_store_b64 v55, v[44:45] offset:32736
; %bb.65:                               ;   in Loop: Header=BB159_3 Depth=1
	s_or_b32 exec_lo, exec_lo, s12
	s_wait_dscnt 0x0
	s_barrier_signal -1
	s_barrier_wait -1
	s_barrier_signal -1
	s_barrier_wait -1
	s_and_saveexec_b32 s12, s92
	s_cbranch_execz .LBB159_67
; %bb.66:                               ;   in Loop: Header=BB159_3 Depth=1
	ds_load_b64 v[44:45], v56 offset:32224
	s_wait_dscnt 0x0
	ds_store_b64 v54, v[44:45] offset:31216
	ds_load_b64 v[44:45], v56 offset:32232
	s_wait_dscnt 0x0
	ds_store_b64 v54, v[44:45] offset:31728
.LBB159_67:                             ;   in Loop: Header=BB159_3 Depth=1
	s_or_b32 exec_lo, exec_lo, s12
	s_wait_dscnt 0x0
	s_barrier_signal -1
	s_barrier_wait -1
	s_and_saveexec_b32 s12, s10
	s_cbranch_execz .LBB159_69
; %bb.68:                               ;   in Loop: Header=BB159_3 Depth=1
	ds_load_b64 v[44:45], v1 offset:31712
	v_add_nc_u32_e64 v0, 0x7800, 0
	ds_store_b64 v1, v[30:31] offset:31720
	s_wait_dscnt 0x1
	ds_store_2addr_b64 v0, v[30:31], v[44:45] offset0:60 offset1:61
.LBB159_69:                             ;   in Loop: Header=BB159_3 Depth=1
	s_or_b32 exec_lo, exec_lo, s12
	v_mov_b64_e32 v[44:45], 0
	s_wait_dscnt 0x0
	s_barrier_signal -1
	s_barrier_wait -1
	global_wb scope:SCOPE_DEV
	s_wait_storecnt 0x0
	global_inv scope:SCOPE_DEV
	s_and_saveexec_b32 s12, s5
	s_cbranch_execz .LBB159_75
; %bb.70:                               ;   in Loop: Header=BB159_3 Depth=1
	ds_load_b64 v[44:45], v58 offset:31168
	ds_load_b64 v[46:47], v59 offset:32736
	s_wait_dscnt 0x0
	v_dual_mul_f32 v0, v47, v45 :: v_dual_mul_f32 v27, v46, v45
	s_delay_alu instid0(VALU_DEP_1) | instskip(NEXT) | instid1(VALU_DEP_1)
	v_dual_fma_f32 v0, v46, v44, -v0 :: v_dual_fmac_f32 v27, v47, v44
	v_dual_add_f32 v44, 0, v0 :: v_dual_add_f32 v45, 0, v27
	s_and_saveexec_b32 s19, s14
	s_cbranch_execnz .LBB159_1076
; %bb.71:                               ;   in Loop: Header=BB159_3 Depth=1
	s_or_b32 exec_lo, exec_lo, s19
	s_and_saveexec_b32 s19, s15
	s_cbranch_execnz .LBB159_1077
.LBB159_72:                             ;   in Loop: Header=BB159_3 Depth=1
	s_or_b32 exec_lo, exec_lo, s19
	s_and_saveexec_b32 s19, s3
	s_cbranch_execz .LBB159_74
.LBB159_73:                             ;   in Loop: Header=BB159_3 Depth=1
	ds_load_b64 v[46:47], v60 offset:32704
	ds_load_b64 v[48:49], v1 offset:32760
	s_wait_dscnt 0x0
	v_pk_mul_f32 v[100:101], v[48:49], v[46:47] op_sel:[1,1] op_sel_hi:[0,1]
	s_delay_alu instid0(VALU_DEP_1) | instskip(SKIP_1) | instid1(VALU_DEP_2)
	v_pk_fma_f32 v[102:103], v[48:49], v[46:47], v[100:101] op_sel_hi:[1,0,1]
	v_pk_fma_f32 v[46:47], v[48:49], v[46:47], v[100:101] neg_lo:[0,0,1] neg_hi:[0,0,1]
	v_mov_b32_e32 v47, v103
	s_delay_alu instid0(VALU_DEP_1)
	v_pk_add_f32 v[44:45], v[44:45], v[46:47]
.LBB159_74:                             ;   in Loop: Header=BB159_3 Depth=1
	s_or_b32 exec_lo, exec_lo, s19
.LBB159_75:                             ;   in Loop: Header=BB159_3 Depth=1
	s_delay_alu instid0(SALU_CYCLE_1)
	s_or_b32 exec_lo, exec_lo, s12
	s_and_saveexec_b32 s12, s93
; %bb.76:                               ;   in Loop: Header=BB159_3 Depth=1
	s_delay_alu instid0(VALU_DEP_1)
	v_pk_add_f32 v[46:47], v[44:45], 0 neg_lo:[1,1] neg_hi:[1,1]
	ds_store_b64 v57, v[46:47]
; %bb.77:                               ;   in Loop: Header=BB159_3 Depth=1
	s_or_b32 exec_lo, exec_lo, s12
	s_wait_loadcnt_dscnt 0x0
	s_barrier_signal -1
	s_barrier_wait -1
	s_and_saveexec_b32 s12, s94
	s_cbranch_execz .LBB159_79
; %bb.78:                               ;   in Loop: Header=BB159_3 Depth=1
	ds_load_b64 v[46:47], v58 offset:30656
	ds_load_b64 v[48:49], v57
	s_wait_dscnt 0x0
	v_pk_mul_f32 v[100:101], v[48:49], v[46:47] op_sel:[1,1] op_sel_hi:[0,1]
	s_delay_alu instid0(VALU_DEP_1) | instskip(SKIP_1) | instid1(VALU_DEP_2)
	v_pk_fma_f32 v[102:103], v[48:49], v[46:47], v[100:101] op_sel_hi:[1,0,1]
	v_pk_fma_f32 v[46:47], v[48:49], v[46:47], v[100:101] neg_lo:[0,0,1] neg_hi:[0,0,1]
	v_mov_b32_e32 v47, v103
	s_delay_alu instid0(VALU_DEP_1)
	v_pk_add_f32 v[44:45], v[44:45], v[46:47] neg_lo:[0,1] neg_hi:[0,1]
.LBB159_79:                             ;   in Loop: Header=BB159_3 Depth=1
	s_or_b32 exec_lo, exec_lo, s12
	s_barrier_signal -1
	s_barrier_wait -1
	s_and_saveexec_b32 s12, s95
; %bb.80:                               ;   in Loop: Header=BB159_3 Depth=1
	v_pk_add_f32 v[46:47], v[44:45], 0 neg_lo:[1,1] neg_hi:[1,1]
	ds_store_b64 v57, v[46:47]
; %bb.81:                               ;   in Loop: Header=BB159_3 Depth=1
	s_or_b32 exec_lo, exec_lo, s12
	s_wait_dscnt 0x0
	s_barrier_signal -1
	s_barrier_wait -1
	s_and_saveexec_b32 s12, s96
	s_cbranch_execz .LBB159_83
; %bb.82:                               ;   in Loop: Header=BB159_3 Depth=1
	ds_load_b64 v[46:47], v58 offset:30144
	ds_load_b64 v[48:49], v57
	s_wait_dscnt 0x0
	v_pk_mul_f32 v[100:101], v[48:49], v[46:47] op_sel:[1,1] op_sel_hi:[0,1]
	s_delay_alu instid0(VALU_DEP_1) | instskip(SKIP_1) | instid1(VALU_DEP_2)
	v_pk_fma_f32 v[102:103], v[48:49], v[46:47], v[100:101] op_sel_hi:[1,0,1]
	v_pk_fma_f32 v[46:47], v[48:49], v[46:47], v[100:101] neg_lo:[0,0,1] neg_hi:[0,0,1]
	v_mov_b32_e32 v47, v103
	s_delay_alu instid0(VALU_DEP_1)
	v_pk_add_f32 v[44:45], v[44:45], v[46:47] neg_lo:[0,1] neg_hi:[0,1]
.LBB159_83:                             ;   in Loop: Header=BB159_3 Depth=1
	s_or_b32 exec_lo, exec_lo, s12
	s_barrier_signal -1
	s_barrier_wait -1
	s_and_saveexec_b32 s12, s97
; %bb.84:                               ;   in Loop: Header=BB159_3 Depth=1
	v_pk_add_f32 v[46:47], v[44:45], 0 neg_lo:[1,1] neg_hi:[1,1]
	ds_store_b64 v57, v[46:47]
; %bb.85:                               ;   in Loop: Header=BB159_3 Depth=1
	s_or_b32 exec_lo, exec_lo, s12
	s_wait_dscnt 0x0
	;; [unrolled: 26-line block ×3, first 2 shown]
	s_barrier_signal -1
	s_barrier_wait -1
	s_barrier_signal -1
	s_barrier_wait -1
	s_and_saveexec_b32 s12, s5
; %bb.90:                               ;   in Loop: Header=BB159_3 Depth=1
	ds_store_b64 v62, v[44:45] offset:32704
; %bb.91:                               ;   in Loop: Header=BB159_3 Depth=1
	s_or_b32 exec_lo, exec_lo, s12
	s_wait_dscnt 0x0
	s_barrier_signal -1
	s_barrier_wait -1
	s_barrier_signal -1
	s_barrier_wait -1
	s_and_saveexec_b32 s12, s99
	s_cbranch_execz .LBB159_93
; %bb.92:                               ;   in Loop: Header=BB159_3 Depth=1
	ds_load_b64 v[44:45], v61 offset:31168
	s_wait_dscnt 0x0
	ds_store_b64 v63, v[44:45] offset:29152
	ds_load_b64 v[44:45], v61 offset:31176
	s_wait_dscnt 0x0
	ds_store_b64 v63, v[44:45] offset:29664
	;; [unrolled: 3-line block ×4, first 2 shown]
.LBB159_93:                             ;   in Loop: Header=BB159_3 Depth=1
	s_or_b32 exec_lo, exec_lo, s12
	s_wait_dscnt 0x0
	s_barrier_signal -1
	s_barrier_wait -1
	s_and_saveexec_b32 s12, s10
	s_cbranch_execz .LBB159_95
; %bb.94:                               ;   in Loop: Header=BB159_3 Depth=1
	ds_load_b64 v[44:45], v1 offset:30672
	v_add_nc_u32_e64 v0, 0x7000, 0
	ds_store_b64 v1, v[30:31] offset:30680
	s_wait_dscnt 0x1
	ds_store_2addr_b64 v0, v[30:31], v[44:45] offset0:186 offset1:187
.LBB159_95:                             ;   in Loop: Header=BB159_3 Depth=1
	s_or_b32 exec_lo, exec_lo, s12
	v_dual_mov_b32 v44, 0 :: v_dual_mov_b32 v45, 0
	s_wait_dscnt 0x0
	s_barrier_signal -1
	s_barrier_wait -1
	global_wb scope:SCOPE_DEV
	s_wait_storecnt 0x0
	global_inv scope:SCOPE_DEV
	s_and_saveexec_b32 s12, s3
	s_cbranch_execz .LBB159_99
; %bb.96:                               ;   in Loop: Header=BB159_3 Depth=1
	ds_load_b64 v[44:45], v52 offset:30144
	ds_load_b64 v[46:47], v53 offset:30672
	s_wait_dscnt 0x0
	v_pk_mul_f32 v[48:49], v[46:47], v[44:45] op_sel:[1,1] op_sel_hi:[0,1]
	s_delay_alu instid0(VALU_DEP_1) | instskip(SKIP_1) | instid1(VALU_DEP_2)
	v_pk_fma_f32 v[100:101], v[46:47], v[44:45], v[48:49] op_sel_hi:[1,0,1]
	v_pk_fma_f32 v[44:45], v[46:47], v[44:45], v[48:49] neg_lo:[0,0,1] neg_hi:[0,0,1]
	v_mov_b32_e32 v45, v101
	s_delay_alu instid0(VALU_DEP_1)
	v_pk_add_f32 v[44:45], v[44:45], 0 op_sel_hi:[1,0]
	s_and_saveexec_b32 s19, s13
	s_cbranch_execz .LBB159_98
; %bb.97:                               ;   in Loop: Header=BB159_3 Depth=1
	ds_load_b64 v[46:47], v63 offset:30656
	ds_load_b64 v[48:49], v1 offset:30680
	s_wait_dscnt 0x0
	v_pk_mul_f32 v[100:101], v[48:49], v[46:47] op_sel:[1,1] op_sel_hi:[0,1]
	s_delay_alu instid0(VALU_DEP_1) | instskip(SKIP_1) | instid1(VALU_DEP_2)
	v_pk_fma_f32 v[102:103], v[48:49], v[46:47], v[100:101] op_sel_hi:[1,0,1]
	v_pk_fma_f32 v[46:47], v[48:49], v[46:47], v[100:101] neg_lo:[0,0,1] neg_hi:[0,0,1]
	v_mov_b32_e32 v47, v103
	s_delay_alu instid0(VALU_DEP_1)
	v_pk_add_f32 v[44:45], v[44:45], v[46:47]
.LBB159_98:                             ;   in Loop: Header=BB159_3 Depth=1
	s_or_b32 exec_lo, exec_lo, s19
.LBB159_99:                             ;   in Loop: Header=BB159_3 Depth=1
	s_delay_alu instid0(SALU_CYCLE_1)
	s_or_b32 exec_lo, exec_lo, s12
	s_and_saveexec_b32 s12, s90
; %bb.100:                              ;   in Loop: Header=BB159_3 Depth=1
	s_delay_alu instid0(VALU_DEP_1)
	v_pk_add_f32 v[46:47], v[44:45], 0 neg_lo:[1,1] neg_hi:[1,1]
	ds_store_b64 v51, v[46:47]
; %bb.101:                              ;   in Loop: Header=BB159_3 Depth=1
	s_or_b32 exec_lo, exec_lo, s12
	s_wait_loadcnt_dscnt 0x0
	s_barrier_signal -1
	s_barrier_wait -1
	s_and_saveexec_b32 s12, s91
	s_cbranch_execz .LBB159_103
; %bb.102:                              ;   in Loop: Header=BB159_3 Depth=1
	ds_load_b64 v[46:47], v1 offset:29632
	ds_load_b64 v[48:49], v51
	s_wait_dscnt 0x0
	v_pk_mul_f32 v[100:101], v[48:49], v[46:47] op_sel_hi:[1,0]
	s_delay_alu instid0(VALU_DEP_1) | instskip(SKIP_1) | instid1(VALU_DEP_2)
	v_pk_fma_f32 v[102:103], v[48:49], v[46:47], v[100:101] op_sel:[1,1,0] op_sel_hi:[0,1,1]
	v_pk_fma_f32 v[46:47], v[48:49], v[46:47], v[100:101] op_sel:[1,1,0] op_sel_hi:[0,1,1] neg_lo:[0,0,1] neg_hi:[0,0,1]
	v_pk_add_f32 v[48:49], v[44:45], v[102:103] neg_lo:[0,1] neg_hi:[0,1]
	s_delay_alu instid0(VALU_DEP_2) | instskip(NEXT) | instid1(VALU_DEP_2)
	v_pk_add_f32 v[44:45], v[44:45], v[46:47]
	v_mov_b32_e32 v45, v49
.LBB159_103:                            ;   in Loop: Header=BB159_3 Depth=1
	s_or_b32 exec_lo, exec_lo, s12
	s_barrier_signal -1
	s_barrier_wait -1
	s_and_saveexec_b32 s12, s91
; %bb.104:                              ;   in Loop: Header=BB159_3 Depth=1
	v_pk_add_f32 v[46:47], v[44:45], 0 neg_lo:[1,1] neg_hi:[1,1]
	ds_store_b64 v51, v[46:47]
; %bb.105:                              ;   in Loop: Header=BB159_3 Depth=1
	s_or_b32 exec_lo, exec_lo, s12
	s_wait_dscnt 0x0
	s_barrier_signal -1
	s_barrier_wait -1
	s_barrier_signal -1
	s_barrier_wait -1
	s_and_saveexec_b32 s12, s3
; %bb.106:                              ;   in Loop: Header=BB159_3 Depth=1
	ds_store_b64 v55, v[44:45] offset:30656
; %bb.107:                              ;   in Loop: Header=BB159_3 Depth=1
	s_or_b32 exec_lo, exec_lo, s12
	s_wait_dscnt 0x0
	s_barrier_signal -1
	s_barrier_wait -1
	s_barrier_signal -1
	s_barrier_wait -1
	s_and_saveexec_b32 s12, s92
	s_cbranch_execz .LBB159_109
; %bb.108:                              ;   in Loop: Header=BB159_3 Depth=1
	ds_load_b64 v[44:45], v64 offset:30144
	s_wait_dscnt 0x0
	ds_store_b64 v63, v[44:45] offset:29136
	ds_load_b64 v[44:45], v64 offset:30152
	s_wait_dscnt 0x0
	ds_store_b64 v63, v[44:45] offset:29648
.LBB159_109:                            ;   in Loop: Header=BB159_3 Depth=1
	s_or_b32 exec_lo, exec_lo, s12
	s_wait_dscnt 0x0
	s_barrier_signal -1
	s_barrier_wait -1
	s_and_saveexec_b32 s12, s10
	s_cbranch_execz .LBB159_111
; %bb.110:                              ;   in Loop: Header=BB159_3 Depth=1
	ds_load_b64 v[44:45], v1 offset:29632
	v_add_nc_u32_e64 v0, 0x7000, 0
	ds_store_b64 v1, v[30:31] offset:29640
	s_wait_dscnt 0x1
	ds_store_2addr_b64 v0, v[30:31], v[44:45] offset0:56 offset1:57
.LBB159_111:                            ;   in Loop: Header=BB159_3 Depth=1
	s_or_b32 exec_lo, exec_lo, s12
	v_mov_b64_e32 v[44:45], 0
	s_wait_dscnt 0x0
	s_barrier_signal -1
	s_barrier_wait -1
	global_wb scope:SCOPE_DEV
	s_wait_storecnt 0x0
	global_inv scope:SCOPE_DEV
	s_and_saveexec_b32 s12, s6
	s_cbranch_execz .LBB159_121
; %bb.112:                              ;   in Loop: Header=BB159_3 Depth=1
	ds_load_b64 v[44:45], v66 offset:29056
	ds_load_b64 v[46:47], v67 offset:32704
	s_wait_dscnt 0x0
	v_dual_mul_f32 v0, v47, v45 :: v_dual_mul_f32 v27, v46, v45
	s_delay_alu instid0(VALU_DEP_1) | instskip(NEXT) | instid1(VALU_DEP_1)
	v_dual_fma_f32 v0, v46, v44, -v0 :: v_dual_fmac_f32 v27, v47, v44
	v_dual_add_f32 v44, 0, v0 :: v_dual_add_f32 v45, 0, v27
	s_and_saveexec_b32 s19, s16
	s_cbranch_execnz .LBB159_1078
; %bb.113:                              ;   in Loop: Header=BB159_3 Depth=1
	s_or_b32 exec_lo, exec_lo, s19
	s_and_saveexec_b32 s19, s17
	s_cbranch_execnz .LBB159_1079
.LBB159_114:                            ;   in Loop: Header=BB159_3 Depth=1
	s_or_b32 exec_lo, exec_lo, s19
	s_and_saveexec_b32 s19, s18
	s_cbranch_execnz .LBB159_1080
.LBB159_115:                            ;   in Loop: Header=BB159_3 Depth=1
	s_or_b32 exec_lo, exec_lo, s19
	s_and_saveexec_b32 s19, s20
	s_cbranch_execnz .LBB159_1081
.LBB159_116:                            ;   in Loop: Header=BB159_3 Depth=1
	s_or_b32 exec_lo, exec_lo, s19
	s_and_saveexec_b32 s19, s21
	s_cbranch_execnz .LBB159_1082
.LBB159_117:                            ;   in Loop: Header=BB159_3 Depth=1
	s_or_b32 exec_lo, exec_lo, s19
	s_and_saveexec_b32 s19, s5
	s_cbranch_execnz .LBB159_1083
.LBB159_118:                            ;   in Loop: Header=BB159_3 Depth=1
	s_or_b32 exec_lo, exec_lo, s19
	s_and_saveexec_b32 s19, s15
	s_cbranch_execz .LBB159_120
.LBB159_119:                            ;   in Loop: Header=BB159_3 Depth=1
	ds_load_b64 v[46:47], v68 offset:32640
	ds_load_b64 v[48:49], v1 offset:32760
	s_wait_dscnt 0x0
	v_pk_mul_f32 v[100:101], v[48:49], v[46:47] op_sel:[1,1] op_sel_hi:[0,1]
	s_delay_alu instid0(VALU_DEP_1) | instskip(SKIP_1) | instid1(VALU_DEP_2)
	v_pk_fma_f32 v[102:103], v[48:49], v[46:47], v[100:101] op_sel_hi:[1,0,1]
	v_pk_fma_f32 v[46:47], v[48:49], v[46:47], v[100:101] neg_lo:[0,0,1] neg_hi:[0,0,1]
	v_mov_b32_e32 v47, v103
	s_delay_alu instid0(VALU_DEP_1)
	v_pk_add_f32 v[44:45], v[44:45], v[46:47]
.LBB159_120:                            ;   in Loop: Header=BB159_3 Depth=1
	s_or_b32 exec_lo, exec_lo, s19
.LBB159_121:                            ;   in Loop: Header=BB159_3 Depth=1
	s_delay_alu instid0(SALU_CYCLE_1)
	s_or_b32 exec_lo, exec_lo, s12
	s_and_saveexec_b32 s12, s100
; %bb.122:                              ;   in Loop: Header=BB159_3 Depth=1
	s_delay_alu instid0(VALU_DEP_1)
	v_pk_add_f32 v[46:47], v[44:45], 0 neg_lo:[1,1] neg_hi:[1,1]
	ds_store_b64 v65, v[46:47]
; %bb.123:                              ;   in Loop: Header=BB159_3 Depth=1
	s_or_b32 exec_lo, exec_lo, s12
	s_wait_loadcnt_dscnt 0x0
	s_barrier_signal -1
	s_barrier_wait -1
	s_and_saveexec_b32 s12, s101
	s_cbranch_execz .LBB159_125
; %bb.124:                              ;   in Loop: Header=BB159_3 Depth=1
	ds_load_b64 v[46:47], v66 offset:28544
	ds_load_b64 v[48:49], v65
	s_wait_dscnt 0x0
	v_pk_mul_f32 v[100:101], v[48:49], v[46:47] op_sel:[1,1] op_sel_hi:[0,1]
	s_delay_alu instid0(VALU_DEP_1) | instskip(SKIP_1) | instid1(VALU_DEP_2)
	v_pk_fma_f32 v[102:103], v[48:49], v[46:47], v[100:101] op_sel_hi:[1,0,1]
	v_pk_fma_f32 v[46:47], v[48:49], v[46:47], v[100:101] neg_lo:[0,0,1] neg_hi:[0,0,1]
	v_mov_b32_e32 v47, v103
	s_delay_alu instid0(VALU_DEP_1)
	v_pk_add_f32 v[44:45], v[44:45], v[46:47] neg_lo:[0,1] neg_hi:[0,1]
.LBB159_125:                            ;   in Loop: Header=BB159_3 Depth=1
	s_or_b32 exec_lo, exec_lo, s12
	s_barrier_signal -1
	s_barrier_wait -1
	s_and_saveexec_b32 s12, s102
; %bb.126:                              ;   in Loop: Header=BB159_3 Depth=1
	v_pk_add_f32 v[46:47], v[44:45], 0 neg_lo:[1,1] neg_hi:[1,1]
	ds_store_b64 v65, v[46:47]
; %bb.127:                              ;   in Loop: Header=BB159_3 Depth=1
	s_or_b32 exec_lo, exec_lo, s12
	s_wait_dscnt 0x0
	s_barrier_signal -1
	s_barrier_wait -1
	s_and_saveexec_b32 s12, s103
	s_cbranch_execz .LBB159_129
; %bb.128:                              ;   in Loop: Header=BB159_3 Depth=1
	ds_load_b64 v[46:47], v66 offset:28032
	ds_load_b64 v[48:49], v65
	s_wait_dscnt 0x0
	v_dual_mul_f32 v0, v49, v47 :: v_dual_mul_f32 v27, v48, v47
	s_delay_alu instid0(VALU_DEP_1) | instskip(NEXT) | instid1(VALU_DEP_1)
	v_dual_fma_f32 v0, v48, v46, -v0 :: v_dual_fmac_f32 v27, v49, v46
	v_dual_sub_f32 v44, v44, v0 :: v_dual_sub_f32 v45, v45, v27
.LBB159_129:                            ;   in Loop: Header=BB159_3 Depth=1
	s_or_b32 exec_lo, exec_lo, s12
	s_barrier_signal -1
	s_barrier_wait -1
	s_and_saveexec_b32 s12, s104
; %bb.130:                              ;   in Loop: Header=BB159_3 Depth=1
	v_pk_add_f32 v[46:47], v[44:45], 0 neg_lo:[1,1] neg_hi:[1,1]
	ds_store_b64 v65, v[46:47]
; %bb.131:                              ;   in Loop: Header=BB159_3 Depth=1
	s_or_b32 exec_lo, exec_lo, s12
	s_wait_dscnt 0x0
	s_barrier_signal -1
	s_barrier_wait -1
	s_and_saveexec_b32 s12, vcc_hi
	s_cbranch_execz .LBB159_133
; %bb.132:                              ;   in Loop: Header=BB159_3 Depth=1
	ds_load_b64 v[46:47], v66 offset:27520
	ds_load_b64 v[48:49], v65
	s_wait_dscnt 0x0
	v_dual_mul_f32 v0, v49, v47 :: v_dual_mul_f32 v101, v48, v47
	s_delay_alu instid0(VALU_DEP_1) | instskip(NEXT) | instid1(VALU_DEP_1)
	v_dual_fma_f32 v100, v48, v46, -v0 :: v_dual_fmac_f32 v101, v49, v46
	v_pk_add_f32 v[44:45], v[44:45], v[100:101] neg_lo:[0,1] neg_hi:[0,1]
.LBB159_133:                            ;   in Loop: Header=BB159_3 Depth=1
	s_or_b32 exec_lo, exec_lo, s12
	s_barrier_signal -1
	s_barrier_wait -1
	s_and_saveexec_b32 s12, s37
; %bb.134:                              ;   in Loop: Header=BB159_3 Depth=1
	v_pk_add_f32 v[46:47], v[44:45], 0 neg_lo:[1,1] neg_hi:[1,1]
	ds_store_b64 v65, v[46:47]
; %bb.135:                              ;   in Loop: Header=BB159_3 Depth=1
	s_or_b32 exec_lo, exec_lo, s12
	s_wait_dscnt 0x0
	s_barrier_signal -1
	s_barrier_wait -1
	s_and_saveexec_b32 s12, s38
	s_cbranch_execz .LBB159_137
; %bb.136:                              ;   in Loop: Header=BB159_3 Depth=1
	ds_load_b64 v[46:47], v66 offset:27008
	ds_load_b64 v[48:49], v65
	s_wait_dscnt 0x0
	v_pk_mul_f32 v[100:101], v[48:49], v[46:47] op_sel:[1,1] op_sel_hi:[0,1]
	s_delay_alu instid0(VALU_DEP_1) | instskip(SKIP_1) | instid1(VALU_DEP_2)
	v_pk_fma_f32 v[102:103], v[48:49], v[46:47], v[100:101] op_sel_hi:[1,0,1]
	v_pk_fma_f32 v[46:47], v[48:49], v[46:47], v[100:101] neg_lo:[0,0,1] neg_hi:[0,0,1]
	v_mov_b32_e32 v47, v103
	s_delay_alu instid0(VALU_DEP_1)
	v_pk_add_f32 v[44:45], v[44:45], v[46:47] neg_lo:[0,1] neg_hi:[0,1]
.LBB159_137:                            ;   in Loop: Header=BB159_3 Depth=1
	s_or_b32 exec_lo, exec_lo, s12
	s_barrier_signal -1
	s_barrier_wait -1
	s_and_saveexec_b32 s12, s39
; %bb.138:                              ;   in Loop: Header=BB159_3 Depth=1
	v_pk_add_f32 v[46:47], v[44:45], 0 neg_lo:[1,1] neg_hi:[1,1]
	ds_store_b64 v65, v[46:47]
; %bb.139:                              ;   in Loop: Header=BB159_3 Depth=1
	s_or_b32 exec_lo, exec_lo, s12
	s_wait_dscnt 0x0
	s_barrier_signal -1
	s_barrier_wait -1
	s_and_saveexec_b32 s12, s40
	s_cbranch_execz .LBB159_141
; %bb.140:                              ;   in Loop: Header=BB159_3 Depth=1
	ds_load_b64 v[46:47], v66 offset:26496
	ds_load_b64 v[48:49], v65
	s_wait_dscnt 0x0
	v_pk_mul_f32 v[100:101], v[48:49], v[46:47] op_sel:[1,1] op_sel_hi:[0,1]
	s_delay_alu instid0(VALU_DEP_1) | instskip(SKIP_1) | instid1(VALU_DEP_2)
	v_pk_fma_f32 v[102:103], v[48:49], v[46:47], v[100:101] op_sel_hi:[1,0,1]
	v_pk_fma_f32 v[46:47], v[48:49], v[46:47], v[100:101] neg_lo:[0,0,1] neg_hi:[0,0,1]
	v_mov_b32_e32 v47, v103
	s_delay_alu instid0(VALU_DEP_1)
	v_pk_add_f32 v[44:45], v[44:45], v[46:47] neg_lo:[0,1] neg_hi:[0,1]
.LBB159_141:                            ;   in Loop: Header=BB159_3 Depth=1
	;; [unrolled: 26-line block ×4, first 2 shown]
	s_or_b32 exec_lo, exec_lo, s12
	s_barrier_signal -1
	s_barrier_wait -1
	s_and_saveexec_b32 s12, s44
; %bb.150:                              ;   in Loop: Header=BB159_3 Depth=1
	v_pk_add_f32 v[46:47], v[44:45], 0 neg_lo:[1,1] neg_hi:[1,1]
	ds_store_b64 v65, v[46:47]
; %bb.151:                              ;   in Loop: Header=BB159_3 Depth=1
	s_or_b32 exec_lo, exec_lo, s12
	s_wait_dscnt 0x0
	s_barrier_signal -1
	s_barrier_wait -1
	s_barrier_signal -1
	s_barrier_wait -1
	s_and_saveexec_b32 s12, s6
; %bb.152:                              ;   in Loop: Header=BB159_3 Depth=1
	ds_store_b64 v69, v[44:45] offset:32640
; %bb.153:                              ;   in Loop: Header=BB159_3 Depth=1
	s_or_b32 exec_lo, exec_lo, s12
	s_wait_dscnt 0x0
	s_barrier_signal -1
	s_barrier_wait -1
	s_barrier_signal -1
	s_barrier_wait -1
	s_and_saveexec_b32 s12, s45
	s_cbranch_execz .LBB159_155
; %bb.154:                              ;   in Loop: Header=BB159_3 Depth=1
	ds_load_b64 v[44:45], v70 offset:29056
	s_wait_dscnt 0x0
	ds_store_b64 v7, v[44:45] offset:25024
	ds_load_b64 v[44:45], v70 offset:29064
	s_wait_dscnt 0x0
	ds_store_b64 v7, v[44:45] offset:25536
	;; [unrolled: 3-line block ×8, first 2 shown]
.LBB159_155:                            ;   in Loop: Header=BB159_3 Depth=1
	s_or_b32 exec_lo, exec_lo, s12
	s_wait_dscnt 0x0
	s_barrier_signal -1
	s_barrier_wait -1
	s_and_saveexec_b32 s12, s10
	s_cbranch_execz .LBB159_157
; %bb.156:                              ;   in Loop: Header=BB159_3 Depth=1
	ds_load_b64 v[44:45], v1 offset:28592
	v_add_nc_u32_e64 v0, 0x6800, 0
	ds_store_b64 v1, v[30:31] offset:28600
	s_wait_dscnt 0x1
	ds_store_2addr_b64 v0, v[30:31], v[44:45] offset0:182 offset1:183
.LBB159_157:                            ;   in Loop: Header=BB159_3 Depth=1
	s_or_b32 exec_lo, exec_lo, s12
	v_dual_mov_b32 v44, 0 :: v_dual_mov_b32 v45, 0
	s_wait_dscnt 0x0
	s_barrier_signal -1
	s_barrier_wait -1
	global_wb scope:SCOPE_DEV
	s_wait_storecnt 0x0
	global_inv scope:SCOPE_DEV
	s_and_saveexec_b32 s12, s3
	s_cbranch_execz .LBB159_161
; %bb.158:                              ;   in Loop: Header=BB159_3 Depth=1
	ds_load_b64 v[44:45], v52 offset:28064
	ds_load_b64 v[46:47], v53 offset:28592
	s_wait_dscnt 0x0
	v_pk_mul_f32 v[48:49], v[46:47], v[44:45] op_sel:[1,1] op_sel_hi:[0,1]
	s_delay_alu instid0(VALU_DEP_1) | instskip(SKIP_1) | instid1(VALU_DEP_2)
	v_pk_fma_f32 v[100:101], v[46:47], v[44:45], v[48:49] op_sel_hi:[1,0,1]
	v_pk_fma_f32 v[44:45], v[46:47], v[44:45], v[48:49] neg_lo:[0,0,1] neg_hi:[0,0,1]
	v_mov_b32_e32 v45, v101
	s_delay_alu instid0(VALU_DEP_1)
	v_pk_add_f32 v[44:45], v[44:45], 0 op_sel_hi:[1,0]
	s_and_saveexec_b32 s19, s13
	s_cbranch_execz .LBB159_160
; %bb.159:                              ;   in Loop: Header=BB159_3 Depth=1
	ds_load_b64 v[46:47], v7 offset:28576
	ds_load_b64 v[48:49], v1 offset:28600
	s_wait_dscnt 0x0
	v_pk_mul_f32 v[100:101], v[48:49], v[46:47] op_sel:[1,1] op_sel_hi:[0,1]
	s_delay_alu instid0(VALU_DEP_1) | instskip(SKIP_1) | instid1(VALU_DEP_2)
	v_pk_fma_f32 v[102:103], v[48:49], v[46:47], v[100:101] op_sel_hi:[1,0,1]
	v_pk_fma_f32 v[46:47], v[48:49], v[46:47], v[100:101] neg_lo:[0,0,1] neg_hi:[0,0,1]
	v_mov_b32_e32 v47, v103
	s_delay_alu instid0(VALU_DEP_1)
	v_pk_add_f32 v[44:45], v[44:45], v[46:47]
.LBB159_160:                            ;   in Loop: Header=BB159_3 Depth=1
	s_or_b32 exec_lo, exec_lo, s19
.LBB159_161:                            ;   in Loop: Header=BB159_3 Depth=1
	s_delay_alu instid0(SALU_CYCLE_1)
	s_or_b32 exec_lo, exec_lo, s12
	s_and_saveexec_b32 s12, s90
; %bb.162:                              ;   in Loop: Header=BB159_3 Depth=1
	s_delay_alu instid0(VALU_DEP_1)
	v_pk_add_f32 v[46:47], v[44:45], 0 neg_lo:[1,1] neg_hi:[1,1]
	ds_store_b64 v51, v[46:47]
; %bb.163:                              ;   in Loop: Header=BB159_3 Depth=1
	s_or_b32 exec_lo, exec_lo, s12
	s_wait_loadcnt_dscnt 0x0
	s_barrier_signal -1
	s_barrier_wait -1
	s_and_saveexec_b32 s12, s91
	s_cbranch_execz .LBB159_165
; %bb.164:                              ;   in Loop: Header=BB159_3 Depth=1
	ds_load_b64 v[46:47], v1 offset:27552
	ds_load_b64 v[48:49], v51
	s_wait_dscnt 0x0
	v_pk_mul_f32 v[100:101], v[48:49], v[46:47] op_sel_hi:[1,0]
	s_delay_alu instid0(VALU_DEP_1) | instskip(SKIP_1) | instid1(VALU_DEP_2)
	v_pk_fma_f32 v[102:103], v[48:49], v[46:47], v[100:101] op_sel:[1,1,0] op_sel_hi:[0,1,1]
	v_pk_fma_f32 v[46:47], v[48:49], v[46:47], v[100:101] op_sel:[1,1,0] op_sel_hi:[0,1,1] neg_lo:[0,0,1] neg_hi:[0,0,1]
	v_pk_add_f32 v[48:49], v[44:45], v[102:103] neg_lo:[0,1] neg_hi:[0,1]
	s_delay_alu instid0(VALU_DEP_2) | instskip(NEXT) | instid1(VALU_DEP_2)
	v_pk_add_f32 v[44:45], v[44:45], v[46:47]
	v_mov_b32_e32 v45, v49
.LBB159_165:                            ;   in Loop: Header=BB159_3 Depth=1
	s_or_b32 exec_lo, exec_lo, s12
	s_barrier_signal -1
	s_barrier_wait -1
	s_and_saveexec_b32 s12, s91
; %bb.166:                              ;   in Loop: Header=BB159_3 Depth=1
	v_pk_add_f32 v[46:47], v[44:45], 0 neg_lo:[1,1] neg_hi:[1,1]
	ds_store_b64 v51, v[46:47]
; %bb.167:                              ;   in Loop: Header=BB159_3 Depth=1
	s_or_b32 exec_lo, exec_lo, s12
	s_wait_dscnt 0x0
	s_barrier_signal -1
	s_barrier_wait -1
	s_barrier_signal -1
	s_barrier_wait -1
	s_and_saveexec_b32 s12, s3
; %bb.168:                              ;   in Loop: Header=BB159_3 Depth=1
	ds_store_b64 v55, v[44:45] offset:28576
; %bb.169:                              ;   in Loop: Header=BB159_3 Depth=1
	s_or_b32 exec_lo, exec_lo, s12
	s_wait_dscnt 0x0
	s_barrier_signal -1
	s_barrier_wait -1
	s_barrier_signal -1
	s_barrier_wait -1
	s_and_saveexec_b32 s12, s92
	s_cbranch_execz .LBB159_171
; %bb.170:                              ;   in Loop: Header=BB159_3 Depth=1
	ds_load_b64 v[44:45], v3 offset:28064
	s_wait_dscnt 0x0
	ds_store_b64 v7, v[44:45] offset:27056
	ds_load_b64 v[44:45], v3 offset:28072
	s_wait_dscnt 0x0
	ds_store_b64 v7, v[44:45] offset:27568
.LBB159_171:                            ;   in Loop: Header=BB159_3 Depth=1
	s_or_b32 exec_lo, exec_lo, s12
	s_wait_dscnt 0x0
	s_barrier_signal -1
	s_barrier_wait -1
	s_and_saveexec_b32 s12, s10
	s_cbranch_execz .LBB159_173
; %bb.172:                              ;   in Loop: Header=BB159_3 Depth=1
	ds_load_b64 v[44:45], v1 offset:27552
	v_add_nc_u32_e64 v0, 0x6800, 0
	ds_store_b64 v1, v[30:31] offset:27560
	s_wait_dscnt 0x1
	ds_store_2addr_b64 v0, v[30:31], v[44:45] offset0:52 offset1:53
.LBB159_173:                            ;   in Loop: Header=BB159_3 Depth=1
	s_or_b32 exec_lo, exec_lo, s12
	v_mov_b64_e32 v[44:45], 0
	s_wait_dscnt 0x0
	s_barrier_signal -1
	s_barrier_wait -1
	global_wb scope:SCOPE_DEV
	s_wait_storecnt 0x0
	global_inv scope:SCOPE_DEV
	s_and_saveexec_b32 s12, s5
	s_cbranch_execz .LBB159_179
; %bb.174:                              ;   in Loop: Header=BB159_3 Depth=1
	ds_load_b64 v[44:45], v58 offset:27008
	ds_load_b64 v[46:47], v59 offset:28576
	s_wait_dscnt 0x0
	v_dual_mul_f32 v0, v47, v45 :: v_dual_mul_f32 v27, v46, v45
	s_delay_alu instid0(VALU_DEP_1) | instskip(NEXT) | instid1(VALU_DEP_1)
	v_dual_fma_f32 v0, v46, v44, -v0 :: v_dual_fmac_f32 v27, v47, v44
	v_dual_add_f32 v44, 0, v0 :: v_dual_add_f32 v45, 0, v27
	s_and_saveexec_b32 s19, s14
	s_cbranch_execnz .LBB159_1084
; %bb.175:                              ;   in Loop: Header=BB159_3 Depth=1
	s_or_b32 exec_lo, exec_lo, s19
	s_and_saveexec_b32 s19, s15
	s_cbranch_execnz .LBB159_1085
.LBB159_176:                            ;   in Loop: Header=BB159_3 Depth=1
	s_or_b32 exec_lo, exec_lo, s19
	s_and_saveexec_b32 s19, s3
	s_cbranch_execz .LBB159_178
.LBB159_177:                            ;   in Loop: Header=BB159_3 Depth=1
	ds_load_b64 v[46:47], v80 offset:28544
	ds_load_b64 v[48:49], v1 offset:28600
	s_wait_dscnt 0x0
	v_pk_mul_f32 v[100:101], v[48:49], v[46:47] op_sel:[1,1] op_sel_hi:[0,1]
	s_delay_alu instid0(VALU_DEP_1) | instskip(SKIP_1) | instid1(VALU_DEP_2)
	v_pk_fma_f32 v[102:103], v[48:49], v[46:47], v[100:101] op_sel_hi:[1,0,1]
	v_pk_fma_f32 v[46:47], v[48:49], v[46:47], v[100:101] neg_lo:[0,0,1] neg_hi:[0,0,1]
	v_mov_b32_e32 v47, v103
	s_delay_alu instid0(VALU_DEP_1)
	v_pk_add_f32 v[44:45], v[44:45], v[46:47]
.LBB159_178:                            ;   in Loop: Header=BB159_3 Depth=1
	s_or_b32 exec_lo, exec_lo, s19
.LBB159_179:                            ;   in Loop: Header=BB159_3 Depth=1
	s_delay_alu instid0(SALU_CYCLE_1)
	s_or_b32 exec_lo, exec_lo, s12
	s_and_saveexec_b32 s12, s93
; %bb.180:                              ;   in Loop: Header=BB159_3 Depth=1
	s_delay_alu instid0(VALU_DEP_1)
	v_pk_add_f32 v[46:47], v[44:45], 0 neg_lo:[1,1] neg_hi:[1,1]
	ds_store_b64 v57, v[46:47]
; %bb.181:                              ;   in Loop: Header=BB159_3 Depth=1
	s_or_b32 exec_lo, exec_lo, s12
	s_wait_loadcnt_dscnt 0x0
	s_barrier_signal -1
	s_barrier_wait -1
	s_and_saveexec_b32 s12, s94
	s_cbranch_execz .LBB159_183
; %bb.182:                              ;   in Loop: Header=BB159_3 Depth=1
	ds_load_b64 v[46:47], v58 offset:26496
	ds_load_b64 v[48:49], v57
	s_wait_dscnt 0x0
	v_pk_mul_f32 v[100:101], v[48:49], v[46:47] op_sel:[1,1] op_sel_hi:[0,1]
	s_delay_alu instid0(VALU_DEP_1) | instskip(SKIP_1) | instid1(VALU_DEP_2)
	v_pk_fma_f32 v[102:103], v[48:49], v[46:47], v[100:101] op_sel_hi:[1,0,1]
	v_pk_fma_f32 v[46:47], v[48:49], v[46:47], v[100:101] neg_lo:[0,0,1] neg_hi:[0,0,1]
	v_mov_b32_e32 v47, v103
	s_delay_alu instid0(VALU_DEP_1)
	v_pk_add_f32 v[44:45], v[44:45], v[46:47] neg_lo:[0,1] neg_hi:[0,1]
.LBB159_183:                            ;   in Loop: Header=BB159_3 Depth=1
	s_or_b32 exec_lo, exec_lo, s12
	s_barrier_signal -1
	s_barrier_wait -1
	s_and_saveexec_b32 s12, s95
; %bb.184:                              ;   in Loop: Header=BB159_3 Depth=1
	v_pk_add_f32 v[46:47], v[44:45], 0 neg_lo:[1,1] neg_hi:[1,1]
	ds_store_b64 v57, v[46:47]
; %bb.185:                              ;   in Loop: Header=BB159_3 Depth=1
	s_or_b32 exec_lo, exec_lo, s12
	s_wait_dscnt 0x0
	s_barrier_signal -1
	s_barrier_wait -1
	s_and_saveexec_b32 s12, s96
	s_cbranch_execz .LBB159_187
; %bb.186:                              ;   in Loop: Header=BB159_3 Depth=1
	ds_load_b64 v[46:47], v58 offset:25984
	ds_load_b64 v[48:49], v57
	s_wait_dscnt 0x0
	v_pk_mul_f32 v[100:101], v[48:49], v[46:47] op_sel:[1,1] op_sel_hi:[0,1]
	s_delay_alu instid0(VALU_DEP_1) | instskip(SKIP_1) | instid1(VALU_DEP_2)
	v_pk_fma_f32 v[102:103], v[48:49], v[46:47], v[100:101] op_sel_hi:[1,0,1]
	v_pk_fma_f32 v[46:47], v[48:49], v[46:47], v[100:101] neg_lo:[0,0,1] neg_hi:[0,0,1]
	v_mov_b32_e32 v47, v103
	s_delay_alu instid0(VALU_DEP_1)
	v_pk_add_f32 v[44:45], v[44:45], v[46:47] neg_lo:[0,1] neg_hi:[0,1]
.LBB159_187:                            ;   in Loop: Header=BB159_3 Depth=1
	s_or_b32 exec_lo, exec_lo, s12
	s_barrier_signal -1
	s_barrier_wait -1
	s_and_saveexec_b32 s12, s97
; %bb.188:                              ;   in Loop: Header=BB159_3 Depth=1
	v_pk_add_f32 v[46:47], v[44:45], 0 neg_lo:[1,1] neg_hi:[1,1]
	ds_store_b64 v57, v[46:47]
; %bb.189:                              ;   in Loop: Header=BB159_3 Depth=1
	s_or_b32 exec_lo, exec_lo, s12
	s_wait_dscnt 0x0
	;; [unrolled: 26-line block ×3, first 2 shown]
	s_barrier_signal -1
	s_barrier_wait -1
	s_barrier_signal -1
	s_barrier_wait -1
	s_and_saveexec_b32 s12, s5
; %bb.194:                              ;   in Loop: Header=BB159_3 Depth=1
	ds_store_b64 v62, v[44:45] offset:28544
; %bb.195:                              ;   in Loop: Header=BB159_3 Depth=1
	s_or_b32 exec_lo, exec_lo, s12
	s_wait_dscnt 0x0
	s_barrier_signal -1
	s_barrier_wait -1
	s_barrier_signal -1
	s_barrier_wait -1
	s_and_saveexec_b32 s12, s99
	s_cbranch_execz .LBB159_197
; %bb.196:                              ;   in Loop: Header=BB159_3 Depth=1
	ds_load_b64 v[44:45], v81 offset:27008
	s_wait_dscnt 0x0
	ds_store_b64 v83, v[44:45] offset:24992
	ds_load_b64 v[44:45], v81 offset:27016
	s_wait_dscnt 0x0
	ds_store_b64 v83, v[44:45] offset:25504
	;; [unrolled: 3-line block ×4, first 2 shown]
.LBB159_197:                            ;   in Loop: Header=BB159_3 Depth=1
	s_or_b32 exec_lo, exec_lo, s12
	s_wait_dscnt 0x0
	s_barrier_signal -1
	s_barrier_wait -1
	s_and_saveexec_b32 s12, s10
	s_cbranch_execz .LBB159_199
; %bb.198:                              ;   in Loop: Header=BB159_3 Depth=1
	ds_load_b64 v[44:45], v1 offset:26512
	v_add_nc_u32_e64 v0, 0x6000, 0
	ds_store_b64 v1, v[30:31] offset:26520
	s_wait_dscnt 0x1
	ds_store_2addr_b64 v0, v[30:31], v[44:45] offset0:178 offset1:179
.LBB159_199:                            ;   in Loop: Header=BB159_3 Depth=1
	s_or_b32 exec_lo, exec_lo, s12
	v_dual_mov_b32 v44, 0 :: v_dual_mov_b32 v45, 0
	s_wait_dscnt 0x0
	s_barrier_signal -1
	s_barrier_wait -1
	global_wb scope:SCOPE_DEV
	s_wait_storecnt 0x0
	global_inv scope:SCOPE_DEV
	s_and_saveexec_b32 s12, s3
	s_cbranch_execz .LBB159_203
; %bb.200:                              ;   in Loop: Header=BB159_3 Depth=1
	ds_load_b64 v[44:45], v52 offset:25984
	ds_load_b64 v[46:47], v53 offset:26512
	s_wait_dscnt 0x0
	v_pk_mul_f32 v[48:49], v[46:47], v[44:45] op_sel:[1,1] op_sel_hi:[0,1]
	s_delay_alu instid0(VALU_DEP_1) | instskip(SKIP_1) | instid1(VALU_DEP_2)
	v_pk_fma_f32 v[100:101], v[46:47], v[44:45], v[48:49] op_sel_hi:[1,0,1]
	v_pk_fma_f32 v[44:45], v[46:47], v[44:45], v[48:49] neg_lo:[0,0,1] neg_hi:[0,0,1]
	v_mov_b32_e32 v45, v101
	s_delay_alu instid0(VALU_DEP_1)
	v_pk_add_f32 v[44:45], v[44:45], 0 op_sel_hi:[1,0]
	s_and_saveexec_b32 s19, s13
	s_cbranch_execz .LBB159_202
; %bb.201:                              ;   in Loop: Header=BB159_3 Depth=1
	ds_load_b64 v[46:47], v83 offset:26496
	ds_load_b64 v[48:49], v1 offset:26520
	s_wait_dscnt 0x0
	v_pk_mul_f32 v[100:101], v[48:49], v[46:47] op_sel:[1,1] op_sel_hi:[0,1]
	s_delay_alu instid0(VALU_DEP_1) | instskip(SKIP_1) | instid1(VALU_DEP_2)
	v_pk_fma_f32 v[102:103], v[48:49], v[46:47], v[100:101] op_sel_hi:[1,0,1]
	v_pk_fma_f32 v[46:47], v[48:49], v[46:47], v[100:101] neg_lo:[0,0,1] neg_hi:[0,0,1]
	v_mov_b32_e32 v47, v103
	s_delay_alu instid0(VALU_DEP_1)
	v_pk_add_f32 v[44:45], v[44:45], v[46:47]
.LBB159_202:                            ;   in Loop: Header=BB159_3 Depth=1
	s_or_b32 exec_lo, exec_lo, s19
.LBB159_203:                            ;   in Loop: Header=BB159_3 Depth=1
	s_delay_alu instid0(SALU_CYCLE_1)
	s_or_b32 exec_lo, exec_lo, s12
	s_and_saveexec_b32 s12, s90
; %bb.204:                              ;   in Loop: Header=BB159_3 Depth=1
	s_delay_alu instid0(VALU_DEP_1)
	v_pk_add_f32 v[46:47], v[44:45], 0 neg_lo:[1,1] neg_hi:[1,1]
	ds_store_b64 v51, v[46:47]
; %bb.205:                              ;   in Loop: Header=BB159_3 Depth=1
	s_or_b32 exec_lo, exec_lo, s12
	s_wait_loadcnt_dscnt 0x0
	s_barrier_signal -1
	s_barrier_wait -1
	s_and_saveexec_b32 s12, s91
	s_cbranch_execz .LBB159_207
; %bb.206:                              ;   in Loop: Header=BB159_3 Depth=1
	ds_load_b64 v[46:47], v1 offset:25472
	ds_load_b64 v[48:49], v51
	s_wait_dscnt 0x0
	v_pk_mul_f32 v[100:101], v[48:49], v[46:47] op_sel_hi:[1,0]
	s_delay_alu instid0(VALU_DEP_1) | instskip(SKIP_1) | instid1(VALU_DEP_2)
	v_pk_fma_f32 v[102:103], v[48:49], v[46:47], v[100:101] op_sel:[1,1,0] op_sel_hi:[0,1,1]
	v_pk_fma_f32 v[46:47], v[48:49], v[46:47], v[100:101] op_sel:[1,1,0] op_sel_hi:[0,1,1] neg_lo:[0,0,1] neg_hi:[0,0,1]
	v_pk_add_f32 v[48:49], v[44:45], v[102:103] neg_lo:[0,1] neg_hi:[0,1]
	s_delay_alu instid0(VALU_DEP_2) | instskip(NEXT) | instid1(VALU_DEP_2)
	v_pk_add_f32 v[44:45], v[44:45], v[46:47]
	v_mov_b32_e32 v45, v49
.LBB159_207:                            ;   in Loop: Header=BB159_3 Depth=1
	s_or_b32 exec_lo, exec_lo, s12
	s_barrier_signal -1
	s_barrier_wait -1
	s_and_saveexec_b32 s12, s91
; %bb.208:                              ;   in Loop: Header=BB159_3 Depth=1
	v_pk_add_f32 v[46:47], v[44:45], 0 neg_lo:[1,1] neg_hi:[1,1]
	ds_store_b64 v51, v[46:47]
; %bb.209:                              ;   in Loop: Header=BB159_3 Depth=1
	s_or_b32 exec_lo, exec_lo, s12
	s_wait_dscnt 0x0
	s_barrier_signal -1
	s_barrier_wait -1
	s_barrier_signal -1
	s_barrier_wait -1
	s_and_saveexec_b32 s12, s3
; %bb.210:                              ;   in Loop: Header=BB159_3 Depth=1
	ds_store_b64 v55, v[44:45] offset:26496
; %bb.211:                              ;   in Loop: Header=BB159_3 Depth=1
	s_or_b32 exec_lo, exec_lo, s12
	s_wait_dscnt 0x0
	s_barrier_signal -1
	s_barrier_wait -1
	s_barrier_signal -1
	s_barrier_wait -1
	s_and_saveexec_b32 s12, s92
	s_cbranch_execz .LBB159_213
; %bb.212:                              ;   in Loop: Header=BB159_3 Depth=1
	ds_load_b64 v[44:45], v85 offset:25984
	s_wait_dscnt 0x0
	ds_store_b64 v83, v[44:45] offset:24976
	ds_load_b64 v[44:45], v85 offset:25992
	s_wait_dscnt 0x0
	ds_store_b64 v83, v[44:45] offset:25488
.LBB159_213:                            ;   in Loop: Header=BB159_3 Depth=1
	s_or_b32 exec_lo, exec_lo, s12
	s_wait_dscnt 0x0
	s_barrier_signal -1
	s_barrier_wait -1
	s_and_saveexec_b32 s12, s10
	s_cbranch_execz .LBB159_215
; %bb.214:                              ;   in Loop: Header=BB159_3 Depth=1
	ds_load_b64 v[44:45], v1 offset:25472
	v_add_nc_u32_e64 v0, 0x6000, 0
	ds_store_b64 v1, v[30:31] offset:25480
	s_wait_dscnt 0x1
	ds_store_2addr_b64 v0, v[30:31], v[44:45] offset0:48 offset1:49
.LBB159_215:                            ;   in Loop: Header=BB159_3 Depth=1
	s_or_b32 exec_lo, exec_lo, s12
	v_mov_b64_e32 v[44:45], 0
	s_wait_dscnt 0x0
	s_barrier_signal -1
	s_barrier_wait -1
	global_wb scope:SCOPE_DEV
	s_wait_storecnt 0x0
	global_inv scope:SCOPE_DEV
	s_and_saveexec_b32 s61, s7
	s_cbranch_execz .LBB159_243
; %bb.216:                              ;   in Loop: Header=BB159_3 Depth=1
	ds_load_b64 v[44:45], v72 offset:24832
	ds_load_b64 v[46:47], v73 offset:32640
	s_wait_dscnt 0x0
	v_dual_mul_f32 v0, v47, v45 :: v_dual_mul_f32 v27, v46, v45
	s_delay_alu instid0(VALU_DEP_1) | instskip(NEXT) | instid1(VALU_DEP_1)
	v_dual_fma_f32 v0, v46, v44, -v0 :: v_dual_fmac_f32 v27, v47, v44
	v_dual_add_f32 v44, 0, v0 :: v_dual_add_f32 v45, 0, v27
	s_mov_b32 s12, exec_lo
	v_readlane_b32 s19, v109, 23
	s_and_b32 s19, s12, s19
	s_delay_alu instid0(SALU_CYCLE_1)
	s_mov_b32 exec_lo, s19
	s_cbranch_execz .LBB159_218
; %bb.217:                              ;   in Loop: Header=BB159_3 Depth=1
	ds_load_b64 v[46:47], v72 offset:25344
	ds_load_b64 v[48:49], v73 offset:32648
	s_wait_dscnt 0x0
	v_dual_mul_f32 v0, v49, v47 :: v_dual_mul_f32 v27, v48, v47
	s_delay_alu instid0(VALU_DEP_1) | instskip(NEXT) | instid1(VALU_DEP_1)
	v_dual_fma_f32 v0, v48, v46, -v0 :: v_dual_fmac_f32 v27, v49, v46
	v_dual_add_f32 v44, v44, v0 :: v_dual_add_f32 v45, v45, v27
.LBB159_218:                            ;   in Loop: Header=BB159_3 Depth=1
	s_or_b32 exec_lo, exec_lo, s12
	s_delay_alu instid0(SALU_CYCLE_1) | instskip(SKIP_2) | instid1(SALU_CYCLE_1)
	s_mov_b32 s12, exec_lo
	v_readlane_b32 s19, v109, 24
	s_and_b32 s19, s12, s19
	s_mov_b32 exec_lo, s19
	s_cbranch_execz .LBB159_220
; %bb.219:                              ;   in Loop: Header=BB159_3 Depth=1
	ds_load_b64 v[46:47], v72 offset:25856
	ds_load_b64 v[48:49], v73 offset:32656
	s_wait_dscnt 0x0
	v_dual_mul_f32 v0, v49, v47 :: v_dual_mul_f32 v27, v48, v47
	s_delay_alu instid0(VALU_DEP_1) | instskip(NEXT) | instid1(VALU_DEP_1)
	v_dual_fma_f32 v0, v48, v46, -v0 :: v_dual_fmac_f32 v27, v49, v46
	v_dual_add_f32 v44, v44, v0 :: v_dual_add_f32 v45, v45, v27
.LBB159_220:                            ;   in Loop: Header=BB159_3 Depth=1
	s_or_b32 exec_lo, exec_lo, s12
	s_delay_alu instid0(SALU_CYCLE_1) | instskip(SKIP_2) | instid1(SALU_CYCLE_1)
	s_mov_b32 s12, exec_lo
	v_readlane_b32 s19, v109, 25
	s_and_b32 s19, s12, s19
	;; [unrolled: 16-line block ×10, first 2 shown]
	s_mov_b32 exec_lo, s19
	s_cbranch_execnz .LBB159_1086
; %bb.237:                              ;   in Loop: Header=BB159_3 Depth=1
	s_or_b32 exec_lo, exec_lo, s12
	s_and_saveexec_b32 s12, s6
	s_cbranch_execnz .LBB159_1087
.LBB159_238:                            ;   in Loop: Header=BB159_3 Depth=1
	s_or_b32 exec_lo, exec_lo, s12
	s_and_saveexec_b32 s12, s17
	s_cbranch_execnz .LBB159_1088
.LBB159_239:                            ;   in Loop: Header=BB159_3 Depth=1
	s_or_b32 exec_lo, exec_lo, s12
	s_and_saveexec_b32 s12, s20
	s_cbranch_execnz .LBB159_1089
.LBB159_240:                            ;   in Loop: Header=BB159_3 Depth=1
	s_or_b32 exec_lo, exec_lo, s12
	s_and_saveexec_b32 s12, s5
	s_cbranch_execz .LBB159_242
.LBB159_241:                            ;   in Loop: Header=BB159_3 Depth=1
	ds_load_b64 v[46:47], v54 offset:32512
	ds_load_b64 v[48:49], v1 offset:32760
	s_wait_dscnt 0x0
	v_pk_mul_f32 v[100:101], v[48:49], v[46:47] op_sel:[1,1] op_sel_hi:[0,1]
	s_delay_alu instid0(VALU_DEP_1) | instskip(SKIP_1) | instid1(VALU_DEP_2)
	v_pk_fma_f32 v[102:103], v[48:49], v[46:47], v[100:101] op_sel_hi:[1,0,1]
	v_pk_fma_f32 v[46:47], v[48:49], v[46:47], v[100:101] neg_lo:[0,0,1] neg_hi:[0,0,1]
	v_mov_b32_e32 v47, v103
	s_delay_alu instid0(VALU_DEP_1)
	v_pk_add_f32 v[44:45], v[44:45], v[46:47]
.LBB159_242:                            ;   in Loop: Header=BB159_3 Depth=1
	s_or_b32 exec_lo, exec_lo, s12
.LBB159_243:                            ;   in Loop: Header=BB159_3 Depth=1
	s_delay_alu instid0(SALU_CYCLE_1) | instskip(NEXT) | instid1(SALU_CYCLE_1)
	s_or_b32 exec_lo, exec_lo, s61
	s_mov_b32 s12, exec_lo
	v_readlane_b32 s19, v109, 1
	s_and_b32 s19, s12, s19
	s_delay_alu instid0(SALU_CYCLE_1)
	s_mov_b32 exec_lo, s19
; %bb.244:                              ;   in Loop: Header=BB159_3 Depth=1
	v_pk_add_f32 v[46:47], v[44:45], 0 neg_lo:[1,1] neg_hi:[1,1]
	ds_store_b64 v71, v[46:47]
; %bb.245:                              ;   in Loop: Header=BB159_3 Depth=1
	s_or_b32 exec_lo, exec_lo, s12
	s_wait_loadcnt_dscnt 0x0
	s_barrier_signal -1
	s_barrier_wait -1
	s_mov_b32 s12, exec_lo
	v_readlane_b32 s19, v109, 2
	s_and_b32 s19, s12, s19
	s_delay_alu instid0(SALU_CYCLE_1)
	s_mov_b32 exec_lo, s19
	s_cbranch_execz .LBB159_247
; %bb.246:                              ;   in Loop: Header=BB159_3 Depth=1
	ds_load_b64 v[46:47], v72 offset:24320
	ds_load_b64 v[48:49], v71
	s_wait_dscnt 0x0
	v_pk_mul_f32 v[100:101], v[48:49], v[46:47] op_sel:[1,1] op_sel_hi:[0,1]
	s_delay_alu instid0(VALU_DEP_1) | instskip(SKIP_1) | instid1(VALU_DEP_2)
	v_pk_fma_f32 v[102:103], v[48:49], v[46:47], v[100:101] op_sel_hi:[1,0,1]
	v_pk_fma_f32 v[46:47], v[48:49], v[46:47], v[100:101] neg_lo:[0,0,1] neg_hi:[0,0,1]
	v_mov_b32_e32 v47, v103
	s_delay_alu instid0(VALU_DEP_1)
	v_pk_add_f32 v[44:45], v[44:45], v[46:47] neg_lo:[0,1] neg_hi:[0,1]
.LBB159_247:                            ;   in Loop: Header=BB159_3 Depth=1
	s_or_b32 exec_lo, exec_lo, s12
	s_barrier_signal -1
	s_barrier_wait -1
	s_mov_b32 s12, exec_lo
	v_readlane_b32 s19, v109, 3
	s_and_b32 s19, s12, s19
	s_delay_alu instid0(SALU_CYCLE_1)
	s_mov_b32 exec_lo, s19
; %bb.248:                              ;   in Loop: Header=BB159_3 Depth=1
	v_pk_add_f32 v[46:47], v[44:45], 0 neg_lo:[1,1] neg_hi:[1,1]
	ds_store_b64 v71, v[46:47]
; %bb.249:                              ;   in Loop: Header=BB159_3 Depth=1
	s_or_b32 exec_lo, exec_lo, s12
	s_wait_dscnt 0x0
	s_barrier_signal -1
	s_barrier_wait -1
	s_mov_b32 s12, exec_lo
	v_readlane_b32 s19, v109, 4
	s_and_b32 s19, s12, s19
	s_delay_alu instid0(SALU_CYCLE_1)
	s_mov_b32 exec_lo, s19
	s_cbranch_execz .LBB159_251
; %bb.250:                              ;   in Loop: Header=BB159_3 Depth=1
	ds_load_b64 v[46:47], v72 offset:23808
	ds_load_b64 v[48:49], v71
	s_wait_dscnt 0x0
	v_pk_mul_f32 v[100:101], v[48:49], v[46:47] op_sel:[1,1] op_sel_hi:[0,1]
	s_delay_alu instid0(VALU_DEP_1) | instskip(SKIP_1) | instid1(VALU_DEP_2)
	v_pk_fma_f32 v[102:103], v[48:49], v[46:47], v[100:101] op_sel_hi:[1,0,1]
	v_pk_fma_f32 v[46:47], v[48:49], v[46:47], v[100:101] neg_lo:[0,0,1] neg_hi:[0,0,1]
	v_mov_b32_e32 v47, v103
	s_delay_alu instid0(VALU_DEP_1)
	v_pk_add_f32 v[44:45], v[44:45], v[46:47] neg_lo:[0,1] neg_hi:[0,1]
.LBB159_251:                            ;   in Loop: Header=BB159_3 Depth=1
	s_or_b32 exec_lo, exec_lo, s12
	s_barrier_signal -1
	s_barrier_wait -1
	s_mov_b32 s12, exec_lo
	v_readlane_b32 s19, v109, 5
	s_and_b32 s19, s12, s19
	s_delay_alu instid0(SALU_CYCLE_1)
	s_mov_b32 exec_lo, s19
; %bb.252:                              ;   in Loop: Header=BB159_3 Depth=1
	v_pk_add_f32 v[46:47], v[44:45], 0 neg_lo:[1,1] neg_hi:[1,1]
	ds_store_b64 v71, v[46:47]
; %bb.253:                              ;   in Loop: Header=BB159_3 Depth=1
	s_or_b32 exec_lo, exec_lo, s12
	s_wait_dscnt 0x0
	s_barrier_signal -1
	s_barrier_wait -1
	s_and_saveexec_b32 s12, s52
	s_cbranch_execz .LBB159_255
; %bb.254:                              ;   in Loop: Header=BB159_3 Depth=1
	ds_load_b64 v[46:47], v72 offset:23296
	ds_load_b64 v[48:49], v71
	s_wait_dscnt 0x0
	v_pk_mul_f32 v[100:101], v[48:49], v[46:47] op_sel:[1,1] op_sel_hi:[0,1]
	s_delay_alu instid0(VALU_DEP_1) | instskip(SKIP_1) | instid1(VALU_DEP_2)
	v_pk_fma_f32 v[102:103], v[48:49], v[46:47], v[100:101] op_sel_hi:[1,0,1]
	v_pk_fma_f32 v[46:47], v[48:49], v[46:47], v[100:101] neg_lo:[0,0,1] neg_hi:[0,0,1]
	v_mov_b32_e32 v47, v103
	s_delay_alu instid0(VALU_DEP_1)
	v_pk_add_f32 v[44:45], v[44:45], v[46:47] neg_lo:[0,1] neg_hi:[0,1]
.LBB159_255:                            ;   in Loop: Header=BB159_3 Depth=1
	s_or_b32 exec_lo, exec_lo, s12
	s_barrier_signal -1
	s_barrier_wait -1
	s_and_saveexec_b32 s12, s53
; %bb.256:                              ;   in Loop: Header=BB159_3 Depth=1
	v_pk_add_f32 v[46:47], v[44:45], 0 neg_lo:[1,1] neg_hi:[1,1]
	ds_store_b64 v71, v[46:47]
; %bb.257:                              ;   in Loop: Header=BB159_3 Depth=1
	s_or_b32 exec_lo, exec_lo, s12
	s_wait_dscnt 0x0
	s_barrier_signal -1
	s_barrier_wait -1
	s_and_saveexec_b32 s12, s54
	s_cbranch_execz .LBB159_259
; %bb.258:                              ;   in Loop: Header=BB159_3 Depth=1
	ds_load_b64 v[46:47], v72 offset:22784
	ds_load_b64 v[48:49], v71
	s_wait_dscnt 0x0
	v_dual_mul_f32 v0, v49, v47 :: v_dual_mul_f32 v27, v48, v47
	s_delay_alu instid0(VALU_DEP_1) | instskip(NEXT) | instid1(VALU_DEP_1)
	v_dual_fma_f32 v0, v48, v46, -v0 :: v_dual_fmac_f32 v27, v49, v46
	v_dual_sub_f32 v44, v44, v0 :: v_dual_sub_f32 v45, v45, v27
.LBB159_259:                            ;   in Loop: Header=BB159_3 Depth=1
	s_or_b32 exec_lo, exec_lo, s12
	s_barrier_signal -1
	s_barrier_wait -1
	s_and_saveexec_b32 s12, s55
; %bb.260:                              ;   in Loop: Header=BB159_3 Depth=1
	v_pk_add_f32 v[46:47], v[44:45], 0 neg_lo:[1,1] neg_hi:[1,1]
	ds_store_b64 v71, v[46:47]
; %bb.261:                              ;   in Loop: Header=BB159_3 Depth=1
	s_or_b32 exec_lo, exec_lo, s12
	s_wait_dscnt 0x0
	s_barrier_signal -1
	s_barrier_wait -1
	s_and_saveexec_b32 s12, s56
	s_cbranch_execz .LBB159_263
; %bb.262:                              ;   in Loop: Header=BB159_3 Depth=1
	ds_load_b64 v[46:47], v72 offset:22272
	ds_load_b64 v[48:49], v71
	s_wait_dscnt 0x0
	v_dual_mul_f32 v0, v49, v47 :: v_dual_mul_f32 v101, v48, v47
	s_delay_alu instid0(VALU_DEP_1) | instskip(NEXT) | instid1(VALU_DEP_1)
	v_dual_fma_f32 v100, v48, v46, -v0 :: v_dual_fmac_f32 v101, v49, v46
	v_pk_add_f32 v[44:45], v[44:45], v[100:101] neg_lo:[0,1] neg_hi:[0,1]
.LBB159_263:                            ;   in Loop: Header=BB159_3 Depth=1
	s_or_b32 exec_lo, exec_lo, s12
	s_barrier_signal -1
	s_barrier_wait -1
	s_and_saveexec_b32 s12, s57
; %bb.264:                              ;   in Loop: Header=BB159_3 Depth=1
	v_pk_add_f32 v[46:47], v[44:45], 0 neg_lo:[1,1] neg_hi:[1,1]
	ds_store_b64 v71, v[46:47]
; %bb.265:                              ;   in Loop: Header=BB159_3 Depth=1
	s_or_b32 exec_lo, exec_lo, s12
	s_wait_dscnt 0x0
	s_barrier_signal -1
	s_barrier_wait -1
	s_and_saveexec_b32 s12, s58
	s_cbranch_execz .LBB159_267
; %bb.266:                              ;   in Loop: Header=BB159_3 Depth=1
	ds_load_b64 v[46:47], v72 offset:21760
	ds_load_b64 v[48:49], v71
	s_wait_dscnt 0x0
	v_pk_mul_f32 v[100:101], v[48:49], v[46:47] op_sel:[1,1] op_sel_hi:[0,1]
	s_delay_alu instid0(VALU_DEP_1) | instskip(SKIP_1) | instid1(VALU_DEP_2)
	v_pk_fma_f32 v[102:103], v[48:49], v[46:47], v[100:101] op_sel_hi:[1,0,1]
	v_pk_fma_f32 v[46:47], v[48:49], v[46:47], v[100:101] neg_lo:[0,0,1] neg_hi:[0,0,1]
	v_mov_b32_e32 v47, v103
	s_delay_alu instid0(VALU_DEP_1)
	v_pk_add_f32 v[44:45], v[44:45], v[46:47] neg_lo:[0,1] neg_hi:[0,1]
.LBB159_267:                            ;   in Loop: Header=BB159_3 Depth=1
	s_or_b32 exec_lo, exec_lo, s12
	s_barrier_signal -1
	s_barrier_wait -1
	s_and_saveexec_b32 s12, s59
; %bb.268:                              ;   in Loop: Header=BB159_3 Depth=1
	v_pk_add_f32 v[46:47], v[44:45], 0 neg_lo:[1,1] neg_hi:[1,1]
	ds_store_b64 v71, v[46:47]
; %bb.269:                              ;   in Loop: Header=BB159_3 Depth=1
	s_or_b32 exec_lo, exec_lo, s12
	s_wait_dscnt 0x0
	s_barrier_signal -1
	s_barrier_wait -1
	s_and_saveexec_b32 s12, s60
	s_cbranch_execz .LBB159_271
; %bb.270:                              ;   in Loop: Header=BB159_3 Depth=1
	ds_load_b64 v[46:47], v72 offset:21248
	ds_load_b64 v[48:49], v71
	s_wait_dscnt 0x0
	v_pk_mul_f32 v[100:101], v[48:49], v[46:47] op_sel:[1,1] op_sel_hi:[0,1]
	s_delay_alu instid0(VALU_DEP_1) | instskip(SKIP_1) | instid1(VALU_DEP_2)
	v_pk_fma_f32 v[102:103], v[48:49], v[46:47], v[100:101] op_sel_hi:[1,0,1]
	v_pk_fma_f32 v[46:47], v[48:49], v[46:47], v[100:101] neg_lo:[0,0,1] neg_hi:[0,0,1]
	v_mov_b32_e32 v47, v103
	s_delay_alu instid0(VALU_DEP_1)
	v_pk_add_f32 v[44:45], v[44:45], v[46:47] neg_lo:[0,1] neg_hi:[0,1]
.LBB159_271:                            ;   in Loop: Header=BB159_3 Depth=1
	;; [unrolled: 26-line block ×4, first 2 shown]
	s_or_b32 exec_lo, exec_lo, s12
	s_barrier_signal -1
	s_barrier_wait -1
	s_and_saveexec_b32 s12, s30
; %bb.280:                              ;   in Loop: Header=BB159_3 Depth=1
	v_pk_add_f32 v[46:47], v[44:45], 0 neg_lo:[1,1] neg_hi:[1,1]
	ds_store_b64 v71, v[46:47]
; %bb.281:                              ;   in Loop: Header=BB159_3 Depth=1
	s_or_b32 exec_lo, exec_lo, s12
	s_wait_dscnt 0x0
	s_barrier_signal -1
	s_barrier_wait -1
	s_and_saveexec_b32 s12, s33
	s_cbranch_execz .LBB159_283
; %bb.282:                              ;   in Loop: Header=BB159_3 Depth=1
	ds_load_b64 v[46:47], v72 offset:19712
	ds_load_b64 v[48:49], v71
	s_wait_dscnt 0x0
	v_dual_mul_f32 v0, v49, v47 :: v_dual_mul_f32 v27, v48, v47
	s_delay_alu instid0(VALU_DEP_1) | instskip(NEXT) | instid1(VALU_DEP_1)
	v_dual_fma_f32 v0, v48, v46, -v0 :: v_dual_fmac_f32 v27, v49, v46
	v_dual_sub_f32 v44, v44, v0 :: v_dual_sub_f32 v45, v45, v27
.LBB159_283:                            ;   in Loop: Header=BB159_3 Depth=1
	s_or_b32 exec_lo, exec_lo, s12
	s_barrier_signal -1
	s_barrier_wait -1
	s_and_saveexec_b32 s12, s47
; %bb.284:                              ;   in Loop: Header=BB159_3 Depth=1
	v_pk_add_f32 v[46:47], v[44:45], 0 neg_lo:[1,1] neg_hi:[1,1]
	ds_store_b64 v71, v[46:47]
; %bb.285:                              ;   in Loop: Header=BB159_3 Depth=1
	s_or_b32 exec_lo, exec_lo, s12
	s_wait_dscnt 0x0
	s_barrier_signal -1
	s_barrier_wait -1
	s_and_saveexec_b32 s12, s78
	s_cbranch_execz .LBB159_287
; %bb.286:                              ;   in Loop: Header=BB159_3 Depth=1
	ds_load_b64 v[46:47], v72 offset:19200
	ds_load_b64 v[48:49], v71
	s_wait_dscnt 0x0
	v_dual_mul_f32 v0, v49, v47 :: v_dual_mul_f32 v101, v48, v47
	s_delay_alu instid0(VALU_DEP_1) | instskip(NEXT) | instid1(VALU_DEP_1)
	v_dual_fma_f32 v100, v48, v46, -v0 :: v_dual_fmac_f32 v101, v49, v46
	v_pk_add_f32 v[44:45], v[44:45], v[100:101] neg_lo:[0,1] neg_hi:[0,1]
.LBB159_287:                            ;   in Loop: Header=BB159_3 Depth=1
	s_or_b32 exec_lo, exec_lo, s12
	s_barrier_signal -1
	s_barrier_wait -1
	s_and_saveexec_b32 s12, s79
; %bb.288:                              ;   in Loop: Header=BB159_3 Depth=1
	v_pk_add_f32 v[46:47], v[44:45], 0 neg_lo:[1,1] neg_hi:[1,1]
	ds_store_b64 v71, v[46:47]
; %bb.289:                              ;   in Loop: Header=BB159_3 Depth=1
	s_or_b32 exec_lo, exec_lo, s12
	s_wait_dscnt 0x0
	s_barrier_signal -1
	s_barrier_wait -1
	s_and_saveexec_b32 s12, s72
	s_cbranch_execz .LBB159_291
; %bb.290:                              ;   in Loop: Header=BB159_3 Depth=1
	ds_load_b64 v[46:47], v72 offset:18688
	ds_load_b64 v[48:49], v71
	s_wait_dscnt 0x0
	v_pk_mul_f32 v[100:101], v[48:49], v[46:47] op_sel:[1,1] op_sel_hi:[0,1]
	s_delay_alu instid0(VALU_DEP_1) | instskip(SKIP_1) | instid1(VALU_DEP_2)
	v_pk_fma_f32 v[102:103], v[48:49], v[46:47], v[100:101] op_sel_hi:[1,0,1]
	v_pk_fma_f32 v[46:47], v[48:49], v[46:47], v[100:101] neg_lo:[0,0,1] neg_hi:[0,0,1]
	v_mov_b32_e32 v47, v103
	s_delay_alu instid0(VALU_DEP_1)
	v_pk_add_f32 v[44:45], v[44:45], v[46:47] neg_lo:[0,1] neg_hi:[0,1]
.LBB159_291:                            ;   in Loop: Header=BB159_3 Depth=1
	s_or_b32 exec_lo, exec_lo, s12
	s_barrier_signal -1
	s_barrier_wait -1
	s_and_saveexec_b32 s12, s73
; %bb.292:                              ;   in Loop: Header=BB159_3 Depth=1
	v_pk_add_f32 v[46:47], v[44:45], 0 neg_lo:[1,1] neg_hi:[1,1]
	ds_store_b64 v71, v[46:47]
; %bb.293:                              ;   in Loop: Header=BB159_3 Depth=1
	s_or_b32 exec_lo, exec_lo, s12
	s_wait_dscnt 0x0
	s_barrier_signal -1
	s_barrier_wait -1
	s_and_saveexec_b32 s12, s23
	s_cbranch_execz .LBB159_295
; %bb.294:                              ;   in Loop: Header=BB159_3 Depth=1
	ds_load_b64 v[46:47], v72 offset:18176
	ds_load_b64 v[48:49], v71
	s_wait_dscnt 0x0
	v_pk_mul_f32 v[100:101], v[48:49], v[46:47] op_sel:[1,1] op_sel_hi:[0,1]
	s_delay_alu instid0(VALU_DEP_1) | instskip(SKIP_1) | instid1(VALU_DEP_2)
	v_pk_fma_f32 v[102:103], v[48:49], v[46:47], v[100:101] op_sel_hi:[1,0,1]
	v_pk_fma_f32 v[46:47], v[48:49], v[46:47], v[100:101] neg_lo:[0,0,1] neg_hi:[0,0,1]
	v_mov_b32_e32 v47, v103
	s_delay_alu instid0(VALU_DEP_1)
	v_pk_add_f32 v[44:45], v[44:45], v[46:47] neg_lo:[0,1] neg_hi:[0,1]
.LBB159_295:                            ;   in Loop: Header=BB159_3 Depth=1
	;; [unrolled: 26-line block ×4, first 2 shown]
	s_or_b32 exec_lo, exec_lo, s12
	s_barrier_signal -1
	s_barrier_wait -1
	s_and_saveexec_b32 s12, s31
; %bb.304:                              ;   in Loop: Header=BB159_3 Depth=1
	v_pk_add_f32 v[46:47], v[44:45], 0 neg_lo:[1,1] neg_hi:[1,1]
	ds_store_b64 v71, v[46:47]
; %bb.305:                              ;   in Loop: Header=BB159_3 Depth=1
	s_or_b32 exec_lo, exec_lo, s12
	s_wait_dscnt 0x0
	s_barrier_signal -1
	s_barrier_wait -1
	s_barrier_signal -1
	s_barrier_wait -1
	s_and_saveexec_b32 s12, s7
; %bb.306:                              ;   in Loop: Header=BB159_3 Depth=1
	ds_store_b64 v75, v[44:45] offset:32512
; %bb.307:                              ;   in Loop: Header=BB159_3 Depth=1
	s_or_b32 exec_lo, exec_lo, s12
	s_wait_dscnt 0x0
	s_barrier_signal -1
	s_barrier_wait -1
	s_barrier_signal -1
	s_barrier_wait -1
	s_and_saveexec_b32 s12, s87
	s_cbranch_execz .LBB159_309
; %bb.308:                              ;   in Loop: Header=BB159_3 Depth=1
	ds_load_b64 v[44:45], v56 offset:24832
	s_wait_dscnt 0x0
	ds_store_b64 v60, v[44:45] offset:16768
	ds_load_b64 v[44:45], v56 offset:24840
	s_wait_dscnt 0x0
	ds_store_b64 v60, v[44:45] offset:17280
	;; [unrolled: 3-line block ×16, first 2 shown]
.LBB159_309:                            ;   in Loop: Header=BB159_3 Depth=1
	s_or_b32 exec_lo, exec_lo, s12
	s_wait_dscnt 0x0
	s_barrier_signal -1
	s_barrier_wait -1
	s_and_saveexec_b32 s12, s10
	s_cbranch_execz .LBB159_311
; %bb.310:                              ;   in Loop: Header=BB159_3 Depth=1
	ds_load_b64 v[44:45], v1 offset:24432
	v_add_nc_u32_e64 v0, 0x5800, 0
	ds_store_b64 v1, v[30:31] offset:24440
	s_wait_dscnt 0x1
	ds_store_2addr_b64 v0, v[30:31], v[44:45] offset0:174 offset1:175
.LBB159_311:                            ;   in Loop: Header=BB159_3 Depth=1
	s_or_b32 exec_lo, exec_lo, s12
	v_dual_mov_b32 v44, 0 :: v_dual_mov_b32 v45, 0
	s_wait_dscnt 0x0
	s_barrier_signal -1
	s_barrier_wait -1
	global_wb scope:SCOPE_DEV
	s_wait_storecnt 0x0
	global_inv scope:SCOPE_DEV
	s_and_saveexec_b32 s12, s3
	s_cbranch_execz .LBB159_315
; %bb.312:                              ;   in Loop: Header=BB159_3 Depth=1
	ds_load_b64 v[44:45], v52 offset:23904
	ds_load_b64 v[46:47], v53 offset:24432
	s_wait_dscnt 0x0
	v_pk_mul_f32 v[48:49], v[46:47], v[44:45] op_sel:[1,1] op_sel_hi:[0,1]
	s_delay_alu instid0(VALU_DEP_1) | instskip(SKIP_1) | instid1(VALU_DEP_2)
	v_pk_fma_f32 v[100:101], v[46:47], v[44:45], v[48:49] op_sel_hi:[1,0,1]
	v_pk_fma_f32 v[44:45], v[46:47], v[44:45], v[48:49] neg_lo:[0,0,1] neg_hi:[0,0,1]
	v_mov_b32_e32 v45, v101
	s_delay_alu instid0(VALU_DEP_1)
	v_pk_add_f32 v[44:45], v[44:45], 0 op_sel_hi:[1,0]
	s_and_saveexec_b32 s19, s13
	s_cbranch_execz .LBB159_314
; %bb.313:                              ;   in Loop: Header=BB159_3 Depth=1
	ds_load_b64 v[46:47], v54 offset:24416
	ds_load_b64 v[48:49], v1 offset:24440
	s_wait_dscnt 0x0
	v_pk_mul_f32 v[100:101], v[48:49], v[46:47] op_sel:[1,1] op_sel_hi:[0,1]
	s_delay_alu instid0(VALU_DEP_1) | instskip(SKIP_1) | instid1(VALU_DEP_2)
	v_pk_fma_f32 v[102:103], v[48:49], v[46:47], v[100:101] op_sel_hi:[1,0,1]
	v_pk_fma_f32 v[46:47], v[48:49], v[46:47], v[100:101] neg_lo:[0,0,1] neg_hi:[0,0,1]
	v_mov_b32_e32 v47, v103
	s_delay_alu instid0(VALU_DEP_1)
	v_pk_add_f32 v[44:45], v[44:45], v[46:47]
.LBB159_314:                            ;   in Loop: Header=BB159_3 Depth=1
	s_or_b32 exec_lo, exec_lo, s19
.LBB159_315:                            ;   in Loop: Header=BB159_3 Depth=1
	s_delay_alu instid0(SALU_CYCLE_1)
	s_or_b32 exec_lo, exec_lo, s12
	s_and_saveexec_b32 s12, s90
; %bb.316:                              ;   in Loop: Header=BB159_3 Depth=1
	s_delay_alu instid0(VALU_DEP_1)
	v_pk_add_f32 v[46:47], v[44:45], 0 neg_lo:[1,1] neg_hi:[1,1]
	ds_store_b64 v51, v[46:47]
; %bb.317:                              ;   in Loop: Header=BB159_3 Depth=1
	s_or_b32 exec_lo, exec_lo, s12
	s_wait_loadcnt_dscnt 0x0
	s_barrier_signal -1
	s_barrier_wait -1
	s_and_saveexec_b32 s12, s91
	s_cbranch_execz .LBB159_319
; %bb.318:                              ;   in Loop: Header=BB159_3 Depth=1
	ds_load_b64 v[46:47], v1 offset:23392
	ds_load_b64 v[48:49], v51
	s_wait_dscnt 0x0
	v_pk_mul_f32 v[100:101], v[48:49], v[46:47] op_sel_hi:[1,0]
	s_delay_alu instid0(VALU_DEP_1) | instskip(SKIP_1) | instid1(VALU_DEP_2)
	v_pk_fma_f32 v[102:103], v[48:49], v[46:47], v[100:101] op_sel:[1,1,0] op_sel_hi:[0,1,1]
	v_pk_fma_f32 v[46:47], v[48:49], v[46:47], v[100:101] op_sel:[1,1,0] op_sel_hi:[0,1,1] neg_lo:[0,0,1] neg_hi:[0,0,1]
	v_pk_add_f32 v[48:49], v[44:45], v[102:103] neg_lo:[0,1] neg_hi:[0,1]
	s_delay_alu instid0(VALU_DEP_2) | instskip(NEXT) | instid1(VALU_DEP_2)
	v_pk_add_f32 v[44:45], v[44:45], v[46:47]
	v_mov_b32_e32 v45, v49
.LBB159_319:                            ;   in Loop: Header=BB159_3 Depth=1
	s_or_b32 exec_lo, exec_lo, s12
	s_barrier_signal -1
	s_barrier_wait -1
	s_and_saveexec_b32 s12, s91
; %bb.320:                              ;   in Loop: Header=BB159_3 Depth=1
	v_pk_add_f32 v[46:47], v[44:45], 0 neg_lo:[1,1] neg_hi:[1,1]
	ds_store_b64 v51, v[46:47]
; %bb.321:                              ;   in Loop: Header=BB159_3 Depth=1
	s_or_b32 exec_lo, exec_lo, s12
	s_wait_dscnt 0x0
	s_barrier_signal -1
	s_barrier_wait -1
	s_barrier_signal -1
	s_barrier_wait -1
	s_and_saveexec_b32 s12, s3
; %bb.322:                              ;   in Loop: Header=BB159_3 Depth=1
	ds_store_b64 v55, v[44:45] offset:24416
; %bb.323:                              ;   in Loop: Header=BB159_3 Depth=1
	s_or_b32 exec_lo, exec_lo, s12
	s_wait_dscnt 0x0
	s_barrier_signal -1
	s_barrier_wait -1
	s_barrier_signal -1
	s_barrier_wait -1
	s_and_saveexec_b32 s12, s92
	s_cbranch_execz .LBB159_325
; %bb.324:                              ;   in Loop: Header=BB159_3 Depth=1
	ds_load_b64 v[44:45], v56 offset:23904
	s_wait_dscnt 0x0
	ds_store_b64 v54, v[44:45] offset:22896
	ds_load_b64 v[44:45], v56 offset:23912
	s_wait_dscnt 0x0
	ds_store_b64 v54, v[44:45] offset:23408
.LBB159_325:                            ;   in Loop: Header=BB159_3 Depth=1
	s_or_b32 exec_lo, exec_lo, s12
	s_wait_dscnt 0x0
	s_barrier_signal -1
	s_barrier_wait -1
	s_and_saveexec_b32 s12, s10
	s_cbranch_execz .LBB159_327
; %bb.326:                              ;   in Loop: Header=BB159_3 Depth=1
	ds_load_b64 v[44:45], v1 offset:23392
	v_add_nc_u32_e64 v0, 0x5800, 0
	ds_store_b64 v1, v[30:31] offset:23400
	s_wait_dscnt 0x1
	ds_store_2addr_b64 v0, v[30:31], v[44:45] offset0:44 offset1:45
.LBB159_327:                            ;   in Loop: Header=BB159_3 Depth=1
	s_or_b32 exec_lo, exec_lo, s12
	v_mov_b64_e32 v[44:45], 0
	s_wait_dscnt 0x0
	s_barrier_signal -1
	s_barrier_wait -1
	global_wb scope:SCOPE_DEV
	s_wait_storecnt 0x0
	global_inv scope:SCOPE_DEV
	s_and_saveexec_b32 s12, s5
	s_cbranch_execz .LBB159_333
; %bb.328:                              ;   in Loop: Header=BB159_3 Depth=1
	ds_load_b64 v[44:45], v58 offset:22848
	ds_load_b64 v[46:47], v59 offset:24416
	s_wait_dscnt 0x0
	v_dual_mul_f32 v0, v47, v45 :: v_dual_mul_f32 v27, v46, v45
	s_delay_alu instid0(VALU_DEP_1) | instskip(NEXT) | instid1(VALU_DEP_1)
	v_dual_fma_f32 v0, v46, v44, -v0 :: v_dual_fmac_f32 v27, v47, v44
	v_dual_add_f32 v44, 0, v0 :: v_dual_add_f32 v45, 0, v27
	s_and_saveexec_b32 s19, s14
	s_cbranch_execnz .LBB159_1090
; %bb.329:                              ;   in Loop: Header=BB159_3 Depth=1
	s_or_b32 exec_lo, exec_lo, s19
	s_and_saveexec_b32 s19, s15
	s_cbranch_execnz .LBB159_1091
.LBB159_330:                            ;   in Loop: Header=BB159_3 Depth=1
	s_or_b32 exec_lo, exec_lo, s19
	s_and_saveexec_b32 s19, s3
	s_cbranch_execz .LBB159_332
.LBB159_331:                            ;   in Loop: Header=BB159_3 Depth=1
	ds_load_b64 v[46:47], v60 offset:24384
	ds_load_b64 v[48:49], v1 offset:24440
	s_wait_dscnt 0x0
	v_pk_mul_f32 v[100:101], v[48:49], v[46:47] op_sel:[1,1] op_sel_hi:[0,1]
	s_delay_alu instid0(VALU_DEP_1) | instskip(SKIP_1) | instid1(VALU_DEP_2)
	v_pk_fma_f32 v[102:103], v[48:49], v[46:47], v[100:101] op_sel_hi:[1,0,1]
	v_pk_fma_f32 v[46:47], v[48:49], v[46:47], v[100:101] neg_lo:[0,0,1] neg_hi:[0,0,1]
	v_mov_b32_e32 v47, v103
	s_delay_alu instid0(VALU_DEP_1)
	v_pk_add_f32 v[44:45], v[44:45], v[46:47]
.LBB159_332:                            ;   in Loop: Header=BB159_3 Depth=1
	s_or_b32 exec_lo, exec_lo, s19
.LBB159_333:                            ;   in Loop: Header=BB159_3 Depth=1
	s_delay_alu instid0(SALU_CYCLE_1)
	s_or_b32 exec_lo, exec_lo, s12
	s_and_saveexec_b32 s12, s93
; %bb.334:                              ;   in Loop: Header=BB159_3 Depth=1
	s_delay_alu instid0(VALU_DEP_1)
	v_pk_add_f32 v[46:47], v[44:45], 0 neg_lo:[1,1] neg_hi:[1,1]
	ds_store_b64 v57, v[46:47]
; %bb.335:                              ;   in Loop: Header=BB159_3 Depth=1
	s_or_b32 exec_lo, exec_lo, s12
	s_wait_loadcnt_dscnt 0x0
	s_barrier_signal -1
	s_barrier_wait -1
	s_and_saveexec_b32 s12, s94
	s_cbranch_execz .LBB159_337
; %bb.336:                              ;   in Loop: Header=BB159_3 Depth=1
	ds_load_b64 v[46:47], v58 offset:22336
	ds_load_b64 v[48:49], v57
	s_wait_dscnt 0x0
	v_pk_mul_f32 v[100:101], v[48:49], v[46:47] op_sel:[1,1] op_sel_hi:[0,1]
	s_delay_alu instid0(VALU_DEP_1) | instskip(SKIP_1) | instid1(VALU_DEP_2)
	v_pk_fma_f32 v[102:103], v[48:49], v[46:47], v[100:101] op_sel_hi:[1,0,1]
	v_pk_fma_f32 v[46:47], v[48:49], v[46:47], v[100:101] neg_lo:[0,0,1] neg_hi:[0,0,1]
	v_mov_b32_e32 v47, v103
	s_delay_alu instid0(VALU_DEP_1)
	v_pk_add_f32 v[44:45], v[44:45], v[46:47] neg_lo:[0,1] neg_hi:[0,1]
.LBB159_337:                            ;   in Loop: Header=BB159_3 Depth=1
	s_or_b32 exec_lo, exec_lo, s12
	s_barrier_signal -1
	s_barrier_wait -1
	s_and_saveexec_b32 s12, s95
; %bb.338:                              ;   in Loop: Header=BB159_3 Depth=1
	v_pk_add_f32 v[46:47], v[44:45], 0 neg_lo:[1,1] neg_hi:[1,1]
	ds_store_b64 v57, v[46:47]
; %bb.339:                              ;   in Loop: Header=BB159_3 Depth=1
	s_or_b32 exec_lo, exec_lo, s12
	s_wait_dscnt 0x0
	s_barrier_signal -1
	s_barrier_wait -1
	s_and_saveexec_b32 s12, s96
	s_cbranch_execz .LBB159_341
; %bb.340:                              ;   in Loop: Header=BB159_3 Depth=1
	ds_load_b64 v[46:47], v58 offset:21824
	ds_load_b64 v[48:49], v57
	s_wait_dscnt 0x0
	v_pk_mul_f32 v[100:101], v[48:49], v[46:47] op_sel:[1,1] op_sel_hi:[0,1]
	s_delay_alu instid0(VALU_DEP_1) | instskip(SKIP_1) | instid1(VALU_DEP_2)
	v_pk_fma_f32 v[102:103], v[48:49], v[46:47], v[100:101] op_sel_hi:[1,0,1]
	v_pk_fma_f32 v[46:47], v[48:49], v[46:47], v[100:101] neg_lo:[0,0,1] neg_hi:[0,0,1]
	v_mov_b32_e32 v47, v103
	s_delay_alu instid0(VALU_DEP_1)
	v_pk_add_f32 v[44:45], v[44:45], v[46:47] neg_lo:[0,1] neg_hi:[0,1]
.LBB159_341:                            ;   in Loop: Header=BB159_3 Depth=1
	s_or_b32 exec_lo, exec_lo, s12
	s_barrier_signal -1
	s_barrier_wait -1
	s_and_saveexec_b32 s12, s97
; %bb.342:                              ;   in Loop: Header=BB159_3 Depth=1
	v_pk_add_f32 v[46:47], v[44:45], 0 neg_lo:[1,1] neg_hi:[1,1]
	ds_store_b64 v57, v[46:47]
; %bb.343:                              ;   in Loop: Header=BB159_3 Depth=1
	s_or_b32 exec_lo, exec_lo, s12
	s_wait_dscnt 0x0
	;; [unrolled: 26-line block ×3, first 2 shown]
	s_barrier_signal -1
	s_barrier_wait -1
	s_barrier_signal -1
	s_barrier_wait -1
	s_and_saveexec_b32 s12, s5
; %bb.348:                              ;   in Loop: Header=BB159_3 Depth=1
	ds_store_b64 v62, v[44:45] offset:24384
; %bb.349:                              ;   in Loop: Header=BB159_3 Depth=1
	s_or_b32 exec_lo, exec_lo, s12
	s_wait_dscnt 0x0
	s_barrier_signal -1
	s_barrier_wait -1
	s_barrier_signal -1
	s_barrier_wait -1
	s_and_saveexec_b32 s12, s99
	s_cbranch_execz .LBB159_351
; %bb.350:                              ;   in Loop: Header=BB159_3 Depth=1
	ds_load_b64 v[44:45], v61 offset:22848
	s_wait_dscnt 0x0
	ds_store_b64 v63, v[44:45] offset:20832
	ds_load_b64 v[44:45], v61 offset:22856
	s_wait_dscnt 0x0
	ds_store_b64 v63, v[44:45] offset:21344
	;; [unrolled: 3-line block ×4, first 2 shown]
.LBB159_351:                            ;   in Loop: Header=BB159_3 Depth=1
	s_or_b32 exec_lo, exec_lo, s12
	s_wait_dscnt 0x0
	s_barrier_signal -1
	s_barrier_wait -1
	s_and_saveexec_b32 s12, s10
	s_cbranch_execz .LBB159_353
; %bb.352:                              ;   in Loop: Header=BB159_3 Depth=1
	ds_load_b64 v[44:45], v1 offset:22352
	v_add_nc_u32_e64 v0, 0x5000, 0
	ds_store_b64 v1, v[30:31] offset:22360
	s_wait_dscnt 0x1
	ds_store_2addr_b64 v0, v[30:31], v[44:45] offset0:170 offset1:171
.LBB159_353:                            ;   in Loop: Header=BB159_3 Depth=1
	s_or_b32 exec_lo, exec_lo, s12
	v_dual_mov_b32 v44, 0 :: v_dual_mov_b32 v45, 0
	s_wait_dscnt 0x0
	s_barrier_signal -1
	s_barrier_wait -1
	global_wb scope:SCOPE_DEV
	s_wait_storecnt 0x0
	global_inv scope:SCOPE_DEV
	s_and_saveexec_b32 s12, s3
	s_cbranch_execz .LBB159_357
; %bb.354:                              ;   in Loop: Header=BB159_3 Depth=1
	ds_load_b64 v[44:45], v52 offset:21824
	ds_load_b64 v[46:47], v53 offset:22352
	s_wait_dscnt 0x0
	v_pk_mul_f32 v[48:49], v[46:47], v[44:45] op_sel:[1,1] op_sel_hi:[0,1]
	s_delay_alu instid0(VALU_DEP_1) | instskip(SKIP_1) | instid1(VALU_DEP_2)
	v_pk_fma_f32 v[100:101], v[46:47], v[44:45], v[48:49] op_sel_hi:[1,0,1]
	v_pk_fma_f32 v[44:45], v[46:47], v[44:45], v[48:49] neg_lo:[0,0,1] neg_hi:[0,0,1]
	v_mov_b32_e32 v45, v101
	s_delay_alu instid0(VALU_DEP_1)
	v_pk_add_f32 v[44:45], v[44:45], 0 op_sel_hi:[1,0]
	s_and_saveexec_b32 s19, s13
	s_cbranch_execz .LBB159_356
; %bb.355:                              ;   in Loop: Header=BB159_3 Depth=1
	ds_load_b64 v[46:47], v63 offset:22336
	ds_load_b64 v[48:49], v1 offset:22360
	s_wait_dscnt 0x0
	v_pk_mul_f32 v[100:101], v[48:49], v[46:47] op_sel:[1,1] op_sel_hi:[0,1]
	s_delay_alu instid0(VALU_DEP_1) | instskip(SKIP_1) | instid1(VALU_DEP_2)
	v_pk_fma_f32 v[102:103], v[48:49], v[46:47], v[100:101] op_sel_hi:[1,0,1]
	v_pk_fma_f32 v[46:47], v[48:49], v[46:47], v[100:101] neg_lo:[0,0,1] neg_hi:[0,0,1]
	v_mov_b32_e32 v47, v103
	s_delay_alu instid0(VALU_DEP_1)
	v_pk_add_f32 v[44:45], v[44:45], v[46:47]
.LBB159_356:                            ;   in Loop: Header=BB159_3 Depth=1
	s_or_b32 exec_lo, exec_lo, s19
.LBB159_357:                            ;   in Loop: Header=BB159_3 Depth=1
	s_delay_alu instid0(SALU_CYCLE_1)
	s_or_b32 exec_lo, exec_lo, s12
	s_and_saveexec_b32 s12, s90
; %bb.358:                              ;   in Loop: Header=BB159_3 Depth=1
	s_delay_alu instid0(VALU_DEP_1)
	v_pk_add_f32 v[46:47], v[44:45], 0 neg_lo:[1,1] neg_hi:[1,1]
	ds_store_b64 v51, v[46:47]
; %bb.359:                              ;   in Loop: Header=BB159_3 Depth=1
	s_or_b32 exec_lo, exec_lo, s12
	s_wait_loadcnt_dscnt 0x0
	s_barrier_signal -1
	s_barrier_wait -1
	s_and_saveexec_b32 s12, s91
	s_cbranch_execz .LBB159_361
; %bb.360:                              ;   in Loop: Header=BB159_3 Depth=1
	ds_load_b64 v[46:47], v1 offset:21312
	ds_load_b64 v[48:49], v51
	s_wait_dscnt 0x0
	v_pk_mul_f32 v[100:101], v[48:49], v[46:47] op_sel_hi:[1,0]
	s_delay_alu instid0(VALU_DEP_1) | instskip(SKIP_1) | instid1(VALU_DEP_2)
	v_pk_fma_f32 v[102:103], v[48:49], v[46:47], v[100:101] op_sel:[1,1,0] op_sel_hi:[0,1,1]
	v_pk_fma_f32 v[46:47], v[48:49], v[46:47], v[100:101] op_sel:[1,1,0] op_sel_hi:[0,1,1] neg_lo:[0,0,1] neg_hi:[0,0,1]
	v_pk_add_f32 v[48:49], v[44:45], v[102:103] neg_lo:[0,1] neg_hi:[0,1]
	s_delay_alu instid0(VALU_DEP_2) | instskip(NEXT) | instid1(VALU_DEP_2)
	v_pk_add_f32 v[44:45], v[44:45], v[46:47]
	v_mov_b32_e32 v45, v49
.LBB159_361:                            ;   in Loop: Header=BB159_3 Depth=1
	s_or_b32 exec_lo, exec_lo, s12
	s_barrier_signal -1
	s_barrier_wait -1
	s_and_saveexec_b32 s12, s91
; %bb.362:                              ;   in Loop: Header=BB159_3 Depth=1
	v_pk_add_f32 v[46:47], v[44:45], 0 neg_lo:[1,1] neg_hi:[1,1]
	ds_store_b64 v51, v[46:47]
; %bb.363:                              ;   in Loop: Header=BB159_3 Depth=1
	s_or_b32 exec_lo, exec_lo, s12
	s_wait_dscnt 0x0
	s_barrier_signal -1
	s_barrier_wait -1
	s_barrier_signal -1
	s_barrier_wait -1
	s_and_saveexec_b32 s12, s3
; %bb.364:                              ;   in Loop: Header=BB159_3 Depth=1
	ds_store_b64 v55, v[44:45] offset:22336
; %bb.365:                              ;   in Loop: Header=BB159_3 Depth=1
	s_or_b32 exec_lo, exec_lo, s12
	s_wait_dscnt 0x0
	s_barrier_signal -1
	s_barrier_wait -1
	s_barrier_signal -1
	s_barrier_wait -1
	s_and_saveexec_b32 s12, s92
	s_cbranch_execz .LBB159_367
; %bb.366:                              ;   in Loop: Header=BB159_3 Depth=1
	ds_load_b64 v[44:45], v64 offset:21824
	s_wait_dscnt 0x0
	ds_store_b64 v63, v[44:45] offset:20816
	ds_load_b64 v[44:45], v64 offset:21832
	s_wait_dscnt 0x0
	ds_store_b64 v63, v[44:45] offset:21328
.LBB159_367:                            ;   in Loop: Header=BB159_3 Depth=1
	s_or_b32 exec_lo, exec_lo, s12
	s_wait_dscnt 0x0
	s_barrier_signal -1
	s_barrier_wait -1
	s_and_saveexec_b32 s12, s10
	s_cbranch_execz .LBB159_369
; %bb.368:                              ;   in Loop: Header=BB159_3 Depth=1
	ds_load_b64 v[44:45], v1 offset:21312
	v_add_nc_u32_e64 v0, 0x5000, 0
	ds_store_b64 v1, v[30:31] offset:21320
	s_wait_dscnt 0x1
	ds_store_2addr_b64 v0, v[30:31], v[44:45] offset0:40 offset1:41
.LBB159_369:                            ;   in Loop: Header=BB159_3 Depth=1
	s_or_b32 exec_lo, exec_lo, s12
	v_mov_b64_e32 v[44:45], 0
	s_wait_dscnt 0x0
	s_barrier_signal -1
	s_barrier_wait -1
	global_wb scope:SCOPE_DEV
	s_wait_storecnt 0x0
	global_inv scope:SCOPE_DEV
	s_and_saveexec_b32 s12, s6
	s_cbranch_execz .LBB159_379
; %bb.370:                              ;   in Loop: Header=BB159_3 Depth=1
	ds_load_b64 v[44:45], v66 offset:20736
	ds_load_b64 v[46:47], v67 offset:24384
	s_wait_dscnt 0x0
	v_dual_mul_f32 v0, v47, v45 :: v_dual_mul_f32 v27, v46, v45
	s_delay_alu instid0(VALU_DEP_1) | instskip(NEXT) | instid1(VALU_DEP_1)
	v_dual_fma_f32 v0, v46, v44, -v0 :: v_dual_fmac_f32 v27, v47, v44
	v_dual_add_f32 v44, 0, v0 :: v_dual_add_f32 v45, 0, v27
	s_and_saveexec_b32 s19, s16
	s_cbranch_execnz .LBB159_1092
; %bb.371:                              ;   in Loop: Header=BB159_3 Depth=1
	s_or_b32 exec_lo, exec_lo, s19
	s_and_saveexec_b32 s19, s17
	s_cbranch_execnz .LBB159_1093
.LBB159_372:                            ;   in Loop: Header=BB159_3 Depth=1
	s_or_b32 exec_lo, exec_lo, s19
	s_and_saveexec_b32 s19, s18
	s_cbranch_execnz .LBB159_1094
.LBB159_373:                            ;   in Loop: Header=BB159_3 Depth=1
	s_or_b32 exec_lo, exec_lo, s19
	s_and_saveexec_b32 s19, s20
	s_cbranch_execnz .LBB159_1095
.LBB159_374:                            ;   in Loop: Header=BB159_3 Depth=1
	s_or_b32 exec_lo, exec_lo, s19
	s_and_saveexec_b32 s19, s21
	s_cbranch_execnz .LBB159_1096
.LBB159_375:                            ;   in Loop: Header=BB159_3 Depth=1
	s_or_b32 exec_lo, exec_lo, s19
	s_and_saveexec_b32 s19, s5
	s_cbranch_execnz .LBB159_1097
.LBB159_376:                            ;   in Loop: Header=BB159_3 Depth=1
	s_or_b32 exec_lo, exec_lo, s19
	s_and_saveexec_b32 s19, s15
	s_cbranch_execz .LBB159_378
.LBB159_377:                            ;   in Loop: Header=BB159_3 Depth=1
	ds_load_b64 v[46:47], v68 offset:24320
	ds_load_b64 v[48:49], v1 offset:24440
	s_wait_dscnt 0x0
	v_pk_mul_f32 v[100:101], v[48:49], v[46:47] op_sel:[1,1] op_sel_hi:[0,1]
	s_delay_alu instid0(VALU_DEP_1) | instskip(SKIP_1) | instid1(VALU_DEP_2)
	v_pk_fma_f32 v[102:103], v[48:49], v[46:47], v[100:101] op_sel_hi:[1,0,1]
	v_pk_fma_f32 v[46:47], v[48:49], v[46:47], v[100:101] neg_lo:[0,0,1] neg_hi:[0,0,1]
	v_mov_b32_e32 v47, v103
	s_delay_alu instid0(VALU_DEP_1)
	v_pk_add_f32 v[44:45], v[44:45], v[46:47]
.LBB159_378:                            ;   in Loop: Header=BB159_3 Depth=1
	s_or_b32 exec_lo, exec_lo, s19
.LBB159_379:                            ;   in Loop: Header=BB159_3 Depth=1
	s_delay_alu instid0(SALU_CYCLE_1)
	s_or_b32 exec_lo, exec_lo, s12
	s_and_saveexec_b32 s12, s100
; %bb.380:                              ;   in Loop: Header=BB159_3 Depth=1
	s_delay_alu instid0(VALU_DEP_1)
	v_pk_add_f32 v[46:47], v[44:45], 0 neg_lo:[1,1] neg_hi:[1,1]
	ds_store_b64 v65, v[46:47]
; %bb.381:                              ;   in Loop: Header=BB159_3 Depth=1
	s_or_b32 exec_lo, exec_lo, s12
	s_wait_loadcnt_dscnt 0x0
	s_barrier_signal -1
	s_barrier_wait -1
	s_and_saveexec_b32 s12, s101
	s_cbranch_execz .LBB159_383
; %bb.382:                              ;   in Loop: Header=BB159_3 Depth=1
	ds_load_b64 v[46:47], v66 offset:20224
	ds_load_b64 v[48:49], v65
	s_wait_dscnt 0x0
	v_pk_mul_f32 v[100:101], v[48:49], v[46:47] op_sel:[1,1] op_sel_hi:[0,1]
	s_delay_alu instid0(VALU_DEP_1) | instskip(SKIP_1) | instid1(VALU_DEP_2)
	v_pk_fma_f32 v[102:103], v[48:49], v[46:47], v[100:101] op_sel_hi:[1,0,1]
	v_pk_fma_f32 v[46:47], v[48:49], v[46:47], v[100:101] neg_lo:[0,0,1] neg_hi:[0,0,1]
	v_mov_b32_e32 v47, v103
	s_delay_alu instid0(VALU_DEP_1)
	v_pk_add_f32 v[44:45], v[44:45], v[46:47] neg_lo:[0,1] neg_hi:[0,1]
.LBB159_383:                            ;   in Loop: Header=BB159_3 Depth=1
	s_or_b32 exec_lo, exec_lo, s12
	s_barrier_signal -1
	s_barrier_wait -1
	s_and_saveexec_b32 s12, s102
; %bb.384:                              ;   in Loop: Header=BB159_3 Depth=1
	v_pk_add_f32 v[46:47], v[44:45], 0 neg_lo:[1,1] neg_hi:[1,1]
	ds_store_b64 v65, v[46:47]
; %bb.385:                              ;   in Loop: Header=BB159_3 Depth=1
	s_or_b32 exec_lo, exec_lo, s12
	s_wait_dscnt 0x0
	s_barrier_signal -1
	s_barrier_wait -1
	s_and_saveexec_b32 s12, s103
	s_cbranch_execz .LBB159_387
; %bb.386:                              ;   in Loop: Header=BB159_3 Depth=1
	ds_load_b64 v[46:47], v66 offset:19712
	ds_load_b64 v[48:49], v65
	s_wait_dscnt 0x0
	v_dual_mul_f32 v0, v49, v47 :: v_dual_mul_f32 v27, v48, v47
	s_delay_alu instid0(VALU_DEP_1) | instskip(NEXT) | instid1(VALU_DEP_1)
	v_dual_fma_f32 v0, v48, v46, -v0 :: v_dual_fmac_f32 v27, v49, v46
	v_dual_sub_f32 v44, v44, v0 :: v_dual_sub_f32 v45, v45, v27
.LBB159_387:                            ;   in Loop: Header=BB159_3 Depth=1
	s_or_b32 exec_lo, exec_lo, s12
	s_barrier_signal -1
	s_barrier_wait -1
	s_and_saveexec_b32 s12, s104
; %bb.388:                              ;   in Loop: Header=BB159_3 Depth=1
	v_pk_add_f32 v[46:47], v[44:45], 0 neg_lo:[1,1] neg_hi:[1,1]
	ds_store_b64 v65, v[46:47]
; %bb.389:                              ;   in Loop: Header=BB159_3 Depth=1
	s_or_b32 exec_lo, exec_lo, s12
	s_wait_dscnt 0x0
	s_barrier_signal -1
	s_barrier_wait -1
	s_and_saveexec_b32 s12, vcc_hi
	s_cbranch_execz .LBB159_391
; %bb.390:                              ;   in Loop: Header=BB159_3 Depth=1
	ds_load_b64 v[46:47], v66 offset:19200
	ds_load_b64 v[48:49], v65
	s_wait_dscnt 0x0
	v_dual_mul_f32 v0, v49, v47 :: v_dual_mul_f32 v101, v48, v47
	s_delay_alu instid0(VALU_DEP_1) | instskip(NEXT) | instid1(VALU_DEP_1)
	v_dual_fma_f32 v100, v48, v46, -v0 :: v_dual_fmac_f32 v101, v49, v46
	v_pk_add_f32 v[44:45], v[44:45], v[100:101] neg_lo:[0,1] neg_hi:[0,1]
.LBB159_391:                            ;   in Loop: Header=BB159_3 Depth=1
	s_or_b32 exec_lo, exec_lo, s12
	s_barrier_signal -1
	s_barrier_wait -1
	s_and_saveexec_b32 s12, s37
; %bb.392:                              ;   in Loop: Header=BB159_3 Depth=1
	v_pk_add_f32 v[46:47], v[44:45], 0 neg_lo:[1,1] neg_hi:[1,1]
	ds_store_b64 v65, v[46:47]
; %bb.393:                              ;   in Loop: Header=BB159_3 Depth=1
	s_or_b32 exec_lo, exec_lo, s12
	s_wait_dscnt 0x0
	s_barrier_signal -1
	s_barrier_wait -1
	s_and_saveexec_b32 s12, s38
	s_cbranch_execz .LBB159_395
; %bb.394:                              ;   in Loop: Header=BB159_3 Depth=1
	ds_load_b64 v[46:47], v66 offset:18688
	ds_load_b64 v[48:49], v65
	s_wait_dscnt 0x0
	v_pk_mul_f32 v[100:101], v[48:49], v[46:47] op_sel:[1,1] op_sel_hi:[0,1]
	s_delay_alu instid0(VALU_DEP_1) | instskip(SKIP_1) | instid1(VALU_DEP_2)
	v_pk_fma_f32 v[102:103], v[48:49], v[46:47], v[100:101] op_sel_hi:[1,0,1]
	v_pk_fma_f32 v[46:47], v[48:49], v[46:47], v[100:101] neg_lo:[0,0,1] neg_hi:[0,0,1]
	v_mov_b32_e32 v47, v103
	s_delay_alu instid0(VALU_DEP_1)
	v_pk_add_f32 v[44:45], v[44:45], v[46:47] neg_lo:[0,1] neg_hi:[0,1]
.LBB159_395:                            ;   in Loop: Header=BB159_3 Depth=1
	s_or_b32 exec_lo, exec_lo, s12
	s_barrier_signal -1
	s_barrier_wait -1
	s_and_saveexec_b32 s12, s39
; %bb.396:                              ;   in Loop: Header=BB159_3 Depth=1
	v_pk_add_f32 v[46:47], v[44:45], 0 neg_lo:[1,1] neg_hi:[1,1]
	ds_store_b64 v65, v[46:47]
; %bb.397:                              ;   in Loop: Header=BB159_3 Depth=1
	s_or_b32 exec_lo, exec_lo, s12
	s_wait_dscnt 0x0
	s_barrier_signal -1
	s_barrier_wait -1
	s_and_saveexec_b32 s12, s40
	s_cbranch_execz .LBB159_399
; %bb.398:                              ;   in Loop: Header=BB159_3 Depth=1
	ds_load_b64 v[46:47], v66 offset:18176
	ds_load_b64 v[48:49], v65
	s_wait_dscnt 0x0
	v_pk_mul_f32 v[100:101], v[48:49], v[46:47] op_sel:[1,1] op_sel_hi:[0,1]
	s_delay_alu instid0(VALU_DEP_1) | instskip(SKIP_1) | instid1(VALU_DEP_2)
	v_pk_fma_f32 v[102:103], v[48:49], v[46:47], v[100:101] op_sel_hi:[1,0,1]
	v_pk_fma_f32 v[46:47], v[48:49], v[46:47], v[100:101] neg_lo:[0,0,1] neg_hi:[0,0,1]
	v_mov_b32_e32 v47, v103
	s_delay_alu instid0(VALU_DEP_1)
	v_pk_add_f32 v[44:45], v[44:45], v[46:47] neg_lo:[0,1] neg_hi:[0,1]
.LBB159_399:                            ;   in Loop: Header=BB159_3 Depth=1
	;; [unrolled: 26-line block ×4, first 2 shown]
	s_or_b32 exec_lo, exec_lo, s12
	s_barrier_signal -1
	s_barrier_wait -1
	s_and_saveexec_b32 s12, s44
; %bb.408:                              ;   in Loop: Header=BB159_3 Depth=1
	v_pk_add_f32 v[46:47], v[44:45], 0 neg_lo:[1,1] neg_hi:[1,1]
	ds_store_b64 v65, v[46:47]
; %bb.409:                              ;   in Loop: Header=BB159_3 Depth=1
	s_or_b32 exec_lo, exec_lo, s12
	s_wait_dscnt 0x0
	s_barrier_signal -1
	s_barrier_wait -1
	s_barrier_signal -1
	s_barrier_wait -1
	s_and_saveexec_b32 s12, s6
; %bb.410:                              ;   in Loop: Header=BB159_3 Depth=1
	ds_store_b64 v69, v[44:45] offset:24320
; %bb.411:                              ;   in Loop: Header=BB159_3 Depth=1
	s_or_b32 exec_lo, exec_lo, s12
	s_wait_dscnt 0x0
	s_barrier_signal -1
	s_barrier_wait -1
	s_barrier_signal -1
	s_barrier_wait -1
	s_and_saveexec_b32 s12, s45
	s_cbranch_execz .LBB159_413
; %bb.412:                              ;   in Loop: Header=BB159_3 Depth=1
	ds_load_b64 v[44:45], v70 offset:20736
	s_wait_dscnt 0x0
	ds_store_b64 v7, v[44:45] offset:16704
	ds_load_b64 v[44:45], v70 offset:20744
	s_wait_dscnt 0x0
	ds_store_b64 v7, v[44:45] offset:17216
	;; [unrolled: 3-line block ×8, first 2 shown]
.LBB159_413:                            ;   in Loop: Header=BB159_3 Depth=1
	s_or_b32 exec_lo, exec_lo, s12
	s_wait_dscnt 0x0
	s_barrier_signal -1
	s_barrier_wait -1
	s_and_saveexec_b32 s12, s10
	s_cbranch_execz .LBB159_415
; %bb.414:                              ;   in Loop: Header=BB159_3 Depth=1
	ds_load_b64 v[44:45], v1 offset:20272
	v_add_nc_u32_e64 v0, 0x4800, 0
	ds_store_b64 v1, v[30:31] offset:20280
	s_wait_dscnt 0x1
	ds_store_2addr_b64 v0, v[30:31], v[44:45] offset0:166 offset1:167
.LBB159_415:                            ;   in Loop: Header=BB159_3 Depth=1
	s_or_b32 exec_lo, exec_lo, s12
	v_dual_mov_b32 v44, 0 :: v_dual_mov_b32 v45, 0
	s_wait_dscnt 0x0
	s_barrier_signal -1
	s_barrier_wait -1
	global_wb scope:SCOPE_DEV
	s_wait_storecnt 0x0
	global_inv scope:SCOPE_DEV
	s_and_saveexec_b32 s12, s3
	s_cbranch_execz .LBB159_419
; %bb.416:                              ;   in Loop: Header=BB159_3 Depth=1
	ds_load_b64 v[44:45], v52 offset:19744
	ds_load_b64 v[46:47], v53 offset:20272
	s_wait_dscnt 0x0
	v_pk_mul_f32 v[48:49], v[46:47], v[44:45] op_sel:[1,1] op_sel_hi:[0,1]
	s_delay_alu instid0(VALU_DEP_1) | instskip(SKIP_1) | instid1(VALU_DEP_2)
	v_pk_fma_f32 v[100:101], v[46:47], v[44:45], v[48:49] op_sel_hi:[1,0,1]
	v_pk_fma_f32 v[44:45], v[46:47], v[44:45], v[48:49] neg_lo:[0,0,1] neg_hi:[0,0,1]
	v_mov_b32_e32 v45, v101
	s_delay_alu instid0(VALU_DEP_1)
	v_pk_add_f32 v[44:45], v[44:45], 0 op_sel_hi:[1,0]
	s_and_saveexec_b32 s19, s13
	s_cbranch_execz .LBB159_418
; %bb.417:                              ;   in Loop: Header=BB159_3 Depth=1
	ds_load_b64 v[46:47], v7 offset:20256
	ds_load_b64 v[48:49], v1 offset:20280
	s_wait_dscnt 0x0
	v_pk_mul_f32 v[100:101], v[48:49], v[46:47] op_sel:[1,1] op_sel_hi:[0,1]
	s_delay_alu instid0(VALU_DEP_1) | instskip(SKIP_1) | instid1(VALU_DEP_2)
	v_pk_fma_f32 v[102:103], v[48:49], v[46:47], v[100:101] op_sel_hi:[1,0,1]
	v_pk_fma_f32 v[46:47], v[48:49], v[46:47], v[100:101] neg_lo:[0,0,1] neg_hi:[0,0,1]
	v_mov_b32_e32 v47, v103
	s_delay_alu instid0(VALU_DEP_1)
	v_pk_add_f32 v[44:45], v[44:45], v[46:47]
.LBB159_418:                            ;   in Loop: Header=BB159_3 Depth=1
	s_or_b32 exec_lo, exec_lo, s19
.LBB159_419:                            ;   in Loop: Header=BB159_3 Depth=1
	s_delay_alu instid0(SALU_CYCLE_1)
	s_or_b32 exec_lo, exec_lo, s12
	s_and_saveexec_b32 s12, s90
; %bb.420:                              ;   in Loop: Header=BB159_3 Depth=1
	s_delay_alu instid0(VALU_DEP_1)
	v_pk_add_f32 v[46:47], v[44:45], 0 neg_lo:[1,1] neg_hi:[1,1]
	ds_store_b64 v51, v[46:47]
; %bb.421:                              ;   in Loop: Header=BB159_3 Depth=1
	s_or_b32 exec_lo, exec_lo, s12
	s_wait_loadcnt_dscnt 0x0
	s_barrier_signal -1
	s_barrier_wait -1
	s_and_saveexec_b32 s12, s91
	s_cbranch_execz .LBB159_423
; %bb.422:                              ;   in Loop: Header=BB159_3 Depth=1
	ds_load_b64 v[46:47], v1 offset:19232
	ds_load_b64 v[48:49], v51
	s_wait_dscnt 0x0
	v_pk_mul_f32 v[100:101], v[48:49], v[46:47] op_sel_hi:[1,0]
	s_delay_alu instid0(VALU_DEP_1) | instskip(SKIP_1) | instid1(VALU_DEP_2)
	v_pk_fma_f32 v[102:103], v[48:49], v[46:47], v[100:101] op_sel:[1,1,0] op_sel_hi:[0,1,1]
	v_pk_fma_f32 v[46:47], v[48:49], v[46:47], v[100:101] op_sel:[1,1,0] op_sel_hi:[0,1,1] neg_lo:[0,0,1] neg_hi:[0,0,1]
	v_pk_add_f32 v[48:49], v[44:45], v[102:103] neg_lo:[0,1] neg_hi:[0,1]
	s_delay_alu instid0(VALU_DEP_2) | instskip(NEXT) | instid1(VALU_DEP_2)
	v_pk_add_f32 v[44:45], v[44:45], v[46:47]
	v_mov_b32_e32 v45, v49
.LBB159_423:                            ;   in Loop: Header=BB159_3 Depth=1
	s_or_b32 exec_lo, exec_lo, s12
	s_barrier_signal -1
	s_barrier_wait -1
	s_and_saveexec_b32 s12, s91
; %bb.424:                              ;   in Loop: Header=BB159_3 Depth=1
	v_pk_add_f32 v[46:47], v[44:45], 0 neg_lo:[1,1] neg_hi:[1,1]
	ds_store_b64 v51, v[46:47]
; %bb.425:                              ;   in Loop: Header=BB159_3 Depth=1
	s_or_b32 exec_lo, exec_lo, s12
	s_wait_dscnt 0x0
	s_barrier_signal -1
	s_barrier_wait -1
	s_barrier_signal -1
	s_barrier_wait -1
	s_and_saveexec_b32 s12, s3
; %bb.426:                              ;   in Loop: Header=BB159_3 Depth=1
	ds_store_b64 v55, v[44:45] offset:20256
; %bb.427:                              ;   in Loop: Header=BB159_3 Depth=1
	s_or_b32 exec_lo, exec_lo, s12
	s_wait_dscnt 0x0
	s_barrier_signal -1
	s_barrier_wait -1
	s_barrier_signal -1
	s_barrier_wait -1
	s_and_saveexec_b32 s12, s92
	s_cbranch_execz .LBB159_429
; %bb.428:                              ;   in Loop: Header=BB159_3 Depth=1
	ds_load_b64 v[44:45], v3 offset:19744
	s_wait_dscnt 0x0
	ds_store_b64 v7, v[44:45] offset:18736
	ds_load_b64 v[44:45], v3 offset:19752
	s_wait_dscnt 0x0
	ds_store_b64 v7, v[44:45] offset:19248
.LBB159_429:                            ;   in Loop: Header=BB159_3 Depth=1
	s_or_b32 exec_lo, exec_lo, s12
	s_wait_dscnt 0x0
	s_barrier_signal -1
	s_barrier_wait -1
	s_and_saveexec_b32 s12, s10
	s_cbranch_execz .LBB159_431
; %bb.430:                              ;   in Loop: Header=BB159_3 Depth=1
	ds_load_b64 v[44:45], v1 offset:19232
	v_add_nc_u32_e64 v0, 0x4800, 0
	ds_store_b64 v1, v[30:31] offset:19240
	s_wait_dscnt 0x1
	ds_store_2addr_b64 v0, v[30:31], v[44:45] offset0:36 offset1:37
.LBB159_431:                            ;   in Loop: Header=BB159_3 Depth=1
	s_or_b32 exec_lo, exec_lo, s12
	v_mov_b64_e32 v[44:45], 0
	s_wait_dscnt 0x0
	s_barrier_signal -1
	s_barrier_wait -1
	global_wb scope:SCOPE_DEV
	s_wait_storecnt 0x0
	global_inv scope:SCOPE_DEV
	s_and_saveexec_b32 s12, s5
	s_cbranch_execz .LBB159_437
; %bb.432:                              ;   in Loop: Header=BB159_3 Depth=1
	ds_load_b64 v[44:45], v58 offset:18688
	ds_load_b64 v[46:47], v59 offset:20256
	s_wait_dscnt 0x0
	v_dual_mul_f32 v0, v47, v45 :: v_dual_mul_f32 v27, v46, v45
	s_delay_alu instid0(VALU_DEP_1) | instskip(NEXT) | instid1(VALU_DEP_1)
	v_dual_fma_f32 v0, v46, v44, -v0 :: v_dual_fmac_f32 v27, v47, v44
	v_dual_add_f32 v44, 0, v0 :: v_dual_add_f32 v45, 0, v27
	s_and_saveexec_b32 s19, s14
	s_cbranch_execnz .LBB159_1098
; %bb.433:                              ;   in Loop: Header=BB159_3 Depth=1
	s_or_b32 exec_lo, exec_lo, s19
	s_and_saveexec_b32 s19, s15
	s_cbranch_execnz .LBB159_1099
.LBB159_434:                            ;   in Loop: Header=BB159_3 Depth=1
	s_or_b32 exec_lo, exec_lo, s19
	s_and_saveexec_b32 s19, s3
	s_cbranch_execz .LBB159_436
.LBB159_435:                            ;   in Loop: Header=BB159_3 Depth=1
	ds_load_b64 v[46:47], v80 offset:20224
	ds_load_b64 v[48:49], v1 offset:20280
	s_wait_dscnt 0x0
	v_pk_mul_f32 v[100:101], v[48:49], v[46:47] op_sel:[1,1] op_sel_hi:[0,1]
	s_delay_alu instid0(VALU_DEP_1) | instskip(SKIP_1) | instid1(VALU_DEP_2)
	v_pk_fma_f32 v[102:103], v[48:49], v[46:47], v[100:101] op_sel_hi:[1,0,1]
	v_pk_fma_f32 v[46:47], v[48:49], v[46:47], v[100:101] neg_lo:[0,0,1] neg_hi:[0,0,1]
	v_mov_b32_e32 v47, v103
	s_delay_alu instid0(VALU_DEP_1)
	v_pk_add_f32 v[44:45], v[44:45], v[46:47]
.LBB159_436:                            ;   in Loop: Header=BB159_3 Depth=1
	s_or_b32 exec_lo, exec_lo, s19
.LBB159_437:                            ;   in Loop: Header=BB159_3 Depth=1
	s_delay_alu instid0(SALU_CYCLE_1)
	s_or_b32 exec_lo, exec_lo, s12
	s_and_saveexec_b32 s12, s93
; %bb.438:                              ;   in Loop: Header=BB159_3 Depth=1
	s_delay_alu instid0(VALU_DEP_1)
	v_pk_add_f32 v[46:47], v[44:45], 0 neg_lo:[1,1] neg_hi:[1,1]
	ds_store_b64 v57, v[46:47]
; %bb.439:                              ;   in Loop: Header=BB159_3 Depth=1
	s_or_b32 exec_lo, exec_lo, s12
	s_wait_loadcnt_dscnt 0x0
	s_barrier_signal -1
	s_barrier_wait -1
	s_and_saveexec_b32 s12, s94
	s_cbranch_execz .LBB159_441
; %bb.440:                              ;   in Loop: Header=BB159_3 Depth=1
	ds_load_b64 v[46:47], v58 offset:18176
	ds_load_b64 v[48:49], v57
	s_wait_dscnt 0x0
	v_pk_mul_f32 v[100:101], v[48:49], v[46:47] op_sel:[1,1] op_sel_hi:[0,1]
	s_delay_alu instid0(VALU_DEP_1) | instskip(SKIP_1) | instid1(VALU_DEP_2)
	v_pk_fma_f32 v[102:103], v[48:49], v[46:47], v[100:101] op_sel_hi:[1,0,1]
	v_pk_fma_f32 v[46:47], v[48:49], v[46:47], v[100:101] neg_lo:[0,0,1] neg_hi:[0,0,1]
	v_mov_b32_e32 v47, v103
	s_delay_alu instid0(VALU_DEP_1)
	v_pk_add_f32 v[44:45], v[44:45], v[46:47] neg_lo:[0,1] neg_hi:[0,1]
.LBB159_441:                            ;   in Loop: Header=BB159_3 Depth=1
	s_or_b32 exec_lo, exec_lo, s12
	s_barrier_signal -1
	s_barrier_wait -1
	s_and_saveexec_b32 s12, s95
; %bb.442:                              ;   in Loop: Header=BB159_3 Depth=1
	v_pk_add_f32 v[46:47], v[44:45], 0 neg_lo:[1,1] neg_hi:[1,1]
	ds_store_b64 v57, v[46:47]
; %bb.443:                              ;   in Loop: Header=BB159_3 Depth=1
	s_or_b32 exec_lo, exec_lo, s12
	s_wait_dscnt 0x0
	s_barrier_signal -1
	s_barrier_wait -1
	s_and_saveexec_b32 s12, s96
	s_cbranch_execz .LBB159_445
; %bb.444:                              ;   in Loop: Header=BB159_3 Depth=1
	ds_load_b64 v[46:47], v58 offset:17664
	ds_load_b64 v[48:49], v57
	s_wait_dscnt 0x0
	v_pk_mul_f32 v[100:101], v[48:49], v[46:47] op_sel:[1,1] op_sel_hi:[0,1]
	s_delay_alu instid0(VALU_DEP_1) | instskip(SKIP_1) | instid1(VALU_DEP_2)
	v_pk_fma_f32 v[102:103], v[48:49], v[46:47], v[100:101] op_sel_hi:[1,0,1]
	v_pk_fma_f32 v[46:47], v[48:49], v[46:47], v[100:101] neg_lo:[0,0,1] neg_hi:[0,0,1]
	v_mov_b32_e32 v47, v103
	s_delay_alu instid0(VALU_DEP_1)
	v_pk_add_f32 v[44:45], v[44:45], v[46:47] neg_lo:[0,1] neg_hi:[0,1]
.LBB159_445:                            ;   in Loop: Header=BB159_3 Depth=1
	s_or_b32 exec_lo, exec_lo, s12
	s_barrier_signal -1
	s_barrier_wait -1
	s_and_saveexec_b32 s12, s97
; %bb.446:                              ;   in Loop: Header=BB159_3 Depth=1
	v_pk_add_f32 v[46:47], v[44:45], 0 neg_lo:[1,1] neg_hi:[1,1]
	ds_store_b64 v57, v[46:47]
; %bb.447:                              ;   in Loop: Header=BB159_3 Depth=1
	s_or_b32 exec_lo, exec_lo, s12
	s_wait_dscnt 0x0
	;; [unrolled: 26-line block ×3, first 2 shown]
	s_barrier_signal -1
	s_barrier_wait -1
	s_barrier_signal -1
	s_barrier_wait -1
	s_and_saveexec_b32 s12, s5
; %bb.452:                              ;   in Loop: Header=BB159_3 Depth=1
	ds_store_b64 v62, v[44:45] offset:20224
; %bb.453:                              ;   in Loop: Header=BB159_3 Depth=1
	s_or_b32 exec_lo, exec_lo, s12
	s_wait_dscnt 0x0
	s_barrier_signal -1
	s_barrier_wait -1
	s_barrier_signal -1
	s_barrier_wait -1
	s_and_saveexec_b32 s12, s99
	s_cbranch_execz .LBB159_455
; %bb.454:                              ;   in Loop: Header=BB159_3 Depth=1
	ds_load_b64 v[44:45], v81 offset:18688
	s_wait_dscnt 0x0
	ds_store_b64 v83, v[44:45] offset:16672
	ds_load_b64 v[44:45], v81 offset:18696
	s_wait_dscnt 0x0
	ds_store_b64 v83, v[44:45] offset:17184
	;; [unrolled: 3-line block ×4, first 2 shown]
.LBB159_455:                            ;   in Loop: Header=BB159_3 Depth=1
	s_or_b32 exec_lo, exec_lo, s12
	s_wait_dscnt 0x0
	s_barrier_signal -1
	s_barrier_wait -1
	s_and_saveexec_b32 s12, s10
	s_cbranch_execz .LBB159_457
; %bb.456:                              ;   in Loop: Header=BB159_3 Depth=1
	ds_load_b64 v[44:45], v1 offset:18192
	v_add_nc_u32_e64 v0, 0x4000, 0
	ds_store_b64 v1, v[30:31] offset:18200
	s_wait_dscnt 0x1
	ds_store_2addr_b64 v0, v[30:31], v[44:45] offset0:162 offset1:163
.LBB159_457:                            ;   in Loop: Header=BB159_3 Depth=1
	s_or_b32 exec_lo, exec_lo, s12
	v_dual_mov_b32 v44, 0 :: v_dual_mov_b32 v45, 0
	s_wait_dscnt 0x0
	s_barrier_signal -1
	s_barrier_wait -1
	global_wb scope:SCOPE_DEV
	s_wait_storecnt 0x0
	global_inv scope:SCOPE_DEV
	s_and_saveexec_b32 s12, s3
	s_cbranch_execz .LBB159_461
; %bb.458:                              ;   in Loop: Header=BB159_3 Depth=1
	ds_load_b64 v[44:45], v52 offset:17664
	ds_load_b64 v[46:47], v53 offset:18192
	s_wait_dscnt 0x0
	v_pk_mul_f32 v[48:49], v[46:47], v[44:45] op_sel:[1,1] op_sel_hi:[0,1]
	s_delay_alu instid0(VALU_DEP_1) | instskip(SKIP_1) | instid1(VALU_DEP_2)
	v_pk_fma_f32 v[100:101], v[46:47], v[44:45], v[48:49] op_sel_hi:[1,0,1]
	v_pk_fma_f32 v[44:45], v[46:47], v[44:45], v[48:49] neg_lo:[0,0,1] neg_hi:[0,0,1]
	v_mov_b32_e32 v45, v101
	s_delay_alu instid0(VALU_DEP_1)
	v_pk_add_f32 v[44:45], v[44:45], 0 op_sel_hi:[1,0]
	s_and_saveexec_b32 s19, s13
	s_cbranch_execz .LBB159_460
; %bb.459:                              ;   in Loop: Header=BB159_3 Depth=1
	ds_load_b64 v[46:47], v83 offset:18176
	ds_load_b64 v[48:49], v1 offset:18200
	s_wait_dscnt 0x0
	v_pk_mul_f32 v[100:101], v[48:49], v[46:47] op_sel:[1,1] op_sel_hi:[0,1]
	s_delay_alu instid0(VALU_DEP_1) | instskip(SKIP_1) | instid1(VALU_DEP_2)
	v_pk_fma_f32 v[102:103], v[48:49], v[46:47], v[100:101] op_sel_hi:[1,0,1]
	v_pk_fma_f32 v[46:47], v[48:49], v[46:47], v[100:101] neg_lo:[0,0,1] neg_hi:[0,0,1]
	v_mov_b32_e32 v47, v103
	s_delay_alu instid0(VALU_DEP_1)
	v_pk_add_f32 v[44:45], v[44:45], v[46:47]
.LBB159_460:                            ;   in Loop: Header=BB159_3 Depth=1
	s_or_b32 exec_lo, exec_lo, s19
.LBB159_461:                            ;   in Loop: Header=BB159_3 Depth=1
	s_delay_alu instid0(SALU_CYCLE_1)
	s_or_b32 exec_lo, exec_lo, s12
	s_and_saveexec_b32 s12, s90
; %bb.462:                              ;   in Loop: Header=BB159_3 Depth=1
	s_delay_alu instid0(VALU_DEP_1)
	v_pk_add_f32 v[46:47], v[44:45], 0 neg_lo:[1,1] neg_hi:[1,1]
	ds_store_b64 v51, v[46:47]
; %bb.463:                              ;   in Loop: Header=BB159_3 Depth=1
	s_or_b32 exec_lo, exec_lo, s12
	s_wait_loadcnt_dscnt 0x0
	s_barrier_signal -1
	s_barrier_wait -1
	s_and_saveexec_b32 s12, s91
	s_cbranch_execz .LBB159_465
; %bb.464:                              ;   in Loop: Header=BB159_3 Depth=1
	ds_load_b64 v[46:47], v1 offset:17152
	ds_load_b64 v[48:49], v51
	s_wait_dscnt 0x0
	v_pk_mul_f32 v[100:101], v[48:49], v[46:47] op_sel_hi:[1,0]
	s_delay_alu instid0(VALU_DEP_1) | instskip(SKIP_1) | instid1(VALU_DEP_2)
	v_pk_fma_f32 v[102:103], v[48:49], v[46:47], v[100:101] op_sel:[1,1,0] op_sel_hi:[0,1,1]
	v_pk_fma_f32 v[46:47], v[48:49], v[46:47], v[100:101] op_sel:[1,1,0] op_sel_hi:[0,1,1] neg_lo:[0,0,1] neg_hi:[0,0,1]
	v_pk_add_f32 v[48:49], v[44:45], v[102:103] neg_lo:[0,1] neg_hi:[0,1]
	s_delay_alu instid0(VALU_DEP_2) | instskip(NEXT) | instid1(VALU_DEP_2)
	v_pk_add_f32 v[44:45], v[44:45], v[46:47]
	v_mov_b32_e32 v45, v49
.LBB159_465:                            ;   in Loop: Header=BB159_3 Depth=1
	s_or_b32 exec_lo, exec_lo, s12
	s_barrier_signal -1
	s_barrier_wait -1
	s_and_saveexec_b32 s12, s91
; %bb.466:                              ;   in Loop: Header=BB159_3 Depth=1
	v_pk_add_f32 v[46:47], v[44:45], 0 neg_lo:[1,1] neg_hi:[1,1]
	ds_store_b64 v51, v[46:47]
; %bb.467:                              ;   in Loop: Header=BB159_3 Depth=1
	s_or_b32 exec_lo, exec_lo, s12
	s_wait_dscnt 0x0
	s_barrier_signal -1
	s_barrier_wait -1
	s_barrier_signal -1
	s_barrier_wait -1
	s_and_saveexec_b32 s12, s3
; %bb.468:                              ;   in Loop: Header=BB159_3 Depth=1
	ds_store_b64 v55, v[44:45] offset:18176
; %bb.469:                              ;   in Loop: Header=BB159_3 Depth=1
	s_or_b32 exec_lo, exec_lo, s12
	s_wait_dscnt 0x0
	s_barrier_signal -1
	s_barrier_wait -1
	s_barrier_signal -1
	s_barrier_wait -1
	s_and_saveexec_b32 s12, s92
	s_cbranch_execz .LBB159_471
; %bb.470:                              ;   in Loop: Header=BB159_3 Depth=1
	ds_load_b64 v[44:45], v85 offset:17664
	s_wait_dscnt 0x0
	ds_store_b64 v83, v[44:45] offset:16656
	ds_load_b64 v[44:45], v85 offset:17672
	s_wait_dscnt 0x0
	ds_store_b64 v83, v[44:45] offset:17168
.LBB159_471:                            ;   in Loop: Header=BB159_3 Depth=1
	s_or_b32 exec_lo, exec_lo, s12
	s_wait_dscnt 0x0
	s_barrier_signal -1
	s_barrier_wait -1
	s_and_saveexec_b32 s12, s10
	s_cbranch_execz .LBB159_473
; %bb.472:                              ;   in Loop: Header=BB159_3 Depth=1
	ds_load_b64 v[44:45], v1 offset:17152
	v_add_nc_u32_e64 v0, 0x4000, 0
	ds_store_b64 v1, v[30:31] offset:17160
	s_wait_dscnt 0x1
	ds_store_2addr_b64 v0, v[30:31], v[44:45] offset0:32 offset1:33
.LBB159_473:                            ;   in Loop: Header=BB159_3 Depth=1
	s_or_b32 exec_lo, exec_lo, s12
	v_mov_b64_e32 v[44:45], 0
	s_wait_dscnt 0x0
	s_barrier_signal -1
	s_barrier_wait -1
	global_wb scope:SCOPE_DEV
	s_wait_storecnt 0x0
	global_inv scope:SCOPE_DEV
	s_and_saveexec_b32 s61, s34
	s_cbranch_execz .LBB159_535
; %bb.474:                              ;   in Loop: Header=BB159_3 Depth=1
	ds_load_b64 v[44:45], v76 offset:16384
	ds_load_b64 v[46:47], v78 offset:32512
	s_wait_dscnt 0x0
	v_dual_mul_f32 v0, v47, v45 :: v_dual_mul_f32 v27, v46, v45
	s_delay_alu instid0(VALU_DEP_1) | instskip(NEXT) | instid1(VALU_DEP_1)
	v_dual_fma_f32 v0, v46, v44, -v0 :: v_dual_fmac_f32 v27, v47, v44
	v_dual_add_f32 v44, 0, v0 :: v_dual_add_f32 v45, 0, v27
	s_mov_b32 s12, exec_lo
	v_readlane_b32 s19, v108, 2
	s_and_b32 s19, s12, s19
	s_delay_alu instid0(SALU_CYCLE_1)
	s_mov_b32 exec_lo, s19
	s_cbranch_execz .LBB159_476
; %bb.475:                              ;   in Loop: Header=BB159_3 Depth=1
	ds_load_b64 v[46:47], v76 offset:16896
	ds_load_b64 v[48:49], v78 offset:32520
	s_wait_dscnt 0x0
	v_dual_mul_f32 v0, v49, v47 :: v_dual_mul_f32 v27, v48, v47
	s_delay_alu instid0(VALU_DEP_1) | instskip(NEXT) | instid1(VALU_DEP_1)
	v_dual_fma_f32 v0, v48, v46, -v0 :: v_dual_fmac_f32 v27, v49, v46
	v_dual_add_f32 v44, v44, v0 :: v_dual_add_f32 v45, v45, v27
.LBB159_476:                            ;   in Loop: Header=BB159_3 Depth=1
	s_or_b32 exec_lo, exec_lo, s12
	s_delay_alu instid0(SALU_CYCLE_1) | instskip(SKIP_2) | instid1(SALU_CYCLE_1)
	s_mov_b32 s12, exec_lo
	v_readlane_b32 s19, v108, 3
	s_and_b32 s19, s12, s19
	s_mov_b32 exec_lo, s19
	s_cbranch_execz .LBB159_478
; %bb.477:                              ;   in Loop: Header=BB159_3 Depth=1
	ds_load_b64 v[46:47], v76 offset:17408
	ds_load_b64 v[48:49], v78 offset:32528
	s_wait_dscnt 0x0
	v_dual_mul_f32 v0, v49, v47 :: v_dual_mul_f32 v27, v48, v47
	s_delay_alu instid0(VALU_DEP_1) | instskip(NEXT) | instid1(VALU_DEP_1)
	v_dual_fma_f32 v0, v48, v46, -v0 :: v_dual_fmac_f32 v27, v49, v46
	v_dual_add_f32 v44, v44, v0 :: v_dual_add_f32 v45, v45, v27
.LBB159_478:                            ;   in Loop: Header=BB159_3 Depth=1
	s_or_b32 exec_lo, exec_lo, s12
	s_delay_alu instid0(SALU_CYCLE_1) | instskip(SKIP_2) | instid1(SALU_CYCLE_1)
	s_mov_b32 s12, exec_lo
	v_readlane_b32 s19, v108, 4
	s_and_b32 s19, s12, s19
	s_mov_b32 exec_lo, s19
	s_cbranch_execz .LBB159_480
; %bb.479:                              ;   in Loop: Header=BB159_3 Depth=1
	ds_load_b64 v[46:47], v76 offset:17920
	ds_load_b64 v[48:49], v78 offset:32536
	s_wait_dscnt 0x0
	v_dual_mul_f32 v0, v49, v47 :: v_dual_mul_f32 v27, v48, v47
	s_delay_alu instid0(VALU_DEP_1) | instskip(NEXT) | instid1(VALU_DEP_1)
	v_dual_fma_f32 v0, v48, v46, -v0 :: v_dual_fmac_f32 v27, v49, v46
	v_dual_add_f32 v44, v44, v0 :: v_dual_add_f32 v45, v45, v27
.LBB159_480:                            ;   in Loop: Header=BB159_3 Depth=1
	s_or_b32 exec_lo, exec_lo, s12
	s_delay_alu instid0(SALU_CYCLE_1) | instskip(SKIP_2) | instid1(SALU_CYCLE_1)
	s_mov_b32 s12, exec_lo
	v_readlane_b32 s19, v108, 5
	s_and_b32 s19, s12, s19
	s_mov_b32 exec_lo, s19
	s_cbranch_execz .LBB159_482
; %bb.481:                              ;   in Loop: Header=BB159_3 Depth=1
	ds_load_b64 v[46:47], v76 offset:18432
	ds_load_b64 v[48:49], v78 offset:32544
	s_wait_dscnt 0x0
	v_dual_mul_f32 v0, v49, v47 :: v_dual_mul_f32 v27, v48, v47
	s_delay_alu instid0(VALU_DEP_1) | instskip(NEXT) | instid1(VALU_DEP_1)
	v_dual_fma_f32 v0, v48, v46, -v0 :: v_dual_fmac_f32 v27, v49, v46
	v_dual_add_f32 v44, v44, v0 :: v_dual_add_f32 v45, v45, v27
.LBB159_482:                            ;   in Loop: Header=BB159_3 Depth=1
	s_or_b32 exec_lo, exec_lo, s12
	s_delay_alu instid0(SALU_CYCLE_1) | instskip(SKIP_2) | instid1(SALU_CYCLE_1)
	s_mov_b32 s12, exec_lo
	v_readlane_b32 s19, v108, 6
	s_and_b32 s19, s12, s19
	s_mov_b32 exec_lo, s19
	s_cbranch_execz .LBB159_484
; %bb.483:                              ;   in Loop: Header=BB159_3 Depth=1
	ds_load_b64 v[46:47], v76 offset:18944
	ds_load_b64 v[48:49], v78 offset:32552
	s_wait_dscnt 0x0
	v_dual_mul_f32 v0, v49, v47 :: v_dual_mul_f32 v27, v48, v47
	s_delay_alu instid0(VALU_DEP_1) | instskip(NEXT) | instid1(VALU_DEP_1)
	v_dual_fma_f32 v0, v48, v46, -v0 :: v_dual_fmac_f32 v27, v49, v46
	v_dual_add_f32 v44, v44, v0 :: v_dual_add_f32 v45, v45, v27
.LBB159_484:                            ;   in Loop: Header=BB159_3 Depth=1
	s_or_b32 exec_lo, exec_lo, s12
	s_delay_alu instid0(SALU_CYCLE_1) | instskip(SKIP_2) | instid1(SALU_CYCLE_1)
	s_mov_b32 s12, exec_lo
	v_readlane_b32 s19, v108, 7
	s_and_b32 s19, s12, s19
	s_mov_b32 exec_lo, s19
	s_cbranch_execz .LBB159_486
; %bb.485:                              ;   in Loop: Header=BB159_3 Depth=1
	ds_load_b64 v[46:47], v76 offset:19456
	ds_load_b64 v[48:49], v78 offset:32560
	s_wait_dscnt 0x0
	v_dual_mul_f32 v0, v49, v47 :: v_dual_mul_f32 v27, v48, v47
	s_delay_alu instid0(VALU_DEP_1) | instskip(NEXT) | instid1(VALU_DEP_1)
	v_dual_fma_f32 v0, v48, v46, -v0 :: v_dual_fmac_f32 v27, v49, v46
	v_dual_add_f32 v44, v44, v0 :: v_dual_add_f32 v45, v45, v27
.LBB159_486:                            ;   in Loop: Header=BB159_3 Depth=1
	s_or_b32 exec_lo, exec_lo, s12
	s_delay_alu instid0(SALU_CYCLE_1) | instskip(SKIP_2) | instid1(SALU_CYCLE_1)
	s_mov_b32 s12, exec_lo
	v_readlane_b32 s19, v108, 8
	s_and_b32 s19, s12, s19
	s_mov_b32 exec_lo, s19
	s_cbranch_execz .LBB159_488
; %bb.487:                              ;   in Loop: Header=BB159_3 Depth=1
	ds_load_b64 v[46:47], v76 offset:19968
	ds_load_b64 v[48:49], v78 offset:32568
	s_wait_dscnt 0x0
	v_dual_mul_f32 v0, v49, v47 :: v_dual_mul_f32 v27, v48, v47
	s_delay_alu instid0(VALU_DEP_1) | instskip(NEXT) | instid1(VALU_DEP_1)
	v_dual_fma_f32 v0, v48, v46, -v0 :: v_dual_fmac_f32 v27, v49, v46
	v_dual_add_f32 v44, v44, v0 :: v_dual_add_f32 v45, v45, v27
.LBB159_488:                            ;   in Loop: Header=BB159_3 Depth=1
	s_or_b32 exec_lo, exec_lo, s12
	s_delay_alu instid0(SALU_CYCLE_1) | instskip(SKIP_2) | instid1(SALU_CYCLE_1)
	s_mov_b32 s12, exec_lo
	v_readlane_b32 s19, v108, 9
	s_and_b32 s19, s12, s19
	s_mov_b32 exec_lo, s19
	s_cbranch_execz .LBB159_490
; %bb.489:                              ;   in Loop: Header=BB159_3 Depth=1
	ds_load_b64 v[46:47], v76 offset:20480
	ds_load_b64 v[48:49], v78 offset:32576
	s_wait_dscnt 0x0
	v_dual_mul_f32 v0, v49, v47 :: v_dual_mul_f32 v27, v48, v47
	s_delay_alu instid0(VALU_DEP_1) | instskip(NEXT) | instid1(VALU_DEP_1)
	v_dual_fma_f32 v0, v48, v46, -v0 :: v_dual_fmac_f32 v27, v49, v46
	v_dual_add_f32 v44, v44, v0 :: v_dual_add_f32 v45, v45, v27
.LBB159_490:                            ;   in Loop: Header=BB159_3 Depth=1
	s_or_b32 exec_lo, exec_lo, s12
	s_delay_alu instid0(SALU_CYCLE_1) | instskip(SKIP_2) | instid1(SALU_CYCLE_1)
	s_mov_b32 s12, exec_lo
	v_readlane_b32 s19, v108, 10
	s_and_b32 s19, s12, s19
	s_mov_b32 exec_lo, s19
	s_cbranch_execz .LBB159_492
; %bb.491:                              ;   in Loop: Header=BB159_3 Depth=1
	ds_load_b64 v[46:47], v76 offset:20992
	ds_load_b64 v[48:49], v78 offset:32584
	s_wait_dscnt 0x0
	v_dual_mul_f32 v0, v49, v47 :: v_dual_mul_f32 v27, v48, v47
	s_delay_alu instid0(VALU_DEP_1) | instskip(NEXT) | instid1(VALU_DEP_1)
	v_dual_fma_f32 v0, v48, v46, -v0 :: v_dual_fmac_f32 v27, v49, v46
	v_dual_add_f32 v44, v44, v0 :: v_dual_add_f32 v45, v45, v27
.LBB159_492:                            ;   in Loop: Header=BB159_3 Depth=1
	s_or_b32 exec_lo, exec_lo, s12
	s_delay_alu instid0(SALU_CYCLE_1) | instskip(SKIP_2) | instid1(SALU_CYCLE_1)
	s_mov_b32 s12, exec_lo
	v_readlane_b32 s19, v108, 11
	s_and_b32 s19, s12, s19
	s_mov_b32 exec_lo, s19
	s_cbranch_execz .LBB159_494
; %bb.493:                              ;   in Loop: Header=BB159_3 Depth=1
	ds_load_b64 v[46:47], v76 offset:21504
	ds_load_b64 v[48:49], v78 offset:32592
	s_wait_dscnt 0x0
	v_dual_mul_f32 v0, v49, v47 :: v_dual_mul_f32 v27, v48, v47
	s_delay_alu instid0(VALU_DEP_1) | instskip(NEXT) | instid1(VALU_DEP_1)
	v_dual_fma_f32 v0, v48, v46, -v0 :: v_dual_fmac_f32 v27, v49, v46
	v_dual_add_f32 v44, v44, v0 :: v_dual_add_f32 v45, v45, v27
.LBB159_494:                            ;   in Loop: Header=BB159_3 Depth=1
	s_or_b32 exec_lo, exec_lo, s12
	s_delay_alu instid0(SALU_CYCLE_1) | instskip(SKIP_2) | instid1(SALU_CYCLE_1)
	s_mov_b32 s12, exec_lo
	v_readlane_b32 s19, v108, 13
	s_and_b32 s19, s12, s19
	s_mov_b32 exec_lo, s19
	s_cbranch_execz .LBB159_496
; %bb.495:                              ;   in Loop: Header=BB159_3 Depth=1
	ds_load_b64 v[46:47], v76 offset:22016
	ds_load_b64 v[48:49], v78 offset:32600
	s_wait_dscnt 0x0
	v_dual_mul_f32 v0, v49, v47 :: v_dual_mul_f32 v27, v48, v47
	s_delay_alu instid0(VALU_DEP_1) | instskip(NEXT) | instid1(VALU_DEP_1)
	v_dual_fma_f32 v0, v48, v46, -v0 :: v_dual_fmac_f32 v27, v49, v46
	v_dual_add_f32 v44, v44, v0 :: v_dual_add_f32 v45, v45, v27
.LBB159_496:                            ;   in Loop: Header=BB159_3 Depth=1
	s_or_b32 exec_lo, exec_lo, s12
	s_delay_alu instid0(SALU_CYCLE_1) | instskip(SKIP_2) | instid1(SALU_CYCLE_1)
	s_mov_b32 s12, exec_lo
	v_readlane_b32 s19, v108, 14
	s_and_b32 s19, s12, s19
	s_mov_b32 exec_lo, s19
	s_cbranch_execz .LBB159_498
; %bb.497:                              ;   in Loop: Header=BB159_3 Depth=1
	ds_load_b64 v[46:47], v76 offset:22528
	ds_load_b64 v[48:49], v78 offset:32608
	s_wait_dscnt 0x0
	v_dual_mul_f32 v0, v49, v47 :: v_dual_mul_f32 v27, v48, v47
	s_delay_alu instid0(VALU_DEP_1) | instskip(NEXT) | instid1(VALU_DEP_1)
	v_dual_fma_f32 v0, v48, v46, -v0 :: v_dual_fmac_f32 v27, v49, v46
	v_dual_add_f32 v44, v44, v0 :: v_dual_add_f32 v45, v45, v27
.LBB159_498:                            ;   in Loop: Header=BB159_3 Depth=1
	s_or_b32 exec_lo, exec_lo, s12
	s_delay_alu instid0(SALU_CYCLE_1) | instskip(SKIP_2) | instid1(SALU_CYCLE_1)
	s_mov_b32 s12, exec_lo
	v_readlane_b32 s19, v108, 15
	s_and_b32 s19, s12, s19
	s_mov_b32 exec_lo, s19
	s_cbranch_execz .LBB159_500
; %bb.499:                              ;   in Loop: Header=BB159_3 Depth=1
	ds_load_b64 v[46:47], v76 offset:23040
	ds_load_b64 v[48:49], v78 offset:32616
	s_wait_dscnt 0x0
	v_dual_mul_f32 v0, v49, v47 :: v_dual_mul_f32 v27, v48, v47
	s_delay_alu instid0(VALU_DEP_1) | instskip(NEXT) | instid1(VALU_DEP_1)
	v_dual_fma_f32 v0, v48, v46, -v0 :: v_dual_fmac_f32 v27, v49, v46
	v_dual_add_f32 v44, v44, v0 :: v_dual_add_f32 v45, v45, v27
.LBB159_500:                            ;   in Loop: Header=BB159_3 Depth=1
	s_or_b32 exec_lo, exec_lo, s12
	s_delay_alu instid0(SALU_CYCLE_1) | instskip(SKIP_2) | instid1(SALU_CYCLE_1)
	s_mov_b32 s12, exec_lo
	v_readlane_b32 s19, v108, 16
	s_and_b32 s19, s12, s19
	s_mov_b32 exec_lo, s19
	s_cbranch_execz .LBB159_502
; %bb.501:                              ;   in Loop: Header=BB159_3 Depth=1
	ds_load_b64 v[46:47], v76 offset:23552
	ds_load_b64 v[48:49], v78 offset:32624
	s_wait_dscnt 0x0
	v_dual_mul_f32 v0, v49, v47 :: v_dual_mul_f32 v27, v48, v47
	s_delay_alu instid0(VALU_DEP_1) | instskip(NEXT) | instid1(VALU_DEP_1)
	v_dual_fma_f32 v0, v48, v46, -v0 :: v_dual_fmac_f32 v27, v49, v46
	v_dual_add_f32 v44, v44, v0 :: v_dual_add_f32 v45, v45, v27
.LBB159_502:                            ;   in Loop: Header=BB159_3 Depth=1
	s_or_b32 exec_lo, exec_lo, s12
	s_delay_alu instid0(SALU_CYCLE_1) | instskip(SKIP_2) | instid1(SALU_CYCLE_1)
	s_mov_b32 s12, exec_lo
	v_readlane_b32 s19, v108, 17
	s_and_b32 s19, s12, s19
	s_mov_b32 exec_lo, s19
	s_cbranch_execz .LBB159_504
; %bb.503:                              ;   in Loop: Header=BB159_3 Depth=1
	ds_load_b64 v[46:47], v76 offset:24064
	ds_load_b64 v[48:49], v78 offset:32632
	s_wait_dscnt 0x0
	v_dual_mul_f32 v0, v49, v47 :: v_dual_mul_f32 v27, v48, v47
	s_delay_alu instid0(VALU_DEP_1) | instskip(NEXT) | instid1(VALU_DEP_1)
	v_dual_fma_f32 v0, v48, v46, -v0 :: v_dual_fmac_f32 v27, v49, v46
	v_dual_add_f32 v44, v44, v0 :: v_dual_add_f32 v45, v45, v27
.LBB159_504:                            ;   in Loop: Header=BB159_3 Depth=1
	s_or_b32 exec_lo, exec_lo, s12
	s_delay_alu instid0(SALU_CYCLE_1) | instskip(SKIP_2) | instid1(SALU_CYCLE_1)
	s_mov_b32 s12, exec_lo
	v_readlane_b32 s19, v108, 18
	s_and_b32 s19, s12, s19
	s_mov_b32 exec_lo, s19
	s_cbranch_execz .LBB159_506
; %bb.505:                              ;   in Loop: Header=BB159_3 Depth=1
	ds_load_b64 v[46:47], v76 offset:24576
	ds_load_b64 v[48:49], v78 offset:32640
	s_wait_dscnt 0x0
	v_dual_mul_f32 v0, v49, v47 :: v_dual_mul_f32 v27, v48, v47
	s_delay_alu instid0(VALU_DEP_1) | instskip(NEXT) | instid1(VALU_DEP_1)
	v_dual_fma_f32 v0, v48, v46, -v0 :: v_dual_fmac_f32 v27, v49, v46
	v_dual_add_f32 v44, v44, v0 :: v_dual_add_f32 v45, v45, v27
.LBB159_506:                            ;   in Loop: Header=BB159_3 Depth=1
	s_or_b32 exec_lo, exec_lo, s12
	s_delay_alu instid0(SALU_CYCLE_1) | instskip(SKIP_2) | instid1(SALU_CYCLE_1)
	s_mov_b32 s12, exec_lo
	v_readlane_b32 s19, v108, 19
	s_and_b32 s19, s12, s19
	s_mov_b32 exec_lo, s19
	s_cbranch_execz .LBB159_508
; %bb.507:                              ;   in Loop: Header=BB159_3 Depth=1
	ds_load_b64 v[46:47], v76 offset:25088
	ds_load_b64 v[48:49], v78 offset:32648
	s_wait_dscnt 0x0
	v_dual_mul_f32 v0, v49, v47 :: v_dual_mul_f32 v27, v48, v47
	s_delay_alu instid0(VALU_DEP_1) | instskip(NEXT) | instid1(VALU_DEP_1)
	v_dual_fma_f32 v0, v48, v46, -v0 :: v_dual_fmac_f32 v27, v49, v46
	v_dual_add_f32 v44, v44, v0 :: v_dual_add_f32 v45, v45, v27
.LBB159_508:                            ;   in Loop: Header=BB159_3 Depth=1
	s_or_b32 exec_lo, exec_lo, s12
	s_delay_alu instid0(SALU_CYCLE_1) | instskip(SKIP_2) | instid1(SALU_CYCLE_1)
	s_mov_b32 s12, exec_lo
	v_readlane_b32 s19, v108, 20
	s_and_b32 s19, s12, s19
	s_mov_b32 exec_lo, s19
	s_cbranch_execz .LBB159_510
; %bb.509:                              ;   in Loop: Header=BB159_3 Depth=1
	ds_load_b64 v[46:47], v76 offset:25600
	ds_load_b64 v[48:49], v78 offset:32656
	s_wait_dscnt 0x0
	v_dual_mul_f32 v0, v49, v47 :: v_dual_mul_f32 v27, v48, v47
	s_delay_alu instid0(VALU_DEP_1) | instskip(NEXT) | instid1(VALU_DEP_1)
	v_dual_fma_f32 v0, v48, v46, -v0 :: v_dual_fmac_f32 v27, v49, v46
	v_dual_add_f32 v44, v44, v0 :: v_dual_add_f32 v45, v45, v27
.LBB159_510:                            ;   in Loop: Header=BB159_3 Depth=1
	s_or_b32 exec_lo, exec_lo, s12
	s_delay_alu instid0(SALU_CYCLE_1) | instskip(SKIP_2) | instid1(SALU_CYCLE_1)
	s_mov_b32 s12, exec_lo
	v_readlane_b32 s19, v108, 21
	s_and_b32 s19, s12, s19
	s_mov_b32 exec_lo, s19
	s_cbranch_execz .LBB159_512
; %bb.511:                              ;   in Loop: Header=BB159_3 Depth=1
	ds_load_b64 v[46:47], v76 offset:26112
	ds_load_b64 v[48:49], v78 offset:32664
	s_wait_dscnt 0x0
	v_dual_mul_f32 v0, v49, v47 :: v_dual_mul_f32 v27, v48, v47
	s_delay_alu instid0(VALU_DEP_1) | instskip(NEXT) | instid1(VALU_DEP_1)
	v_dual_fma_f32 v0, v48, v46, -v0 :: v_dual_fmac_f32 v27, v49, v46
	v_dual_add_f32 v44, v44, v0 :: v_dual_add_f32 v45, v45, v27
.LBB159_512:                            ;   in Loop: Header=BB159_3 Depth=1
	s_or_b32 exec_lo, exec_lo, s12
	s_delay_alu instid0(SALU_CYCLE_1) | instskip(SKIP_2) | instid1(SALU_CYCLE_1)
	s_mov_b32 s12, exec_lo
	v_readlane_b32 s19, v108, 22
	s_and_b32 s19, s12, s19
	s_mov_b32 exec_lo, s19
	s_cbranch_execz .LBB159_514
; %bb.513:                              ;   in Loop: Header=BB159_3 Depth=1
	ds_load_b64 v[46:47], v76 offset:26624
	ds_load_b64 v[48:49], v78 offset:32672
	s_wait_dscnt 0x0
	v_dual_mul_f32 v0, v49, v47 :: v_dual_mul_f32 v27, v48, v47
	s_delay_alu instid0(VALU_DEP_1) | instskip(NEXT) | instid1(VALU_DEP_1)
	v_dual_fma_f32 v0, v48, v46, -v0 :: v_dual_fmac_f32 v27, v49, v46
	v_dual_add_f32 v44, v44, v0 :: v_dual_add_f32 v45, v45, v27
.LBB159_514:                            ;   in Loop: Header=BB159_3 Depth=1
	s_or_b32 exec_lo, exec_lo, s12
	s_delay_alu instid0(SALU_CYCLE_1) | instskip(SKIP_2) | instid1(SALU_CYCLE_1)
	s_mov_b32 s12, exec_lo
	v_readlane_b32 s19, v108, 23
	s_and_b32 s19, s12, s19
	s_mov_b32 exec_lo, s19
	s_cbranch_execz .LBB159_516
; %bb.515:                              ;   in Loop: Header=BB159_3 Depth=1
	ds_load_b64 v[46:47], v76 offset:27136
	ds_load_b64 v[48:49], v78 offset:32680
	s_wait_dscnt 0x0
	v_dual_mul_f32 v0, v49, v47 :: v_dual_mul_f32 v27, v48, v47
	s_delay_alu instid0(VALU_DEP_1) | instskip(NEXT) | instid1(VALU_DEP_1)
	v_dual_fma_f32 v0, v48, v46, -v0 :: v_dual_fmac_f32 v27, v49, v46
	v_dual_add_f32 v44, v44, v0 :: v_dual_add_f32 v45, v45, v27
.LBB159_516:                            ;   in Loop: Header=BB159_3 Depth=1
	s_or_b32 exec_lo, exec_lo, s12
	s_delay_alu instid0(SALU_CYCLE_1) | instskip(SKIP_2) | instid1(SALU_CYCLE_1)
	s_mov_b32 s12, exec_lo
	v_readlane_b32 s19, v108, 24
	s_and_b32 s19, s12, s19
	s_mov_b32 exec_lo, s19
	s_cbranch_execz .LBB159_518
; %bb.517:                              ;   in Loop: Header=BB159_3 Depth=1
	ds_load_b64 v[46:47], v76 offset:27648
	ds_load_b64 v[48:49], v78 offset:32688
	s_wait_dscnt 0x0
	v_dual_mul_f32 v0, v49, v47 :: v_dual_mul_f32 v27, v48, v47
	s_delay_alu instid0(VALU_DEP_1) | instskip(NEXT) | instid1(VALU_DEP_1)
	v_dual_fma_f32 v0, v48, v46, -v0 :: v_dual_fmac_f32 v27, v49, v46
	v_dual_add_f32 v44, v44, v0 :: v_dual_add_f32 v45, v45, v27
.LBB159_518:                            ;   in Loop: Header=BB159_3 Depth=1
	s_or_b32 exec_lo, exec_lo, s12
	s_delay_alu instid0(SALU_CYCLE_1) | instskip(SKIP_2) | instid1(SALU_CYCLE_1)
	s_mov_b32 s12, exec_lo
	v_readlane_b32 s19, v108, 25
	s_and_b32 s19, s12, s19
	s_mov_b32 exec_lo, s19
	s_cbranch_execz .LBB159_520
; %bb.519:                              ;   in Loop: Header=BB159_3 Depth=1
	ds_load_b64 v[46:47], v76 offset:28160
	ds_load_b64 v[48:49], v78 offset:32696
	s_wait_dscnt 0x0
	v_dual_mul_f32 v0, v49, v47 :: v_dual_mul_f32 v27, v48, v47
	s_delay_alu instid0(VALU_DEP_1) | instskip(NEXT) | instid1(VALU_DEP_1)
	v_dual_fma_f32 v0, v48, v46, -v0 :: v_dual_fmac_f32 v27, v49, v46
	v_dual_add_f32 v44, v44, v0 :: v_dual_add_f32 v45, v45, v27
.LBB159_520:                            ;   in Loop: Header=BB159_3 Depth=1
	s_or_b32 exec_lo, exec_lo, s12
	s_and_saveexec_b32 s12, s7
	s_cbranch_execz .LBB159_522
; %bb.521:                              ;   in Loop: Header=BB159_3 Depth=1
	ds_load_b64 v[46:47], v76 offset:28672
	ds_load_b64 v[48:49], v78 offset:32704
	s_wait_dscnt 0x0
	v_dual_mul_f32 v0, v49, v47 :: v_dual_mul_f32 v27, v48, v47
	s_delay_alu instid0(VALU_DEP_1) | instskip(NEXT) | instid1(VALU_DEP_1)
	v_dual_fma_f32 v0, v48, v46, -v0 :: v_dual_fmac_f32 v27, v49, v46
	v_dual_add_f32 v44, v44, v0 :: v_dual_add_f32 v45, v45, v27
.LBB159_522:                            ;   in Loop: Header=BB159_3 Depth=1
	s_or_b32 exec_lo, exec_lo, s12
	s_delay_alu instid0(SALU_CYCLE_1) | instskip(SKIP_2) | instid1(SALU_CYCLE_1)
	s_mov_b32 s12, exec_lo
	v_readlane_b32 s19, v109, 24
	s_and_b32 s19, s12, s19
	s_mov_b32 exec_lo, s19
	s_cbranch_execz .LBB159_524
; %bb.523:                              ;   in Loop: Header=BB159_3 Depth=1
	ds_load_b64 v[46:47], v76 offset:29184
	ds_load_b64 v[48:49], v78 offset:32712
	s_wait_dscnt 0x0
	v_dual_mul_f32 v0, v49, v47 :: v_dual_mul_f32 v27, v48, v47
	s_delay_alu instid0(VALU_DEP_1) | instskip(NEXT) | instid1(VALU_DEP_1)
	v_dual_fma_f32 v0, v48, v46, -v0 :: v_dual_fmac_f32 v27, v49, v46
	v_dual_add_f32 v44, v44, v0 :: v_dual_add_f32 v45, v45, v27
.LBB159_524:                            ;   in Loop: Header=BB159_3 Depth=1
	s_or_b32 exec_lo, exec_lo, s12
	s_delay_alu instid0(SALU_CYCLE_1) | instskip(SKIP_2) | instid1(SALU_CYCLE_1)
	s_mov_b32 s12, exec_lo
	v_readlane_b32 s19, v109, 26
	s_and_b32 s19, s12, s19
	s_mov_b32 exec_lo, s19
	;; [unrolled: 16-line block ×4, first 2 shown]
	s_cbranch_execz .LBB159_530
; %bb.529:                              ;   in Loop: Header=BB159_3 Depth=1
	ds_load_b64 v[46:47], v76 offset:30720
	ds_load_b64 v[48:49], v78 offset:32736
	s_wait_dscnt 0x0
	v_dual_mul_f32 v0, v49, v47 :: v_dual_mul_f32 v101, v48, v47
	s_delay_alu instid0(VALU_DEP_1) | instskip(NEXT) | instid1(VALU_DEP_1)
	v_dual_fma_f32 v100, v48, v46, -v0 :: v_dual_fmac_f32 v101, v49, v46
	v_pk_add_f32 v[44:45], v[44:45], v[100:101]
.LBB159_530:                            ;   in Loop: Header=BB159_3 Depth=1
	s_or_b32 exec_lo, exec_lo, s12
	s_delay_alu instid0(SALU_CYCLE_1) | instskip(SKIP_2) | instid1(SALU_CYCLE_1)
	s_mov_b32 s12, exec_lo
	v_readlane_b32 s19, v108, 0
	s_and_b32 s19, s12, s19
	s_mov_b32 exec_lo, s19
	s_cbranch_execnz .LBB159_1100
; %bb.531:                              ;   in Loop: Header=BB159_3 Depth=1
	s_or_b32 exec_lo, exec_lo, s12
	s_and_saveexec_b32 s12, s6
	s_cbranch_execnz .LBB159_1101
.LBB159_532:                            ;   in Loop: Header=BB159_3 Depth=1
	s_or_b32 exec_lo, exec_lo, s12
	s_and_saveexec_b32 s12, s20
	s_delay_alu instid0(SALU_CYCLE_1)
	s_xor_b32 s12, exec_lo, s12
	s_cbranch_execz .LBB159_534
.LBB159_533:                            ;   in Loop: Header=BB159_3 Depth=1
	ds_load_b64 v[46:47], v76 offset:32256
	ds_load_b64 v[48:49], v78 offset:32760
	s_wait_dscnt 0x0
	v_pk_mul_f32 v[100:101], v[48:49], v[46:47] op_sel:[1,1] op_sel_hi:[0,1]
	s_delay_alu instid0(VALU_DEP_1) | instskip(SKIP_1) | instid1(VALU_DEP_2)
	v_pk_fma_f32 v[102:103], v[48:49], v[46:47], v[100:101] op_sel_hi:[1,0,1]
	v_pk_fma_f32 v[46:47], v[48:49], v[46:47], v[100:101] neg_lo:[0,0,1] neg_hi:[0,0,1]
	v_mov_b32_e32 v47, v103
	s_delay_alu instid0(VALU_DEP_1)
	v_pk_add_f32 v[44:45], v[44:45], v[46:47]
.LBB159_534:                            ;   in Loop: Header=BB159_3 Depth=1
	s_or_b32 exec_lo, exec_lo, s12
.LBB159_535:                            ;   in Loop: Header=BB159_3 Depth=1
	s_delay_alu instid0(SALU_CYCLE_1)
	s_or_b32 exec_lo, exec_lo, s61
	v_dual_mov_b32 v0, v98 :: v_dual_mov_b32 v27, v97
	s_mov_b32 s12, 31
	s_branch .LBB159_537
.LBB159_536:                            ;   in Loop: Header=BB159_537 Depth=2
	s_or_b32 exec_lo, exec_lo, s19
	v_add_nc_u32_e32 v27, 0xfffff800, v27
	v_add_nc_u32_e32 v0, 4, v0
	s_add_co_i32 s12, s12, -4
	s_cmp_eq_u32 s61, 0
	s_barrier_signal -1
	s_barrier_wait -1
	s_cbranch_scc1 .LBB159_553
.LBB159_537:                            ;   Parent Loop BB159_3 Depth=1
                                        ; =>  This Inner Loop Header: Depth=2
	s_delay_alu instid0(VALU_DEP_1) | instskip(SKIP_1) | instid1(SALU_CYCLE_1)
	v_cmp_eq_u32_e32 vcc_lo, 0, v0
	s_and_b32 s61, s11, vcc_lo
	s_and_saveexec_b32 s19, s61
; %bb.538:                              ;   in Loop: Header=BB159_537 Depth=2
	v_pk_add_f32 v[46:47], v[44:45], 0 neg_lo:[1,1] neg_hi:[1,1]
	ds_store_b64 v77, v[46:47]
; %bb.539:                              ;   in Loop: Header=BB159_537 Depth=2
	s_or_b32 exec_lo, exec_lo, s19
	v_cmp_gt_u32_e32 vcc_lo, s12, v74
	s_wait_loadcnt_dscnt 0x0
	s_barrier_signal -1
	s_barrier_wait -1
	s_and_b32 s61, s11, vcc_lo
	s_delay_alu instid0(SALU_CYCLE_1)
	s_and_saveexec_b32 s19, s61
	s_cbranch_execz .LBB159_541
; %bb.540:                              ;   in Loop: Header=BB159_537 Depth=2
	ds_load_b64 v[46:47], v27 offset:1536
	ds_load_b64 v[48:49], v77
	s_wait_dscnt 0x0
	v_pk_mul_f32 v[100:101], v[48:49], v[46:47] op_sel:[1,1] op_sel_hi:[0,1]
	s_delay_alu instid0(VALU_DEP_1) | instskip(SKIP_1) | instid1(VALU_DEP_2)
	v_pk_fma_f32 v[102:103], v[48:49], v[46:47], v[100:101] op_sel_hi:[1,0,1]
	v_pk_fma_f32 v[46:47], v[48:49], v[46:47], v[100:101] neg_lo:[0,0,1] neg_hi:[0,0,1]
	v_mov_b32_e32 v47, v103
	s_delay_alu instid0(VALU_DEP_1)
	v_pk_add_f32 v[44:45], v[44:45], v[46:47] neg_lo:[0,1] neg_hi:[0,1]
.LBB159_541:                            ;   in Loop: Header=BB159_537 Depth=2
	s_or_b32 exec_lo, exec_lo, s19
	s_add_co_i32 s19, s12, -1
	s_delay_alu instid0(SALU_CYCLE_1) | instskip(SKIP_3) | instid1(SALU_CYCLE_1)
	v_cmp_eq_u32_e32 vcc_lo, s19, v74
	s_barrier_signal -1
	s_barrier_wait -1
	s_and_b32 s82, s11, vcc_lo
	s_and_saveexec_b32 s61, s82
; %bb.542:                              ;   in Loop: Header=BB159_537 Depth=2
	v_pk_add_f32 v[46:47], v[44:45], 0 neg_lo:[1,1] neg_hi:[1,1]
	ds_store_b64 v77, v[46:47]
; %bb.543:                              ;   in Loop: Header=BB159_537 Depth=2
	s_or_b32 exec_lo, exec_lo, s61
	v_cmp_gt_u32_e32 vcc_lo, s19, v74
	s_wait_dscnt 0x0
	s_barrier_signal -1
	s_barrier_wait -1
	s_and_b32 s61, s11, vcc_lo
	s_delay_alu instid0(SALU_CYCLE_1)
	s_and_saveexec_b32 s19, s61
	s_cbranch_execz .LBB159_545
; %bb.544:                              ;   in Loop: Header=BB159_537 Depth=2
	ds_load_b64 v[46:47], v27 offset:1024
	ds_load_b64 v[48:49], v77
	s_wait_dscnt 0x0
	v_pk_mul_f32 v[100:101], v[48:49], v[46:47] op_sel:[1,1] op_sel_hi:[0,1]
	s_delay_alu instid0(VALU_DEP_1) | instskip(SKIP_1) | instid1(VALU_DEP_2)
	v_pk_fma_f32 v[102:103], v[48:49], v[46:47], v[100:101] op_sel_hi:[1,0,1]
	v_pk_fma_f32 v[46:47], v[48:49], v[46:47], v[100:101] neg_lo:[0,0,1] neg_hi:[0,0,1]
	v_mov_b32_e32 v47, v103
	s_delay_alu instid0(VALU_DEP_1)
	v_pk_add_f32 v[44:45], v[44:45], v[46:47] neg_lo:[0,1] neg_hi:[0,1]
.LBB159_545:                            ;   in Loop: Header=BB159_537 Depth=2
	s_or_b32 exec_lo, exec_lo, s19
	s_add_co_i32 s19, s12, -2
	s_delay_alu instid0(SALU_CYCLE_1) | instskip(SKIP_3) | instid1(SALU_CYCLE_1)
	v_cmp_eq_u32_e32 vcc_lo, s19, v74
	s_barrier_signal -1
	s_barrier_wait -1
	s_and_b32 s82, s11, vcc_lo
	s_and_saveexec_b32 s61, s82
; %bb.546:                              ;   in Loop: Header=BB159_537 Depth=2
	v_pk_add_f32 v[46:47], v[44:45], 0 neg_lo:[1,1] neg_hi:[1,1]
	ds_store_b64 v77, v[46:47]
; %bb.547:                              ;   in Loop: Header=BB159_537 Depth=2
	s_or_b32 exec_lo, exec_lo, s61
	v_cmp_gt_u32_e32 vcc_lo, s19, v74
	s_wait_dscnt 0x0
	;; [unrolled: 33-line block ×3, first 2 shown]
	s_barrier_signal -1
	s_barrier_wait -1
	s_and_b32 s82, s11, vcc_lo
	s_delay_alu instid0(SALU_CYCLE_1)
	s_and_saveexec_b32 s19, s82
	s_cbranch_execz .LBB159_536
; %bb.552:                              ;   in Loop: Header=BB159_537 Depth=2
	ds_load_b64 v[46:47], v27
	ds_load_b64 v[48:49], v77
	s_wait_dscnt 0x0
	v_pk_mul_f32 v[100:101], v[48:49], v[46:47] op_sel:[1,1] op_sel_hi:[0,1]
	s_delay_alu instid0(VALU_DEP_1) | instskip(SKIP_1) | instid1(VALU_DEP_2)
	v_pk_fma_f32 v[102:103], v[48:49], v[46:47], v[100:101] op_sel_hi:[1,0,1]
	v_pk_fma_f32 v[46:47], v[48:49], v[46:47], v[100:101] neg_lo:[0,0,1] neg_hi:[0,0,1]
	v_mov_b32_e32 v47, v103
	s_delay_alu instid0(VALU_DEP_1)
	v_pk_add_f32 v[44:45], v[44:45], v[46:47] neg_lo:[0,1] neg_hi:[0,1]
	s_branch .LBB159_536
.LBB159_553:                            ;   in Loop: Header=BB159_3 Depth=1
	s_and_saveexec_b32 s12, s34
; %bb.554:                              ;   in Loop: Header=BB159_3 Depth=1
	ds_store_b64 v79, v[44:45] offset:32256
; %bb.555:                              ;   in Loop: Header=BB159_3 Depth=1
	s_or_b32 exec_lo, exec_lo, s12
	s_wait_dscnt 0x0
	s_barrier_signal -1
	s_barrier_wait -1
	s_barrier_signal -1
	s_barrier_wait -1
	s_mov_b32 s12, exec_lo
	v_readlane_b32 s19, v109, 6
	s_and_b32 s19, s12, s19
	s_delay_alu instid0(SALU_CYCLE_1)
	s_mov_b32 exec_lo, s19
	s_cbranch_execz .LBB159_557
; %bb.556:                              ;   in Loop: Header=BB159_3 Depth=1
	ds_load_b64 v[44:45], v85 offset:16384
	v_add_nc_u32_e32 v0, v85, v88
	s_wait_dscnt 0x0
	ds_store_b64 v0, v[44:45] offset:256
	ds_load_b64 v[44:45], v85 offset:16392
	s_wait_dscnt 0x0
	ds_store_b64 v0, v[44:45] offset:768
	ds_load_b64 v[44:45], v85 offset:16400
	;; [unrolled: 3-line block ×31, first 2 shown]
	s_wait_dscnt 0x0
	ds_store_b64 v0, v[44:45] offset:16128
.LBB159_557:                            ;   in Loop: Header=BB159_3 Depth=1
	s_or_b32 exec_lo, exec_lo, s12
	s_wait_dscnt 0x0
	s_barrier_signal -1
	s_barrier_wait -1
	s_and_saveexec_b32 s12, s10
	s_cbranch_execz .LBB159_559
; %bb.558:                              ;   in Loop: Header=BB159_3 Depth=1
	ds_load_b64 v[44:45], v1 offset:16112
	v_add_nc_u32_e64 v0, 0x3800, 0
	ds_store_b64 v1, v[30:31] offset:16120
	s_wait_dscnt 0x1
	ds_store_2addr_b64 v0, v[30:31], v[44:45] offset0:158 offset1:159
.LBB159_559:                            ;   in Loop: Header=BB159_3 Depth=1
	s_or_b32 exec_lo, exec_lo, s12
	v_dual_mov_b32 v44, 0 :: v_dual_mov_b32 v45, 0
	s_wait_dscnt 0x0
	s_barrier_signal -1
	s_barrier_wait -1
	global_wb scope:SCOPE_DEV
	s_wait_storecnt 0x0
	global_inv scope:SCOPE_DEV
	s_and_saveexec_b32 s12, s3
	s_cbranch_execz .LBB159_563
; %bb.560:                              ;   in Loop: Header=BB159_3 Depth=1
	ds_load_b64 v[44:45], v52 offset:15584
	ds_load_b64 v[46:47], v53 offset:16112
	s_wait_dscnt 0x0
	v_pk_mul_f32 v[48:49], v[46:47], v[44:45] op_sel:[1,1] op_sel_hi:[0,1]
	s_delay_alu instid0(VALU_DEP_1) | instskip(SKIP_1) | instid1(VALU_DEP_2)
	v_pk_fma_f32 v[100:101], v[46:47], v[44:45], v[48:49] op_sel_hi:[1,0,1]
	v_pk_fma_f32 v[44:45], v[46:47], v[44:45], v[48:49] neg_lo:[0,0,1] neg_hi:[0,0,1]
	v_mov_b32_e32 v45, v101
	s_delay_alu instid0(VALU_DEP_1)
	v_pk_add_f32 v[44:45], v[44:45], 0 op_sel_hi:[1,0]
	s_and_saveexec_b32 s19, s13
	s_cbranch_execz .LBB159_562
; %bb.561:                              ;   in Loop: Header=BB159_3 Depth=1
	ds_load_b64 v[46:47], v54 offset:16096
	ds_load_b64 v[48:49], v1 offset:16120
	s_wait_dscnt 0x0
	v_pk_mul_f32 v[100:101], v[48:49], v[46:47] op_sel:[1,1] op_sel_hi:[0,1]
	s_delay_alu instid0(VALU_DEP_1) | instskip(SKIP_1) | instid1(VALU_DEP_2)
	v_pk_fma_f32 v[102:103], v[48:49], v[46:47], v[100:101] op_sel_hi:[1,0,1]
	v_pk_fma_f32 v[46:47], v[48:49], v[46:47], v[100:101] neg_lo:[0,0,1] neg_hi:[0,0,1]
	v_mov_b32_e32 v47, v103
	s_delay_alu instid0(VALU_DEP_1)
	v_pk_add_f32 v[44:45], v[44:45], v[46:47]
.LBB159_562:                            ;   in Loop: Header=BB159_3 Depth=1
	s_or_b32 exec_lo, exec_lo, s19
.LBB159_563:                            ;   in Loop: Header=BB159_3 Depth=1
	s_delay_alu instid0(SALU_CYCLE_1)
	s_or_b32 exec_lo, exec_lo, s12
	s_and_saveexec_b32 s12, s90
; %bb.564:                              ;   in Loop: Header=BB159_3 Depth=1
	s_delay_alu instid0(VALU_DEP_1)
	v_pk_add_f32 v[46:47], v[44:45], 0 neg_lo:[1,1] neg_hi:[1,1]
	ds_store_b64 v51, v[46:47]
; %bb.565:                              ;   in Loop: Header=BB159_3 Depth=1
	s_or_b32 exec_lo, exec_lo, s12
	s_wait_loadcnt_dscnt 0x0
	s_barrier_signal -1
	s_barrier_wait -1
	s_and_saveexec_b32 s12, s91
	s_cbranch_execz .LBB159_567
; %bb.566:                              ;   in Loop: Header=BB159_3 Depth=1
	ds_load_b64 v[46:47], v1 offset:15072
	ds_load_b64 v[48:49], v51
	s_wait_dscnt 0x0
	v_pk_mul_f32 v[100:101], v[48:49], v[46:47] op_sel_hi:[1,0]
	s_delay_alu instid0(VALU_DEP_1) | instskip(SKIP_1) | instid1(VALU_DEP_2)
	v_pk_fma_f32 v[102:103], v[48:49], v[46:47], v[100:101] op_sel:[1,1,0] op_sel_hi:[0,1,1]
	v_pk_fma_f32 v[46:47], v[48:49], v[46:47], v[100:101] op_sel:[1,1,0] op_sel_hi:[0,1,1] neg_lo:[0,0,1] neg_hi:[0,0,1]
	v_pk_add_f32 v[48:49], v[44:45], v[102:103] neg_lo:[0,1] neg_hi:[0,1]
	s_delay_alu instid0(VALU_DEP_2) | instskip(NEXT) | instid1(VALU_DEP_2)
	v_pk_add_f32 v[44:45], v[44:45], v[46:47]
	v_mov_b32_e32 v45, v49
.LBB159_567:                            ;   in Loop: Header=BB159_3 Depth=1
	s_or_b32 exec_lo, exec_lo, s12
	s_barrier_signal -1
	s_barrier_wait -1
	s_and_saveexec_b32 s12, s91
; %bb.568:                              ;   in Loop: Header=BB159_3 Depth=1
	v_pk_add_f32 v[46:47], v[44:45], 0 neg_lo:[1,1] neg_hi:[1,1]
	ds_store_b64 v51, v[46:47]
; %bb.569:                              ;   in Loop: Header=BB159_3 Depth=1
	s_or_b32 exec_lo, exec_lo, s12
	s_wait_dscnt 0x0
	s_barrier_signal -1
	s_barrier_wait -1
	s_barrier_signal -1
	s_barrier_wait -1
	s_and_saveexec_b32 s12, s3
; %bb.570:                              ;   in Loop: Header=BB159_3 Depth=1
	ds_store_b64 v55, v[44:45] offset:16096
; %bb.571:                              ;   in Loop: Header=BB159_3 Depth=1
	s_or_b32 exec_lo, exec_lo, s12
	s_wait_dscnt 0x0
	s_barrier_signal -1
	s_barrier_wait -1
	s_barrier_signal -1
	s_barrier_wait -1
	s_and_saveexec_b32 s12, s92
	s_cbranch_execz .LBB159_573
; %bb.572:                              ;   in Loop: Header=BB159_3 Depth=1
	ds_load_b64 v[44:45], v56 offset:15584
	s_wait_dscnt 0x0
	ds_store_b64 v54, v[44:45] offset:14576
	ds_load_b64 v[44:45], v56 offset:15592
	s_wait_dscnt 0x0
	ds_store_b64 v54, v[44:45] offset:15088
.LBB159_573:                            ;   in Loop: Header=BB159_3 Depth=1
	s_or_b32 exec_lo, exec_lo, s12
	s_wait_dscnt 0x0
	s_barrier_signal -1
	s_barrier_wait -1
	s_and_saveexec_b32 s12, s10
	s_cbranch_execz .LBB159_575
; %bb.574:                              ;   in Loop: Header=BB159_3 Depth=1
	ds_load_b64 v[44:45], v1 offset:15072
	v_add_nc_u32_e64 v0, 0x3800, 0
	ds_store_b64 v1, v[30:31] offset:15080
	s_wait_dscnt 0x1
	ds_store_2addr_b64 v0, v[30:31], v[44:45] offset0:28 offset1:29
.LBB159_575:                            ;   in Loop: Header=BB159_3 Depth=1
	s_or_b32 exec_lo, exec_lo, s12
	v_mov_b64_e32 v[44:45], 0
	s_wait_dscnt 0x0
	s_barrier_signal -1
	s_barrier_wait -1
	global_wb scope:SCOPE_DEV
	s_wait_storecnt 0x0
	global_inv scope:SCOPE_DEV
	s_and_saveexec_b32 s12, s5
	s_cbranch_execz .LBB159_581
; %bb.576:                              ;   in Loop: Header=BB159_3 Depth=1
	ds_load_b64 v[44:45], v58 offset:14528
	ds_load_b64 v[46:47], v59 offset:16096
	s_wait_dscnt 0x0
	v_dual_mul_f32 v0, v47, v45 :: v_dual_mul_f32 v27, v46, v45
	s_delay_alu instid0(VALU_DEP_1) | instskip(NEXT) | instid1(VALU_DEP_1)
	v_dual_fma_f32 v0, v46, v44, -v0 :: v_dual_fmac_f32 v27, v47, v44
	v_dual_add_f32 v44, 0, v0 :: v_dual_add_f32 v45, 0, v27
	s_and_saveexec_b32 s19, s14
	s_cbranch_execnz .LBB159_1102
; %bb.577:                              ;   in Loop: Header=BB159_3 Depth=1
	s_or_b32 exec_lo, exec_lo, s19
	s_and_saveexec_b32 s19, s15
	s_cbranch_execnz .LBB159_1103
.LBB159_578:                            ;   in Loop: Header=BB159_3 Depth=1
	s_or_b32 exec_lo, exec_lo, s19
	s_and_saveexec_b32 s19, s3
	s_cbranch_execz .LBB159_580
.LBB159_579:                            ;   in Loop: Header=BB159_3 Depth=1
	ds_load_b64 v[46:47], v60 offset:16064
	ds_load_b64 v[48:49], v1 offset:16120
	s_wait_dscnt 0x0
	v_pk_mul_f32 v[100:101], v[48:49], v[46:47] op_sel:[1,1] op_sel_hi:[0,1]
	s_delay_alu instid0(VALU_DEP_1) | instskip(SKIP_1) | instid1(VALU_DEP_2)
	v_pk_fma_f32 v[102:103], v[48:49], v[46:47], v[100:101] op_sel_hi:[1,0,1]
	v_pk_fma_f32 v[46:47], v[48:49], v[46:47], v[100:101] neg_lo:[0,0,1] neg_hi:[0,0,1]
	v_mov_b32_e32 v47, v103
	s_delay_alu instid0(VALU_DEP_1)
	v_pk_add_f32 v[44:45], v[44:45], v[46:47]
.LBB159_580:                            ;   in Loop: Header=BB159_3 Depth=1
	s_or_b32 exec_lo, exec_lo, s19
.LBB159_581:                            ;   in Loop: Header=BB159_3 Depth=1
	s_delay_alu instid0(SALU_CYCLE_1)
	s_or_b32 exec_lo, exec_lo, s12
	s_and_saveexec_b32 s12, s93
; %bb.582:                              ;   in Loop: Header=BB159_3 Depth=1
	s_delay_alu instid0(VALU_DEP_1)
	v_pk_add_f32 v[46:47], v[44:45], 0 neg_lo:[1,1] neg_hi:[1,1]
	ds_store_b64 v57, v[46:47]
; %bb.583:                              ;   in Loop: Header=BB159_3 Depth=1
	s_or_b32 exec_lo, exec_lo, s12
	s_wait_loadcnt_dscnt 0x0
	s_barrier_signal -1
	s_barrier_wait -1
	s_and_saveexec_b32 s12, s94
	s_cbranch_execz .LBB159_585
; %bb.584:                              ;   in Loop: Header=BB159_3 Depth=1
	ds_load_b64 v[46:47], v58 offset:14016
	ds_load_b64 v[48:49], v57
	s_wait_dscnt 0x0
	v_pk_mul_f32 v[100:101], v[48:49], v[46:47] op_sel:[1,1] op_sel_hi:[0,1]
	s_delay_alu instid0(VALU_DEP_1) | instskip(SKIP_1) | instid1(VALU_DEP_2)
	v_pk_fma_f32 v[102:103], v[48:49], v[46:47], v[100:101] op_sel_hi:[1,0,1]
	v_pk_fma_f32 v[46:47], v[48:49], v[46:47], v[100:101] neg_lo:[0,0,1] neg_hi:[0,0,1]
	v_mov_b32_e32 v47, v103
	s_delay_alu instid0(VALU_DEP_1)
	v_pk_add_f32 v[44:45], v[44:45], v[46:47] neg_lo:[0,1] neg_hi:[0,1]
.LBB159_585:                            ;   in Loop: Header=BB159_3 Depth=1
	s_or_b32 exec_lo, exec_lo, s12
	s_barrier_signal -1
	s_barrier_wait -1
	s_and_saveexec_b32 s12, s95
; %bb.586:                              ;   in Loop: Header=BB159_3 Depth=1
	v_pk_add_f32 v[46:47], v[44:45], 0 neg_lo:[1,1] neg_hi:[1,1]
	ds_store_b64 v57, v[46:47]
; %bb.587:                              ;   in Loop: Header=BB159_3 Depth=1
	s_or_b32 exec_lo, exec_lo, s12
	s_wait_dscnt 0x0
	s_barrier_signal -1
	s_barrier_wait -1
	s_and_saveexec_b32 s12, s96
	s_cbranch_execz .LBB159_589
; %bb.588:                              ;   in Loop: Header=BB159_3 Depth=1
	ds_load_b64 v[46:47], v58 offset:13504
	ds_load_b64 v[48:49], v57
	s_wait_dscnt 0x0
	v_pk_mul_f32 v[100:101], v[48:49], v[46:47] op_sel:[1,1] op_sel_hi:[0,1]
	s_delay_alu instid0(VALU_DEP_1) | instskip(SKIP_1) | instid1(VALU_DEP_2)
	v_pk_fma_f32 v[102:103], v[48:49], v[46:47], v[100:101] op_sel_hi:[1,0,1]
	v_pk_fma_f32 v[46:47], v[48:49], v[46:47], v[100:101] neg_lo:[0,0,1] neg_hi:[0,0,1]
	v_mov_b32_e32 v47, v103
	s_delay_alu instid0(VALU_DEP_1)
	v_pk_add_f32 v[44:45], v[44:45], v[46:47] neg_lo:[0,1] neg_hi:[0,1]
.LBB159_589:                            ;   in Loop: Header=BB159_3 Depth=1
	s_or_b32 exec_lo, exec_lo, s12
	s_barrier_signal -1
	s_barrier_wait -1
	s_and_saveexec_b32 s12, s97
; %bb.590:                              ;   in Loop: Header=BB159_3 Depth=1
	v_pk_add_f32 v[46:47], v[44:45], 0 neg_lo:[1,1] neg_hi:[1,1]
	ds_store_b64 v57, v[46:47]
; %bb.591:                              ;   in Loop: Header=BB159_3 Depth=1
	s_or_b32 exec_lo, exec_lo, s12
	s_wait_dscnt 0x0
	s_barrier_signal -1
	s_barrier_wait -1
	s_and_saveexec_b32 s12, s98
	s_cbranch_execz .LBB159_593
; %bb.592:                              ;   in Loop: Header=BB159_3 Depth=1
	ds_load_b64 v[46:47], v1 offset:12992
	ds_load_b64 v[48:49], v57
	s_wait_dscnt 0x0
	v_pk_mul_f32 v[100:101], v[48:49], v[46:47] op_sel:[1,1] op_sel_hi:[0,1]
	s_delay_alu instid0(VALU_DEP_1) | instskip(SKIP_1) | instid1(VALU_DEP_2)
	v_pk_fma_f32 v[102:103], v[48:49], v[46:47], v[100:101] op_sel_hi:[1,0,1]
	v_pk_fma_f32 v[46:47], v[48:49], v[46:47], v[100:101] neg_lo:[0,0,1] neg_hi:[0,0,1]
	v_mov_b32_e32 v47, v103
	s_delay_alu instid0(VALU_DEP_1)
	v_pk_add_f32 v[44:45], v[44:45], v[46:47] neg_lo:[0,1] neg_hi:[0,1]
.LBB159_593:                            ;   in Loop: Header=BB159_3 Depth=1
	s_or_b32 exec_lo, exec_lo, s12
	s_barrier_signal -1
	s_barrier_wait -1
	s_and_saveexec_b32 s12, s98
; %bb.594:                              ;   in Loop: Header=BB159_3 Depth=1
	v_pk_add_f32 v[46:47], v[44:45], 0 neg_lo:[1,1] neg_hi:[1,1]
	ds_store_b64 v57, v[46:47]
; %bb.595:                              ;   in Loop: Header=BB159_3 Depth=1
	s_or_b32 exec_lo, exec_lo, s12
	s_wait_dscnt 0x0
	s_barrier_signal -1
	s_barrier_wait -1
	s_barrier_signal -1
	s_barrier_wait -1
	s_and_saveexec_b32 s12, s5
; %bb.596:                              ;   in Loop: Header=BB159_3 Depth=1
	ds_store_b64 v62, v[44:45] offset:16064
; %bb.597:                              ;   in Loop: Header=BB159_3 Depth=1
	s_or_b32 exec_lo, exec_lo, s12
	s_wait_dscnt 0x0
	s_barrier_signal -1
	s_barrier_wait -1
	s_barrier_signal -1
	s_barrier_wait -1
	s_and_saveexec_b32 s12, s99
	s_cbranch_execz .LBB159_599
; %bb.598:                              ;   in Loop: Header=BB159_3 Depth=1
	ds_load_b64 v[44:45], v61 offset:14528
	s_wait_dscnt 0x0
	ds_store_b64 v63, v[44:45] offset:12512
	ds_load_b64 v[44:45], v61 offset:14536
	s_wait_dscnt 0x0
	ds_store_b64 v63, v[44:45] offset:13024
	;; [unrolled: 3-line block ×4, first 2 shown]
.LBB159_599:                            ;   in Loop: Header=BB159_3 Depth=1
	s_or_b32 exec_lo, exec_lo, s12
	s_wait_dscnt 0x0
	s_barrier_signal -1
	s_barrier_wait -1
	s_and_saveexec_b32 s12, s10
	s_cbranch_execz .LBB159_601
; %bb.600:                              ;   in Loop: Header=BB159_3 Depth=1
	ds_load_b64 v[44:45], v1 offset:14032
	v_add_nc_u32_e64 v0, 0x3000, 0
	ds_store_b64 v1, v[30:31] offset:14040
	s_wait_dscnt 0x1
	ds_store_2addr_b64 v0, v[30:31], v[44:45] offset0:154 offset1:155
.LBB159_601:                            ;   in Loop: Header=BB159_3 Depth=1
	s_or_b32 exec_lo, exec_lo, s12
	v_dual_mov_b32 v44, 0 :: v_dual_mov_b32 v45, 0
	s_wait_dscnt 0x0
	s_barrier_signal -1
	s_barrier_wait -1
	global_wb scope:SCOPE_DEV
	s_wait_storecnt 0x0
	global_inv scope:SCOPE_DEV
	s_and_saveexec_b32 s12, s3
	s_cbranch_execz .LBB159_605
; %bb.602:                              ;   in Loop: Header=BB159_3 Depth=1
	ds_load_b64 v[44:45], v52 offset:13504
	ds_load_b64 v[46:47], v53 offset:14032
	s_wait_dscnt 0x0
	v_pk_mul_f32 v[48:49], v[46:47], v[44:45] op_sel:[1,1] op_sel_hi:[0,1]
	s_delay_alu instid0(VALU_DEP_1) | instskip(SKIP_1) | instid1(VALU_DEP_2)
	v_pk_fma_f32 v[100:101], v[46:47], v[44:45], v[48:49] op_sel_hi:[1,0,1]
	v_pk_fma_f32 v[44:45], v[46:47], v[44:45], v[48:49] neg_lo:[0,0,1] neg_hi:[0,0,1]
	v_mov_b32_e32 v45, v101
	s_delay_alu instid0(VALU_DEP_1)
	v_pk_add_f32 v[44:45], v[44:45], 0 op_sel_hi:[1,0]
	s_and_saveexec_b32 s19, s13
	s_cbranch_execz .LBB159_604
; %bb.603:                              ;   in Loop: Header=BB159_3 Depth=1
	ds_load_b64 v[46:47], v63 offset:14016
	ds_load_b64 v[48:49], v1 offset:14040
	s_wait_dscnt 0x0
	v_pk_mul_f32 v[100:101], v[48:49], v[46:47] op_sel:[1,1] op_sel_hi:[0,1]
	s_delay_alu instid0(VALU_DEP_1) | instskip(SKIP_1) | instid1(VALU_DEP_2)
	v_pk_fma_f32 v[102:103], v[48:49], v[46:47], v[100:101] op_sel_hi:[1,0,1]
	v_pk_fma_f32 v[46:47], v[48:49], v[46:47], v[100:101] neg_lo:[0,0,1] neg_hi:[0,0,1]
	v_mov_b32_e32 v47, v103
	s_delay_alu instid0(VALU_DEP_1)
	v_pk_add_f32 v[44:45], v[44:45], v[46:47]
.LBB159_604:                            ;   in Loop: Header=BB159_3 Depth=1
	s_or_b32 exec_lo, exec_lo, s19
.LBB159_605:                            ;   in Loop: Header=BB159_3 Depth=1
	s_delay_alu instid0(SALU_CYCLE_1)
	s_or_b32 exec_lo, exec_lo, s12
	s_and_saveexec_b32 s12, s90
; %bb.606:                              ;   in Loop: Header=BB159_3 Depth=1
	s_delay_alu instid0(VALU_DEP_1)
	v_pk_add_f32 v[46:47], v[44:45], 0 neg_lo:[1,1] neg_hi:[1,1]
	ds_store_b64 v51, v[46:47]
; %bb.607:                              ;   in Loop: Header=BB159_3 Depth=1
	s_or_b32 exec_lo, exec_lo, s12
	s_wait_loadcnt_dscnt 0x0
	s_barrier_signal -1
	s_barrier_wait -1
	s_and_saveexec_b32 s12, s91
	s_cbranch_execz .LBB159_609
; %bb.608:                              ;   in Loop: Header=BB159_3 Depth=1
	ds_load_b64 v[46:47], v1 offset:12992
	ds_load_b64 v[48:49], v51
	s_wait_dscnt 0x0
	v_pk_mul_f32 v[100:101], v[48:49], v[46:47] op_sel_hi:[1,0]
	s_delay_alu instid0(VALU_DEP_1) | instskip(SKIP_1) | instid1(VALU_DEP_2)
	v_pk_fma_f32 v[102:103], v[48:49], v[46:47], v[100:101] op_sel:[1,1,0] op_sel_hi:[0,1,1]
	v_pk_fma_f32 v[46:47], v[48:49], v[46:47], v[100:101] op_sel:[1,1,0] op_sel_hi:[0,1,1] neg_lo:[0,0,1] neg_hi:[0,0,1]
	v_pk_add_f32 v[48:49], v[44:45], v[102:103] neg_lo:[0,1] neg_hi:[0,1]
	s_delay_alu instid0(VALU_DEP_2) | instskip(NEXT) | instid1(VALU_DEP_2)
	v_pk_add_f32 v[44:45], v[44:45], v[46:47]
	v_mov_b32_e32 v45, v49
.LBB159_609:                            ;   in Loop: Header=BB159_3 Depth=1
	s_or_b32 exec_lo, exec_lo, s12
	s_barrier_signal -1
	s_barrier_wait -1
	s_and_saveexec_b32 s12, s91
; %bb.610:                              ;   in Loop: Header=BB159_3 Depth=1
	v_pk_add_f32 v[46:47], v[44:45], 0 neg_lo:[1,1] neg_hi:[1,1]
	ds_store_b64 v51, v[46:47]
; %bb.611:                              ;   in Loop: Header=BB159_3 Depth=1
	s_or_b32 exec_lo, exec_lo, s12
	s_wait_dscnt 0x0
	s_barrier_signal -1
	s_barrier_wait -1
	s_barrier_signal -1
	s_barrier_wait -1
	s_and_saveexec_b32 s12, s3
; %bb.612:                              ;   in Loop: Header=BB159_3 Depth=1
	ds_store_b64 v55, v[44:45] offset:14016
; %bb.613:                              ;   in Loop: Header=BB159_3 Depth=1
	s_or_b32 exec_lo, exec_lo, s12
	s_wait_dscnt 0x0
	s_barrier_signal -1
	s_barrier_wait -1
	s_barrier_signal -1
	s_barrier_wait -1
	s_and_saveexec_b32 s12, s92
	s_cbranch_execz .LBB159_615
; %bb.614:                              ;   in Loop: Header=BB159_3 Depth=1
	ds_load_b64 v[44:45], v64 offset:13504
	s_wait_dscnt 0x0
	ds_store_b64 v63, v[44:45] offset:12496
	ds_load_b64 v[44:45], v64 offset:13512
	s_wait_dscnt 0x0
	ds_store_b64 v63, v[44:45] offset:13008
.LBB159_615:                            ;   in Loop: Header=BB159_3 Depth=1
	s_or_b32 exec_lo, exec_lo, s12
	s_wait_dscnt 0x0
	s_barrier_signal -1
	s_barrier_wait -1
	s_and_saveexec_b32 s12, s10
	s_cbranch_execz .LBB159_617
; %bb.616:                              ;   in Loop: Header=BB159_3 Depth=1
	ds_load_b64 v[44:45], v1 offset:12992
	v_add_nc_u32_e64 v0, 0x3000, 0
	ds_store_b64 v1, v[30:31] offset:13000
	s_wait_dscnt 0x1
	ds_store_2addr_b64 v0, v[30:31], v[44:45] offset0:24 offset1:25
.LBB159_617:                            ;   in Loop: Header=BB159_3 Depth=1
	s_or_b32 exec_lo, exec_lo, s12
	v_mov_b64_e32 v[44:45], 0
	s_wait_dscnt 0x0
	s_barrier_signal -1
	s_barrier_wait -1
	global_wb scope:SCOPE_DEV
	s_wait_storecnt 0x0
	global_inv scope:SCOPE_DEV
	s_and_saveexec_b32 s12, s6
	s_cbranch_execz .LBB159_627
; %bb.618:                              ;   in Loop: Header=BB159_3 Depth=1
	ds_load_b64 v[44:45], v66 offset:12416
	ds_load_b64 v[46:47], v67 offset:16064
	s_wait_dscnt 0x0
	v_dual_mul_f32 v0, v47, v45 :: v_dual_mul_f32 v27, v46, v45
	s_delay_alu instid0(VALU_DEP_1) | instskip(NEXT) | instid1(VALU_DEP_1)
	v_dual_fma_f32 v0, v46, v44, -v0 :: v_dual_fmac_f32 v27, v47, v44
	v_dual_add_f32 v44, 0, v0 :: v_dual_add_f32 v45, 0, v27
	s_and_saveexec_b32 s19, s16
	s_cbranch_execnz .LBB159_1104
; %bb.619:                              ;   in Loop: Header=BB159_3 Depth=1
	s_or_b32 exec_lo, exec_lo, s19
	s_and_saveexec_b32 s19, s17
	s_cbranch_execnz .LBB159_1105
.LBB159_620:                            ;   in Loop: Header=BB159_3 Depth=1
	s_or_b32 exec_lo, exec_lo, s19
	s_and_saveexec_b32 s19, s18
	s_cbranch_execnz .LBB159_1106
.LBB159_621:                            ;   in Loop: Header=BB159_3 Depth=1
	s_or_b32 exec_lo, exec_lo, s19
	s_and_saveexec_b32 s19, s20
	s_cbranch_execnz .LBB159_1107
.LBB159_622:                            ;   in Loop: Header=BB159_3 Depth=1
	s_or_b32 exec_lo, exec_lo, s19
	s_and_saveexec_b32 s19, s21
	s_cbranch_execnz .LBB159_1108
.LBB159_623:                            ;   in Loop: Header=BB159_3 Depth=1
	s_or_b32 exec_lo, exec_lo, s19
	s_and_saveexec_b32 s19, s5
	s_cbranch_execnz .LBB159_1109
.LBB159_624:                            ;   in Loop: Header=BB159_3 Depth=1
	s_or_b32 exec_lo, exec_lo, s19
	s_and_saveexec_b32 s19, s15
	s_cbranch_execz .LBB159_626
.LBB159_625:                            ;   in Loop: Header=BB159_3 Depth=1
	ds_load_b64 v[46:47], v68 offset:16000
	ds_load_b64 v[48:49], v1 offset:16120
	s_wait_dscnt 0x0
	v_pk_mul_f32 v[100:101], v[48:49], v[46:47] op_sel:[1,1] op_sel_hi:[0,1]
	s_delay_alu instid0(VALU_DEP_1) | instskip(SKIP_1) | instid1(VALU_DEP_2)
	v_pk_fma_f32 v[102:103], v[48:49], v[46:47], v[100:101] op_sel_hi:[1,0,1]
	v_pk_fma_f32 v[46:47], v[48:49], v[46:47], v[100:101] neg_lo:[0,0,1] neg_hi:[0,0,1]
	v_mov_b32_e32 v47, v103
	s_delay_alu instid0(VALU_DEP_1)
	v_pk_add_f32 v[44:45], v[44:45], v[46:47]
.LBB159_626:                            ;   in Loop: Header=BB159_3 Depth=1
	s_or_b32 exec_lo, exec_lo, s19
.LBB159_627:                            ;   in Loop: Header=BB159_3 Depth=1
	s_delay_alu instid0(SALU_CYCLE_1)
	s_or_b32 exec_lo, exec_lo, s12
	s_and_saveexec_b32 s12, s100
; %bb.628:                              ;   in Loop: Header=BB159_3 Depth=1
	s_delay_alu instid0(VALU_DEP_1)
	v_pk_add_f32 v[46:47], v[44:45], 0 neg_lo:[1,1] neg_hi:[1,1]
	ds_store_b64 v65, v[46:47]
; %bb.629:                              ;   in Loop: Header=BB159_3 Depth=1
	s_or_b32 exec_lo, exec_lo, s12
	s_wait_loadcnt_dscnt 0x0
	s_barrier_signal -1
	s_barrier_wait -1
	s_and_saveexec_b32 s12, s101
	s_cbranch_execz .LBB159_631
; %bb.630:                              ;   in Loop: Header=BB159_3 Depth=1
	ds_load_b64 v[46:47], v66 offset:11904
	ds_load_b64 v[48:49], v65
	s_wait_dscnt 0x0
	v_pk_mul_f32 v[100:101], v[48:49], v[46:47] op_sel:[1,1] op_sel_hi:[0,1]
	s_delay_alu instid0(VALU_DEP_1) | instskip(SKIP_1) | instid1(VALU_DEP_2)
	v_pk_fma_f32 v[102:103], v[48:49], v[46:47], v[100:101] op_sel_hi:[1,0,1]
	v_pk_fma_f32 v[46:47], v[48:49], v[46:47], v[100:101] neg_lo:[0,0,1] neg_hi:[0,0,1]
	v_mov_b32_e32 v47, v103
	s_delay_alu instid0(VALU_DEP_1)
	v_pk_add_f32 v[44:45], v[44:45], v[46:47] neg_lo:[0,1] neg_hi:[0,1]
.LBB159_631:                            ;   in Loop: Header=BB159_3 Depth=1
	s_or_b32 exec_lo, exec_lo, s12
	s_barrier_signal -1
	s_barrier_wait -1
	s_and_saveexec_b32 s12, s102
; %bb.632:                              ;   in Loop: Header=BB159_3 Depth=1
	v_pk_add_f32 v[46:47], v[44:45], 0 neg_lo:[1,1] neg_hi:[1,1]
	ds_store_b64 v65, v[46:47]
; %bb.633:                              ;   in Loop: Header=BB159_3 Depth=1
	s_or_b32 exec_lo, exec_lo, s12
	s_wait_dscnt 0x0
	s_barrier_signal -1
	s_barrier_wait -1
	s_and_saveexec_b32 s12, s103
	s_cbranch_execz .LBB159_635
; %bb.634:                              ;   in Loop: Header=BB159_3 Depth=1
	ds_load_b64 v[46:47], v66 offset:11392
	ds_load_b64 v[48:49], v65
	s_wait_dscnt 0x0
	v_dual_mul_f32 v0, v49, v47 :: v_dual_mul_f32 v27, v48, v47
	s_delay_alu instid0(VALU_DEP_1) | instskip(NEXT) | instid1(VALU_DEP_1)
	v_dual_fma_f32 v0, v48, v46, -v0 :: v_dual_fmac_f32 v27, v49, v46
	v_dual_sub_f32 v44, v44, v0 :: v_dual_sub_f32 v45, v45, v27
.LBB159_635:                            ;   in Loop: Header=BB159_3 Depth=1
	s_or_b32 exec_lo, exec_lo, s12
	s_barrier_signal -1
	s_barrier_wait -1
	s_and_saveexec_b32 s12, s104
; %bb.636:                              ;   in Loop: Header=BB159_3 Depth=1
	v_pk_add_f32 v[46:47], v[44:45], 0 neg_lo:[1,1] neg_hi:[1,1]
	ds_store_b64 v65, v[46:47]
; %bb.637:                              ;   in Loop: Header=BB159_3 Depth=1
	s_or_b32 exec_lo, exec_lo, s12
	s_wait_dscnt 0x0
	s_barrier_signal -1
	s_barrier_wait -1
	s_and_saveexec_b32 s12, vcc_hi
	s_cbranch_execz .LBB159_639
; %bb.638:                              ;   in Loop: Header=BB159_3 Depth=1
	ds_load_b64 v[46:47], v66 offset:10880
	ds_load_b64 v[48:49], v65
	s_wait_dscnt 0x0
	v_dual_mul_f32 v0, v49, v47 :: v_dual_mul_f32 v101, v48, v47
	s_delay_alu instid0(VALU_DEP_1) | instskip(NEXT) | instid1(VALU_DEP_1)
	v_dual_fma_f32 v100, v48, v46, -v0 :: v_dual_fmac_f32 v101, v49, v46
	v_pk_add_f32 v[44:45], v[44:45], v[100:101] neg_lo:[0,1] neg_hi:[0,1]
.LBB159_639:                            ;   in Loop: Header=BB159_3 Depth=1
	s_or_b32 exec_lo, exec_lo, s12
	s_barrier_signal -1
	s_barrier_wait -1
	s_and_saveexec_b32 s12, s37
; %bb.640:                              ;   in Loop: Header=BB159_3 Depth=1
	v_pk_add_f32 v[46:47], v[44:45], 0 neg_lo:[1,1] neg_hi:[1,1]
	ds_store_b64 v65, v[46:47]
; %bb.641:                              ;   in Loop: Header=BB159_3 Depth=1
	s_or_b32 exec_lo, exec_lo, s12
	s_wait_dscnt 0x0
	s_barrier_signal -1
	s_barrier_wait -1
	s_and_saveexec_b32 s12, s38
	s_cbranch_execz .LBB159_643
; %bb.642:                              ;   in Loop: Header=BB159_3 Depth=1
	ds_load_b64 v[46:47], v66 offset:10368
	ds_load_b64 v[48:49], v65
	s_wait_dscnt 0x0
	v_pk_mul_f32 v[100:101], v[48:49], v[46:47] op_sel:[1,1] op_sel_hi:[0,1]
	s_delay_alu instid0(VALU_DEP_1) | instskip(SKIP_1) | instid1(VALU_DEP_2)
	v_pk_fma_f32 v[102:103], v[48:49], v[46:47], v[100:101] op_sel_hi:[1,0,1]
	v_pk_fma_f32 v[46:47], v[48:49], v[46:47], v[100:101] neg_lo:[0,0,1] neg_hi:[0,0,1]
	v_mov_b32_e32 v47, v103
	s_delay_alu instid0(VALU_DEP_1)
	v_pk_add_f32 v[44:45], v[44:45], v[46:47] neg_lo:[0,1] neg_hi:[0,1]
.LBB159_643:                            ;   in Loop: Header=BB159_3 Depth=1
	s_or_b32 exec_lo, exec_lo, s12
	s_barrier_signal -1
	s_barrier_wait -1
	s_and_saveexec_b32 s12, s39
; %bb.644:                              ;   in Loop: Header=BB159_3 Depth=1
	v_pk_add_f32 v[46:47], v[44:45], 0 neg_lo:[1,1] neg_hi:[1,1]
	ds_store_b64 v65, v[46:47]
; %bb.645:                              ;   in Loop: Header=BB159_3 Depth=1
	s_or_b32 exec_lo, exec_lo, s12
	s_wait_dscnt 0x0
	s_barrier_signal -1
	s_barrier_wait -1
	s_and_saveexec_b32 s12, s40
	s_cbranch_execz .LBB159_647
; %bb.646:                              ;   in Loop: Header=BB159_3 Depth=1
	ds_load_b64 v[46:47], v66 offset:9856
	ds_load_b64 v[48:49], v65
	s_wait_dscnt 0x0
	v_pk_mul_f32 v[100:101], v[48:49], v[46:47] op_sel:[1,1] op_sel_hi:[0,1]
	s_delay_alu instid0(VALU_DEP_1) | instskip(SKIP_1) | instid1(VALU_DEP_2)
	v_pk_fma_f32 v[102:103], v[48:49], v[46:47], v[100:101] op_sel_hi:[1,0,1]
	v_pk_fma_f32 v[46:47], v[48:49], v[46:47], v[100:101] neg_lo:[0,0,1] neg_hi:[0,0,1]
	v_mov_b32_e32 v47, v103
	s_delay_alu instid0(VALU_DEP_1)
	v_pk_add_f32 v[44:45], v[44:45], v[46:47] neg_lo:[0,1] neg_hi:[0,1]
.LBB159_647:                            ;   in Loop: Header=BB159_3 Depth=1
	;; [unrolled: 26-line block ×4, first 2 shown]
	s_or_b32 exec_lo, exec_lo, s12
	s_barrier_signal -1
	s_barrier_wait -1
	s_and_saveexec_b32 s12, s44
; %bb.656:                              ;   in Loop: Header=BB159_3 Depth=1
	v_pk_add_f32 v[46:47], v[44:45], 0 neg_lo:[1,1] neg_hi:[1,1]
	ds_store_b64 v65, v[46:47]
; %bb.657:                              ;   in Loop: Header=BB159_3 Depth=1
	s_or_b32 exec_lo, exec_lo, s12
	s_wait_dscnt 0x0
	s_barrier_signal -1
	s_barrier_wait -1
	s_barrier_signal -1
	s_barrier_wait -1
	s_and_saveexec_b32 s12, s6
; %bb.658:                              ;   in Loop: Header=BB159_3 Depth=1
	ds_store_b64 v69, v[44:45] offset:16000
; %bb.659:                              ;   in Loop: Header=BB159_3 Depth=1
	s_or_b32 exec_lo, exec_lo, s12
	s_wait_dscnt 0x0
	s_barrier_signal -1
	s_barrier_wait -1
	s_barrier_signal -1
	s_barrier_wait -1
	s_and_saveexec_b32 s12, s45
	s_cbranch_execz .LBB159_661
; %bb.660:                              ;   in Loop: Header=BB159_3 Depth=1
	ds_load_b64 v[44:45], v70 offset:12416
	s_wait_dscnt 0x0
	ds_store_b64 v7, v[44:45] offset:8384
	ds_load_b64 v[44:45], v70 offset:12424
	s_wait_dscnt 0x0
	ds_store_b64 v7, v[44:45] offset:8896
	;; [unrolled: 3-line block ×8, first 2 shown]
.LBB159_661:                            ;   in Loop: Header=BB159_3 Depth=1
	s_or_b32 exec_lo, exec_lo, s12
	s_wait_dscnt 0x0
	s_barrier_signal -1
	s_barrier_wait -1
	s_and_saveexec_b32 s12, s10
	s_cbranch_execz .LBB159_663
; %bb.662:                              ;   in Loop: Header=BB159_3 Depth=1
	ds_load_b64 v[44:45], v1 offset:11952
	v_add_nc_u32_e64 v0, 0x2800, 0
	ds_store_b64 v1, v[30:31] offset:11960
	s_wait_dscnt 0x1
	ds_store_2addr_b64 v0, v[30:31], v[44:45] offset0:150 offset1:151
.LBB159_663:                            ;   in Loop: Header=BB159_3 Depth=1
	s_or_b32 exec_lo, exec_lo, s12
	v_dual_mov_b32 v44, 0 :: v_dual_mov_b32 v45, 0
	s_wait_dscnt 0x0
	s_barrier_signal -1
	s_barrier_wait -1
	global_wb scope:SCOPE_DEV
	s_wait_storecnt 0x0
	global_inv scope:SCOPE_DEV
	s_and_saveexec_b32 s12, s3
	s_cbranch_execz .LBB159_667
; %bb.664:                              ;   in Loop: Header=BB159_3 Depth=1
	ds_load_b64 v[44:45], v52 offset:11424
	ds_load_b64 v[46:47], v53 offset:11952
	s_wait_dscnt 0x0
	v_pk_mul_f32 v[48:49], v[46:47], v[44:45] op_sel:[1,1] op_sel_hi:[0,1]
	s_delay_alu instid0(VALU_DEP_1) | instskip(SKIP_1) | instid1(VALU_DEP_2)
	v_pk_fma_f32 v[100:101], v[46:47], v[44:45], v[48:49] op_sel_hi:[1,0,1]
	v_pk_fma_f32 v[44:45], v[46:47], v[44:45], v[48:49] neg_lo:[0,0,1] neg_hi:[0,0,1]
	v_mov_b32_e32 v45, v101
	s_delay_alu instid0(VALU_DEP_1)
	v_pk_add_f32 v[44:45], v[44:45], 0 op_sel_hi:[1,0]
	s_and_saveexec_b32 s19, s13
	s_cbranch_execz .LBB159_666
; %bb.665:                              ;   in Loop: Header=BB159_3 Depth=1
	ds_load_b64 v[46:47], v7 offset:11936
	ds_load_b64 v[48:49], v1 offset:11960
	s_wait_dscnt 0x0
	v_pk_mul_f32 v[100:101], v[48:49], v[46:47] op_sel:[1,1] op_sel_hi:[0,1]
	s_delay_alu instid0(VALU_DEP_1) | instskip(SKIP_1) | instid1(VALU_DEP_2)
	v_pk_fma_f32 v[102:103], v[48:49], v[46:47], v[100:101] op_sel_hi:[1,0,1]
	v_pk_fma_f32 v[46:47], v[48:49], v[46:47], v[100:101] neg_lo:[0,0,1] neg_hi:[0,0,1]
	v_mov_b32_e32 v47, v103
	s_delay_alu instid0(VALU_DEP_1)
	v_pk_add_f32 v[44:45], v[44:45], v[46:47]
.LBB159_666:                            ;   in Loop: Header=BB159_3 Depth=1
	s_or_b32 exec_lo, exec_lo, s19
.LBB159_667:                            ;   in Loop: Header=BB159_3 Depth=1
	s_delay_alu instid0(SALU_CYCLE_1)
	s_or_b32 exec_lo, exec_lo, s12
	s_and_saveexec_b32 s12, s90
; %bb.668:                              ;   in Loop: Header=BB159_3 Depth=1
	s_delay_alu instid0(VALU_DEP_1)
	v_pk_add_f32 v[46:47], v[44:45], 0 neg_lo:[1,1] neg_hi:[1,1]
	ds_store_b64 v51, v[46:47]
; %bb.669:                              ;   in Loop: Header=BB159_3 Depth=1
	s_or_b32 exec_lo, exec_lo, s12
	s_wait_loadcnt_dscnt 0x0
	s_barrier_signal -1
	s_barrier_wait -1
	s_and_saveexec_b32 s12, s91
	s_cbranch_execz .LBB159_671
; %bb.670:                              ;   in Loop: Header=BB159_3 Depth=1
	ds_load_b64 v[46:47], v1 offset:10912
	ds_load_b64 v[48:49], v51
	s_wait_dscnt 0x0
	v_pk_mul_f32 v[100:101], v[48:49], v[46:47] op_sel_hi:[1,0]
	s_delay_alu instid0(VALU_DEP_1) | instskip(SKIP_1) | instid1(VALU_DEP_2)
	v_pk_fma_f32 v[102:103], v[48:49], v[46:47], v[100:101] op_sel:[1,1,0] op_sel_hi:[0,1,1]
	v_pk_fma_f32 v[46:47], v[48:49], v[46:47], v[100:101] op_sel:[1,1,0] op_sel_hi:[0,1,1] neg_lo:[0,0,1] neg_hi:[0,0,1]
	v_pk_add_f32 v[48:49], v[44:45], v[102:103] neg_lo:[0,1] neg_hi:[0,1]
	s_delay_alu instid0(VALU_DEP_2) | instskip(NEXT) | instid1(VALU_DEP_2)
	v_pk_add_f32 v[44:45], v[44:45], v[46:47]
	v_mov_b32_e32 v45, v49
.LBB159_671:                            ;   in Loop: Header=BB159_3 Depth=1
	s_or_b32 exec_lo, exec_lo, s12
	s_barrier_signal -1
	s_barrier_wait -1
	s_and_saveexec_b32 s12, s91
; %bb.672:                              ;   in Loop: Header=BB159_3 Depth=1
	v_pk_add_f32 v[46:47], v[44:45], 0 neg_lo:[1,1] neg_hi:[1,1]
	ds_store_b64 v51, v[46:47]
; %bb.673:                              ;   in Loop: Header=BB159_3 Depth=1
	s_or_b32 exec_lo, exec_lo, s12
	s_wait_dscnt 0x0
	s_barrier_signal -1
	s_barrier_wait -1
	s_barrier_signal -1
	s_barrier_wait -1
	s_and_saveexec_b32 s12, s3
; %bb.674:                              ;   in Loop: Header=BB159_3 Depth=1
	ds_store_b64 v55, v[44:45] offset:11936
; %bb.675:                              ;   in Loop: Header=BB159_3 Depth=1
	s_or_b32 exec_lo, exec_lo, s12
	s_wait_dscnt 0x0
	s_barrier_signal -1
	s_barrier_wait -1
	s_barrier_signal -1
	s_barrier_wait -1
	s_and_saveexec_b32 s12, s92
	s_cbranch_execz .LBB159_677
; %bb.676:                              ;   in Loop: Header=BB159_3 Depth=1
	ds_load_b64 v[44:45], v3 offset:11424
	s_wait_dscnt 0x0
	ds_store_b64 v7, v[44:45] offset:10416
	ds_load_b64 v[44:45], v3 offset:11432
	s_wait_dscnt 0x0
	ds_store_b64 v7, v[44:45] offset:10928
.LBB159_677:                            ;   in Loop: Header=BB159_3 Depth=1
	s_or_b32 exec_lo, exec_lo, s12
	s_wait_dscnt 0x0
	s_barrier_signal -1
	s_barrier_wait -1
	s_and_saveexec_b32 s12, s10
	s_cbranch_execz .LBB159_679
; %bb.678:                              ;   in Loop: Header=BB159_3 Depth=1
	ds_load_b64 v[44:45], v1 offset:10912
	v_add_nc_u32_e64 v0, 0x2800, 0
	ds_store_b64 v1, v[30:31] offset:10920
	s_wait_dscnt 0x1
	ds_store_2addr_b64 v0, v[30:31], v[44:45] offset0:20 offset1:21
.LBB159_679:                            ;   in Loop: Header=BB159_3 Depth=1
	s_or_b32 exec_lo, exec_lo, s12
	v_mov_b64_e32 v[44:45], 0
	s_wait_dscnt 0x0
	s_barrier_signal -1
	s_barrier_wait -1
	global_wb scope:SCOPE_DEV
	s_wait_storecnt 0x0
	global_inv scope:SCOPE_DEV
	s_and_saveexec_b32 s12, s5
	s_cbranch_execz .LBB159_685
; %bb.680:                              ;   in Loop: Header=BB159_3 Depth=1
	ds_load_b64 v[44:45], v58 offset:10368
	ds_load_b64 v[46:47], v59 offset:11936
	s_wait_dscnt 0x0
	v_dual_mul_f32 v0, v47, v45 :: v_dual_mul_f32 v27, v46, v45
	s_delay_alu instid0(VALU_DEP_1) | instskip(NEXT) | instid1(VALU_DEP_1)
	v_dual_fma_f32 v0, v46, v44, -v0 :: v_dual_fmac_f32 v27, v47, v44
	v_dual_add_f32 v44, 0, v0 :: v_dual_add_f32 v45, 0, v27
	s_and_saveexec_b32 s19, s14
	s_cbranch_execnz .LBB159_1110
; %bb.681:                              ;   in Loop: Header=BB159_3 Depth=1
	s_or_b32 exec_lo, exec_lo, s19
	s_and_saveexec_b32 s19, s15
	s_cbranch_execnz .LBB159_1111
.LBB159_682:                            ;   in Loop: Header=BB159_3 Depth=1
	s_or_b32 exec_lo, exec_lo, s19
	s_and_saveexec_b32 s19, s3
	s_cbranch_execz .LBB159_684
.LBB159_683:                            ;   in Loop: Header=BB159_3 Depth=1
	ds_load_b64 v[46:47], v80 offset:11904
	ds_load_b64 v[48:49], v1 offset:11960
	s_wait_dscnt 0x0
	v_pk_mul_f32 v[100:101], v[48:49], v[46:47] op_sel:[1,1] op_sel_hi:[0,1]
	s_delay_alu instid0(VALU_DEP_1) | instskip(SKIP_1) | instid1(VALU_DEP_2)
	v_pk_fma_f32 v[102:103], v[48:49], v[46:47], v[100:101] op_sel_hi:[1,0,1]
	v_pk_fma_f32 v[46:47], v[48:49], v[46:47], v[100:101] neg_lo:[0,0,1] neg_hi:[0,0,1]
	v_mov_b32_e32 v47, v103
	s_delay_alu instid0(VALU_DEP_1)
	v_pk_add_f32 v[44:45], v[44:45], v[46:47]
.LBB159_684:                            ;   in Loop: Header=BB159_3 Depth=1
	s_or_b32 exec_lo, exec_lo, s19
.LBB159_685:                            ;   in Loop: Header=BB159_3 Depth=1
	s_delay_alu instid0(SALU_CYCLE_1)
	s_or_b32 exec_lo, exec_lo, s12
	s_and_saveexec_b32 s12, s93
; %bb.686:                              ;   in Loop: Header=BB159_3 Depth=1
	s_delay_alu instid0(VALU_DEP_1)
	v_pk_add_f32 v[46:47], v[44:45], 0 neg_lo:[1,1] neg_hi:[1,1]
	ds_store_b64 v57, v[46:47]
; %bb.687:                              ;   in Loop: Header=BB159_3 Depth=1
	s_or_b32 exec_lo, exec_lo, s12
	s_wait_loadcnt_dscnt 0x0
	s_barrier_signal -1
	s_barrier_wait -1
	s_and_saveexec_b32 s12, s94
	s_cbranch_execz .LBB159_689
; %bb.688:                              ;   in Loop: Header=BB159_3 Depth=1
	ds_load_b64 v[46:47], v58 offset:9856
	ds_load_b64 v[48:49], v57
	s_wait_dscnt 0x0
	v_pk_mul_f32 v[100:101], v[48:49], v[46:47] op_sel:[1,1] op_sel_hi:[0,1]
	s_delay_alu instid0(VALU_DEP_1) | instskip(SKIP_1) | instid1(VALU_DEP_2)
	v_pk_fma_f32 v[102:103], v[48:49], v[46:47], v[100:101] op_sel_hi:[1,0,1]
	v_pk_fma_f32 v[46:47], v[48:49], v[46:47], v[100:101] neg_lo:[0,0,1] neg_hi:[0,0,1]
	v_mov_b32_e32 v47, v103
	s_delay_alu instid0(VALU_DEP_1)
	v_pk_add_f32 v[44:45], v[44:45], v[46:47] neg_lo:[0,1] neg_hi:[0,1]
.LBB159_689:                            ;   in Loop: Header=BB159_3 Depth=1
	s_or_b32 exec_lo, exec_lo, s12
	s_barrier_signal -1
	s_barrier_wait -1
	s_and_saveexec_b32 s12, s95
; %bb.690:                              ;   in Loop: Header=BB159_3 Depth=1
	v_pk_add_f32 v[46:47], v[44:45], 0 neg_lo:[1,1] neg_hi:[1,1]
	ds_store_b64 v57, v[46:47]
; %bb.691:                              ;   in Loop: Header=BB159_3 Depth=1
	s_or_b32 exec_lo, exec_lo, s12
	s_wait_dscnt 0x0
	s_barrier_signal -1
	s_barrier_wait -1
	s_and_saveexec_b32 s12, s96
	s_cbranch_execz .LBB159_693
; %bb.692:                              ;   in Loop: Header=BB159_3 Depth=1
	ds_load_b64 v[46:47], v58 offset:9344
	ds_load_b64 v[48:49], v57
	s_wait_dscnt 0x0
	v_pk_mul_f32 v[100:101], v[48:49], v[46:47] op_sel:[1,1] op_sel_hi:[0,1]
	s_delay_alu instid0(VALU_DEP_1) | instskip(SKIP_1) | instid1(VALU_DEP_2)
	v_pk_fma_f32 v[102:103], v[48:49], v[46:47], v[100:101] op_sel_hi:[1,0,1]
	v_pk_fma_f32 v[46:47], v[48:49], v[46:47], v[100:101] neg_lo:[0,0,1] neg_hi:[0,0,1]
	v_mov_b32_e32 v47, v103
	s_delay_alu instid0(VALU_DEP_1)
	v_pk_add_f32 v[44:45], v[44:45], v[46:47] neg_lo:[0,1] neg_hi:[0,1]
.LBB159_693:                            ;   in Loop: Header=BB159_3 Depth=1
	s_or_b32 exec_lo, exec_lo, s12
	s_barrier_signal -1
	s_barrier_wait -1
	s_and_saveexec_b32 s12, s97
; %bb.694:                              ;   in Loop: Header=BB159_3 Depth=1
	v_pk_add_f32 v[46:47], v[44:45], 0 neg_lo:[1,1] neg_hi:[1,1]
	ds_store_b64 v57, v[46:47]
; %bb.695:                              ;   in Loop: Header=BB159_3 Depth=1
	s_or_b32 exec_lo, exec_lo, s12
	s_wait_dscnt 0x0
	;; [unrolled: 26-line block ×3, first 2 shown]
	s_barrier_signal -1
	s_barrier_wait -1
	s_barrier_signal -1
	s_barrier_wait -1
	s_and_saveexec_b32 s12, s5
; %bb.700:                              ;   in Loop: Header=BB159_3 Depth=1
	ds_store_b64 v62, v[44:45] offset:11904
; %bb.701:                              ;   in Loop: Header=BB159_3 Depth=1
	s_or_b32 exec_lo, exec_lo, s12
	s_wait_dscnt 0x0
	s_barrier_signal -1
	s_barrier_wait -1
	s_barrier_signal -1
	s_barrier_wait -1
	s_and_saveexec_b32 s12, s99
	s_cbranch_execz .LBB159_703
; %bb.702:                              ;   in Loop: Header=BB159_3 Depth=1
	ds_load_b64 v[44:45], v81 offset:10368
	s_wait_dscnt 0x0
	ds_store_b64 v83, v[44:45] offset:8352
	ds_load_b64 v[44:45], v81 offset:10376
	s_wait_dscnt 0x0
	ds_store_b64 v83, v[44:45] offset:8864
	ds_load_b64 v[44:45], v81 offset:10384
	s_wait_dscnt 0x0
	ds_store_b64 v83, v[44:45] offset:9376
	ds_load_b64 v[44:45], v81 offset:10392
	s_wait_dscnt 0x0
	ds_store_b64 v83, v[44:45] offset:9888
.LBB159_703:                            ;   in Loop: Header=BB159_3 Depth=1
	s_or_b32 exec_lo, exec_lo, s12
	s_wait_dscnt 0x0
	s_barrier_signal -1
	s_barrier_wait -1
	s_and_saveexec_b32 s12, s10
	s_cbranch_execz .LBB159_705
; %bb.704:                              ;   in Loop: Header=BB159_3 Depth=1
	ds_load_b64 v[44:45], v1 offset:9872
	v_add_nc_u32_e64 v0, 0x2000, 0
	ds_store_b64 v1, v[30:31] offset:9880
	s_wait_dscnt 0x1
	ds_store_2addr_b64 v0, v[30:31], v[44:45] offset0:146 offset1:147
.LBB159_705:                            ;   in Loop: Header=BB159_3 Depth=1
	s_or_b32 exec_lo, exec_lo, s12
	v_dual_mov_b32 v44, 0 :: v_dual_mov_b32 v45, 0
	s_wait_dscnt 0x0
	s_barrier_signal -1
	s_barrier_wait -1
	global_wb scope:SCOPE_DEV
	s_wait_storecnt 0x0
	global_inv scope:SCOPE_DEV
	s_and_saveexec_b32 s12, s3
	s_cbranch_execz .LBB159_709
; %bb.706:                              ;   in Loop: Header=BB159_3 Depth=1
	ds_load_b64 v[44:45], v52 offset:9344
	ds_load_b64 v[46:47], v53 offset:9872
	s_wait_dscnt 0x0
	v_pk_mul_f32 v[48:49], v[46:47], v[44:45] op_sel:[1,1] op_sel_hi:[0,1]
	s_delay_alu instid0(VALU_DEP_1) | instskip(SKIP_1) | instid1(VALU_DEP_2)
	v_pk_fma_f32 v[100:101], v[46:47], v[44:45], v[48:49] op_sel_hi:[1,0,1]
	v_pk_fma_f32 v[44:45], v[46:47], v[44:45], v[48:49] neg_lo:[0,0,1] neg_hi:[0,0,1]
	v_mov_b32_e32 v45, v101
	s_delay_alu instid0(VALU_DEP_1)
	v_pk_add_f32 v[44:45], v[44:45], 0 op_sel_hi:[1,0]
	s_and_saveexec_b32 s19, s13
	s_cbranch_execz .LBB159_708
; %bb.707:                              ;   in Loop: Header=BB159_3 Depth=1
	ds_load_b64 v[46:47], v83 offset:9856
	ds_load_b64 v[48:49], v1 offset:9880
	s_wait_dscnt 0x0
	v_pk_mul_f32 v[100:101], v[48:49], v[46:47] op_sel:[1,1] op_sel_hi:[0,1]
	s_delay_alu instid0(VALU_DEP_1) | instskip(SKIP_1) | instid1(VALU_DEP_2)
	v_pk_fma_f32 v[102:103], v[48:49], v[46:47], v[100:101] op_sel_hi:[1,0,1]
	v_pk_fma_f32 v[46:47], v[48:49], v[46:47], v[100:101] neg_lo:[0,0,1] neg_hi:[0,0,1]
	v_mov_b32_e32 v47, v103
	s_delay_alu instid0(VALU_DEP_1)
	v_pk_add_f32 v[44:45], v[44:45], v[46:47]
.LBB159_708:                            ;   in Loop: Header=BB159_3 Depth=1
	s_or_b32 exec_lo, exec_lo, s19
.LBB159_709:                            ;   in Loop: Header=BB159_3 Depth=1
	s_delay_alu instid0(SALU_CYCLE_1)
	s_or_b32 exec_lo, exec_lo, s12
	s_and_saveexec_b32 s12, s90
; %bb.710:                              ;   in Loop: Header=BB159_3 Depth=1
	s_delay_alu instid0(VALU_DEP_1)
	v_pk_add_f32 v[46:47], v[44:45], 0 neg_lo:[1,1] neg_hi:[1,1]
	ds_store_b64 v51, v[46:47]
; %bb.711:                              ;   in Loop: Header=BB159_3 Depth=1
	s_or_b32 exec_lo, exec_lo, s12
	s_wait_loadcnt_dscnt 0x0
	s_barrier_signal -1
	s_barrier_wait -1
	s_and_saveexec_b32 s12, s91
	s_cbranch_execz .LBB159_713
; %bb.712:                              ;   in Loop: Header=BB159_3 Depth=1
	ds_load_b64 v[46:47], v1 offset:8832
	ds_load_b64 v[48:49], v51
	s_wait_dscnt 0x0
	v_pk_mul_f32 v[100:101], v[48:49], v[46:47] op_sel_hi:[1,0]
	s_delay_alu instid0(VALU_DEP_1) | instskip(SKIP_1) | instid1(VALU_DEP_2)
	v_pk_fma_f32 v[102:103], v[48:49], v[46:47], v[100:101] op_sel:[1,1,0] op_sel_hi:[0,1,1]
	v_pk_fma_f32 v[46:47], v[48:49], v[46:47], v[100:101] op_sel:[1,1,0] op_sel_hi:[0,1,1] neg_lo:[0,0,1] neg_hi:[0,0,1]
	v_pk_add_f32 v[48:49], v[44:45], v[102:103] neg_lo:[0,1] neg_hi:[0,1]
	s_delay_alu instid0(VALU_DEP_2) | instskip(NEXT) | instid1(VALU_DEP_2)
	v_pk_add_f32 v[44:45], v[44:45], v[46:47]
	v_mov_b32_e32 v45, v49
.LBB159_713:                            ;   in Loop: Header=BB159_3 Depth=1
	s_or_b32 exec_lo, exec_lo, s12
	s_barrier_signal -1
	s_barrier_wait -1
	s_and_saveexec_b32 s12, s91
; %bb.714:                              ;   in Loop: Header=BB159_3 Depth=1
	v_pk_add_f32 v[46:47], v[44:45], 0 neg_lo:[1,1] neg_hi:[1,1]
	ds_store_b64 v51, v[46:47]
; %bb.715:                              ;   in Loop: Header=BB159_3 Depth=1
	s_or_b32 exec_lo, exec_lo, s12
	s_wait_dscnt 0x0
	s_barrier_signal -1
	s_barrier_wait -1
	s_barrier_signal -1
	s_barrier_wait -1
	s_and_saveexec_b32 s12, s3
; %bb.716:                              ;   in Loop: Header=BB159_3 Depth=1
	ds_store_b64 v55, v[44:45] offset:9856
; %bb.717:                              ;   in Loop: Header=BB159_3 Depth=1
	s_or_b32 exec_lo, exec_lo, s12
	s_wait_dscnt 0x0
	s_barrier_signal -1
	s_barrier_wait -1
	s_barrier_signal -1
	s_barrier_wait -1
	s_and_saveexec_b32 s12, s92
	s_cbranch_execz .LBB159_719
; %bb.718:                              ;   in Loop: Header=BB159_3 Depth=1
	ds_load_b64 v[44:45], v85 offset:9344
	s_wait_dscnt 0x0
	ds_store_b64 v83, v[44:45] offset:8336
	ds_load_b64 v[44:45], v85 offset:9352
	s_wait_dscnt 0x0
	ds_store_b64 v83, v[44:45] offset:8848
.LBB159_719:                            ;   in Loop: Header=BB159_3 Depth=1
	s_or_b32 exec_lo, exec_lo, s12
	s_wait_dscnt 0x0
	s_barrier_signal -1
	s_barrier_wait -1
	s_and_saveexec_b32 s12, s10
	s_cbranch_execz .LBB159_721
; %bb.720:                              ;   in Loop: Header=BB159_3 Depth=1
	ds_load_b64 v[44:45], v1 offset:8832
	v_add_nc_u32_e64 v0, 0x2000, 0
	ds_store_b64 v1, v[30:31] offset:8840
	s_wait_dscnt 0x1
	ds_store_2addr_b64 v0, v[30:31], v[44:45] offset0:16 offset1:17
.LBB159_721:                            ;   in Loop: Header=BB159_3 Depth=1
	s_or_b32 exec_lo, exec_lo, s12
	v_mov_b64_e32 v[44:45], 0
	s_wait_dscnt 0x0
	s_barrier_signal -1
	s_barrier_wait -1
	global_wb scope:SCOPE_DEV
	s_wait_storecnt 0x0
	global_inv scope:SCOPE_DEV
	s_and_saveexec_b32 s61, s7
	s_cbranch_execz .LBB159_749
; %bb.722:                              ;   in Loop: Header=BB159_3 Depth=1
	ds_load_b64 v[44:45], v72 offset:8192
	ds_load_b64 v[46:47], v73 offset:16000
	s_wait_dscnt 0x0
	v_dual_mul_f32 v0, v47, v45 :: v_dual_mul_f32 v27, v46, v45
	s_delay_alu instid0(VALU_DEP_1) | instskip(NEXT) | instid1(VALU_DEP_1)
	v_dual_fma_f32 v0, v46, v44, -v0 :: v_dual_fmac_f32 v27, v47, v44
	v_dual_add_f32 v44, 0, v0 :: v_dual_add_f32 v45, 0, v27
	s_mov_b32 s12, exec_lo
	v_readlane_b32 s19, v109, 23
	s_and_b32 s19, s12, s19
	s_delay_alu instid0(SALU_CYCLE_1)
	s_mov_b32 exec_lo, s19
	s_cbranch_execz .LBB159_724
; %bb.723:                              ;   in Loop: Header=BB159_3 Depth=1
	ds_load_b64 v[46:47], v72 offset:8704
	ds_load_b64 v[48:49], v73 offset:16008
	s_wait_dscnt 0x0
	v_dual_mul_f32 v0, v49, v47 :: v_dual_mul_f32 v27, v48, v47
	s_delay_alu instid0(VALU_DEP_1) | instskip(NEXT) | instid1(VALU_DEP_1)
	v_dual_fma_f32 v0, v48, v46, -v0 :: v_dual_fmac_f32 v27, v49, v46
	v_dual_add_f32 v44, v44, v0 :: v_dual_add_f32 v45, v45, v27
.LBB159_724:                            ;   in Loop: Header=BB159_3 Depth=1
	s_or_b32 exec_lo, exec_lo, s12
	s_delay_alu instid0(SALU_CYCLE_1) | instskip(SKIP_2) | instid1(SALU_CYCLE_1)
	s_mov_b32 s12, exec_lo
	v_readlane_b32 s19, v109, 24
	s_and_b32 s19, s12, s19
	s_mov_b32 exec_lo, s19
	s_cbranch_execz .LBB159_726
; %bb.725:                              ;   in Loop: Header=BB159_3 Depth=1
	ds_load_b64 v[46:47], v72 offset:9216
	ds_load_b64 v[48:49], v73 offset:16016
	s_wait_dscnt 0x0
	v_dual_mul_f32 v0, v49, v47 :: v_dual_mul_f32 v27, v48, v47
	s_delay_alu instid0(VALU_DEP_1) | instskip(NEXT) | instid1(VALU_DEP_1)
	v_dual_fma_f32 v0, v48, v46, -v0 :: v_dual_fmac_f32 v27, v49, v46
	v_dual_add_f32 v44, v44, v0 :: v_dual_add_f32 v45, v45, v27
.LBB159_726:                            ;   in Loop: Header=BB159_3 Depth=1
	s_or_b32 exec_lo, exec_lo, s12
	s_delay_alu instid0(SALU_CYCLE_1) | instskip(SKIP_2) | instid1(SALU_CYCLE_1)
	s_mov_b32 s12, exec_lo
	v_readlane_b32 s19, v109, 25
	s_and_b32 s19, s12, s19
	;; [unrolled: 16-line block ×10, first 2 shown]
	s_mov_b32 exec_lo, s19
	s_cbranch_execnz .LBB159_1112
; %bb.743:                              ;   in Loop: Header=BB159_3 Depth=1
	s_or_b32 exec_lo, exec_lo, s12
	s_and_saveexec_b32 s12, s6
	s_cbranch_execnz .LBB159_1113
.LBB159_744:                            ;   in Loop: Header=BB159_3 Depth=1
	s_or_b32 exec_lo, exec_lo, s12
	s_and_saveexec_b32 s12, s17
	s_cbranch_execnz .LBB159_1114
.LBB159_745:                            ;   in Loop: Header=BB159_3 Depth=1
	s_or_b32 exec_lo, exec_lo, s12
	s_and_saveexec_b32 s12, s20
	s_cbranch_execnz .LBB159_1115
.LBB159_746:                            ;   in Loop: Header=BB159_3 Depth=1
	s_or_b32 exec_lo, exec_lo, s12
	s_and_saveexec_b32 s12, s5
	s_cbranch_execz .LBB159_748
.LBB159_747:                            ;   in Loop: Header=BB159_3 Depth=1
	ds_load_b64 v[46:47], v54 offset:15872
	ds_load_b64 v[48:49], v1 offset:16120
	s_wait_dscnt 0x0
	v_pk_mul_f32 v[100:101], v[48:49], v[46:47] op_sel:[1,1] op_sel_hi:[0,1]
	s_delay_alu instid0(VALU_DEP_1) | instskip(SKIP_1) | instid1(VALU_DEP_2)
	v_pk_fma_f32 v[102:103], v[48:49], v[46:47], v[100:101] op_sel_hi:[1,0,1]
	v_pk_fma_f32 v[46:47], v[48:49], v[46:47], v[100:101] neg_lo:[0,0,1] neg_hi:[0,0,1]
	v_mov_b32_e32 v47, v103
	s_delay_alu instid0(VALU_DEP_1)
	v_pk_add_f32 v[44:45], v[44:45], v[46:47]
.LBB159_748:                            ;   in Loop: Header=BB159_3 Depth=1
	s_or_b32 exec_lo, exec_lo, s12
.LBB159_749:                            ;   in Loop: Header=BB159_3 Depth=1
	s_delay_alu instid0(SALU_CYCLE_1) | instskip(NEXT) | instid1(SALU_CYCLE_1)
	s_or_b32 exec_lo, exec_lo, s61
	s_mov_b32 s12, exec_lo
	v_readlane_b32 s19, v109, 1
	s_and_b32 s19, s12, s19
	s_delay_alu instid0(SALU_CYCLE_1)
	s_mov_b32 exec_lo, s19
; %bb.750:                              ;   in Loop: Header=BB159_3 Depth=1
	v_pk_add_f32 v[46:47], v[44:45], 0 neg_lo:[1,1] neg_hi:[1,1]
	ds_store_b64 v71, v[46:47]
; %bb.751:                              ;   in Loop: Header=BB159_3 Depth=1
	s_or_b32 exec_lo, exec_lo, s12
	s_wait_loadcnt_dscnt 0x0
	s_barrier_signal -1
	s_barrier_wait -1
	s_mov_b32 s12, exec_lo
	v_readlane_b32 s19, v109, 2
	s_and_b32 s19, s12, s19
	s_delay_alu instid0(SALU_CYCLE_1)
	s_mov_b32 exec_lo, s19
	s_cbranch_execz .LBB159_753
; %bb.752:                              ;   in Loop: Header=BB159_3 Depth=1
	ds_load_b64 v[46:47], v72 offset:7680
	ds_load_b64 v[48:49], v71
	s_wait_dscnt 0x0
	v_pk_mul_f32 v[100:101], v[48:49], v[46:47] op_sel:[1,1] op_sel_hi:[0,1]
	s_delay_alu instid0(VALU_DEP_1) | instskip(SKIP_1) | instid1(VALU_DEP_2)
	v_pk_fma_f32 v[102:103], v[48:49], v[46:47], v[100:101] op_sel_hi:[1,0,1]
	v_pk_fma_f32 v[46:47], v[48:49], v[46:47], v[100:101] neg_lo:[0,0,1] neg_hi:[0,0,1]
	v_mov_b32_e32 v47, v103
	s_delay_alu instid0(VALU_DEP_1)
	v_pk_add_f32 v[44:45], v[44:45], v[46:47] neg_lo:[0,1] neg_hi:[0,1]
.LBB159_753:                            ;   in Loop: Header=BB159_3 Depth=1
	s_or_b32 exec_lo, exec_lo, s12
	s_barrier_signal -1
	s_barrier_wait -1
	s_mov_b32 s12, exec_lo
	v_readlane_b32 s19, v109, 3
	s_and_b32 s19, s12, s19
	s_delay_alu instid0(SALU_CYCLE_1)
	s_mov_b32 exec_lo, s19
; %bb.754:                              ;   in Loop: Header=BB159_3 Depth=1
	v_pk_add_f32 v[46:47], v[44:45], 0 neg_lo:[1,1] neg_hi:[1,1]
	ds_store_b64 v71, v[46:47]
; %bb.755:                              ;   in Loop: Header=BB159_3 Depth=1
	s_or_b32 exec_lo, exec_lo, s12
	s_wait_dscnt 0x0
	s_barrier_signal -1
	s_barrier_wait -1
	s_mov_b32 s12, exec_lo
	v_readlane_b32 s19, v109, 4
	s_and_b32 s19, s12, s19
	s_delay_alu instid0(SALU_CYCLE_1)
	s_mov_b32 exec_lo, s19
	s_cbranch_execz .LBB159_757
; %bb.756:                              ;   in Loop: Header=BB159_3 Depth=1
	ds_load_b64 v[46:47], v72 offset:7168
	ds_load_b64 v[48:49], v71
	s_wait_dscnt 0x0
	v_pk_mul_f32 v[100:101], v[48:49], v[46:47] op_sel:[1,1] op_sel_hi:[0,1]
	s_delay_alu instid0(VALU_DEP_1) | instskip(SKIP_1) | instid1(VALU_DEP_2)
	v_pk_fma_f32 v[102:103], v[48:49], v[46:47], v[100:101] op_sel_hi:[1,0,1]
	v_pk_fma_f32 v[46:47], v[48:49], v[46:47], v[100:101] neg_lo:[0,0,1] neg_hi:[0,0,1]
	v_mov_b32_e32 v47, v103
	s_delay_alu instid0(VALU_DEP_1)
	v_pk_add_f32 v[44:45], v[44:45], v[46:47] neg_lo:[0,1] neg_hi:[0,1]
.LBB159_757:                            ;   in Loop: Header=BB159_3 Depth=1
	s_or_b32 exec_lo, exec_lo, s12
	s_barrier_signal -1
	s_barrier_wait -1
	s_mov_b32 s12, exec_lo
	v_readlane_b32 s19, v109, 5
	s_and_b32 s19, s12, s19
	s_delay_alu instid0(SALU_CYCLE_1)
	s_mov_b32 exec_lo, s19
; %bb.758:                              ;   in Loop: Header=BB159_3 Depth=1
	v_pk_add_f32 v[46:47], v[44:45], 0 neg_lo:[1,1] neg_hi:[1,1]
	ds_store_b64 v71, v[46:47]
; %bb.759:                              ;   in Loop: Header=BB159_3 Depth=1
	s_or_b32 exec_lo, exec_lo, s12
	s_wait_dscnt 0x0
	s_barrier_signal -1
	s_barrier_wait -1
	s_and_saveexec_b32 s12, s52
	s_cbranch_execz .LBB159_761
; %bb.760:                              ;   in Loop: Header=BB159_3 Depth=1
	ds_load_b64 v[46:47], v72 offset:6656
	ds_load_b64 v[48:49], v71
	s_wait_dscnt 0x0
	v_pk_mul_f32 v[100:101], v[48:49], v[46:47] op_sel:[1,1] op_sel_hi:[0,1]
	s_delay_alu instid0(VALU_DEP_1) | instskip(SKIP_1) | instid1(VALU_DEP_2)
	v_pk_fma_f32 v[102:103], v[48:49], v[46:47], v[100:101] op_sel_hi:[1,0,1]
	v_pk_fma_f32 v[46:47], v[48:49], v[46:47], v[100:101] neg_lo:[0,0,1] neg_hi:[0,0,1]
	v_mov_b32_e32 v47, v103
	s_delay_alu instid0(VALU_DEP_1)
	v_pk_add_f32 v[44:45], v[44:45], v[46:47] neg_lo:[0,1] neg_hi:[0,1]
.LBB159_761:                            ;   in Loop: Header=BB159_3 Depth=1
	s_or_b32 exec_lo, exec_lo, s12
	s_barrier_signal -1
	s_barrier_wait -1
	s_and_saveexec_b32 s12, s53
; %bb.762:                              ;   in Loop: Header=BB159_3 Depth=1
	v_pk_add_f32 v[46:47], v[44:45], 0 neg_lo:[1,1] neg_hi:[1,1]
	ds_store_b64 v71, v[46:47]
; %bb.763:                              ;   in Loop: Header=BB159_3 Depth=1
	s_or_b32 exec_lo, exec_lo, s12
	s_wait_dscnt 0x0
	s_barrier_signal -1
	s_barrier_wait -1
	s_and_saveexec_b32 s12, s54
	s_cbranch_execz .LBB159_765
; %bb.764:                              ;   in Loop: Header=BB159_3 Depth=1
	ds_load_b64 v[46:47], v72 offset:6144
	ds_load_b64 v[48:49], v71
	s_wait_dscnt 0x0
	v_dual_mul_f32 v0, v49, v47 :: v_dual_mul_f32 v27, v48, v47
	s_delay_alu instid0(VALU_DEP_1) | instskip(NEXT) | instid1(VALU_DEP_1)
	v_dual_fma_f32 v0, v48, v46, -v0 :: v_dual_fmac_f32 v27, v49, v46
	v_dual_sub_f32 v44, v44, v0 :: v_dual_sub_f32 v45, v45, v27
.LBB159_765:                            ;   in Loop: Header=BB159_3 Depth=1
	s_or_b32 exec_lo, exec_lo, s12
	s_barrier_signal -1
	s_barrier_wait -1
	s_and_saveexec_b32 s12, s55
; %bb.766:                              ;   in Loop: Header=BB159_3 Depth=1
	v_pk_add_f32 v[46:47], v[44:45], 0 neg_lo:[1,1] neg_hi:[1,1]
	ds_store_b64 v71, v[46:47]
; %bb.767:                              ;   in Loop: Header=BB159_3 Depth=1
	s_or_b32 exec_lo, exec_lo, s12
	s_wait_dscnt 0x0
	s_barrier_signal -1
	s_barrier_wait -1
	s_and_saveexec_b32 s12, s56
	s_cbranch_execz .LBB159_769
; %bb.768:                              ;   in Loop: Header=BB159_3 Depth=1
	ds_load_b64 v[46:47], v72 offset:5632
	ds_load_b64 v[48:49], v71
	s_wait_dscnt 0x0
	v_dual_mul_f32 v0, v49, v47 :: v_dual_mul_f32 v101, v48, v47
	s_delay_alu instid0(VALU_DEP_1) | instskip(NEXT) | instid1(VALU_DEP_1)
	v_dual_fma_f32 v100, v48, v46, -v0 :: v_dual_fmac_f32 v101, v49, v46
	v_pk_add_f32 v[44:45], v[44:45], v[100:101] neg_lo:[0,1] neg_hi:[0,1]
.LBB159_769:                            ;   in Loop: Header=BB159_3 Depth=1
	s_or_b32 exec_lo, exec_lo, s12
	s_barrier_signal -1
	s_barrier_wait -1
	s_and_saveexec_b32 s12, s57
; %bb.770:                              ;   in Loop: Header=BB159_3 Depth=1
	v_pk_add_f32 v[46:47], v[44:45], 0 neg_lo:[1,1] neg_hi:[1,1]
	ds_store_b64 v71, v[46:47]
; %bb.771:                              ;   in Loop: Header=BB159_3 Depth=1
	s_or_b32 exec_lo, exec_lo, s12
	s_wait_dscnt 0x0
	s_barrier_signal -1
	s_barrier_wait -1
	s_and_saveexec_b32 s12, s58
	s_cbranch_execz .LBB159_773
; %bb.772:                              ;   in Loop: Header=BB159_3 Depth=1
	ds_load_b64 v[46:47], v72 offset:5120
	ds_load_b64 v[48:49], v71
	s_wait_dscnt 0x0
	v_pk_mul_f32 v[100:101], v[48:49], v[46:47] op_sel:[1,1] op_sel_hi:[0,1]
	s_delay_alu instid0(VALU_DEP_1) | instskip(SKIP_1) | instid1(VALU_DEP_2)
	v_pk_fma_f32 v[102:103], v[48:49], v[46:47], v[100:101] op_sel_hi:[1,0,1]
	v_pk_fma_f32 v[46:47], v[48:49], v[46:47], v[100:101] neg_lo:[0,0,1] neg_hi:[0,0,1]
	v_mov_b32_e32 v47, v103
	s_delay_alu instid0(VALU_DEP_1)
	v_pk_add_f32 v[44:45], v[44:45], v[46:47] neg_lo:[0,1] neg_hi:[0,1]
.LBB159_773:                            ;   in Loop: Header=BB159_3 Depth=1
	s_or_b32 exec_lo, exec_lo, s12
	s_barrier_signal -1
	s_barrier_wait -1
	s_and_saveexec_b32 s12, s59
; %bb.774:                              ;   in Loop: Header=BB159_3 Depth=1
	v_pk_add_f32 v[46:47], v[44:45], 0 neg_lo:[1,1] neg_hi:[1,1]
	ds_store_b64 v71, v[46:47]
; %bb.775:                              ;   in Loop: Header=BB159_3 Depth=1
	s_or_b32 exec_lo, exec_lo, s12
	s_wait_dscnt 0x0
	s_barrier_signal -1
	s_barrier_wait -1
	s_and_saveexec_b32 s12, s60
	s_cbranch_execz .LBB159_777
; %bb.776:                              ;   in Loop: Header=BB159_3 Depth=1
	ds_load_b64 v[46:47], v72 offset:4608
	ds_load_b64 v[48:49], v71
	s_wait_dscnt 0x0
	v_pk_mul_f32 v[100:101], v[48:49], v[46:47] op_sel:[1,1] op_sel_hi:[0,1]
	s_delay_alu instid0(VALU_DEP_1) | instskip(SKIP_1) | instid1(VALU_DEP_2)
	v_pk_fma_f32 v[102:103], v[48:49], v[46:47], v[100:101] op_sel_hi:[1,0,1]
	v_pk_fma_f32 v[46:47], v[48:49], v[46:47], v[100:101] neg_lo:[0,0,1] neg_hi:[0,0,1]
	v_mov_b32_e32 v47, v103
	s_delay_alu instid0(VALU_DEP_1)
	v_pk_add_f32 v[44:45], v[44:45], v[46:47] neg_lo:[0,1] neg_hi:[0,1]
.LBB159_777:                            ;   in Loop: Header=BB159_3 Depth=1
	;; [unrolled: 26-line block ×4, first 2 shown]
	s_or_b32 exec_lo, exec_lo, s12
	s_barrier_signal -1
	s_barrier_wait -1
	s_and_saveexec_b32 s12, s30
; %bb.786:                              ;   in Loop: Header=BB159_3 Depth=1
	v_pk_add_f32 v[46:47], v[44:45], 0 neg_lo:[1,1] neg_hi:[1,1]
	ds_store_b64 v71, v[46:47]
; %bb.787:                              ;   in Loop: Header=BB159_3 Depth=1
	s_or_b32 exec_lo, exec_lo, s12
	s_wait_dscnt 0x0
	s_barrier_signal -1
	s_barrier_wait -1
	s_and_saveexec_b32 s12, s33
	s_cbranch_execz .LBB159_789
; %bb.788:                              ;   in Loop: Header=BB159_3 Depth=1
	ds_load_b64 v[46:47], v72 offset:3072
	ds_load_b64 v[48:49], v71
	s_wait_dscnt 0x0
	v_dual_mul_f32 v0, v49, v47 :: v_dual_mul_f32 v27, v48, v47
	s_delay_alu instid0(VALU_DEP_1) | instskip(NEXT) | instid1(VALU_DEP_1)
	v_dual_fma_f32 v0, v48, v46, -v0 :: v_dual_fmac_f32 v27, v49, v46
	v_dual_sub_f32 v44, v44, v0 :: v_dual_sub_f32 v45, v45, v27
.LBB159_789:                            ;   in Loop: Header=BB159_3 Depth=1
	s_or_b32 exec_lo, exec_lo, s12
	s_barrier_signal -1
	s_barrier_wait -1
	s_and_saveexec_b32 s12, s47
; %bb.790:                              ;   in Loop: Header=BB159_3 Depth=1
	v_pk_add_f32 v[46:47], v[44:45], 0 neg_lo:[1,1] neg_hi:[1,1]
	ds_store_b64 v71, v[46:47]
; %bb.791:                              ;   in Loop: Header=BB159_3 Depth=1
	s_or_b32 exec_lo, exec_lo, s12
	s_wait_dscnt 0x0
	s_barrier_signal -1
	s_barrier_wait -1
	s_and_saveexec_b32 s12, s78
	s_cbranch_execz .LBB159_793
; %bb.792:                              ;   in Loop: Header=BB159_3 Depth=1
	ds_load_b64 v[46:47], v72 offset:2560
	ds_load_b64 v[48:49], v71
	s_wait_dscnt 0x0
	v_dual_mul_f32 v0, v49, v47 :: v_dual_mul_f32 v101, v48, v47
	s_delay_alu instid0(VALU_DEP_1) | instskip(NEXT) | instid1(VALU_DEP_1)
	v_dual_fma_f32 v100, v48, v46, -v0 :: v_dual_fmac_f32 v101, v49, v46
	v_pk_add_f32 v[44:45], v[44:45], v[100:101] neg_lo:[0,1] neg_hi:[0,1]
.LBB159_793:                            ;   in Loop: Header=BB159_3 Depth=1
	s_or_b32 exec_lo, exec_lo, s12
	s_barrier_signal -1
	s_barrier_wait -1
	s_and_saveexec_b32 s12, s79
; %bb.794:                              ;   in Loop: Header=BB159_3 Depth=1
	v_pk_add_f32 v[46:47], v[44:45], 0 neg_lo:[1,1] neg_hi:[1,1]
	ds_store_b64 v71, v[46:47]
; %bb.795:                              ;   in Loop: Header=BB159_3 Depth=1
	s_or_b32 exec_lo, exec_lo, s12
	s_wait_dscnt 0x0
	s_barrier_signal -1
	s_barrier_wait -1
	s_and_saveexec_b32 s12, s72
	s_cbranch_execz .LBB159_797
; %bb.796:                              ;   in Loop: Header=BB159_3 Depth=1
	ds_load_b64 v[46:47], v72 offset:2048
	ds_load_b64 v[48:49], v71
	s_wait_dscnt 0x0
	v_pk_mul_f32 v[100:101], v[48:49], v[46:47] op_sel:[1,1] op_sel_hi:[0,1]
	s_delay_alu instid0(VALU_DEP_1) | instskip(SKIP_1) | instid1(VALU_DEP_2)
	v_pk_fma_f32 v[102:103], v[48:49], v[46:47], v[100:101] op_sel_hi:[1,0,1]
	v_pk_fma_f32 v[46:47], v[48:49], v[46:47], v[100:101] neg_lo:[0,0,1] neg_hi:[0,0,1]
	v_mov_b32_e32 v47, v103
	s_delay_alu instid0(VALU_DEP_1)
	v_pk_add_f32 v[44:45], v[44:45], v[46:47] neg_lo:[0,1] neg_hi:[0,1]
.LBB159_797:                            ;   in Loop: Header=BB159_3 Depth=1
	s_or_b32 exec_lo, exec_lo, s12
	s_barrier_signal -1
	s_barrier_wait -1
	s_and_saveexec_b32 s12, s73
; %bb.798:                              ;   in Loop: Header=BB159_3 Depth=1
	v_pk_add_f32 v[46:47], v[44:45], 0 neg_lo:[1,1] neg_hi:[1,1]
	ds_store_b64 v71, v[46:47]
; %bb.799:                              ;   in Loop: Header=BB159_3 Depth=1
	s_or_b32 exec_lo, exec_lo, s12
	s_wait_dscnt 0x0
	s_barrier_signal -1
	s_barrier_wait -1
	s_and_saveexec_b32 s12, s23
	s_cbranch_execz .LBB159_801
; %bb.800:                              ;   in Loop: Header=BB159_3 Depth=1
	ds_load_b64 v[46:47], v72 offset:1536
	ds_load_b64 v[48:49], v71
	s_wait_dscnt 0x0
	v_pk_mul_f32 v[100:101], v[48:49], v[46:47] op_sel:[1,1] op_sel_hi:[0,1]
	s_delay_alu instid0(VALU_DEP_1) | instskip(SKIP_1) | instid1(VALU_DEP_2)
	v_pk_fma_f32 v[102:103], v[48:49], v[46:47], v[100:101] op_sel_hi:[1,0,1]
	v_pk_fma_f32 v[46:47], v[48:49], v[46:47], v[100:101] neg_lo:[0,0,1] neg_hi:[0,0,1]
	v_mov_b32_e32 v47, v103
	s_delay_alu instid0(VALU_DEP_1)
	v_pk_add_f32 v[44:45], v[44:45], v[46:47] neg_lo:[0,1] neg_hi:[0,1]
.LBB159_801:                            ;   in Loop: Header=BB159_3 Depth=1
	;; [unrolled: 26-line block ×4, first 2 shown]
	s_or_b32 exec_lo, exec_lo, s12
	s_barrier_signal -1
	s_barrier_wait -1
	s_and_saveexec_b32 s12, s31
; %bb.810:                              ;   in Loop: Header=BB159_3 Depth=1
	v_pk_add_f32 v[46:47], v[44:45], 0 neg_lo:[1,1] neg_hi:[1,1]
	ds_store_b64 v71, v[46:47]
; %bb.811:                              ;   in Loop: Header=BB159_3 Depth=1
	s_or_b32 exec_lo, exec_lo, s12
	s_wait_dscnt 0x0
	s_barrier_signal -1
	s_barrier_wait -1
	s_barrier_signal -1
	s_barrier_wait -1
	s_and_saveexec_b32 s12, s7
; %bb.812:                              ;   in Loop: Header=BB159_3 Depth=1
	ds_store_b64 v75, v[44:45] offset:15872
; %bb.813:                              ;   in Loop: Header=BB159_3 Depth=1
	s_or_b32 exec_lo, exec_lo, s12
	s_wait_dscnt 0x0
	s_barrier_signal -1
	s_barrier_wait -1
	s_barrier_signal -1
	s_barrier_wait -1
	s_and_saveexec_b32 s12, s87
	s_cbranch_execz .LBB159_815
; %bb.814:                              ;   in Loop: Header=BB159_3 Depth=1
	ds_load_b64 v[44:45], v56 offset:8192
	s_wait_dscnt 0x0
	ds_store_b64 v60, v[44:45] offset:128
	ds_load_b64 v[44:45], v56 offset:8200
	s_wait_dscnt 0x0
	ds_store_b64 v60, v[44:45] offset:640
	;; [unrolled: 3-line block ×16, first 2 shown]
.LBB159_815:                            ;   in Loop: Header=BB159_3 Depth=1
	s_or_b32 exec_lo, exec_lo, s12
	s_wait_dscnt 0x0
	s_barrier_signal -1
	s_barrier_wait -1
	s_and_saveexec_b32 s12, s10
	s_cbranch_execz .LBB159_817
; %bb.816:                              ;   in Loop: Header=BB159_3 Depth=1
	ds_load_b64 v[44:45], v1 offset:7792
	v_add_nc_u32_e64 v0, 0x1800, 0
	ds_store_b64 v1, v[30:31] offset:7800
	s_wait_dscnt 0x1
	ds_store_2addr_b64 v0, v[30:31], v[44:45] offset0:142 offset1:143
.LBB159_817:                            ;   in Loop: Header=BB159_3 Depth=1
	s_or_b32 exec_lo, exec_lo, s12
	v_dual_mov_b32 v44, 0 :: v_dual_mov_b32 v45, 0
	s_wait_dscnt 0x0
	s_barrier_signal -1
	s_barrier_wait -1
	global_wb scope:SCOPE_DEV
	s_wait_storecnt 0x0
	global_inv scope:SCOPE_DEV
	s_and_saveexec_b32 s12, s3
	s_cbranch_execz .LBB159_821
; %bb.818:                              ;   in Loop: Header=BB159_3 Depth=1
	ds_load_b64 v[44:45], v52 offset:7264
	ds_load_b64 v[46:47], v53 offset:7792
	s_wait_dscnt 0x0
	v_pk_mul_f32 v[48:49], v[46:47], v[44:45] op_sel:[1,1] op_sel_hi:[0,1]
	s_delay_alu instid0(VALU_DEP_1) | instskip(SKIP_1) | instid1(VALU_DEP_2)
	v_pk_fma_f32 v[100:101], v[46:47], v[44:45], v[48:49] op_sel_hi:[1,0,1]
	v_pk_fma_f32 v[44:45], v[46:47], v[44:45], v[48:49] neg_lo:[0,0,1] neg_hi:[0,0,1]
	v_mov_b32_e32 v45, v101
	s_delay_alu instid0(VALU_DEP_1)
	v_pk_add_f32 v[44:45], v[44:45], 0 op_sel_hi:[1,0]
	s_and_saveexec_b32 s19, s13
	s_cbranch_execz .LBB159_820
; %bb.819:                              ;   in Loop: Header=BB159_3 Depth=1
	ds_load_b64 v[46:47], v54 offset:7776
	ds_load_b64 v[48:49], v1 offset:7800
	s_wait_dscnt 0x0
	v_pk_mul_f32 v[100:101], v[48:49], v[46:47] op_sel:[1,1] op_sel_hi:[0,1]
	s_delay_alu instid0(VALU_DEP_1) | instskip(SKIP_1) | instid1(VALU_DEP_2)
	v_pk_fma_f32 v[102:103], v[48:49], v[46:47], v[100:101] op_sel_hi:[1,0,1]
	v_pk_fma_f32 v[46:47], v[48:49], v[46:47], v[100:101] neg_lo:[0,0,1] neg_hi:[0,0,1]
	v_mov_b32_e32 v47, v103
	s_delay_alu instid0(VALU_DEP_1)
	v_pk_add_f32 v[44:45], v[44:45], v[46:47]
.LBB159_820:                            ;   in Loop: Header=BB159_3 Depth=1
	s_or_b32 exec_lo, exec_lo, s19
.LBB159_821:                            ;   in Loop: Header=BB159_3 Depth=1
	s_delay_alu instid0(SALU_CYCLE_1)
	s_or_b32 exec_lo, exec_lo, s12
	s_and_saveexec_b32 s12, s90
; %bb.822:                              ;   in Loop: Header=BB159_3 Depth=1
	s_delay_alu instid0(VALU_DEP_1)
	v_pk_add_f32 v[46:47], v[44:45], 0 neg_lo:[1,1] neg_hi:[1,1]
	ds_store_b64 v51, v[46:47]
; %bb.823:                              ;   in Loop: Header=BB159_3 Depth=1
	s_or_b32 exec_lo, exec_lo, s12
	s_wait_loadcnt_dscnt 0x0
	s_barrier_signal -1
	s_barrier_wait -1
	s_and_saveexec_b32 s12, s91
	s_cbranch_execz .LBB159_825
; %bb.824:                              ;   in Loop: Header=BB159_3 Depth=1
	ds_load_b64 v[46:47], v1 offset:6752
	ds_load_b64 v[48:49], v51
	s_wait_dscnt 0x0
	v_pk_mul_f32 v[100:101], v[48:49], v[46:47] op_sel_hi:[1,0]
	s_delay_alu instid0(VALU_DEP_1) | instskip(SKIP_1) | instid1(VALU_DEP_2)
	v_pk_fma_f32 v[102:103], v[48:49], v[46:47], v[100:101] op_sel:[1,1,0] op_sel_hi:[0,1,1]
	v_pk_fma_f32 v[46:47], v[48:49], v[46:47], v[100:101] op_sel:[1,1,0] op_sel_hi:[0,1,1] neg_lo:[0,0,1] neg_hi:[0,0,1]
	v_pk_add_f32 v[48:49], v[44:45], v[102:103] neg_lo:[0,1] neg_hi:[0,1]
	s_delay_alu instid0(VALU_DEP_2) | instskip(NEXT) | instid1(VALU_DEP_2)
	v_pk_add_f32 v[44:45], v[44:45], v[46:47]
	v_mov_b32_e32 v45, v49
.LBB159_825:                            ;   in Loop: Header=BB159_3 Depth=1
	s_or_b32 exec_lo, exec_lo, s12
	s_barrier_signal -1
	s_barrier_wait -1
	s_and_saveexec_b32 s12, s91
; %bb.826:                              ;   in Loop: Header=BB159_3 Depth=1
	v_pk_add_f32 v[46:47], v[44:45], 0 neg_lo:[1,1] neg_hi:[1,1]
	ds_store_b64 v51, v[46:47]
; %bb.827:                              ;   in Loop: Header=BB159_3 Depth=1
	s_or_b32 exec_lo, exec_lo, s12
	s_wait_dscnt 0x0
	s_barrier_signal -1
	s_barrier_wait -1
	s_barrier_signal -1
	s_barrier_wait -1
	s_and_saveexec_b32 s12, s3
; %bb.828:                              ;   in Loop: Header=BB159_3 Depth=1
	ds_store_b64 v55, v[44:45] offset:7776
; %bb.829:                              ;   in Loop: Header=BB159_3 Depth=1
	s_or_b32 exec_lo, exec_lo, s12
	s_wait_dscnt 0x0
	s_barrier_signal -1
	s_barrier_wait -1
	s_barrier_signal -1
	s_barrier_wait -1
	s_and_saveexec_b32 s12, s92
	s_cbranch_execz .LBB159_831
; %bb.830:                              ;   in Loop: Header=BB159_3 Depth=1
	ds_load_b64 v[44:45], v56 offset:7264
	s_wait_dscnt 0x0
	ds_store_b64 v54, v[44:45] offset:6256
	ds_load_b64 v[44:45], v56 offset:7272
	s_wait_dscnt 0x0
	ds_store_b64 v54, v[44:45] offset:6768
.LBB159_831:                            ;   in Loop: Header=BB159_3 Depth=1
	s_or_b32 exec_lo, exec_lo, s12
	s_wait_dscnt 0x0
	s_barrier_signal -1
	s_barrier_wait -1
	s_and_saveexec_b32 s12, s10
	s_cbranch_execz .LBB159_833
; %bb.832:                              ;   in Loop: Header=BB159_3 Depth=1
	ds_load_b64 v[44:45], v1 offset:6752
	v_add_nc_u32_e64 v0, 0x1800, 0
	ds_store_b64 v1, v[30:31] offset:6760
	s_wait_dscnt 0x1
	ds_store_2addr_b64 v0, v[30:31], v[44:45] offset0:12 offset1:13
.LBB159_833:                            ;   in Loop: Header=BB159_3 Depth=1
	s_or_b32 exec_lo, exec_lo, s12
	v_mov_b64_e32 v[44:45], 0
	s_wait_dscnt 0x0
	s_barrier_signal -1
	s_barrier_wait -1
	global_wb scope:SCOPE_DEV
	s_wait_storecnt 0x0
	global_inv scope:SCOPE_DEV
	s_and_saveexec_b32 s12, s5
	s_cbranch_execz .LBB159_839
; %bb.834:                              ;   in Loop: Header=BB159_3 Depth=1
	ds_load_b64 v[44:45], v58 offset:6208
	ds_load_b64 v[46:47], v59 offset:7776
	s_wait_dscnt 0x0
	v_dual_mul_f32 v0, v47, v45 :: v_dual_mul_f32 v27, v46, v45
	s_delay_alu instid0(VALU_DEP_1) | instskip(NEXT) | instid1(VALU_DEP_1)
	v_dual_fma_f32 v0, v46, v44, -v0 :: v_dual_fmac_f32 v27, v47, v44
	v_dual_add_f32 v44, 0, v0 :: v_dual_add_f32 v45, 0, v27
	s_and_saveexec_b32 s19, s14
	s_cbranch_execnz .LBB159_1116
; %bb.835:                              ;   in Loop: Header=BB159_3 Depth=1
	s_or_b32 exec_lo, exec_lo, s19
	s_and_saveexec_b32 s19, s15
	s_cbranch_execnz .LBB159_1117
.LBB159_836:                            ;   in Loop: Header=BB159_3 Depth=1
	s_or_b32 exec_lo, exec_lo, s19
	s_and_saveexec_b32 s19, s3
	s_cbranch_execz .LBB159_838
.LBB159_837:                            ;   in Loop: Header=BB159_3 Depth=1
	ds_load_b64 v[46:47], v60 offset:7744
	ds_load_b64 v[48:49], v1 offset:7800
	s_wait_dscnt 0x0
	v_pk_mul_f32 v[100:101], v[48:49], v[46:47] op_sel:[1,1] op_sel_hi:[0,1]
	s_delay_alu instid0(VALU_DEP_1) | instskip(SKIP_1) | instid1(VALU_DEP_2)
	v_pk_fma_f32 v[102:103], v[48:49], v[46:47], v[100:101] op_sel_hi:[1,0,1]
	v_pk_fma_f32 v[46:47], v[48:49], v[46:47], v[100:101] neg_lo:[0,0,1] neg_hi:[0,0,1]
	v_mov_b32_e32 v47, v103
	s_delay_alu instid0(VALU_DEP_1)
	v_pk_add_f32 v[44:45], v[44:45], v[46:47]
.LBB159_838:                            ;   in Loop: Header=BB159_3 Depth=1
	s_or_b32 exec_lo, exec_lo, s19
.LBB159_839:                            ;   in Loop: Header=BB159_3 Depth=1
	s_delay_alu instid0(SALU_CYCLE_1)
	s_or_b32 exec_lo, exec_lo, s12
	s_and_saveexec_b32 s12, s93
; %bb.840:                              ;   in Loop: Header=BB159_3 Depth=1
	s_delay_alu instid0(VALU_DEP_1)
	v_pk_add_f32 v[46:47], v[44:45], 0 neg_lo:[1,1] neg_hi:[1,1]
	ds_store_b64 v57, v[46:47]
; %bb.841:                              ;   in Loop: Header=BB159_3 Depth=1
	s_or_b32 exec_lo, exec_lo, s12
	s_wait_loadcnt_dscnt 0x0
	s_barrier_signal -1
	s_barrier_wait -1
	s_and_saveexec_b32 s12, s94
	s_cbranch_execz .LBB159_843
; %bb.842:                              ;   in Loop: Header=BB159_3 Depth=1
	ds_load_b64 v[46:47], v58 offset:5696
	ds_load_b64 v[48:49], v57
	s_wait_dscnt 0x0
	v_pk_mul_f32 v[100:101], v[48:49], v[46:47] op_sel:[1,1] op_sel_hi:[0,1]
	s_delay_alu instid0(VALU_DEP_1) | instskip(SKIP_1) | instid1(VALU_DEP_2)
	v_pk_fma_f32 v[102:103], v[48:49], v[46:47], v[100:101] op_sel_hi:[1,0,1]
	v_pk_fma_f32 v[46:47], v[48:49], v[46:47], v[100:101] neg_lo:[0,0,1] neg_hi:[0,0,1]
	v_mov_b32_e32 v47, v103
	s_delay_alu instid0(VALU_DEP_1)
	v_pk_add_f32 v[44:45], v[44:45], v[46:47] neg_lo:[0,1] neg_hi:[0,1]
.LBB159_843:                            ;   in Loop: Header=BB159_3 Depth=1
	s_or_b32 exec_lo, exec_lo, s12
	s_barrier_signal -1
	s_barrier_wait -1
	s_and_saveexec_b32 s12, s95
; %bb.844:                              ;   in Loop: Header=BB159_3 Depth=1
	v_pk_add_f32 v[46:47], v[44:45], 0 neg_lo:[1,1] neg_hi:[1,1]
	ds_store_b64 v57, v[46:47]
; %bb.845:                              ;   in Loop: Header=BB159_3 Depth=1
	s_or_b32 exec_lo, exec_lo, s12
	s_wait_dscnt 0x0
	s_barrier_signal -1
	s_barrier_wait -1
	s_and_saveexec_b32 s12, s96
	s_cbranch_execz .LBB159_847
; %bb.846:                              ;   in Loop: Header=BB159_3 Depth=1
	ds_load_b64 v[46:47], v58 offset:5184
	ds_load_b64 v[48:49], v57
	s_wait_dscnt 0x0
	v_pk_mul_f32 v[100:101], v[48:49], v[46:47] op_sel:[1,1] op_sel_hi:[0,1]
	s_delay_alu instid0(VALU_DEP_1) | instskip(SKIP_1) | instid1(VALU_DEP_2)
	v_pk_fma_f32 v[102:103], v[48:49], v[46:47], v[100:101] op_sel_hi:[1,0,1]
	v_pk_fma_f32 v[46:47], v[48:49], v[46:47], v[100:101] neg_lo:[0,0,1] neg_hi:[0,0,1]
	v_mov_b32_e32 v47, v103
	s_delay_alu instid0(VALU_DEP_1)
	v_pk_add_f32 v[44:45], v[44:45], v[46:47] neg_lo:[0,1] neg_hi:[0,1]
.LBB159_847:                            ;   in Loop: Header=BB159_3 Depth=1
	s_or_b32 exec_lo, exec_lo, s12
	s_barrier_signal -1
	s_barrier_wait -1
	s_and_saveexec_b32 s12, s97
; %bb.848:                              ;   in Loop: Header=BB159_3 Depth=1
	v_pk_add_f32 v[46:47], v[44:45], 0 neg_lo:[1,1] neg_hi:[1,1]
	ds_store_b64 v57, v[46:47]
; %bb.849:                              ;   in Loop: Header=BB159_3 Depth=1
	s_or_b32 exec_lo, exec_lo, s12
	s_wait_dscnt 0x0
	;; [unrolled: 26-line block ×3, first 2 shown]
	s_barrier_signal -1
	s_barrier_wait -1
	s_barrier_signal -1
	s_barrier_wait -1
	s_and_saveexec_b32 s12, s5
; %bb.854:                              ;   in Loop: Header=BB159_3 Depth=1
	ds_store_b64 v62, v[44:45] offset:7744
; %bb.855:                              ;   in Loop: Header=BB159_3 Depth=1
	s_or_b32 exec_lo, exec_lo, s12
	s_wait_dscnt 0x0
	s_barrier_signal -1
	s_barrier_wait -1
	s_barrier_signal -1
	s_barrier_wait -1
	s_and_saveexec_b32 s12, s99
	s_cbranch_execz .LBB159_857
; %bb.856:                              ;   in Loop: Header=BB159_3 Depth=1
	ds_load_b64 v[44:45], v61 offset:6208
	s_wait_dscnt 0x0
	ds_store_b64 v63, v[44:45] offset:4192
	ds_load_b64 v[44:45], v61 offset:6216
	s_wait_dscnt 0x0
	ds_store_b64 v63, v[44:45] offset:4704
	;; [unrolled: 3-line block ×4, first 2 shown]
.LBB159_857:                            ;   in Loop: Header=BB159_3 Depth=1
	s_or_b32 exec_lo, exec_lo, s12
	s_wait_dscnt 0x0
	s_barrier_signal -1
	s_barrier_wait -1
	s_and_saveexec_b32 s12, s10
	s_cbranch_execz .LBB159_859
; %bb.858:                              ;   in Loop: Header=BB159_3 Depth=1
	ds_load_b64 v[44:45], v1 offset:5712
	v_add_nc_u32_e64 v0, 0x1000, 0
	ds_store_b64 v1, v[30:31] offset:5720
	s_wait_dscnt 0x1
	ds_store_2addr_b64 v0, v[30:31], v[44:45] offset0:138 offset1:139
.LBB159_859:                            ;   in Loop: Header=BB159_3 Depth=1
	s_or_b32 exec_lo, exec_lo, s12
	v_dual_mov_b32 v44, 0 :: v_dual_mov_b32 v45, 0
	s_wait_dscnt 0x0
	s_barrier_signal -1
	s_barrier_wait -1
	global_wb scope:SCOPE_DEV
	s_wait_storecnt 0x0
	global_inv scope:SCOPE_DEV
	s_and_saveexec_b32 s12, s3
	s_cbranch_execz .LBB159_863
; %bb.860:                              ;   in Loop: Header=BB159_3 Depth=1
	ds_load_b64 v[44:45], v52 offset:5184
	ds_load_b64 v[46:47], v53 offset:5712
	s_wait_dscnt 0x0
	v_pk_mul_f32 v[48:49], v[46:47], v[44:45] op_sel:[1,1] op_sel_hi:[0,1]
	s_delay_alu instid0(VALU_DEP_1) | instskip(SKIP_1) | instid1(VALU_DEP_2)
	v_pk_fma_f32 v[100:101], v[46:47], v[44:45], v[48:49] op_sel_hi:[1,0,1]
	v_pk_fma_f32 v[44:45], v[46:47], v[44:45], v[48:49] neg_lo:[0,0,1] neg_hi:[0,0,1]
	v_mov_b32_e32 v45, v101
	s_delay_alu instid0(VALU_DEP_1)
	v_pk_add_f32 v[44:45], v[44:45], 0 op_sel_hi:[1,0]
	s_and_saveexec_b32 s19, s13
	s_cbranch_execz .LBB159_862
; %bb.861:                              ;   in Loop: Header=BB159_3 Depth=1
	ds_load_b64 v[46:47], v63 offset:5696
	ds_load_b64 v[48:49], v1 offset:5720
	s_wait_dscnt 0x0
	v_pk_mul_f32 v[100:101], v[48:49], v[46:47] op_sel:[1,1] op_sel_hi:[0,1]
	s_delay_alu instid0(VALU_DEP_1) | instskip(SKIP_1) | instid1(VALU_DEP_2)
	v_pk_fma_f32 v[102:103], v[48:49], v[46:47], v[100:101] op_sel_hi:[1,0,1]
	v_pk_fma_f32 v[46:47], v[48:49], v[46:47], v[100:101] neg_lo:[0,0,1] neg_hi:[0,0,1]
	v_mov_b32_e32 v47, v103
	s_delay_alu instid0(VALU_DEP_1)
	v_pk_add_f32 v[44:45], v[44:45], v[46:47]
.LBB159_862:                            ;   in Loop: Header=BB159_3 Depth=1
	s_or_b32 exec_lo, exec_lo, s19
.LBB159_863:                            ;   in Loop: Header=BB159_3 Depth=1
	s_delay_alu instid0(SALU_CYCLE_1)
	s_or_b32 exec_lo, exec_lo, s12
	s_and_saveexec_b32 s12, s90
; %bb.864:                              ;   in Loop: Header=BB159_3 Depth=1
	s_delay_alu instid0(VALU_DEP_1)
	v_pk_add_f32 v[46:47], v[44:45], 0 neg_lo:[1,1] neg_hi:[1,1]
	ds_store_b64 v51, v[46:47]
; %bb.865:                              ;   in Loop: Header=BB159_3 Depth=1
	s_or_b32 exec_lo, exec_lo, s12
	s_wait_loadcnt_dscnt 0x0
	s_barrier_signal -1
	s_barrier_wait -1
	s_and_saveexec_b32 s12, s91
	s_cbranch_execz .LBB159_867
; %bb.866:                              ;   in Loop: Header=BB159_3 Depth=1
	ds_load_b64 v[46:47], v1 offset:4672
	ds_load_b64 v[48:49], v51
	s_wait_dscnt 0x0
	v_pk_mul_f32 v[100:101], v[48:49], v[46:47] op_sel_hi:[1,0]
	s_delay_alu instid0(VALU_DEP_1) | instskip(SKIP_1) | instid1(VALU_DEP_2)
	v_pk_fma_f32 v[102:103], v[48:49], v[46:47], v[100:101] op_sel:[1,1,0] op_sel_hi:[0,1,1]
	v_pk_fma_f32 v[46:47], v[48:49], v[46:47], v[100:101] op_sel:[1,1,0] op_sel_hi:[0,1,1] neg_lo:[0,0,1] neg_hi:[0,0,1]
	v_pk_add_f32 v[48:49], v[44:45], v[102:103] neg_lo:[0,1] neg_hi:[0,1]
	s_delay_alu instid0(VALU_DEP_2) | instskip(NEXT) | instid1(VALU_DEP_2)
	v_pk_add_f32 v[44:45], v[44:45], v[46:47]
	v_mov_b32_e32 v45, v49
.LBB159_867:                            ;   in Loop: Header=BB159_3 Depth=1
	s_or_b32 exec_lo, exec_lo, s12
	s_barrier_signal -1
	s_barrier_wait -1
	s_and_saveexec_b32 s12, s91
; %bb.868:                              ;   in Loop: Header=BB159_3 Depth=1
	v_pk_add_f32 v[46:47], v[44:45], 0 neg_lo:[1,1] neg_hi:[1,1]
	ds_store_b64 v51, v[46:47]
; %bb.869:                              ;   in Loop: Header=BB159_3 Depth=1
	s_or_b32 exec_lo, exec_lo, s12
	s_wait_dscnt 0x0
	s_barrier_signal -1
	s_barrier_wait -1
	s_barrier_signal -1
	s_barrier_wait -1
	s_and_saveexec_b32 s12, s3
; %bb.870:                              ;   in Loop: Header=BB159_3 Depth=1
	ds_store_b64 v55, v[44:45] offset:5696
; %bb.871:                              ;   in Loop: Header=BB159_3 Depth=1
	s_or_b32 exec_lo, exec_lo, s12
	s_wait_dscnt 0x0
	s_barrier_signal -1
	s_barrier_wait -1
	s_barrier_signal -1
	s_barrier_wait -1
	s_and_saveexec_b32 s12, s92
	s_cbranch_execz .LBB159_873
; %bb.872:                              ;   in Loop: Header=BB159_3 Depth=1
	ds_load_b64 v[44:45], v64 offset:5184
	s_wait_dscnt 0x0
	ds_store_b64 v63, v[44:45] offset:4176
	ds_load_b64 v[44:45], v64 offset:5192
	s_wait_dscnt 0x0
	ds_store_b64 v63, v[44:45] offset:4688
.LBB159_873:                            ;   in Loop: Header=BB159_3 Depth=1
	s_or_b32 exec_lo, exec_lo, s12
	s_wait_dscnt 0x0
	s_barrier_signal -1
	s_barrier_wait -1
	s_and_saveexec_b32 s12, s10
	s_cbranch_execz .LBB159_875
; %bb.874:                              ;   in Loop: Header=BB159_3 Depth=1
	ds_load_b64 v[44:45], v1 offset:4672
	v_add_nc_u32_e64 v0, 0x1000, 0
	ds_store_b64 v1, v[30:31] offset:4680
	s_wait_dscnt 0x1
	ds_store_2addr_b64 v0, v[30:31], v[44:45] offset0:8 offset1:9
.LBB159_875:                            ;   in Loop: Header=BB159_3 Depth=1
	s_or_b32 exec_lo, exec_lo, s12
	v_mov_b64_e32 v[44:45], 0
	s_wait_dscnt 0x0
	s_barrier_signal -1
	s_barrier_wait -1
	global_wb scope:SCOPE_DEV
	s_wait_storecnt 0x0
	global_inv scope:SCOPE_DEV
	s_and_saveexec_b32 s12, s6
	s_cbranch_execz .LBB159_885
; %bb.876:                              ;   in Loop: Header=BB159_3 Depth=1
	ds_load_b64 v[44:45], v66 offset:4096
	ds_load_b64 v[46:47], v67 offset:7744
	s_wait_dscnt 0x0
	v_dual_mul_f32 v0, v47, v45 :: v_dual_mul_f32 v27, v46, v45
	s_delay_alu instid0(VALU_DEP_1) | instskip(NEXT) | instid1(VALU_DEP_1)
	v_dual_fma_f32 v0, v46, v44, -v0 :: v_dual_fmac_f32 v27, v47, v44
	v_dual_add_f32 v44, 0, v0 :: v_dual_add_f32 v45, 0, v27
	s_and_saveexec_b32 s19, s16
	s_cbranch_execnz .LBB159_1118
; %bb.877:                              ;   in Loop: Header=BB159_3 Depth=1
	s_or_b32 exec_lo, exec_lo, s19
	s_and_saveexec_b32 s19, s17
	s_cbranch_execnz .LBB159_1119
.LBB159_878:                            ;   in Loop: Header=BB159_3 Depth=1
	s_or_b32 exec_lo, exec_lo, s19
	s_and_saveexec_b32 s19, s18
	s_cbranch_execnz .LBB159_1120
.LBB159_879:                            ;   in Loop: Header=BB159_3 Depth=1
	s_or_b32 exec_lo, exec_lo, s19
	s_and_saveexec_b32 s19, s20
	s_cbranch_execnz .LBB159_1121
.LBB159_880:                            ;   in Loop: Header=BB159_3 Depth=1
	s_or_b32 exec_lo, exec_lo, s19
	s_and_saveexec_b32 s19, s21
	s_cbranch_execnz .LBB159_1122
.LBB159_881:                            ;   in Loop: Header=BB159_3 Depth=1
	s_or_b32 exec_lo, exec_lo, s19
	s_and_saveexec_b32 s19, s5
	s_cbranch_execnz .LBB159_1123
.LBB159_882:                            ;   in Loop: Header=BB159_3 Depth=1
	s_or_b32 exec_lo, exec_lo, s19
	s_and_saveexec_b32 s19, s15
	s_cbranch_execz .LBB159_884
.LBB159_883:                            ;   in Loop: Header=BB159_3 Depth=1
	ds_load_b64 v[46:47], v68 offset:7680
	ds_load_b64 v[48:49], v1 offset:7800
	s_wait_dscnt 0x0
	v_pk_mul_f32 v[100:101], v[48:49], v[46:47] op_sel:[1,1] op_sel_hi:[0,1]
	s_delay_alu instid0(VALU_DEP_1) | instskip(SKIP_1) | instid1(VALU_DEP_2)
	v_pk_fma_f32 v[102:103], v[48:49], v[46:47], v[100:101] op_sel_hi:[1,0,1]
	v_pk_fma_f32 v[46:47], v[48:49], v[46:47], v[100:101] neg_lo:[0,0,1] neg_hi:[0,0,1]
	v_mov_b32_e32 v47, v103
	s_delay_alu instid0(VALU_DEP_1)
	v_pk_add_f32 v[44:45], v[44:45], v[46:47]
.LBB159_884:                            ;   in Loop: Header=BB159_3 Depth=1
	s_or_b32 exec_lo, exec_lo, s19
.LBB159_885:                            ;   in Loop: Header=BB159_3 Depth=1
	s_delay_alu instid0(SALU_CYCLE_1)
	s_or_b32 exec_lo, exec_lo, s12
	s_and_saveexec_b32 s12, s100
; %bb.886:                              ;   in Loop: Header=BB159_3 Depth=1
	s_delay_alu instid0(VALU_DEP_1)
	v_pk_add_f32 v[46:47], v[44:45], 0 neg_lo:[1,1] neg_hi:[1,1]
	ds_store_b64 v65, v[46:47]
; %bb.887:                              ;   in Loop: Header=BB159_3 Depth=1
	s_or_b32 exec_lo, exec_lo, s12
	s_wait_loadcnt_dscnt 0x0
	s_barrier_signal -1
	s_barrier_wait -1
	s_and_saveexec_b32 s12, s101
	s_cbranch_execz .LBB159_889
; %bb.888:                              ;   in Loop: Header=BB159_3 Depth=1
	ds_load_b64 v[46:47], v66 offset:3584
	ds_load_b64 v[48:49], v65
	s_wait_dscnt 0x0
	v_pk_mul_f32 v[100:101], v[48:49], v[46:47] op_sel:[1,1] op_sel_hi:[0,1]
	s_delay_alu instid0(VALU_DEP_1) | instskip(SKIP_1) | instid1(VALU_DEP_2)
	v_pk_fma_f32 v[102:103], v[48:49], v[46:47], v[100:101] op_sel_hi:[1,0,1]
	v_pk_fma_f32 v[46:47], v[48:49], v[46:47], v[100:101] neg_lo:[0,0,1] neg_hi:[0,0,1]
	v_mov_b32_e32 v47, v103
	s_delay_alu instid0(VALU_DEP_1)
	v_pk_add_f32 v[44:45], v[44:45], v[46:47] neg_lo:[0,1] neg_hi:[0,1]
.LBB159_889:                            ;   in Loop: Header=BB159_3 Depth=1
	s_or_b32 exec_lo, exec_lo, s12
	s_barrier_signal -1
	s_barrier_wait -1
	s_and_saveexec_b32 s12, s102
; %bb.890:                              ;   in Loop: Header=BB159_3 Depth=1
	v_pk_add_f32 v[46:47], v[44:45], 0 neg_lo:[1,1] neg_hi:[1,1]
	ds_store_b64 v65, v[46:47]
; %bb.891:                              ;   in Loop: Header=BB159_3 Depth=1
	s_or_b32 exec_lo, exec_lo, s12
	s_wait_dscnt 0x0
	s_barrier_signal -1
	s_barrier_wait -1
	s_and_saveexec_b32 s12, s103
	s_cbranch_execz .LBB159_893
; %bb.892:                              ;   in Loop: Header=BB159_3 Depth=1
	ds_load_b64 v[46:47], v66 offset:3072
	ds_load_b64 v[48:49], v65
	s_wait_dscnt 0x0
	v_dual_mul_f32 v0, v49, v47 :: v_dual_mul_f32 v27, v48, v47
	s_delay_alu instid0(VALU_DEP_1) | instskip(NEXT) | instid1(VALU_DEP_1)
	v_dual_fma_f32 v0, v48, v46, -v0 :: v_dual_fmac_f32 v27, v49, v46
	v_dual_sub_f32 v44, v44, v0 :: v_dual_sub_f32 v45, v45, v27
.LBB159_893:                            ;   in Loop: Header=BB159_3 Depth=1
	s_or_b32 exec_lo, exec_lo, s12
	s_barrier_signal -1
	s_barrier_wait -1
	s_and_saveexec_b32 s12, s104
; %bb.894:                              ;   in Loop: Header=BB159_3 Depth=1
	v_pk_add_f32 v[46:47], v[44:45], 0 neg_lo:[1,1] neg_hi:[1,1]
	ds_store_b64 v65, v[46:47]
; %bb.895:                              ;   in Loop: Header=BB159_3 Depth=1
	s_or_b32 exec_lo, exec_lo, s12
	s_wait_dscnt 0x0
	s_barrier_signal -1
	s_barrier_wait -1
	s_and_saveexec_b32 s12, vcc_hi
	s_cbranch_execz .LBB159_897
; %bb.896:                              ;   in Loop: Header=BB159_3 Depth=1
	ds_load_b64 v[46:47], v66 offset:2560
	ds_load_b64 v[48:49], v65
	s_wait_dscnt 0x0
	v_dual_mul_f32 v0, v49, v47 :: v_dual_mul_f32 v101, v48, v47
	s_delay_alu instid0(VALU_DEP_1) | instskip(NEXT) | instid1(VALU_DEP_1)
	v_dual_fma_f32 v100, v48, v46, -v0 :: v_dual_fmac_f32 v101, v49, v46
	v_pk_add_f32 v[44:45], v[44:45], v[100:101] neg_lo:[0,1] neg_hi:[0,1]
.LBB159_897:                            ;   in Loop: Header=BB159_3 Depth=1
	s_or_b32 exec_lo, exec_lo, s12
	s_barrier_signal -1
	s_barrier_wait -1
	s_and_saveexec_b32 s12, s37
; %bb.898:                              ;   in Loop: Header=BB159_3 Depth=1
	v_pk_add_f32 v[46:47], v[44:45], 0 neg_lo:[1,1] neg_hi:[1,1]
	ds_store_b64 v65, v[46:47]
; %bb.899:                              ;   in Loop: Header=BB159_3 Depth=1
	s_or_b32 exec_lo, exec_lo, s12
	s_wait_dscnt 0x0
	s_barrier_signal -1
	s_barrier_wait -1
	s_and_saveexec_b32 s12, s38
	s_cbranch_execz .LBB159_901
; %bb.900:                              ;   in Loop: Header=BB159_3 Depth=1
	ds_load_b64 v[46:47], v66 offset:2048
	ds_load_b64 v[48:49], v65
	s_wait_dscnt 0x0
	v_pk_mul_f32 v[100:101], v[48:49], v[46:47] op_sel:[1,1] op_sel_hi:[0,1]
	s_delay_alu instid0(VALU_DEP_1) | instskip(SKIP_1) | instid1(VALU_DEP_2)
	v_pk_fma_f32 v[102:103], v[48:49], v[46:47], v[100:101] op_sel_hi:[1,0,1]
	v_pk_fma_f32 v[46:47], v[48:49], v[46:47], v[100:101] neg_lo:[0,0,1] neg_hi:[0,0,1]
	v_mov_b32_e32 v47, v103
	s_delay_alu instid0(VALU_DEP_1)
	v_pk_add_f32 v[44:45], v[44:45], v[46:47] neg_lo:[0,1] neg_hi:[0,1]
.LBB159_901:                            ;   in Loop: Header=BB159_3 Depth=1
	s_or_b32 exec_lo, exec_lo, s12
	s_barrier_signal -1
	s_barrier_wait -1
	s_and_saveexec_b32 s12, s39
; %bb.902:                              ;   in Loop: Header=BB159_3 Depth=1
	v_pk_add_f32 v[46:47], v[44:45], 0 neg_lo:[1,1] neg_hi:[1,1]
	ds_store_b64 v65, v[46:47]
; %bb.903:                              ;   in Loop: Header=BB159_3 Depth=1
	s_or_b32 exec_lo, exec_lo, s12
	s_wait_dscnt 0x0
	s_barrier_signal -1
	s_barrier_wait -1
	s_and_saveexec_b32 s12, s40
	s_cbranch_execz .LBB159_905
; %bb.904:                              ;   in Loop: Header=BB159_3 Depth=1
	ds_load_b64 v[46:47], v66 offset:1536
	ds_load_b64 v[48:49], v65
	s_wait_dscnt 0x0
	v_pk_mul_f32 v[100:101], v[48:49], v[46:47] op_sel:[1,1] op_sel_hi:[0,1]
	s_delay_alu instid0(VALU_DEP_1) | instskip(SKIP_1) | instid1(VALU_DEP_2)
	v_pk_fma_f32 v[102:103], v[48:49], v[46:47], v[100:101] op_sel_hi:[1,0,1]
	v_pk_fma_f32 v[46:47], v[48:49], v[46:47], v[100:101] neg_lo:[0,0,1] neg_hi:[0,0,1]
	v_mov_b32_e32 v47, v103
	s_delay_alu instid0(VALU_DEP_1)
	v_pk_add_f32 v[44:45], v[44:45], v[46:47] neg_lo:[0,1] neg_hi:[0,1]
.LBB159_905:                            ;   in Loop: Header=BB159_3 Depth=1
	;; [unrolled: 26-line block ×4, first 2 shown]
	s_or_b32 exec_lo, exec_lo, s12
	s_barrier_signal -1
	s_barrier_wait -1
	s_and_saveexec_b32 s12, s44
; %bb.914:                              ;   in Loop: Header=BB159_3 Depth=1
	v_pk_add_f32 v[46:47], v[44:45], 0 neg_lo:[1,1] neg_hi:[1,1]
	ds_store_b64 v65, v[46:47]
; %bb.915:                              ;   in Loop: Header=BB159_3 Depth=1
	s_or_b32 exec_lo, exec_lo, s12
	s_wait_dscnt 0x0
	s_barrier_signal -1
	s_barrier_wait -1
	s_barrier_signal -1
	s_barrier_wait -1
	s_and_saveexec_b32 s12, s6
; %bb.916:                              ;   in Loop: Header=BB159_3 Depth=1
	ds_store_b64 v69, v[44:45] offset:7680
; %bb.917:                              ;   in Loop: Header=BB159_3 Depth=1
	s_or_b32 exec_lo, exec_lo, s12
	s_wait_dscnt 0x0
	s_barrier_signal -1
	s_barrier_wait -1
	s_barrier_signal -1
	s_barrier_wait -1
	s_and_saveexec_b32 s12, s45
	s_cbranch_execz .LBB159_919
; %bb.918:                              ;   in Loop: Header=BB159_3 Depth=1
	ds_load_b64 v[44:45], v70 offset:4096
	s_wait_dscnt 0x0
	ds_store_b64 v7, v[44:45] offset:64
	ds_load_b64 v[44:45], v70 offset:4104
	s_wait_dscnt 0x0
	ds_store_b64 v7, v[44:45] offset:576
	ds_load_b64 v[44:45], v70 offset:4112
	s_wait_dscnt 0x0
	ds_store_b64 v7, v[44:45] offset:1088
	ds_load_b64 v[44:45], v70 offset:4120
	s_wait_dscnt 0x0
	ds_store_b64 v7, v[44:45] offset:1600
	ds_load_b64 v[44:45], v70 offset:4128
	s_wait_dscnt 0x0
	ds_store_b64 v7, v[44:45] offset:2112
	ds_load_b64 v[44:45], v70 offset:4136
	s_wait_dscnt 0x0
	ds_store_b64 v7, v[44:45] offset:2624
	ds_load_b64 v[44:45], v70 offset:4144
	s_wait_dscnt 0x0
	ds_store_b64 v7, v[44:45] offset:3136
	ds_load_b64 v[44:45], v70 offset:4152
	s_wait_dscnt 0x0
	ds_store_b64 v7, v[44:45] offset:3648
.LBB159_919:                            ;   in Loop: Header=BB159_3 Depth=1
	s_or_b32 exec_lo, exec_lo, s12
	s_wait_dscnt 0x0
	s_barrier_signal -1
	s_barrier_wait -1
	s_and_saveexec_b32 s12, s10
	s_cbranch_execz .LBB159_921
; %bb.920:                              ;   in Loop: Header=BB159_3 Depth=1
	ds_load_b64 v[44:45], v1 offset:3632
	v_add_nc_u32_e64 v0, 0x800, 0
	ds_store_b64 v1, v[30:31] offset:3640
	s_wait_dscnt 0x1
	ds_store_2addr_b64 v0, v[30:31], v[44:45] offset0:134 offset1:135
.LBB159_921:                            ;   in Loop: Header=BB159_3 Depth=1
	s_or_b32 exec_lo, exec_lo, s12
	v_dual_mov_b32 v44, 0 :: v_dual_mov_b32 v45, 0
	s_wait_dscnt 0x0
	s_barrier_signal -1
	s_barrier_wait -1
	global_wb scope:SCOPE_DEV
	s_wait_storecnt 0x0
	global_inv scope:SCOPE_DEV
	s_and_saveexec_b32 s12, s3
	s_cbranch_execz .LBB159_925
; %bb.922:                              ;   in Loop: Header=BB159_3 Depth=1
	ds_load_b64 v[44:45], v52 offset:3104
	ds_load_b64 v[46:47], v53 offset:3632
	s_wait_dscnt 0x0
	v_pk_mul_f32 v[48:49], v[46:47], v[44:45] op_sel:[1,1] op_sel_hi:[0,1]
	s_delay_alu instid0(VALU_DEP_1) | instskip(SKIP_1) | instid1(VALU_DEP_2)
	v_pk_fma_f32 v[100:101], v[46:47], v[44:45], v[48:49] op_sel_hi:[1,0,1]
	v_pk_fma_f32 v[44:45], v[46:47], v[44:45], v[48:49] neg_lo:[0,0,1] neg_hi:[0,0,1]
	v_mov_b32_e32 v45, v101
	s_delay_alu instid0(VALU_DEP_1)
	v_pk_add_f32 v[44:45], v[44:45], 0 op_sel_hi:[1,0]
	s_and_saveexec_b32 s19, s13
	s_cbranch_execz .LBB159_924
; %bb.923:                              ;   in Loop: Header=BB159_3 Depth=1
	ds_load_b64 v[46:47], v7 offset:3616
	ds_load_b64 v[48:49], v1 offset:3640
	s_wait_dscnt 0x0
	v_pk_mul_f32 v[100:101], v[48:49], v[46:47] op_sel:[1,1] op_sel_hi:[0,1]
	s_delay_alu instid0(VALU_DEP_1) | instskip(SKIP_1) | instid1(VALU_DEP_2)
	v_pk_fma_f32 v[102:103], v[48:49], v[46:47], v[100:101] op_sel_hi:[1,0,1]
	v_pk_fma_f32 v[46:47], v[48:49], v[46:47], v[100:101] neg_lo:[0,0,1] neg_hi:[0,0,1]
	v_mov_b32_e32 v47, v103
	s_delay_alu instid0(VALU_DEP_1)
	v_pk_add_f32 v[44:45], v[44:45], v[46:47]
.LBB159_924:                            ;   in Loop: Header=BB159_3 Depth=1
	s_or_b32 exec_lo, exec_lo, s19
.LBB159_925:                            ;   in Loop: Header=BB159_3 Depth=1
	s_delay_alu instid0(SALU_CYCLE_1)
	s_or_b32 exec_lo, exec_lo, s12
	s_and_saveexec_b32 s12, s90
; %bb.926:                              ;   in Loop: Header=BB159_3 Depth=1
	s_delay_alu instid0(VALU_DEP_1)
	v_pk_add_f32 v[46:47], v[44:45], 0 neg_lo:[1,1] neg_hi:[1,1]
	ds_store_b64 v51, v[46:47]
; %bb.927:                              ;   in Loop: Header=BB159_3 Depth=1
	s_or_b32 exec_lo, exec_lo, s12
	s_wait_loadcnt_dscnt 0x0
	s_barrier_signal -1
	s_barrier_wait -1
	s_and_saveexec_b32 s12, s91
	s_cbranch_execz .LBB159_929
; %bb.928:                              ;   in Loop: Header=BB159_3 Depth=1
	ds_load_b64 v[46:47], v1 offset:2592
	ds_load_b64 v[48:49], v51
	s_wait_dscnt 0x0
	v_pk_mul_f32 v[100:101], v[48:49], v[46:47] op_sel_hi:[1,0]
	s_delay_alu instid0(VALU_DEP_1) | instskip(SKIP_1) | instid1(VALU_DEP_2)
	v_pk_fma_f32 v[102:103], v[48:49], v[46:47], v[100:101] op_sel:[1,1,0] op_sel_hi:[0,1,1]
	v_pk_fma_f32 v[46:47], v[48:49], v[46:47], v[100:101] op_sel:[1,1,0] op_sel_hi:[0,1,1] neg_lo:[0,0,1] neg_hi:[0,0,1]
	v_pk_add_f32 v[48:49], v[44:45], v[102:103] neg_lo:[0,1] neg_hi:[0,1]
	s_delay_alu instid0(VALU_DEP_2) | instskip(NEXT) | instid1(VALU_DEP_2)
	v_pk_add_f32 v[44:45], v[44:45], v[46:47]
	v_mov_b32_e32 v45, v49
.LBB159_929:                            ;   in Loop: Header=BB159_3 Depth=1
	s_or_b32 exec_lo, exec_lo, s12
	s_barrier_signal -1
	s_barrier_wait -1
	s_and_saveexec_b32 s12, s91
; %bb.930:                              ;   in Loop: Header=BB159_3 Depth=1
	v_pk_add_f32 v[46:47], v[44:45], 0 neg_lo:[1,1] neg_hi:[1,1]
	ds_store_b64 v51, v[46:47]
; %bb.931:                              ;   in Loop: Header=BB159_3 Depth=1
	s_or_b32 exec_lo, exec_lo, s12
	s_wait_dscnt 0x0
	s_barrier_signal -1
	s_barrier_wait -1
	s_barrier_signal -1
	s_barrier_wait -1
	s_and_saveexec_b32 s12, s3
; %bb.932:                              ;   in Loop: Header=BB159_3 Depth=1
	ds_store_b64 v55, v[44:45] offset:3616
; %bb.933:                              ;   in Loop: Header=BB159_3 Depth=1
	s_or_b32 exec_lo, exec_lo, s12
	s_wait_dscnt 0x0
	s_barrier_signal -1
	s_barrier_wait -1
	s_barrier_signal -1
	s_barrier_wait -1
	s_and_saveexec_b32 s12, s92
	s_cbranch_execz .LBB159_935
; %bb.934:                              ;   in Loop: Header=BB159_3 Depth=1
	ds_load_b64 v[44:45], v3 offset:3104
	s_wait_dscnt 0x0
	ds_store_b64 v7, v[44:45] offset:2096
	ds_load_b64 v[44:45], v3 offset:3112
	s_wait_dscnt 0x0
	ds_store_b64 v7, v[44:45] offset:2608
.LBB159_935:                            ;   in Loop: Header=BB159_3 Depth=1
	s_or_b32 exec_lo, exec_lo, s12
	s_wait_dscnt 0x0
	s_barrier_signal -1
	s_barrier_wait -1
	s_and_saveexec_b32 s12, s10
	s_cbranch_execz .LBB159_937
; %bb.936:                              ;   in Loop: Header=BB159_3 Depth=1
	ds_load_b64 v[44:45], v1 offset:2592
	v_add_nc_u32_e64 v0, 0x800, 0
	ds_store_b64 v1, v[30:31] offset:2600
	s_wait_dscnt 0x1
	ds_store_2addr_b64 v0, v[30:31], v[44:45] offset0:4 offset1:5
.LBB159_937:                            ;   in Loop: Header=BB159_3 Depth=1
	s_or_b32 exec_lo, exec_lo, s12
	v_mov_b64_e32 v[44:45], 0
	s_wait_dscnt 0x0
	s_barrier_signal -1
	s_barrier_wait -1
	global_wb scope:SCOPE_DEV
	s_wait_storecnt 0x0
	global_inv scope:SCOPE_DEV
	s_and_saveexec_b32 s12, s5
	s_cbranch_execz .LBB159_943
; %bb.938:                              ;   in Loop: Header=BB159_3 Depth=1
	ds_load_b64 v[44:45], v58 offset:2048
	ds_load_b64 v[46:47], v59 offset:3616
	s_wait_dscnt 0x0
	v_dual_mul_f32 v0, v47, v45 :: v_dual_mul_f32 v27, v46, v45
	s_delay_alu instid0(VALU_DEP_1) | instskip(NEXT) | instid1(VALU_DEP_1)
	v_dual_fma_f32 v0, v46, v44, -v0 :: v_dual_fmac_f32 v27, v47, v44
	v_dual_add_f32 v44, 0, v0 :: v_dual_add_f32 v45, 0, v27
	s_and_saveexec_b32 s19, s14
	s_cbranch_execnz .LBB159_1124
; %bb.939:                              ;   in Loop: Header=BB159_3 Depth=1
	s_or_b32 exec_lo, exec_lo, s19
	s_and_saveexec_b32 s19, s15
	s_cbranch_execnz .LBB159_1125
.LBB159_940:                            ;   in Loop: Header=BB159_3 Depth=1
	s_or_b32 exec_lo, exec_lo, s19
	s_and_saveexec_b32 s19, s3
	s_cbranch_execz .LBB159_942
.LBB159_941:                            ;   in Loop: Header=BB159_3 Depth=1
	ds_load_b64 v[46:47], v80 offset:3584
	ds_load_b64 v[48:49], v1 offset:3640
	s_wait_dscnt 0x0
	v_pk_mul_f32 v[100:101], v[48:49], v[46:47] op_sel:[1,1] op_sel_hi:[0,1]
	s_delay_alu instid0(VALU_DEP_1) | instskip(SKIP_1) | instid1(VALU_DEP_2)
	v_pk_fma_f32 v[102:103], v[48:49], v[46:47], v[100:101] op_sel_hi:[1,0,1]
	v_pk_fma_f32 v[46:47], v[48:49], v[46:47], v[100:101] neg_lo:[0,0,1] neg_hi:[0,0,1]
	v_mov_b32_e32 v47, v103
	s_delay_alu instid0(VALU_DEP_1)
	v_pk_add_f32 v[44:45], v[44:45], v[46:47]
.LBB159_942:                            ;   in Loop: Header=BB159_3 Depth=1
	s_or_b32 exec_lo, exec_lo, s19
.LBB159_943:                            ;   in Loop: Header=BB159_3 Depth=1
	s_delay_alu instid0(SALU_CYCLE_1)
	s_or_b32 exec_lo, exec_lo, s12
	s_and_saveexec_b32 s12, s93
; %bb.944:                              ;   in Loop: Header=BB159_3 Depth=1
	s_delay_alu instid0(VALU_DEP_1)
	v_pk_add_f32 v[46:47], v[44:45], 0 neg_lo:[1,1] neg_hi:[1,1]
	ds_store_b64 v57, v[46:47]
; %bb.945:                              ;   in Loop: Header=BB159_3 Depth=1
	s_or_b32 exec_lo, exec_lo, s12
	s_wait_loadcnt_dscnt 0x0
	s_barrier_signal -1
	s_barrier_wait -1
	s_and_saveexec_b32 s12, s94
	s_cbranch_execz .LBB159_947
; %bb.946:                              ;   in Loop: Header=BB159_3 Depth=1
	ds_load_b64 v[46:47], v58 offset:1536
	ds_load_b64 v[48:49], v57
	s_wait_dscnt 0x0
	v_pk_mul_f32 v[100:101], v[48:49], v[46:47] op_sel:[1,1] op_sel_hi:[0,1]
	s_delay_alu instid0(VALU_DEP_1) | instskip(SKIP_1) | instid1(VALU_DEP_2)
	v_pk_fma_f32 v[102:103], v[48:49], v[46:47], v[100:101] op_sel_hi:[1,0,1]
	v_pk_fma_f32 v[46:47], v[48:49], v[46:47], v[100:101] neg_lo:[0,0,1] neg_hi:[0,0,1]
	v_mov_b32_e32 v47, v103
	s_delay_alu instid0(VALU_DEP_1)
	v_pk_add_f32 v[44:45], v[44:45], v[46:47] neg_lo:[0,1] neg_hi:[0,1]
.LBB159_947:                            ;   in Loop: Header=BB159_3 Depth=1
	s_or_b32 exec_lo, exec_lo, s12
	s_barrier_signal -1
	s_barrier_wait -1
	s_and_saveexec_b32 s12, s95
; %bb.948:                              ;   in Loop: Header=BB159_3 Depth=1
	v_pk_add_f32 v[46:47], v[44:45], 0 neg_lo:[1,1] neg_hi:[1,1]
	ds_store_b64 v57, v[46:47]
; %bb.949:                              ;   in Loop: Header=BB159_3 Depth=1
	s_or_b32 exec_lo, exec_lo, s12
	s_wait_dscnt 0x0
	s_barrier_signal -1
	s_barrier_wait -1
	s_and_saveexec_b32 s12, s96
	s_cbranch_execz .LBB159_951
; %bb.950:                              ;   in Loop: Header=BB159_3 Depth=1
	ds_load_b64 v[46:47], v58 offset:1024
	ds_load_b64 v[48:49], v57
	s_wait_dscnt 0x0
	v_pk_mul_f32 v[100:101], v[48:49], v[46:47] op_sel:[1,1] op_sel_hi:[0,1]
	s_delay_alu instid0(VALU_DEP_1) | instskip(SKIP_1) | instid1(VALU_DEP_2)
	v_pk_fma_f32 v[102:103], v[48:49], v[46:47], v[100:101] op_sel_hi:[1,0,1]
	v_pk_fma_f32 v[46:47], v[48:49], v[46:47], v[100:101] neg_lo:[0,0,1] neg_hi:[0,0,1]
	v_mov_b32_e32 v47, v103
	s_delay_alu instid0(VALU_DEP_1)
	v_pk_add_f32 v[44:45], v[44:45], v[46:47] neg_lo:[0,1] neg_hi:[0,1]
.LBB159_951:                            ;   in Loop: Header=BB159_3 Depth=1
	s_or_b32 exec_lo, exec_lo, s12
	s_barrier_signal -1
	s_barrier_wait -1
	s_and_saveexec_b32 s12, s97
; %bb.952:                              ;   in Loop: Header=BB159_3 Depth=1
	v_pk_add_f32 v[46:47], v[44:45], 0 neg_lo:[1,1] neg_hi:[1,1]
	ds_store_b64 v57, v[46:47]
; %bb.953:                              ;   in Loop: Header=BB159_3 Depth=1
	s_or_b32 exec_lo, exec_lo, s12
	s_wait_dscnt 0x0
	;; [unrolled: 26-line block ×3, first 2 shown]
	s_barrier_signal -1
	s_barrier_wait -1
	s_barrier_signal -1
	s_barrier_wait -1
	s_and_saveexec_b32 s12, s5
; %bb.958:                              ;   in Loop: Header=BB159_3 Depth=1
	ds_store_b64 v62, v[44:45] offset:3584
; %bb.959:                              ;   in Loop: Header=BB159_3 Depth=1
	s_or_b32 exec_lo, exec_lo, s12
	s_wait_dscnt 0x0
	s_barrier_signal -1
	s_barrier_wait -1
	s_barrier_signal -1
	s_barrier_wait -1
	s_and_saveexec_b32 s12, s99
	s_cbranch_execz .LBB159_961
; %bb.960:                              ;   in Loop: Header=BB159_3 Depth=1
	ds_load_b64 v[44:45], v81 offset:2048
	s_wait_dscnt 0x0
	ds_store_b64 v83, v[44:45] offset:32
	ds_load_b64 v[44:45], v81 offset:2056
	s_wait_dscnt 0x0
	ds_store_b64 v83, v[44:45] offset:544
	;; [unrolled: 3-line block ×4, first 2 shown]
.LBB159_961:                            ;   in Loop: Header=BB159_3 Depth=1
	s_or_b32 exec_lo, exec_lo, s12
	s_wait_dscnt 0x0
	s_barrier_signal -1
	s_barrier_wait -1
	s_and_saveexec_b32 s12, s10
	s_cbranch_execz .LBB159_963
; %bb.962:                              ;   in Loop: Header=BB159_3 Depth=1
	ds_load_b64 v[44:45], v1 offset:1552
	ds_store_b64 v1, v[30:31] offset:1560
	s_wait_dscnt 0x1
	ds_store_2addr_b64 v1, v[30:31], v[44:45] offset0:130 offset1:131
.LBB159_963:                            ;   in Loop: Header=BB159_3 Depth=1
	s_or_b32 exec_lo, exec_lo, s12
	v_dual_mov_b32 v44, 0 :: v_dual_mov_b32 v45, 0
	s_wait_dscnt 0x0
	s_barrier_signal -1
	s_barrier_wait -1
	global_wb scope:SCOPE_DEV
	s_wait_storecnt 0x0
	global_inv scope:SCOPE_DEV
	s_and_saveexec_b32 s12, s3
	s_cbranch_execz .LBB159_967
; %bb.964:                              ;   in Loop: Header=BB159_3 Depth=1
	ds_load_b64 v[44:45], v52 offset:1024
	ds_load_b64 v[46:47], v53 offset:1552
	s_wait_dscnt 0x0
	v_pk_mul_f32 v[48:49], v[46:47], v[44:45] op_sel:[1,1] op_sel_hi:[0,1]
	s_delay_alu instid0(VALU_DEP_1) | instskip(SKIP_1) | instid1(VALU_DEP_2)
	v_pk_fma_f32 v[100:101], v[46:47], v[44:45], v[48:49] op_sel_hi:[1,0,1]
	v_pk_fma_f32 v[44:45], v[46:47], v[44:45], v[48:49] neg_lo:[0,0,1] neg_hi:[0,0,1]
	v_mov_b32_e32 v45, v101
	s_delay_alu instid0(VALU_DEP_1)
	v_pk_add_f32 v[44:45], v[44:45], 0 op_sel_hi:[1,0]
	s_and_saveexec_b32 s19, s13
	s_cbranch_execz .LBB159_966
; %bb.965:                              ;   in Loop: Header=BB159_3 Depth=1
	ds_load_b64 v[46:47], v83 offset:1536
	ds_load_b64 v[48:49], v1 offset:1560
	s_wait_dscnt 0x0
	v_pk_mul_f32 v[100:101], v[48:49], v[46:47] op_sel:[1,1] op_sel_hi:[0,1]
	s_delay_alu instid0(VALU_DEP_1) | instskip(SKIP_1) | instid1(VALU_DEP_2)
	v_pk_fma_f32 v[102:103], v[48:49], v[46:47], v[100:101] op_sel_hi:[1,0,1]
	v_pk_fma_f32 v[46:47], v[48:49], v[46:47], v[100:101] neg_lo:[0,0,1] neg_hi:[0,0,1]
	v_mov_b32_e32 v47, v103
	s_delay_alu instid0(VALU_DEP_1)
	v_pk_add_f32 v[44:45], v[44:45], v[46:47]
.LBB159_966:                            ;   in Loop: Header=BB159_3 Depth=1
	s_or_b32 exec_lo, exec_lo, s19
.LBB159_967:                            ;   in Loop: Header=BB159_3 Depth=1
	s_delay_alu instid0(SALU_CYCLE_1)
	s_or_b32 exec_lo, exec_lo, s12
	s_and_saveexec_b32 s12, s90
; %bb.968:                              ;   in Loop: Header=BB159_3 Depth=1
	s_delay_alu instid0(VALU_DEP_1)
	v_pk_add_f32 v[46:47], v[44:45], 0 neg_lo:[1,1] neg_hi:[1,1]
	ds_store_b64 v51, v[46:47]
; %bb.969:                              ;   in Loop: Header=BB159_3 Depth=1
	s_or_b32 exec_lo, exec_lo, s12
	s_wait_loadcnt_dscnt 0x0
	s_barrier_signal -1
	s_barrier_wait -1
	s_and_saveexec_b32 s12, s91
	s_cbranch_execz .LBB159_971
; %bb.970:                              ;   in Loop: Header=BB159_3 Depth=1
	ds_load_b64 v[46:47], v1 offset:512
	ds_load_b64 v[48:49], v51
	s_wait_dscnt 0x0
	v_pk_mul_f32 v[100:101], v[48:49], v[46:47] op_sel_hi:[1,0]
	s_delay_alu instid0(VALU_DEP_1) | instskip(SKIP_1) | instid1(VALU_DEP_2)
	v_pk_fma_f32 v[102:103], v[48:49], v[46:47], v[100:101] op_sel:[1,1,0] op_sel_hi:[0,1,1]
	v_pk_fma_f32 v[46:47], v[48:49], v[46:47], v[100:101] op_sel:[1,1,0] op_sel_hi:[0,1,1] neg_lo:[0,0,1] neg_hi:[0,0,1]
	v_pk_add_f32 v[48:49], v[44:45], v[102:103] neg_lo:[0,1] neg_hi:[0,1]
	s_delay_alu instid0(VALU_DEP_2) | instskip(NEXT) | instid1(VALU_DEP_2)
	v_pk_add_f32 v[44:45], v[44:45], v[46:47]
	v_mov_b32_e32 v45, v49
.LBB159_971:                            ;   in Loop: Header=BB159_3 Depth=1
	s_or_b32 exec_lo, exec_lo, s12
	s_barrier_signal -1
	s_barrier_wait -1
	s_and_saveexec_b32 s12, s91
; %bb.972:                              ;   in Loop: Header=BB159_3 Depth=1
	v_pk_add_f32 v[46:47], v[44:45], 0 neg_lo:[1,1] neg_hi:[1,1]
	ds_store_b64 v51, v[46:47]
; %bb.973:                              ;   in Loop: Header=BB159_3 Depth=1
	s_or_b32 exec_lo, exec_lo, s12
	s_wait_dscnt 0x0
	s_barrier_signal -1
	s_barrier_wait -1
	s_barrier_signal -1
	s_barrier_wait -1
	s_and_saveexec_b32 s12, s3
; %bb.974:                              ;   in Loop: Header=BB159_3 Depth=1
	ds_store_b64 v55, v[44:45] offset:1536
; %bb.975:                              ;   in Loop: Header=BB159_3 Depth=1
	s_or_b32 exec_lo, exec_lo, s12
	s_wait_dscnt 0x0
	s_barrier_signal -1
	s_barrier_wait -1
	s_barrier_signal -1
	s_barrier_wait -1
	s_and_saveexec_b32 s12, s92
	s_cbranch_execz .LBB159_977
; %bb.976:                              ;   in Loop: Header=BB159_3 Depth=1
	ds_load_b64 v[44:45], v85 offset:1024
	s_wait_dscnt 0x0
	ds_store_b64 v83, v[44:45] offset:16
	ds_load_b64 v[44:45], v85 offset:1032
	s_wait_dscnt 0x0
	ds_store_b64 v83, v[44:45] offset:528
.LBB159_977:                            ;   in Loop: Header=BB159_3 Depth=1
	s_or_b32 exec_lo, exec_lo, s12
	s_wait_dscnt 0x0
	s_barrier_signal -1
	s_barrier_wait -1
	s_and_saveexec_b32 s12, s10
	s_cbranch_execz .LBB159_979
; %bb.978:                              ;   in Loop: Header=BB159_3 Depth=1
	ds_load_b64 v[44:45], v1 offset:512
	ds_store_b64 v1, v[30:31] offset:520
	s_wait_dscnt 0x1
	ds_store_2addr_b64 v1, v[30:31], v[44:45] offset1:1
.LBB159_979:                            ;   in Loop: Header=BB159_3 Depth=1
	s_or_b32 exec_lo, exec_lo, s12
.LBB159_980:                            ;   in Loop: Header=BB159_3 Depth=1
	v_add_nc_u64_e32 v[42:43], s[70:71], v[42:43]
	v_mov_b64_e32 v[44:45], 0
	s_wait_dscnt 0x0
	s_barrier_signal -1
	s_barrier_wait -1
	s_wait_xcnt 0x0
	s_and_saveexec_b32 s12, s48
	s_cbranch_execz .LBB159_982
; %bb.981:                              ;   in Loop: Header=BB159_3 Depth=1
	v_lshl_add_u64 v[44:45], v[12:13], 3, v[42:43]
	v_readlane_b32 s50, v109, 16
	v_readlane_b32 s51, v109, 17
	flat_load_b64 v[44:45], v[44:45]
	v_mov_b64_e32 v[46:47], s[50:51]
	v_readlane_b32 s50, v109, 18
	v_readlane_b32 s51, v109, 19
	s_delay_alu instid0(VALU_DEP_1) | instskip(SKIP_1) | instid1(VALU_DEP_4)
	v_mov_b64_e32 v[48:49], s[50:51]
	s_wait_loadcnt_dscnt 0x0
	v_pk_mul_f32 v[46:47], v[46:47], v[44:45]
	s_delay_alu instid0(VALU_DEP_1)
	v_pk_fma_f32 v[44:45], v[48:49], v[44:45], v[46:47] op_sel:[0,0,1] op_sel_hi:[1,1,0] neg_lo:[1,0,0] neg_hi:[1,0,0]
.LBB159_982:                            ;   in Loop: Header=BB159_3 Depth=1
	s_or_b32 exec_lo, exec_lo, s12
	s_delay_alu instid0(SALU_CYCLE_1)
	s_and_not1_b32 vcc_lo, exec_lo, s49
	s_cbranch_vccnz .LBB159_1017
; %bb.983:                              ;   in Loop: Header=BB159_3 Depth=1
	v_mov_b32_e32 v27, -1
	s_lshl_b64 s[82:83], s[62:63], 2
	s_mov_b32 s12, 0
	s_add_nc_u64 s[82:83], s[76:77], s[82:83]
	s_branch .LBB159_986
.LBB159_984:                            ;   in Loop: Header=BB159_986 Depth=2
	s_wait_xcnt 0x0
	ds_load_b64 v[46:47], v89 offset:384
	s_wait_loadcnt_dscnt 0x0
	v_pk_mul_f32 v[48:49], v[48:49], v[46:47] op_sel:[0,1] op_sel_hi:[0,0]
	s_delay_alu instid0(VALU_DEP_1) | instskip(SKIP_1) | instid1(VALU_DEP_2)
	v_pk_fma_f32 v[100:101], v[0:1], v[46:47], v[48:49] op_sel_hi:[0,1,1] neg_lo:[0,0,1] neg_hi:[0,0,1]
	v_pk_fma_f32 v[46:47], v[0:1], v[46:47], v[48:49]
	v_mov_b32_e32 v47, v101
	s_delay_alu instid0(VALU_DEP_1)
	v_pk_add_f32 v[44:45], v[44:45], v[46:47]
.LBB159_985:                            ;   in Loop: Header=BB159_986 Depth=2
	s_or_b32 exec_lo, exec_lo, s61
	s_add_co_i32 s12, s12, 1
	s_delay_alu instid0(SALU_CYCLE_1)
	s_cmp_eq_u32 s12, s86
	s_cbranch_scc1 .LBB159_1017
.LBB159_986:                            ;   Parent Loop BB159_3 Depth=1
                                        ; =>  This Loop Header: Depth=2
                                        ;       Child Loop BB159_988 Depth 3
	v_cmp_gt_i32_e32 vcc_lo, s12, v27
	s_and_b32 s61, s35, vcc_lo
	s_delay_alu instid0(SALU_CYCLE_1)
	s_and_saveexec_b32 s19, s61
	s_cbranch_execz .LBB159_989
; %bb.987:                              ;   in Loop: Header=BB159_986 Depth=2
	global_load_b32 v27, v1, s[82:83]
	s_wait_loadcnt 0x0
	v_cmp_le_i32_e32 vcc_lo, s12, v27
	s_cbranch_vccnz .LBB159_989
.LBB159_988:                            ;   Parent Loop BB159_3 Depth=1
                                        ;     Parent Loop BB159_986 Depth=2
                                        ; =>    This Inner Loop Header: Depth=3
	global_wb scope:SCOPE_DEV
	s_wait_storecnt 0x0
	global_inv scope:SCOPE_DEV
	global_load_b32 v27, v1, s[82:83]
	s_wait_loadcnt 0x0
	v_cmp_gt_i32_e32 vcc_lo, s12, v27
	s_cbranch_vccnz .LBB159_988
.LBB159_989:                            ;   in Loop: Header=BB159_986 Depth=2
	s_or_b32 exec_lo, exec_lo, s19
	s_lshl_b32 s61, s12, 6
	global_wb scope:SCOPE_DEV
	s_wait_storecnt 0x0
	global_inv scope:SCOPE_DEV
	s_wait_loadcnt 0x0
	s_barrier_signal -1
	s_barrier_wait -1
	s_and_saveexec_b32 s19, s36
	s_cbranch_execz .LBB159_994
; %bb.990:                              ;   in Loop: Header=BB159_986 Depth=2
	v_or_b32_e32 v0, s61, v6
	s_delay_alu instid0(VALU_DEP_1) | instskip(SKIP_1) | instid1(SALU_CYCLE_1)
	v_cmp_le_i32_e32 vcc_lo, s85, v0
	s_and_saveexec_b32 s50, vcc_lo
	s_xor_b32 vcc_lo, exec_lo, s50
; %bb.991:                              ;   in Loop: Header=BB159_986 Depth=2
	ds_store_b64 v92, v[28:29]
; %bb.992:                              ;   in Loop: Header=BB159_986 Depth=2
	s_and_not1_saveexec_b32 s50, vcc_lo
	s_cbranch_execz .LBB159_994
; %bb.993:                              ;   in Loop: Header=BB159_986 Depth=2
	v_mul_u64_e32 v[46:47], s[74:75], v[0:1]
	s_delay_alu instid0(VALU_DEP_1)
	v_lshl_add_u64 v[46:47], v[46:47], 3, v[42:43]
	flat_load_b64 v[46:47], v[46:47]
	s_wait_loadcnt_dscnt 0x0
	ds_store_b64 v92, v[46:47]
.LBB159_994:                            ;   in Loop: Header=BB159_986 Depth=2
	s_or_b32 exec_lo, exec_lo, s19
	v_add_nc_u32_e32 v0, s61, v2
	v_cmp_ne_u32_e32 vcc_lo, s12, v5
	s_wait_dscnt 0x0
	s_barrier_signal -1
	s_barrier_wait -1
	v_cmp_gt_i32_e64 s61, s85, v0
	v_lshl_add_u64 v[46:47], v[0:1], 3, v[40:41]
	v_cndmask_b32_e64 v99, 0, 1, vcc_lo
	s_and_b32 s19, s61, s2
	s_delay_alu instid0(SALU_CYCLE_1)
	s_and_saveexec_b32 s61, s19
	s_cbranch_execz .LBB159_1000
; %bb.995:                              ;   in Loop: Header=BB159_986 Depth=2
	v_mov_b32_e32 v48, v32
	s_and_not1_b32 vcc_lo, exec_lo, vcc_lo
	s_cbranch_vccnz .LBB159_997
; %bb.996:                              ;   in Loop: Header=BB159_986 Depth=2
	flat_load_b32 v48, v[46:47]
.LBB159_997:                            ;   in Loop: Header=BB159_986 Depth=2
	v_cmp_ne_u32_e32 vcc_lo, 1, v99
	v_mov_b32_e32 v50, v33
	s_cbranch_vccnz .LBB159_999
; %bb.998:                              ;   in Loop: Header=BB159_986 Depth=2
	flat_load_b32 v50, v[46:47] offset:4
.LBB159_999:                            ;   in Loop: Header=BB159_986 Depth=2
	ds_load_b64 v[100:101], v89
	s_wait_loadcnt_dscnt 0x0
	v_pk_mul_f32 v[102:103], v[50:51], v[100:101] op_sel:[0,1] op_sel_hi:[0,0]
	s_delay_alu instid0(VALU_DEP_1) | instskip(SKIP_1) | instid1(VALU_DEP_2)
	v_pk_fma_f32 v[104:105], v[48:49], v[100:101], v[102:103] op_sel_hi:[0,1,1] neg_lo:[0,0,1] neg_hi:[0,0,1]
	v_pk_fma_f32 v[48:49], v[48:49], v[100:101], v[102:103]
	v_mov_b32_e32 v49, v105
	s_delay_alu instid0(VALU_DEP_1)
	v_pk_add_f32 v[44:45], v[44:45], v[48:49]
.LBB159_1000:                           ;   in Loop: Header=BB159_986 Depth=2
	s_or_b32 exec_lo, exec_lo, s61
	v_add_nc_u32_e32 v48, 16, v0
	s_delay_alu instid0(VALU_DEP_1) | instskip(SKIP_1) | instid1(SALU_CYCLE_1)
	v_cmp_gt_i32_e32 vcc_lo, s85, v48
	s_and_b32 s19, vcc_lo, s2
	s_and_saveexec_b32 s61, s19
	s_cbranch_execz .LBB159_1006
; %bb.1001:                             ;   in Loop: Header=BB159_986 Depth=2
	v_cmp_ne_u32_e32 vcc_lo, 1, v99
	v_mov_b32_e32 v48, v34
	s_cbranch_vccnz .LBB159_1003
; %bb.1002:                             ;   in Loop: Header=BB159_986 Depth=2
	flat_load_b32 v48, v[46:47] offset:128
.LBB159_1003:                           ;   in Loop: Header=BB159_986 Depth=2
	v_cmp_ne_u32_e32 vcc_lo, 1, v99
	v_mov_b32_e32 v49, v35
	s_cbranch_vccnz .LBB159_1005
; %bb.1004:                             ;   in Loop: Header=BB159_986 Depth=2
	flat_load_b32 v49, v[46:47] offset:132
.LBB159_1005:                           ;   in Loop: Header=BB159_986 Depth=2
	ds_load_b64 v[100:101], v89 offset:128
	s_wait_loadcnt_dscnt 0x1
	v_dual_mov_b32 v102, v49 :: v_dual_mov_b32 v103, v48
	s_wait_dscnt 0x0
	v_dual_mul_f32 v50, v49, v100 :: v_dual_mul_f32 v104, v49, v101
	s_delay_alu instid0(VALU_DEP_1) | instskip(NEXT) | instid1(VALU_DEP_2)
	v_pk_fma_f32 v[102:103], v[102:103], v[100:101], v[50:51] op_sel_hi:[1,1,0] neg_lo:[0,0,1] neg_hi:[0,0,1]
	v_pk_fma_f32 v[48:49], v[48:49], v[100:101], v[104:105] op_sel_hi:[1,1,0]
	s_delay_alu instid0(VALU_DEP_2) | instskip(NEXT) | instid1(VALU_DEP_1)
	v_mov_b32_e32 v49, v103
	v_pk_add_f32 v[44:45], v[44:45], v[48:49]
.LBB159_1006:                           ;   in Loop: Header=BB159_986 Depth=2
	s_or_b32 exec_lo, exec_lo, s61
	v_add_nc_u32_e32 v48, 32, v0
	s_delay_alu instid0(VALU_DEP_1) | instskip(SKIP_1) | instid1(SALU_CYCLE_1)
	v_cmp_gt_i32_e32 vcc_lo, s85, v48
	s_and_b32 s19, vcc_lo, s2
	s_and_saveexec_b32 s61, s19
	s_cbranch_execz .LBB159_1012
; %bb.1007:                             ;   in Loop: Header=BB159_986 Depth=2
	v_cmp_ne_u32_e32 vcc_lo, 1, v99
	v_mov_b32_e32 v48, v36
	s_cbranch_vccnz .LBB159_1009
; %bb.1008:                             ;   in Loop: Header=BB159_986 Depth=2
	flat_load_b32 v48, v[46:47] offset:256
.LBB159_1009:                           ;   in Loop: Header=BB159_986 Depth=2
	v_cmp_ne_u32_e32 vcc_lo, 1, v99
	v_mov_b32_e32 v50, v37
	s_cbranch_vccnz .LBB159_1011
; %bb.1010:                             ;   in Loop: Header=BB159_986 Depth=2
	flat_load_b32 v50, v[46:47] offset:260
.LBB159_1011:                           ;   in Loop: Header=BB159_986 Depth=2
	ds_load_b64 v[100:101], v89 offset:256
	s_wait_loadcnt_dscnt 0x0
	v_pk_mul_f32 v[102:103], v[50:51], v[100:101] op_sel:[0,1] op_sel_hi:[0,0]
	s_delay_alu instid0(VALU_DEP_1) | instskip(SKIP_1) | instid1(VALU_DEP_2)
	v_pk_fma_f32 v[104:105], v[48:49], v[100:101], v[102:103] op_sel_hi:[0,1,1] neg_lo:[0,0,1] neg_hi:[0,0,1]
	v_pk_fma_f32 v[48:49], v[48:49], v[100:101], v[102:103]
	v_mov_b32_e32 v49, v105
	s_delay_alu instid0(VALU_DEP_1)
	v_pk_add_f32 v[44:45], v[44:45], v[48:49]
.LBB159_1012:                           ;   in Loop: Header=BB159_986 Depth=2
	s_or_b32 exec_lo, exec_lo, s61
	v_add_nc_u32_e32 v0, 48, v0
	s_delay_alu instid0(VALU_DEP_1) | instskip(SKIP_1) | instid1(SALU_CYCLE_1)
	v_cmp_gt_i32_e32 vcc_lo, s85, v0
	s_and_b32 s19, vcc_lo, s2
	s_and_saveexec_b32 s61, s19
	s_cbranch_execz .LBB159_985
; %bb.1013:                             ;   in Loop: Header=BB159_986 Depth=2
	v_cmp_ne_u32_e32 vcc_lo, 1, v99
	v_mov_b32_e32 v0, v38
	s_cbranch_vccnz .LBB159_1015
; %bb.1014:                             ;   in Loop: Header=BB159_986 Depth=2
	flat_load_b32 v0, v[46:47] offset:384
.LBB159_1015:                           ;   in Loop: Header=BB159_986 Depth=2
	v_cmp_ne_u32_e32 vcc_lo, 1, v99
	v_mov_b32_e32 v48, v39
	s_cbranch_vccnz .LBB159_984
; %bb.1016:                             ;   in Loop: Header=BB159_986 Depth=2
	flat_load_b32 v48, v[46:47] offset:388
	s_branch .LBB159_984
.LBB159_1017:                           ;   in Loop: Header=BB159_3 Depth=1
	ds_store_b64 v93, v[44:45]
	s_wait_dscnt 0x0
	s_barrier_signal -1
	s_barrier_wait -1
	s_and_saveexec_b32 s12, s4
	s_cbranch_execz .LBB159_1019
; %bb.1018:                             ;   in Loop: Header=BB159_3 Depth=1
	ds_load_2addr_stride64_b64 v[46:49], v94 offset0:1 offset1:2
	ds_load_2addr_stride64_b64 v[100:103], v94 offset0:3 offset1:4
	;; [unrolled: 1-line block ×3, first 2 shown]
	s_wait_dscnt 0x2
	v_pk_add_f32 v[40:41], v[44:45], v[46:47]
	ds_load_2addr_stride64_b64 v[44:47], v94 offset0:7 offset1:8
	v_pk_add_f32 v[40:41], v[40:41], v[48:49]
	ds_load_b64 v[48:49], v94 offset:7680
	s_wait_dscnt 0x3
	v_pk_add_f32 v[40:41], v[40:41], v[100:101]
	s_delay_alu instid0(VALU_DEP_1) | instskip(SKIP_3) | instid1(VALU_DEP_1)
	v_pk_add_f32 v[40:41], v[40:41], v[102:103]
	ds_load_2addr_stride64_b64 v[100:103], v94 offset0:9 offset1:10
	s_wait_dscnt 0x3
	v_pk_add_f32 v[40:41], v[40:41], v[104:105]
	v_pk_add_f32 v[40:41], v[40:41], v[106:107]
	ds_load_2addr_stride64_b64 v[104:107], v94 offset0:11 offset1:12
	s_wait_dscnt 0x3
	v_pk_add_f32 v[40:41], v[40:41], v[44:45]
	s_delay_alu instid0(VALU_DEP_1) | instskip(SKIP_3) | instid1(VALU_DEP_1)
	v_pk_add_f32 v[40:41], v[40:41], v[46:47]
	ds_load_2addr_stride64_b64 v[44:47], v94 offset0:13 offset1:14
	s_wait_dscnt 0x2
	v_pk_add_f32 v[40:41], v[40:41], v[100:101]
	v_pk_add_f32 v[40:41], v[40:41], v[102:103]
	s_wait_dscnt 0x1
	s_delay_alu instid0(VALU_DEP_1) | instskip(NEXT) | instid1(VALU_DEP_1)
	v_pk_add_f32 v[40:41], v[40:41], v[104:105]
	v_pk_add_f32 v[40:41], v[40:41], v[106:107]
	s_wait_dscnt 0x0
	s_delay_alu instid0(VALU_DEP_1) | instskip(NEXT) | instid1(VALU_DEP_1)
	v_pk_add_f32 v[40:41], v[40:41], v[44:45]
	v_pk_add_f32 v[40:41], v[40:41], v[46:47]
	s_delay_alu instid0(VALU_DEP_1) | instskip(NEXT) | instid1(VALU_DEP_1)
	v_pk_add_f32 v[40:41], v[40:41], v[48:49]
	v_cndmask_b32_e64 v45, -v41, 0, s46
	s_delay_alu instid0(VALU_DEP_2)
	v_cndmask_b32_e64 v44, -v40, 0, s46
.LBB159_1019:                           ;   in Loop: Header=BB159_3 Depth=1
	s_or_b32 exec_lo, exec_lo, s12
	s_delay_alu instid0(SALU_CYCLE_1)
	s_and_not1_b32 vcc_lo, exec_lo, s89
	s_cbranch_vccnz .LBB159_1029
; %bb.1020:                             ;   in Loop: Header=BB159_3 Depth=1
	s_and_saveexec_b32 s12, s4
; %bb.1021:                             ;   in Loop: Header=BB159_3 Depth=1
	ds_store_b64 v96, v[44:45]
; %bb.1022:                             ;   in Loop: Header=BB159_3 Depth=1
	s_or_b32 exec_lo, exec_lo, s12
	v_mov_b64_e32 v[40:41], 0
	s_wait_dscnt 0x0
	s_barrier_signal -1
	s_barrier_wait -1
	s_and_saveexec_b32 s12, s0
	s_cbranch_execnz .LBB159_1068
; %bb.1023:                             ;   in Loop: Header=BB159_3 Depth=1
	s_or_b32 exec_lo, exec_lo, s12
	s_and_saveexec_b32 s12, s1
	s_cbranch_execnz .LBB159_1069
.LBB159_1024:                           ;   in Loop: Header=BB159_3 Depth=1
	s_or_b32 exec_lo, exec_lo, s12
	s_and_saveexec_b32 s12, s8
	s_cbranch_execnz .LBB159_1070
.LBB159_1025:                           ;   in Loop: Header=BB159_3 Depth=1
	s_or_b32 exec_lo, exec_lo, s12
	s_and_saveexec_b32 s12, s9
	s_cbranch_execz .LBB159_1027
.LBB159_1026:                           ;   in Loop: Header=BB159_3 Depth=1
	ds_load_b64 v[46:47], v95 offset:24576
	ds_load_b64 v[48:49], v89 offset:384
	s_wait_dscnt 0x0
	v_pk_mul_f32 v[100:101], v[48:49], v[46:47] op_sel:[1,1] op_sel_hi:[0,1]
	s_delay_alu instid0(VALU_DEP_1) | instskip(SKIP_1) | instid1(VALU_DEP_2)
	v_pk_fma_f32 v[102:103], v[48:49], v[46:47], v[100:101] op_sel_hi:[1,0,1]
	v_pk_fma_f32 v[46:47], v[48:49], v[46:47], v[100:101] neg_lo:[0,0,1] neg_hi:[0,0,1]
	v_mov_b32_e32 v47, v103
	s_delay_alu instid0(VALU_DEP_1)
	v_pk_add_f32 v[40:41], v[40:41], v[46:47]
.LBB159_1027:                           ;   in Loop: Header=BB159_3 Depth=1
	s_or_b32 exec_lo, exec_lo, s12
	s_mov_b32 s12, 0
	s_mov_b32 s61, 0
	ds_store_b64 v93, v[40:41]
	s_wait_dscnt 0x0
	s_barrier_signal -1
	s_barrier_wait -1
                                        ; implicit-def: $vgpr46_vgpr47
	s_and_saveexec_b32 s82, s4
	s_cbranch_execz .LBB159_1071
; %bb.1028:                             ;   in Loop: Header=BB159_3 Depth=1
	ds_load_2addr_stride64_b64 v[46:49], v94 offset0:1 offset1:2
	ds_load_2addr_stride64_b64 v[100:103], v94 offset0:3 offset1:4
	;; [unrolled: 1-line block ×3, first 2 shown]
	s_mov_b32 s61, exec_lo
	s_wait_dscnt 0x2
	v_pk_add_f32 v[40:41], v[40:41], v[46:47]
	s_delay_alu instid0(VALU_DEP_1) | instskip(SKIP_3) | instid1(VALU_DEP_1)
	v_pk_add_f32 v[40:41], v[40:41], v[48:49]
	ds_load_2addr_stride64_b64 v[46:49], v94 offset0:7 offset1:8
	s_wait_dscnt 0x2
	v_pk_add_f32 v[40:41], v[40:41], v[100:101]
	v_pk_add_f32 v[40:41], v[40:41], v[102:103]
	ds_load_2addr_stride64_b64 v[100:103], v94 offset0:9 offset1:10
	s_wait_dscnt 0x2
	v_pk_add_f32 v[40:41], v[40:41], v[104:105]
	s_delay_alu instid0(VALU_DEP_1) | instskip(SKIP_3) | instid1(VALU_DEP_1)
	v_pk_add_f32 v[40:41], v[40:41], v[106:107]
	ds_load_2addr_stride64_b64 v[104:107], v94 offset0:11 offset1:12
	s_wait_dscnt 0x2
	v_pk_add_f32 v[40:41], v[40:41], v[46:47]
	v_pk_add_f32 v[40:41], v[40:41], v[48:49]
	ds_load_2addr_stride64_b64 v[46:49], v94 offset0:13 offset1:14
	s_wait_dscnt 0x2
	v_pk_add_f32 v[40:41], v[40:41], v[100:101]
	ds_load_b64 v[100:101], v94 offset:7680
	v_pk_add_f32 v[40:41], v[40:41], v[102:103]
	s_wait_dscnt 0x2
	s_delay_alu instid0(VALU_DEP_1) | instskip(NEXT) | instid1(VALU_DEP_1)
	v_pk_add_f32 v[40:41], v[40:41], v[104:105]
	v_pk_add_f32 v[40:41], v[40:41], v[106:107]
	s_wait_dscnt 0x1
	s_delay_alu instid0(VALU_DEP_1) | instskip(NEXT) | instid1(VALU_DEP_1)
	v_pk_add_f32 v[40:41], v[40:41], v[46:47]
	v_pk_add_f32 v[40:41], v[40:41], v[48:49]
	s_wait_dscnt 0x0
	s_delay_alu instid0(VALU_DEP_1) | instskip(SKIP_1) | instid1(SALU_CYCLE_1)
	v_pk_add_f32 v[46:47], v[40:41], v[100:101]
	s_or_b32 exec_lo, exec_lo, s82
	s_and_b32 vcc_lo, exec_lo, s12
	s_cbranch_vccnz .LBB159_1030
	s_branch .LBB159_1072
.LBB159_1029:                           ;   in Loop: Header=BB159_3 Depth=1
	s_mov_b32 s61, 0
                                        ; implicit-def: $vgpr46_vgpr47
	s_cbranch_execz .LBB159_1072
.LBB159_1030:                           ;   in Loop: Header=BB159_3 Depth=1
	v_dual_mov_b32 v0, v4 :: v_dual_mov_b32 v27, v91
	s_mov_b32 s12, 0
	s_branch .LBB159_1032
.LBB159_1031:                           ;   in Loop: Header=BB159_1032 Depth=2
	s_or_b32 exec_lo, exec_lo, s19
	v_add_nc_u32_e32 v27, 0x800, v27
	v_add_nc_u32_e32 v0, -4, v0
	s_add_co_i32 s12, s12, 4
	s_delay_alu instid0(SALU_CYCLE_1)
	s_cmp_lg_u32 s12, 64
	s_barrier_signal -1
	s_barrier_wait -1
	s_cbranch_scc0 .LBB159_1048
.LBB159_1032:                           ;   Parent Loop BB159_3 Depth=1
                                        ; =>  This Inner Loop Header: Depth=2
	s_delay_alu instid0(VALU_DEP_1) | instskip(SKIP_1) | instid1(SALU_CYCLE_1)
	v_cmp_eq_u32_e32 vcc_lo, 0, v0
	s_and_b32 s50, s4, vcc_lo
	s_and_saveexec_b32 s19, s50
; %bb.1033:                             ;   in Loop: Header=BB159_1032 Depth=2
	ds_store_b64 v1, v[44:45] offset:41472
; %bb.1034:                             ;   in Loop: Header=BB159_1032 Depth=2
	s_or_b32 exec_lo, exec_lo, s19
	v_cmp_lt_u32_e32 vcc_lo, s12, v4
	s_wait_dscnt 0x0
	s_barrier_signal -1
	s_barrier_wait -1
	s_and_b32 s50, s4, vcc_lo
	s_delay_alu instid0(SALU_CYCLE_1)
	s_and_saveexec_b32 s19, s50
	s_cbranch_execz .LBB159_1036
; %bb.1035:                             ;   in Loop: Header=BB159_1032 Depth=2
	ds_load_b64 v[40:41], v27
	ds_load_b64 v[46:47], v1 offset:41472
	s_wait_dscnt 0x0
	v_pk_mul_f32 v[48:49], v[46:47], v[40:41] op_sel:[1,1] op_sel_hi:[0,1]
	s_delay_alu instid0(VALU_DEP_1) | instskip(SKIP_1) | instid1(VALU_DEP_2)
	v_pk_fma_f32 v[100:101], v[46:47], v[40:41], v[48:49] op_sel_hi:[1,0,1]
	v_pk_fma_f32 v[40:41], v[46:47], v[40:41], v[48:49] neg_lo:[0,0,1] neg_hi:[0,0,1]
	v_mov_b32_e32 v41, v101
	s_delay_alu instid0(VALU_DEP_1)
	v_pk_add_f32 v[44:45], v[44:45], v[40:41]
.LBB159_1036:                           ;   in Loop: Header=BB159_1032 Depth=2
	s_or_b32 exec_lo, exec_lo, s19
	s_or_b32 s19, s12, 1
	s_delay_alu instid0(SALU_CYCLE_1) | instskip(SKIP_3) | instid1(SALU_CYCLE_1)
	v_cmp_eq_u32_e32 vcc_lo, s19, v4
	s_barrier_signal -1
	s_barrier_wait -1
	s_and_b32 s50, s4, vcc_lo
	s_and_saveexec_b32 s82, s50
; %bb.1037:                             ;   in Loop: Header=BB159_1032 Depth=2
	ds_store_b64 v1, v[44:45] offset:41472
; %bb.1038:                             ;   in Loop: Header=BB159_1032 Depth=2
	s_or_b32 exec_lo, exec_lo, s82
	v_cmp_lt_u32_e32 vcc_lo, s19, v4
	s_wait_dscnt 0x0
	s_barrier_signal -1
	s_barrier_wait -1
	s_and_b32 s50, s4, vcc_lo
	s_delay_alu instid0(SALU_CYCLE_1)
	s_and_saveexec_b32 s19, s50
	s_cbranch_execz .LBB159_1040
; %bb.1039:                             ;   in Loop: Header=BB159_1032 Depth=2
	ds_load_b64 v[40:41], v27 offset:512
	ds_load_b64 v[46:47], v1 offset:41472
	s_wait_dscnt 0x0
	v_pk_mul_f32 v[48:49], v[46:47], v[40:41] op_sel:[1,1] op_sel_hi:[0,1]
	s_delay_alu instid0(VALU_DEP_1) | instskip(SKIP_1) | instid1(VALU_DEP_2)
	v_pk_fma_f32 v[100:101], v[46:47], v[40:41], v[48:49] op_sel_hi:[1,0,1]
	v_pk_fma_f32 v[40:41], v[46:47], v[40:41], v[48:49] neg_lo:[0,0,1] neg_hi:[0,0,1]
	v_mov_b32_e32 v41, v101
	s_delay_alu instid0(VALU_DEP_1)
	v_pk_add_f32 v[44:45], v[44:45], v[40:41]
.LBB159_1040:                           ;   in Loop: Header=BB159_1032 Depth=2
	s_or_b32 exec_lo, exec_lo, s19
	s_or_b32 s19, s12, 2
	s_delay_alu instid0(SALU_CYCLE_1) | instskip(SKIP_3) | instid1(SALU_CYCLE_1)
	v_cmp_eq_u32_e32 vcc_lo, s19, v4
	s_barrier_signal -1
	s_barrier_wait -1
	s_and_b32 s50, s4, vcc_lo
	s_and_saveexec_b32 s82, s50
; %bb.1041:                             ;   in Loop: Header=BB159_1032 Depth=2
	ds_store_b64 v1, v[44:45] offset:41472
; %bb.1042:                             ;   in Loop: Header=BB159_1032 Depth=2
	s_or_b32 exec_lo, exec_lo, s82
	v_cmp_lt_u32_e32 vcc_lo, s19, v4
	s_wait_dscnt 0x0
	s_barrier_signal -1
	s_barrier_wait -1
	s_and_b32 s50, s4, vcc_lo
	s_delay_alu instid0(SALU_CYCLE_1)
	s_and_saveexec_b32 s19, s50
	s_cbranch_execz .LBB159_1044
; %bb.1043:                             ;   in Loop: Header=BB159_1032 Depth=2
	ds_load_b64 v[40:41], v27 offset:1024
	ds_load_b64 v[46:47], v1 offset:41472
	s_wait_dscnt 0x0
	v_pk_mul_f32 v[48:49], v[46:47], v[40:41] op_sel:[1,1] op_sel_hi:[0,1]
	s_delay_alu instid0(VALU_DEP_1) | instskip(SKIP_1) | instid1(VALU_DEP_2)
	v_pk_fma_f32 v[100:101], v[46:47], v[40:41], v[48:49] op_sel_hi:[1,0,1]
	v_pk_fma_f32 v[40:41], v[46:47], v[40:41], v[48:49] neg_lo:[0,0,1] neg_hi:[0,0,1]
	v_mov_b32_e32 v41, v101
	s_delay_alu instid0(VALU_DEP_1)
	v_pk_add_f32 v[44:45], v[44:45], v[40:41]
.LBB159_1044:                           ;   in Loop: Header=BB159_1032 Depth=2
	s_or_b32 exec_lo, exec_lo, s19
	s_or_b32 s19, s12, 3
	s_delay_alu instid0(SALU_CYCLE_1) | instskip(SKIP_3) | instid1(SALU_CYCLE_1)
	v_cmp_eq_u32_e32 vcc_lo, s19, v4
	s_barrier_signal -1
	s_barrier_wait -1
	s_and_b32 s50, s4, vcc_lo
	s_and_saveexec_b32 s82, s50
; %bb.1045:                             ;   in Loop: Header=BB159_1032 Depth=2
	ds_store_b64 v1, v[44:45] offset:41472
; %bb.1046:                             ;   in Loop: Header=BB159_1032 Depth=2
	s_or_b32 exec_lo, exec_lo, s82
	v_cmp_lt_u32_e32 vcc_lo, s19, v4
	s_wait_dscnt 0x0
	s_barrier_signal -1
	s_barrier_wait -1
	s_and_b32 s50, s4, vcc_lo
	s_delay_alu instid0(SALU_CYCLE_1)
	s_and_saveexec_b32 s19, s50
	s_cbranch_execz .LBB159_1031
; %bb.1047:                             ;   in Loop: Header=BB159_1032 Depth=2
	ds_load_b64 v[40:41], v27 offset:1536
	ds_load_b64 v[46:47], v1 offset:41472
	s_wait_dscnt 0x0
	v_pk_mul_f32 v[48:49], v[46:47], v[40:41] op_sel:[1,1] op_sel_hi:[0,1]
	s_delay_alu instid0(VALU_DEP_1) | instskip(SKIP_1) | instid1(VALU_DEP_2)
	v_pk_fma_f32 v[100:101], v[46:47], v[40:41], v[48:49] op_sel_hi:[1,0,1]
	v_pk_fma_f32 v[40:41], v[46:47], v[40:41], v[48:49] neg_lo:[0,0,1] neg_hi:[0,0,1]
	v_mov_b32_e32 v41, v101
	s_delay_alu instid0(VALU_DEP_1)
	v_pk_add_f32 v[44:45], v[44:45], v[40:41]
	s_branch .LBB159_1031
.LBB159_1048:                           ;   in Loop: Header=BB159_3 Depth=1
	s_and_b32 vcc_lo, exec_lo, s88
	s_mov_b32 s12, -1
	s_cbranch_vccz .LBB159_1050
; %bb.1049:                             ;   in Loop: Header=BB159_3 Depth=1
	s_and_not1_b32 s19, s61, exec_lo
	s_and_b32 s50, s4, exec_lo
	s_mov_b32 s12, 0
	s_or_b32 s61, s19, s50
.LBB159_1050:                           ;   in Loop: Header=BB159_3 Depth=1
	s_and_not1_b32 vcc_lo, exec_lo, s12
	s_cbranch_vccnz .LBB159_1052
; %bb.1051:                             ;   in Loop: Header=BB159_3 Depth=1
	v_readlane_b32 s19, v109, 7
	s_and_not1_b32 s12, s61, exec_lo
	s_and_b32 s19, s19, exec_lo
	s_delay_alu instid0(SALU_CYCLE_1)
	s_or_b32 s61, s12, s19
.LBB159_1052:                           ;   in Loop: Header=BB159_3 Depth=1
	v_mov_b64_e32 v[40:41], v[22:23]
	s_and_saveexec_b32 s12, s61
	s_cbranch_execnz .LBB159_1073
	s_branch .LBB159_1074
.LBB159_1053:                           ;   in Loop: Header=BB159_3 Depth=1
	v_readlane_b32 s50, v109, 20
	s_and_saveexec_b32 s19, s50
; %bb.1054:                             ;   in Loop: Header=BB159_3 Depth=1
	ds_store_b64 v82, v[28:29]
; %bb.1055:                             ;   in Loop: Header=BB159_3 Depth=1
	s_or_b32 exec_lo, exec_lo, s19
	s_and_not1_saveexec_b32 s12, s12
	s_cbranch_execz .LBB159_16
.LBB159_1056:                           ;   in Loop: Header=BB159_3 Depth=1
	v_lshl_add_u64 v[46:47], v[20:21], 3, v[44:45]
	flat_load_b64 v[46:47], v[46:47]
	s_wait_loadcnt_dscnt 0x0
	v_xor_b32_e32 v46, 0x80000000, v46
	ds_store_b64 v82, v[46:47]
	s_or_b32 exec_lo, exec_lo, s12
	s_and_saveexec_b32 s12, s1
	s_delay_alu instid0(SALU_CYCLE_1)
	s_xor_b32 s12, exec_lo, s12
	s_cbranch_execz .LBB159_17
.LBB159_1057:                           ;   in Loop: Header=BB159_3 Depth=1
	v_readlane_b32 s50, v109, 21
	s_and_saveexec_b32 s19, s50
; %bb.1058:                             ;   in Loop: Header=BB159_3 Depth=1
	ds_store_b64 v84, v[28:29]
; %bb.1059:                             ;   in Loop: Header=BB159_3 Depth=1
	s_or_b32 exec_lo, exec_lo, s19
	s_and_not1_saveexec_b32 s12, s12
	s_cbranch_execz .LBB159_18
.LBB159_1060:                           ;   in Loop: Header=BB159_3 Depth=1
	v_lshl_add_u64 v[46:47], v[14:15], 3, v[44:45]
	flat_load_b64 v[46:47], v[46:47]
	s_wait_loadcnt_dscnt 0x0
	v_xor_b32_e32 v46, 0x80000000, v46
	ds_store_b64 v84, v[46:47]
	s_or_b32 exec_lo, exec_lo, s12
	s_and_saveexec_b32 s12, s8
	s_delay_alu instid0(SALU_CYCLE_1)
	s_xor_b32 s12, exec_lo, s12
	s_cbranch_execz .LBB159_19
.LBB159_1061:                           ;   in Loop: Header=BB159_3 Depth=1
	v_readlane_b32 s50, v109, 22
	s_and_saveexec_b32 s19, s50
; %bb.1062:                             ;   in Loop: Header=BB159_3 Depth=1
	ds_store_b64 v86, v[28:29]
; %bb.1063:                             ;   in Loop: Header=BB159_3 Depth=1
	s_or_b32 exec_lo, exec_lo, s19
	s_and_not1_saveexec_b32 s12, s12
	s_cbranch_execz .LBB159_20
.LBB159_1064:                           ;   in Loop: Header=BB159_3 Depth=1
	v_lshl_add_u64 v[46:47], v[16:17], 3, v[44:45]
	flat_load_b64 v[46:47], v[46:47]
	s_wait_loadcnt_dscnt 0x0
	v_xor_b32_e32 v46, 0x80000000, v46
	ds_store_b64 v86, v[46:47]
	s_or_b32 exec_lo, exec_lo, s12
	s_and_saveexec_b32 s12, s9
	s_delay_alu instid0(SALU_CYCLE_1)
	s_xor_b32 s12, exec_lo, s12
	s_cbranch_execz .LBB159_21
.LBB159_1065:                           ;   in Loop: Header=BB159_3 Depth=1
	v_readlane_b32 s50, v108, 12
	s_and_saveexec_b32 s19, s50
; %bb.1066:                             ;   in Loop: Header=BB159_3 Depth=1
	ds_store_b64 v87, v[28:29]
; %bb.1067:                             ;   in Loop: Header=BB159_3 Depth=1
	s_or_b32 exec_lo, exec_lo, s19
	s_and_not1_saveexec_b32 s12, s12
	s_cbranch_execnz .LBB159_22
	s_branch .LBB159_23
.LBB159_1068:                           ;   in Loop: Header=BB159_3 Depth=1
	ds_load_b64 v[40:41], v95
	ds_load_b64 v[46:47], v89
	s_wait_dscnt 0x0
	v_dual_mul_f32 v0, v47, v41 :: v_dual_mul_f32 v27, v46, v41
	s_delay_alu instid0(VALU_DEP_1) | instskip(NEXT) | instid1(VALU_DEP_1)
	v_dual_fma_f32 v0, v46, v40, -v0 :: v_dual_fmac_f32 v27, v47, v40
	v_dual_add_f32 v40, 0, v0 :: v_dual_add_f32 v41, 0, v27
	s_or_b32 exec_lo, exec_lo, s12
	s_and_saveexec_b32 s12, s1
	s_cbranch_execz .LBB159_1024
.LBB159_1069:                           ;   in Loop: Header=BB159_3 Depth=1
	ds_load_b64 v[46:47], v95 offset:8192
	ds_load_b64 v[48:49], v89 offset:128
	s_wait_dscnt 0x0
	v_dual_mul_f32 v0, v49, v47 :: v_dual_mul_f32 v101, v48, v47
	s_delay_alu instid0(VALU_DEP_1) | instskip(NEXT) | instid1(VALU_DEP_1)
	v_dual_fma_f32 v100, v48, v46, -v0 :: v_dual_fmac_f32 v101, v49, v46
	v_pk_add_f32 v[40:41], v[40:41], v[100:101]
	s_or_b32 exec_lo, exec_lo, s12
	s_and_saveexec_b32 s12, s8
	s_cbranch_execz .LBB159_1025
.LBB159_1070:                           ;   in Loop: Header=BB159_3 Depth=1
	ds_load_b64 v[46:47], v95 offset:16384
	ds_load_b64 v[48:49], v89 offset:256
	s_wait_dscnt 0x0
	v_pk_mul_f32 v[100:101], v[48:49], v[46:47] op_sel:[1,1] op_sel_hi:[0,1]
	s_delay_alu instid0(VALU_DEP_1) | instskip(SKIP_1) | instid1(VALU_DEP_2)
	v_pk_fma_f32 v[102:103], v[48:49], v[46:47], v[100:101] op_sel_hi:[1,0,1]
	v_pk_fma_f32 v[46:47], v[48:49], v[46:47], v[100:101] neg_lo:[0,0,1] neg_hi:[0,0,1]
	v_mov_b32_e32 v47, v103
	s_delay_alu instid0(VALU_DEP_1)
	v_pk_add_f32 v[40:41], v[40:41], v[46:47]
	s_or_b32 exec_lo, exec_lo, s12
	s_and_saveexec_b32 s12, s9
	s_cbranch_execnz .LBB159_1026
	s_branch .LBB159_1027
.LBB159_1071:                           ;   in Loop: Header=BB159_3 Depth=1
	s_or_b32 exec_lo, exec_lo, s82
	s_delay_alu instid0(SALU_CYCLE_1)
	s_and_b32 vcc_lo, exec_lo, s12
	s_cbranch_vccnz .LBB159_1030
.LBB159_1072:                           ;   in Loop: Header=BB159_3 Depth=1
	v_mov_b64_e32 v[44:45], v[46:47]
	v_mov_b64_e32 v[40:41], v[24:25]
	s_and_saveexec_b32 s12, s61
	s_cbranch_execz .LBB159_1074
.LBB159_1073:                           ;   in Loop: Header=BB159_3 Depth=1
	s_delay_alu instid0(VALU_DEP_1)
	v_lshl_add_u64 v[40:41], v[40:41], 3, v[42:43]
	flat_store_b64 v[40:41], v[44:45]
.LBB159_1074:                           ;   in Loop: Header=BB159_3 Depth=1
	s_wait_xcnt 0x0
	s_or_b32 exec_lo, exec_lo, s12
	global_wb scope:SCOPE_DEV
	s_wait_storecnt_dscnt 0x0
	global_inv scope:SCOPE_DEV
	s_wait_loadcnt 0x0
	s_barrier_signal -1
	s_barrier_wait -1
	s_and_saveexec_b32 s12, s35
	s_cbranch_execz .LBB159_2
; %bb.1075:                             ;   in Loop: Header=BB159_3 Depth=1
	s_lshl_b64 s[82:83], s[62:63], 2
	s_delay_alu instid0(SALU_CYCLE_1)
	s_add_nc_u64 s[82:83], s[76:77], s[82:83]
	global_load_b32 v0, v1, s[82:83]
	s_wait_loadcnt 0x0
	v_add_nc_u32_e32 v0, 1, v0
	global_store_b32 v1, v0, s[82:83]
	s_branch .LBB159_2
.LBB159_1076:                           ;   in Loop: Header=BB159_3 Depth=1
	ds_load_b64 v[46:47], v58 offset:31680
	ds_load_b64 v[48:49], v59 offset:32744
	s_wait_dscnt 0x0
	v_dual_mul_f32 v0, v49, v47 :: v_dual_mul_f32 v27, v48, v47
	s_delay_alu instid0(VALU_DEP_1) | instskip(NEXT) | instid1(VALU_DEP_1)
	v_dual_fma_f32 v0, v48, v46, -v0 :: v_dual_fmac_f32 v27, v49, v46
	v_dual_add_f32 v44, v44, v0 :: v_dual_add_f32 v45, v45, v27
	s_or_b32 exec_lo, exec_lo, s19
	s_and_saveexec_b32 s19, s15
	s_cbranch_execz .LBB159_72
.LBB159_1077:                           ;   in Loop: Header=BB159_3 Depth=1
	ds_load_b64 v[46:47], v58 offset:32192
	ds_load_b64 v[48:49], v59 offset:32752
	s_wait_dscnt 0x0
	v_dual_mul_f32 v0, v49, v47 :: v_dual_mul_f32 v101, v48, v47
	s_delay_alu instid0(VALU_DEP_1) | instskip(NEXT) | instid1(VALU_DEP_1)
	v_dual_fma_f32 v100, v48, v46, -v0 :: v_dual_fmac_f32 v101, v49, v46
	v_pk_add_f32 v[44:45], v[44:45], v[100:101]
	s_or_b32 exec_lo, exec_lo, s19
	s_and_saveexec_b32 s19, s3
	s_cbranch_execnz .LBB159_73
	s_branch .LBB159_74
.LBB159_1078:                           ;   in Loop: Header=BB159_3 Depth=1
	ds_load_b64 v[46:47], v66 offset:29568
	ds_load_b64 v[48:49], v67 offset:32712
	s_wait_dscnt 0x0
	v_dual_mul_f32 v0, v49, v47 :: v_dual_mul_f32 v27, v48, v47
	s_delay_alu instid0(VALU_DEP_1) | instskip(NEXT) | instid1(VALU_DEP_1)
	v_dual_fma_f32 v0, v48, v46, -v0 :: v_dual_fmac_f32 v27, v49, v46
	v_dual_add_f32 v44, v44, v0 :: v_dual_add_f32 v45, v45, v27
	s_or_b32 exec_lo, exec_lo, s19
	s_and_saveexec_b32 s19, s17
	s_cbranch_execz .LBB159_114
.LBB159_1079:                           ;   in Loop: Header=BB159_3 Depth=1
	ds_load_b64 v[46:47], v66 offset:30080
	ds_load_b64 v[48:49], v67 offset:32720
	s_wait_dscnt 0x0
	v_dual_mul_f32 v0, v49, v47 :: v_dual_mul_f32 v27, v48, v47
	s_delay_alu instid0(VALU_DEP_1) | instskip(NEXT) | instid1(VALU_DEP_1)
	v_dual_fma_f32 v0, v48, v46, -v0 :: v_dual_fmac_f32 v27, v49, v46
	v_dual_add_f32 v44, v44, v0 :: v_dual_add_f32 v45, v45, v27
	s_or_b32 exec_lo, exec_lo, s19
	s_and_saveexec_b32 s19, s18
	s_cbranch_execz .LBB159_115
.LBB159_1080:                           ;   in Loop: Header=BB159_3 Depth=1
	ds_load_b64 v[46:47], v66 offset:30592
	ds_load_b64 v[48:49], v67 offset:32728
	s_wait_dscnt 0x0
	v_dual_mul_f32 v0, v49, v47 :: v_dual_mul_f32 v27, v48, v47
	s_delay_alu instid0(VALU_DEP_1) | instskip(NEXT) | instid1(VALU_DEP_1)
	v_dual_fma_f32 v0, v48, v46, -v0 :: v_dual_fmac_f32 v27, v49, v46
	v_dual_add_f32 v44, v44, v0 :: v_dual_add_f32 v45, v45, v27
	s_or_b32 exec_lo, exec_lo, s19
	s_and_saveexec_b32 s19, s20
	s_cbranch_execz .LBB159_116
.LBB159_1081:                           ;   in Loop: Header=BB159_3 Depth=1
	ds_load_b64 v[46:47], v66 offset:31104
	ds_load_b64 v[48:49], v67 offset:32736
	s_wait_dscnt 0x0
	v_dual_mul_f32 v0, v49, v47 :: v_dual_mul_f32 v101, v48, v47
	s_delay_alu instid0(VALU_DEP_1) | instskip(NEXT) | instid1(VALU_DEP_1)
	v_dual_fma_f32 v100, v48, v46, -v0 :: v_dual_fmac_f32 v101, v49, v46
	v_pk_add_f32 v[44:45], v[44:45], v[100:101]
	s_or_b32 exec_lo, exec_lo, s19
	s_and_saveexec_b32 s19, s21
	s_cbranch_execz .LBB159_117
.LBB159_1082:                           ;   in Loop: Header=BB159_3 Depth=1
	ds_load_b64 v[46:47], v66 offset:31616
	ds_load_b64 v[48:49], v67 offset:32744
	s_wait_dscnt 0x0
	v_pk_mul_f32 v[100:101], v[48:49], v[46:47] op_sel:[1,1] op_sel_hi:[0,1]
	s_delay_alu instid0(VALU_DEP_1) | instskip(SKIP_1) | instid1(VALU_DEP_2)
	v_pk_fma_f32 v[102:103], v[48:49], v[46:47], v[100:101] op_sel_hi:[1,0,1]
	v_pk_fma_f32 v[46:47], v[48:49], v[46:47], v[100:101] neg_lo:[0,0,1] neg_hi:[0,0,1]
	v_mov_b32_e32 v47, v103
	s_delay_alu instid0(VALU_DEP_1)
	v_pk_add_f32 v[44:45], v[44:45], v[46:47]
	s_or_b32 exec_lo, exec_lo, s19
	s_and_saveexec_b32 s19, s5
	s_cbranch_execz .LBB159_118
.LBB159_1083:                           ;   in Loop: Header=BB159_3 Depth=1
	ds_load_b64 v[46:47], v66 offset:32128
	ds_load_b64 v[48:49], v67 offset:32752
	s_wait_dscnt 0x0
	v_pk_mul_f32 v[100:101], v[48:49], v[46:47] op_sel:[1,1] op_sel_hi:[0,1]
	s_delay_alu instid0(VALU_DEP_1) | instskip(SKIP_1) | instid1(VALU_DEP_2)
	v_pk_fma_f32 v[102:103], v[48:49], v[46:47], v[100:101] op_sel_hi:[1,0,1]
	v_pk_fma_f32 v[46:47], v[48:49], v[46:47], v[100:101] neg_lo:[0,0,1] neg_hi:[0,0,1]
	v_mov_b32_e32 v47, v103
	s_delay_alu instid0(VALU_DEP_1)
	v_pk_add_f32 v[44:45], v[44:45], v[46:47]
	s_or_b32 exec_lo, exec_lo, s19
	s_and_saveexec_b32 s19, s15
	s_cbranch_execnz .LBB159_119
	s_branch .LBB159_120
.LBB159_1084:                           ;   in Loop: Header=BB159_3 Depth=1
	ds_load_b64 v[46:47], v58 offset:27520
	ds_load_b64 v[48:49], v59 offset:28584
	s_wait_dscnt 0x0
	v_dual_mul_f32 v0, v49, v47 :: v_dual_mul_f32 v27, v48, v47
	s_delay_alu instid0(VALU_DEP_1) | instskip(NEXT) | instid1(VALU_DEP_1)
	v_dual_fma_f32 v0, v48, v46, -v0 :: v_dual_fmac_f32 v27, v49, v46
	v_dual_add_f32 v44, v44, v0 :: v_dual_add_f32 v45, v45, v27
	s_or_b32 exec_lo, exec_lo, s19
	s_and_saveexec_b32 s19, s15
	s_cbranch_execz .LBB159_176
.LBB159_1085:                           ;   in Loop: Header=BB159_3 Depth=1
	ds_load_b64 v[46:47], v58 offset:28032
	ds_load_b64 v[48:49], v59 offset:28592
	s_wait_dscnt 0x0
	v_dual_mul_f32 v0, v49, v47 :: v_dual_mul_f32 v101, v48, v47
	s_delay_alu instid0(VALU_DEP_1) | instskip(NEXT) | instid1(VALU_DEP_1)
	v_dual_fma_f32 v100, v48, v46, -v0 :: v_dual_fmac_f32 v101, v49, v46
	v_pk_add_f32 v[44:45], v[44:45], v[100:101]
	s_or_b32 exec_lo, exec_lo, s19
	s_and_saveexec_b32 s19, s3
	s_cbranch_execnz .LBB159_177
	s_branch .LBB159_178
.LBB159_1086:                           ;   in Loop: Header=BB159_3 Depth=1
	ds_load_b64 v[46:47], v72 offset:30464
	ds_load_b64 v[48:49], v73 offset:32728
	s_wait_dscnt 0x0
	v_dual_mul_f32 v0, v49, v47 :: v_dual_mul_f32 v27, v48, v47
	s_delay_alu instid0(VALU_DEP_1) | instskip(NEXT) | instid1(VALU_DEP_1)
	v_dual_fma_f32 v0, v48, v46, -v0 :: v_dual_fmac_f32 v27, v49, v46
	v_dual_add_f32 v44, v44, v0 :: v_dual_add_f32 v45, v45, v27
	s_or_b32 exec_lo, exec_lo, s12
	s_and_saveexec_b32 s12, s6
	s_cbranch_execz .LBB159_238
.LBB159_1087:                           ;   in Loop: Header=BB159_3 Depth=1
	ds_load_b64 v[46:47], v72 offset:30976
	ds_load_b64 v[48:49], v73 offset:32736
	s_wait_dscnt 0x0
	v_dual_mul_f32 v0, v49, v47 :: v_dual_mul_f32 v27, v48, v47
	s_delay_alu instid0(VALU_DEP_1) | instskip(NEXT) | instid1(VALU_DEP_1)
	v_dual_fma_f32 v0, v48, v46, -v0 :: v_dual_fmac_f32 v27, v49, v46
	v_dual_add_f32 v44, v44, v0 :: v_dual_add_f32 v45, v45, v27
	s_or_b32 exec_lo, exec_lo, s12
	s_and_saveexec_b32 s12, s17
	s_cbranch_execz .LBB159_239
.LBB159_1088:                           ;   in Loop: Header=BB159_3 Depth=1
	ds_load_b64 v[46:47], v72 offset:31488
	ds_load_b64 v[48:49], v73 offset:32744
	s_wait_dscnt 0x0
	v_dual_mul_f32 v0, v49, v47 :: v_dual_mul_f32 v27, v48, v47
	s_delay_alu instid0(VALU_DEP_1) | instskip(NEXT) | instid1(VALU_DEP_1)
	v_dual_fma_f32 v0, v48, v46, -v0 :: v_dual_fmac_f32 v27, v49, v46
	v_dual_add_f32 v44, v44, v0 :: v_dual_add_f32 v45, v45, v27
	s_or_b32 exec_lo, exec_lo, s12
	s_and_saveexec_b32 s12, s20
	s_cbranch_execz .LBB159_240
.LBB159_1089:                           ;   in Loop: Header=BB159_3 Depth=1
	ds_load_b64 v[46:47], v72 offset:32000
	ds_load_b64 v[48:49], v73 offset:32752
	s_wait_dscnt 0x0
	v_dual_mul_f32 v0, v49, v47 :: v_dual_mul_f32 v101, v48, v47
	s_delay_alu instid0(VALU_DEP_1) | instskip(NEXT) | instid1(VALU_DEP_1)
	v_dual_fma_f32 v100, v48, v46, -v0 :: v_dual_fmac_f32 v101, v49, v46
	v_pk_add_f32 v[44:45], v[44:45], v[100:101]
	s_or_b32 exec_lo, exec_lo, s12
	s_and_saveexec_b32 s12, s5
	s_cbranch_execnz .LBB159_241
	s_branch .LBB159_242
.LBB159_1090:                           ;   in Loop: Header=BB159_3 Depth=1
	ds_load_b64 v[46:47], v58 offset:23360
	ds_load_b64 v[48:49], v59 offset:24424
	s_wait_dscnt 0x0
	v_dual_mul_f32 v0, v49, v47 :: v_dual_mul_f32 v27, v48, v47
	s_delay_alu instid0(VALU_DEP_1) | instskip(NEXT) | instid1(VALU_DEP_1)
	v_dual_fma_f32 v0, v48, v46, -v0 :: v_dual_fmac_f32 v27, v49, v46
	v_dual_add_f32 v44, v44, v0 :: v_dual_add_f32 v45, v45, v27
	s_or_b32 exec_lo, exec_lo, s19
	s_and_saveexec_b32 s19, s15
	s_cbranch_execz .LBB159_330
.LBB159_1091:                           ;   in Loop: Header=BB159_3 Depth=1
	ds_load_b64 v[46:47], v58 offset:23872
	ds_load_b64 v[48:49], v59 offset:24432
	s_wait_dscnt 0x0
	v_dual_mul_f32 v0, v49, v47 :: v_dual_mul_f32 v101, v48, v47
	s_delay_alu instid0(VALU_DEP_1) | instskip(NEXT) | instid1(VALU_DEP_1)
	v_dual_fma_f32 v100, v48, v46, -v0 :: v_dual_fmac_f32 v101, v49, v46
	v_pk_add_f32 v[44:45], v[44:45], v[100:101]
	s_or_b32 exec_lo, exec_lo, s19
	s_and_saveexec_b32 s19, s3
	s_cbranch_execnz .LBB159_331
	s_branch .LBB159_332
.LBB159_1092:                           ;   in Loop: Header=BB159_3 Depth=1
	ds_load_b64 v[46:47], v66 offset:21248
	ds_load_b64 v[48:49], v67 offset:24392
	s_wait_dscnt 0x0
	v_dual_mul_f32 v0, v49, v47 :: v_dual_mul_f32 v27, v48, v47
	s_delay_alu instid0(VALU_DEP_1) | instskip(NEXT) | instid1(VALU_DEP_1)
	v_dual_fma_f32 v0, v48, v46, -v0 :: v_dual_fmac_f32 v27, v49, v46
	v_dual_add_f32 v44, v44, v0 :: v_dual_add_f32 v45, v45, v27
	s_or_b32 exec_lo, exec_lo, s19
	s_and_saveexec_b32 s19, s17
	s_cbranch_execz .LBB159_372
.LBB159_1093:                           ;   in Loop: Header=BB159_3 Depth=1
	ds_load_b64 v[46:47], v66 offset:21760
	ds_load_b64 v[48:49], v67 offset:24400
	s_wait_dscnt 0x0
	v_dual_mul_f32 v0, v49, v47 :: v_dual_mul_f32 v27, v48, v47
	s_delay_alu instid0(VALU_DEP_1) | instskip(NEXT) | instid1(VALU_DEP_1)
	v_dual_fma_f32 v0, v48, v46, -v0 :: v_dual_fmac_f32 v27, v49, v46
	v_dual_add_f32 v44, v44, v0 :: v_dual_add_f32 v45, v45, v27
	s_or_b32 exec_lo, exec_lo, s19
	s_and_saveexec_b32 s19, s18
	s_cbranch_execz .LBB159_373
.LBB159_1094:                           ;   in Loop: Header=BB159_3 Depth=1
	ds_load_b64 v[46:47], v66 offset:22272
	ds_load_b64 v[48:49], v67 offset:24408
	s_wait_dscnt 0x0
	v_dual_mul_f32 v0, v49, v47 :: v_dual_mul_f32 v27, v48, v47
	s_delay_alu instid0(VALU_DEP_1) | instskip(NEXT) | instid1(VALU_DEP_1)
	v_dual_fma_f32 v0, v48, v46, -v0 :: v_dual_fmac_f32 v27, v49, v46
	v_dual_add_f32 v44, v44, v0 :: v_dual_add_f32 v45, v45, v27
	s_or_b32 exec_lo, exec_lo, s19
	s_and_saveexec_b32 s19, s20
	s_cbranch_execz .LBB159_374
.LBB159_1095:                           ;   in Loop: Header=BB159_3 Depth=1
	ds_load_b64 v[46:47], v66 offset:22784
	ds_load_b64 v[48:49], v67 offset:24416
	s_wait_dscnt 0x0
	v_dual_mul_f32 v0, v49, v47 :: v_dual_mul_f32 v101, v48, v47
	s_delay_alu instid0(VALU_DEP_1) | instskip(NEXT) | instid1(VALU_DEP_1)
	v_dual_fma_f32 v100, v48, v46, -v0 :: v_dual_fmac_f32 v101, v49, v46
	v_pk_add_f32 v[44:45], v[44:45], v[100:101]
	s_or_b32 exec_lo, exec_lo, s19
	s_and_saveexec_b32 s19, s21
	s_cbranch_execz .LBB159_375
.LBB159_1096:                           ;   in Loop: Header=BB159_3 Depth=1
	ds_load_b64 v[46:47], v66 offset:23296
	ds_load_b64 v[48:49], v67 offset:24424
	s_wait_dscnt 0x0
	v_pk_mul_f32 v[100:101], v[48:49], v[46:47] op_sel:[1,1] op_sel_hi:[0,1]
	s_delay_alu instid0(VALU_DEP_1) | instskip(SKIP_1) | instid1(VALU_DEP_2)
	v_pk_fma_f32 v[102:103], v[48:49], v[46:47], v[100:101] op_sel_hi:[1,0,1]
	v_pk_fma_f32 v[46:47], v[48:49], v[46:47], v[100:101] neg_lo:[0,0,1] neg_hi:[0,0,1]
	v_mov_b32_e32 v47, v103
	s_delay_alu instid0(VALU_DEP_1)
	v_pk_add_f32 v[44:45], v[44:45], v[46:47]
	s_or_b32 exec_lo, exec_lo, s19
	s_and_saveexec_b32 s19, s5
	s_cbranch_execz .LBB159_376
.LBB159_1097:                           ;   in Loop: Header=BB159_3 Depth=1
	ds_load_b64 v[46:47], v66 offset:23808
	ds_load_b64 v[48:49], v67 offset:24432
	s_wait_dscnt 0x0
	v_pk_mul_f32 v[100:101], v[48:49], v[46:47] op_sel:[1,1] op_sel_hi:[0,1]
	s_delay_alu instid0(VALU_DEP_1) | instskip(SKIP_1) | instid1(VALU_DEP_2)
	v_pk_fma_f32 v[102:103], v[48:49], v[46:47], v[100:101] op_sel_hi:[1,0,1]
	v_pk_fma_f32 v[46:47], v[48:49], v[46:47], v[100:101] neg_lo:[0,0,1] neg_hi:[0,0,1]
	v_mov_b32_e32 v47, v103
	s_delay_alu instid0(VALU_DEP_1)
	v_pk_add_f32 v[44:45], v[44:45], v[46:47]
	s_or_b32 exec_lo, exec_lo, s19
	s_and_saveexec_b32 s19, s15
	s_cbranch_execnz .LBB159_377
	s_branch .LBB159_378
.LBB159_1098:                           ;   in Loop: Header=BB159_3 Depth=1
	ds_load_b64 v[46:47], v58 offset:19200
	ds_load_b64 v[48:49], v59 offset:20264
	s_wait_dscnt 0x0
	v_dual_mul_f32 v0, v49, v47 :: v_dual_mul_f32 v27, v48, v47
	s_delay_alu instid0(VALU_DEP_1) | instskip(NEXT) | instid1(VALU_DEP_1)
	v_dual_fma_f32 v0, v48, v46, -v0 :: v_dual_fmac_f32 v27, v49, v46
	v_dual_add_f32 v44, v44, v0 :: v_dual_add_f32 v45, v45, v27
	s_or_b32 exec_lo, exec_lo, s19
	s_and_saveexec_b32 s19, s15
	s_cbranch_execz .LBB159_434
.LBB159_1099:                           ;   in Loop: Header=BB159_3 Depth=1
	ds_load_b64 v[46:47], v58 offset:19712
	ds_load_b64 v[48:49], v59 offset:20272
	s_wait_dscnt 0x0
	v_dual_mul_f32 v0, v49, v47 :: v_dual_mul_f32 v101, v48, v47
	s_delay_alu instid0(VALU_DEP_1) | instskip(NEXT) | instid1(VALU_DEP_1)
	v_dual_fma_f32 v100, v48, v46, -v0 :: v_dual_fmac_f32 v101, v49, v46
	v_pk_add_f32 v[44:45], v[44:45], v[100:101]
	s_or_b32 exec_lo, exec_lo, s19
	s_and_saveexec_b32 s19, s3
	s_cbranch_execnz .LBB159_435
	s_branch .LBB159_436
.LBB159_1100:                           ;   in Loop: Header=BB159_3 Depth=1
	ds_load_b64 v[46:47], v76 offset:31232
	ds_load_b64 v[48:49], v78 offset:32744
	s_wait_dscnt 0x0
	v_pk_mul_f32 v[100:101], v[48:49], v[46:47] op_sel:[1,1] op_sel_hi:[0,1]
	s_delay_alu instid0(VALU_DEP_1) | instskip(SKIP_1) | instid1(VALU_DEP_2)
	v_pk_fma_f32 v[102:103], v[48:49], v[46:47], v[100:101] op_sel_hi:[1,0,1]
	v_pk_fma_f32 v[46:47], v[48:49], v[46:47], v[100:101] neg_lo:[0,0,1] neg_hi:[0,0,1]
	v_mov_b32_e32 v47, v103
	s_delay_alu instid0(VALU_DEP_1)
	v_pk_add_f32 v[44:45], v[44:45], v[46:47]
	s_or_b32 exec_lo, exec_lo, s12
	s_and_saveexec_b32 s12, s6
	s_cbranch_execz .LBB159_532
.LBB159_1101:                           ;   in Loop: Header=BB159_3 Depth=1
	ds_load_b64 v[46:47], v76 offset:31744
	ds_load_b64 v[48:49], v78 offset:32752
	s_wait_dscnt 0x0
	v_pk_mul_f32 v[100:101], v[48:49], v[46:47] op_sel:[1,1] op_sel_hi:[0,1]
	s_delay_alu instid0(VALU_DEP_1) | instskip(SKIP_1) | instid1(VALU_DEP_2)
	v_pk_fma_f32 v[102:103], v[48:49], v[46:47], v[100:101] op_sel_hi:[1,0,1]
	v_pk_fma_f32 v[46:47], v[48:49], v[46:47], v[100:101] neg_lo:[0,0,1] neg_hi:[0,0,1]
	v_mov_b32_e32 v47, v103
	s_delay_alu instid0(VALU_DEP_1) | instskip(SKIP_2) | instid1(SALU_CYCLE_1)
	v_pk_add_f32 v[44:45], v[44:45], v[46:47]
	s_or_b32 exec_lo, exec_lo, s12
	s_and_saveexec_b32 s12, s20
	s_xor_b32 s12, exec_lo, s12
	s_cbranch_execnz .LBB159_533
	s_branch .LBB159_534
.LBB159_1102:                           ;   in Loop: Header=BB159_3 Depth=1
	ds_load_b64 v[46:47], v58 offset:15040
	ds_load_b64 v[48:49], v59 offset:16104
	s_wait_dscnt 0x0
	v_dual_mul_f32 v0, v49, v47 :: v_dual_mul_f32 v27, v48, v47
	s_delay_alu instid0(VALU_DEP_1) | instskip(NEXT) | instid1(VALU_DEP_1)
	v_dual_fma_f32 v0, v48, v46, -v0 :: v_dual_fmac_f32 v27, v49, v46
	v_dual_add_f32 v44, v44, v0 :: v_dual_add_f32 v45, v45, v27
	s_or_b32 exec_lo, exec_lo, s19
	s_and_saveexec_b32 s19, s15
	s_cbranch_execz .LBB159_578
.LBB159_1103:                           ;   in Loop: Header=BB159_3 Depth=1
	ds_load_b64 v[46:47], v58 offset:15552
	ds_load_b64 v[48:49], v59 offset:16112
	s_wait_dscnt 0x0
	v_dual_mul_f32 v0, v49, v47 :: v_dual_mul_f32 v101, v48, v47
	s_delay_alu instid0(VALU_DEP_1) | instskip(NEXT) | instid1(VALU_DEP_1)
	v_dual_fma_f32 v100, v48, v46, -v0 :: v_dual_fmac_f32 v101, v49, v46
	v_pk_add_f32 v[44:45], v[44:45], v[100:101]
	s_or_b32 exec_lo, exec_lo, s19
	s_and_saveexec_b32 s19, s3
	s_cbranch_execnz .LBB159_579
	s_branch .LBB159_580
.LBB159_1104:                           ;   in Loop: Header=BB159_3 Depth=1
	ds_load_b64 v[46:47], v66 offset:12928
	ds_load_b64 v[48:49], v67 offset:16072
	s_wait_dscnt 0x0
	v_dual_mul_f32 v0, v49, v47 :: v_dual_mul_f32 v27, v48, v47
	s_delay_alu instid0(VALU_DEP_1) | instskip(NEXT) | instid1(VALU_DEP_1)
	v_dual_fma_f32 v0, v48, v46, -v0 :: v_dual_fmac_f32 v27, v49, v46
	v_dual_add_f32 v44, v44, v0 :: v_dual_add_f32 v45, v45, v27
	s_or_b32 exec_lo, exec_lo, s19
	s_and_saveexec_b32 s19, s17
	s_cbranch_execz .LBB159_620
.LBB159_1105:                           ;   in Loop: Header=BB159_3 Depth=1
	ds_load_b64 v[46:47], v66 offset:13440
	ds_load_b64 v[48:49], v67 offset:16080
	s_wait_dscnt 0x0
	v_dual_mul_f32 v0, v49, v47 :: v_dual_mul_f32 v27, v48, v47
	s_delay_alu instid0(VALU_DEP_1) | instskip(NEXT) | instid1(VALU_DEP_1)
	v_dual_fma_f32 v0, v48, v46, -v0 :: v_dual_fmac_f32 v27, v49, v46
	v_dual_add_f32 v44, v44, v0 :: v_dual_add_f32 v45, v45, v27
	s_or_b32 exec_lo, exec_lo, s19
	s_and_saveexec_b32 s19, s18
	s_cbranch_execz .LBB159_621
.LBB159_1106:                           ;   in Loop: Header=BB159_3 Depth=1
	ds_load_b64 v[46:47], v66 offset:13952
	ds_load_b64 v[48:49], v67 offset:16088
	s_wait_dscnt 0x0
	v_dual_mul_f32 v0, v49, v47 :: v_dual_mul_f32 v27, v48, v47
	s_delay_alu instid0(VALU_DEP_1) | instskip(NEXT) | instid1(VALU_DEP_1)
	v_dual_fma_f32 v0, v48, v46, -v0 :: v_dual_fmac_f32 v27, v49, v46
	v_dual_add_f32 v44, v44, v0 :: v_dual_add_f32 v45, v45, v27
	s_or_b32 exec_lo, exec_lo, s19
	s_and_saveexec_b32 s19, s20
	s_cbranch_execz .LBB159_622
.LBB159_1107:                           ;   in Loop: Header=BB159_3 Depth=1
	ds_load_b64 v[46:47], v66 offset:14464
	ds_load_b64 v[48:49], v67 offset:16096
	s_wait_dscnt 0x0
	v_dual_mul_f32 v0, v49, v47 :: v_dual_mul_f32 v101, v48, v47
	s_delay_alu instid0(VALU_DEP_1) | instskip(NEXT) | instid1(VALU_DEP_1)
	v_dual_fma_f32 v100, v48, v46, -v0 :: v_dual_fmac_f32 v101, v49, v46
	v_pk_add_f32 v[44:45], v[44:45], v[100:101]
	s_or_b32 exec_lo, exec_lo, s19
	s_and_saveexec_b32 s19, s21
	s_cbranch_execz .LBB159_623
.LBB159_1108:                           ;   in Loop: Header=BB159_3 Depth=1
	ds_load_b64 v[46:47], v66 offset:14976
	ds_load_b64 v[48:49], v67 offset:16104
	s_wait_dscnt 0x0
	v_pk_mul_f32 v[100:101], v[48:49], v[46:47] op_sel:[1,1] op_sel_hi:[0,1]
	s_delay_alu instid0(VALU_DEP_1) | instskip(SKIP_1) | instid1(VALU_DEP_2)
	v_pk_fma_f32 v[102:103], v[48:49], v[46:47], v[100:101] op_sel_hi:[1,0,1]
	v_pk_fma_f32 v[46:47], v[48:49], v[46:47], v[100:101] neg_lo:[0,0,1] neg_hi:[0,0,1]
	v_mov_b32_e32 v47, v103
	s_delay_alu instid0(VALU_DEP_1)
	v_pk_add_f32 v[44:45], v[44:45], v[46:47]
	s_or_b32 exec_lo, exec_lo, s19
	s_and_saveexec_b32 s19, s5
	s_cbranch_execz .LBB159_624
.LBB159_1109:                           ;   in Loop: Header=BB159_3 Depth=1
	ds_load_b64 v[46:47], v66 offset:15488
	ds_load_b64 v[48:49], v67 offset:16112
	s_wait_dscnt 0x0
	v_pk_mul_f32 v[100:101], v[48:49], v[46:47] op_sel:[1,1] op_sel_hi:[0,1]
	s_delay_alu instid0(VALU_DEP_1) | instskip(SKIP_1) | instid1(VALU_DEP_2)
	v_pk_fma_f32 v[102:103], v[48:49], v[46:47], v[100:101] op_sel_hi:[1,0,1]
	v_pk_fma_f32 v[46:47], v[48:49], v[46:47], v[100:101] neg_lo:[0,0,1] neg_hi:[0,0,1]
	v_mov_b32_e32 v47, v103
	s_delay_alu instid0(VALU_DEP_1)
	v_pk_add_f32 v[44:45], v[44:45], v[46:47]
	s_or_b32 exec_lo, exec_lo, s19
	s_and_saveexec_b32 s19, s15
	s_cbranch_execnz .LBB159_625
	s_branch .LBB159_626
.LBB159_1110:                           ;   in Loop: Header=BB159_3 Depth=1
	ds_load_b64 v[46:47], v58 offset:10880
	ds_load_b64 v[48:49], v59 offset:11944
	s_wait_dscnt 0x0
	v_dual_mul_f32 v0, v49, v47 :: v_dual_mul_f32 v27, v48, v47
	s_delay_alu instid0(VALU_DEP_1) | instskip(NEXT) | instid1(VALU_DEP_1)
	v_dual_fma_f32 v0, v48, v46, -v0 :: v_dual_fmac_f32 v27, v49, v46
	v_dual_add_f32 v44, v44, v0 :: v_dual_add_f32 v45, v45, v27
	s_or_b32 exec_lo, exec_lo, s19
	s_and_saveexec_b32 s19, s15
	s_cbranch_execz .LBB159_682
.LBB159_1111:                           ;   in Loop: Header=BB159_3 Depth=1
	ds_load_b64 v[46:47], v58 offset:11392
	ds_load_b64 v[48:49], v59 offset:11952
	s_wait_dscnt 0x0
	v_dual_mul_f32 v0, v49, v47 :: v_dual_mul_f32 v101, v48, v47
	s_delay_alu instid0(VALU_DEP_1) | instskip(NEXT) | instid1(VALU_DEP_1)
	v_dual_fma_f32 v100, v48, v46, -v0 :: v_dual_fmac_f32 v101, v49, v46
	v_pk_add_f32 v[44:45], v[44:45], v[100:101]
	s_or_b32 exec_lo, exec_lo, s19
	s_and_saveexec_b32 s19, s3
	s_cbranch_execnz .LBB159_683
	s_branch .LBB159_684
.LBB159_1112:                           ;   in Loop: Header=BB159_3 Depth=1
	ds_load_b64 v[46:47], v72 offset:13824
	ds_load_b64 v[48:49], v73 offset:16088
	s_wait_dscnt 0x0
	v_dual_mul_f32 v0, v49, v47 :: v_dual_mul_f32 v27, v48, v47
	s_delay_alu instid0(VALU_DEP_1) | instskip(NEXT) | instid1(VALU_DEP_1)
	v_dual_fma_f32 v0, v48, v46, -v0 :: v_dual_fmac_f32 v27, v49, v46
	v_dual_add_f32 v44, v44, v0 :: v_dual_add_f32 v45, v45, v27
	s_or_b32 exec_lo, exec_lo, s12
	s_and_saveexec_b32 s12, s6
	s_cbranch_execz .LBB159_744
.LBB159_1113:                           ;   in Loop: Header=BB159_3 Depth=1
	ds_load_b64 v[46:47], v72 offset:14336
	ds_load_b64 v[48:49], v73 offset:16096
	s_wait_dscnt 0x0
	v_dual_mul_f32 v0, v49, v47 :: v_dual_mul_f32 v27, v48, v47
	s_delay_alu instid0(VALU_DEP_1) | instskip(NEXT) | instid1(VALU_DEP_1)
	v_dual_fma_f32 v0, v48, v46, -v0 :: v_dual_fmac_f32 v27, v49, v46
	v_dual_add_f32 v44, v44, v0 :: v_dual_add_f32 v45, v45, v27
	s_or_b32 exec_lo, exec_lo, s12
	s_and_saveexec_b32 s12, s17
	s_cbranch_execz .LBB159_745
.LBB159_1114:                           ;   in Loop: Header=BB159_3 Depth=1
	ds_load_b64 v[46:47], v72 offset:14848
	ds_load_b64 v[48:49], v73 offset:16104
	s_wait_dscnt 0x0
	v_dual_mul_f32 v0, v49, v47 :: v_dual_mul_f32 v27, v48, v47
	s_delay_alu instid0(VALU_DEP_1) | instskip(NEXT) | instid1(VALU_DEP_1)
	v_dual_fma_f32 v0, v48, v46, -v0 :: v_dual_fmac_f32 v27, v49, v46
	v_dual_add_f32 v44, v44, v0 :: v_dual_add_f32 v45, v45, v27
	s_or_b32 exec_lo, exec_lo, s12
	s_and_saveexec_b32 s12, s20
	s_cbranch_execz .LBB159_746
.LBB159_1115:                           ;   in Loop: Header=BB159_3 Depth=1
	ds_load_b64 v[46:47], v72 offset:15360
	ds_load_b64 v[48:49], v73 offset:16112
	s_wait_dscnt 0x0
	v_dual_mul_f32 v0, v49, v47 :: v_dual_mul_f32 v101, v48, v47
	s_delay_alu instid0(VALU_DEP_1) | instskip(NEXT) | instid1(VALU_DEP_1)
	v_dual_fma_f32 v100, v48, v46, -v0 :: v_dual_fmac_f32 v101, v49, v46
	v_pk_add_f32 v[44:45], v[44:45], v[100:101]
	s_or_b32 exec_lo, exec_lo, s12
	s_and_saveexec_b32 s12, s5
	s_cbranch_execnz .LBB159_747
	s_branch .LBB159_748
.LBB159_1116:                           ;   in Loop: Header=BB159_3 Depth=1
	ds_load_b64 v[46:47], v58 offset:6720
	ds_load_b64 v[48:49], v59 offset:7784
	s_wait_dscnt 0x0
	v_dual_mul_f32 v0, v49, v47 :: v_dual_mul_f32 v27, v48, v47
	s_delay_alu instid0(VALU_DEP_1) | instskip(NEXT) | instid1(VALU_DEP_1)
	v_dual_fma_f32 v0, v48, v46, -v0 :: v_dual_fmac_f32 v27, v49, v46
	v_dual_add_f32 v44, v44, v0 :: v_dual_add_f32 v45, v45, v27
	s_or_b32 exec_lo, exec_lo, s19
	s_and_saveexec_b32 s19, s15
	s_cbranch_execz .LBB159_836
.LBB159_1117:                           ;   in Loop: Header=BB159_3 Depth=1
	ds_load_b64 v[46:47], v58 offset:7232
	ds_load_b64 v[48:49], v59 offset:7792
	s_wait_dscnt 0x0
	v_dual_mul_f32 v0, v49, v47 :: v_dual_mul_f32 v101, v48, v47
	s_delay_alu instid0(VALU_DEP_1) | instskip(NEXT) | instid1(VALU_DEP_1)
	v_dual_fma_f32 v100, v48, v46, -v0 :: v_dual_fmac_f32 v101, v49, v46
	v_pk_add_f32 v[44:45], v[44:45], v[100:101]
	s_or_b32 exec_lo, exec_lo, s19
	s_and_saveexec_b32 s19, s3
	s_cbranch_execnz .LBB159_837
	s_branch .LBB159_838
.LBB159_1118:                           ;   in Loop: Header=BB159_3 Depth=1
	ds_load_b64 v[46:47], v66 offset:4608
	ds_load_b64 v[48:49], v67 offset:7752
	s_wait_dscnt 0x0
	v_dual_mul_f32 v0, v49, v47 :: v_dual_mul_f32 v27, v48, v47
	s_delay_alu instid0(VALU_DEP_1) | instskip(NEXT) | instid1(VALU_DEP_1)
	v_dual_fma_f32 v0, v48, v46, -v0 :: v_dual_fmac_f32 v27, v49, v46
	v_dual_add_f32 v44, v44, v0 :: v_dual_add_f32 v45, v45, v27
	s_or_b32 exec_lo, exec_lo, s19
	s_and_saveexec_b32 s19, s17
	s_cbranch_execz .LBB159_878
.LBB159_1119:                           ;   in Loop: Header=BB159_3 Depth=1
	ds_load_b64 v[46:47], v66 offset:5120
	ds_load_b64 v[48:49], v67 offset:7760
	s_wait_dscnt 0x0
	v_dual_mul_f32 v0, v49, v47 :: v_dual_mul_f32 v27, v48, v47
	s_delay_alu instid0(VALU_DEP_1) | instskip(NEXT) | instid1(VALU_DEP_1)
	v_dual_fma_f32 v0, v48, v46, -v0 :: v_dual_fmac_f32 v27, v49, v46
	v_dual_add_f32 v44, v44, v0 :: v_dual_add_f32 v45, v45, v27
	s_or_b32 exec_lo, exec_lo, s19
	s_and_saveexec_b32 s19, s18
	s_cbranch_execz .LBB159_879
.LBB159_1120:                           ;   in Loop: Header=BB159_3 Depth=1
	ds_load_b64 v[46:47], v66 offset:5632
	ds_load_b64 v[48:49], v67 offset:7768
	s_wait_dscnt 0x0
	v_dual_mul_f32 v0, v49, v47 :: v_dual_mul_f32 v27, v48, v47
	s_delay_alu instid0(VALU_DEP_1) | instskip(NEXT) | instid1(VALU_DEP_1)
	v_dual_fma_f32 v0, v48, v46, -v0 :: v_dual_fmac_f32 v27, v49, v46
	v_dual_add_f32 v44, v44, v0 :: v_dual_add_f32 v45, v45, v27
	s_or_b32 exec_lo, exec_lo, s19
	s_and_saveexec_b32 s19, s20
	s_cbranch_execz .LBB159_880
.LBB159_1121:                           ;   in Loop: Header=BB159_3 Depth=1
	ds_load_b64 v[46:47], v66 offset:6144
	ds_load_b64 v[48:49], v67 offset:7776
	s_wait_dscnt 0x0
	v_dual_mul_f32 v0, v49, v47 :: v_dual_mul_f32 v101, v48, v47
	s_delay_alu instid0(VALU_DEP_1) | instskip(NEXT) | instid1(VALU_DEP_1)
	v_dual_fma_f32 v100, v48, v46, -v0 :: v_dual_fmac_f32 v101, v49, v46
	v_pk_add_f32 v[44:45], v[44:45], v[100:101]
	s_or_b32 exec_lo, exec_lo, s19
	s_and_saveexec_b32 s19, s21
	s_cbranch_execz .LBB159_881
.LBB159_1122:                           ;   in Loop: Header=BB159_3 Depth=1
	ds_load_b64 v[46:47], v66 offset:6656
	ds_load_b64 v[48:49], v67 offset:7784
	s_wait_dscnt 0x0
	v_pk_mul_f32 v[100:101], v[48:49], v[46:47] op_sel:[1,1] op_sel_hi:[0,1]
	s_delay_alu instid0(VALU_DEP_1) | instskip(SKIP_1) | instid1(VALU_DEP_2)
	v_pk_fma_f32 v[102:103], v[48:49], v[46:47], v[100:101] op_sel_hi:[1,0,1]
	v_pk_fma_f32 v[46:47], v[48:49], v[46:47], v[100:101] neg_lo:[0,0,1] neg_hi:[0,0,1]
	v_mov_b32_e32 v47, v103
	s_delay_alu instid0(VALU_DEP_1)
	v_pk_add_f32 v[44:45], v[44:45], v[46:47]
	s_or_b32 exec_lo, exec_lo, s19
	s_and_saveexec_b32 s19, s5
	s_cbranch_execz .LBB159_882
.LBB159_1123:                           ;   in Loop: Header=BB159_3 Depth=1
	ds_load_b64 v[46:47], v66 offset:7168
	ds_load_b64 v[48:49], v67 offset:7792
	s_wait_dscnt 0x0
	v_pk_mul_f32 v[100:101], v[48:49], v[46:47] op_sel:[1,1] op_sel_hi:[0,1]
	s_delay_alu instid0(VALU_DEP_1) | instskip(SKIP_1) | instid1(VALU_DEP_2)
	v_pk_fma_f32 v[102:103], v[48:49], v[46:47], v[100:101] op_sel_hi:[1,0,1]
	v_pk_fma_f32 v[46:47], v[48:49], v[46:47], v[100:101] neg_lo:[0,0,1] neg_hi:[0,0,1]
	v_mov_b32_e32 v47, v103
	s_delay_alu instid0(VALU_DEP_1)
	v_pk_add_f32 v[44:45], v[44:45], v[46:47]
	s_or_b32 exec_lo, exec_lo, s19
	s_and_saveexec_b32 s19, s15
	s_cbranch_execnz .LBB159_883
	s_branch .LBB159_884
.LBB159_1124:                           ;   in Loop: Header=BB159_3 Depth=1
	ds_load_b64 v[46:47], v58 offset:2560
	ds_load_b64 v[48:49], v59 offset:3624
	s_wait_dscnt 0x0
	v_dual_mul_f32 v0, v49, v47 :: v_dual_mul_f32 v27, v48, v47
	s_delay_alu instid0(VALU_DEP_1) | instskip(NEXT) | instid1(VALU_DEP_1)
	v_dual_fma_f32 v0, v48, v46, -v0 :: v_dual_fmac_f32 v27, v49, v46
	v_dual_add_f32 v44, v44, v0 :: v_dual_add_f32 v45, v45, v27
	s_or_b32 exec_lo, exec_lo, s19
	s_and_saveexec_b32 s19, s15
	s_cbranch_execz .LBB159_940
.LBB159_1125:                           ;   in Loop: Header=BB159_3 Depth=1
	ds_load_b64 v[46:47], v58 offset:3072
	ds_load_b64 v[48:49], v59 offset:3632
	s_wait_dscnt 0x0
	v_dual_mul_f32 v0, v49, v47 :: v_dual_mul_f32 v101, v48, v47
	s_delay_alu instid0(VALU_DEP_1) | instskip(NEXT) | instid1(VALU_DEP_1)
	v_dual_fma_f32 v100, v48, v46, -v0 :: v_dual_fmac_f32 v101, v49, v46
	v_pk_add_f32 v[44:45], v[44:45], v[100:101]
	s_or_b32 exec_lo, exec_lo, s19
	s_and_saveexec_b32 s19, s3
	s_cbranch_execnz .LBB159_941
	s_branch .LBB159_942
.LBB159_1126:
	s_endpgm
	.section	.rodata,"a",@progbits
	.p2align	6, 0x0
	.amdhsa_kernel _ZL19rocblas_trsv_deviceILi64ELi16ELb0ELb1ELb1ELb1E19rocblas_complex_numIfES1_PKPKS1_PKPS1_EviT7_lllT6_T8_lllPii
		.amdhsa_group_segment_fixed_size 41480
		.amdhsa_private_segment_fixed_size 0
		.amdhsa_kernarg_size 352
		.amdhsa_user_sgpr_count 2
		.amdhsa_user_sgpr_dispatch_ptr 0
		.amdhsa_user_sgpr_queue_ptr 0
		.amdhsa_user_sgpr_kernarg_segment_ptr 1
		.amdhsa_user_sgpr_dispatch_id 0
		.amdhsa_user_sgpr_kernarg_preload_length 0
		.amdhsa_user_sgpr_kernarg_preload_offset 0
		.amdhsa_user_sgpr_private_segment_size 0
		.amdhsa_wavefront_size32 1
		.amdhsa_uses_dynamic_stack 0
		.amdhsa_enable_private_segment 0
		.amdhsa_system_sgpr_workgroup_id_x 1
		.amdhsa_system_sgpr_workgroup_id_y 0
		.amdhsa_system_sgpr_workgroup_id_z 1
		.amdhsa_system_sgpr_workgroup_info 0
		.amdhsa_system_vgpr_workitem_id 1
		.amdhsa_next_free_vgpr 110
		.amdhsa_next_free_sgpr 105
		.amdhsa_named_barrier_count 0
		.amdhsa_reserve_vcc 1
		.amdhsa_float_round_mode_32 0
		.amdhsa_float_round_mode_16_64 0
		.amdhsa_float_denorm_mode_32 3
		.amdhsa_float_denorm_mode_16_64 3
		.amdhsa_fp16_overflow 0
		.amdhsa_memory_ordered 1
		.amdhsa_forward_progress 1
		.amdhsa_inst_pref_size 255
		.amdhsa_round_robin_scheduling 0
		.amdhsa_exception_fp_ieee_invalid_op 0
		.amdhsa_exception_fp_denorm_src 0
		.amdhsa_exception_fp_ieee_div_zero 0
		.amdhsa_exception_fp_ieee_overflow 0
		.amdhsa_exception_fp_ieee_underflow 0
		.amdhsa_exception_fp_ieee_inexact 0
		.amdhsa_exception_int_div_zero 0
	.end_amdhsa_kernel
	.section	.text._ZL19rocblas_trsv_deviceILi64ELi16ELb0ELb1ELb1ELb1E19rocblas_complex_numIfES1_PKPKS1_PKPS1_EviT7_lllT6_T8_lllPii,"axG",@progbits,_ZL19rocblas_trsv_deviceILi64ELi16ELb0ELb1ELb1ELb1E19rocblas_complex_numIfES1_PKPKS1_PKPS1_EviT7_lllT6_T8_lllPii,comdat
.Lfunc_end159:
	.size	_ZL19rocblas_trsv_deviceILi64ELi16ELb0ELb1ELb1ELb1E19rocblas_complex_numIfES1_PKPKS1_PKPS1_EviT7_lllT6_T8_lllPii, .Lfunc_end159-_ZL19rocblas_trsv_deviceILi64ELi16ELb0ELb1ELb1ELb1E19rocblas_complex_numIfES1_PKPKS1_PKPS1_EviT7_lllT6_T8_lllPii
                                        ; -- End function
	.set _ZL19rocblas_trsv_deviceILi64ELi16ELb0ELb1ELb1ELb1E19rocblas_complex_numIfES1_PKPKS1_PKPS1_EviT7_lllT6_T8_lllPii.num_vgpr, 110
	.set _ZL19rocblas_trsv_deviceILi64ELi16ELb0ELb1ELb1ELb1E19rocblas_complex_numIfES1_PKPKS1_PKPS1_EviT7_lllT6_T8_lllPii.num_agpr, 0
	.set _ZL19rocblas_trsv_deviceILi64ELi16ELb0ELb1ELb1ELb1E19rocblas_complex_numIfES1_PKPKS1_PKPS1_EviT7_lllT6_T8_lllPii.numbered_sgpr, 105
	.set _ZL19rocblas_trsv_deviceILi64ELi16ELb0ELb1ELb1ELb1E19rocblas_complex_numIfES1_PKPKS1_PKPS1_EviT7_lllT6_T8_lllPii.num_named_barrier, 0
	.set _ZL19rocblas_trsv_deviceILi64ELi16ELb0ELb1ELb1ELb1E19rocblas_complex_numIfES1_PKPKS1_PKPS1_EviT7_lllT6_T8_lllPii.private_seg_size, 0
	.set _ZL19rocblas_trsv_deviceILi64ELi16ELb0ELb1ELb1ELb1E19rocblas_complex_numIfES1_PKPKS1_PKPS1_EviT7_lllT6_T8_lllPii.uses_vcc, 1
	.set _ZL19rocblas_trsv_deviceILi64ELi16ELb0ELb1ELb1ELb1E19rocblas_complex_numIfES1_PKPKS1_PKPS1_EviT7_lllT6_T8_lllPii.uses_flat_scratch, 0
	.set _ZL19rocblas_trsv_deviceILi64ELi16ELb0ELb1ELb1ELb1E19rocblas_complex_numIfES1_PKPKS1_PKPS1_EviT7_lllT6_T8_lllPii.has_dyn_sized_stack, 0
	.set _ZL19rocblas_trsv_deviceILi64ELi16ELb0ELb1ELb1ELb1E19rocblas_complex_numIfES1_PKPKS1_PKPS1_EviT7_lllT6_T8_lllPii.has_recursion, 0
	.set _ZL19rocblas_trsv_deviceILi64ELi16ELb0ELb1ELb1ELb1E19rocblas_complex_numIfES1_PKPKS1_PKPS1_EviT7_lllT6_T8_lllPii.has_indirect_call, 0
	.section	.AMDGPU.csdata,"",@progbits
; Kernel info:
; codeLenInByte = 42124
; TotalNumSgprs: 107
; NumVgprs: 110
; ScratchSize: 0
; MemoryBound: 0
; FloatMode: 240
; IeeeMode: 1
; LDSByteSize: 41480 bytes/workgroup (compile time only)
; SGPRBlocks: 0
; VGPRBlocks: 6
; NumSGPRsForWavesPerEU: 107
; NumVGPRsForWavesPerEU: 110
; NamedBarCnt: 0
; Occupancy: 9
; WaveLimiterHint : 1
; COMPUTE_PGM_RSRC2:SCRATCH_EN: 0
; COMPUTE_PGM_RSRC2:USER_SGPR: 2
; COMPUTE_PGM_RSRC2:TRAP_HANDLER: 0
; COMPUTE_PGM_RSRC2:TGID_X_EN: 1
; COMPUTE_PGM_RSRC2:TGID_Y_EN: 0
; COMPUTE_PGM_RSRC2:TGID_Z_EN: 1
; COMPUTE_PGM_RSRC2:TIDIG_COMP_CNT: 1
	.section	.text._ZL19rocblas_trsv_deviceILi64ELi16ELb0ELb0ELb0ELb0E19rocblas_complex_numIfES1_PKPKS1_PKPS1_EviT7_lllT6_T8_lllPii,"axG",@progbits,_ZL19rocblas_trsv_deviceILi64ELi16ELb0ELb0ELb0ELb0E19rocblas_complex_numIfES1_PKPKS1_PKPS1_EviT7_lllT6_T8_lllPii,comdat
	.globl	_ZL19rocblas_trsv_deviceILi64ELi16ELb0ELb0ELb0ELb0E19rocblas_complex_numIfES1_PKPKS1_PKPS1_EviT7_lllT6_T8_lllPii ; -- Begin function _ZL19rocblas_trsv_deviceILi64ELi16ELb0ELb0ELb0ELb0E19rocblas_complex_numIfES1_PKPKS1_PKPS1_EviT7_lllT6_T8_lllPii
	.p2align	8
	.type	_ZL19rocblas_trsv_deviceILi64ELi16ELb0ELb0ELb0ELb0E19rocblas_complex_numIfES1_PKPKS1_PKPS1_EviT7_lllT6_T8_lllPii,@function
_ZL19rocblas_trsv_deviceILi64ELi16ELb0ELb0ELb0ELb0E19rocblas_complex_numIfES1_PKPKS1_PKPS1_EviT7_lllT6_T8_lllPii: ; @_ZL19rocblas_trsv_deviceILi64ELi16ELb0ELb0ELb0ELb0E19rocblas_complex_numIfES1_PKPKS1_PKPS1_EviT7_lllT6_T8_lllPii
; %bb.0:
	s_load_b32 s71, s[0:1], 0x58
	s_bfe_u32 s2, ttmp6, 0x40014
	s_lshr_b32 s3, ttmp7, 16
	s_add_co_i32 s2, s2, 1
	s_bfe_u32 s5, ttmp6, 0x40008
	s_mul_i32 s4, s3, s2
	s_getreg_b32 s2, hwreg(HW_REG_IB_STS2, 6, 4)
	s_add_co_i32 s5, s5, s4
	s_cmp_eq_u32 s2, 0
	s_mov_b32 s81, 0
	s_cselect_b32 s80, s3, s5
	s_wait_kmcnt 0x0
	s_cmp_ge_u32 s80, s71
	s_cbranch_scc1 .LBB160_1098
; %bb.1:
	s_clause 0x2
	s_load_b32 s3, s[0:1], 0x6c
	s_load_b32 s103, s[0:1], 0x60
	;; [unrolled: 1-line block ×3, first 2 shown]
	s_bfe_u32 s5, ttmp6, 0x4000c
	s_and_b32 s4, ttmp6, 15
	s_add_co_i32 s5, s5, 1
	s_clause 0x1
	s_load_b64 s[84:85], s[0:1], 0x18
	s_load_b64 s[18:19], s[0:1], 0x28
	s_mul_i32 s5, ttmp9, s5
	v_bfe_u32 v40, v0, 10, 10
	s_add_co_i32 s4, s4, s5
	s_cmp_eq_u32 s2, 0
	v_and_b32_e32 v2, 0x3ff, v0
	s_cselect_b32 s102, ttmp9, s4
	v_dual_mov_b32 v5, 0 :: v_dual_lshrrev_b32 v1, 10, v0
                                        ; implicit-def: $vgpr88 : SGPR spill to VGPR lane
	v_add_nc_u32_e32 v32, 16, v40
	s_delay_alu instid0(VALU_DEP_3) | instskip(SKIP_1) | instid1(VALU_DEP_4)
	v_lshl_add_u32 v30, v40, 6, v2
	v_mul_u32_u24_e32 v62, 0x208, v2
	v_mov_b32_e32 v3, v5
	v_bitop3_b32 v31, v0, v1, 0x3ff bitop3:0xa8
	s_wait_kmcnt 0x0
	s_and_b32 s4, s3, 0xffff
	s_add_co_i32 s103, s103, -1
	s_add_co_i32 s2, s82, -1
	s_ashr_i32 s83, s82, 31
	s_ashr_i32 s3, s2, 31
	s_lshr_b32 s5, s83, 26
	s_lshr_b32 s3, s3, 26
	s_add_co_i32 s5, s82, s5
	s_add_co_i32 s2, s2, s3
	s_and_not1_b32 s5, s5, 63
	s_sub_co_i32 s11, s103, s102
	s_ashr_i32 s2, s2, 6
	s_sub_co_i32 s15, s82, s5
	s_cmp_eq_u32 s2, s11
	v_lshrrev_b32_e32 v10, 1, v30
	s_cselect_b32 s2, -1, 0
	s_cmp_lg_u32 s15, 0
	v_mad_u32_u24 v4, v40, s4, v2
	s_cselect_b32 s3, -1, 0
	v_cmp_le_i32_e64 s14, s15, v2
	s_and_b32 s16, s3, s2
	v_cmp_gt_i32_e32 vcc_lo, s15, v2
	s_xor_b32 s104, s16, -1
	s_cmp_lg_u32 s102, 0
	s_clause 0x1
	s_load_b64 s[88:89], s[0:1], 0x40
	s_load_b64 s[90:91], s[0:1], 0x50
	s_cselect_b32 s2, -1, 0
	s_lshl_b32 s12, s11, 6
	v_writelane_b32 v88, s2, 0
	s_add_nc_u64 s[2:3], s[84:85], 1
	v_dual_add_nc_u32 v18, s12, v40 :: v_dual_add_nc_u32 v6, s12, v2
	v_mad_nc_u64_u32 v[16:17], s2, s12, v[2:3]
	s_ashr_i32 s13, s12, 31
	s_delay_alu instid0(VALU_DEP_2)
	v_dual_add_nc_u32 v12, 64, v18 :: v_dual_bitop2_b32 v11, 1, v0 bitop3:0x40
	s_cmp_gt_i32 s102, 4
	s_mul_i32 s3, s3, s12
	s_mul_i32 s4, s2, s13
	s_cselect_b32 s5, -1, 0
	v_lshl_add_u32 v3, v10, 3, 0x8000
	s_and_b32 s43, s5, s104
	v_dual_lshlrev_b32 v1, 9, v10 :: v_dual_lshlrev_b32 v41, 3, v11
	s_delay_alu instid0(VALU_DEP_4)
	v_add3_u32 v17, s4, s3, v17
	v_cmp_gt_u32_e64 s3, 4, v30
	v_cmp_eq_u32_e64 s4, 1, v11
	v_cmp_eq_u32_e64 s5, 0, v11
	v_dual_lshrrev_b32 v10, 2, v30 :: v_dual_bitop2_b32 v11, 3, v0 bitop3:0x40
	v_dual_ashrrev_i32 v13, 31, v12 :: v_dual_ashrrev_i32 v7, 31, v6
	s_and_b32 s44, s4, s3
	s_and_b32 s45, s5, s3
	v_cmp_gt_u32_e64 s4, 16, v30
	v_cmp_eq_u32_e64 s5, 3, v11
	v_cmp_ne_u32_e64 s6, 3, v11
	v_mul_u64_e32 v[8:9], s[84:85], v[12:13]
	v_dual_sub_nc_u32 v42, 0, v1 :: v_dual_lshlrev_b32 v43, 3, v2
	v_dual_sub_nc_u32 v44, v41, v1 :: v_dual_lshlrev_b32 v1, 9, v10
	v_lshlrev_b32_e32 v46, 3, v11
	v_cmp_eq_u32_e64 s7, 2, v11
	s_and_b32 s46, s5, s4
	v_cmp_gt_u32_e64 s5, 2, v11
	v_cmp_eq_u32_e64 s8, 1, v11
	s_and_b32 s47, s6, s4
	v_cmp_eq_u32_e64 s6, 0, v11
	v_dual_lshlrev_b32 v11, 6, v30 :: v_dual_bitop2_b32 v13, 7, v0 bitop3:0x40
	s_and_b32 s48, s7, s4
	s_and_b32 s49, s5, s4
	;; [unrolled: 1-line block ×3, first 2 shown]
	v_cmp_gt_u32_e64 s5, 64, v30
	v_cmp_eq_u32_e64 s6, 7, v13
	v_cmp_ne_u32_e64 s7, 7, v13
	v_lshl_add_u32 v45, v10, 3, 0x8000
	s_and_b32 s50, s8, s4
	v_and_b32_e32 v10, 0x1fff8, v30
	s_and_b32 s52, s6, s5
	s_and_b32 s53, s7, s5
	v_cmp_eq_u32_e64 s6, 5, v13
	v_cmp_gt_u32_e64 s7, 5, v13
	v_cmp_eq_u32_e64 s8, 6, v13
	v_dual_sub_nc_u32 v47, 0, v1 :: v_dual_sub_nc_u32 v48, v46, v1
	s_and_b32 s56, s6, s5
	v_cmp_gt_u32_e64 s6, 4, v13
	s_and_b32 s57, s7, s5
	v_cmp_gt_u32_e64 s7, 3, v13
	v_dual_mov_b32 v26, 0 :: v_dual_add_nc_u32 v49, 0x8000, v10
	v_and_b32_e32 v1, 0x7ffe00, v11
	v_dual_lshlrev_b32 v50, 3, v13 :: v_dual_lshrrev_b32 v10, 4, v30
	v_cmp_gt_u32_e64 s9, 6, v13
	s_and_b32 s54, s8, s5
	v_cmp_eq_u32_e64 s8, 4, v13
	s_and_b32 s59, s6, s5
	v_cmp_eq_u32_e64 s6, 2, v13
	;; [unrolled: 2-line block ×3, first 2 shown]
	v_dual_sub_nc_u32 v52, v50, v1 :: v_dual_bitop2_b32 v11, 15, v0 bitop3:0x40
	s_and_b32 s55, s9, s5
	v_cmp_eq_u32_e64 s9, 3, v13
	s_and_b32 s58, s8, s5
	v_cmp_gt_u32_e64 s8, 2, v13
	s_and_b32 s62, s6, s5
	s_and_b32 s64, s7, s5
	v_cmp_gt_u32_e64 s6, 0x100, v30
	v_cmp_eq_u32_e64 s7, 15, v11
	s_and_b32 s60, s9, s5
	v_cmp_eq_u32_e64 s9, 0, v13
	s_and_b32 s63, s8, s5
	v_cmp_ne_u32_e64 s8, 15, v11
	s_and_b32 s7, s7, s6
	v_cmp_gt_u32_e64 s10, 14, v11
	v_writelane_b32 v88, s7, 1
	s_and_b32 s65, s9, s5
	v_cmp_eq_u32_e64 s9, 14, v11
	s_and_b32 s8, s8, s6
	v_cmp_eq_u32_e64 s7, 13, v11
	v_writelane_b32 v88, s8, 2
	v_sub_nc_u32_e32 v51, 0, v1
	s_and_b32 s8, s9, s6
	v_cmp_gt_u32_e64 s9, 12, v11
	s_and_b32 s7, s7, s6
	v_writelane_b32 v88, s8, 3
	s_and_b32 s8, s10, s6
	v_cmp_eq_u32_e64 s10, 11, v11
	s_and_b32 s29, s9, s6
	v_cmp_eq_u32_e64 s9, 9, v11
	v_writelane_b32 v88, s8, 4
	v_cmp_gt_u32_e64 s8, 13, v11
	s_and_b32 s31, s10, s6
	v_cmp_gt_u32_e64 s10, 9, v11
	s_and_b32 s40, s9, s6
	v_writelane_b32 v88, s7, 5
	v_cmp_eq_u32_e64 s7, 12, v11
	s_and_b32 s8, s8, s6
	s_and_b32 s41, s10, s6
	v_cmp_gt_u32_e64 s9, 7, v11
	v_writelane_b32 v88, s8, 6
	v_cmp_gt_u32_e64 s8, 11, v11
	s_and_b32 s7, s7, s6
	v_cmp_eq_u32_e64 s10, 6, v11
	v_dual_lshlrev_b32 v1, 9, v10 :: v_dual_lshlrev_b32 v54, 3, v11
	v_writelane_b32 v88, s7, 7
	v_cmp_eq_u32_e64 s7, 10, v11
	s_and_b32 s34, s8, s6
	v_cmp_gt_u32_e64 s8, 10, v11
	s_and_b32 s87, s9, s6
	s_and_b32 s42, s10, s6
	;; [unrolled: 1-line block ×3, first 2 shown]
	v_cmp_eq_u32_e64 s7, 8, v11
	s_and_b32 s39, s8, s6
	v_cmp_gt_u32_e64 s8, 8, v11
	v_cmp_eq_u32_e64 s9, 4, v11
	v_cmp_gt_u32_e64 s10, 4, v11
	s_and_b32 s92, s7, s6
	v_cmp_eq_u32_e64 s7, 7, v11
	s_and_b32 s93, s8, s6
	v_cmp_gt_u32_e64 s8, 6, v11
	v_lshl_add_u32 v53, v10, 3, 0x8000
	v_dual_sub_nc_u32 v55, 0, v1 :: v_dual_lshrrev_b32 v10, 5, v30
	s_and_b32 s86, s7, s6
	v_cmp_eq_u32_e64 s7, 5, v11
	s_and_b32 s24, s8, s6
	v_cmp_gt_u32_e64 s8, 5, v11
	v_dual_sub_nc_u32 v56, v54, v1 :: v_dual_bitop2_b32 v57, 31, v0 bitop3:0x40
	s_and_b32 s26, s7, s6
	v_cmp_eq_u32_e64 s7, 3, v11
	s_and_b32 s28, s8, s6
	v_cmp_gt_u32_e64 s8, 3, v11
	s_and_b32 s30, s9, s6
	s_and_b32 s33, s10, s6
	s_and_b32 vcc_hi, s7, s6
	v_cmp_eq_u32_e64 s7, 2, v11
	s_and_b32 s66, s8, s6
	v_cmp_eq_u32_e64 s8, 0, v11
	v_cmp_gt_u32_e64 s9, 2, v11
	v_cmp_eq_u32_e64 s10, 1, v11
	s_and_b32 s67, s7, s6
	v_cmp_eq_u32_e64 s7, 0, v40
	s_and_b32 s69, s14, s16
	s_and_b32 s68, s8, s6
	v_lshl_add_u32 v58, v10, 3, 0x8000
	v_dual_lshlrev_b32 v0, 9, v10 :: v_dual_lshlrev_b32 v59, 3, v57
	s_xor_b32 s8, s69, -1
	v_lshlrev_b32_e32 v10, 9, v2
	v_add_nc_u32_e32 v13, 0x50, v18
	v_add_nc_u32_e32 v14, 0x60, v18
	v_add_max_i32_e64 v35, 0x70, v18, v6
	v_mbcnt_lo_u32_b32 v18, -1, 0
	s_and_b32 s9, s9, s6
	s_and_b32 s10, s10, s6
	;; [unrolled: 1-line block ×3, first 2 shown]
	s_xor_b32 s16, s19, 0x80000000
	s_cmp_gt_i32 s102, 0
	s_clause 0x1
	s_load_b128 s[72:75], s[0:1], 0x8
	s_load_b128 s[76:79], s[0:1], 0x30
	v_cmp_gt_i32_e64 s2, s82, v6
	v_dual_sub_nc_u32 v60, 0, v0 :: v_dual_sub_nc_u32 v61, v59, v0
	s_cselect_b32 s25, -1, 0
	v_add_nc_u64_e32 v[0:1], s[12:13], v[4:5]
	s_add_co_i32 s12, s11, 1
	v_dual_add_nc_u32 v33, 32, v40 :: v_dual_add_nc_u32 v34, 48, v40
	v_dual_sub_nc_u32 v63, 0, v10 :: v_dual_sub_nc_u32 v19, v62, v10
	s_wait_xcnt 0x0
	v_cmp_gt_i32_e64 s0, s82, v12
	s_and_b32 s11, s7, vcc_lo
	v_lshlrev_b32_e32 v27, 20, v18
	v_writelane_b32 v88, s11, 8
	v_lshl_add_u32 v64, v32, 9, v19
	s_and_b32 s0, s2, s0
	v_lshl_add_u32 v65, v33, 9, v19
	v_add_nc_u64_e32 v[18:19], src_flat_scratch_base_lo, v[26:27]
	v_mov_b32_e32 v26, 8
	v_cmp_gt_i32_e64 s1, s82, v13
	v_writelane_b32 v88, s0, 9
	v_cmp_gt_i32_e64 s8, s82, v14
	v_cmp_le_i32_e32 vcc_lo, s15, v40
	v_cmp_le_u32_e64 s17, v32, v2
	s_and_b32 s0, s2, s1
	v_cmp_le_i32_e64 s11, s15, v32
	v_writelane_b32 v88, s0, 10
	s_and_b32 s0, s2, s8
	v_cmp_le_u32_e64 s8, v40, v2
	s_or_b32 s1, vcc_lo, s14
	v_cmp_le_u32_e64 s20, v33, v2
	v_writelane_b32 v88, s0, 11
	s_movk_i32 s0, 0x7c00
	v_cmp_le_i32_e32 vcc_lo, s15, v33
	v_mad_u32_u24 v66, 0x208, v2, s0
	s_or_b32 s0, s1, s8
	v_writelane_b32 v88, s8, 12
	v_cmp_le_u32_e64 s21, v34, v2
	v_cmp_ne_u32_e64 s13, v2, v40
	v_cmp_ne_u32_e64 s8, v2, v34
                                        ; implicit-def: $vgpr87 : SGPR spill to VGPR lane
	v_lshl_add_u32 v67, v40, 3, 0xa000
	v_writelane_b32 v88, s0, 13
	s_or_b32 s0, s11, s14
	v_cmp_le_i32_e64 s11, s15, v34
	s_or_b32 s0, s0, s17
	v_add_nc_u64_e32 v[20:21], src_flat_scratch_base_lo, v[26:27]
	v_writelane_b32 v88, s17, 14
	v_mov_b32_e32 v26, 16
	s_or_b32 s1, s11, s14
	s_or_b32 s11, s14, s13
	v_dual_add_nc_u32 v72, v67, v43 :: v_dual_bitop2_b32 v36, v32, v2 bitop3:0x54
	v_writelane_b32 v88, s0, 15
	s_or_b32 s0, vcc_lo, s14
	v_add_nc_u64_e32 v[22:23], src_flat_scratch_base_lo, v[26:27]
	s_or_b32 s0, s0, s20
	v_dual_mov_b32 v26, 24 :: v_dual_lshlrev_b32 v28, 9, v57
	v_writelane_b32 v88, s20, 16
	v_or_b32_e32 v37, v33, v2
	v_or_b32_e32 v38, v34, v2
                                        ; implicit-def: $vgpr86 : SGPR spill to VGPR lane
	s_wait_kmcnt 0x0
	v_mul_u64_e32 v[0:1], s[88:89], v[0:1]
	v_add_nc_u32_e32 v75, v59, v28
	v_writelane_b32 v88, s0, 17
	s_or_b32 s0, s1, s21
	v_cmp_ne_u32_e64 s1, v2, v33
	v_mul_u64_e32 v[24:25], s[88:89], v[6:7]
	v_mad_nc_u64_u32 v[10:11], s84, v40, v[16:17]
	v_writelane_b32 v88, s21, 18
	v_mad_nc_u64_u32 v[12:13], s84, v32, v[16:17]
	v_mad_nc_u64_u32 v[14:15], s84, v33, v[16:17]
	v_mad_nc_u64_u32 v[16:17], s84, v34, v[16:17]
	s_mov_b32 s17, s19
	v_writelane_b32 v88, s0, 19
	v_cmp_ne_u32_e64 s0, v2, v32
	s_mov_b32 s19, s18
	v_add_nc_u64_e32 v[26:27], src_flat_scratch_base_lo, v[26:27]
	v_cmp_lt_u32_e32 vcc_lo, 0x3ff, v30
	v_writelane_b32 v88, s13, 20
	v_mad_u32 v11, s85, v40, v11
	v_mad_u32 v13, s85, v32, v13
	;; [unrolled: 1-line block ×4, first 2 shown]
	v_writelane_b32 v88, s11, 21
	v_mov_b64_e32 v[28:29], 0
	v_lshl_add_u32 v68, v4, 3, 0xa000
	v_lshl_add_u32 v69, v30, 3, 0x8000
	v_or_b32_e32 v70, 0x8000, v43
	v_writelane_b32 v88, s0, 22
	s_or_b32 s0, s14, s0
	v_lshl_add_u32 v71, v40, 9, v43
	v_lshl_add_u32 v73, v34, 9, v43
	v_or_b32_e32 v74, 0x3c00, v59
	v_writelane_b32 v88, s0, 23
	s_or_b32 s0, s14, s1
	v_subrev_nc_u32_e32 v76, 31, v57
	v_cmp_gt_u32_e64 s15, 2, v30
	v_cmp_gt_u32_e64 s20, 40, v30
	v_writelane_b32 v88, s1, 24
	v_cmp_gt_u32_e64 s21, 32, v30
	v_cmp_gt_u32_e64 s22, 24, v30
	v_cmp_gt_u32_e64 s35, 0x400, v30
	v_cmp_eq_u32_e64 s36, 0, v4
	v_writelane_b32 v88, s0, 25
	s_or_b32 s0, s14, s8
	v_cmp_eq_u32_e64 s14, 0, v31
	v_cmp_gt_u32_e64 s37, 64, v4
	s_xor_b32 s13, vcc_lo, -1
	v_writelane_b32 v88, s8, 26
	s_lshl_b64 s[94:95], s[84:85], 7
	s_lshl_b64 s[96:97], s[84:85], 8
	s_mul_u64 s[98:99], s[84:85], 0x180
	s_lshl_b64 s[74:75], s[74:75], 3
	v_writelane_b32 v88, s0, 27
	v_cmp_gt_u32_e64 s0, 0xf0, v30
	s_lshl_b64 s[78:79], s[78:79], 3
	v_writelane_b32 v88, s16, 28
	v_writelane_b32 v87, s0, 0
	v_cmp_gt_u32_e64 s0, 0xe0, v30
	v_writelane_b32 v88, s17, 29
	v_cmp_gt_u32_e64 s16, 12, v30
	s_delay_alu instid0(VALU_DEP_3) | instskip(SKIP_3) | instid1(VALU_DEP_3)
	v_writelane_b32 v87, s0, 1
	v_cmp_gt_u32_e64 s0, 0xd0, v30
	v_cmp_gt_u32_e64 s17, 8, v30
	v_writelane_b32 v88, s18, 30
	v_writelane_b32 v87, s0, 2
	v_cmp_gt_u32_e64 s0, 0xc0, v30
	v_writelane_b32 v88, s19, 31
	v_cmp_gt_u32_e64 s18, 56, v30
	v_cmp_gt_u32_e64 s19, 48, v30
	s_delay_alu instid0(VALU_DEP_4) | instskip(SKIP_1) | instid1(VALU_DEP_1)
	v_writelane_b32 v87, s0, 3
	v_cmp_gt_u32_e64 s0, 0xb0, v30
	v_writelane_b32 v87, s0, 4
	v_cmp_gt_u32_e64 s0, 0xa0, v30
	s_delay_alu instid0(VALU_DEP_1) | instskip(SKIP_1) | instid1(VALU_DEP_1)
	v_writelane_b32 v87, s0, 5
	v_cmp_gt_u32_e64 s0, 0x90, v30
	v_writelane_b32 v87, s0, 6
	v_cmp_gt_u32_e64 s0, 0x80, v30
	s_delay_alu instid0(VALU_DEP_1) | instskip(SKIP_1) | instid1(VALU_DEP_1)
	v_writelane_b32 v87, s0, 7
	v_cmp_gt_u32_e64 s0, 0x70, v30
	v_writelane_b32 v87, s0, 8
	v_cmp_gt_u32_e64 s0, 0x60, v30
	s_delay_alu instid0(VALU_DEP_1) | instskip(SKIP_1) | instid1(VALU_DEP_1)
	v_writelane_b32 v87, s0, 9
	v_cmp_gt_u32_e64 s0, 0x50, v30
	v_writelane_b32 v87, s0, 10
	v_cmp_le_u32_e64 s0, v2, v40
	s_delay_alu instid0(VALU_DEP_1) | instskip(SKIP_1) | instid1(VALU_DEP_1)
	v_writelane_b32 v87, s0, 11
	v_cmp_le_u32_e64 s0, v2, v32
	v_writelane_b32 v87, s0, 12
	v_cmp_le_u32_e64 s0, v2, v33
	s_delay_alu instid0(VALU_DEP_1) | instskip(SKIP_1) | instid1(VALU_DEP_1)
	v_writelane_b32 v87, s0, 13
	v_cmp_le_u32_e64 s0, v2, v34
	v_writelane_b32 v87, s0, 14
	v_cmp_le_i32_e64 s0, s82, v35
	s_delay_alu instid0(VALU_DEP_1) | instskip(SKIP_1) | instid1(VALU_DEP_1)
	v_writelane_b32 v87, s0, 15
	v_cmp_gt_u32_e64 s0, 64, v31
	v_writelane_b32 v87, s0, 16
	v_cmp_gt_u32_e64 s0, 64, v36
	s_delay_alu instid0(VALU_DEP_1) | instskip(SKIP_1) | instid1(VALU_DEP_1)
	v_writelane_b32 v87, s0, 17
	v_cmp_gt_u32_e64 s0, 64, v37
	v_writelane_b32 v87, s0, 18
	v_cmp_gt_u32_e64 s0, 64, v38
	;; [unrolled: 5-line block ×13, first 2 shown]
	s_delay_alu instid0(VALU_DEP_1) | instskip(SKIP_1) | instid1(VALU_DEP_1)
	v_writelane_b32 v86, s0, 9
	v_cmp_gt_u32_e64 s0, 0x120, v30
	v_writelane_b32 v86, s0, 10
	s_branch .LBB160_3
.LBB160_2:                              ;   in Loop: Header=BB160_3 Depth=1
	s_wait_xcnt 0x0
	s_or_b32 exec_lo, exec_lo, s0
	s_add_co_i32 s80, s80, 0x10000
	global_wb scope:SCOPE_DEV
	s_wait_storecnt 0x0
	global_inv scope:SCOPE_DEV
	s_cmp_lt_u32 s80, s71
	s_cbranch_scc0 .LBB160_1098
.LBB160_3:                              ; =>This Loop Header: Depth=1
                                        ;     Child Loop BB160_588 Depth 2
                                        ;     Child Loop BB160_996 Depth 2
                                        ;       Child Loop BB160_998 Depth 3
                                        ;     Child Loop BB160_1030 Depth 2
	v_mov_b32_e32 v32, s80
	v_readlane_b32 s0, v88, 0
	s_clause 0x1
	global_load_b64 v[30:31], v32, s[72:73] scale_offset
	global_load_b64 v[32:33], v32, s[76:77] scale_offset
	s_and_not1_b32 vcc_lo, exec_lo, s0
	s_wait_loadcnt 0x1
	v_add_nc_u64_e32 v[30:31], s[74:75], v[30:31]
	s_cbranch_vccnz .LBB160_15
; %bb.4:                                ;   in Loop: Header=BB160_3 Depth=1
	s_delay_alu instid0(VALU_DEP_1) | instskip(SKIP_3) | instid1(VALU_DEP_3)
	v_lshl_add_u64 v[34:35], v[8:9], 3, v[30:31]
	v_dual_mov_b32 v36, 0 :: v_dual_mov_b32 v38, 0
	v_mov_b32_e32 v39, 0
	s_wait_loadcnt 0x0
	v_lshl_add_u64 v[34:35], v[6:7], 3, v[34:35]
	s_barrier_signal -1
	s_barrier_wait -1
	s_wait_xcnt 0x0
	s_mov_b32 s0, exec_lo
	v_readlane_b32 s1, v88, 9
	s_and_b32 s1, s0, s1
	s_delay_alu instid0(SALU_CYCLE_1)
	s_mov_b32 exec_lo, s1
	s_cbranch_execz .LBB160_6
; %bb.5:                                ;   in Loop: Header=BB160_3 Depth=1
	flat_load_b64 v[38:39], v[34:35]
.LBB160_6:                              ;   in Loop: Header=BB160_3 Depth=1
	s_wait_xcnt 0x0
	s_or_b32 exec_lo, exec_lo, s0
	v_mov_b32_e32 v37, 0
	s_wait_loadcnt_dscnt 0x0
	scratch_store_b64 off, v[38:39], off
	s_wait_storecnt 0x0
	s_barrier_signal -1
	s_barrier_wait -1
	s_wait_xcnt 0x0
	s_mov_b32 s0, exec_lo
	v_readlane_b32 s1, v88, 10
	s_and_b32 s1, s0, s1
	s_delay_alu instid0(SALU_CYCLE_1)
	s_mov_b32 exec_lo, s1
	s_cbranch_execz .LBB160_8
; %bb.7:                                ;   in Loop: Header=BB160_3 Depth=1
	v_add_nc_u64_e32 v[36:37], s[94:95], v[34:35]
	flat_load_b64 v[36:37], v[36:37]
.LBB160_8:                              ;   in Loop: Header=BB160_3 Depth=1
	s_wait_xcnt 0x0
	s_or_b32 exec_lo, exec_lo, s0
	s_wait_loadcnt_dscnt 0x0
	scratch_store_b64 off, v[36:37], off offset:8
	s_wait_xcnt 0x0
	v_dual_mov_b32 v36, 0 :: v_dual_mov_b32 v37, 0
	s_wait_storecnt 0x0
	s_barrier_signal -1
	s_barrier_wait -1
	s_mov_b32 s0, exec_lo
	v_readlane_b32 s1, v88, 11
	s_and_b32 s1, s0, s1
	s_delay_alu instid0(SALU_CYCLE_1)
	s_mov_b32 exec_lo, s1
	s_cbranch_execz .LBB160_10
; %bb.9:                                ;   in Loop: Header=BB160_3 Depth=1
	v_add_nc_u64_e32 v[36:37], s[96:97], v[34:35]
	flat_load_b64 v[36:37], v[36:37]
.LBB160_10:                             ;   in Loop: Header=BB160_3 Depth=1
	s_wait_xcnt 0x0
	s_or_b32 exec_lo, exec_lo, s0
	s_wait_loadcnt_dscnt 0x0
	scratch_store_b64 off, v[36:37], off offset:16
	s_wait_storecnt 0x0
	s_barrier_signal -1
	s_barrier_wait -1
	s_wait_xcnt 0x0
	s_mov_b32 s0, exec_lo
	v_readlane_b32 s1, v87, 15
	s_and_b32 s1, s0, s1
	s_delay_alu instid0(SALU_CYCLE_1)
	s_xor_b32 s0, s1, s0
	s_mov_b32 exec_lo, s1
	s_cbranch_execz .LBB160_12
; %bb.11:                               ;   in Loop: Header=BB160_3 Depth=1
	scratch_store_b64 off, v[28:29], off offset:24
                                        ; implicit-def: $vgpr34_vgpr35
.LBB160_12:                             ;   in Loop: Header=BB160_3 Depth=1
	s_wait_xcnt 0x0
	s_and_not1_saveexec_b32 s0, s0
	s_cbranch_execz .LBB160_14
; %bb.13:                               ;   in Loop: Header=BB160_3 Depth=1
	v_add_nc_u64_e32 v[34:35], s[98:99], v[34:35]
	flat_load_b64 v[34:35], v[34:35]
	s_wait_loadcnt_dscnt 0x0
	scratch_store_b64 off, v[34:35], off offset:24
.LBB160_14:                             ;   in Loop: Header=BB160_3 Depth=1
	s_wait_xcnt 0x0
	s_or_b32 exec_lo, exec_lo, s0
.LBB160_15:                             ;   in Loop: Header=BB160_3 Depth=1
	s_delay_alu instid0(SALU_CYCLE_1)
	s_and_not1_b32 vcc_lo, exec_lo, s104
	s_mov_b32 s0, -1
	s_cbranch_vccnz .LBB160_73
; %bb.16:                               ;   in Loop: Header=BB160_3 Depth=1
	v_readlane_b32 s1, v88, 12
	s_wait_xcnt 0x0
	s_and_saveexec_b32 s0, s1
	s_delay_alu instid0(SALU_CYCLE_1)
	s_xor_b32 s1, exec_lo, s0
	s_cbranch_execz .LBB160_28
; %bb.17:                               ;   in Loop: Header=BB160_3 Depth=1
	v_readlane_b32 s8, v88, 20
	s_and_saveexec_b32 s0, s8
	s_delay_alu instid0(SALU_CYCLE_1)
	s_xor_b32 s0, exec_lo, s0
	s_cbranch_execz .LBB160_21
; %bb.18:                               ;   in Loop: Header=BB160_3 Depth=1
	v_readlane_b32 s8, v87, 16
	s_and_saveexec_b32 s11, s8
; %bb.19:                               ;   in Loop: Header=BB160_3 Depth=1
	ds_store_b64 v71, v[28:29]
; %bb.20:                               ;   in Loop: Header=BB160_3 Depth=1
	s_or_b32 exec_lo, exec_lo, s11
.LBB160_21:                             ;   in Loop: Header=BB160_3 Depth=1
	s_and_not1_saveexec_b32 s70, s0
	s_cbranch_execz .LBB160_27
; %bb.22:                               ;   in Loop: Header=BB160_3 Depth=1
	v_lshl_add_u64 v[34:35], v[10:11], 3, v[30:31]
	s_mov_b32 s11, exec_lo
                                        ; implicit-def: $vgpr36_vgpr37
	flat_load_b64 v[34:35], v[34:35]
	s_wait_loadcnt_dscnt 0x0
	v_cmpx_ngt_f32_e64 |v34|, |v35|
	s_xor_b32 s11, exec_lo, s11
	s_cbranch_execz .LBB160_24
; %bb.23:                               ;   in Loop: Header=BB160_3 Depth=1
	v_div_scale_f32 v36, null, v35, v35, v34
	v_div_scale_f32 v39, vcc_lo, v34, v35, v34
	s_delay_alu instid0(VALU_DEP_2) | instskip(SKIP_1) | instid1(TRANS32_DEP_1)
	v_rcp_f32_e32 v37, v36
	v_nop
	v_fma_f32 v38, -v36, v37, 1.0
	s_delay_alu instid0(VALU_DEP_1) | instskip(NEXT) | instid1(VALU_DEP_1)
	v_fmac_f32_e32 v37, v38, v37
	v_mul_f32_e32 v38, v39, v37
	s_delay_alu instid0(VALU_DEP_1) | instskip(NEXT) | instid1(VALU_DEP_1)
	v_fma_f32 v77, -v36, v38, v39
	v_fmac_f32_e32 v38, v77, v37
	s_delay_alu instid0(VALU_DEP_1) | instskip(NEXT) | instid1(VALU_DEP_1)
	v_fma_f32 v36, -v36, v38, v39
	v_div_fmas_f32 v36, v36, v37, v38
	s_delay_alu instid0(VALU_DEP_1) | instskip(NEXT) | instid1(VALU_DEP_1)
	v_div_fixup_f32 v36, v36, v35, v34
	v_fmac_f32_e32 v35, v34, v36
	s_delay_alu instid0(VALU_DEP_1) | instskip(SKIP_1) | instid1(VALU_DEP_2)
	v_div_scale_f32 v34, null, v35, v35, 1.0
	v_div_scale_f32 v39, vcc_lo, 1.0, v35, 1.0
	v_rcp_f32_e32 v37, v34
	v_nop
	s_delay_alu instid0(TRANS32_DEP_1) | instskip(NEXT) | instid1(VALU_DEP_1)
	v_fma_f32 v38, -v34, v37, 1.0
	v_fmac_f32_e32 v37, v38, v37
	s_delay_alu instid0(VALU_DEP_1) | instskip(NEXT) | instid1(VALU_DEP_1)
	v_mul_f32_e32 v38, v39, v37
	v_fma_f32 v77, -v34, v38, v39
	s_delay_alu instid0(VALU_DEP_1) | instskip(NEXT) | instid1(VALU_DEP_1)
	v_fmac_f32_e32 v38, v77, v37
	v_fma_f32 v34, -v34, v38, v39
	s_delay_alu instid0(VALU_DEP_1) | instskip(NEXT) | instid1(VALU_DEP_1)
	v_div_fmas_f32 v34, v34, v37, v38
	v_div_fixup_f32 v34, v34, v35, 1.0
	s_delay_alu instid0(VALU_DEP_1)
	v_mul_f32_e32 v36, v36, v34
	v_xor_b32_e32 v37, 0x80000000, v34
                                        ; implicit-def: $vgpr34_vgpr35
.LBB160_24:                             ;   in Loop: Header=BB160_3 Depth=1
	s_and_not1_saveexec_b32 s11, s11
	s_cbranch_execz .LBB160_26
; %bb.25:                               ;   in Loop: Header=BB160_3 Depth=1
	v_div_scale_f32 v36, null, v34, v34, v35
	v_div_scale_f32 v39, vcc_lo, v35, v34, v35
	s_delay_alu instid0(VALU_DEP_2) | instskip(SKIP_1) | instid1(TRANS32_DEP_1)
	v_rcp_f32_e32 v37, v36
	v_nop
	v_fma_f32 v38, -v36, v37, 1.0
	s_delay_alu instid0(VALU_DEP_1) | instskip(NEXT) | instid1(VALU_DEP_1)
	v_fmac_f32_e32 v37, v38, v37
	v_mul_f32_e32 v38, v39, v37
	s_delay_alu instid0(VALU_DEP_1) | instskip(NEXT) | instid1(VALU_DEP_1)
	v_fma_f32 v77, -v36, v38, v39
	v_fmac_f32_e32 v38, v77, v37
	s_delay_alu instid0(VALU_DEP_1) | instskip(NEXT) | instid1(VALU_DEP_1)
	v_fma_f32 v36, -v36, v38, v39
	v_div_fmas_f32 v36, v36, v37, v38
	s_delay_alu instid0(VALU_DEP_1) | instskip(NEXT) | instid1(VALU_DEP_1)
	v_div_fixup_f32 v37, v36, v34, v35
	v_fmac_f32_e32 v34, v35, v37
	s_delay_alu instid0(VALU_DEP_1) | instskip(NEXT) | instid1(VALU_DEP_1)
	v_div_scale_f32 v35, null, v34, v34, 1.0
	v_rcp_f32_e32 v36, v35
	v_nop
	s_delay_alu instid0(TRANS32_DEP_1) | instskip(NEXT) | instid1(VALU_DEP_1)
	v_fma_f32 v38, -v35, v36, 1.0
	v_fmac_f32_e32 v36, v38, v36
	v_div_scale_f32 v38, vcc_lo, 1.0, v34, 1.0
	s_delay_alu instid0(VALU_DEP_1) | instskip(NEXT) | instid1(VALU_DEP_1)
	v_mul_f32_e32 v39, v38, v36
	v_fma_f32 v77, -v35, v39, v38
	s_delay_alu instid0(VALU_DEP_1) | instskip(NEXT) | instid1(VALU_DEP_1)
	v_fmac_f32_e32 v39, v77, v36
	v_fma_f32 v35, -v35, v39, v38
	s_delay_alu instid0(VALU_DEP_1) | instskip(NEXT) | instid1(VALU_DEP_1)
	v_div_fmas_f32 v35, v35, v36, v39
	v_div_fixup_f32 v36, v35, v34, 1.0
	s_delay_alu instid0(VALU_DEP_1)
	v_mul_f32_e64 v37, v37, -v36
.LBB160_26:                             ;   in Loop: Header=BB160_3 Depth=1
	s_or_b32 exec_lo, exec_lo, s11
	ds_store_b64 v71, v[36:37]
.LBB160_27:                             ;   in Loop: Header=BB160_3 Depth=1
	s_or_b32 exec_lo, exec_lo, s70
.LBB160_28:                             ;   in Loop: Header=BB160_3 Depth=1
	s_and_not1_saveexec_b32 s0, s1
	s_cbranch_execz .LBB160_30
; %bb.29:                               ;   in Loop: Header=BB160_3 Depth=1
	v_lshl_add_u64 v[34:35], v[10:11], 3, v[30:31]
	flat_load_b64 v[34:35], v[34:35]
	s_wait_loadcnt_dscnt 0x0
	v_pk_add_f32 v[34:35], v[34:35], 0 neg_lo:[1,1] neg_hi:[1,1]
	ds_store_b64 v71, v[34:35]
.LBB160_30:                             ;   in Loop: Header=BB160_3 Depth=1
	s_or_b32 exec_lo, exec_lo, s0
	v_readlane_b32 s1, v88, 14
	s_and_saveexec_b32 s0, s1
	s_delay_alu instid0(SALU_CYCLE_1)
	s_xor_b32 s1, exec_lo, s0
	s_cbranch_execz .LBB160_42
; %bb.31:                               ;   in Loop: Header=BB160_3 Depth=1
	v_readlane_b32 s8, v88, 22
	s_and_saveexec_b32 s0, s8
	s_delay_alu instid0(SALU_CYCLE_1)
	s_xor_b32 s0, exec_lo, s0
	s_cbranch_execz .LBB160_35
; %bb.32:                               ;   in Loop: Header=BB160_3 Depth=1
	v_readlane_b32 s8, v87, 17
	s_and_saveexec_b32 s11, s8
; %bb.33:                               ;   in Loop: Header=BB160_3 Depth=1
	ds_store_b64 v64, v[28:29]
; %bb.34:                               ;   in Loop: Header=BB160_3 Depth=1
	s_or_b32 exec_lo, exec_lo, s11
.LBB160_35:                             ;   in Loop: Header=BB160_3 Depth=1
	s_and_not1_saveexec_b32 s70, s0
	s_cbranch_execz .LBB160_41
; %bb.36:                               ;   in Loop: Header=BB160_3 Depth=1
	v_lshl_add_u64 v[34:35], v[12:13], 3, v[30:31]
	s_mov_b32 s11, exec_lo
                                        ; implicit-def: $vgpr36_vgpr37
	flat_load_b64 v[34:35], v[34:35]
	s_wait_loadcnt_dscnt 0x0
	v_cmpx_ngt_f32_e64 |v34|, |v35|
	s_xor_b32 s11, exec_lo, s11
	s_cbranch_execz .LBB160_38
; %bb.37:                               ;   in Loop: Header=BB160_3 Depth=1
	v_div_scale_f32 v36, null, v35, v35, v34
	v_div_scale_f32 v39, vcc_lo, v34, v35, v34
	s_delay_alu instid0(VALU_DEP_2) | instskip(SKIP_1) | instid1(TRANS32_DEP_1)
	v_rcp_f32_e32 v37, v36
	v_nop
	v_fma_f32 v38, -v36, v37, 1.0
	s_delay_alu instid0(VALU_DEP_1) | instskip(NEXT) | instid1(VALU_DEP_1)
	v_fmac_f32_e32 v37, v38, v37
	v_mul_f32_e32 v38, v39, v37
	s_delay_alu instid0(VALU_DEP_1) | instskip(NEXT) | instid1(VALU_DEP_1)
	v_fma_f32 v77, -v36, v38, v39
	v_fmac_f32_e32 v38, v77, v37
	s_delay_alu instid0(VALU_DEP_1) | instskip(NEXT) | instid1(VALU_DEP_1)
	v_fma_f32 v36, -v36, v38, v39
	v_div_fmas_f32 v36, v36, v37, v38
	s_delay_alu instid0(VALU_DEP_1) | instskip(NEXT) | instid1(VALU_DEP_1)
	v_div_fixup_f32 v36, v36, v35, v34
	v_fmac_f32_e32 v35, v34, v36
	s_delay_alu instid0(VALU_DEP_1) | instskip(SKIP_1) | instid1(VALU_DEP_2)
	v_div_scale_f32 v34, null, v35, v35, 1.0
	v_div_scale_f32 v39, vcc_lo, 1.0, v35, 1.0
	v_rcp_f32_e32 v37, v34
	v_nop
	s_delay_alu instid0(TRANS32_DEP_1) | instskip(NEXT) | instid1(VALU_DEP_1)
	v_fma_f32 v38, -v34, v37, 1.0
	v_fmac_f32_e32 v37, v38, v37
	s_delay_alu instid0(VALU_DEP_1) | instskip(NEXT) | instid1(VALU_DEP_1)
	v_mul_f32_e32 v38, v39, v37
	v_fma_f32 v77, -v34, v38, v39
	s_delay_alu instid0(VALU_DEP_1) | instskip(NEXT) | instid1(VALU_DEP_1)
	v_fmac_f32_e32 v38, v77, v37
	v_fma_f32 v34, -v34, v38, v39
	s_delay_alu instid0(VALU_DEP_1) | instskip(NEXT) | instid1(VALU_DEP_1)
	v_div_fmas_f32 v34, v34, v37, v38
	v_div_fixup_f32 v34, v34, v35, 1.0
	s_delay_alu instid0(VALU_DEP_1)
	v_mul_f32_e32 v36, v36, v34
	v_xor_b32_e32 v37, 0x80000000, v34
                                        ; implicit-def: $vgpr34_vgpr35
.LBB160_38:                             ;   in Loop: Header=BB160_3 Depth=1
	s_and_not1_saveexec_b32 s11, s11
	s_cbranch_execz .LBB160_40
; %bb.39:                               ;   in Loop: Header=BB160_3 Depth=1
	v_div_scale_f32 v36, null, v34, v34, v35
	v_div_scale_f32 v39, vcc_lo, v35, v34, v35
	s_delay_alu instid0(VALU_DEP_2) | instskip(SKIP_1) | instid1(TRANS32_DEP_1)
	v_rcp_f32_e32 v37, v36
	v_nop
	v_fma_f32 v38, -v36, v37, 1.0
	s_delay_alu instid0(VALU_DEP_1) | instskip(NEXT) | instid1(VALU_DEP_1)
	v_fmac_f32_e32 v37, v38, v37
	v_mul_f32_e32 v38, v39, v37
	s_delay_alu instid0(VALU_DEP_1) | instskip(NEXT) | instid1(VALU_DEP_1)
	v_fma_f32 v77, -v36, v38, v39
	v_fmac_f32_e32 v38, v77, v37
	s_delay_alu instid0(VALU_DEP_1) | instskip(NEXT) | instid1(VALU_DEP_1)
	v_fma_f32 v36, -v36, v38, v39
	v_div_fmas_f32 v36, v36, v37, v38
	s_delay_alu instid0(VALU_DEP_1) | instskip(NEXT) | instid1(VALU_DEP_1)
	v_div_fixup_f32 v37, v36, v34, v35
	v_fmac_f32_e32 v34, v35, v37
	s_delay_alu instid0(VALU_DEP_1) | instskip(NEXT) | instid1(VALU_DEP_1)
	v_div_scale_f32 v35, null, v34, v34, 1.0
	v_rcp_f32_e32 v36, v35
	v_nop
	s_delay_alu instid0(TRANS32_DEP_1) | instskip(NEXT) | instid1(VALU_DEP_1)
	v_fma_f32 v38, -v35, v36, 1.0
	v_fmac_f32_e32 v36, v38, v36
	v_div_scale_f32 v38, vcc_lo, 1.0, v34, 1.0
	s_delay_alu instid0(VALU_DEP_1) | instskip(NEXT) | instid1(VALU_DEP_1)
	v_mul_f32_e32 v39, v38, v36
	v_fma_f32 v77, -v35, v39, v38
	s_delay_alu instid0(VALU_DEP_1) | instskip(NEXT) | instid1(VALU_DEP_1)
	v_fmac_f32_e32 v39, v77, v36
	v_fma_f32 v35, -v35, v39, v38
	s_delay_alu instid0(VALU_DEP_1) | instskip(NEXT) | instid1(VALU_DEP_1)
	v_div_fmas_f32 v35, v35, v36, v39
	v_div_fixup_f32 v36, v35, v34, 1.0
	s_delay_alu instid0(VALU_DEP_1)
	v_mul_f32_e64 v37, v37, -v36
.LBB160_40:                             ;   in Loop: Header=BB160_3 Depth=1
	s_or_b32 exec_lo, exec_lo, s11
	ds_store_b64 v64, v[36:37]
.LBB160_41:                             ;   in Loop: Header=BB160_3 Depth=1
	s_or_b32 exec_lo, exec_lo, s70
.LBB160_42:                             ;   in Loop: Header=BB160_3 Depth=1
	s_and_not1_saveexec_b32 s0, s1
	s_cbranch_execz .LBB160_44
; %bb.43:                               ;   in Loop: Header=BB160_3 Depth=1
	v_lshl_add_u64 v[34:35], v[12:13], 3, v[30:31]
	flat_load_b64 v[34:35], v[34:35]
	s_wait_loadcnt_dscnt 0x0
	v_pk_add_f32 v[34:35], v[34:35], 0 neg_lo:[1,1] neg_hi:[1,1]
	ds_store_b64 v64, v[34:35]
.LBB160_44:                             ;   in Loop: Header=BB160_3 Depth=1
	s_or_b32 exec_lo, exec_lo, s0
	v_readlane_b32 s1, v88, 16
	s_and_saveexec_b32 s0, s1
	s_delay_alu instid0(SALU_CYCLE_1)
	s_xor_b32 s1, exec_lo, s0
	s_cbranch_execz .LBB160_56
; %bb.45:                               ;   in Loop: Header=BB160_3 Depth=1
	v_readlane_b32 s8, v88, 24
	s_and_saveexec_b32 s0, s8
	s_delay_alu instid0(SALU_CYCLE_1)
	s_xor_b32 s0, exec_lo, s0
	s_cbranch_execz .LBB160_49
; %bb.46:                               ;   in Loop: Header=BB160_3 Depth=1
	v_readlane_b32 s8, v87, 18
	s_and_saveexec_b32 s11, s8
; %bb.47:                               ;   in Loop: Header=BB160_3 Depth=1
	ds_store_b64 v65, v[28:29]
; %bb.48:                               ;   in Loop: Header=BB160_3 Depth=1
	s_or_b32 exec_lo, exec_lo, s11
.LBB160_49:                             ;   in Loop: Header=BB160_3 Depth=1
	s_and_not1_saveexec_b32 s70, s0
	s_cbranch_execz .LBB160_55
; %bb.50:                               ;   in Loop: Header=BB160_3 Depth=1
	v_lshl_add_u64 v[34:35], v[14:15], 3, v[30:31]
	s_mov_b32 s11, exec_lo
                                        ; implicit-def: $vgpr36_vgpr37
	flat_load_b64 v[34:35], v[34:35]
	s_wait_loadcnt_dscnt 0x0
	v_cmpx_ngt_f32_e64 |v34|, |v35|
	s_xor_b32 s11, exec_lo, s11
	s_cbranch_execz .LBB160_52
; %bb.51:                               ;   in Loop: Header=BB160_3 Depth=1
	v_div_scale_f32 v36, null, v35, v35, v34
	v_div_scale_f32 v39, vcc_lo, v34, v35, v34
	s_delay_alu instid0(VALU_DEP_2) | instskip(SKIP_1) | instid1(TRANS32_DEP_1)
	v_rcp_f32_e32 v37, v36
	v_nop
	v_fma_f32 v38, -v36, v37, 1.0
	s_delay_alu instid0(VALU_DEP_1) | instskip(NEXT) | instid1(VALU_DEP_1)
	v_fmac_f32_e32 v37, v38, v37
	v_mul_f32_e32 v38, v39, v37
	s_delay_alu instid0(VALU_DEP_1) | instskip(NEXT) | instid1(VALU_DEP_1)
	v_fma_f32 v77, -v36, v38, v39
	v_fmac_f32_e32 v38, v77, v37
	s_delay_alu instid0(VALU_DEP_1) | instskip(NEXT) | instid1(VALU_DEP_1)
	v_fma_f32 v36, -v36, v38, v39
	v_div_fmas_f32 v36, v36, v37, v38
	s_delay_alu instid0(VALU_DEP_1) | instskip(NEXT) | instid1(VALU_DEP_1)
	v_div_fixup_f32 v36, v36, v35, v34
	v_fmac_f32_e32 v35, v34, v36
	s_delay_alu instid0(VALU_DEP_1) | instskip(SKIP_1) | instid1(VALU_DEP_2)
	v_div_scale_f32 v34, null, v35, v35, 1.0
	v_div_scale_f32 v39, vcc_lo, 1.0, v35, 1.0
	v_rcp_f32_e32 v37, v34
	v_nop
	s_delay_alu instid0(TRANS32_DEP_1) | instskip(NEXT) | instid1(VALU_DEP_1)
	v_fma_f32 v38, -v34, v37, 1.0
	v_fmac_f32_e32 v37, v38, v37
	s_delay_alu instid0(VALU_DEP_1) | instskip(NEXT) | instid1(VALU_DEP_1)
	v_mul_f32_e32 v38, v39, v37
	v_fma_f32 v77, -v34, v38, v39
	s_delay_alu instid0(VALU_DEP_1) | instskip(NEXT) | instid1(VALU_DEP_1)
	v_fmac_f32_e32 v38, v77, v37
	v_fma_f32 v34, -v34, v38, v39
	s_delay_alu instid0(VALU_DEP_1) | instskip(NEXT) | instid1(VALU_DEP_1)
	v_div_fmas_f32 v34, v34, v37, v38
	v_div_fixup_f32 v34, v34, v35, 1.0
	s_delay_alu instid0(VALU_DEP_1)
	v_mul_f32_e32 v36, v36, v34
	v_xor_b32_e32 v37, 0x80000000, v34
                                        ; implicit-def: $vgpr34_vgpr35
.LBB160_52:                             ;   in Loop: Header=BB160_3 Depth=1
	s_and_not1_saveexec_b32 s11, s11
	s_cbranch_execz .LBB160_54
; %bb.53:                               ;   in Loop: Header=BB160_3 Depth=1
	v_div_scale_f32 v36, null, v34, v34, v35
	v_div_scale_f32 v39, vcc_lo, v35, v34, v35
	s_delay_alu instid0(VALU_DEP_2) | instskip(SKIP_1) | instid1(TRANS32_DEP_1)
	v_rcp_f32_e32 v37, v36
	v_nop
	v_fma_f32 v38, -v36, v37, 1.0
	s_delay_alu instid0(VALU_DEP_1) | instskip(NEXT) | instid1(VALU_DEP_1)
	v_fmac_f32_e32 v37, v38, v37
	v_mul_f32_e32 v38, v39, v37
	s_delay_alu instid0(VALU_DEP_1) | instskip(NEXT) | instid1(VALU_DEP_1)
	v_fma_f32 v77, -v36, v38, v39
	v_fmac_f32_e32 v38, v77, v37
	s_delay_alu instid0(VALU_DEP_1) | instskip(NEXT) | instid1(VALU_DEP_1)
	v_fma_f32 v36, -v36, v38, v39
	v_div_fmas_f32 v36, v36, v37, v38
	s_delay_alu instid0(VALU_DEP_1) | instskip(NEXT) | instid1(VALU_DEP_1)
	v_div_fixup_f32 v37, v36, v34, v35
	v_fmac_f32_e32 v34, v35, v37
	s_delay_alu instid0(VALU_DEP_1) | instskip(NEXT) | instid1(VALU_DEP_1)
	v_div_scale_f32 v35, null, v34, v34, 1.0
	v_rcp_f32_e32 v36, v35
	v_nop
	s_delay_alu instid0(TRANS32_DEP_1) | instskip(NEXT) | instid1(VALU_DEP_1)
	v_fma_f32 v38, -v35, v36, 1.0
	v_fmac_f32_e32 v36, v38, v36
	v_div_scale_f32 v38, vcc_lo, 1.0, v34, 1.0
	s_delay_alu instid0(VALU_DEP_1) | instskip(NEXT) | instid1(VALU_DEP_1)
	v_mul_f32_e32 v39, v38, v36
	v_fma_f32 v77, -v35, v39, v38
	s_delay_alu instid0(VALU_DEP_1) | instskip(NEXT) | instid1(VALU_DEP_1)
	v_fmac_f32_e32 v39, v77, v36
	v_fma_f32 v35, -v35, v39, v38
	s_delay_alu instid0(VALU_DEP_1) | instskip(NEXT) | instid1(VALU_DEP_1)
	v_div_fmas_f32 v35, v35, v36, v39
	v_div_fixup_f32 v36, v35, v34, 1.0
	s_delay_alu instid0(VALU_DEP_1)
	v_mul_f32_e64 v37, v37, -v36
.LBB160_54:                             ;   in Loop: Header=BB160_3 Depth=1
	s_or_b32 exec_lo, exec_lo, s11
	ds_store_b64 v65, v[36:37]
.LBB160_55:                             ;   in Loop: Header=BB160_3 Depth=1
	s_or_b32 exec_lo, exec_lo, s70
.LBB160_56:                             ;   in Loop: Header=BB160_3 Depth=1
	s_and_not1_saveexec_b32 s0, s1
	s_cbranch_execz .LBB160_58
; %bb.57:                               ;   in Loop: Header=BB160_3 Depth=1
	v_lshl_add_u64 v[34:35], v[14:15], 3, v[30:31]
	flat_load_b64 v[34:35], v[34:35]
	s_wait_loadcnt_dscnt 0x0
	v_pk_add_f32 v[34:35], v[34:35], 0 neg_lo:[1,1] neg_hi:[1,1]
	ds_store_b64 v65, v[34:35]
.LBB160_58:                             ;   in Loop: Header=BB160_3 Depth=1
	s_or_b32 exec_lo, exec_lo, s0
	v_readlane_b32 s1, v88, 18
	s_and_saveexec_b32 s0, s1
	s_delay_alu instid0(SALU_CYCLE_1)
	s_xor_b32 s1, exec_lo, s0
	s_cbranch_execz .LBB160_70
; %bb.59:                               ;   in Loop: Header=BB160_3 Depth=1
	v_readlane_b32 s8, v88, 26
	s_and_saveexec_b32 s0, s8
	s_delay_alu instid0(SALU_CYCLE_1)
	s_xor_b32 s0, exec_lo, s0
	s_cbranch_execz .LBB160_63
; %bb.60:                               ;   in Loop: Header=BB160_3 Depth=1
	v_readlane_b32 s8, v87, 19
	s_and_saveexec_b32 s11, s8
; %bb.61:                               ;   in Loop: Header=BB160_3 Depth=1
	ds_store_b64 v73, v[28:29]
; %bb.62:                               ;   in Loop: Header=BB160_3 Depth=1
	s_or_b32 exec_lo, exec_lo, s11
.LBB160_63:                             ;   in Loop: Header=BB160_3 Depth=1
	s_and_not1_saveexec_b32 s70, s0
	s_cbranch_execz .LBB160_69
; %bb.64:                               ;   in Loop: Header=BB160_3 Depth=1
	v_lshl_add_u64 v[34:35], v[16:17], 3, v[30:31]
	s_mov_b32 s11, exec_lo
                                        ; implicit-def: $vgpr36_vgpr37
	flat_load_b64 v[34:35], v[34:35]
	s_wait_loadcnt_dscnt 0x0
	v_cmpx_ngt_f32_e64 |v34|, |v35|
	s_xor_b32 s11, exec_lo, s11
	s_cbranch_execz .LBB160_66
; %bb.65:                               ;   in Loop: Header=BB160_3 Depth=1
	v_div_scale_f32 v36, null, v35, v35, v34
	v_div_scale_f32 v39, vcc_lo, v34, v35, v34
	s_delay_alu instid0(VALU_DEP_2) | instskip(SKIP_1) | instid1(TRANS32_DEP_1)
	v_rcp_f32_e32 v37, v36
	v_nop
	v_fma_f32 v38, -v36, v37, 1.0
	s_delay_alu instid0(VALU_DEP_1) | instskip(NEXT) | instid1(VALU_DEP_1)
	v_fmac_f32_e32 v37, v38, v37
	v_mul_f32_e32 v38, v39, v37
	s_delay_alu instid0(VALU_DEP_1) | instskip(NEXT) | instid1(VALU_DEP_1)
	v_fma_f32 v77, -v36, v38, v39
	v_fmac_f32_e32 v38, v77, v37
	s_delay_alu instid0(VALU_DEP_1) | instskip(NEXT) | instid1(VALU_DEP_1)
	v_fma_f32 v36, -v36, v38, v39
	v_div_fmas_f32 v36, v36, v37, v38
	s_delay_alu instid0(VALU_DEP_1) | instskip(NEXT) | instid1(VALU_DEP_1)
	v_div_fixup_f32 v36, v36, v35, v34
	v_fmac_f32_e32 v35, v34, v36
	s_delay_alu instid0(VALU_DEP_1) | instskip(SKIP_1) | instid1(VALU_DEP_2)
	v_div_scale_f32 v34, null, v35, v35, 1.0
	v_div_scale_f32 v39, vcc_lo, 1.0, v35, 1.0
	v_rcp_f32_e32 v37, v34
	v_nop
	s_delay_alu instid0(TRANS32_DEP_1) | instskip(NEXT) | instid1(VALU_DEP_1)
	v_fma_f32 v38, -v34, v37, 1.0
	v_fmac_f32_e32 v37, v38, v37
	s_delay_alu instid0(VALU_DEP_1) | instskip(NEXT) | instid1(VALU_DEP_1)
	v_mul_f32_e32 v38, v39, v37
	v_fma_f32 v77, -v34, v38, v39
	s_delay_alu instid0(VALU_DEP_1) | instskip(NEXT) | instid1(VALU_DEP_1)
	v_fmac_f32_e32 v38, v77, v37
	v_fma_f32 v34, -v34, v38, v39
	s_delay_alu instid0(VALU_DEP_1) | instskip(NEXT) | instid1(VALU_DEP_1)
	v_div_fmas_f32 v34, v34, v37, v38
	v_div_fixup_f32 v34, v34, v35, 1.0
	s_delay_alu instid0(VALU_DEP_1)
	v_mul_f32_e32 v36, v36, v34
	v_xor_b32_e32 v37, 0x80000000, v34
                                        ; implicit-def: $vgpr34_vgpr35
.LBB160_66:                             ;   in Loop: Header=BB160_3 Depth=1
	s_and_not1_saveexec_b32 s11, s11
	s_cbranch_execz .LBB160_68
; %bb.67:                               ;   in Loop: Header=BB160_3 Depth=1
	v_div_scale_f32 v36, null, v34, v34, v35
	v_div_scale_f32 v39, vcc_lo, v35, v34, v35
	s_delay_alu instid0(VALU_DEP_2) | instskip(SKIP_1) | instid1(TRANS32_DEP_1)
	v_rcp_f32_e32 v37, v36
	v_nop
	v_fma_f32 v38, -v36, v37, 1.0
	s_delay_alu instid0(VALU_DEP_1) | instskip(NEXT) | instid1(VALU_DEP_1)
	v_fmac_f32_e32 v37, v38, v37
	v_mul_f32_e32 v38, v39, v37
	s_delay_alu instid0(VALU_DEP_1) | instskip(NEXT) | instid1(VALU_DEP_1)
	v_fma_f32 v77, -v36, v38, v39
	v_fmac_f32_e32 v38, v77, v37
	s_delay_alu instid0(VALU_DEP_1) | instskip(NEXT) | instid1(VALU_DEP_1)
	v_fma_f32 v36, -v36, v38, v39
	v_div_fmas_f32 v36, v36, v37, v38
	s_delay_alu instid0(VALU_DEP_1) | instskip(NEXT) | instid1(VALU_DEP_1)
	v_div_fixup_f32 v37, v36, v34, v35
	v_fmac_f32_e32 v34, v35, v37
	s_delay_alu instid0(VALU_DEP_1) | instskip(NEXT) | instid1(VALU_DEP_1)
	v_div_scale_f32 v35, null, v34, v34, 1.0
	v_rcp_f32_e32 v36, v35
	v_nop
	s_delay_alu instid0(TRANS32_DEP_1) | instskip(NEXT) | instid1(VALU_DEP_1)
	v_fma_f32 v38, -v35, v36, 1.0
	v_fmac_f32_e32 v36, v38, v36
	v_div_scale_f32 v38, vcc_lo, 1.0, v34, 1.0
	s_delay_alu instid0(VALU_DEP_1) | instskip(NEXT) | instid1(VALU_DEP_1)
	v_mul_f32_e32 v39, v38, v36
	v_fma_f32 v77, -v35, v39, v38
	s_delay_alu instid0(VALU_DEP_1) | instskip(NEXT) | instid1(VALU_DEP_1)
	v_fmac_f32_e32 v39, v77, v36
	v_fma_f32 v35, -v35, v39, v38
	s_delay_alu instid0(VALU_DEP_1) | instskip(NEXT) | instid1(VALU_DEP_1)
	v_div_fmas_f32 v35, v35, v36, v39
	v_div_fixup_f32 v36, v35, v34, 1.0
	s_delay_alu instid0(VALU_DEP_1)
	v_mul_f32_e64 v37, v37, -v36
.LBB160_68:                             ;   in Loop: Header=BB160_3 Depth=1
	s_or_b32 exec_lo, exec_lo, s11
	ds_store_b64 v73, v[36:37]
.LBB160_69:                             ;   in Loop: Header=BB160_3 Depth=1
	s_or_b32 exec_lo, exec_lo, s70
.LBB160_70:                             ;   in Loop: Header=BB160_3 Depth=1
	s_and_not1_saveexec_b32 s0, s1
	s_cbranch_execz .LBB160_72
; %bb.71:                               ;   in Loop: Header=BB160_3 Depth=1
	v_lshl_add_u64 v[34:35], v[16:17], 3, v[30:31]
	flat_load_b64 v[34:35], v[34:35]
	s_wait_loadcnt_dscnt 0x0
	v_pk_add_f32 v[34:35], v[34:35], 0 neg_lo:[1,1] neg_hi:[1,1]
	ds_store_b64 v73, v[34:35]
.LBB160_72:                             ;   in Loop: Header=BB160_3 Depth=1
	s_or_b32 exec_lo, exec_lo, s0
	s_mov_b32 s0, 0
.LBB160_73:                             ;   in Loop: Header=BB160_3 Depth=1
	s_delay_alu instid0(SALU_CYCLE_1)
	s_and_b32 vcc_lo, exec_lo, s0
	s_cbranch_vccz .LBB160_131
; %bb.74:                               ;   in Loop: Header=BB160_3 Depth=1
	v_readlane_b32 s1, v88, 13
	s_wait_xcnt 0x0
	s_and_saveexec_b32 s0, s1
	s_delay_alu instid0(SALU_CYCLE_1)
	s_xor_b32 s1, exec_lo, s0
	s_cbranch_execz .LBB160_86
; %bb.75:                               ;   in Loop: Header=BB160_3 Depth=1
	v_readlane_b32 s8, v88, 21
	s_and_saveexec_b32 s0, s8
	s_delay_alu instid0(SALU_CYCLE_1)
	s_xor_b32 s0, exec_lo, s0
	s_cbranch_execz .LBB160_79
; %bb.76:                               ;   in Loop: Header=BB160_3 Depth=1
	v_readlane_b32 s8, v87, 16
	s_and_saveexec_b32 s11, s8
; %bb.77:                               ;   in Loop: Header=BB160_3 Depth=1
	ds_store_b64 v71, v[28:29]
; %bb.78:                               ;   in Loop: Header=BB160_3 Depth=1
	s_or_b32 exec_lo, exec_lo, s11
.LBB160_79:                             ;   in Loop: Header=BB160_3 Depth=1
	s_and_not1_saveexec_b32 s70, s0
	s_cbranch_execz .LBB160_85
; %bb.80:                               ;   in Loop: Header=BB160_3 Depth=1
	v_lshl_add_u64 v[34:35], v[10:11], 3, v[30:31]
	s_mov_b32 s11, exec_lo
                                        ; implicit-def: $vgpr36_vgpr37
	flat_load_b64 v[34:35], v[34:35]
	s_wait_loadcnt_dscnt 0x0
	v_cmpx_ngt_f32_e64 |v34|, |v35|
	s_xor_b32 s11, exec_lo, s11
	s_cbranch_execz .LBB160_82
; %bb.81:                               ;   in Loop: Header=BB160_3 Depth=1
	v_div_scale_f32 v36, null, v35, v35, v34
	v_div_scale_f32 v39, vcc_lo, v34, v35, v34
	s_delay_alu instid0(VALU_DEP_2) | instskip(SKIP_1) | instid1(TRANS32_DEP_1)
	v_rcp_f32_e32 v37, v36
	v_nop
	v_fma_f32 v38, -v36, v37, 1.0
	s_delay_alu instid0(VALU_DEP_1) | instskip(NEXT) | instid1(VALU_DEP_1)
	v_fmac_f32_e32 v37, v38, v37
	v_mul_f32_e32 v38, v39, v37
	s_delay_alu instid0(VALU_DEP_1) | instskip(NEXT) | instid1(VALU_DEP_1)
	v_fma_f32 v77, -v36, v38, v39
	v_fmac_f32_e32 v38, v77, v37
	s_delay_alu instid0(VALU_DEP_1) | instskip(NEXT) | instid1(VALU_DEP_1)
	v_fma_f32 v36, -v36, v38, v39
	v_div_fmas_f32 v36, v36, v37, v38
	s_delay_alu instid0(VALU_DEP_1) | instskip(NEXT) | instid1(VALU_DEP_1)
	v_div_fixup_f32 v36, v36, v35, v34
	v_fmac_f32_e32 v35, v34, v36
	s_delay_alu instid0(VALU_DEP_1) | instskip(SKIP_1) | instid1(VALU_DEP_2)
	v_div_scale_f32 v34, null, v35, v35, 1.0
	v_div_scale_f32 v39, vcc_lo, 1.0, v35, 1.0
	v_rcp_f32_e32 v37, v34
	v_nop
	s_delay_alu instid0(TRANS32_DEP_1) | instskip(NEXT) | instid1(VALU_DEP_1)
	v_fma_f32 v38, -v34, v37, 1.0
	v_fmac_f32_e32 v37, v38, v37
	s_delay_alu instid0(VALU_DEP_1) | instskip(NEXT) | instid1(VALU_DEP_1)
	v_mul_f32_e32 v38, v39, v37
	v_fma_f32 v77, -v34, v38, v39
	s_delay_alu instid0(VALU_DEP_1) | instskip(NEXT) | instid1(VALU_DEP_1)
	v_fmac_f32_e32 v38, v77, v37
	v_fma_f32 v34, -v34, v38, v39
	s_delay_alu instid0(VALU_DEP_1) | instskip(NEXT) | instid1(VALU_DEP_1)
	v_div_fmas_f32 v34, v34, v37, v38
	v_div_fixup_f32 v34, v34, v35, 1.0
	s_delay_alu instid0(VALU_DEP_1)
	v_mul_f32_e32 v36, v36, v34
	v_xor_b32_e32 v37, 0x80000000, v34
                                        ; implicit-def: $vgpr34_vgpr35
.LBB160_82:                             ;   in Loop: Header=BB160_3 Depth=1
	s_and_not1_saveexec_b32 s11, s11
	s_cbranch_execz .LBB160_84
; %bb.83:                               ;   in Loop: Header=BB160_3 Depth=1
	v_div_scale_f32 v36, null, v34, v34, v35
	v_div_scale_f32 v39, vcc_lo, v35, v34, v35
	s_delay_alu instid0(VALU_DEP_2) | instskip(SKIP_1) | instid1(TRANS32_DEP_1)
	v_rcp_f32_e32 v37, v36
	v_nop
	v_fma_f32 v38, -v36, v37, 1.0
	s_delay_alu instid0(VALU_DEP_1) | instskip(NEXT) | instid1(VALU_DEP_1)
	v_fmac_f32_e32 v37, v38, v37
	v_mul_f32_e32 v38, v39, v37
	s_delay_alu instid0(VALU_DEP_1) | instskip(NEXT) | instid1(VALU_DEP_1)
	v_fma_f32 v77, -v36, v38, v39
	v_fmac_f32_e32 v38, v77, v37
	s_delay_alu instid0(VALU_DEP_1) | instskip(NEXT) | instid1(VALU_DEP_1)
	v_fma_f32 v36, -v36, v38, v39
	v_div_fmas_f32 v36, v36, v37, v38
	s_delay_alu instid0(VALU_DEP_1) | instskip(NEXT) | instid1(VALU_DEP_1)
	v_div_fixup_f32 v37, v36, v34, v35
	v_fmac_f32_e32 v34, v35, v37
	s_delay_alu instid0(VALU_DEP_1) | instskip(NEXT) | instid1(VALU_DEP_1)
	v_div_scale_f32 v35, null, v34, v34, 1.0
	v_rcp_f32_e32 v36, v35
	v_nop
	s_delay_alu instid0(TRANS32_DEP_1) | instskip(NEXT) | instid1(VALU_DEP_1)
	v_fma_f32 v38, -v35, v36, 1.0
	v_fmac_f32_e32 v36, v38, v36
	v_div_scale_f32 v38, vcc_lo, 1.0, v34, 1.0
	s_delay_alu instid0(VALU_DEP_1) | instskip(NEXT) | instid1(VALU_DEP_1)
	v_mul_f32_e32 v39, v38, v36
	v_fma_f32 v77, -v35, v39, v38
	s_delay_alu instid0(VALU_DEP_1) | instskip(NEXT) | instid1(VALU_DEP_1)
	v_fmac_f32_e32 v39, v77, v36
	v_fma_f32 v35, -v35, v39, v38
	s_delay_alu instid0(VALU_DEP_1) | instskip(NEXT) | instid1(VALU_DEP_1)
	v_div_fmas_f32 v35, v35, v36, v39
	v_div_fixup_f32 v36, v35, v34, 1.0
	s_delay_alu instid0(VALU_DEP_1)
	v_mul_f32_e64 v37, v37, -v36
.LBB160_84:                             ;   in Loop: Header=BB160_3 Depth=1
	s_or_b32 exec_lo, exec_lo, s11
	ds_store_b64 v71, v[36:37]
.LBB160_85:                             ;   in Loop: Header=BB160_3 Depth=1
	s_or_b32 exec_lo, exec_lo, s70
.LBB160_86:                             ;   in Loop: Header=BB160_3 Depth=1
	s_and_not1_saveexec_b32 s0, s1
	s_cbranch_execz .LBB160_88
; %bb.87:                               ;   in Loop: Header=BB160_3 Depth=1
	v_lshl_add_u64 v[34:35], v[10:11], 3, v[30:31]
	flat_load_b64 v[34:35], v[34:35]
	s_wait_loadcnt_dscnt 0x0
	v_pk_add_f32 v[34:35], v[34:35], 0 neg_lo:[1,1] neg_hi:[1,1]
	ds_store_b64 v71, v[34:35]
.LBB160_88:                             ;   in Loop: Header=BB160_3 Depth=1
	s_or_b32 exec_lo, exec_lo, s0
	v_readlane_b32 s1, v88, 15
	s_and_saveexec_b32 s0, s1
	s_delay_alu instid0(SALU_CYCLE_1)
	s_xor_b32 s1, exec_lo, s0
	s_cbranch_execz .LBB160_100
; %bb.89:                               ;   in Loop: Header=BB160_3 Depth=1
	v_readlane_b32 s8, v88, 23
	s_and_saveexec_b32 s0, s8
	s_delay_alu instid0(SALU_CYCLE_1)
	s_xor_b32 s0, exec_lo, s0
	s_cbranch_execz .LBB160_93
; %bb.90:                               ;   in Loop: Header=BB160_3 Depth=1
	v_readlane_b32 s8, v87, 17
	s_and_saveexec_b32 s11, s8
; %bb.91:                               ;   in Loop: Header=BB160_3 Depth=1
	ds_store_b64 v64, v[28:29]
; %bb.92:                               ;   in Loop: Header=BB160_3 Depth=1
	s_or_b32 exec_lo, exec_lo, s11
.LBB160_93:                             ;   in Loop: Header=BB160_3 Depth=1
	s_and_not1_saveexec_b32 s70, s0
	s_cbranch_execz .LBB160_99
; %bb.94:                               ;   in Loop: Header=BB160_3 Depth=1
	v_lshl_add_u64 v[34:35], v[12:13], 3, v[30:31]
	s_mov_b32 s11, exec_lo
                                        ; implicit-def: $vgpr36_vgpr37
	flat_load_b64 v[34:35], v[34:35]
	s_wait_loadcnt_dscnt 0x0
	v_cmpx_ngt_f32_e64 |v34|, |v35|
	s_xor_b32 s11, exec_lo, s11
	s_cbranch_execz .LBB160_96
; %bb.95:                               ;   in Loop: Header=BB160_3 Depth=1
	v_div_scale_f32 v36, null, v35, v35, v34
	v_div_scale_f32 v39, vcc_lo, v34, v35, v34
	s_delay_alu instid0(VALU_DEP_2) | instskip(SKIP_1) | instid1(TRANS32_DEP_1)
	v_rcp_f32_e32 v37, v36
	v_nop
	v_fma_f32 v38, -v36, v37, 1.0
	s_delay_alu instid0(VALU_DEP_1) | instskip(NEXT) | instid1(VALU_DEP_1)
	v_fmac_f32_e32 v37, v38, v37
	v_mul_f32_e32 v38, v39, v37
	s_delay_alu instid0(VALU_DEP_1) | instskip(NEXT) | instid1(VALU_DEP_1)
	v_fma_f32 v77, -v36, v38, v39
	v_fmac_f32_e32 v38, v77, v37
	s_delay_alu instid0(VALU_DEP_1) | instskip(NEXT) | instid1(VALU_DEP_1)
	v_fma_f32 v36, -v36, v38, v39
	v_div_fmas_f32 v36, v36, v37, v38
	s_delay_alu instid0(VALU_DEP_1) | instskip(NEXT) | instid1(VALU_DEP_1)
	v_div_fixup_f32 v36, v36, v35, v34
	v_fmac_f32_e32 v35, v34, v36
	s_delay_alu instid0(VALU_DEP_1) | instskip(SKIP_1) | instid1(VALU_DEP_2)
	v_div_scale_f32 v34, null, v35, v35, 1.0
	v_div_scale_f32 v39, vcc_lo, 1.0, v35, 1.0
	v_rcp_f32_e32 v37, v34
	v_nop
	s_delay_alu instid0(TRANS32_DEP_1) | instskip(NEXT) | instid1(VALU_DEP_1)
	v_fma_f32 v38, -v34, v37, 1.0
	v_fmac_f32_e32 v37, v38, v37
	s_delay_alu instid0(VALU_DEP_1) | instskip(NEXT) | instid1(VALU_DEP_1)
	v_mul_f32_e32 v38, v39, v37
	v_fma_f32 v77, -v34, v38, v39
	s_delay_alu instid0(VALU_DEP_1) | instskip(NEXT) | instid1(VALU_DEP_1)
	v_fmac_f32_e32 v38, v77, v37
	v_fma_f32 v34, -v34, v38, v39
	s_delay_alu instid0(VALU_DEP_1) | instskip(NEXT) | instid1(VALU_DEP_1)
	v_div_fmas_f32 v34, v34, v37, v38
	v_div_fixup_f32 v34, v34, v35, 1.0
	s_delay_alu instid0(VALU_DEP_1)
	v_mul_f32_e32 v36, v36, v34
	v_xor_b32_e32 v37, 0x80000000, v34
                                        ; implicit-def: $vgpr34_vgpr35
.LBB160_96:                             ;   in Loop: Header=BB160_3 Depth=1
	s_and_not1_saveexec_b32 s11, s11
	s_cbranch_execz .LBB160_98
; %bb.97:                               ;   in Loop: Header=BB160_3 Depth=1
	v_div_scale_f32 v36, null, v34, v34, v35
	v_div_scale_f32 v39, vcc_lo, v35, v34, v35
	s_delay_alu instid0(VALU_DEP_2) | instskip(SKIP_1) | instid1(TRANS32_DEP_1)
	v_rcp_f32_e32 v37, v36
	v_nop
	v_fma_f32 v38, -v36, v37, 1.0
	s_delay_alu instid0(VALU_DEP_1) | instskip(NEXT) | instid1(VALU_DEP_1)
	v_fmac_f32_e32 v37, v38, v37
	v_mul_f32_e32 v38, v39, v37
	s_delay_alu instid0(VALU_DEP_1) | instskip(NEXT) | instid1(VALU_DEP_1)
	v_fma_f32 v77, -v36, v38, v39
	v_fmac_f32_e32 v38, v77, v37
	s_delay_alu instid0(VALU_DEP_1) | instskip(NEXT) | instid1(VALU_DEP_1)
	v_fma_f32 v36, -v36, v38, v39
	v_div_fmas_f32 v36, v36, v37, v38
	s_delay_alu instid0(VALU_DEP_1) | instskip(NEXT) | instid1(VALU_DEP_1)
	v_div_fixup_f32 v37, v36, v34, v35
	v_fmac_f32_e32 v34, v35, v37
	s_delay_alu instid0(VALU_DEP_1) | instskip(NEXT) | instid1(VALU_DEP_1)
	v_div_scale_f32 v35, null, v34, v34, 1.0
	v_rcp_f32_e32 v36, v35
	v_nop
	s_delay_alu instid0(TRANS32_DEP_1) | instskip(NEXT) | instid1(VALU_DEP_1)
	v_fma_f32 v38, -v35, v36, 1.0
	v_fmac_f32_e32 v36, v38, v36
	v_div_scale_f32 v38, vcc_lo, 1.0, v34, 1.0
	s_delay_alu instid0(VALU_DEP_1) | instskip(NEXT) | instid1(VALU_DEP_1)
	v_mul_f32_e32 v39, v38, v36
	v_fma_f32 v77, -v35, v39, v38
	s_delay_alu instid0(VALU_DEP_1) | instskip(NEXT) | instid1(VALU_DEP_1)
	v_fmac_f32_e32 v39, v77, v36
	v_fma_f32 v35, -v35, v39, v38
	s_delay_alu instid0(VALU_DEP_1) | instskip(NEXT) | instid1(VALU_DEP_1)
	v_div_fmas_f32 v35, v35, v36, v39
	v_div_fixup_f32 v36, v35, v34, 1.0
	s_delay_alu instid0(VALU_DEP_1)
	v_mul_f32_e64 v37, v37, -v36
.LBB160_98:                             ;   in Loop: Header=BB160_3 Depth=1
	s_or_b32 exec_lo, exec_lo, s11
	ds_store_b64 v64, v[36:37]
.LBB160_99:                             ;   in Loop: Header=BB160_3 Depth=1
	s_or_b32 exec_lo, exec_lo, s70
.LBB160_100:                            ;   in Loop: Header=BB160_3 Depth=1
	s_and_not1_saveexec_b32 s0, s1
	s_cbranch_execz .LBB160_102
; %bb.101:                              ;   in Loop: Header=BB160_3 Depth=1
	v_lshl_add_u64 v[34:35], v[12:13], 3, v[30:31]
	flat_load_b64 v[34:35], v[34:35]
	s_wait_loadcnt_dscnt 0x0
	v_pk_add_f32 v[34:35], v[34:35], 0 neg_lo:[1,1] neg_hi:[1,1]
	ds_store_b64 v64, v[34:35]
.LBB160_102:                            ;   in Loop: Header=BB160_3 Depth=1
	s_or_b32 exec_lo, exec_lo, s0
	v_readlane_b32 s1, v88, 17
	s_and_saveexec_b32 s0, s1
	s_delay_alu instid0(SALU_CYCLE_1)
	s_xor_b32 s1, exec_lo, s0
	s_cbranch_execz .LBB160_114
; %bb.103:                              ;   in Loop: Header=BB160_3 Depth=1
	v_readlane_b32 s8, v88, 25
	s_and_saveexec_b32 s0, s8
	s_delay_alu instid0(SALU_CYCLE_1)
	s_xor_b32 s0, exec_lo, s0
	s_cbranch_execz .LBB160_107
; %bb.104:                              ;   in Loop: Header=BB160_3 Depth=1
	v_readlane_b32 s8, v87, 18
	s_and_saveexec_b32 s11, s8
; %bb.105:                              ;   in Loop: Header=BB160_3 Depth=1
	ds_store_b64 v65, v[28:29]
; %bb.106:                              ;   in Loop: Header=BB160_3 Depth=1
	s_or_b32 exec_lo, exec_lo, s11
.LBB160_107:                            ;   in Loop: Header=BB160_3 Depth=1
	s_and_not1_saveexec_b32 s70, s0
	s_cbranch_execz .LBB160_113
; %bb.108:                              ;   in Loop: Header=BB160_3 Depth=1
	v_lshl_add_u64 v[34:35], v[14:15], 3, v[30:31]
	s_mov_b32 s11, exec_lo
                                        ; implicit-def: $vgpr36_vgpr37
	flat_load_b64 v[34:35], v[34:35]
	s_wait_loadcnt_dscnt 0x0
	v_cmpx_ngt_f32_e64 |v34|, |v35|
	s_xor_b32 s11, exec_lo, s11
	s_cbranch_execz .LBB160_110
; %bb.109:                              ;   in Loop: Header=BB160_3 Depth=1
	v_div_scale_f32 v36, null, v35, v35, v34
	v_div_scale_f32 v39, vcc_lo, v34, v35, v34
	s_delay_alu instid0(VALU_DEP_2) | instskip(SKIP_1) | instid1(TRANS32_DEP_1)
	v_rcp_f32_e32 v37, v36
	v_nop
	v_fma_f32 v38, -v36, v37, 1.0
	s_delay_alu instid0(VALU_DEP_1) | instskip(NEXT) | instid1(VALU_DEP_1)
	v_fmac_f32_e32 v37, v38, v37
	v_mul_f32_e32 v38, v39, v37
	s_delay_alu instid0(VALU_DEP_1) | instskip(NEXT) | instid1(VALU_DEP_1)
	v_fma_f32 v77, -v36, v38, v39
	v_fmac_f32_e32 v38, v77, v37
	s_delay_alu instid0(VALU_DEP_1) | instskip(NEXT) | instid1(VALU_DEP_1)
	v_fma_f32 v36, -v36, v38, v39
	v_div_fmas_f32 v36, v36, v37, v38
	s_delay_alu instid0(VALU_DEP_1) | instskip(NEXT) | instid1(VALU_DEP_1)
	v_div_fixup_f32 v36, v36, v35, v34
	v_fmac_f32_e32 v35, v34, v36
	s_delay_alu instid0(VALU_DEP_1) | instskip(SKIP_1) | instid1(VALU_DEP_2)
	v_div_scale_f32 v34, null, v35, v35, 1.0
	v_div_scale_f32 v39, vcc_lo, 1.0, v35, 1.0
	v_rcp_f32_e32 v37, v34
	v_nop
	s_delay_alu instid0(TRANS32_DEP_1) | instskip(NEXT) | instid1(VALU_DEP_1)
	v_fma_f32 v38, -v34, v37, 1.0
	v_fmac_f32_e32 v37, v38, v37
	s_delay_alu instid0(VALU_DEP_1) | instskip(NEXT) | instid1(VALU_DEP_1)
	v_mul_f32_e32 v38, v39, v37
	v_fma_f32 v77, -v34, v38, v39
	s_delay_alu instid0(VALU_DEP_1) | instskip(NEXT) | instid1(VALU_DEP_1)
	v_fmac_f32_e32 v38, v77, v37
	v_fma_f32 v34, -v34, v38, v39
	s_delay_alu instid0(VALU_DEP_1) | instskip(NEXT) | instid1(VALU_DEP_1)
	v_div_fmas_f32 v34, v34, v37, v38
	v_div_fixup_f32 v34, v34, v35, 1.0
	s_delay_alu instid0(VALU_DEP_1)
	v_mul_f32_e32 v36, v36, v34
	v_xor_b32_e32 v37, 0x80000000, v34
                                        ; implicit-def: $vgpr34_vgpr35
.LBB160_110:                            ;   in Loop: Header=BB160_3 Depth=1
	s_and_not1_saveexec_b32 s11, s11
	s_cbranch_execz .LBB160_112
; %bb.111:                              ;   in Loop: Header=BB160_3 Depth=1
	v_div_scale_f32 v36, null, v34, v34, v35
	v_div_scale_f32 v39, vcc_lo, v35, v34, v35
	s_delay_alu instid0(VALU_DEP_2) | instskip(SKIP_1) | instid1(TRANS32_DEP_1)
	v_rcp_f32_e32 v37, v36
	v_nop
	v_fma_f32 v38, -v36, v37, 1.0
	s_delay_alu instid0(VALU_DEP_1) | instskip(NEXT) | instid1(VALU_DEP_1)
	v_fmac_f32_e32 v37, v38, v37
	v_mul_f32_e32 v38, v39, v37
	s_delay_alu instid0(VALU_DEP_1) | instskip(NEXT) | instid1(VALU_DEP_1)
	v_fma_f32 v77, -v36, v38, v39
	v_fmac_f32_e32 v38, v77, v37
	s_delay_alu instid0(VALU_DEP_1) | instskip(NEXT) | instid1(VALU_DEP_1)
	v_fma_f32 v36, -v36, v38, v39
	v_div_fmas_f32 v36, v36, v37, v38
	s_delay_alu instid0(VALU_DEP_1) | instskip(NEXT) | instid1(VALU_DEP_1)
	v_div_fixup_f32 v37, v36, v34, v35
	v_fmac_f32_e32 v34, v35, v37
	s_delay_alu instid0(VALU_DEP_1) | instskip(NEXT) | instid1(VALU_DEP_1)
	v_div_scale_f32 v35, null, v34, v34, 1.0
	v_rcp_f32_e32 v36, v35
	v_nop
	s_delay_alu instid0(TRANS32_DEP_1) | instskip(NEXT) | instid1(VALU_DEP_1)
	v_fma_f32 v38, -v35, v36, 1.0
	v_fmac_f32_e32 v36, v38, v36
	v_div_scale_f32 v38, vcc_lo, 1.0, v34, 1.0
	s_delay_alu instid0(VALU_DEP_1) | instskip(NEXT) | instid1(VALU_DEP_1)
	v_mul_f32_e32 v39, v38, v36
	v_fma_f32 v77, -v35, v39, v38
	s_delay_alu instid0(VALU_DEP_1) | instskip(NEXT) | instid1(VALU_DEP_1)
	v_fmac_f32_e32 v39, v77, v36
	v_fma_f32 v35, -v35, v39, v38
	s_delay_alu instid0(VALU_DEP_1) | instskip(NEXT) | instid1(VALU_DEP_1)
	v_div_fmas_f32 v35, v35, v36, v39
	v_div_fixup_f32 v36, v35, v34, 1.0
	s_delay_alu instid0(VALU_DEP_1)
	v_mul_f32_e64 v37, v37, -v36
.LBB160_112:                            ;   in Loop: Header=BB160_3 Depth=1
	s_or_b32 exec_lo, exec_lo, s11
	ds_store_b64 v65, v[36:37]
.LBB160_113:                            ;   in Loop: Header=BB160_3 Depth=1
	s_or_b32 exec_lo, exec_lo, s70
.LBB160_114:                            ;   in Loop: Header=BB160_3 Depth=1
	s_and_not1_saveexec_b32 s0, s1
	s_cbranch_execz .LBB160_116
; %bb.115:                              ;   in Loop: Header=BB160_3 Depth=1
	v_lshl_add_u64 v[34:35], v[14:15], 3, v[30:31]
	flat_load_b64 v[34:35], v[34:35]
	s_wait_loadcnt_dscnt 0x0
	v_pk_add_f32 v[34:35], v[34:35], 0 neg_lo:[1,1] neg_hi:[1,1]
	ds_store_b64 v65, v[34:35]
.LBB160_116:                            ;   in Loop: Header=BB160_3 Depth=1
	s_or_b32 exec_lo, exec_lo, s0
	v_readlane_b32 s1, v88, 19
	s_and_saveexec_b32 s0, s1
	s_delay_alu instid0(SALU_CYCLE_1)
	s_xor_b32 s1, exec_lo, s0
	s_cbranch_execz .LBB160_128
; %bb.117:                              ;   in Loop: Header=BB160_3 Depth=1
	v_readlane_b32 s8, v88, 27
	s_and_saveexec_b32 s0, s8
	s_delay_alu instid0(SALU_CYCLE_1)
	s_xor_b32 s0, exec_lo, s0
	s_cbranch_execz .LBB160_121
; %bb.118:                              ;   in Loop: Header=BB160_3 Depth=1
	v_readlane_b32 s8, v87, 19
	s_and_saveexec_b32 s11, s8
; %bb.119:                              ;   in Loop: Header=BB160_3 Depth=1
	ds_store_b64 v73, v[28:29]
; %bb.120:                              ;   in Loop: Header=BB160_3 Depth=1
	s_or_b32 exec_lo, exec_lo, s11
.LBB160_121:                            ;   in Loop: Header=BB160_3 Depth=1
	s_and_not1_saveexec_b32 s70, s0
	s_cbranch_execz .LBB160_127
; %bb.122:                              ;   in Loop: Header=BB160_3 Depth=1
	v_lshl_add_u64 v[34:35], v[16:17], 3, v[30:31]
	s_mov_b32 s11, exec_lo
                                        ; implicit-def: $vgpr36_vgpr37
	flat_load_b64 v[34:35], v[34:35]
	s_wait_loadcnt_dscnt 0x0
	v_cmpx_ngt_f32_e64 |v34|, |v35|
	s_xor_b32 s11, exec_lo, s11
	s_cbranch_execz .LBB160_124
; %bb.123:                              ;   in Loop: Header=BB160_3 Depth=1
	v_div_scale_f32 v36, null, v35, v35, v34
	v_div_scale_f32 v39, vcc_lo, v34, v35, v34
	s_delay_alu instid0(VALU_DEP_2) | instskip(SKIP_1) | instid1(TRANS32_DEP_1)
	v_rcp_f32_e32 v37, v36
	v_nop
	v_fma_f32 v38, -v36, v37, 1.0
	s_delay_alu instid0(VALU_DEP_1) | instskip(NEXT) | instid1(VALU_DEP_1)
	v_fmac_f32_e32 v37, v38, v37
	v_mul_f32_e32 v38, v39, v37
	s_delay_alu instid0(VALU_DEP_1) | instskip(NEXT) | instid1(VALU_DEP_1)
	v_fma_f32 v77, -v36, v38, v39
	v_fmac_f32_e32 v38, v77, v37
	s_delay_alu instid0(VALU_DEP_1) | instskip(NEXT) | instid1(VALU_DEP_1)
	v_fma_f32 v36, -v36, v38, v39
	v_div_fmas_f32 v36, v36, v37, v38
	s_delay_alu instid0(VALU_DEP_1) | instskip(NEXT) | instid1(VALU_DEP_1)
	v_div_fixup_f32 v36, v36, v35, v34
	v_fmac_f32_e32 v35, v34, v36
	s_delay_alu instid0(VALU_DEP_1) | instskip(SKIP_1) | instid1(VALU_DEP_2)
	v_div_scale_f32 v34, null, v35, v35, 1.0
	v_div_scale_f32 v39, vcc_lo, 1.0, v35, 1.0
	v_rcp_f32_e32 v37, v34
	v_nop
	s_delay_alu instid0(TRANS32_DEP_1) | instskip(NEXT) | instid1(VALU_DEP_1)
	v_fma_f32 v38, -v34, v37, 1.0
	v_fmac_f32_e32 v37, v38, v37
	s_delay_alu instid0(VALU_DEP_1) | instskip(NEXT) | instid1(VALU_DEP_1)
	v_mul_f32_e32 v38, v39, v37
	v_fma_f32 v77, -v34, v38, v39
	s_delay_alu instid0(VALU_DEP_1) | instskip(NEXT) | instid1(VALU_DEP_1)
	v_fmac_f32_e32 v38, v77, v37
	v_fma_f32 v34, -v34, v38, v39
	s_delay_alu instid0(VALU_DEP_1) | instskip(NEXT) | instid1(VALU_DEP_1)
	v_div_fmas_f32 v34, v34, v37, v38
	v_div_fixup_f32 v34, v34, v35, 1.0
	s_delay_alu instid0(VALU_DEP_1)
	v_mul_f32_e32 v36, v36, v34
	v_xor_b32_e32 v37, 0x80000000, v34
                                        ; implicit-def: $vgpr34_vgpr35
.LBB160_124:                            ;   in Loop: Header=BB160_3 Depth=1
	s_and_not1_saveexec_b32 s11, s11
	s_cbranch_execz .LBB160_126
; %bb.125:                              ;   in Loop: Header=BB160_3 Depth=1
	v_div_scale_f32 v36, null, v34, v34, v35
	v_div_scale_f32 v39, vcc_lo, v35, v34, v35
	s_delay_alu instid0(VALU_DEP_2) | instskip(SKIP_1) | instid1(TRANS32_DEP_1)
	v_rcp_f32_e32 v37, v36
	v_nop
	v_fma_f32 v38, -v36, v37, 1.0
	s_delay_alu instid0(VALU_DEP_1) | instskip(NEXT) | instid1(VALU_DEP_1)
	v_fmac_f32_e32 v37, v38, v37
	v_mul_f32_e32 v38, v39, v37
	s_delay_alu instid0(VALU_DEP_1) | instskip(NEXT) | instid1(VALU_DEP_1)
	v_fma_f32 v77, -v36, v38, v39
	v_fmac_f32_e32 v38, v77, v37
	s_delay_alu instid0(VALU_DEP_1) | instskip(NEXT) | instid1(VALU_DEP_1)
	v_fma_f32 v36, -v36, v38, v39
	v_div_fmas_f32 v36, v36, v37, v38
	s_delay_alu instid0(VALU_DEP_1) | instskip(NEXT) | instid1(VALU_DEP_1)
	v_div_fixup_f32 v37, v36, v34, v35
	v_fmac_f32_e32 v34, v35, v37
	s_delay_alu instid0(VALU_DEP_1) | instskip(NEXT) | instid1(VALU_DEP_1)
	v_div_scale_f32 v35, null, v34, v34, 1.0
	v_rcp_f32_e32 v36, v35
	v_nop
	s_delay_alu instid0(TRANS32_DEP_1) | instskip(NEXT) | instid1(VALU_DEP_1)
	v_fma_f32 v38, -v35, v36, 1.0
	v_fmac_f32_e32 v36, v38, v36
	v_div_scale_f32 v38, vcc_lo, 1.0, v34, 1.0
	s_delay_alu instid0(VALU_DEP_1) | instskip(NEXT) | instid1(VALU_DEP_1)
	v_mul_f32_e32 v39, v38, v36
	v_fma_f32 v77, -v35, v39, v38
	s_delay_alu instid0(VALU_DEP_1) | instskip(NEXT) | instid1(VALU_DEP_1)
	v_fmac_f32_e32 v39, v77, v36
	v_fma_f32 v35, -v35, v39, v38
	s_delay_alu instid0(VALU_DEP_1) | instskip(NEXT) | instid1(VALU_DEP_1)
	v_div_fmas_f32 v35, v35, v36, v39
	v_div_fixup_f32 v36, v35, v34, 1.0
	s_delay_alu instid0(VALU_DEP_1)
	v_mul_f32_e64 v37, v37, -v36
.LBB160_126:                            ;   in Loop: Header=BB160_3 Depth=1
	s_or_b32 exec_lo, exec_lo, s11
	ds_store_b64 v73, v[36:37]
.LBB160_127:                            ;   in Loop: Header=BB160_3 Depth=1
	s_or_b32 exec_lo, exec_lo, s70
.LBB160_128:                            ;   in Loop: Header=BB160_3 Depth=1
	s_and_not1_saveexec_b32 s0, s1
	s_cbranch_execz .LBB160_130
; %bb.129:                              ;   in Loop: Header=BB160_3 Depth=1
	v_lshl_add_u64 v[34:35], v[16:17], 3, v[30:31]
	flat_load_b64 v[34:35], v[34:35]
	s_wait_loadcnt_dscnt 0x0
	v_pk_add_f32 v[34:35], v[34:35], 0 neg_lo:[1,1] neg_hi:[1,1]
	ds_store_b64 v73, v[34:35]
.LBB160_130:                            ;   in Loop: Header=BB160_3 Depth=1
	s_or_b32 exec_lo, exec_lo, s0
.LBB160_131:                            ;   in Loop: Header=BB160_3 Depth=1
	s_delay_alu instid0(SALU_CYCLE_1)
	s_and_not1_b32 vcc_lo, exec_lo, s43
	s_wait_storecnt 0x0
	s_wait_loadcnt_dscnt 0x0
	s_barrier_signal -1
	s_barrier_wait -1
	s_cbranch_vccnz .LBB160_991
; %bb.132:                              ;   in Loop: Header=BB160_3 Depth=1
	s_and_saveexec_b32 s0, s14
	s_cbranch_execz .LBB160_134
; %bb.133:                              ;   in Loop: Header=BB160_3 Depth=1
	v_add_nc_u32_e64 v34, 0x1f0, 0
	ds_load_b64 v[38:39], v5 offset:32760
	ds_load_2addr_stride64_b64 v[34:37], v34 offset0:62 offset1:63
	s_wait_dscnt 0x0
	v_dual_mul_f32 v77, v39, v35 :: v_dual_mul_f32 v78, v38, v35
	s_delay_alu instid0(VALU_DEP_1) | instskip(NEXT) | instid1(VALU_DEP_1)
	v_xor_b32_e32 v80, 0x80000000, v77
	v_dual_fmac_f32 v78, v39, v34 :: v_dual_fmac_f32 v80, v38, v34
	s_delay_alu instid0(VALU_DEP_1) | instskip(NEXT) | instid1(VALU_DEP_1)
	v_pk_mul_f32 v[34:35], v[78:79], v[36:37] op_sel:[0,1] op_sel_hi:[0,0]
	v_pk_fma_f32 v[38:39], v[80:81], v[36:37], v[34:35] op_sel_hi:[0,1,1]
	v_pk_fma_f32 v[34:35], v[80:81], v[36:37], v[34:35] neg_lo:[0,0,1] neg_hi:[0,0,1]
	s_delay_alu instid0(VALU_DEP_2)
	v_mov_b32_e32 v35, v39
	ds_store_b64 v5, v[34:35] offset:32752
.LBB160_134:                            ;   in Loop: Header=BB160_3 Depth=1
	s_or_b32 exec_lo, exec_lo, s0
	v_dual_mov_b32 v34, 0 :: v_dual_mov_b32 v35, 0
	s_wait_dscnt 0x0
	s_barrier_signal -1
	s_barrier_wait -1
	global_wb scope:SCOPE_DEV
	s_wait_storecnt 0x0
	global_inv scope:SCOPE_DEV
	s_and_saveexec_b32 s1, s3
	s_cbranch_execz .LBB160_138
; %bb.135:                              ;   in Loop: Header=BB160_3 Depth=1
	ds_load_b64 v[34:35], v41 offset:32224
	ds_load_b64 v[36:37], v42 offset:32752
	s_wait_dscnt 0x0
	v_pk_mul_f32 v[38:39], v[36:37], v[34:35] op_sel:[1,1] op_sel_hi:[0,1]
	s_delay_alu instid0(VALU_DEP_1) | instskip(SKIP_1) | instid1(VALU_DEP_2)
	v_pk_fma_f32 v[78:79], v[36:37], v[34:35], v[38:39] op_sel_hi:[1,0,1]
	v_pk_fma_f32 v[34:35], v[36:37], v[34:35], v[38:39] neg_lo:[0,0,1] neg_hi:[0,0,1]
	v_mov_b32_e32 v35, v79
	s_delay_alu instid0(VALU_DEP_1)
	v_pk_add_f32 v[34:35], v[34:35], 0 op_sel_hi:[1,0]
	s_and_saveexec_b32 s0, s15
	s_cbranch_execz .LBB160_137
; %bb.136:                              ;   in Loop: Header=BB160_3 Depth=1
	ds_load_b64 v[36:37], v43 offset:32736
	ds_load_b64 v[38:39], v5 offset:32760
	s_wait_dscnt 0x0
	v_pk_mul_f32 v[78:79], v[38:39], v[36:37] op_sel:[1,1] op_sel_hi:[0,1]
	s_delay_alu instid0(VALU_DEP_1) | instskip(SKIP_1) | instid1(VALU_DEP_2)
	v_pk_fma_f32 v[80:81], v[38:39], v[36:37], v[78:79] op_sel_hi:[1,0,1]
	v_pk_fma_f32 v[36:37], v[38:39], v[36:37], v[78:79] neg_lo:[0,0,1] neg_hi:[0,0,1]
	v_mov_b32_e32 v37, v81
	s_delay_alu instid0(VALU_DEP_1)
	v_pk_add_f32 v[34:35], v[34:35], v[36:37]
.LBB160_137:                            ;   in Loop: Header=BB160_3 Depth=1
	s_or_b32 exec_lo, exec_lo, s0
.LBB160_138:                            ;   in Loop: Header=BB160_3 Depth=1
	s_delay_alu instid0(SALU_CYCLE_1)
	s_or_b32 exec_lo, exec_lo, s1
	s_and_saveexec_b32 s0, s44
	s_cbranch_execz .LBB160_140
; %bb.139:                              ;   in Loop: Header=BB160_3 Depth=1
	ds_load_b64 v[36:37], v5 offset:31720
	s_wait_dscnt 0x0
	v_pk_mul_f32 v[38:39], v[34:35], v[36:37] op_sel:[1,1] op_sel_hi:[1,0]
	s_delay_alu instid0(VALU_DEP_1) | instskip(SKIP_1) | instid1(VALU_DEP_2)
	v_pk_fma_f32 v[78:79], v[34:35], v[36:37], v[38:39] op_sel_hi:[0,1,1]
	v_pk_fma_f32 v[34:35], v[34:35], v[36:37], v[38:39] neg_lo:[0,0,1] neg_hi:[0,0,1]
	v_mov_b32_e32 v35, v79
	s_delay_alu instid0(VALU_DEP_1)
	v_pk_add_f32 v[36:37], v[34:35], 0 neg_lo:[1,1] neg_hi:[1,1]
	ds_store_b64 v3, v[36:37]
.LBB160_140:                            ;   in Loop: Header=BB160_3 Depth=1
	s_or_b32 exec_lo, exec_lo, s0
	s_wait_loadcnt_dscnt 0x0
	s_barrier_signal -1
	s_barrier_wait -1
	s_and_saveexec_b32 s0, s45
	s_cbranch_execz .LBB160_142
; %bb.141:                              ;   in Loop: Header=BB160_3 Depth=1
	ds_load_b64 v[36:37], v5 offset:31712
	ds_load_b64 v[38:39], v3
	s_wait_dscnt 0x0
	v_pk_mul_f32 v[78:79], v[38:39], v[36:37] op_sel:[1,1] op_sel_hi:[0,1]
	s_delay_alu instid0(VALU_DEP_1) | instskip(SKIP_1) | instid1(VALU_DEP_2)
	v_pk_fma_f32 v[80:81], v[38:39], v[36:37], v[78:79] op_sel_hi:[1,0,1]
	v_pk_fma_f32 v[36:37], v[38:39], v[36:37], v[78:79] neg_lo:[0,0,1] neg_hi:[0,0,1]
	v_mov_b32_e32 v37, v81
	s_delay_alu instid0(VALU_DEP_1)
	v_pk_add_f32 v[34:35], v[34:35], v[36:37] neg_lo:[0,1] neg_hi:[0,1]
.LBB160_142:                            ;   in Loop: Header=BB160_3 Depth=1
	s_or_b32 exec_lo, exec_lo, s0
	s_barrier_signal -1
	s_barrier_wait -1
	s_and_saveexec_b32 s0, s45
	s_cbranch_execz .LBB160_144
; %bb.143:                              ;   in Loop: Header=BB160_3 Depth=1
	ds_load_b64 v[36:37], v5 offset:31200
	s_wait_dscnt 0x0
	v_pk_mul_f32 v[38:39], v[34:35], v[36:37] op_sel:[1,1] op_sel_hi:[1,0]
	s_delay_alu instid0(VALU_DEP_1) | instskip(SKIP_1) | instid1(VALU_DEP_2)
	v_pk_fma_f32 v[78:79], v[34:35], v[36:37], v[38:39] op_sel_hi:[0,1,1]
	v_pk_fma_f32 v[34:35], v[34:35], v[36:37], v[38:39] neg_lo:[0,0,1] neg_hi:[0,0,1]
	v_mov_b32_e32 v35, v79
	s_delay_alu instid0(VALU_DEP_1)
	v_pk_add_f32 v[36:37], v[34:35], 0 neg_lo:[1,1] neg_hi:[1,1]
	ds_store_b64 v3, v[36:37]
.LBB160_144:                            ;   in Loop: Header=BB160_3 Depth=1
	s_or_b32 exec_lo, exec_lo, s0
	s_wait_dscnt 0x0
	s_barrier_signal -1
	s_barrier_wait -1
	s_barrier_signal -1
	s_barrier_wait -1
	s_and_saveexec_b32 s0, s3
; %bb.145:                              ;   in Loop: Header=BB160_3 Depth=1
	ds_store_b64 v44, v[34:35] offset:32736
; %bb.146:                              ;   in Loop: Header=BB160_3 Depth=1
	s_or_b32 exec_lo, exec_lo, s0
	s_wait_dscnt 0x0
	s_barrier_signal -1
	s_barrier_wait -1
	s_barrier_signal -1
	s_barrier_wait -1
	s_and_saveexec_b32 s0, s14
	s_cbranch_execz .LBB160_148
; %bb.147:                              ;   in Loop: Header=BB160_3 Depth=1
	v_add_nc_u32_e64 v34, 0x1e0, 0
	ds_load_b64 v[38:39], v5 offset:31720
	ds_load_2addr_stride64_b64 v[34:37], v34 offset0:60 offset1:61
	s_wait_dscnt 0x0
	v_dual_mul_f32 v77, v39, v35 :: v_dual_mul_f32 v78, v38, v35
	s_delay_alu instid0(VALU_DEP_1) | instskip(NEXT) | instid1(VALU_DEP_1)
	v_xor_b32_e32 v80, 0x80000000, v77
	v_dual_fmac_f32 v78, v39, v34 :: v_dual_fmac_f32 v80, v38, v34
	s_delay_alu instid0(VALU_DEP_1) | instskip(NEXT) | instid1(VALU_DEP_1)
	v_pk_mul_f32 v[34:35], v[78:79], v[36:37] op_sel:[0,1] op_sel_hi:[0,0]
	v_pk_fma_f32 v[38:39], v[80:81], v[36:37], v[34:35] op_sel_hi:[0,1,1]
	v_pk_fma_f32 v[34:35], v[80:81], v[36:37], v[34:35] neg_lo:[0,0,1] neg_hi:[0,0,1]
	s_delay_alu instid0(VALU_DEP_2)
	v_mov_b32_e32 v35, v39
	ds_store_b64 v5, v[34:35] offset:31712
.LBB160_148:                            ;   in Loop: Header=BB160_3 Depth=1
	s_or_b32 exec_lo, exec_lo, s0
	v_mov_b64_e32 v[34:35], 0
	s_wait_dscnt 0x0
	s_barrier_signal -1
	s_barrier_wait -1
	global_wb scope:SCOPE_DEV
	s_wait_storecnt 0x0
	global_inv scope:SCOPE_DEV
	s_and_saveexec_b32 s1, s4
	s_cbranch_execz .LBB160_154
; %bb.149:                              ;   in Loop: Header=BB160_3 Depth=1
	ds_load_b64 v[34:35], v46 offset:31168
	ds_load_b64 v[36:37], v47 offset:32736
	s_wait_dscnt 0x0
	v_dual_mul_f32 v38, v37, v35 :: v_dual_mul_f32 v35, v36, v35
	s_delay_alu instid0(VALU_DEP_1) | instskip(NEXT) | instid1(VALU_DEP_1)
	v_dual_fma_f32 v36, v36, v34, -v38 :: v_dual_fmac_f32 v35, v37, v34
	v_dual_add_f32 v34, 0, v36 :: v_dual_add_f32 v35, 0, v35
	s_and_saveexec_b32 s0, s16
	s_cbranch_execnz .LBB160_1048
; %bb.150:                              ;   in Loop: Header=BB160_3 Depth=1
	s_or_b32 exec_lo, exec_lo, s0
	s_and_saveexec_b32 s0, s17
	s_cbranch_execnz .LBB160_1049
.LBB160_151:                            ;   in Loop: Header=BB160_3 Depth=1
	s_or_b32 exec_lo, exec_lo, s0
	s_and_saveexec_b32 s0, s3
	s_cbranch_execz .LBB160_153
.LBB160_152:                            ;   in Loop: Header=BB160_3 Depth=1
	ds_load_b64 v[36:37], v43 offset:32704
	ds_load_b64 v[38:39], v5 offset:32760
	s_wait_dscnt 0x0
	v_dual_mul_f32 v77, v39, v37 :: v_dual_mul_f32 v37, v38, v37
	s_delay_alu instid0(VALU_DEP_1) | instskip(NEXT) | instid1(VALU_DEP_1)
	v_fmac_f32_e32 v37, v39, v36
	v_dual_fma_f32 v38, v38, v36, -v77 :: v_dual_add_f32 v35, v35, v37
	s_delay_alu instid0(VALU_DEP_1)
	v_add_f32_e32 v34, v34, v38
.LBB160_153:                            ;   in Loop: Header=BB160_3 Depth=1
	s_or_b32 exec_lo, exec_lo, s0
.LBB160_154:                            ;   in Loop: Header=BB160_3 Depth=1
	s_delay_alu instid0(SALU_CYCLE_1)
	s_or_b32 exec_lo, exec_lo, s1
	s_and_saveexec_b32 s0, s46
	s_cbranch_execz .LBB160_156
; %bb.155:                              ;   in Loop: Header=BB160_3 Depth=1
	ds_load_b64 v[36:37], v5 offset:30680
	s_wait_dscnt 0x0
	v_dual_mul_f32 v38, v35, v36 :: v_dual_mul_f32 v78, v35, v37
	s_delay_alu instid0(VALU_DEP_1) | instskip(NEXT) | instid1(VALU_DEP_2)
	v_pk_fma_f32 v[38:39], v[34:35], v[36:37], v[38:39] op_sel:[1,0,0] op_sel_hi:[0,1,0]
	v_pk_fma_f32 v[34:35], v[34:35], v[36:37], v[78:79] op_sel_hi:[1,1,0] neg_lo:[0,0,1] neg_hi:[0,0,1]
	s_delay_alu instid0(VALU_DEP_2) | instskip(NEXT) | instid1(VALU_DEP_1)
	v_mov_b32_e32 v35, v39
	v_pk_add_f32 v[36:37], v[34:35], 0 neg_lo:[1,1] neg_hi:[1,1]
	ds_store_b64 v45, v[36:37]
.LBB160_156:                            ;   in Loop: Header=BB160_3 Depth=1
	s_or_b32 exec_lo, exec_lo, s0
	s_wait_loadcnt_dscnt 0x0
	s_barrier_signal -1
	s_barrier_wait -1
	s_and_saveexec_b32 s0, s47
	s_cbranch_execz .LBB160_158
; %bb.157:                              ;   in Loop: Header=BB160_3 Depth=1
	ds_load_b64 v[36:37], v46 offset:30656
	ds_load_b64 v[38:39], v45
	s_wait_dscnt 0x0
	v_pk_mul_f32 v[78:79], v[38:39], v[36:37] op_sel:[1,1] op_sel_hi:[0,1]
	s_delay_alu instid0(VALU_DEP_1) | instskip(SKIP_1) | instid1(VALU_DEP_2)
	v_pk_fma_f32 v[80:81], v[38:39], v[36:37], v[78:79] op_sel_hi:[1,0,1]
	v_pk_fma_f32 v[36:37], v[38:39], v[36:37], v[78:79] neg_lo:[0,0,1] neg_hi:[0,0,1]
	v_mov_b32_e32 v37, v81
	s_delay_alu instid0(VALU_DEP_1)
	v_pk_add_f32 v[34:35], v[34:35], v[36:37] neg_lo:[0,1] neg_hi:[0,1]
.LBB160_158:                            ;   in Loop: Header=BB160_3 Depth=1
	s_or_b32 exec_lo, exec_lo, s0
	s_barrier_signal -1
	s_barrier_wait -1
	s_and_saveexec_b32 s0, s48
	s_cbranch_execz .LBB160_160
; %bb.159:                              ;   in Loop: Header=BB160_3 Depth=1
	ds_load_b64 v[36:37], v5 offset:30160
	s_wait_dscnt 0x0
	v_pk_mul_f32 v[38:39], v[34:35], v[36:37] op_sel:[1,1] op_sel_hi:[1,0]
	s_delay_alu instid0(VALU_DEP_1) | instskip(SKIP_1) | instid1(VALU_DEP_2)
	v_pk_fma_f32 v[78:79], v[34:35], v[36:37], v[38:39] op_sel_hi:[0,1,1]
	v_pk_fma_f32 v[34:35], v[34:35], v[36:37], v[38:39] neg_lo:[0,0,1] neg_hi:[0,0,1]
	v_mov_b32_e32 v35, v79
	s_delay_alu instid0(VALU_DEP_1)
	v_pk_add_f32 v[36:37], v[34:35], 0 neg_lo:[1,1] neg_hi:[1,1]
	ds_store_b64 v45, v[36:37]
.LBB160_160:                            ;   in Loop: Header=BB160_3 Depth=1
	s_or_b32 exec_lo, exec_lo, s0
	s_wait_dscnt 0x0
	s_barrier_signal -1
	s_barrier_wait -1
	s_and_saveexec_b32 s0, s49
	s_cbranch_execz .LBB160_162
; %bb.161:                              ;   in Loop: Header=BB160_3 Depth=1
	ds_load_b64 v[36:37], v46 offset:30144
	ds_load_b64 v[38:39], v45
	s_wait_dscnt 0x0
	v_pk_mul_f32 v[78:79], v[38:39], v[36:37] op_sel:[1,1] op_sel_hi:[0,1]
	s_delay_alu instid0(VALU_DEP_1) | instskip(SKIP_1) | instid1(VALU_DEP_2)
	v_pk_fma_f32 v[80:81], v[38:39], v[36:37], v[78:79] op_sel_hi:[1,0,1]
	v_pk_fma_f32 v[36:37], v[38:39], v[36:37], v[78:79] neg_lo:[0,0,1] neg_hi:[0,0,1]
	v_mov_b32_e32 v37, v81
	s_delay_alu instid0(VALU_DEP_1)
	v_pk_add_f32 v[34:35], v[34:35], v[36:37] neg_lo:[0,1] neg_hi:[0,1]
.LBB160_162:                            ;   in Loop: Header=BB160_3 Depth=1
	s_or_b32 exec_lo, exec_lo, s0
	s_barrier_signal -1
	s_barrier_wait -1
	s_and_saveexec_b32 s0, s50
	s_cbranch_execz .LBB160_164
; %bb.163:                              ;   in Loop: Header=BB160_3 Depth=1
	ds_load_b64 v[36:37], v5 offset:29640
	s_wait_dscnt 0x0
	v_pk_mul_f32 v[38:39], v[34:35], v[36:37] op_sel:[1,1] op_sel_hi:[1,0]
	s_delay_alu instid0(VALU_DEP_1) | instskip(SKIP_1) | instid1(VALU_DEP_2)
	v_pk_fma_f32 v[78:79], v[34:35], v[36:37], v[38:39] op_sel_hi:[0,1,1]
	v_pk_fma_f32 v[34:35], v[34:35], v[36:37], v[38:39] neg_lo:[0,0,1] neg_hi:[0,0,1]
	v_mov_b32_e32 v35, v79
	s_delay_alu instid0(VALU_DEP_1)
	v_pk_add_f32 v[36:37], v[34:35], 0 neg_lo:[1,1] neg_hi:[1,1]
	ds_store_b64 v45, v[36:37]
.LBB160_164:                            ;   in Loop: Header=BB160_3 Depth=1
	s_or_b32 exec_lo, exec_lo, s0
	s_wait_dscnt 0x0
	;; [unrolled: 35-line block ×3, first 2 shown]
	s_barrier_signal -1
	s_barrier_wait -1
	s_barrier_signal -1
	s_barrier_wait -1
	s_and_saveexec_b32 s0, s4
; %bb.169:                              ;   in Loop: Header=BB160_3 Depth=1
	ds_store_b64 v48, v[34:35] offset:32704
; %bb.170:                              ;   in Loop: Header=BB160_3 Depth=1
	s_or_b32 exec_lo, exec_lo, s0
	s_wait_dscnt 0x0
	s_barrier_signal -1
	s_barrier_wait -1
	s_barrier_signal -1
	s_barrier_wait -1
	s_and_saveexec_b32 s0, s14
	s_cbranch_execz .LBB160_172
; %bb.171:                              ;   in Loop: Header=BB160_3 Depth=1
	v_add_nc_u32_e64 v34, 0x1d0, 0
	ds_load_b64 v[38:39], v5 offset:30680
	ds_load_2addr_stride64_b64 v[34:37], v34 offset0:58 offset1:59
	s_wait_dscnt 0x0
	v_dual_mul_f32 v77, v39, v35 :: v_dual_mul_f32 v78, v38, v35
	s_delay_alu instid0(VALU_DEP_1) | instskip(NEXT) | instid1(VALU_DEP_1)
	v_xor_b32_e32 v80, 0x80000000, v77
	v_dual_fmac_f32 v78, v39, v34 :: v_dual_fmac_f32 v80, v38, v34
	s_delay_alu instid0(VALU_DEP_1) | instskip(NEXT) | instid1(VALU_DEP_1)
	v_pk_mul_f32 v[34:35], v[78:79], v[36:37] op_sel:[0,1] op_sel_hi:[0,0]
	v_pk_fma_f32 v[38:39], v[80:81], v[36:37], v[34:35] op_sel_hi:[0,1,1]
	v_pk_fma_f32 v[34:35], v[80:81], v[36:37], v[34:35] neg_lo:[0,0,1] neg_hi:[0,0,1]
	s_delay_alu instid0(VALU_DEP_2)
	v_mov_b32_e32 v35, v39
	ds_store_b64 v5, v[34:35] offset:30672
.LBB160_172:                            ;   in Loop: Header=BB160_3 Depth=1
	s_or_b32 exec_lo, exec_lo, s0
	v_dual_mov_b32 v34, 0 :: v_dual_mov_b32 v35, 0
	s_wait_dscnt 0x0
	s_barrier_signal -1
	s_barrier_wait -1
	global_wb scope:SCOPE_DEV
	s_wait_storecnt 0x0
	global_inv scope:SCOPE_DEV
	s_and_saveexec_b32 s1, s3
	s_cbranch_execz .LBB160_176
; %bb.173:                              ;   in Loop: Header=BB160_3 Depth=1
	ds_load_b64 v[34:35], v41 offset:30144
	ds_load_b64 v[36:37], v42 offset:30672
	s_wait_dscnt 0x0
	v_pk_mul_f32 v[38:39], v[36:37], v[34:35] op_sel:[1,1] op_sel_hi:[0,1]
	s_delay_alu instid0(VALU_DEP_1) | instskip(SKIP_1) | instid1(VALU_DEP_2)
	v_pk_fma_f32 v[78:79], v[36:37], v[34:35], v[38:39] op_sel_hi:[1,0,1]
	v_pk_fma_f32 v[34:35], v[36:37], v[34:35], v[38:39] neg_lo:[0,0,1] neg_hi:[0,0,1]
	v_mov_b32_e32 v35, v79
	s_delay_alu instid0(VALU_DEP_1)
	v_pk_add_f32 v[34:35], v[34:35], 0 op_sel_hi:[1,0]
	s_and_saveexec_b32 s0, s15
	s_cbranch_execz .LBB160_175
; %bb.174:                              ;   in Loop: Header=BB160_3 Depth=1
	ds_load_b64 v[36:37], v43 offset:30656
	ds_load_b64 v[38:39], v5 offset:30680
	s_wait_dscnt 0x0
	v_pk_mul_f32 v[78:79], v[38:39], v[36:37] op_sel:[1,1] op_sel_hi:[0,1]
	s_delay_alu instid0(VALU_DEP_1) | instskip(SKIP_1) | instid1(VALU_DEP_2)
	v_pk_fma_f32 v[80:81], v[38:39], v[36:37], v[78:79] op_sel_hi:[1,0,1]
	v_pk_fma_f32 v[36:37], v[38:39], v[36:37], v[78:79] neg_lo:[0,0,1] neg_hi:[0,0,1]
	v_mov_b32_e32 v37, v81
	s_delay_alu instid0(VALU_DEP_1)
	v_pk_add_f32 v[34:35], v[34:35], v[36:37]
.LBB160_175:                            ;   in Loop: Header=BB160_3 Depth=1
	s_or_b32 exec_lo, exec_lo, s0
.LBB160_176:                            ;   in Loop: Header=BB160_3 Depth=1
	s_delay_alu instid0(SALU_CYCLE_1)
	s_or_b32 exec_lo, exec_lo, s1
	s_and_saveexec_b32 s0, s44
	s_cbranch_execz .LBB160_178
; %bb.177:                              ;   in Loop: Header=BB160_3 Depth=1
	ds_load_b64 v[36:37], v5 offset:29640
	s_wait_dscnt 0x0
	v_pk_mul_f32 v[38:39], v[34:35], v[36:37] op_sel:[1,1] op_sel_hi:[1,0]
	s_delay_alu instid0(VALU_DEP_1) | instskip(SKIP_1) | instid1(VALU_DEP_2)
	v_pk_fma_f32 v[78:79], v[34:35], v[36:37], v[38:39] op_sel_hi:[0,1,1]
	v_pk_fma_f32 v[34:35], v[34:35], v[36:37], v[38:39] neg_lo:[0,0,1] neg_hi:[0,0,1]
	v_mov_b32_e32 v35, v79
	s_delay_alu instid0(VALU_DEP_1)
	v_pk_add_f32 v[36:37], v[34:35], 0 neg_lo:[1,1] neg_hi:[1,1]
	ds_store_b64 v3, v[36:37]
.LBB160_178:                            ;   in Loop: Header=BB160_3 Depth=1
	s_or_b32 exec_lo, exec_lo, s0
	s_wait_loadcnt_dscnt 0x0
	s_barrier_signal -1
	s_barrier_wait -1
	s_and_saveexec_b32 s0, s45
	s_cbranch_execz .LBB160_180
; %bb.179:                              ;   in Loop: Header=BB160_3 Depth=1
	ds_load_b64 v[36:37], v5 offset:29632
	ds_load_b64 v[38:39], v3
	s_wait_dscnt 0x0
	v_pk_mul_f32 v[78:79], v[38:39], v[36:37] op_sel:[1,1] op_sel_hi:[0,1]
	s_delay_alu instid0(VALU_DEP_1) | instskip(SKIP_1) | instid1(VALU_DEP_2)
	v_pk_fma_f32 v[80:81], v[38:39], v[36:37], v[78:79] op_sel_hi:[1,0,1]
	v_pk_fma_f32 v[36:37], v[38:39], v[36:37], v[78:79] neg_lo:[0,0,1] neg_hi:[0,0,1]
	v_mov_b32_e32 v37, v81
	s_delay_alu instid0(VALU_DEP_1)
	v_pk_add_f32 v[34:35], v[34:35], v[36:37] neg_lo:[0,1] neg_hi:[0,1]
.LBB160_180:                            ;   in Loop: Header=BB160_3 Depth=1
	s_or_b32 exec_lo, exec_lo, s0
	s_barrier_signal -1
	s_barrier_wait -1
	s_and_saveexec_b32 s0, s45
	s_cbranch_execz .LBB160_182
; %bb.181:                              ;   in Loop: Header=BB160_3 Depth=1
	ds_load_b64 v[36:37], v5 offset:29120
	s_wait_dscnt 0x0
	v_pk_mul_f32 v[38:39], v[34:35], v[36:37] op_sel:[1,1] op_sel_hi:[1,0]
	s_delay_alu instid0(VALU_DEP_1) | instskip(SKIP_1) | instid1(VALU_DEP_2)
	v_pk_fma_f32 v[78:79], v[34:35], v[36:37], v[38:39] op_sel_hi:[0,1,1]
	v_pk_fma_f32 v[34:35], v[34:35], v[36:37], v[38:39] neg_lo:[0,0,1] neg_hi:[0,0,1]
	v_mov_b32_e32 v35, v79
	s_delay_alu instid0(VALU_DEP_1)
	v_pk_add_f32 v[36:37], v[34:35], 0 neg_lo:[1,1] neg_hi:[1,1]
	ds_store_b64 v3, v[36:37]
.LBB160_182:                            ;   in Loop: Header=BB160_3 Depth=1
	s_or_b32 exec_lo, exec_lo, s0
	s_wait_dscnt 0x0
	s_barrier_signal -1
	s_barrier_wait -1
	s_barrier_signal -1
	s_barrier_wait -1
	s_and_saveexec_b32 s0, s3
; %bb.183:                              ;   in Loop: Header=BB160_3 Depth=1
	ds_store_b64 v44, v[34:35] offset:30656
; %bb.184:                              ;   in Loop: Header=BB160_3 Depth=1
	s_or_b32 exec_lo, exec_lo, s0
	s_wait_dscnt 0x0
	s_barrier_signal -1
	s_barrier_wait -1
	s_barrier_signal -1
	s_barrier_wait -1
	s_and_saveexec_b32 s0, s14
	s_cbranch_execz .LBB160_186
; %bb.185:                              ;   in Loop: Header=BB160_3 Depth=1
	v_add_nc_u32_e64 v34, 0x1c0, 0
	ds_load_b64 v[38:39], v5 offset:29640
	ds_load_2addr_stride64_b64 v[34:37], v34 offset0:56 offset1:57
	s_wait_dscnt 0x0
	v_dual_mul_f32 v77, v39, v35 :: v_dual_mul_f32 v78, v38, v35
	s_delay_alu instid0(VALU_DEP_1) | instskip(NEXT) | instid1(VALU_DEP_1)
	v_xor_b32_e32 v80, 0x80000000, v77
	v_dual_fmac_f32 v78, v39, v34 :: v_dual_fmac_f32 v80, v38, v34
	s_delay_alu instid0(VALU_DEP_1) | instskip(NEXT) | instid1(VALU_DEP_1)
	v_pk_mul_f32 v[34:35], v[78:79], v[36:37] op_sel:[0,1] op_sel_hi:[0,0]
	v_pk_fma_f32 v[38:39], v[80:81], v[36:37], v[34:35] op_sel_hi:[0,1,1]
	v_pk_fma_f32 v[34:35], v[80:81], v[36:37], v[34:35] neg_lo:[0,0,1] neg_hi:[0,0,1]
	s_delay_alu instid0(VALU_DEP_2)
	v_mov_b32_e32 v35, v39
	ds_store_b64 v5, v[34:35] offset:29632
.LBB160_186:                            ;   in Loop: Header=BB160_3 Depth=1
	s_or_b32 exec_lo, exec_lo, s0
	v_mov_b64_e32 v[34:35], 0
	s_wait_dscnt 0x0
	s_barrier_signal -1
	s_barrier_wait -1
	global_wb scope:SCOPE_DEV
	s_wait_storecnt 0x0
	global_inv scope:SCOPE_DEV
	s_and_saveexec_b32 s1, s5
	s_cbranch_execz .LBB160_196
; %bb.187:                              ;   in Loop: Header=BB160_3 Depth=1
	ds_load_b64 v[34:35], v50 offset:29056
	ds_load_b64 v[36:37], v51 offset:32704
	s_wait_dscnt 0x0
	v_dual_mul_f32 v38, v37, v35 :: v_dual_mul_f32 v35, v36, v35
	s_delay_alu instid0(VALU_DEP_1) | instskip(NEXT) | instid1(VALU_DEP_1)
	v_dual_fma_f32 v36, v36, v34, -v38 :: v_dual_fmac_f32 v35, v37, v34
	v_dual_add_f32 v34, 0, v36 :: v_dual_add_f32 v35, 0, v35
	s_and_saveexec_b32 s0, s18
	s_cbranch_execnz .LBB160_1050
; %bb.188:                              ;   in Loop: Header=BB160_3 Depth=1
	s_or_b32 exec_lo, exec_lo, s0
	s_and_saveexec_b32 s0, s19
	s_cbranch_execnz .LBB160_1051
.LBB160_189:                            ;   in Loop: Header=BB160_3 Depth=1
	s_or_b32 exec_lo, exec_lo, s0
	s_and_saveexec_b32 s0, s20
	s_cbranch_execnz .LBB160_1052
.LBB160_190:                            ;   in Loop: Header=BB160_3 Depth=1
	s_or_b32 exec_lo, exec_lo, s0
	s_and_saveexec_b32 s0, s21
	s_cbranch_execnz .LBB160_1053
.LBB160_191:                            ;   in Loop: Header=BB160_3 Depth=1
	s_or_b32 exec_lo, exec_lo, s0
	s_and_saveexec_b32 s0, s22
	s_cbranch_execnz .LBB160_1054
.LBB160_192:                            ;   in Loop: Header=BB160_3 Depth=1
	s_or_b32 exec_lo, exec_lo, s0
	s_and_saveexec_b32 s0, s4
	s_cbranch_execnz .LBB160_1055
.LBB160_193:                            ;   in Loop: Header=BB160_3 Depth=1
	s_or_b32 exec_lo, exec_lo, s0
	s_and_saveexec_b32 s0, s17
	s_cbranch_execz .LBB160_195
.LBB160_194:                            ;   in Loop: Header=BB160_3 Depth=1
	ds_load_b64 v[36:37], v43 offset:32640
	ds_load_b64 v[38:39], v5 offset:32760
	s_wait_dscnt 0x0
	v_dual_mul_f32 v77, v39, v37 :: v_dual_mul_f32 v79, v38, v37
	s_delay_alu instid0(VALU_DEP_1) | instskip(NEXT) | instid1(VALU_DEP_1)
	v_dual_fma_f32 v78, v38, v36, -v77 :: v_dual_fmac_f32 v79, v39, v36
	v_pk_add_f32 v[34:35], v[34:35], v[78:79]
.LBB160_195:                            ;   in Loop: Header=BB160_3 Depth=1
	s_or_b32 exec_lo, exec_lo, s0
.LBB160_196:                            ;   in Loop: Header=BB160_3 Depth=1
	s_delay_alu instid0(SALU_CYCLE_1)
	s_or_b32 exec_lo, exec_lo, s1
	s_and_saveexec_b32 s0, s52
	s_cbranch_execz .LBB160_198
; %bb.197:                              ;   in Loop: Header=BB160_3 Depth=1
	ds_load_b64 v[36:37], v5 offset:28600
	s_wait_dscnt 0x0
	v_pk_mul_f32 v[38:39], v[34:35], v[36:37] op_sel:[1,1] op_sel_hi:[1,0]
	s_delay_alu instid0(VALU_DEP_1) | instskip(SKIP_1) | instid1(VALU_DEP_2)
	v_pk_fma_f32 v[78:79], v[34:35], v[36:37], v[38:39] op_sel_hi:[0,1,1]
	v_pk_fma_f32 v[34:35], v[34:35], v[36:37], v[38:39] neg_lo:[0,0,1] neg_hi:[0,0,1]
	v_mov_b32_e32 v35, v79
	s_delay_alu instid0(VALU_DEP_1)
	v_pk_add_f32 v[36:37], v[34:35], 0 neg_lo:[1,1] neg_hi:[1,1]
	ds_store_b64 v49, v[36:37]
.LBB160_198:                            ;   in Loop: Header=BB160_3 Depth=1
	s_or_b32 exec_lo, exec_lo, s0
	s_wait_loadcnt_dscnt 0x0
	s_barrier_signal -1
	s_barrier_wait -1
	s_and_saveexec_b32 s0, s53
	s_cbranch_execz .LBB160_200
; %bb.199:                              ;   in Loop: Header=BB160_3 Depth=1
	ds_load_b64 v[36:37], v50 offset:28544
	ds_load_b64 v[38:39], v49
	s_wait_dscnt 0x0
	v_pk_mul_f32 v[78:79], v[38:39], v[36:37] op_sel:[1,1] op_sel_hi:[0,1]
	s_delay_alu instid0(VALU_DEP_1) | instskip(SKIP_1) | instid1(VALU_DEP_2)
	v_pk_fma_f32 v[80:81], v[38:39], v[36:37], v[78:79] op_sel_hi:[1,0,1]
	v_pk_fma_f32 v[36:37], v[38:39], v[36:37], v[78:79] neg_lo:[0,0,1] neg_hi:[0,0,1]
	v_mov_b32_e32 v37, v81
	s_delay_alu instid0(VALU_DEP_1)
	v_pk_add_f32 v[34:35], v[34:35], v[36:37] neg_lo:[0,1] neg_hi:[0,1]
.LBB160_200:                            ;   in Loop: Header=BB160_3 Depth=1
	s_or_b32 exec_lo, exec_lo, s0
	s_barrier_signal -1
	s_barrier_wait -1
	s_and_saveexec_b32 s0, s54
	s_cbranch_execz .LBB160_202
; %bb.201:                              ;   in Loop: Header=BB160_3 Depth=1
	ds_load_b64 v[36:37], v5 offset:28080
	s_wait_dscnt 0x0
	v_pk_mul_f32 v[38:39], v[34:35], v[36:37] op_sel:[1,1] op_sel_hi:[1,0]
	s_delay_alu instid0(VALU_DEP_1) | instskip(SKIP_1) | instid1(VALU_DEP_2)
	v_pk_fma_f32 v[78:79], v[34:35], v[36:37], v[38:39] op_sel_hi:[0,1,1]
	v_pk_fma_f32 v[34:35], v[34:35], v[36:37], v[38:39] neg_lo:[0,0,1] neg_hi:[0,0,1]
	v_mov_b32_e32 v35, v79
	s_delay_alu instid0(VALU_DEP_1)
	v_pk_add_f32 v[36:37], v[34:35], 0 neg_lo:[1,1] neg_hi:[1,1]
	ds_store_b64 v49, v[36:37]
.LBB160_202:                            ;   in Loop: Header=BB160_3 Depth=1
	s_or_b32 exec_lo, exec_lo, s0
	s_wait_dscnt 0x0
	s_barrier_signal -1
	s_barrier_wait -1
	s_and_saveexec_b32 s0, s55
	s_cbranch_execz .LBB160_204
; %bb.203:                              ;   in Loop: Header=BB160_3 Depth=1
	ds_load_b64 v[36:37], v50 offset:28032
	ds_load_b64 v[38:39], v49
	s_wait_dscnt 0x0
	v_pk_mul_f32 v[78:79], v[38:39], v[36:37] op_sel:[1,1] op_sel_hi:[0,1]
	s_delay_alu instid0(VALU_DEP_1) | instskip(SKIP_1) | instid1(VALU_DEP_2)
	v_pk_fma_f32 v[80:81], v[38:39], v[36:37], v[78:79] op_sel_hi:[1,0,1]
	v_pk_fma_f32 v[36:37], v[38:39], v[36:37], v[78:79] neg_lo:[0,0,1] neg_hi:[0,0,1]
	v_mov_b32_e32 v37, v81
	s_delay_alu instid0(VALU_DEP_1)
	v_pk_add_f32 v[34:35], v[34:35], v[36:37] neg_lo:[0,1] neg_hi:[0,1]
.LBB160_204:                            ;   in Loop: Header=BB160_3 Depth=1
	s_or_b32 exec_lo, exec_lo, s0
	s_barrier_signal -1
	s_barrier_wait -1
	s_and_saveexec_b32 s0, s56
	s_cbranch_execz .LBB160_206
; %bb.205:                              ;   in Loop: Header=BB160_3 Depth=1
	ds_load_b64 v[36:37], v5 offset:27560
	s_wait_dscnt 0x0
	v_pk_mul_f32 v[38:39], v[34:35], v[36:37] op_sel:[1,1] op_sel_hi:[1,0]
	s_delay_alu instid0(VALU_DEP_1) | instskip(SKIP_1) | instid1(VALU_DEP_2)
	v_pk_fma_f32 v[78:79], v[34:35], v[36:37], v[38:39] op_sel_hi:[0,1,1]
	v_pk_fma_f32 v[34:35], v[34:35], v[36:37], v[38:39] neg_lo:[0,0,1] neg_hi:[0,0,1]
	v_mov_b32_e32 v35, v79
	s_delay_alu instid0(VALU_DEP_1)
	v_pk_add_f32 v[36:37], v[34:35], 0 neg_lo:[1,1] neg_hi:[1,1]
	ds_store_b64 v49, v[36:37]
.LBB160_206:                            ;   in Loop: Header=BB160_3 Depth=1
	s_or_b32 exec_lo, exec_lo, s0
	s_wait_dscnt 0x0
	s_barrier_signal -1
	s_barrier_wait -1
	s_and_saveexec_b32 s0, s57
	s_cbranch_execz .LBB160_208
; %bb.207:                              ;   in Loop: Header=BB160_3 Depth=1
	ds_load_b64 v[36:37], v50 offset:27520
	ds_load_b64 v[38:39], v49
	s_wait_dscnt 0x0
	v_pk_mul_f32 v[78:79], v[38:39], v[36:37] op_sel:[1,1] op_sel_hi:[0,1]
	s_delay_alu instid0(VALU_DEP_1) | instskip(SKIP_1) | instid1(VALU_DEP_2)
	v_pk_fma_f32 v[80:81], v[38:39], v[36:37], v[78:79] op_sel_hi:[1,0,1]
	v_pk_fma_f32 v[36:37], v[38:39], v[36:37], v[78:79] neg_lo:[0,0,1] neg_hi:[0,0,1]
	v_mov_b32_e32 v37, v81
	s_delay_alu instid0(VALU_DEP_1)
	v_pk_add_f32 v[34:35], v[34:35], v[36:37] neg_lo:[0,1] neg_hi:[0,1]
.LBB160_208:                            ;   in Loop: Header=BB160_3 Depth=1
	s_or_b32 exec_lo, exec_lo, s0
	s_barrier_signal -1
	s_barrier_wait -1
	s_and_saveexec_b32 s0, s58
	s_cbranch_execz .LBB160_210
; %bb.209:                              ;   in Loop: Header=BB160_3 Depth=1
	ds_load_b64 v[36:37], v5 offset:27040
	s_wait_dscnt 0x0
	v_pk_mul_f32 v[38:39], v[34:35], v[36:37]
	v_pk_mul_f32 v[34:35], v[34:35], v[36:37] op_sel:[1,0] op_sel_hi:[0,1]
	s_delay_alu instid0(VALU_DEP_1) | instskip(NEXT) | instid1(VALU_DEP_3)
	v_dual_mov_b32 v36, v38 :: v_dual_mov_b32 v37, v34
	v_mov_b32_e32 v34, v39
	s_delay_alu instid0(VALU_DEP_1) | instskip(SKIP_1) | instid1(VALU_DEP_2)
	v_pk_add_f32 v[38:39], v[36:37], v[34:35]
	v_pk_add_f32 v[34:35], v[36:37], v[34:35] neg_lo:[0,1] neg_hi:[0,1]
	v_mov_b32_e32 v35, v39
	s_delay_alu instid0(VALU_DEP_1)
	v_pk_add_f32 v[36:37], v[34:35], 0 neg_lo:[1,1] neg_hi:[1,1]
	ds_store_b64 v49, v[36:37]
.LBB160_210:                            ;   in Loop: Header=BB160_3 Depth=1
	s_or_b32 exec_lo, exec_lo, s0
	s_wait_dscnt 0x0
	s_barrier_signal -1
	s_barrier_wait -1
	s_and_saveexec_b32 s0, s59
	s_cbranch_execz .LBB160_212
; %bb.211:                              ;   in Loop: Header=BB160_3 Depth=1
	ds_load_b64 v[36:37], v50 offset:27008
	ds_load_b64 v[38:39], v49
	s_wait_dscnt 0x0
	v_dual_mul_f32 v77, v39, v37 :: v_dual_mul_f32 v37, v38, v37
	s_delay_alu instid0(VALU_DEP_1) | instskip(NEXT) | instid1(VALU_DEP_1)
	v_fmac_f32_e32 v37, v39, v36
	v_dual_fma_f32 v38, v38, v36, -v77 :: v_dual_sub_f32 v35, v35, v37
	s_delay_alu instid0(VALU_DEP_1)
	v_sub_f32_e32 v34, v34, v38
.LBB160_212:                            ;   in Loop: Header=BB160_3 Depth=1
	s_or_b32 exec_lo, exec_lo, s0
	s_barrier_signal -1
	s_barrier_wait -1
	s_and_saveexec_b32 s0, s60
	s_cbranch_execz .LBB160_214
; %bb.213:                              ;   in Loop: Header=BB160_3 Depth=1
	ds_load_b64 v[36:37], v5 offset:26520
	s_wait_dscnt 0x0
	v_dual_mul_f32 v38, v35, v36 :: v_dual_mul_f32 v78, v35, v37
	s_delay_alu instid0(VALU_DEP_1) | instskip(NEXT) | instid1(VALU_DEP_2)
	v_pk_fma_f32 v[38:39], v[34:35], v[36:37], v[38:39] op_sel:[1,0,0] op_sel_hi:[0,1,0]
	v_pk_fma_f32 v[34:35], v[34:35], v[36:37], v[78:79] op_sel_hi:[1,1,0] neg_lo:[0,0,1] neg_hi:[0,0,1]
	s_delay_alu instid0(VALU_DEP_2) | instskip(NEXT) | instid1(VALU_DEP_1)
	v_mov_b32_e32 v35, v39
	v_pk_add_f32 v[36:37], v[34:35], 0 neg_lo:[1,1] neg_hi:[1,1]
	ds_store_b64 v49, v[36:37]
.LBB160_214:                            ;   in Loop: Header=BB160_3 Depth=1
	s_or_b32 exec_lo, exec_lo, s0
	s_wait_dscnt 0x0
	s_barrier_signal -1
	s_barrier_wait -1
	s_and_saveexec_b32 s0, s61
	s_cbranch_execz .LBB160_216
; %bb.215:                              ;   in Loop: Header=BB160_3 Depth=1
	ds_load_b64 v[36:37], v50 offset:26496
	ds_load_b64 v[38:39], v49
	s_wait_dscnt 0x0
	v_pk_mul_f32 v[78:79], v[38:39], v[36:37] op_sel:[1,1] op_sel_hi:[0,1]
	s_delay_alu instid0(VALU_DEP_1) | instskip(SKIP_1) | instid1(VALU_DEP_2)
	v_pk_fma_f32 v[80:81], v[38:39], v[36:37], v[78:79] op_sel_hi:[1,0,1]
	v_pk_fma_f32 v[36:37], v[38:39], v[36:37], v[78:79] neg_lo:[0,0,1] neg_hi:[0,0,1]
	v_mov_b32_e32 v37, v81
	s_delay_alu instid0(VALU_DEP_1)
	v_pk_add_f32 v[34:35], v[34:35], v[36:37] neg_lo:[0,1] neg_hi:[0,1]
.LBB160_216:                            ;   in Loop: Header=BB160_3 Depth=1
	s_or_b32 exec_lo, exec_lo, s0
	s_barrier_signal -1
	s_barrier_wait -1
	s_and_saveexec_b32 s0, s62
	s_cbranch_execz .LBB160_218
; %bb.217:                              ;   in Loop: Header=BB160_3 Depth=1
	ds_load_b64 v[36:37], v5 offset:26000
	s_wait_dscnt 0x0
	v_pk_mul_f32 v[38:39], v[34:35], v[36:37] op_sel:[1,1] op_sel_hi:[1,0]
	s_delay_alu instid0(VALU_DEP_1) | instskip(SKIP_1) | instid1(VALU_DEP_2)
	v_pk_fma_f32 v[78:79], v[34:35], v[36:37], v[38:39] op_sel_hi:[0,1,1]
	v_pk_fma_f32 v[34:35], v[34:35], v[36:37], v[38:39] neg_lo:[0,0,1] neg_hi:[0,0,1]
	v_mov_b32_e32 v35, v79
	s_delay_alu instid0(VALU_DEP_1)
	v_pk_add_f32 v[36:37], v[34:35], 0 neg_lo:[1,1] neg_hi:[1,1]
	ds_store_b64 v49, v[36:37]
.LBB160_218:                            ;   in Loop: Header=BB160_3 Depth=1
	s_or_b32 exec_lo, exec_lo, s0
	s_wait_dscnt 0x0
	s_barrier_signal -1
	s_barrier_wait -1
	s_and_saveexec_b32 s0, s63
	s_cbranch_execz .LBB160_220
; %bb.219:                              ;   in Loop: Header=BB160_3 Depth=1
	ds_load_b64 v[36:37], v50 offset:25984
	ds_load_b64 v[38:39], v49
	s_wait_dscnt 0x0
	v_pk_mul_f32 v[78:79], v[38:39], v[36:37] op_sel:[1,1] op_sel_hi:[0,1]
	s_delay_alu instid0(VALU_DEP_1) | instskip(SKIP_1) | instid1(VALU_DEP_2)
	v_pk_fma_f32 v[80:81], v[38:39], v[36:37], v[78:79] op_sel_hi:[1,0,1]
	v_pk_fma_f32 v[36:37], v[38:39], v[36:37], v[78:79] neg_lo:[0,0,1] neg_hi:[0,0,1]
	v_mov_b32_e32 v37, v81
	s_delay_alu instid0(VALU_DEP_1)
	v_pk_add_f32 v[34:35], v[34:35], v[36:37] neg_lo:[0,1] neg_hi:[0,1]
.LBB160_220:                            ;   in Loop: Header=BB160_3 Depth=1
	s_or_b32 exec_lo, exec_lo, s0
	s_barrier_signal -1
	s_barrier_wait -1
	s_and_saveexec_b32 s0, s64
	s_cbranch_execz .LBB160_222
; %bb.221:                              ;   in Loop: Header=BB160_3 Depth=1
	ds_load_b64 v[36:37], v5 offset:25480
	s_wait_dscnt 0x0
	v_pk_mul_f32 v[38:39], v[34:35], v[36:37] op_sel:[1,1] op_sel_hi:[1,0]
	s_delay_alu instid0(VALU_DEP_1) | instskip(SKIP_1) | instid1(VALU_DEP_2)
	v_pk_fma_f32 v[78:79], v[34:35], v[36:37], v[38:39] op_sel_hi:[0,1,1]
	v_pk_fma_f32 v[34:35], v[34:35], v[36:37], v[38:39] neg_lo:[0,0,1] neg_hi:[0,0,1]
	v_mov_b32_e32 v35, v79
	s_delay_alu instid0(VALU_DEP_1)
	v_pk_add_f32 v[36:37], v[34:35], 0 neg_lo:[1,1] neg_hi:[1,1]
	ds_store_b64 v49, v[36:37]
.LBB160_222:                            ;   in Loop: Header=BB160_3 Depth=1
	;; [unrolled: 35-line block ×3, first 2 shown]
	s_or_b32 exec_lo, exec_lo, s0
	s_wait_dscnt 0x0
	s_barrier_signal -1
	s_barrier_wait -1
	s_barrier_signal -1
	s_barrier_wait -1
	s_and_saveexec_b32 s0, s5
; %bb.227:                              ;   in Loop: Header=BB160_3 Depth=1
	ds_store_b64 v52, v[34:35] offset:32640
; %bb.228:                              ;   in Loop: Header=BB160_3 Depth=1
	s_or_b32 exec_lo, exec_lo, s0
	s_wait_dscnt 0x0
	s_barrier_signal -1
	s_barrier_wait -1
	s_barrier_signal -1
	s_barrier_wait -1
	s_and_saveexec_b32 s0, s14
	s_cbranch_execz .LBB160_230
; %bb.229:                              ;   in Loop: Header=BB160_3 Depth=1
	v_add_nc_u32_e64 v34, 0x1b0, 0
	ds_load_b64 v[38:39], v5 offset:28600
	ds_load_2addr_stride64_b64 v[34:37], v34 offset0:54 offset1:55
	s_wait_dscnt 0x0
	v_dual_mul_f32 v77, v39, v35 :: v_dual_mul_f32 v78, v38, v35
	s_delay_alu instid0(VALU_DEP_1) | instskip(NEXT) | instid1(VALU_DEP_1)
	v_xor_b32_e32 v80, 0x80000000, v77
	v_dual_fmac_f32 v78, v39, v34 :: v_dual_fmac_f32 v80, v38, v34
	s_delay_alu instid0(VALU_DEP_1) | instskip(NEXT) | instid1(VALU_DEP_1)
	v_pk_mul_f32 v[34:35], v[78:79], v[36:37] op_sel:[0,1] op_sel_hi:[0,0]
	v_pk_fma_f32 v[38:39], v[80:81], v[36:37], v[34:35] op_sel_hi:[0,1,1]
	v_pk_fma_f32 v[34:35], v[80:81], v[36:37], v[34:35] neg_lo:[0,0,1] neg_hi:[0,0,1]
	s_delay_alu instid0(VALU_DEP_2)
	v_mov_b32_e32 v35, v39
	ds_store_b64 v5, v[34:35] offset:28592
.LBB160_230:                            ;   in Loop: Header=BB160_3 Depth=1
	s_or_b32 exec_lo, exec_lo, s0
	v_dual_mov_b32 v34, 0 :: v_dual_mov_b32 v35, 0
	s_wait_dscnt 0x0
	s_barrier_signal -1
	s_barrier_wait -1
	global_wb scope:SCOPE_DEV
	s_wait_storecnt 0x0
	global_inv scope:SCOPE_DEV
	s_and_saveexec_b32 s1, s3
	s_cbranch_execz .LBB160_234
; %bb.231:                              ;   in Loop: Header=BB160_3 Depth=1
	ds_load_b64 v[34:35], v41 offset:28064
	ds_load_b64 v[36:37], v42 offset:28592
	s_wait_dscnt 0x0
	v_pk_mul_f32 v[38:39], v[36:37], v[34:35] op_sel:[1,1] op_sel_hi:[0,1]
	s_delay_alu instid0(VALU_DEP_1) | instskip(SKIP_1) | instid1(VALU_DEP_2)
	v_pk_fma_f32 v[78:79], v[36:37], v[34:35], v[38:39] op_sel_hi:[1,0,1]
	v_pk_fma_f32 v[34:35], v[36:37], v[34:35], v[38:39] neg_lo:[0,0,1] neg_hi:[0,0,1]
	v_mov_b32_e32 v35, v79
	s_delay_alu instid0(VALU_DEP_1)
	v_pk_add_f32 v[34:35], v[34:35], 0 op_sel_hi:[1,0]
	s_and_saveexec_b32 s0, s15
	s_cbranch_execz .LBB160_233
; %bb.232:                              ;   in Loop: Header=BB160_3 Depth=1
	ds_load_b64 v[36:37], v43 offset:28576
	ds_load_b64 v[38:39], v5 offset:28600
	s_wait_dscnt 0x0
	v_pk_mul_f32 v[78:79], v[38:39], v[36:37] op_sel:[1,1] op_sel_hi:[0,1]
	s_delay_alu instid0(VALU_DEP_1) | instskip(SKIP_1) | instid1(VALU_DEP_2)
	v_pk_fma_f32 v[80:81], v[38:39], v[36:37], v[78:79] op_sel_hi:[1,0,1]
	v_pk_fma_f32 v[36:37], v[38:39], v[36:37], v[78:79] neg_lo:[0,0,1] neg_hi:[0,0,1]
	v_mov_b32_e32 v37, v81
	s_delay_alu instid0(VALU_DEP_1)
	v_pk_add_f32 v[34:35], v[34:35], v[36:37]
.LBB160_233:                            ;   in Loop: Header=BB160_3 Depth=1
	s_or_b32 exec_lo, exec_lo, s0
.LBB160_234:                            ;   in Loop: Header=BB160_3 Depth=1
	s_delay_alu instid0(SALU_CYCLE_1)
	s_or_b32 exec_lo, exec_lo, s1
	s_and_saveexec_b32 s0, s44
	s_cbranch_execz .LBB160_236
; %bb.235:                              ;   in Loop: Header=BB160_3 Depth=1
	ds_load_b64 v[36:37], v5 offset:27560
	s_wait_dscnt 0x0
	v_pk_mul_f32 v[38:39], v[34:35], v[36:37] op_sel:[1,1] op_sel_hi:[1,0]
	s_delay_alu instid0(VALU_DEP_1) | instskip(SKIP_1) | instid1(VALU_DEP_2)
	v_pk_fma_f32 v[78:79], v[34:35], v[36:37], v[38:39] op_sel_hi:[0,1,1]
	v_pk_fma_f32 v[34:35], v[34:35], v[36:37], v[38:39] neg_lo:[0,0,1] neg_hi:[0,0,1]
	v_mov_b32_e32 v35, v79
	s_delay_alu instid0(VALU_DEP_1)
	v_pk_add_f32 v[36:37], v[34:35], 0 neg_lo:[1,1] neg_hi:[1,1]
	ds_store_b64 v3, v[36:37]
.LBB160_236:                            ;   in Loop: Header=BB160_3 Depth=1
	s_or_b32 exec_lo, exec_lo, s0
	s_wait_loadcnt_dscnt 0x0
	s_barrier_signal -1
	s_barrier_wait -1
	s_and_saveexec_b32 s0, s45
	s_cbranch_execz .LBB160_238
; %bb.237:                              ;   in Loop: Header=BB160_3 Depth=1
	ds_load_b64 v[36:37], v5 offset:27552
	ds_load_b64 v[38:39], v3
	s_wait_dscnt 0x0
	v_pk_mul_f32 v[78:79], v[38:39], v[36:37] op_sel:[1,1] op_sel_hi:[0,1]
	s_delay_alu instid0(VALU_DEP_1) | instskip(SKIP_1) | instid1(VALU_DEP_2)
	v_pk_fma_f32 v[80:81], v[38:39], v[36:37], v[78:79] op_sel_hi:[1,0,1]
	v_pk_fma_f32 v[36:37], v[38:39], v[36:37], v[78:79] neg_lo:[0,0,1] neg_hi:[0,0,1]
	v_mov_b32_e32 v37, v81
	s_delay_alu instid0(VALU_DEP_1)
	v_pk_add_f32 v[34:35], v[34:35], v[36:37] neg_lo:[0,1] neg_hi:[0,1]
.LBB160_238:                            ;   in Loop: Header=BB160_3 Depth=1
	s_or_b32 exec_lo, exec_lo, s0
	s_barrier_signal -1
	s_barrier_wait -1
	s_and_saveexec_b32 s0, s45
	s_cbranch_execz .LBB160_240
; %bb.239:                              ;   in Loop: Header=BB160_3 Depth=1
	ds_load_b64 v[36:37], v5 offset:27040
	s_wait_dscnt 0x0
	v_pk_mul_f32 v[38:39], v[34:35], v[36:37] op_sel:[1,1] op_sel_hi:[1,0]
	s_delay_alu instid0(VALU_DEP_1) | instskip(SKIP_1) | instid1(VALU_DEP_2)
	v_pk_fma_f32 v[78:79], v[34:35], v[36:37], v[38:39] op_sel_hi:[0,1,1]
	v_pk_fma_f32 v[34:35], v[34:35], v[36:37], v[38:39] neg_lo:[0,0,1] neg_hi:[0,0,1]
	v_mov_b32_e32 v35, v79
	s_delay_alu instid0(VALU_DEP_1)
	v_pk_add_f32 v[36:37], v[34:35], 0 neg_lo:[1,1] neg_hi:[1,1]
	ds_store_b64 v3, v[36:37]
.LBB160_240:                            ;   in Loop: Header=BB160_3 Depth=1
	s_or_b32 exec_lo, exec_lo, s0
	s_wait_dscnt 0x0
	s_barrier_signal -1
	s_barrier_wait -1
	s_barrier_signal -1
	s_barrier_wait -1
	s_and_saveexec_b32 s0, s3
; %bb.241:                              ;   in Loop: Header=BB160_3 Depth=1
	ds_store_b64 v44, v[34:35] offset:28576
; %bb.242:                              ;   in Loop: Header=BB160_3 Depth=1
	s_or_b32 exec_lo, exec_lo, s0
	s_wait_dscnt 0x0
	s_barrier_signal -1
	s_barrier_wait -1
	s_barrier_signal -1
	s_barrier_wait -1
	s_and_saveexec_b32 s0, s14
	s_cbranch_execz .LBB160_244
; %bb.243:                              ;   in Loop: Header=BB160_3 Depth=1
	v_add_nc_u32_e64 v34, 0x1a0, 0
	ds_load_b64 v[38:39], v5 offset:27560
	ds_load_2addr_stride64_b64 v[34:37], v34 offset0:52 offset1:53
	s_wait_dscnt 0x0
	v_dual_mul_f32 v77, v39, v35 :: v_dual_mul_f32 v78, v38, v35
	s_delay_alu instid0(VALU_DEP_1) | instskip(NEXT) | instid1(VALU_DEP_1)
	v_xor_b32_e32 v80, 0x80000000, v77
	v_dual_fmac_f32 v78, v39, v34 :: v_dual_fmac_f32 v80, v38, v34
	s_delay_alu instid0(VALU_DEP_1) | instskip(NEXT) | instid1(VALU_DEP_1)
	v_pk_mul_f32 v[34:35], v[78:79], v[36:37] op_sel:[0,1] op_sel_hi:[0,0]
	v_pk_fma_f32 v[38:39], v[80:81], v[36:37], v[34:35] op_sel_hi:[0,1,1]
	v_pk_fma_f32 v[34:35], v[80:81], v[36:37], v[34:35] neg_lo:[0,0,1] neg_hi:[0,0,1]
	s_delay_alu instid0(VALU_DEP_2)
	v_mov_b32_e32 v35, v39
	ds_store_b64 v5, v[34:35] offset:27552
.LBB160_244:                            ;   in Loop: Header=BB160_3 Depth=1
	s_or_b32 exec_lo, exec_lo, s0
	v_mov_b64_e32 v[34:35], 0
	s_wait_dscnt 0x0
	s_barrier_signal -1
	s_barrier_wait -1
	global_wb scope:SCOPE_DEV
	s_wait_storecnt 0x0
	global_inv scope:SCOPE_DEV
	s_and_saveexec_b32 s1, s4
	s_cbranch_execz .LBB160_250
; %bb.245:                              ;   in Loop: Header=BB160_3 Depth=1
	ds_load_b64 v[34:35], v46 offset:27008
	ds_load_b64 v[36:37], v47 offset:28576
	s_wait_dscnt 0x0
	v_dual_mul_f32 v38, v37, v35 :: v_dual_mul_f32 v35, v36, v35
	s_delay_alu instid0(VALU_DEP_1) | instskip(NEXT) | instid1(VALU_DEP_1)
	v_dual_fma_f32 v36, v36, v34, -v38 :: v_dual_fmac_f32 v35, v37, v34
	v_dual_add_f32 v34, 0, v36 :: v_dual_add_f32 v35, 0, v35
	s_and_saveexec_b32 s0, s16
	s_cbranch_execnz .LBB160_1056
; %bb.246:                              ;   in Loop: Header=BB160_3 Depth=1
	s_or_b32 exec_lo, exec_lo, s0
	s_and_saveexec_b32 s0, s17
	s_cbranch_execnz .LBB160_1057
.LBB160_247:                            ;   in Loop: Header=BB160_3 Depth=1
	s_or_b32 exec_lo, exec_lo, s0
	s_and_saveexec_b32 s0, s3
	s_cbranch_execz .LBB160_249
.LBB160_248:                            ;   in Loop: Header=BB160_3 Depth=1
	ds_load_b64 v[36:37], v43 offset:28544
	ds_load_b64 v[38:39], v5 offset:28600
	s_wait_dscnt 0x0
	v_dual_mul_f32 v77, v39, v37 :: v_dual_mul_f32 v37, v38, v37
	s_delay_alu instid0(VALU_DEP_1) | instskip(NEXT) | instid1(VALU_DEP_1)
	v_fmac_f32_e32 v37, v39, v36
	v_dual_fma_f32 v38, v38, v36, -v77 :: v_dual_add_f32 v35, v35, v37
	s_delay_alu instid0(VALU_DEP_1)
	v_add_f32_e32 v34, v34, v38
.LBB160_249:                            ;   in Loop: Header=BB160_3 Depth=1
	s_or_b32 exec_lo, exec_lo, s0
.LBB160_250:                            ;   in Loop: Header=BB160_3 Depth=1
	s_delay_alu instid0(SALU_CYCLE_1)
	s_or_b32 exec_lo, exec_lo, s1
	s_and_saveexec_b32 s0, s46
	s_cbranch_execz .LBB160_252
; %bb.251:                              ;   in Loop: Header=BB160_3 Depth=1
	ds_load_b64 v[36:37], v5 offset:26520
	s_wait_dscnt 0x0
	v_dual_mul_f32 v38, v35, v36 :: v_dual_mul_f32 v78, v35, v37
	s_delay_alu instid0(VALU_DEP_1) | instskip(NEXT) | instid1(VALU_DEP_2)
	v_pk_fma_f32 v[38:39], v[34:35], v[36:37], v[38:39] op_sel:[1,0,0] op_sel_hi:[0,1,0]
	v_pk_fma_f32 v[34:35], v[34:35], v[36:37], v[78:79] op_sel_hi:[1,1,0] neg_lo:[0,0,1] neg_hi:[0,0,1]
	s_delay_alu instid0(VALU_DEP_2) | instskip(NEXT) | instid1(VALU_DEP_1)
	v_mov_b32_e32 v35, v39
	v_pk_add_f32 v[36:37], v[34:35], 0 neg_lo:[1,1] neg_hi:[1,1]
	ds_store_b64 v45, v[36:37]
.LBB160_252:                            ;   in Loop: Header=BB160_3 Depth=1
	s_or_b32 exec_lo, exec_lo, s0
	s_wait_loadcnt_dscnt 0x0
	s_barrier_signal -1
	s_barrier_wait -1
	s_and_saveexec_b32 s0, s47
	s_cbranch_execz .LBB160_254
; %bb.253:                              ;   in Loop: Header=BB160_3 Depth=1
	ds_load_b64 v[36:37], v46 offset:26496
	ds_load_b64 v[38:39], v45
	s_wait_dscnt 0x0
	v_pk_mul_f32 v[78:79], v[38:39], v[36:37] op_sel:[1,1] op_sel_hi:[0,1]
	s_delay_alu instid0(VALU_DEP_1) | instskip(SKIP_1) | instid1(VALU_DEP_2)
	v_pk_fma_f32 v[80:81], v[38:39], v[36:37], v[78:79] op_sel_hi:[1,0,1]
	v_pk_fma_f32 v[36:37], v[38:39], v[36:37], v[78:79] neg_lo:[0,0,1] neg_hi:[0,0,1]
	v_mov_b32_e32 v37, v81
	s_delay_alu instid0(VALU_DEP_1)
	v_pk_add_f32 v[34:35], v[34:35], v[36:37] neg_lo:[0,1] neg_hi:[0,1]
.LBB160_254:                            ;   in Loop: Header=BB160_3 Depth=1
	s_or_b32 exec_lo, exec_lo, s0
	s_barrier_signal -1
	s_barrier_wait -1
	s_and_saveexec_b32 s0, s48
	s_cbranch_execz .LBB160_256
; %bb.255:                              ;   in Loop: Header=BB160_3 Depth=1
	ds_load_b64 v[36:37], v5 offset:26000
	s_wait_dscnt 0x0
	v_pk_mul_f32 v[38:39], v[34:35], v[36:37] op_sel:[1,1] op_sel_hi:[1,0]
	s_delay_alu instid0(VALU_DEP_1) | instskip(SKIP_1) | instid1(VALU_DEP_2)
	v_pk_fma_f32 v[78:79], v[34:35], v[36:37], v[38:39] op_sel_hi:[0,1,1]
	v_pk_fma_f32 v[34:35], v[34:35], v[36:37], v[38:39] neg_lo:[0,0,1] neg_hi:[0,0,1]
	v_mov_b32_e32 v35, v79
	s_delay_alu instid0(VALU_DEP_1)
	v_pk_add_f32 v[36:37], v[34:35], 0 neg_lo:[1,1] neg_hi:[1,1]
	ds_store_b64 v45, v[36:37]
.LBB160_256:                            ;   in Loop: Header=BB160_3 Depth=1
	s_or_b32 exec_lo, exec_lo, s0
	s_wait_dscnt 0x0
	s_barrier_signal -1
	s_barrier_wait -1
	s_and_saveexec_b32 s0, s49
	s_cbranch_execz .LBB160_258
; %bb.257:                              ;   in Loop: Header=BB160_3 Depth=1
	ds_load_b64 v[36:37], v46 offset:25984
	ds_load_b64 v[38:39], v45
	s_wait_dscnt 0x0
	v_pk_mul_f32 v[78:79], v[38:39], v[36:37] op_sel:[1,1] op_sel_hi:[0,1]
	s_delay_alu instid0(VALU_DEP_1) | instskip(SKIP_1) | instid1(VALU_DEP_2)
	v_pk_fma_f32 v[80:81], v[38:39], v[36:37], v[78:79] op_sel_hi:[1,0,1]
	v_pk_fma_f32 v[36:37], v[38:39], v[36:37], v[78:79] neg_lo:[0,0,1] neg_hi:[0,0,1]
	v_mov_b32_e32 v37, v81
	s_delay_alu instid0(VALU_DEP_1)
	v_pk_add_f32 v[34:35], v[34:35], v[36:37] neg_lo:[0,1] neg_hi:[0,1]
.LBB160_258:                            ;   in Loop: Header=BB160_3 Depth=1
	s_or_b32 exec_lo, exec_lo, s0
	s_barrier_signal -1
	s_barrier_wait -1
	s_and_saveexec_b32 s0, s50
	s_cbranch_execz .LBB160_260
; %bb.259:                              ;   in Loop: Header=BB160_3 Depth=1
	ds_load_b64 v[36:37], v5 offset:25480
	s_wait_dscnt 0x0
	v_pk_mul_f32 v[38:39], v[34:35], v[36:37] op_sel:[1,1] op_sel_hi:[1,0]
	s_delay_alu instid0(VALU_DEP_1) | instskip(SKIP_1) | instid1(VALU_DEP_2)
	v_pk_fma_f32 v[78:79], v[34:35], v[36:37], v[38:39] op_sel_hi:[0,1,1]
	v_pk_fma_f32 v[34:35], v[34:35], v[36:37], v[38:39] neg_lo:[0,0,1] neg_hi:[0,0,1]
	v_mov_b32_e32 v35, v79
	s_delay_alu instid0(VALU_DEP_1)
	v_pk_add_f32 v[36:37], v[34:35], 0 neg_lo:[1,1] neg_hi:[1,1]
	ds_store_b64 v45, v[36:37]
.LBB160_260:                            ;   in Loop: Header=BB160_3 Depth=1
	s_or_b32 exec_lo, exec_lo, s0
	s_wait_dscnt 0x0
	s_barrier_signal -1
	s_barrier_wait -1
	s_and_saveexec_b32 s0, s51
	s_cbranch_execz .LBB160_262
; %bb.261:                              ;   in Loop: Header=BB160_3 Depth=1
	ds_load_b64 v[36:37], v5 offset:25472
	ds_load_b64 v[38:39], v45
	s_wait_dscnt 0x0
	v_pk_mul_f32 v[78:79], v[38:39], v[36:37] op_sel:[1,1] op_sel_hi:[0,1]
	s_delay_alu instid0(VALU_DEP_1) | instskip(SKIP_1) | instid1(VALU_DEP_2)
	v_pk_fma_f32 v[80:81], v[38:39], v[36:37], v[78:79] op_sel_hi:[1,0,1]
	v_pk_fma_f32 v[36:37], v[38:39], v[36:37], v[78:79] neg_lo:[0,0,1] neg_hi:[0,0,1]
	v_mov_b32_e32 v37, v81
	s_delay_alu instid0(VALU_DEP_1)
	v_pk_add_f32 v[34:35], v[34:35], v[36:37] neg_lo:[0,1] neg_hi:[0,1]
.LBB160_262:                            ;   in Loop: Header=BB160_3 Depth=1
	s_or_b32 exec_lo, exec_lo, s0
	s_barrier_signal -1
	s_barrier_wait -1
	s_and_saveexec_b32 s0, s51
	s_cbranch_execz .LBB160_264
; %bb.263:                              ;   in Loop: Header=BB160_3 Depth=1
	ds_load_b64 v[36:37], v5 offset:24960
	s_wait_dscnt 0x0
	v_pk_mul_f32 v[38:39], v[34:35], v[36:37] op_sel:[1,1] op_sel_hi:[1,0]
	s_delay_alu instid0(VALU_DEP_1) | instskip(SKIP_1) | instid1(VALU_DEP_2)
	v_pk_fma_f32 v[78:79], v[34:35], v[36:37], v[38:39] op_sel_hi:[0,1,1]
	v_pk_fma_f32 v[34:35], v[34:35], v[36:37], v[38:39] neg_lo:[0,0,1] neg_hi:[0,0,1]
	v_mov_b32_e32 v35, v79
	s_delay_alu instid0(VALU_DEP_1)
	v_pk_add_f32 v[36:37], v[34:35], 0 neg_lo:[1,1] neg_hi:[1,1]
	ds_store_b64 v45, v[36:37]
.LBB160_264:                            ;   in Loop: Header=BB160_3 Depth=1
	s_or_b32 exec_lo, exec_lo, s0
	s_wait_dscnt 0x0
	s_barrier_signal -1
	s_barrier_wait -1
	s_barrier_signal -1
	s_barrier_wait -1
	s_and_saveexec_b32 s0, s4
; %bb.265:                              ;   in Loop: Header=BB160_3 Depth=1
	ds_store_b64 v48, v[34:35] offset:28544
; %bb.266:                              ;   in Loop: Header=BB160_3 Depth=1
	s_or_b32 exec_lo, exec_lo, s0
	s_wait_dscnt 0x0
	s_barrier_signal -1
	s_barrier_wait -1
	s_barrier_signal -1
	s_barrier_wait -1
	s_and_saveexec_b32 s0, s14
	s_cbranch_execz .LBB160_268
; %bb.267:                              ;   in Loop: Header=BB160_3 Depth=1
	v_add_nc_u32_e64 v34, 0x190, 0
	ds_load_b64 v[38:39], v5 offset:26520
	ds_load_2addr_stride64_b64 v[34:37], v34 offset0:50 offset1:51
	s_wait_dscnt 0x0
	v_dual_mul_f32 v77, v39, v35 :: v_dual_mul_f32 v78, v38, v35
	s_delay_alu instid0(VALU_DEP_1) | instskip(NEXT) | instid1(VALU_DEP_1)
	v_xor_b32_e32 v80, 0x80000000, v77
	v_dual_fmac_f32 v78, v39, v34 :: v_dual_fmac_f32 v80, v38, v34
	s_delay_alu instid0(VALU_DEP_1) | instskip(NEXT) | instid1(VALU_DEP_1)
	v_pk_mul_f32 v[34:35], v[78:79], v[36:37] op_sel:[0,1] op_sel_hi:[0,0]
	v_pk_fma_f32 v[38:39], v[80:81], v[36:37], v[34:35] op_sel_hi:[0,1,1]
	v_pk_fma_f32 v[34:35], v[80:81], v[36:37], v[34:35] neg_lo:[0,0,1] neg_hi:[0,0,1]
	s_delay_alu instid0(VALU_DEP_2)
	v_mov_b32_e32 v35, v39
	ds_store_b64 v5, v[34:35] offset:26512
.LBB160_268:                            ;   in Loop: Header=BB160_3 Depth=1
	s_or_b32 exec_lo, exec_lo, s0
	v_dual_mov_b32 v34, 0 :: v_dual_mov_b32 v35, 0
	s_wait_dscnt 0x0
	s_barrier_signal -1
	s_barrier_wait -1
	global_wb scope:SCOPE_DEV
	s_wait_storecnt 0x0
	global_inv scope:SCOPE_DEV
	s_and_saveexec_b32 s1, s3
	s_cbranch_execz .LBB160_272
; %bb.269:                              ;   in Loop: Header=BB160_3 Depth=1
	ds_load_b64 v[34:35], v41 offset:25984
	ds_load_b64 v[36:37], v42 offset:26512
	s_wait_dscnt 0x0
	v_pk_mul_f32 v[38:39], v[36:37], v[34:35] op_sel:[1,1] op_sel_hi:[0,1]
	s_delay_alu instid0(VALU_DEP_1) | instskip(SKIP_1) | instid1(VALU_DEP_2)
	v_pk_fma_f32 v[78:79], v[36:37], v[34:35], v[38:39] op_sel_hi:[1,0,1]
	v_pk_fma_f32 v[34:35], v[36:37], v[34:35], v[38:39] neg_lo:[0,0,1] neg_hi:[0,0,1]
	v_mov_b32_e32 v35, v79
	s_delay_alu instid0(VALU_DEP_1)
	v_pk_add_f32 v[34:35], v[34:35], 0 op_sel_hi:[1,0]
	s_and_saveexec_b32 s0, s15
	s_cbranch_execz .LBB160_271
; %bb.270:                              ;   in Loop: Header=BB160_3 Depth=1
	ds_load_b64 v[36:37], v43 offset:26496
	ds_load_b64 v[38:39], v5 offset:26520
	s_wait_dscnt 0x0
	v_pk_mul_f32 v[78:79], v[38:39], v[36:37] op_sel:[1,1] op_sel_hi:[0,1]
	s_delay_alu instid0(VALU_DEP_1) | instskip(SKIP_1) | instid1(VALU_DEP_2)
	v_pk_fma_f32 v[80:81], v[38:39], v[36:37], v[78:79] op_sel_hi:[1,0,1]
	v_pk_fma_f32 v[36:37], v[38:39], v[36:37], v[78:79] neg_lo:[0,0,1] neg_hi:[0,0,1]
	v_mov_b32_e32 v37, v81
	s_delay_alu instid0(VALU_DEP_1)
	v_pk_add_f32 v[34:35], v[34:35], v[36:37]
.LBB160_271:                            ;   in Loop: Header=BB160_3 Depth=1
	s_or_b32 exec_lo, exec_lo, s0
.LBB160_272:                            ;   in Loop: Header=BB160_3 Depth=1
	s_delay_alu instid0(SALU_CYCLE_1)
	s_or_b32 exec_lo, exec_lo, s1
	s_and_saveexec_b32 s0, s44
	s_cbranch_execz .LBB160_274
; %bb.273:                              ;   in Loop: Header=BB160_3 Depth=1
	ds_load_b64 v[36:37], v5 offset:25480
	s_wait_dscnt 0x0
	v_pk_mul_f32 v[38:39], v[34:35], v[36:37] op_sel:[1,1] op_sel_hi:[1,0]
	s_delay_alu instid0(VALU_DEP_1) | instskip(SKIP_1) | instid1(VALU_DEP_2)
	v_pk_fma_f32 v[78:79], v[34:35], v[36:37], v[38:39] op_sel_hi:[0,1,1]
	v_pk_fma_f32 v[34:35], v[34:35], v[36:37], v[38:39] neg_lo:[0,0,1] neg_hi:[0,0,1]
	v_mov_b32_e32 v35, v79
	s_delay_alu instid0(VALU_DEP_1)
	v_pk_add_f32 v[36:37], v[34:35], 0 neg_lo:[1,1] neg_hi:[1,1]
	ds_store_b64 v3, v[36:37]
.LBB160_274:                            ;   in Loop: Header=BB160_3 Depth=1
	s_or_b32 exec_lo, exec_lo, s0
	s_wait_loadcnt_dscnt 0x0
	s_barrier_signal -1
	s_barrier_wait -1
	s_and_saveexec_b32 s0, s45
	s_cbranch_execz .LBB160_276
; %bb.275:                              ;   in Loop: Header=BB160_3 Depth=1
	ds_load_b64 v[36:37], v5 offset:25472
	ds_load_b64 v[38:39], v3
	s_wait_dscnt 0x0
	v_pk_mul_f32 v[78:79], v[38:39], v[36:37] op_sel:[1,1] op_sel_hi:[0,1]
	s_delay_alu instid0(VALU_DEP_1) | instskip(SKIP_1) | instid1(VALU_DEP_2)
	v_pk_fma_f32 v[80:81], v[38:39], v[36:37], v[78:79] op_sel_hi:[1,0,1]
	v_pk_fma_f32 v[36:37], v[38:39], v[36:37], v[78:79] neg_lo:[0,0,1] neg_hi:[0,0,1]
	v_mov_b32_e32 v37, v81
	s_delay_alu instid0(VALU_DEP_1)
	v_pk_add_f32 v[34:35], v[34:35], v[36:37] neg_lo:[0,1] neg_hi:[0,1]
.LBB160_276:                            ;   in Loop: Header=BB160_3 Depth=1
	s_or_b32 exec_lo, exec_lo, s0
	s_barrier_signal -1
	s_barrier_wait -1
	s_and_saveexec_b32 s0, s45
	s_cbranch_execz .LBB160_278
; %bb.277:                              ;   in Loop: Header=BB160_3 Depth=1
	ds_load_b64 v[36:37], v5 offset:24960
	s_wait_dscnt 0x0
	v_pk_mul_f32 v[38:39], v[34:35], v[36:37] op_sel:[1,1] op_sel_hi:[1,0]
	s_delay_alu instid0(VALU_DEP_1) | instskip(SKIP_1) | instid1(VALU_DEP_2)
	v_pk_fma_f32 v[78:79], v[34:35], v[36:37], v[38:39] op_sel_hi:[0,1,1]
	v_pk_fma_f32 v[34:35], v[34:35], v[36:37], v[38:39] neg_lo:[0,0,1] neg_hi:[0,0,1]
	v_mov_b32_e32 v35, v79
	s_delay_alu instid0(VALU_DEP_1)
	v_pk_add_f32 v[36:37], v[34:35], 0 neg_lo:[1,1] neg_hi:[1,1]
	ds_store_b64 v3, v[36:37]
.LBB160_278:                            ;   in Loop: Header=BB160_3 Depth=1
	s_or_b32 exec_lo, exec_lo, s0
	s_wait_dscnt 0x0
	s_barrier_signal -1
	s_barrier_wait -1
	s_barrier_signal -1
	s_barrier_wait -1
	s_and_saveexec_b32 s0, s3
; %bb.279:                              ;   in Loop: Header=BB160_3 Depth=1
	ds_store_b64 v44, v[34:35] offset:26496
; %bb.280:                              ;   in Loop: Header=BB160_3 Depth=1
	s_or_b32 exec_lo, exec_lo, s0
	s_wait_dscnt 0x0
	s_barrier_signal -1
	s_barrier_wait -1
	s_barrier_signal -1
	s_barrier_wait -1
	s_and_saveexec_b32 s0, s14
	s_cbranch_execz .LBB160_282
; %bb.281:                              ;   in Loop: Header=BB160_3 Depth=1
	v_add_nc_u32_e64 v34, 0x180, 0
	ds_load_b64 v[38:39], v5 offset:25480
	ds_load_2addr_stride64_b64 v[34:37], v34 offset0:48 offset1:49
	s_wait_dscnt 0x0
	v_dual_mul_f32 v77, v39, v35 :: v_dual_mul_f32 v78, v38, v35
	s_delay_alu instid0(VALU_DEP_1) | instskip(NEXT) | instid1(VALU_DEP_1)
	v_xor_b32_e32 v80, 0x80000000, v77
	v_dual_fmac_f32 v78, v39, v34 :: v_dual_fmac_f32 v80, v38, v34
	s_delay_alu instid0(VALU_DEP_1) | instskip(NEXT) | instid1(VALU_DEP_1)
	v_pk_mul_f32 v[34:35], v[78:79], v[36:37] op_sel:[0,1] op_sel_hi:[0,0]
	v_pk_fma_f32 v[38:39], v[80:81], v[36:37], v[34:35] op_sel_hi:[0,1,1]
	v_pk_fma_f32 v[34:35], v[80:81], v[36:37], v[34:35] neg_lo:[0,0,1] neg_hi:[0,0,1]
	s_delay_alu instid0(VALU_DEP_2)
	v_mov_b32_e32 v35, v39
	ds_store_b64 v5, v[34:35] offset:25472
.LBB160_282:                            ;   in Loop: Header=BB160_3 Depth=1
	s_or_b32 exec_lo, exec_lo, s0
	v_mov_b64_e32 v[34:35], 0
	s_wait_dscnt 0x0
	s_barrier_signal -1
	s_barrier_wait -1
	global_wb scope:SCOPE_DEV
	s_wait_storecnt 0x0
	global_inv scope:SCOPE_DEV
	s_and_saveexec_b32 s70, s6
	s_cbranch_execz .LBB160_310
; %bb.283:                              ;   in Loop: Header=BB160_3 Depth=1
	ds_load_b64 v[34:35], v54 offset:24832
	ds_load_b64 v[36:37], v55 offset:32640
	s_wait_dscnt 0x0
	v_dual_mul_f32 v38, v37, v35 :: v_dual_mul_f32 v35, v36, v35
	s_delay_alu instid0(VALU_DEP_1) | instskip(NEXT) | instid1(VALU_DEP_1)
	v_dual_fma_f32 v36, v36, v34, -v38 :: v_dual_fmac_f32 v35, v37, v34
	v_dual_add_f32 v34, 0, v36 :: v_dual_add_f32 v35, 0, v35
	s_mov_b32 s0, exec_lo
	v_readlane_b32 s1, v87, 0
	s_and_b32 s1, s0, s1
	s_delay_alu instid0(SALU_CYCLE_1)
	s_mov_b32 exec_lo, s1
	s_cbranch_execz .LBB160_285
; %bb.284:                              ;   in Loop: Header=BB160_3 Depth=1
	ds_load_b64 v[36:37], v54 offset:25344
	ds_load_b64 v[38:39], v55 offset:32648
	s_wait_dscnt 0x0
	v_dual_mul_f32 v77, v39, v37 :: v_dual_mul_f32 v37, v38, v37
	s_delay_alu instid0(VALU_DEP_1) | instskip(NEXT) | instid1(VALU_DEP_1)
	v_fmac_f32_e32 v37, v39, v36
	v_dual_fma_f32 v38, v38, v36, -v77 :: v_dual_add_f32 v35, v35, v37
	s_delay_alu instid0(VALU_DEP_1)
	v_add_f32_e32 v34, v34, v38
.LBB160_285:                            ;   in Loop: Header=BB160_3 Depth=1
	s_or_b32 exec_lo, exec_lo, s0
	s_delay_alu instid0(SALU_CYCLE_1) | instskip(SKIP_2) | instid1(SALU_CYCLE_1)
	s_mov_b32 s0, exec_lo
	v_readlane_b32 s1, v87, 1
	s_and_b32 s1, s0, s1
	s_mov_b32 exec_lo, s1
	s_cbranch_execz .LBB160_287
; %bb.286:                              ;   in Loop: Header=BB160_3 Depth=1
	ds_load_b64 v[36:37], v54 offset:25856
	ds_load_b64 v[38:39], v55 offset:32656
	s_wait_dscnt 0x0
	v_dual_mul_f32 v77, v39, v37 :: v_dual_mul_f32 v37, v38, v37
	s_delay_alu instid0(VALU_DEP_1) | instskip(NEXT) | instid1(VALU_DEP_1)
	v_fmac_f32_e32 v37, v39, v36
	v_dual_fma_f32 v38, v38, v36, -v77 :: v_dual_add_f32 v35, v35, v37
	s_delay_alu instid0(VALU_DEP_1)
	v_add_f32_e32 v34, v34, v38
.LBB160_287:                            ;   in Loop: Header=BB160_3 Depth=1
	s_or_b32 exec_lo, exec_lo, s0
	s_delay_alu instid0(SALU_CYCLE_1) | instskip(SKIP_2) | instid1(SALU_CYCLE_1)
	s_mov_b32 s0, exec_lo
	v_readlane_b32 s1, v87, 2
	s_and_b32 s1, s0, s1
	;; [unrolled: 18-line block ×10, first 2 shown]
	s_mov_b32 exec_lo, s1
	s_cbranch_execnz .LBB160_1058
; %bb.304:                              ;   in Loop: Header=BB160_3 Depth=1
	s_or_b32 exec_lo, exec_lo, s0
	s_and_saveexec_b32 s0, s5
	s_cbranch_execnz .LBB160_1059
.LBB160_305:                            ;   in Loop: Header=BB160_3 Depth=1
	s_or_b32 exec_lo, exec_lo, s0
	s_and_saveexec_b32 s0, s19
	s_cbranch_execnz .LBB160_1060
.LBB160_306:                            ;   in Loop: Header=BB160_3 Depth=1
	s_or_b32 exec_lo, exec_lo, s0
	s_and_saveexec_b32 s0, s21
	s_cbranch_execnz .LBB160_1061
.LBB160_307:                            ;   in Loop: Header=BB160_3 Depth=1
	s_or_b32 exec_lo, exec_lo, s0
	s_and_saveexec_b32 s0, s4
	s_cbranch_execz .LBB160_309
.LBB160_308:                            ;   in Loop: Header=BB160_3 Depth=1
	ds_load_b64 v[36:37], v43 offset:32512
	ds_load_b64 v[38:39], v5 offset:32760
	s_wait_dscnt 0x0
	v_dual_mul_f32 v77, v39, v37 :: v_dual_mul_f32 v79, v38, v37
	s_delay_alu instid0(VALU_DEP_1) | instskip(NEXT) | instid1(VALU_DEP_1)
	v_dual_fma_f32 v78, v38, v36, -v77 :: v_dual_fmac_f32 v79, v39, v36
	v_pk_add_f32 v[34:35], v[34:35], v[78:79]
.LBB160_309:                            ;   in Loop: Header=BB160_3 Depth=1
	s_or_b32 exec_lo, exec_lo, s0
.LBB160_310:                            ;   in Loop: Header=BB160_3 Depth=1
	s_delay_alu instid0(SALU_CYCLE_1) | instskip(NEXT) | instid1(SALU_CYCLE_1)
	s_or_b32 exec_lo, exec_lo, s70
	s_mov_b32 s0, exec_lo
	v_readlane_b32 s1, v88, 1
	s_and_b32 s1, s0, s1
	s_delay_alu instid0(SALU_CYCLE_1)
	s_mov_b32 exec_lo, s1
	s_cbranch_execz .LBB160_312
; %bb.311:                              ;   in Loop: Header=BB160_3 Depth=1
	ds_load_b64 v[36:37], v5 offset:24440
	s_wait_dscnt 0x0
	v_pk_mul_f32 v[38:39], v[34:35], v[36:37] op_sel:[1,1] op_sel_hi:[1,0]
	s_delay_alu instid0(VALU_DEP_1) | instskip(SKIP_1) | instid1(VALU_DEP_2)
	v_pk_fma_f32 v[78:79], v[34:35], v[36:37], v[38:39] op_sel_hi:[0,1,1]
	v_pk_fma_f32 v[34:35], v[34:35], v[36:37], v[38:39] neg_lo:[0,0,1] neg_hi:[0,0,1]
	v_mov_b32_e32 v35, v79
	s_delay_alu instid0(VALU_DEP_1)
	v_pk_add_f32 v[36:37], v[34:35], 0 neg_lo:[1,1] neg_hi:[1,1]
	ds_store_b64 v53, v[36:37]
.LBB160_312:                            ;   in Loop: Header=BB160_3 Depth=1
	s_or_b32 exec_lo, exec_lo, s0
	s_wait_loadcnt_dscnt 0x0
	s_barrier_signal -1
	s_barrier_wait -1
	s_mov_b32 s0, exec_lo
	v_readlane_b32 s1, v88, 2
	s_and_b32 s1, s0, s1
	s_delay_alu instid0(SALU_CYCLE_1)
	s_mov_b32 exec_lo, s1
	s_cbranch_execz .LBB160_314
; %bb.313:                              ;   in Loop: Header=BB160_3 Depth=1
	ds_load_b64 v[36:37], v54 offset:24320
	ds_load_b64 v[38:39], v53
	s_wait_dscnt 0x0
	v_pk_mul_f32 v[78:79], v[38:39], v[36:37] op_sel:[1,1] op_sel_hi:[0,1]
	s_delay_alu instid0(VALU_DEP_1) | instskip(SKIP_1) | instid1(VALU_DEP_2)
	v_pk_fma_f32 v[80:81], v[38:39], v[36:37], v[78:79] op_sel_hi:[1,0,1]
	v_pk_fma_f32 v[36:37], v[38:39], v[36:37], v[78:79] neg_lo:[0,0,1] neg_hi:[0,0,1]
	v_mov_b32_e32 v37, v81
	s_delay_alu instid0(VALU_DEP_1)
	v_pk_add_f32 v[34:35], v[34:35], v[36:37] neg_lo:[0,1] neg_hi:[0,1]
.LBB160_314:                            ;   in Loop: Header=BB160_3 Depth=1
	s_or_b32 exec_lo, exec_lo, s0
	s_barrier_signal -1
	s_barrier_wait -1
	s_mov_b32 s0, exec_lo
	v_readlane_b32 s1, v88, 3
	s_and_b32 s1, s0, s1
	s_delay_alu instid0(SALU_CYCLE_1)
	s_mov_b32 exec_lo, s1
	s_cbranch_execz .LBB160_316
; %bb.315:                              ;   in Loop: Header=BB160_3 Depth=1
	ds_load_b64 v[36:37], v5 offset:23920
	s_wait_dscnt 0x0
	v_pk_mul_f32 v[38:39], v[34:35], v[36:37] op_sel:[1,1] op_sel_hi:[1,0]
	s_delay_alu instid0(VALU_DEP_1) | instskip(SKIP_1) | instid1(VALU_DEP_2)
	v_pk_fma_f32 v[78:79], v[34:35], v[36:37], v[38:39] op_sel_hi:[0,1,1]
	v_pk_fma_f32 v[34:35], v[34:35], v[36:37], v[38:39] neg_lo:[0,0,1] neg_hi:[0,0,1]
	v_mov_b32_e32 v35, v79
	s_delay_alu instid0(VALU_DEP_1)
	v_pk_add_f32 v[36:37], v[34:35], 0 neg_lo:[1,1] neg_hi:[1,1]
	ds_store_b64 v53, v[36:37]
.LBB160_316:                            ;   in Loop: Header=BB160_3 Depth=1
	s_or_b32 exec_lo, exec_lo, s0
	s_wait_dscnt 0x0
	s_barrier_signal -1
	s_barrier_wait -1
	s_mov_b32 s0, exec_lo
	v_readlane_b32 s1, v88, 4
	s_and_b32 s1, s0, s1
	s_delay_alu instid0(SALU_CYCLE_1)
	s_mov_b32 exec_lo, s1
	s_cbranch_execz .LBB160_318
; %bb.317:                              ;   in Loop: Header=BB160_3 Depth=1
	ds_load_b64 v[36:37], v54 offset:23808
	ds_load_b64 v[38:39], v53
	s_wait_dscnt 0x0
	v_pk_mul_f32 v[78:79], v[38:39], v[36:37] op_sel:[1,1] op_sel_hi:[0,1]
	s_delay_alu instid0(VALU_DEP_1) | instskip(SKIP_1) | instid1(VALU_DEP_2)
	v_pk_fma_f32 v[80:81], v[38:39], v[36:37], v[78:79] op_sel_hi:[1,0,1]
	v_pk_fma_f32 v[36:37], v[38:39], v[36:37], v[78:79] neg_lo:[0,0,1] neg_hi:[0,0,1]
	v_mov_b32_e32 v37, v81
	s_delay_alu instid0(VALU_DEP_1)
	v_pk_add_f32 v[34:35], v[34:35], v[36:37] neg_lo:[0,1] neg_hi:[0,1]
.LBB160_318:                            ;   in Loop: Header=BB160_3 Depth=1
	s_or_b32 exec_lo, exec_lo, s0
	s_barrier_signal -1
	s_barrier_wait -1
	s_mov_b32 s0, exec_lo
	v_readlane_b32 s1, v88, 5
	s_and_b32 s1, s0, s1
	s_delay_alu instid0(SALU_CYCLE_1)
	s_mov_b32 exec_lo, s1
	s_cbranch_execz .LBB160_320
; %bb.319:                              ;   in Loop: Header=BB160_3 Depth=1
	ds_load_b64 v[36:37], v5 offset:23400
	s_wait_dscnt 0x0
	v_pk_mul_f32 v[38:39], v[34:35], v[36:37] op_sel:[1,1] op_sel_hi:[1,0]
	s_delay_alu instid0(VALU_DEP_1) | instskip(SKIP_1) | instid1(VALU_DEP_2)
	v_pk_fma_f32 v[78:79], v[34:35], v[36:37], v[38:39] op_sel_hi:[0,1,1]
	v_pk_fma_f32 v[34:35], v[34:35], v[36:37], v[38:39] neg_lo:[0,0,1] neg_hi:[0,0,1]
	v_mov_b32_e32 v35, v79
	s_delay_alu instid0(VALU_DEP_1)
	v_pk_add_f32 v[36:37], v[34:35], 0 neg_lo:[1,1] neg_hi:[1,1]
	ds_store_b64 v53, v[36:37]
.LBB160_320:                            ;   in Loop: Header=BB160_3 Depth=1
	s_or_b32 exec_lo, exec_lo, s0
	s_wait_dscnt 0x0
	s_barrier_signal -1
	s_barrier_wait -1
	s_mov_b32 s0, exec_lo
	v_readlane_b32 s1, v88, 6
	s_and_b32 s1, s0, s1
	s_delay_alu instid0(SALU_CYCLE_1)
	s_mov_b32 exec_lo, s1
	s_cbranch_execz .LBB160_322
; %bb.321:                              ;   in Loop: Header=BB160_3 Depth=1
	ds_load_b64 v[36:37], v54 offset:23296
	ds_load_b64 v[38:39], v53
	s_wait_dscnt 0x0
	v_pk_mul_f32 v[78:79], v[38:39], v[36:37] op_sel:[1,1] op_sel_hi:[0,1]
	s_delay_alu instid0(VALU_DEP_1) | instskip(SKIP_1) | instid1(VALU_DEP_2)
	v_pk_fma_f32 v[80:81], v[38:39], v[36:37], v[78:79] op_sel_hi:[1,0,1]
	v_pk_fma_f32 v[36:37], v[38:39], v[36:37], v[78:79] neg_lo:[0,0,1] neg_hi:[0,0,1]
	v_mov_b32_e32 v37, v81
	s_delay_alu instid0(VALU_DEP_1)
	v_pk_add_f32 v[34:35], v[34:35], v[36:37] neg_lo:[0,1] neg_hi:[0,1]
.LBB160_322:                            ;   in Loop: Header=BB160_3 Depth=1
	s_or_b32 exec_lo, exec_lo, s0
	s_delay_alu instid0(VALU_DEP_1)
	v_dual_mov_b32 v36, v35 :: v_dual_mov_b32 v37, v34
	s_barrier_signal -1
	s_barrier_wait -1
	s_mov_b32 s0, exec_lo
	v_readlane_b32 s1, v88, 7
	s_and_b32 s1, s0, s1
	s_delay_alu instid0(SALU_CYCLE_1)
	s_mov_b32 exec_lo, s1
	s_cbranch_execz .LBB160_324
; %bb.323:                              ;   in Loop: Header=BB160_3 Depth=1
	ds_load_b64 v[38:39], v5 offset:22880
	s_wait_dscnt 0x0
	v_dual_mul_f32 v78, v37, v39 :: v_dual_mul_f32 v80, v35, v39
	s_delay_alu instid0(VALU_DEP_1) | instskip(NEXT) | instid1(VALU_DEP_2)
	v_pk_fma_f32 v[36:37], v[36:37], v[38:39], v[78:79] op_sel_hi:[1,1,0]
	v_pk_fma_f32 v[34:35], v[34:35], v[38:39], v[80:81] op_sel_hi:[1,1,0] neg_lo:[0,0,1] neg_hi:[0,0,1]
	s_delay_alu instid0(VALU_DEP_1) | instskip(NEXT) | instid1(VALU_DEP_1)
	v_dual_mov_b32 v35, v36 :: v_dual_mov_b32 v37, v34
	v_pk_add_f32 v[38:39], v[34:35], 0 neg_lo:[1,1] neg_hi:[1,1]
	ds_store_b64 v53, v[38:39]
.LBB160_324:                            ;   in Loop: Header=BB160_3 Depth=1
	s_or_b32 exec_lo, exec_lo, s0
	s_wait_dscnt 0x0
	s_barrier_signal -1
	s_barrier_wait -1
	s_and_saveexec_b32 s0, s29
	s_cbranch_execz .LBB160_326
; %bb.325:                              ;   in Loop: Header=BB160_3 Depth=1
	ds_load_b64 v[34:35], v54 offset:22784
	ds_load_b64 v[38:39], v53
	s_wait_dscnt 0x0
	v_dual_mul_f32 v77, v39, v35 :: v_dual_mul_f32 v78, v38, v35
	s_delay_alu instid0(VALU_DEP_1) | instskip(NEXT) | instid1(VALU_DEP_1)
	v_dual_fma_f32 v79, v38, v34, -v77 :: v_dual_fmac_f32 v78, v39, v34
	v_pk_add_f32 v[36:37], v[36:37], v[78:79] neg_lo:[0,1] neg_hi:[0,1]
.LBB160_326:                            ;   in Loop: Header=BB160_3 Depth=1
	s_or_b32 exec_lo, exec_lo, s0
	s_barrier_signal -1
	s_barrier_wait -1
	s_and_saveexec_b32 s0, s31
	s_cbranch_execz .LBB160_328
; %bb.327:                              ;   in Loop: Header=BB160_3 Depth=1
	ds_load_b64 v[34:35], v5 offset:22360
	s_wait_dscnt 0x0
	v_pk_mul_f32 v[38:39], v[36:37], v[34:35] op_sel_hi:[0,1]
	s_delay_alu instid0(VALU_DEP_1) | instskip(SKIP_1) | instid1(VALU_DEP_2)
	v_pk_fma_f32 v[78:79], v[36:37], v[34:35], v[38:39] op_sel:[1,1,0] op_sel_hi:[1,0,1] neg_lo:[0,0,1] neg_hi:[0,0,1]
	v_pk_fma_f32 v[36:37], v[36:37], v[34:35], v[38:39] op_sel:[1,1,0] op_sel_hi:[1,0,1]
	v_mov_b32_e32 v37, v79
	s_delay_alu instid0(VALU_DEP_2)
	v_xor_b32_e32 v35, 0x80000000, v36
	v_xor_b32_e32 v34, 0x80000000, v79
	ds_store_b64 v53, v[34:35]
.LBB160_328:                            ;   in Loop: Header=BB160_3 Depth=1
	s_or_b32 exec_lo, exec_lo, s0
	s_wait_dscnt 0x0
	s_barrier_signal -1
	s_barrier_wait -1
	s_and_saveexec_b32 s0, s34
	s_cbranch_execz .LBB160_330
; %bb.329:                              ;   in Loop: Header=BB160_3 Depth=1
	ds_load_b64 v[34:35], v54 offset:22272
	ds_load_b64 v[38:39], v53
	s_wait_dscnt 0x0
	v_pk_mul_f32 v[78:79], v[38:39], v[34:35] op_sel:[0,1]
	s_delay_alu instid0(VALU_DEP_1) | instskip(SKIP_1) | instid1(VALU_DEP_2)
	v_pk_fma_f32 v[80:81], v[38:39], v[34:35], v[78:79] op_sel:[1,0,0] op_sel_hi:[0,0,1] neg_lo:[0,0,1] neg_hi:[0,0,1]
	v_pk_fma_f32 v[34:35], v[38:39], v[34:35], v[78:79] op_sel:[1,0,0] op_sel_hi:[0,1,1]
	v_mov_b32_e32 v35, v81
	s_delay_alu instid0(VALU_DEP_1)
	v_pk_add_f32 v[36:37], v[36:37], v[34:35] neg_lo:[0,1] neg_hi:[0,1]
.LBB160_330:                            ;   in Loop: Header=BB160_3 Depth=1
	s_or_b32 exec_lo, exec_lo, s0
	s_barrier_signal -1
	s_barrier_wait -1
	s_and_saveexec_b32 s0, s38
	s_cbranch_execz .LBB160_332
; %bb.331:                              ;   in Loop: Header=BB160_3 Depth=1
	ds_load_b64 v[34:35], v5 offset:21840
	s_wait_dscnt 0x0
	v_pk_mul_f32 v[38:39], v[36:37], v[34:35] op_sel_hi:[0,1]
	s_delay_alu instid0(VALU_DEP_1) | instskip(SKIP_1) | instid1(VALU_DEP_2)
	v_pk_fma_f32 v[78:79], v[36:37], v[34:35], v[38:39] op_sel:[1,1,0] op_sel_hi:[1,0,1] neg_lo:[0,0,1] neg_hi:[0,0,1]
	v_pk_fma_f32 v[36:37], v[36:37], v[34:35], v[38:39] op_sel:[1,1,0] op_sel_hi:[1,0,1]
	v_mov_b32_e32 v37, v79
	s_delay_alu instid0(VALU_DEP_2)
	v_xor_b32_e32 v35, 0x80000000, v36
	v_xor_b32_e32 v34, 0x80000000, v79
	ds_store_b64 v53, v[34:35]
.LBB160_332:                            ;   in Loop: Header=BB160_3 Depth=1
	s_or_b32 exec_lo, exec_lo, s0
	s_wait_dscnt 0x0
	s_barrier_signal -1
	s_barrier_wait -1
	s_and_saveexec_b32 s0, s39
	s_cbranch_execz .LBB160_334
; %bb.333:                              ;   in Loop: Header=BB160_3 Depth=1
	ds_load_b64 v[34:35], v54 offset:21760
	ds_load_b64 v[38:39], v53
	s_wait_dscnt 0x0
	v_pk_mul_f32 v[78:79], v[38:39], v[34:35] op_sel:[0,1]
	s_delay_alu instid0(VALU_DEP_1) | instskip(SKIP_1) | instid1(VALU_DEP_2)
	v_pk_fma_f32 v[80:81], v[38:39], v[34:35], v[78:79] op_sel:[1,0,0] op_sel_hi:[0,0,1] neg_lo:[0,0,1] neg_hi:[0,0,1]
	v_pk_fma_f32 v[34:35], v[38:39], v[34:35], v[78:79] op_sel:[1,0,0] op_sel_hi:[0,1,1]
	v_mov_b32_e32 v35, v81
	s_delay_alu instid0(VALU_DEP_1)
	v_pk_add_f32 v[36:37], v[36:37], v[34:35] neg_lo:[0,1] neg_hi:[0,1]
.LBB160_334:                            ;   in Loop: Header=BB160_3 Depth=1
	;; [unrolled: 36-line block ×3, first 2 shown]
	s_or_b32 exec_lo, exec_lo, s0
	s_delay_alu instid0(VALU_DEP_1)
	v_dual_mov_b32 v34, v37 :: v_dual_mov_b32 v35, v36
	s_barrier_signal -1
	s_barrier_wait -1
	s_and_saveexec_b32 s0, s92
	s_cbranch_execz .LBB160_340
; %bb.339:                              ;   in Loop: Header=BB160_3 Depth=1
	ds_load_b64 v[38:39], v5 offset:20800
	s_wait_dscnt 0x0
	v_dual_mul_f32 v78, v36, v38 :: v_dual_mul_f32 v80, v35, v39
	s_delay_alu instid0(VALU_DEP_1) | instskip(NEXT) | instid1(VALU_DEP_2)
	v_pk_fma_f32 v[36:37], v[36:37], v[38:39], v[78:79] op_sel_hi:[1,1,0]
	v_pk_fma_f32 v[34:35], v[34:35], v[38:39], v[80:81] op_sel_hi:[1,1,0] neg_lo:[0,0,1] neg_hi:[0,0,1]
	s_delay_alu instid0(VALU_DEP_2) | instskip(NEXT) | instid1(VALU_DEP_1)
	v_mov_b32_e32 v35, v37
	v_pk_add_f32 v[36:37], v[34:35], 0 neg_lo:[1,1] neg_hi:[1,1]
	ds_store_b64 v53, v[36:37]
.LBB160_340:                            ;   in Loop: Header=BB160_3 Depth=1
	s_or_b32 exec_lo, exec_lo, s0
	s_wait_dscnt 0x0
	s_barrier_signal -1
	s_barrier_wait -1
	s_and_saveexec_b32 s0, s93
	s_cbranch_execz .LBB160_342
; %bb.341:                              ;   in Loop: Header=BB160_3 Depth=1
	ds_load_b64 v[36:37], v54 offset:20736
	ds_load_b64 v[38:39], v53
	s_wait_dscnt 0x0
	v_dual_mul_f32 v77, v39, v37 :: v_dual_mul_f32 v79, v38, v37
	s_delay_alu instid0(VALU_DEP_1) | instskip(NEXT) | instid1(VALU_DEP_1)
	v_dual_fma_f32 v78, v38, v36, -v77 :: v_dual_fmac_f32 v79, v39, v36
	v_pk_add_f32 v[34:35], v[34:35], v[78:79] neg_lo:[0,1] neg_hi:[0,1]
.LBB160_342:                            ;   in Loop: Header=BB160_3 Depth=1
	s_or_b32 exec_lo, exec_lo, s0
	s_barrier_signal -1
	s_barrier_wait -1
	s_and_saveexec_b32 s0, s86
	s_cbranch_execz .LBB160_344
; %bb.343:                              ;   in Loop: Header=BB160_3 Depth=1
	ds_load_b64 v[36:37], v5 offset:20280
	s_wait_dscnt 0x0
	v_pk_mul_f32 v[38:39], v[34:35], v[36:37] op_sel:[1,1] op_sel_hi:[1,0]
	s_delay_alu instid0(VALU_DEP_1) | instskip(SKIP_1) | instid1(VALU_DEP_2)
	v_pk_fma_f32 v[78:79], v[34:35], v[36:37], v[38:39] op_sel_hi:[0,1,1]
	v_pk_fma_f32 v[34:35], v[34:35], v[36:37], v[38:39] neg_lo:[0,0,1] neg_hi:[0,0,1]
	v_mov_b32_e32 v35, v79
	s_delay_alu instid0(VALU_DEP_1)
	v_pk_add_f32 v[36:37], v[34:35], 0 neg_lo:[1,1] neg_hi:[1,1]
	ds_store_b64 v53, v[36:37]
.LBB160_344:                            ;   in Loop: Header=BB160_3 Depth=1
	s_or_b32 exec_lo, exec_lo, s0
	s_wait_dscnt 0x0
	s_barrier_signal -1
	s_barrier_wait -1
	s_and_saveexec_b32 s0, s87
	s_cbranch_execz .LBB160_346
; %bb.345:                              ;   in Loop: Header=BB160_3 Depth=1
	ds_load_b64 v[36:37], v54 offset:20224
	ds_load_b64 v[38:39], v53
	s_wait_dscnt 0x0
	v_pk_mul_f32 v[78:79], v[38:39], v[36:37] op_sel:[1,1] op_sel_hi:[0,1]
	s_delay_alu instid0(VALU_DEP_1) | instskip(SKIP_1) | instid1(VALU_DEP_2)
	v_pk_fma_f32 v[80:81], v[38:39], v[36:37], v[78:79] op_sel_hi:[1,0,1]
	v_pk_fma_f32 v[36:37], v[38:39], v[36:37], v[78:79] neg_lo:[0,0,1] neg_hi:[0,0,1]
	v_mov_b32_e32 v37, v81
	s_delay_alu instid0(VALU_DEP_1)
	v_pk_add_f32 v[34:35], v[34:35], v[36:37] neg_lo:[0,1] neg_hi:[0,1]
.LBB160_346:                            ;   in Loop: Header=BB160_3 Depth=1
	s_or_b32 exec_lo, exec_lo, s0
	s_barrier_signal -1
	s_barrier_wait -1
	s_and_saveexec_b32 s0, s42
	s_cbranch_execz .LBB160_348
; %bb.347:                              ;   in Loop: Header=BB160_3 Depth=1
	ds_load_b64 v[36:37], v5 offset:19760
	s_wait_dscnt 0x0
	v_pk_mul_f32 v[38:39], v[34:35], v[36:37] op_sel:[1,1] op_sel_hi:[1,0]
	s_delay_alu instid0(VALU_DEP_1) | instskip(SKIP_1) | instid1(VALU_DEP_2)
	v_pk_fma_f32 v[78:79], v[34:35], v[36:37], v[38:39] op_sel_hi:[0,1,1]
	v_pk_fma_f32 v[34:35], v[34:35], v[36:37], v[38:39] neg_lo:[0,0,1] neg_hi:[0,0,1]
	v_mov_b32_e32 v35, v79
	s_delay_alu instid0(VALU_DEP_1)
	v_pk_add_f32 v[36:37], v[34:35], 0 neg_lo:[1,1] neg_hi:[1,1]
	ds_store_b64 v53, v[36:37]
.LBB160_348:                            ;   in Loop: Header=BB160_3 Depth=1
	s_or_b32 exec_lo, exec_lo, s0
	s_wait_dscnt 0x0
	s_barrier_signal -1
	s_barrier_wait -1
	s_and_saveexec_b32 s0, s24
	s_cbranch_execz .LBB160_350
; %bb.349:                              ;   in Loop: Header=BB160_3 Depth=1
	ds_load_b64 v[36:37], v54 offset:19712
	ds_load_b64 v[38:39], v53
	s_wait_dscnt 0x0
	v_pk_mul_f32 v[78:79], v[38:39], v[36:37] op_sel:[1,1] op_sel_hi:[0,1]
	s_delay_alu instid0(VALU_DEP_1) | instskip(SKIP_1) | instid1(VALU_DEP_2)
	v_pk_fma_f32 v[80:81], v[38:39], v[36:37], v[78:79] op_sel_hi:[1,0,1]
	v_pk_fma_f32 v[36:37], v[38:39], v[36:37], v[78:79] neg_lo:[0,0,1] neg_hi:[0,0,1]
	v_mov_b32_e32 v37, v81
	s_delay_alu instid0(VALU_DEP_1)
	v_pk_add_f32 v[34:35], v[34:35], v[36:37] neg_lo:[0,1] neg_hi:[0,1]
.LBB160_350:                            ;   in Loop: Header=BB160_3 Depth=1
	s_or_b32 exec_lo, exec_lo, s0
	s_barrier_signal -1
	s_barrier_wait -1
	s_and_saveexec_b32 s0, s26
	s_cbranch_execz .LBB160_352
; %bb.351:                              ;   in Loop: Header=BB160_3 Depth=1
	ds_load_b64 v[36:37], v5 offset:19240
	s_wait_dscnt 0x0
	v_pk_mul_f32 v[38:39], v[34:35], v[36:37] op_sel:[1,1] op_sel_hi:[1,0]
	s_delay_alu instid0(VALU_DEP_1) | instskip(SKIP_1) | instid1(VALU_DEP_2)
	v_pk_fma_f32 v[78:79], v[34:35], v[36:37], v[38:39] op_sel_hi:[0,1,1]
	v_pk_fma_f32 v[34:35], v[34:35], v[36:37], v[38:39] neg_lo:[0,0,1] neg_hi:[0,0,1]
	v_mov_b32_e32 v35, v79
	s_delay_alu instid0(VALU_DEP_1)
	v_pk_add_f32 v[36:37], v[34:35], 0 neg_lo:[1,1] neg_hi:[1,1]
	ds_store_b64 v53, v[36:37]
.LBB160_352:                            ;   in Loop: Header=BB160_3 Depth=1
	s_or_b32 exec_lo, exec_lo, s0
	s_wait_dscnt 0x0
	s_barrier_signal -1
	s_barrier_wait -1
	s_and_saveexec_b32 s0, s28
	s_cbranch_execz .LBB160_354
; %bb.353:                              ;   in Loop: Header=BB160_3 Depth=1
	ds_load_b64 v[36:37], v54 offset:19200
	ds_load_b64 v[38:39], v53
	s_wait_dscnt 0x0
	v_pk_mul_f32 v[78:79], v[38:39], v[36:37] op_sel:[1,1] op_sel_hi:[0,1]
	s_delay_alu instid0(VALU_DEP_1) | instskip(SKIP_1) | instid1(VALU_DEP_2)
	v_pk_fma_f32 v[80:81], v[38:39], v[36:37], v[78:79] op_sel_hi:[1,0,1]
	v_pk_fma_f32 v[36:37], v[38:39], v[36:37], v[78:79] neg_lo:[0,0,1] neg_hi:[0,0,1]
	v_mov_b32_e32 v37, v81
	s_delay_alu instid0(VALU_DEP_1)
	v_pk_add_f32 v[34:35], v[34:35], v[36:37] neg_lo:[0,1] neg_hi:[0,1]
.LBB160_354:                            ;   in Loop: Header=BB160_3 Depth=1
	s_or_b32 exec_lo, exec_lo, s0
	s_barrier_signal -1
	s_barrier_wait -1
	s_and_saveexec_b32 s0, s30
	s_cbranch_execz .LBB160_356
; %bb.355:                              ;   in Loop: Header=BB160_3 Depth=1
	ds_load_b64 v[36:37], v5 offset:18720
	s_wait_dscnt 0x0
	v_pk_mul_f32 v[38:39], v[34:35], v[36:37]
	v_pk_mul_f32 v[34:35], v[34:35], v[36:37] op_sel:[1,0] op_sel_hi:[0,1]
	s_delay_alu instid0(VALU_DEP_1) | instskip(NEXT) | instid1(VALU_DEP_3)
	v_dual_mov_b32 v36, v38 :: v_dual_mov_b32 v37, v34
	v_mov_b32_e32 v34, v39
	s_delay_alu instid0(VALU_DEP_1) | instskip(SKIP_1) | instid1(VALU_DEP_2)
	v_pk_add_f32 v[38:39], v[36:37], v[34:35]
	v_pk_add_f32 v[34:35], v[36:37], v[34:35] neg_lo:[0,1] neg_hi:[0,1]
	v_mov_b32_e32 v35, v39
	s_delay_alu instid0(VALU_DEP_1)
	v_pk_add_f32 v[36:37], v[34:35], 0 neg_lo:[1,1] neg_hi:[1,1]
	ds_store_b64 v53, v[36:37]
.LBB160_356:                            ;   in Loop: Header=BB160_3 Depth=1
	s_or_b32 exec_lo, exec_lo, s0
	s_wait_dscnt 0x0
	s_barrier_signal -1
	s_barrier_wait -1
	s_and_saveexec_b32 s0, s33
	s_cbranch_execz .LBB160_358
; %bb.357:                              ;   in Loop: Header=BB160_3 Depth=1
	ds_load_b64 v[36:37], v54 offset:18688
	ds_load_b64 v[38:39], v53
	s_wait_dscnt 0x0
	v_dual_mul_f32 v77, v39, v37 :: v_dual_mul_f32 v37, v38, v37
	s_delay_alu instid0(VALU_DEP_1) | instskip(NEXT) | instid1(VALU_DEP_1)
	v_fmac_f32_e32 v37, v39, v36
	v_dual_fma_f32 v38, v38, v36, -v77 :: v_dual_sub_f32 v35, v35, v37
	s_delay_alu instid0(VALU_DEP_1)
	v_sub_f32_e32 v34, v34, v38
.LBB160_358:                            ;   in Loop: Header=BB160_3 Depth=1
	s_or_b32 exec_lo, exec_lo, s0
	s_barrier_signal -1
	s_barrier_wait -1
	s_and_saveexec_b32 s0, vcc_hi
	s_cbranch_execz .LBB160_360
; %bb.359:                              ;   in Loop: Header=BB160_3 Depth=1
	ds_load_b64 v[36:37], v5 offset:18200
	s_wait_dscnt 0x0
	v_dual_mul_f32 v38, v35, v36 :: v_dual_mul_f32 v78, v35, v37
	s_delay_alu instid0(VALU_DEP_1) | instskip(NEXT) | instid1(VALU_DEP_2)
	v_pk_fma_f32 v[38:39], v[34:35], v[36:37], v[38:39] op_sel:[1,0,0] op_sel_hi:[0,1,0]
	v_pk_fma_f32 v[34:35], v[34:35], v[36:37], v[78:79] op_sel_hi:[1,1,0] neg_lo:[0,0,1] neg_hi:[0,0,1]
	s_delay_alu instid0(VALU_DEP_2) | instskip(NEXT) | instid1(VALU_DEP_1)
	v_mov_b32_e32 v35, v39
	v_pk_add_f32 v[36:37], v[34:35], 0 neg_lo:[1,1] neg_hi:[1,1]
	ds_store_b64 v53, v[36:37]
.LBB160_360:                            ;   in Loop: Header=BB160_3 Depth=1
	s_or_b32 exec_lo, exec_lo, s0
	s_wait_dscnt 0x0
	s_barrier_signal -1
	s_barrier_wait -1
	s_and_saveexec_b32 s0, s66
	s_cbranch_execz .LBB160_362
; %bb.361:                              ;   in Loop: Header=BB160_3 Depth=1
	ds_load_b64 v[36:37], v54 offset:18176
	ds_load_b64 v[38:39], v53
	s_wait_dscnt 0x0
	v_pk_mul_f32 v[78:79], v[38:39], v[36:37] op_sel:[1,1] op_sel_hi:[0,1]
	s_delay_alu instid0(VALU_DEP_1) | instskip(SKIP_1) | instid1(VALU_DEP_2)
	v_pk_fma_f32 v[80:81], v[38:39], v[36:37], v[78:79] op_sel_hi:[1,0,1]
	v_pk_fma_f32 v[36:37], v[38:39], v[36:37], v[78:79] neg_lo:[0,0,1] neg_hi:[0,0,1]
	v_mov_b32_e32 v37, v81
	s_delay_alu instid0(VALU_DEP_1)
	v_pk_add_f32 v[34:35], v[34:35], v[36:37] neg_lo:[0,1] neg_hi:[0,1]
.LBB160_362:                            ;   in Loop: Header=BB160_3 Depth=1
	s_or_b32 exec_lo, exec_lo, s0
	s_barrier_signal -1
	s_barrier_wait -1
	s_and_saveexec_b32 s0, s67
	s_cbranch_execz .LBB160_364
; %bb.363:                              ;   in Loop: Header=BB160_3 Depth=1
	ds_load_b64 v[36:37], v5 offset:17680
	s_wait_dscnt 0x0
	v_pk_mul_f32 v[38:39], v[34:35], v[36:37] op_sel:[1,1] op_sel_hi:[1,0]
	s_delay_alu instid0(VALU_DEP_1) | instskip(SKIP_1) | instid1(VALU_DEP_2)
	v_pk_fma_f32 v[78:79], v[34:35], v[36:37], v[38:39] op_sel_hi:[0,1,1]
	v_pk_fma_f32 v[34:35], v[34:35], v[36:37], v[38:39] neg_lo:[0,0,1] neg_hi:[0,0,1]
	v_mov_b32_e32 v35, v79
	s_delay_alu instid0(VALU_DEP_1)
	v_pk_add_f32 v[36:37], v[34:35], 0 neg_lo:[1,1] neg_hi:[1,1]
	ds_store_b64 v53, v[36:37]
.LBB160_364:                            ;   in Loop: Header=BB160_3 Depth=1
	s_or_b32 exec_lo, exec_lo, s0
	s_wait_dscnt 0x0
	s_barrier_signal -1
	s_barrier_wait -1
	s_and_saveexec_b32 s0, s9
	s_cbranch_execz .LBB160_366
; %bb.365:                              ;   in Loop: Header=BB160_3 Depth=1
	ds_load_b64 v[36:37], v54 offset:17664
	ds_load_b64 v[38:39], v53
	s_wait_dscnt 0x0
	v_pk_mul_f32 v[78:79], v[38:39], v[36:37] op_sel:[1,1] op_sel_hi:[0,1]
	s_delay_alu instid0(VALU_DEP_1) | instskip(SKIP_1) | instid1(VALU_DEP_2)
	v_pk_fma_f32 v[80:81], v[38:39], v[36:37], v[78:79] op_sel_hi:[1,0,1]
	v_pk_fma_f32 v[36:37], v[38:39], v[36:37], v[78:79] neg_lo:[0,0,1] neg_hi:[0,0,1]
	v_mov_b32_e32 v37, v81
	s_delay_alu instid0(VALU_DEP_1)
	v_pk_add_f32 v[34:35], v[34:35], v[36:37] neg_lo:[0,1] neg_hi:[0,1]
.LBB160_366:                            ;   in Loop: Header=BB160_3 Depth=1
	s_or_b32 exec_lo, exec_lo, s0
	s_barrier_signal -1
	s_barrier_wait -1
	s_and_saveexec_b32 s0, s10
	s_cbranch_execz .LBB160_368
; %bb.367:                              ;   in Loop: Header=BB160_3 Depth=1
	ds_load_b64 v[36:37], v5 offset:17160
	s_wait_dscnt 0x0
	v_pk_mul_f32 v[38:39], v[34:35], v[36:37] op_sel:[1,1] op_sel_hi:[1,0]
	s_delay_alu instid0(VALU_DEP_1) | instskip(SKIP_1) | instid1(VALU_DEP_2)
	v_pk_fma_f32 v[78:79], v[34:35], v[36:37], v[38:39] op_sel_hi:[0,1,1]
	v_pk_fma_f32 v[34:35], v[34:35], v[36:37], v[38:39] neg_lo:[0,0,1] neg_hi:[0,0,1]
	v_mov_b32_e32 v35, v79
	s_delay_alu instid0(VALU_DEP_1)
	v_pk_add_f32 v[36:37], v[34:35], 0 neg_lo:[1,1] neg_hi:[1,1]
	ds_store_b64 v53, v[36:37]
.LBB160_368:                            ;   in Loop: Header=BB160_3 Depth=1
	;; [unrolled: 35-line block ×3, first 2 shown]
	s_or_b32 exec_lo, exec_lo, s0
	s_wait_dscnt 0x0
	s_barrier_signal -1
	s_barrier_wait -1
	s_barrier_signal -1
	s_barrier_wait -1
	s_and_saveexec_b32 s0, s6
; %bb.373:                              ;   in Loop: Header=BB160_3 Depth=1
	ds_store_b64 v56, v[34:35] offset:32512
; %bb.374:                              ;   in Loop: Header=BB160_3 Depth=1
	s_or_b32 exec_lo, exec_lo, s0
	s_wait_dscnt 0x0
	s_barrier_signal -1
	s_barrier_wait -1
	s_barrier_signal -1
	s_barrier_wait -1
	s_and_saveexec_b32 s0, s14
	s_cbranch_execz .LBB160_376
; %bb.375:                              ;   in Loop: Header=BB160_3 Depth=1
	v_add_nc_u32_e64 v34, 0x170, 0
	ds_load_b64 v[38:39], v5 offset:24440
	ds_load_2addr_stride64_b64 v[34:37], v34 offset0:46 offset1:47
	s_wait_dscnt 0x0
	v_dual_mul_f32 v77, v39, v35 :: v_dual_mul_f32 v78, v38, v35
	s_delay_alu instid0(VALU_DEP_1) | instskip(NEXT) | instid1(VALU_DEP_1)
	v_xor_b32_e32 v80, 0x80000000, v77
	v_dual_fmac_f32 v78, v39, v34 :: v_dual_fmac_f32 v80, v38, v34
	s_delay_alu instid0(VALU_DEP_1) | instskip(NEXT) | instid1(VALU_DEP_1)
	v_pk_mul_f32 v[34:35], v[78:79], v[36:37] op_sel:[0,1] op_sel_hi:[0,0]
	v_pk_fma_f32 v[38:39], v[80:81], v[36:37], v[34:35] op_sel_hi:[0,1,1]
	v_pk_fma_f32 v[34:35], v[80:81], v[36:37], v[34:35] neg_lo:[0,0,1] neg_hi:[0,0,1]
	s_delay_alu instid0(VALU_DEP_2)
	v_mov_b32_e32 v35, v39
	ds_store_b64 v5, v[34:35] offset:24432
.LBB160_376:                            ;   in Loop: Header=BB160_3 Depth=1
	s_or_b32 exec_lo, exec_lo, s0
	v_dual_mov_b32 v34, 0 :: v_dual_mov_b32 v35, 0
	s_wait_dscnt 0x0
	s_barrier_signal -1
	s_barrier_wait -1
	global_wb scope:SCOPE_DEV
	s_wait_storecnt 0x0
	global_inv scope:SCOPE_DEV
	s_and_saveexec_b32 s1, s3
	s_cbranch_execz .LBB160_380
; %bb.377:                              ;   in Loop: Header=BB160_3 Depth=1
	ds_load_b64 v[34:35], v41 offset:23904
	ds_load_b64 v[36:37], v42 offset:24432
	s_wait_dscnt 0x0
	v_pk_mul_f32 v[38:39], v[36:37], v[34:35] op_sel:[1,1] op_sel_hi:[0,1]
	s_delay_alu instid0(VALU_DEP_1) | instskip(SKIP_1) | instid1(VALU_DEP_2)
	v_pk_fma_f32 v[78:79], v[36:37], v[34:35], v[38:39] op_sel_hi:[1,0,1]
	v_pk_fma_f32 v[34:35], v[36:37], v[34:35], v[38:39] neg_lo:[0,0,1] neg_hi:[0,0,1]
	v_mov_b32_e32 v35, v79
	s_delay_alu instid0(VALU_DEP_1)
	v_pk_add_f32 v[34:35], v[34:35], 0 op_sel_hi:[1,0]
	s_and_saveexec_b32 s0, s15
	s_cbranch_execz .LBB160_379
; %bb.378:                              ;   in Loop: Header=BB160_3 Depth=1
	ds_load_b64 v[36:37], v43 offset:24416
	ds_load_b64 v[38:39], v5 offset:24440
	s_wait_dscnt 0x0
	v_pk_mul_f32 v[78:79], v[38:39], v[36:37] op_sel:[1,1] op_sel_hi:[0,1]
	s_delay_alu instid0(VALU_DEP_1) | instskip(SKIP_1) | instid1(VALU_DEP_2)
	v_pk_fma_f32 v[80:81], v[38:39], v[36:37], v[78:79] op_sel_hi:[1,0,1]
	v_pk_fma_f32 v[36:37], v[38:39], v[36:37], v[78:79] neg_lo:[0,0,1] neg_hi:[0,0,1]
	v_mov_b32_e32 v37, v81
	s_delay_alu instid0(VALU_DEP_1)
	v_pk_add_f32 v[34:35], v[34:35], v[36:37]
.LBB160_379:                            ;   in Loop: Header=BB160_3 Depth=1
	s_or_b32 exec_lo, exec_lo, s0
.LBB160_380:                            ;   in Loop: Header=BB160_3 Depth=1
	s_delay_alu instid0(SALU_CYCLE_1)
	s_or_b32 exec_lo, exec_lo, s1
	s_and_saveexec_b32 s0, s44
	s_cbranch_execz .LBB160_382
; %bb.381:                              ;   in Loop: Header=BB160_3 Depth=1
	ds_load_b64 v[36:37], v5 offset:23400
	s_wait_dscnt 0x0
	v_pk_mul_f32 v[38:39], v[34:35], v[36:37] op_sel:[1,1] op_sel_hi:[1,0]
	s_delay_alu instid0(VALU_DEP_1) | instskip(SKIP_1) | instid1(VALU_DEP_2)
	v_pk_fma_f32 v[78:79], v[34:35], v[36:37], v[38:39] op_sel_hi:[0,1,1]
	v_pk_fma_f32 v[34:35], v[34:35], v[36:37], v[38:39] neg_lo:[0,0,1] neg_hi:[0,0,1]
	v_mov_b32_e32 v35, v79
	s_delay_alu instid0(VALU_DEP_1)
	v_pk_add_f32 v[36:37], v[34:35], 0 neg_lo:[1,1] neg_hi:[1,1]
	ds_store_b64 v3, v[36:37]
.LBB160_382:                            ;   in Loop: Header=BB160_3 Depth=1
	s_or_b32 exec_lo, exec_lo, s0
	s_wait_loadcnt_dscnt 0x0
	s_barrier_signal -1
	s_barrier_wait -1
	s_and_saveexec_b32 s0, s45
	s_cbranch_execz .LBB160_384
; %bb.383:                              ;   in Loop: Header=BB160_3 Depth=1
	ds_load_b64 v[36:37], v5 offset:23392
	ds_load_b64 v[38:39], v3
	s_wait_dscnt 0x0
	v_pk_mul_f32 v[78:79], v[38:39], v[36:37] op_sel:[1,1] op_sel_hi:[0,1]
	s_delay_alu instid0(VALU_DEP_1) | instskip(SKIP_1) | instid1(VALU_DEP_2)
	v_pk_fma_f32 v[80:81], v[38:39], v[36:37], v[78:79] op_sel_hi:[1,0,1]
	v_pk_fma_f32 v[36:37], v[38:39], v[36:37], v[78:79] neg_lo:[0,0,1] neg_hi:[0,0,1]
	v_mov_b32_e32 v37, v81
	s_delay_alu instid0(VALU_DEP_1)
	v_pk_add_f32 v[34:35], v[34:35], v[36:37] neg_lo:[0,1] neg_hi:[0,1]
.LBB160_384:                            ;   in Loop: Header=BB160_3 Depth=1
	s_or_b32 exec_lo, exec_lo, s0
	s_barrier_signal -1
	s_barrier_wait -1
	s_and_saveexec_b32 s0, s45
	s_cbranch_execz .LBB160_386
; %bb.385:                              ;   in Loop: Header=BB160_3 Depth=1
	ds_load_b64 v[36:37], v5 offset:22880
	s_wait_dscnt 0x0
	v_pk_mul_f32 v[38:39], v[34:35], v[36:37] op_sel:[1,1] op_sel_hi:[1,0]
	s_delay_alu instid0(VALU_DEP_1) | instskip(SKIP_1) | instid1(VALU_DEP_2)
	v_pk_fma_f32 v[78:79], v[34:35], v[36:37], v[38:39] op_sel_hi:[0,1,1]
	v_pk_fma_f32 v[34:35], v[34:35], v[36:37], v[38:39] neg_lo:[0,0,1] neg_hi:[0,0,1]
	v_mov_b32_e32 v35, v79
	s_delay_alu instid0(VALU_DEP_1)
	v_pk_add_f32 v[36:37], v[34:35], 0 neg_lo:[1,1] neg_hi:[1,1]
	ds_store_b64 v3, v[36:37]
.LBB160_386:                            ;   in Loop: Header=BB160_3 Depth=1
	s_or_b32 exec_lo, exec_lo, s0
	s_wait_dscnt 0x0
	s_barrier_signal -1
	s_barrier_wait -1
	s_barrier_signal -1
	s_barrier_wait -1
	s_and_saveexec_b32 s0, s3
; %bb.387:                              ;   in Loop: Header=BB160_3 Depth=1
	ds_store_b64 v44, v[34:35] offset:24416
; %bb.388:                              ;   in Loop: Header=BB160_3 Depth=1
	s_or_b32 exec_lo, exec_lo, s0
	s_wait_dscnt 0x0
	s_barrier_signal -1
	s_barrier_wait -1
	s_barrier_signal -1
	s_barrier_wait -1
	s_and_saveexec_b32 s0, s14
	s_cbranch_execz .LBB160_390
; %bb.389:                              ;   in Loop: Header=BB160_3 Depth=1
	v_add_nc_u32_e64 v34, 0x160, 0
	ds_load_b64 v[38:39], v5 offset:23400
	ds_load_2addr_stride64_b64 v[34:37], v34 offset0:44 offset1:45
	s_wait_dscnt 0x0
	v_dual_mul_f32 v77, v39, v35 :: v_dual_mul_f32 v78, v38, v35
	s_delay_alu instid0(VALU_DEP_1) | instskip(NEXT) | instid1(VALU_DEP_1)
	v_xor_b32_e32 v80, 0x80000000, v77
	v_dual_fmac_f32 v78, v39, v34 :: v_dual_fmac_f32 v80, v38, v34
	s_delay_alu instid0(VALU_DEP_1) | instskip(NEXT) | instid1(VALU_DEP_1)
	v_pk_mul_f32 v[34:35], v[78:79], v[36:37] op_sel:[0,1] op_sel_hi:[0,0]
	v_pk_fma_f32 v[38:39], v[80:81], v[36:37], v[34:35] op_sel_hi:[0,1,1]
	v_pk_fma_f32 v[34:35], v[80:81], v[36:37], v[34:35] neg_lo:[0,0,1] neg_hi:[0,0,1]
	s_delay_alu instid0(VALU_DEP_2)
	v_mov_b32_e32 v35, v39
	ds_store_b64 v5, v[34:35] offset:23392
.LBB160_390:                            ;   in Loop: Header=BB160_3 Depth=1
	s_or_b32 exec_lo, exec_lo, s0
	v_mov_b64_e32 v[34:35], 0
	s_wait_dscnt 0x0
	s_barrier_signal -1
	s_barrier_wait -1
	global_wb scope:SCOPE_DEV
	s_wait_storecnt 0x0
	global_inv scope:SCOPE_DEV
	s_and_saveexec_b32 s1, s4
	s_cbranch_execz .LBB160_396
; %bb.391:                              ;   in Loop: Header=BB160_3 Depth=1
	ds_load_b64 v[34:35], v46 offset:22848
	ds_load_b64 v[36:37], v47 offset:24416
	s_wait_dscnt 0x0
	v_dual_mul_f32 v38, v37, v35 :: v_dual_mul_f32 v35, v36, v35
	s_delay_alu instid0(VALU_DEP_1) | instskip(NEXT) | instid1(VALU_DEP_1)
	v_dual_fma_f32 v36, v36, v34, -v38 :: v_dual_fmac_f32 v35, v37, v34
	v_dual_add_f32 v34, 0, v36 :: v_dual_add_f32 v35, 0, v35
	s_and_saveexec_b32 s0, s16
	s_cbranch_execnz .LBB160_1062
; %bb.392:                              ;   in Loop: Header=BB160_3 Depth=1
	s_or_b32 exec_lo, exec_lo, s0
	s_and_saveexec_b32 s0, s17
	s_cbranch_execnz .LBB160_1063
.LBB160_393:                            ;   in Loop: Header=BB160_3 Depth=1
	s_or_b32 exec_lo, exec_lo, s0
	s_and_saveexec_b32 s0, s3
	s_cbranch_execz .LBB160_395
.LBB160_394:                            ;   in Loop: Header=BB160_3 Depth=1
	ds_load_b64 v[36:37], v43 offset:24384
	ds_load_b64 v[38:39], v5 offset:24440
	s_wait_dscnt 0x0
	v_dual_mul_f32 v77, v39, v37 :: v_dual_mul_f32 v37, v38, v37
	s_delay_alu instid0(VALU_DEP_1) | instskip(NEXT) | instid1(VALU_DEP_1)
	v_fmac_f32_e32 v37, v39, v36
	v_dual_fma_f32 v38, v38, v36, -v77 :: v_dual_add_f32 v35, v35, v37
	s_delay_alu instid0(VALU_DEP_1)
	v_add_f32_e32 v34, v34, v38
.LBB160_395:                            ;   in Loop: Header=BB160_3 Depth=1
	s_or_b32 exec_lo, exec_lo, s0
.LBB160_396:                            ;   in Loop: Header=BB160_3 Depth=1
	s_delay_alu instid0(SALU_CYCLE_1)
	s_or_b32 exec_lo, exec_lo, s1
	s_and_saveexec_b32 s0, s46
	s_cbranch_execz .LBB160_398
; %bb.397:                              ;   in Loop: Header=BB160_3 Depth=1
	ds_load_b64 v[36:37], v5 offset:22360
	s_wait_dscnt 0x0
	v_dual_mul_f32 v38, v35, v36 :: v_dual_mul_f32 v78, v35, v37
	s_delay_alu instid0(VALU_DEP_1) | instskip(NEXT) | instid1(VALU_DEP_2)
	v_pk_fma_f32 v[38:39], v[34:35], v[36:37], v[38:39] op_sel:[1,0,0] op_sel_hi:[0,1,0]
	v_pk_fma_f32 v[34:35], v[34:35], v[36:37], v[78:79] op_sel_hi:[1,1,0] neg_lo:[0,0,1] neg_hi:[0,0,1]
	s_delay_alu instid0(VALU_DEP_2) | instskip(NEXT) | instid1(VALU_DEP_1)
	v_mov_b32_e32 v35, v39
	v_pk_add_f32 v[36:37], v[34:35], 0 neg_lo:[1,1] neg_hi:[1,1]
	ds_store_b64 v45, v[36:37]
.LBB160_398:                            ;   in Loop: Header=BB160_3 Depth=1
	s_or_b32 exec_lo, exec_lo, s0
	s_wait_loadcnt_dscnt 0x0
	s_barrier_signal -1
	s_barrier_wait -1
	s_and_saveexec_b32 s0, s47
	s_cbranch_execz .LBB160_400
; %bb.399:                              ;   in Loop: Header=BB160_3 Depth=1
	ds_load_b64 v[36:37], v46 offset:22336
	ds_load_b64 v[38:39], v45
	s_wait_dscnt 0x0
	v_pk_mul_f32 v[78:79], v[38:39], v[36:37] op_sel:[1,1] op_sel_hi:[0,1]
	s_delay_alu instid0(VALU_DEP_1) | instskip(SKIP_1) | instid1(VALU_DEP_2)
	v_pk_fma_f32 v[80:81], v[38:39], v[36:37], v[78:79] op_sel_hi:[1,0,1]
	v_pk_fma_f32 v[36:37], v[38:39], v[36:37], v[78:79] neg_lo:[0,0,1] neg_hi:[0,0,1]
	v_mov_b32_e32 v37, v81
	s_delay_alu instid0(VALU_DEP_1)
	v_pk_add_f32 v[34:35], v[34:35], v[36:37] neg_lo:[0,1] neg_hi:[0,1]
.LBB160_400:                            ;   in Loop: Header=BB160_3 Depth=1
	s_or_b32 exec_lo, exec_lo, s0
	s_barrier_signal -1
	s_barrier_wait -1
	s_and_saveexec_b32 s0, s48
	s_cbranch_execz .LBB160_402
; %bb.401:                              ;   in Loop: Header=BB160_3 Depth=1
	ds_load_b64 v[36:37], v5 offset:21840
	s_wait_dscnt 0x0
	v_pk_mul_f32 v[38:39], v[34:35], v[36:37] op_sel:[1,1] op_sel_hi:[1,0]
	s_delay_alu instid0(VALU_DEP_1) | instskip(SKIP_1) | instid1(VALU_DEP_2)
	v_pk_fma_f32 v[78:79], v[34:35], v[36:37], v[38:39] op_sel_hi:[0,1,1]
	v_pk_fma_f32 v[34:35], v[34:35], v[36:37], v[38:39] neg_lo:[0,0,1] neg_hi:[0,0,1]
	v_mov_b32_e32 v35, v79
	s_delay_alu instid0(VALU_DEP_1)
	v_pk_add_f32 v[36:37], v[34:35], 0 neg_lo:[1,1] neg_hi:[1,1]
	ds_store_b64 v45, v[36:37]
.LBB160_402:                            ;   in Loop: Header=BB160_3 Depth=1
	s_or_b32 exec_lo, exec_lo, s0
	s_wait_dscnt 0x0
	s_barrier_signal -1
	s_barrier_wait -1
	s_and_saveexec_b32 s0, s49
	s_cbranch_execz .LBB160_404
; %bb.403:                              ;   in Loop: Header=BB160_3 Depth=1
	ds_load_b64 v[36:37], v46 offset:21824
	ds_load_b64 v[38:39], v45
	s_wait_dscnt 0x0
	v_pk_mul_f32 v[78:79], v[38:39], v[36:37] op_sel:[1,1] op_sel_hi:[0,1]
	s_delay_alu instid0(VALU_DEP_1) | instskip(SKIP_1) | instid1(VALU_DEP_2)
	v_pk_fma_f32 v[80:81], v[38:39], v[36:37], v[78:79] op_sel_hi:[1,0,1]
	v_pk_fma_f32 v[36:37], v[38:39], v[36:37], v[78:79] neg_lo:[0,0,1] neg_hi:[0,0,1]
	v_mov_b32_e32 v37, v81
	s_delay_alu instid0(VALU_DEP_1)
	v_pk_add_f32 v[34:35], v[34:35], v[36:37] neg_lo:[0,1] neg_hi:[0,1]
.LBB160_404:                            ;   in Loop: Header=BB160_3 Depth=1
	s_or_b32 exec_lo, exec_lo, s0
	s_barrier_signal -1
	s_barrier_wait -1
	s_and_saveexec_b32 s0, s50
	s_cbranch_execz .LBB160_406
; %bb.405:                              ;   in Loop: Header=BB160_3 Depth=1
	ds_load_b64 v[36:37], v5 offset:21320
	s_wait_dscnt 0x0
	v_pk_mul_f32 v[38:39], v[34:35], v[36:37] op_sel:[1,1] op_sel_hi:[1,0]
	s_delay_alu instid0(VALU_DEP_1) | instskip(SKIP_1) | instid1(VALU_DEP_2)
	v_pk_fma_f32 v[78:79], v[34:35], v[36:37], v[38:39] op_sel_hi:[0,1,1]
	v_pk_fma_f32 v[34:35], v[34:35], v[36:37], v[38:39] neg_lo:[0,0,1] neg_hi:[0,0,1]
	v_mov_b32_e32 v35, v79
	s_delay_alu instid0(VALU_DEP_1)
	v_pk_add_f32 v[36:37], v[34:35], 0 neg_lo:[1,1] neg_hi:[1,1]
	ds_store_b64 v45, v[36:37]
.LBB160_406:                            ;   in Loop: Header=BB160_3 Depth=1
	s_or_b32 exec_lo, exec_lo, s0
	s_wait_dscnt 0x0
	;; [unrolled: 35-line block ×3, first 2 shown]
	s_barrier_signal -1
	s_barrier_wait -1
	s_barrier_signal -1
	s_barrier_wait -1
	s_and_saveexec_b32 s0, s4
; %bb.411:                              ;   in Loop: Header=BB160_3 Depth=1
	ds_store_b64 v48, v[34:35] offset:24384
; %bb.412:                              ;   in Loop: Header=BB160_3 Depth=1
	s_or_b32 exec_lo, exec_lo, s0
	s_wait_dscnt 0x0
	s_barrier_signal -1
	s_barrier_wait -1
	s_barrier_signal -1
	s_barrier_wait -1
	s_and_saveexec_b32 s0, s14
	s_cbranch_execz .LBB160_414
; %bb.413:                              ;   in Loop: Header=BB160_3 Depth=1
	v_add_nc_u32_e64 v34, 0x150, 0
	ds_load_b64 v[38:39], v5 offset:22360
	ds_load_2addr_stride64_b64 v[34:37], v34 offset0:42 offset1:43
	s_wait_dscnt 0x0
	v_dual_mul_f32 v77, v39, v35 :: v_dual_mul_f32 v78, v38, v35
	s_delay_alu instid0(VALU_DEP_1) | instskip(NEXT) | instid1(VALU_DEP_1)
	v_xor_b32_e32 v80, 0x80000000, v77
	v_dual_fmac_f32 v78, v39, v34 :: v_dual_fmac_f32 v80, v38, v34
	s_delay_alu instid0(VALU_DEP_1) | instskip(NEXT) | instid1(VALU_DEP_1)
	v_pk_mul_f32 v[34:35], v[78:79], v[36:37] op_sel:[0,1] op_sel_hi:[0,0]
	v_pk_fma_f32 v[38:39], v[80:81], v[36:37], v[34:35] op_sel_hi:[0,1,1]
	v_pk_fma_f32 v[34:35], v[80:81], v[36:37], v[34:35] neg_lo:[0,0,1] neg_hi:[0,0,1]
	s_delay_alu instid0(VALU_DEP_2)
	v_mov_b32_e32 v35, v39
	ds_store_b64 v5, v[34:35] offset:22352
.LBB160_414:                            ;   in Loop: Header=BB160_3 Depth=1
	s_or_b32 exec_lo, exec_lo, s0
	v_dual_mov_b32 v34, 0 :: v_dual_mov_b32 v35, 0
	s_wait_dscnt 0x0
	s_barrier_signal -1
	s_barrier_wait -1
	global_wb scope:SCOPE_DEV
	s_wait_storecnt 0x0
	global_inv scope:SCOPE_DEV
	s_and_saveexec_b32 s1, s3
	s_cbranch_execz .LBB160_418
; %bb.415:                              ;   in Loop: Header=BB160_3 Depth=1
	ds_load_b64 v[34:35], v41 offset:21824
	ds_load_b64 v[36:37], v42 offset:22352
	s_wait_dscnt 0x0
	v_pk_mul_f32 v[38:39], v[36:37], v[34:35] op_sel:[1,1] op_sel_hi:[0,1]
	s_delay_alu instid0(VALU_DEP_1) | instskip(SKIP_1) | instid1(VALU_DEP_2)
	v_pk_fma_f32 v[78:79], v[36:37], v[34:35], v[38:39] op_sel_hi:[1,0,1]
	v_pk_fma_f32 v[34:35], v[36:37], v[34:35], v[38:39] neg_lo:[0,0,1] neg_hi:[0,0,1]
	v_mov_b32_e32 v35, v79
	s_delay_alu instid0(VALU_DEP_1)
	v_pk_add_f32 v[34:35], v[34:35], 0 op_sel_hi:[1,0]
	s_and_saveexec_b32 s0, s15
	s_cbranch_execz .LBB160_417
; %bb.416:                              ;   in Loop: Header=BB160_3 Depth=1
	ds_load_b64 v[36:37], v43 offset:22336
	ds_load_b64 v[38:39], v5 offset:22360
	s_wait_dscnt 0x0
	v_pk_mul_f32 v[78:79], v[38:39], v[36:37] op_sel:[1,1] op_sel_hi:[0,1]
	s_delay_alu instid0(VALU_DEP_1) | instskip(SKIP_1) | instid1(VALU_DEP_2)
	v_pk_fma_f32 v[80:81], v[38:39], v[36:37], v[78:79] op_sel_hi:[1,0,1]
	v_pk_fma_f32 v[36:37], v[38:39], v[36:37], v[78:79] neg_lo:[0,0,1] neg_hi:[0,0,1]
	v_mov_b32_e32 v37, v81
	s_delay_alu instid0(VALU_DEP_1)
	v_pk_add_f32 v[34:35], v[34:35], v[36:37]
.LBB160_417:                            ;   in Loop: Header=BB160_3 Depth=1
	s_or_b32 exec_lo, exec_lo, s0
.LBB160_418:                            ;   in Loop: Header=BB160_3 Depth=1
	s_delay_alu instid0(SALU_CYCLE_1)
	s_or_b32 exec_lo, exec_lo, s1
	s_and_saveexec_b32 s0, s44
	s_cbranch_execz .LBB160_420
; %bb.419:                              ;   in Loop: Header=BB160_3 Depth=1
	ds_load_b64 v[36:37], v5 offset:21320
	s_wait_dscnt 0x0
	v_pk_mul_f32 v[38:39], v[34:35], v[36:37] op_sel:[1,1] op_sel_hi:[1,0]
	s_delay_alu instid0(VALU_DEP_1) | instskip(SKIP_1) | instid1(VALU_DEP_2)
	v_pk_fma_f32 v[78:79], v[34:35], v[36:37], v[38:39] op_sel_hi:[0,1,1]
	v_pk_fma_f32 v[34:35], v[34:35], v[36:37], v[38:39] neg_lo:[0,0,1] neg_hi:[0,0,1]
	v_mov_b32_e32 v35, v79
	s_delay_alu instid0(VALU_DEP_1)
	v_pk_add_f32 v[36:37], v[34:35], 0 neg_lo:[1,1] neg_hi:[1,1]
	ds_store_b64 v3, v[36:37]
.LBB160_420:                            ;   in Loop: Header=BB160_3 Depth=1
	s_or_b32 exec_lo, exec_lo, s0
	s_wait_loadcnt_dscnt 0x0
	s_barrier_signal -1
	s_barrier_wait -1
	s_and_saveexec_b32 s0, s45
	s_cbranch_execz .LBB160_422
; %bb.421:                              ;   in Loop: Header=BB160_3 Depth=1
	ds_load_b64 v[36:37], v5 offset:21312
	ds_load_b64 v[38:39], v3
	s_wait_dscnt 0x0
	v_pk_mul_f32 v[78:79], v[38:39], v[36:37] op_sel:[1,1] op_sel_hi:[0,1]
	s_delay_alu instid0(VALU_DEP_1) | instskip(SKIP_1) | instid1(VALU_DEP_2)
	v_pk_fma_f32 v[80:81], v[38:39], v[36:37], v[78:79] op_sel_hi:[1,0,1]
	v_pk_fma_f32 v[36:37], v[38:39], v[36:37], v[78:79] neg_lo:[0,0,1] neg_hi:[0,0,1]
	v_mov_b32_e32 v37, v81
	s_delay_alu instid0(VALU_DEP_1)
	v_pk_add_f32 v[34:35], v[34:35], v[36:37] neg_lo:[0,1] neg_hi:[0,1]
.LBB160_422:                            ;   in Loop: Header=BB160_3 Depth=1
	s_or_b32 exec_lo, exec_lo, s0
	s_barrier_signal -1
	s_barrier_wait -1
	s_and_saveexec_b32 s0, s45
	s_cbranch_execz .LBB160_424
; %bb.423:                              ;   in Loop: Header=BB160_3 Depth=1
	ds_load_b64 v[36:37], v5 offset:20800
	s_wait_dscnt 0x0
	v_pk_mul_f32 v[38:39], v[34:35], v[36:37] op_sel:[1,1] op_sel_hi:[1,0]
	s_delay_alu instid0(VALU_DEP_1) | instskip(SKIP_1) | instid1(VALU_DEP_2)
	v_pk_fma_f32 v[78:79], v[34:35], v[36:37], v[38:39] op_sel_hi:[0,1,1]
	v_pk_fma_f32 v[34:35], v[34:35], v[36:37], v[38:39] neg_lo:[0,0,1] neg_hi:[0,0,1]
	v_mov_b32_e32 v35, v79
	s_delay_alu instid0(VALU_DEP_1)
	v_pk_add_f32 v[36:37], v[34:35], 0 neg_lo:[1,1] neg_hi:[1,1]
	ds_store_b64 v3, v[36:37]
.LBB160_424:                            ;   in Loop: Header=BB160_3 Depth=1
	s_or_b32 exec_lo, exec_lo, s0
	s_wait_dscnt 0x0
	s_barrier_signal -1
	s_barrier_wait -1
	s_barrier_signal -1
	s_barrier_wait -1
	s_and_saveexec_b32 s0, s3
; %bb.425:                              ;   in Loop: Header=BB160_3 Depth=1
	ds_store_b64 v44, v[34:35] offset:22336
; %bb.426:                              ;   in Loop: Header=BB160_3 Depth=1
	s_or_b32 exec_lo, exec_lo, s0
	s_wait_dscnt 0x0
	s_barrier_signal -1
	s_barrier_wait -1
	s_barrier_signal -1
	s_barrier_wait -1
	s_and_saveexec_b32 s0, s14
	s_cbranch_execz .LBB160_428
; %bb.427:                              ;   in Loop: Header=BB160_3 Depth=1
	v_add_nc_u32_e64 v34, 0x140, 0
	ds_load_b64 v[38:39], v5 offset:21320
	ds_load_2addr_stride64_b64 v[34:37], v34 offset0:40 offset1:41
	s_wait_dscnt 0x0
	v_dual_mul_f32 v77, v39, v35 :: v_dual_mul_f32 v78, v38, v35
	s_delay_alu instid0(VALU_DEP_1) | instskip(NEXT) | instid1(VALU_DEP_1)
	v_xor_b32_e32 v80, 0x80000000, v77
	v_dual_fmac_f32 v78, v39, v34 :: v_dual_fmac_f32 v80, v38, v34
	s_delay_alu instid0(VALU_DEP_1) | instskip(NEXT) | instid1(VALU_DEP_1)
	v_pk_mul_f32 v[34:35], v[78:79], v[36:37] op_sel:[0,1] op_sel_hi:[0,0]
	v_pk_fma_f32 v[38:39], v[80:81], v[36:37], v[34:35] op_sel_hi:[0,1,1]
	v_pk_fma_f32 v[34:35], v[80:81], v[36:37], v[34:35] neg_lo:[0,0,1] neg_hi:[0,0,1]
	s_delay_alu instid0(VALU_DEP_2)
	v_mov_b32_e32 v35, v39
	ds_store_b64 v5, v[34:35] offset:21312
.LBB160_428:                            ;   in Loop: Header=BB160_3 Depth=1
	s_or_b32 exec_lo, exec_lo, s0
	v_mov_b64_e32 v[34:35], 0
	s_wait_dscnt 0x0
	s_barrier_signal -1
	s_barrier_wait -1
	global_wb scope:SCOPE_DEV
	s_wait_storecnt 0x0
	global_inv scope:SCOPE_DEV
	s_and_saveexec_b32 s1, s5
	s_cbranch_execz .LBB160_438
; %bb.429:                              ;   in Loop: Header=BB160_3 Depth=1
	ds_load_b64 v[34:35], v50 offset:20736
	ds_load_b64 v[36:37], v51 offset:24384
	s_wait_dscnt 0x0
	v_dual_mul_f32 v38, v37, v35 :: v_dual_mul_f32 v35, v36, v35
	s_delay_alu instid0(VALU_DEP_1) | instskip(NEXT) | instid1(VALU_DEP_1)
	v_dual_fma_f32 v36, v36, v34, -v38 :: v_dual_fmac_f32 v35, v37, v34
	v_dual_add_f32 v34, 0, v36 :: v_dual_add_f32 v35, 0, v35
	s_and_saveexec_b32 s0, s18
	s_cbranch_execnz .LBB160_1064
; %bb.430:                              ;   in Loop: Header=BB160_3 Depth=1
	s_or_b32 exec_lo, exec_lo, s0
	s_and_saveexec_b32 s0, s19
	s_cbranch_execnz .LBB160_1065
.LBB160_431:                            ;   in Loop: Header=BB160_3 Depth=1
	s_or_b32 exec_lo, exec_lo, s0
	s_and_saveexec_b32 s0, s20
	s_cbranch_execnz .LBB160_1066
.LBB160_432:                            ;   in Loop: Header=BB160_3 Depth=1
	s_or_b32 exec_lo, exec_lo, s0
	s_and_saveexec_b32 s0, s21
	s_cbranch_execnz .LBB160_1067
.LBB160_433:                            ;   in Loop: Header=BB160_3 Depth=1
	s_or_b32 exec_lo, exec_lo, s0
	s_and_saveexec_b32 s0, s22
	s_cbranch_execnz .LBB160_1068
.LBB160_434:                            ;   in Loop: Header=BB160_3 Depth=1
	s_or_b32 exec_lo, exec_lo, s0
	s_and_saveexec_b32 s0, s4
	s_cbranch_execnz .LBB160_1069
.LBB160_435:                            ;   in Loop: Header=BB160_3 Depth=1
	s_or_b32 exec_lo, exec_lo, s0
	s_and_saveexec_b32 s0, s17
	s_cbranch_execz .LBB160_437
.LBB160_436:                            ;   in Loop: Header=BB160_3 Depth=1
	ds_load_b64 v[36:37], v43 offset:24320
	ds_load_b64 v[38:39], v5 offset:24440
	s_wait_dscnt 0x0
	v_dual_mul_f32 v77, v39, v37 :: v_dual_mul_f32 v79, v38, v37
	s_delay_alu instid0(VALU_DEP_1) | instskip(NEXT) | instid1(VALU_DEP_1)
	v_dual_fma_f32 v78, v38, v36, -v77 :: v_dual_fmac_f32 v79, v39, v36
	v_pk_add_f32 v[34:35], v[34:35], v[78:79]
.LBB160_437:                            ;   in Loop: Header=BB160_3 Depth=1
	s_or_b32 exec_lo, exec_lo, s0
.LBB160_438:                            ;   in Loop: Header=BB160_3 Depth=1
	s_delay_alu instid0(SALU_CYCLE_1)
	s_or_b32 exec_lo, exec_lo, s1
	s_and_saveexec_b32 s0, s52
	s_cbranch_execz .LBB160_440
; %bb.439:                              ;   in Loop: Header=BB160_3 Depth=1
	ds_load_b64 v[36:37], v5 offset:20280
	s_wait_dscnt 0x0
	v_pk_mul_f32 v[38:39], v[34:35], v[36:37] op_sel:[1,1] op_sel_hi:[1,0]
	s_delay_alu instid0(VALU_DEP_1) | instskip(SKIP_1) | instid1(VALU_DEP_2)
	v_pk_fma_f32 v[78:79], v[34:35], v[36:37], v[38:39] op_sel_hi:[0,1,1]
	v_pk_fma_f32 v[34:35], v[34:35], v[36:37], v[38:39] neg_lo:[0,0,1] neg_hi:[0,0,1]
	v_mov_b32_e32 v35, v79
	s_delay_alu instid0(VALU_DEP_1)
	v_pk_add_f32 v[36:37], v[34:35], 0 neg_lo:[1,1] neg_hi:[1,1]
	ds_store_b64 v49, v[36:37]
.LBB160_440:                            ;   in Loop: Header=BB160_3 Depth=1
	s_or_b32 exec_lo, exec_lo, s0
	s_wait_loadcnt_dscnt 0x0
	s_barrier_signal -1
	s_barrier_wait -1
	s_and_saveexec_b32 s0, s53
	s_cbranch_execz .LBB160_442
; %bb.441:                              ;   in Loop: Header=BB160_3 Depth=1
	ds_load_b64 v[36:37], v50 offset:20224
	ds_load_b64 v[38:39], v49
	s_wait_dscnt 0x0
	v_pk_mul_f32 v[78:79], v[38:39], v[36:37] op_sel:[1,1] op_sel_hi:[0,1]
	s_delay_alu instid0(VALU_DEP_1) | instskip(SKIP_1) | instid1(VALU_DEP_2)
	v_pk_fma_f32 v[80:81], v[38:39], v[36:37], v[78:79] op_sel_hi:[1,0,1]
	v_pk_fma_f32 v[36:37], v[38:39], v[36:37], v[78:79] neg_lo:[0,0,1] neg_hi:[0,0,1]
	v_mov_b32_e32 v37, v81
	s_delay_alu instid0(VALU_DEP_1)
	v_pk_add_f32 v[34:35], v[34:35], v[36:37] neg_lo:[0,1] neg_hi:[0,1]
.LBB160_442:                            ;   in Loop: Header=BB160_3 Depth=1
	s_or_b32 exec_lo, exec_lo, s0
	s_barrier_signal -1
	s_barrier_wait -1
	s_and_saveexec_b32 s0, s54
	s_cbranch_execz .LBB160_444
; %bb.443:                              ;   in Loop: Header=BB160_3 Depth=1
	ds_load_b64 v[36:37], v5 offset:19760
	s_wait_dscnt 0x0
	v_pk_mul_f32 v[38:39], v[34:35], v[36:37] op_sel:[1,1] op_sel_hi:[1,0]
	s_delay_alu instid0(VALU_DEP_1) | instskip(SKIP_1) | instid1(VALU_DEP_2)
	v_pk_fma_f32 v[78:79], v[34:35], v[36:37], v[38:39] op_sel_hi:[0,1,1]
	v_pk_fma_f32 v[34:35], v[34:35], v[36:37], v[38:39] neg_lo:[0,0,1] neg_hi:[0,0,1]
	v_mov_b32_e32 v35, v79
	s_delay_alu instid0(VALU_DEP_1)
	v_pk_add_f32 v[36:37], v[34:35], 0 neg_lo:[1,1] neg_hi:[1,1]
	ds_store_b64 v49, v[36:37]
.LBB160_444:                            ;   in Loop: Header=BB160_3 Depth=1
	s_or_b32 exec_lo, exec_lo, s0
	s_wait_dscnt 0x0
	s_barrier_signal -1
	s_barrier_wait -1
	s_and_saveexec_b32 s0, s55
	s_cbranch_execz .LBB160_446
; %bb.445:                              ;   in Loop: Header=BB160_3 Depth=1
	ds_load_b64 v[36:37], v50 offset:19712
	ds_load_b64 v[38:39], v49
	s_wait_dscnt 0x0
	v_pk_mul_f32 v[78:79], v[38:39], v[36:37] op_sel:[1,1] op_sel_hi:[0,1]
	s_delay_alu instid0(VALU_DEP_1) | instskip(SKIP_1) | instid1(VALU_DEP_2)
	v_pk_fma_f32 v[80:81], v[38:39], v[36:37], v[78:79] op_sel_hi:[1,0,1]
	v_pk_fma_f32 v[36:37], v[38:39], v[36:37], v[78:79] neg_lo:[0,0,1] neg_hi:[0,0,1]
	v_mov_b32_e32 v37, v81
	s_delay_alu instid0(VALU_DEP_1)
	v_pk_add_f32 v[34:35], v[34:35], v[36:37] neg_lo:[0,1] neg_hi:[0,1]
.LBB160_446:                            ;   in Loop: Header=BB160_3 Depth=1
	s_or_b32 exec_lo, exec_lo, s0
	s_barrier_signal -1
	s_barrier_wait -1
	s_and_saveexec_b32 s0, s56
	s_cbranch_execz .LBB160_448
; %bb.447:                              ;   in Loop: Header=BB160_3 Depth=1
	ds_load_b64 v[36:37], v5 offset:19240
	s_wait_dscnt 0x0
	v_pk_mul_f32 v[38:39], v[34:35], v[36:37] op_sel:[1,1] op_sel_hi:[1,0]
	s_delay_alu instid0(VALU_DEP_1) | instskip(SKIP_1) | instid1(VALU_DEP_2)
	v_pk_fma_f32 v[78:79], v[34:35], v[36:37], v[38:39] op_sel_hi:[0,1,1]
	v_pk_fma_f32 v[34:35], v[34:35], v[36:37], v[38:39] neg_lo:[0,0,1] neg_hi:[0,0,1]
	v_mov_b32_e32 v35, v79
	s_delay_alu instid0(VALU_DEP_1)
	v_pk_add_f32 v[36:37], v[34:35], 0 neg_lo:[1,1] neg_hi:[1,1]
	ds_store_b64 v49, v[36:37]
.LBB160_448:                            ;   in Loop: Header=BB160_3 Depth=1
	s_or_b32 exec_lo, exec_lo, s0
	s_wait_dscnt 0x0
	s_barrier_signal -1
	s_barrier_wait -1
	s_and_saveexec_b32 s0, s57
	s_cbranch_execz .LBB160_450
; %bb.449:                              ;   in Loop: Header=BB160_3 Depth=1
	ds_load_b64 v[36:37], v50 offset:19200
	ds_load_b64 v[38:39], v49
	s_wait_dscnt 0x0
	v_pk_mul_f32 v[78:79], v[38:39], v[36:37] op_sel:[1,1] op_sel_hi:[0,1]
	s_delay_alu instid0(VALU_DEP_1) | instskip(SKIP_1) | instid1(VALU_DEP_2)
	v_pk_fma_f32 v[80:81], v[38:39], v[36:37], v[78:79] op_sel_hi:[1,0,1]
	v_pk_fma_f32 v[36:37], v[38:39], v[36:37], v[78:79] neg_lo:[0,0,1] neg_hi:[0,0,1]
	v_mov_b32_e32 v37, v81
	s_delay_alu instid0(VALU_DEP_1)
	v_pk_add_f32 v[34:35], v[34:35], v[36:37] neg_lo:[0,1] neg_hi:[0,1]
.LBB160_450:                            ;   in Loop: Header=BB160_3 Depth=1
	s_or_b32 exec_lo, exec_lo, s0
	s_barrier_signal -1
	s_barrier_wait -1
	s_and_saveexec_b32 s0, s58
	s_cbranch_execz .LBB160_452
; %bb.451:                              ;   in Loop: Header=BB160_3 Depth=1
	ds_load_b64 v[36:37], v5 offset:18720
	s_wait_dscnt 0x0
	v_pk_mul_f32 v[38:39], v[34:35], v[36:37]
	v_pk_mul_f32 v[34:35], v[34:35], v[36:37] op_sel:[1,0] op_sel_hi:[0,1]
	s_delay_alu instid0(VALU_DEP_1) | instskip(NEXT) | instid1(VALU_DEP_3)
	v_dual_mov_b32 v36, v38 :: v_dual_mov_b32 v37, v34
	v_mov_b32_e32 v34, v39
	s_delay_alu instid0(VALU_DEP_1) | instskip(SKIP_1) | instid1(VALU_DEP_2)
	v_pk_add_f32 v[38:39], v[36:37], v[34:35]
	v_pk_add_f32 v[34:35], v[36:37], v[34:35] neg_lo:[0,1] neg_hi:[0,1]
	v_mov_b32_e32 v35, v39
	s_delay_alu instid0(VALU_DEP_1)
	v_pk_add_f32 v[36:37], v[34:35], 0 neg_lo:[1,1] neg_hi:[1,1]
	ds_store_b64 v49, v[36:37]
.LBB160_452:                            ;   in Loop: Header=BB160_3 Depth=1
	s_or_b32 exec_lo, exec_lo, s0
	s_wait_dscnt 0x0
	s_barrier_signal -1
	s_barrier_wait -1
	s_and_saveexec_b32 s0, s59
	s_cbranch_execz .LBB160_454
; %bb.453:                              ;   in Loop: Header=BB160_3 Depth=1
	ds_load_b64 v[36:37], v50 offset:18688
	ds_load_b64 v[38:39], v49
	s_wait_dscnt 0x0
	v_dual_mul_f32 v77, v39, v37 :: v_dual_mul_f32 v37, v38, v37
	s_delay_alu instid0(VALU_DEP_1) | instskip(NEXT) | instid1(VALU_DEP_1)
	v_fmac_f32_e32 v37, v39, v36
	v_dual_fma_f32 v38, v38, v36, -v77 :: v_dual_sub_f32 v35, v35, v37
	s_delay_alu instid0(VALU_DEP_1)
	v_sub_f32_e32 v34, v34, v38
.LBB160_454:                            ;   in Loop: Header=BB160_3 Depth=1
	s_or_b32 exec_lo, exec_lo, s0
	s_barrier_signal -1
	s_barrier_wait -1
	s_and_saveexec_b32 s0, s60
	s_cbranch_execz .LBB160_456
; %bb.455:                              ;   in Loop: Header=BB160_3 Depth=1
	ds_load_b64 v[36:37], v5 offset:18200
	s_wait_dscnt 0x0
	v_dual_mul_f32 v38, v35, v36 :: v_dual_mul_f32 v78, v35, v37
	s_delay_alu instid0(VALU_DEP_1) | instskip(NEXT) | instid1(VALU_DEP_2)
	v_pk_fma_f32 v[38:39], v[34:35], v[36:37], v[38:39] op_sel:[1,0,0] op_sel_hi:[0,1,0]
	v_pk_fma_f32 v[34:35], v[34:35], v[36:37], v[78:79] op_sel_hi:[1,1,0] neg_lo:[0,0,1] neg_hi:[0,0,1]
	s_delay_alu instid0(VALU_DEP_2) | instskip(NEXT) | instid1(VALU_DEP_1)
	v_mov_b32_e32 v35, v39
	v_pk_add_f32 v[36:37], v[34:35], 0 neg_lo:[1,1] neg_hi:[1,1]
	ds_store_b64 v49, v[36:37]
.LBB160_456:                            ;   in Loop: Header=BB160_3 Depth=1
	s_or_b32 exec_lo, exec_lo, s0
	s_wait_dscnt 0x0
	s_barrier_signal -1
	s_barrier_wait -1
	s_and_saveexec_b32 s0, s61
	s_cbranch_execz .LBB160_458
; %bb.457:                              ;   in Loop: Header=BB160_3 Depth=1
	ds_load_b64 v[36:37], v50 offset:18176
	ds_load_b64 v[38:39], v49
	s_wait_dscnt 0x0
	v_pk_mul_f32 v[78:79], v[38:39], v[36:37] op_sel:[1,1] op_sel_hi:[0,1]
	s_delay_alu instid0(VALU_DEP_1) | instskip(SKIP_1) | instid1(VALU_DEP_2)
	v_pk_fma_f32 v[80:81], v[38:39], v[36:37], v[78:79] op_sel_hi:[1,0,1]
	v_pk_fma_f32 v[36:37], v[38:39], v[36:37], v[78:79] neg_lo:[0,0,1] neg_hi:[0,0,1]
	v_mov_b32_e32 v37, v81
	s_delay_alu instid0(VALU_DEP_1)
	v_pk_add_f32 v[34:35], v[34:35], v[36:37] neg_lo:[0,1] neg_hi:[0,1]
.LBB160_458:                            ;   in Loop: Header=BB160_3 Depth=1
	s_or_b32 exec_lo, exec_lo, s0
	s_barrier_signal -1
	s_barrier_wait -1
	s_and_saveexec_b32 s0, s62
	s_cbranch_execz .LBB160_460
; %bb.459:                              ;   in Loop: Header=BB160_3 Depth=1
	ds_load_b64 v[36:37], v5 offset:17680
	s_wait_dscnt 0x0
	v_pk_mul_f32 v[38:39], v[34:35], v[36:37] op_sel:[1,1] op_sel_hi:[1,0]
	s_delay_alu instid0(VALU_DEP_1) | instskip(SKIP_1) | instid1(VALU_DEP_2)
	v_pk_fma_f32 v[78:79], v[34:35], v[36:37], v[38:39] op_sel_hi:[0,1,1]
	v_pk_fma_f32 v[34:35], v[34:35], v[36:37], v[38:39] neg_lo:[0,0,1] neg_hi:[0,0,1]
	v_mov_b32_e32 v35, v79
	s_delay_alu instid0(VALU_DEP_1)
	v_pk_add_f32 v[36:37], v[34:35], 0 neg_lo:[1,1] neg_hi:[1,1]
	ds_store_b64 v49, v[36:37]
.LBB160_460:                            ;   in Loop: Header=BB160_3 Depth=1
	s_or_b32 exec_lo, exec_lo, s0
	s_wait_dscnt 0x0
	s_barrier_signal -1
	s_barrier_wait -1
	s_and_saveexec_b32 s0, s63
	s_cbranch_execz .LBB160_462
; %bb.461:                              ;   in Loop: Header=BB160_3 Depth=1
	ds_load_b64 v[36:37], v50 offset:17664
	ds_load_b64 v[38:39], v49
	s_wait_dscnt 0x0
	v_pk_mul_f32 v[78:79], v[38:39], v[36:37] op_sel:[1,1] op_sel_hi:[0,1]
	s_delay_alu instid0(VALU_DEP_1) | instskip(SKIP_1) | instid1(VALU_DEP_2)
	v_pk_fma_f32 v[80:81], v[38:39], v[36:37], v[78:79] op_sel_hi:[1,0,1]
	v_pk_fma_f32 v[36:37], v[38:39], v[36:37], v[78:79] neg_lo:[0,0,1] neg_hi:[0,0,1]
	v_mov_b32_e32 v37, v81
	s_delay_alu instid0(VALU_DEP_1)
	v_pk_add_f32 v[34:35], v[34:35], v[36:37] neg_lo:[0,1] neg_hi:[0,1]
.LBB160_462:                            ;   in Loop: Header=BB160_3 Depth=1
	s_or_b32 exec_lo, exec_lo, s0
	s_barrier_signal -1
	s_barrier_wait -1
	s_and_saveexec_b32 s0, s64
	s_cbranch_execz .LBB160_464
; %bb.463:                              ;   in Loop: Header=BB160_3 Depth=1
	ds_load_b64 v[36:37], v5 offset:17160
	s_wait_dscnt 0x0
	v_pk_mul_f32 v[38:39], v[34:35], v[36:37] op_sel:[1,1] op_sel_hi:[1,0]
	s_delay_alu instid0(VALU_DEP_1) | instskip(SKIP_1) | instid1(VALU_DEP_2)
	v_pk_fma_f32 v[78:79], v[34:35], v[36:37], v[38:39] op_sel_hi:[0,1,1]
	v_pk_fma_f32 v[34:35], v[34:35], v[36:37], v[38:39] neg_lo:[0,0,1] neg_hi:[0,0,1]
	v_mov_b32_e32 v35, v79
	s_delay_alu instid0(VALU_DEP_1)
	v_pk_add_f32 v[36:37], v[34:35], 0 neg_lo:[1,1] neg_hi:[1,1]
	ds_store_b64 v49, v[36:37]
.LBB160_464:                            ;   in Loop: Header=BB160_3 Depth=1
	;; [unrolled: 35-line block ×3, first 2 shown]
	s_or_b32 exec_lo, exec_lo, s0
	s_wait_dscnt 0x0
	s_barrier_signal -1
	s_barrier_wait -1
	s_barrier_signal -1
	s_barrier_wait -1
	s_and_saveexec_b32 s0, s5
; %bb.469:                              ;   in Loop: Header=BB160_3 Depth=1
	ds_store_b64 v52, v[34:35] offset:24320
; %bb.470:                              ;   in Loop: Header=BB160_3 Depth=1
	s_or_b32 exec_lo, exec_lo, s0
	s_wait_dscnt 0x0
	s_barrier_signal -1
	s_barrier_wait -1
	s_barrier_signal -1
	s_barrier_wait -1
	s_and_saveexec_b32 s0, s14
	s_cbranch_execz .LBB160_472
; %bb.471:                              ;   in Loop: Header=BB160_3 Depth=1
	v_add_nc_u32_e64 v34, 0x130, 0
	ds_load_b64 v[38:39], v5 offset:20280
	ds_load_2addr_stride64_b64 v[34:37], v34 offset0:38 offset1:39
	s_wait_dscnt 0x0
	v_dual_mul_f32 v77, v39, v35 :: v_dual_mul_f32 v78, v38, v35
	s_delay_alu instid0(VALU_DEP_1) | instskip(NEXT) | instid1(VALU_DEP_1)
	v_xor_b32_e32 v80, 0x80000000, v77
	v_dual_fmac_f32 v78, v39, v34 :: v_dual_fmac_f32 v80, v38, v34
	s_delay_alu instid0(VALU_DEP_1) | instskip(NEXT) | instid1(VALU_DEP_1)
	v_pk_mul_f32 v[34:35], v[78:79], v[36:37] op_sel:[0,1] op_sel_hi:[0,0]
	v_pk_fma_f32 v[38:39], v[80:81], v[36:37], v[34:35] op_sel_hi:[0,1,1]
	v_pk_fma_f32 v[34:35], v[80:81], v[36:37], v[34:35] neg_lo:[0,0,1] neg_hi:[0,0,1]
	s_delay_alu instid0(VALU_DEP_2)
	v_mov_b32_e32 v35, v39
	ds_store_b64 v5, v[34:35] offset:20272
.LBB160_472:                            ;   in Loop: Header=BB160_3 Depth=1
	s_or_b32 exec_lo, exec_lo, s0
	v_dual_mov_b32 v34, 0 :: v_dual_mov_b32 v35, 0
	s_wait_dscnt 0x0
	s_barrier_signal -1
	s_barrier_wait -1
	global_wb scope:SCOPE_DEV
	s_wait_storecnt 0x0
	global_inv scope:SCOPE_DEV
	s_and_saveexec_b32 s1, s3
	s_cbranch_execz .LBB160_476
; %bb.473:                              ;   in Loop: Header=BB160_3 Depth=1
	ds_load_b64 v[34:35], v41 offset:19744
	ds_load_b64 v[36:37], v42 offset:20272
	s_wait_dscnt 0x0
	v_pk_mul_f32 v[38:39], v[36:37], v[34:35] op_sel:[1,1] op_sel_hi:[0,1]
	s_delay_alu instid0(VALU_DEP_1) | instskip(SKIP_1) | instid1(VALU_DEP_2)
	v_pk_fma_f32 v[78:79], v[36:37], v[34:35], v[38:39] op_sel_hi:[1,0,1]
	v_pk_fma_f32 v[34:35], v[36:37], v[34:35], v[38:39] neg_lo:[0,0,1] neg_hi:[0,0,1]
	v_mov_b32_e32 v35, v79
	s_delay_alu instid0(VALU_DEP_1)
	v_pk_add_f32 v[34:35], v[34:35], 0 op_sel_hi:[1,0]
	s_and_saveexec_b32 s0, s15
	s_cbranch_execz .LBB160_475
; %bb.474:                              ;   in Loop: Header=BB160_3 Depth=1
	ds_load_b64 v[36:37], v43 offset:20256
	ds_load_b64 v[38:39], v5 offset:20280
	s_wait_dscnt 0x0
	v_pk_mul_f32 v[78:79], v[38:39], v[36:37] op_sel:[1,1] op_sel_hi:[0,1]
	s_delay_alu instid0(VALU_DEP_1) | instskip(SKIP_1) | instid1(VALU_DEP_2)
	v_pk_fma_f32 v[80:81], v[38:39], v[36:37], v[78:79] op_sel_hi:[1,0,1]
	v_pk_fma_f32 v[36:37], v[38:39], v[36:37], v[78:79] neg_lo:[0,0,1] neg_hi:[0,0,1]
	v_mov_b32_e32 v37, v81
	s_delay_alu instid0(VALU_DEP_1)
	v_pk_add_f32 v[34:35], v[34:35], v[36:37]
.LBB160_475:                            ;   in Loop: Header=BB160_3 Depth=1
	s_or_b32 exec_lo, exec_lo, s0
.LBB160_476:                            ;   in Loop: Header=BB160_3 Depth=1
	s_delay_alu instid0(SALU_CYCLE_1)
	s_or_b32 exec_lo, exec_lo, s1
	s_and_saveexec_b32 s0, s44
	s_cbranch_execz .LBB160_478
; %bb.477:                              ;   in Loop: Header=BB160_3 Depth=1
	ds_load_b64 v[36:37], v5 offset:19240
	s_wait_dscnt 0x0
	v_pk_mul_f32 v[38:39], v[34:35], v[36:37] op_sel:[1,1] op_sel_hi:[1,0]
	s_delay_alu instid0(VALU_DEP_1) | instskip(SKIP_1) | instid1(VALU_DEP_2)
	v_pk_fma_f32 v[78:79], v[34:35], v[36:37], v[38:39] op_sel_hi:[0,1,1]
	v_pk_fma_f32 v[34:35], v[34:35], v[36:37], v[38:39] neg_lo:[0,0,1] neg_hi:[0,0,1]
	v_mov_b32_e32 v35, v79
	s_delay_alu instid0(VALU_DEP_1)
	v_pk_add_f32 v[36:37], v[34:35], 0 neg_lo:[1,1] neg_hi:[1,1]
	ds_store_b64 v3, v[36:37]
.LBB160_478:                            ;   in Loop: Header=BB160_3 Depth=1
	s_or_b32 exec_lo, exec_lo, s0
	s_wait_loadcnt_dscnt 0x0
	s_barrier_signal -1
	s_barrier_wait -1
	s_and_saveexec_b32 s0, s45
	s_cbranch_execz .LBB160_480
; %bb.479:                              ;   in Loop: Header=BB160_3 Depth=1
	ds_load_b64 v[36:37], v5 offset:19232
	ds_load_b64 v[38:39], v3
	s_wait_dscnt 0x0
	v_pk_mul_f32 v[78:79], v[38:39], v[36:37] op_sel:[1,1] op_sel_hi:[0,1]
	s_delay_alu instid0(VALU_DEP_1) | instskip(SKIP_1) | instid1(VALU_DEP_2)
	v_pk_fma_f32 v[80:81], v[38:39], v[36:37], v[78:79] op_sel_hi:[1,0,1]
	v_pk_fma_f32 v[36:37], v[38:39], v[36:37], v[78:79] neg_lo:[0,0,1] neg_hi:[0,0,1]
	v_mov_b32_e32 v37, v81
	s_delay_alu instid0(VALU_DEP_1)
	v_pk_add_f32 v[34:35], v[34:35], v[36:37] neg_lo:[0,1] neg_hi:[0,1]
.LBB160_480:                            ;   in Loop: Header=BB160_3 Depth=1
	s_or_b32 exec_lo, exec_lo, s0
	s_barrier_signal -1
	s_barrier_wait -1
	s_and_saveexec_b32 s0, s45
	s_cbranch_execz .LBB160_482
; %bb.481:                              ;   in Loop: Header=BB160_3 Depth=1
	ds_load_b64 v[36:37], v5 offset:18720
	s_wait_dscnt 0x0
	v_pk_mul_f32 v[38:39], v[34:35], v[36:37] op_sel:[1,1] op_sel_hi:[1,0]
	s_delay_alu instid0(VALU_DEP_1) | instskip(SKIP_1) | instid1(VALU_DEP_2)
	v_pk_fma_f32 v[78:79], v[34:35], v[36:37], v[38:39] op_sel_hi:[0,1,1]
	v_pk_fma_f32 v[34:35], v[34:35], v[36:37], v[38:39] neg_lo:[0,0,1] neg_hi:[0,0,1]
	v_mov_b32_e32 v35, v79
	s_delay_alu instid0(VALU_DEP_1)
	v_pk_add_f32 v[36:37], v[34:35], 0 neg_lo:[1,1] neg_hi:[1,1]
	ds_store_b64 v3, v[36:37]
.LBB160_482:                            ;   in Loop: Header=BB160_3 Depth=1
	s_or_b32 exec_lo, exec_lo, s0
	s_wait_dscnt 0x0
	s_barrier_signal -1
	s_barrier_wait -1
	s_barrier_signal -1
	s_barrier_wait -1
	s_and_saveexec_b32 s0, s3
; %bb.483:                              ;   in Loop: Header=BB160_3 Depth=1
	ds_store_b64 v44, v[34:35] offset:20256
; %bb.484:                              ;   in Loop: Header=BB160_3 Depth=1
	s_or_b32 exec_lo, exec_lo, s0
	s_wait_dscnt 0x0
	s_barrier_signal -1
	s_barrier_wait -1
	s_barrier_signal -1
	s_barrier_wait -1
	s_and_saveexec_b32 s0, s14
	s_cbranch_execz .LBB160_486
; %bb.485:                              ;   in Loop: Header=BB160_3 Depth=1
	v_add_nc_u32_e64 v34, 0x120, 0
	ds_load_b64 v[38:39], v5 offset:19240
	ds_load_2addr_stride64_b64 v[34:37], v34 offset0:36 offset1:37
	s_wait_dscnt 0x0
	v_dual_mul_f32 v77, v39, v35 :: v_dual_mul_f32 v78, v38, v35
	s_delay_alu instid0(VALU_DEP_1) | instskip(NEXT) | instid1(VALU_DEP_1)
	v_xor_b32_e32 v80, 0x80000000, v77
	v_dual_fmac_f32 v78, v39, v34 :: v_dual_fmac_f32 v80, v38, v34
	s_delay_alu instid0(VALU_DEP_1) | instskip(NEXT) | instid1(VALU_DEP_1)
	v_pk_mul_f32 v[34:35], v[78:79], v[36:37] op_sel:[0,1] op_sel_hi:[0,0]
	v_pk_fma_f32 v[38:39], v[80:81], v[36:37], v[34:35] op_sel_hi:[0,1,1]
	v_pk_fma_f32 v[34:35], v[80:81], v[36:37], v[34:35] neg_lo:[0,0,1] neg_hi:[0,0,1]
	s_delay_alu instid0(VALU_DEP_2)
	v_mov_b32_e32 v35, v39
	ds_store_b64 v5, v[34:35] offset:19232
.LBB160_486:                            ;   in Loop: Header=BB160_3 Depth=1
	s_or_b32 exec_lo, exec_lo, s0
	v_mov_b64_e32 v[34:35], 0
	s_wait_dscnt 0x0
	s_barrier_signal -1
	s_barrier_wait -1
	global_wb scope:SCOPE_DEV
	s_wait_storecnt 0x0
	global_inv scope:SCOPE_DEV
	s_and_saveexec_b32 s1, s4
	s_cbranch_execz .LBB160_492
; %bb.487:                              ;   in Loop: Header=BB160_3 Depth=1
	ds_load_b64 v[34:35], v46 offset:18688
	ds_load_b64 v[36:37], v47 offset:20256
	s_wait_dscnt 0x0
	v_dual_mul_f32 v38, v37, v35 :: v_dual_mul_f32 v35, v36, v35
	s_delay_alu instid0(VALU_DEP_1) | instskip(NEXT) | instid1(VALU_DEP_1)
	v_dual_fma_f32 v36, v36, v34, -v38 :: v_dual_fmac_f32 v35, v37, v34
	v_dual_add_f32 v34, 0, v36 :: v_dual_add_f32 v35, 0, v35
	s_and_saveexec_b32 s0, s16
	s_cbranch_execnz .LBB160_1070
; %bb.488:                              ;   in Loop: Header=BB160_3 Depth=1
	s_or_b32 exec_lo, exec_lo, s0
	s_and_saveexec_b32 s0, s17
	s_cbranch_execnz .LBB160_1071
.LBB160_489:                            ;   in Loop: Header=BB160_3 Depth=1
	s_or_b32 exec_lo, exec_lo, s0
	s_and_saveexec_b32 s0, s3
	s_cbranch_execz .LBB160_491
.LBB160_490:                            ;   in Loop: Header=BB160_3 Depth=1
	ds_load_b64 v[36:37], v43 offset:20224
	ds_load_b64 v[38:39], v5 offset:20280
	s_wait_dscnt 0x0
	v_dual_mul_f32 v77, v39, v37 :: v_dual_mul_f32 v37, v38, v37
	s_delay_alu instid0(VALU_DEP_1) | instskip(NEXT) | instid1(VALU_DEP_1)
	v_fmac_f32_e32 v37, v39, v36
	v_dual_fma_f32 v38, v38, v36, -v77 :: v_dual_add_f32 v35, v35, v37
	s_delay_alu instid0(VALU_DEP_1)
	v_add_f32_e32 v34, v34, v38
.LBB160_491:                            ;   in Loop: Header=BB160_3 Depth=1
	s_or_b32 exec_lo, exec_lo, s0
.LBB160_492:                            ;   in Loop: Header=BB160_3 Depth=1
	s_delay_alu instid0(SALU_CYCLE_1)
	s_or_b32 exec_lo, exec_lo, s1
	s_and_saveexec_b32 s0, s46
	s_cbranch_execz .LBB160_494
; %bb.493:                              ;   in Loop: Header=BB160_3 Depth=1
	ds_load_b64 v[36:37], v5 offset:18200
	s_wait_dscnt 0x0
	v_dual_mul_f32 v38, v35, v36 :: v_dual_mul_f32 v78, v35, v37
	s_delay_alu instid0(VALU_DEP_1) | instskip(NEXT) | instid1(VALU_DEP_2)
	v_pk_fma_f32 v[38:39], v[34:35], v[36:37], v[38:39] op_sel:[1,0,0] op_sel_hi:[0,1,0]
	v_pk_fma_f32 v[34:35], v[34:35], v[36:37], v[78:79] op_sel_hi:[1,1,0] neg_lo:[0,0,1] neg_hi:[0,0,1]
	s_delay_alu instid0(VALU_DEP_2) | instskip(NEXT) | instid1(VALU_DEP_1)
	v_mov_b32_e32 v35, v39
	v_pk_add_f32 v[36:37], v[34:35], 0 neg_lo:[1,1] neg_hi:[1,1]
	ds_store_b64 v45, v[36:37]
.LBB160_494:                            ;   in Loop: Header=BB160_3 Depth=1
	s_or_b32 exec_lo, exec_lo, s0
	s_wait_loadcnt_dscnt 0x0
	s_barrier_signal -1
	s_barrier_wait -1
	s_and_saveexec_b32 s0, s47
	s_cbranch_execz .LBB160_496
; %bb.495:                              ;   in Loop: Header=BB160_3 Depth=1
	ds_load_b64 v[36:37], v46 offset:18176
	ds_load_b64 v[38:39], v45
	s_wait_dscnt 0x0
	v_pk_mul_f32 v[78:79], v[38:39], v[36:37] op_sel:[1,1] op_sel_hi:[0,1]
	s_delay_alu instid0(VALU_DEP_1) | instskip(SKIP_1) | instid1(VALU_DEP_2)
	v_pk_fma_f32 v[80:81], v[38:39], v[36:37], v[78:79] op_sel_hi:[1,0,1]
	v_pk_fma_f32 v[36:37], v[38:39], v[36:37], v[78:79] neg_lo:[0,0,1] neg_hi:[0,0,1]
	v_mov_b32_e32 v37, v81
	s_delay_alu instid0(VALU_DEP_1)
	v_pk_add_f32 v[34:35], v[34:35], v[36:37] neg_lo:[0,1] neg_hi:[0,1]
.LBB160_496:                            ;   in Loop: Header=BB160_3 Depth=1
	s_or_b32 exec_lo, exec_lo, s0
	s_barrier_signal -1
	s_barrier_wait -1
	s_and_saveexec_b32 s0, s48
	s_cbranch_execz .LBB160_498
; %bb.497:                              ;   in Loop: Header=BB160_3 Depth=1
	ds_load_b64 v[36:37], v5 offset:17680
	s_wait_dscnt 0x0
	v_pk_mul_f32 v[38:39], v[34:35], v[36:37] op_sel:[1,1] op_sel_hi:[1,0]
	s_delay_alu instid0(VALU_DEP_1) | instskip(SKIP_1) | instid1(VALU_DEP_2)
	v_pk_fma_f32 v[78:79], v[34:35], v[36:37], v[38:39] op_sel_hi:[0,1,1]
	v_pk_fma_f32 v[34:35], v[34:35], v[36:37], v[38:39] neg_lo:[0,0,1] neg_hi:[0,0,1]
	v_mov_b32_e32 v35, v79
	s_delay_alu instid0(VALU_DEP_1)
	v_pk_add_f32 v[36:37], v[34:35], 0 neg_lo:[1,1] neg_hi:[1,1]
	ds_store_b64 v45, v[36:37]
.LBB160_498:                            ;   in Loop: Header=BB160_3 Depth=1
	s_or_b32 exec_lo, exec_lo, s0
	s_wait_dscnt 0x0
	s_barrier_signal -1
	s_barrier_wait -1
	s_and_saveexec_b32 s0, s49
	s_cbranch_execz .LBB160_500
; %bb.499:                              ;   in Loop: Header=BB160_3 Depth=1
	ds_load_b64 v[36:37], v46 offset:17664
	ds_load_b64 v[38:39], v45
	s_wait_dscnt 0x0
	v_pk_mul_f32 v[78:79], v[38:39], v[36:37] op_sel:[1,1] op_sel_hi:[0,1]
	s_delay_alu instid0(VALU_DEP_1) | instskip(SKIP_1) | instid1(VALU_DEP_2)
	v_pk_fma_f32 v[80:81], v[38:39], v[36:37], v[78:79] op_sel_hi:[1,0,1]
	v_pk_fma_f32 v[36:37], v[38:39], v[36:37], v[78:79] neg_lo:[0,0,1] neg_hi:[0,0,1]
	v_mov_b32_e32 v37, v81
	s_delay_alu instid0(VALU_DEP_1)
	v_pk_add_f32 v[34:35], v[34:35], v[36:37] neg_lo:[0,1] neg_hi:[0,1]
.LBB160_500:                            ;   in Loop: Header=BB160_3 Depth=1
	s_or_b32 exec_lo, exec_lo, s0
	s_barrier_signal -1
	s_barrier_wait -1
	s_and_saveexec_b32 s0, s50
	s_cbranch_execz .LBB160_502
; %bb.501:                              ;   in Loop: Header=BB160_3 Depth=1
	ds_load_b64 v[36:37], v5 offset:17160
	s_wait_dscnt 0x0
	v_pk_mul_f32 v[38:39], v[34:35], v[36:37] op_sel:[1,1] op_sel_hi:[1,0]
	s_delay_alu instid0(VALU_DEP_1) | instskip(SKIP_1) | instid1(VALU_DEP_2)
	v_pk_fma_f32 v[78:79], v[34:35], v[36:37], v[38:39] op_sel_hi:[0,1,1]
	v_pk_fma_f32 v[34:35], v[34:35], v[36:37], v[38:39] neg_lo:[0,0,1] neg_hi:[0,0,1]
	v_mov_b32_e32 v35, v79
	s_delay_alu instid0(VALU_DEP_1)
	v_pk_add_f32 v[36:37], v[34:35], 0 neg_lo:[1,1] neg_hi:[1,1]
	ds_store_b64 v45, v[36:37]
.LBB160_502:                            ;   in Loop: Header=BB160_3 Depth=1
	s_or_b32 exec_lo, exec_lo, s0
	s_wait_dscnt 0x0
	;; [unrolled: 35-line block ×3, first 2 shown]
	s_barrier_signal -1
	s_barrier_wait -1
	s_barrier_signal -1
	s_barrier_wait -1
	s_and_saveexec_b32 s0, s4
; %bb.507:                              ;   in Loop: Header=BB160_3 Depth=1
	ds_store_b64 v48, v[34:35] offset:20224
; %bb.508:                              ;   in Loop: Header=BB160_3 Depth=1
	s_or_b32 exec_lo, exec_lo, s0
	s_wait_dscnt 0x0
	s_barrier_signal -1
	s_barrier_wait -1
	s_barrier_signal -1
	s_barrier_wait -1
	s_and_saveexec_b32 s0, s14
	s_cbranch_execz .LBB160_510
; %bb.509:                              ;   in Loop: Header=BB160_3 Depth=1
	v_add_nc_u32_e64 v34, 0x110, 0
	ds_load_b64 v[38:39], v5 offset:18200
	ds_load_2addr_stride64_b64 v[34:37], v34 offset0:34 offset1:35
	s_wait_dscnt 0x0
	v_dual_mul_f32 v77, v39, v35 :: v_dual_mul_f32 v78, v38, v35
	s_delay_alu instid0(VALU_DEP_1) | instskip(NEXT) | instid1(VALU_DEP_1)
	v_xor_b32_e32 v80, 0x80000000, v77
	v_dual_fmac_f32 v78, v39, v34 :: v_dual_fmac_f32 v80, v38, v34
	s_delay_alu instid0(VALU_DEP_1) | instskip(NEXT) | instid1(VALU_DEP_1)
	v_pk_mul_f32 v[34:35], v[78:79], v[36:37] op_sel:[0,1] op_sel_hi:[0,0]
	v_pk_fma_f32 v[38:39], v[80:81], v[36:37], v[34:35] op_sel_hi:[0,1,1]
	v_pk_fma_f32 v[34:35], v[80:81], v[36:37], v[34:35] neg_lo:[0,0,1] neg_hi:[0,0,1]
	s_delay_alu instid0(VALU_DEP_2)
	v_mov_b32_e32 v35, v39
	ds_store_b64 v5, v[34:35] offset:18192
.LBB160_510:                            ;   in Loop: Header=BB160_3 Depth=1
	s_or_b32 exec_lo, exec_lo, s0
	v_dual_mov_b32 v34, 0 :: v_dual_mov_b32 v35, 0
	s_wait_dscnt 0x0
	s_barrier_signal -1
	s_barrier_wait -1
	global_wb scope:SCOPE_DEV
	s_wait_storecnt 0x0
	global_inv scope:SCOPE_DEV
	s_and_saveexec_b32 s1, s3
	s_cbranch_execz .LBB160_514
; %bb.511:                              ;   in Loop: Header=BB160_3 Depth=1
	ds_load_b64 v[34:35], v41 offset:17664
	ds_load_b64 v[36:37], v42 offset:18192
	s_wait_dscnt 0x0
	v_pk_mul_f32 v[38:39], v[36:37], v[34:35] op_sel:[1,1] op_sel_hi:[0,1]
	s_delay_alu instid0(VALU_DEP_1) | instskip(SKIP_1) | instid1(VALU_DEP_2)
	v_pk_fma_f32 v[78:79], v[36:37], v[34:35], v[38:39] op_sel_hi:[1,0,1]
	v_pk_fma_f32 v[34:35], v[36:37], v[34:35], v[38:39] neg_lo:[0,0,1] neg_hi:[0,0,1]
	v_mov_b32_e32 v35, v79
	s_delay_alu instid0(VALU_DEP_1)
	v_pk_add_f32 v[34:35], v[34:35], 0 op_sel_hi:[1,0]
	s_and_saveexec_b32 s0, s15
	s_cbranch_execz .LBB160_513
; %bb.512:                              ;   in Loop: Header=BB160_3 Depth=1
	ds_load_b64 v[36:37], v43 offset:18176
	ds_load_b64 v[38:39], v5 offset:18200
	s_wait_dscnt 0x0
	v_pk_mul_f32 v[78:79], v[38:39], v[36:37] op_sel:[1,1] op_sel_hi:[0,1]
	s_delay_alu instid0(VALU_DEP_1) | instskip(SKIP_1) | instid1(VALU_DEP_2)
	v_pk_fma_f32 v[80:81], v[38:39], v[36:37], v[78:79] op_sel_hi:[1,0,1]
	v_pk_fma_f32 v[36:37], v[38:39], v[36:37], v[78:79] neg_lo:[0,0,1] neg_hi:[0,0,1]
	v_mov_b32_e32 v37, v81
	s_delay_alu instid0(VALU_DEP_1)
	v_pk_add_f32 v[34:35], v[34:35], v[36:37]
.LBB160_513:                            ;   in Loop: Header=BB160_3 Depth=1
	s_or_b32 exec_lo, exec_lo, s0
.LBB160_514:                            ;   in Loop: Header=BB160_3 Depth=1
	s_delay_alu instid0(SALU_CYCLE_1)
	s_or_b32 exec_lo, exec_lo, s1
	s_and_saveexec_b32 s0, s44
	s_cbranch_execz .LBB160_516
; %bb.515:                              ;   in Loop: Header=BB160_3 Depth=1
	ds_load_b64 v[36:37], v5 offset:17160
	s_wait_dscnt 0x0
	v_pk_mul_f32 v[38:39], v[34:35], v[36:37] op_sel:[1,1] op_sel_hi:[1,0]
	s_delay_alu instid0(VALU_DEP_1) | instskip(SKIP_1) | instid1(VALU_DEP_2)
	v_pk_fma_f32 v[78:79], v[34:35], v[36:37], v[38:39] op_sel_hi:[0,1,1]
	v_pk_fma_f32 v[34:35], v[34:35], v[36:37], v[38:39] neg_lo:[0,0,1] neg_hi:[0,0,1]
	v_mov_b32_e32 v35, v79
	s_delay_alu instid0(VALU_DEP_1)
	v_pk_add_f32 v[36:37], v[34:35], 0 neg_lo:[1,1] neg_hi:[1,1]
	ds_store_b64 v3, v[36:37]
.LBB160_516:                            ;   in Loop: Header=BB160_3 Depth=1
	s_or_b32 exec_lo, exec_lo, s0
	s_wait_loadcnt_dscnt 0x0
	s_barrier_signal -1
	s_barrier_wait -1
	s_and_saveexec_b32 s0, s45
	s_cbranch_execz .LBB160_518
; %bb.517:                              ;   in Loop: Header=BB160_3 Depth=1
	ds_load_b64 v[36:37], v5 offset:17152
	ds_load_b64 v[38:39], v3
	s_wait_dscnt 0x0
	v_pk_mul_f32 v[78:79], v[38:39], v[36:37] op_sel:[1,1] op_sel_hi:[0,1]
	s_delay_alu instid0(VALU_DEP_1) | instskip(SKIP_1) | instid1(VALU_DEP_2)
	v_pk_fma_f32 v[80:81], v[38:39], v[36:37], v[78:79] op_sel_hi:[1,0,1]
	v_pk_fma_f32 v[36:37], v[38:39], v[36:37], v[78:79] neg_lo:[0,0,1] neg_hi:[0,0,1]
	v_mov_b32_e32 v37, v81
	s_delay_alu instid0(VALU_DEP_1)
	v_pk_add_f32 v[34:35], v[34:35], v[36:37] neg_lo:[0,1] neg_hi:[0,1]
.LBB160_518:                            ;   in Loop: Header=BB160_3 Depth=1
	s_or_b32 exec_lo, exec_lo, s0
	s_barrier_signal -1
	s_barrier_wait -1
	s_and_saveexec_b32 s0, s45
	s_cbranch_execz .LBB160_520
; %bb.519:                              ;   in Loop: Header=BB160_3 Depth=1
	ds_load_b64 v[36:37], v5 offset:16640
	s_wait_dscnt 0x0
	v_pk_mul_f32 v[38:39], v[34:35], v[36:37] op_sel:[1,1] op_sel_hi:[1,0]
	s_delay_alu instid0(VALU_DEP_1) | instskip(SKIP_1) | instid1(VALU_DEP_2)
	v_pk_fma_f32 v[78:79], v[34:35], v[36:37], v[38:39] op_sel_hi:[0,1,1]
	v_pk_fma_f32 v[34:35], v[34:35], v[36:37], v[38:39] neg_lo:[0,0,1] neg_hi:[0,0,1]
	v_mov_b32_e32 v35, v79
	s_delay_alu instid0(VALU_DEP_1)
	v_pk_add_f32 v[36:37], v[34:35], 0 neg_lo:[1,1] neg_hi:[1,1]
	ds_store_b64 v3, v[36:37]
.LBB160_520:                            ;   in Loop: Header=BB160_3 Depth=1
	s_or_b32 exec_lo, exec_lo, s0
	s_wait_dscnt 0x0
	s_barrier_signal -1
	s_barrier_wait -1
	s_barrier_signal -1
	s_barrier_wait -1
	s_and_saveexec_b32 s0, s3
; %bb.521:                              ;   in Loop: Header=BB160_3 Depth=1
	ds_store_b64 v44, v[34:35] offset:18176
; %bb.522:                              ;   in Loop: Header=BB160_3 Depth=1
	s_or_b32 exec_lo, exec_lo, s0
	s_wait_dscnt 0x0
	s_barrier_signal -1
	s_barrier_wait -1
	s_barrier_signal -1
	s_barrier_wait -1
	s_and_saveexec_b32 s0, s14
	s_cbranch_execz .LBB160_524
; %bb.523:                              ;   in Loop: Header=BB160_3 Depth=1
	v_add_nc_u32_e64 v34, 0x100, 0
	ds_load_b64 v[38:39], v5 offset:17160
	ds_load_2addr_stride64_b64 v[34:37], v34 offset0:32 offset1:33
	s_wait_dscnt 0x0
	v_dual_mul_f32 v77, v39, v35 :: v_dual_mul_f32 v78, v38, v35
	s_delay_alu instid0(VALU_DEP_1) | instskip(NEXT) | instid1(VALU_DEP_1)
	v_xor_b32_e32 v80, 0x80000000, v77
	v_dual_fmac_f32 v78, v39, v34 :: v_dual_fmac_f32 v80, v38, v34
	s_delay_alu instid0(VALU_DEP_1) | instskip(NEXT) | instid1(VALU_DEP_1)
	v_pk_mul_f32 v[34:35], v[78:79], v[36:37] op_sel:[0,1] op_sel_hi:[0,0]
	v_pk_fma_f32 v[38:39], v[80:81], v[36:37], v[34:35] op_sel_hi:[0,1,1]
	v_pk_fma_f32 v[34:35], v[80:81], v[36:37], v[34:35] neg_lo:[0,0,1] neg_hi:[0,0,1]
	s_delay_alu instid0(VALU_DEP_2)
	v_mov_b32_e32 v35, v39
	ds_store_b64 v5, v[34:35] offset:17152
.LBB160_524:                            ;   in Loop: Header=BB160_3 Depth=1
	s_or_b32 exec_lo, exec_lo, s0
	v_mov_b64_e32 v[34:35], 0
	s_wait_dscnt 0x0
	s_barrier_signal -1
	s_barrier_wait -1
	global_wb scope:SCOPE_DEV
	s_wait_storecnt 0x0
	global_inv scope:SCOPE_DEV
	s_and_saveexec_b32 s70, s35
	s_cbranch_execz .LBB160_586
; %bb.525:                              ;   in Loop: Header=BB160_3 Depth=1
	ds_load_b64 v[34:35], v59 offset:16384
	ds_load_b64 v[36:37], v60 offset:32512
	s_wait_dscnt 0x0
	v_dual_mul_f32 v38, v37, v35 :: v_dual_mul_f32 v35, v36, v35
	s_delay_alu instid0(VALU_DEP_1) | instskip(NEXT) | instid1(VALU_DEP_1)
	v_dual_fma_f32 v36, v36, v34, -v38 :: v_dual_fmac_f32 v35, v37, v34
	v_dual_add_f32 v34, 0, v36 :: v_dual_add_f32 v35, 0, v35
	s_mov_b32 s0, exec_lo
	v_readlane_b32 s1, v87, 20
	s_and_b32 s1, s0, s1
	s_delay_alu instid0(SALU_CYCLE_1)
	s_mov_b32 exec_lo, s1
	s_cbranch_execz .LBB160_527
; %bb.526:                              ;   in Loop: Header=BB160_3 Depth=1
	ds_load_b64 v[36:37], v59 offset:16896
	ds_load_b64 v[38:39], v60 offset:32520
	s_wait_dscnt 0x0
	v_dual_mul_f32 v77, v39, v37 :: v_dual_mul_f32 v37, v38, v37
	s_delay_alu instid0(VALU_DEP_1) | instskip(NEXT) | instid1(VALU_DEP_1)
	v_fmac_f32_e32 v37, v39, v36
	v_dual_fma_f32 v38, v38, v36, -v77 :: v_dual_add_f32 v35, v35, v37
	s_delay_alu instid0(VALU_DEP_1)
	v_add_f32_e32 v34, v34, v38
.LBB160_527:                            ;   in Loop: Header=BB160_3 Depth=1
	s_or_b32 exec_lo, exec_lo, s0
	s_delay_alu instid0(SALU_CYCLE_1) | instskip(SKIP_2) | instid1(SALU_CYCLE_1)
	s_mov_b32 s0, exec_lo
	v_readlane_b32 s1, v87, 21
	s_and_b32 s1, s0, s1
	s_mov_b32 exec_lo, s1
	s_cbranch_execz .LBB160_529
; %bb.528:                              ;   in Loop: Header=BB160_3 Depth=1
	ds_load_b64 v[36:37], v59 offset:17408
	ds_load_b64 v[38:39], v60 offset:32528
	s_wait_dscnt 0x0
	v_dual_mul_f32 v77, v39, v37 :: v_dual_mul_f32 v37, v38, v37
	s_delay_alu instid0(VALU_DEP_1) | instskip(NEXT) | instid1(VALU_DEP_1)
	v_fmac_f32_e32 v37, v39, v36
	v_dual_fma_f32 v38, v38, v36, -v77 :: v_dual_add_f32 v35, v35, v37
	s_delay_alu instid0(VALU_DEP_1)
	v_add_f32_e32 v34, v34, v38
.LBB160_529:                            ;   in Loop: Header=BB160_3 Depth=1
	s_or_b32 exec_lo, exec_lo, s0
	s_delay_alu instid0(SALU_CYCLE_1) | instskip(SKIP_2) | instid1(SALU_CYCLE_1)
	s_mov_b32 s0, exec_lo
	v_readlane_b32 s1, v87, 22
	s_and_b32 s1, s0, s1
	;; [unrolled: 18-line block ×22, first 2 shown]
	s_mov_b32 exec_lo, s1
	s_cbranch_execz .LBB160_571
; %bb.570:                              ;   in Loop: Header=BB160_3 Depth=1
	ds_load_b64 v[36:37], v59 offset:28160
	ds_load_b64 v[38:39], v60 offset:32696
	s_wait_dscnt 0x0
	v_dual_mul_f32 v77, v39, v37 :: v_dual_mul_f32 v37, v38, v37
	s_delay_alu instid0(VALU_DEP_1) | instskip(NEXT) | instid1(VALU_DEP_1)
	v_fmac_f32_e32 v37, v39, v36
	v_dual_fma_f32 v38, v38, v36, -v77 :: v_dual_add_f32 v35, v35, v37
	s_delay_alu instid0(VALU_DEP_1)
	v_add_f32_e32 v34, v34, v38
.LBB160_571:                            ;   in Loop: Header=BB160_3 Depth=1
	s_or_b32 exec_lo, exec_lo, s0
	s_and_saveexec_b32 s0, s6
	s_cbranch_execz .LBB160_573
; %bb.572:                              ;   in Loop: Header=BB160_3 Depth=1
	ds_load_b64 v[36:37], v59 offset:28672
	ds_load_b64 v[38:39], v60 offset:32704
	s_wait_dscnt 0x0
	v_dual_mul_f32 v77, v39, v37 :: v_dual_mul_f32 v37, v38, v37
	s_delay_alu instid0(VALU_DEP_1) | instskip(NEXT) | instid1(VALU_DEP_1)
	v_fmac_f32_e32 v37, v39, v36
	v_dual_fma_f32 v38, v38, v36, -v77 :: v_dual_add_f32 v35, v35, v37
	s_delay_alu instid0(VALU_DEP_1)
	v_add_f32_e32 v34, v34, v38
.LBB160_573:                            ;   in Loop: Header=BB160_3 Depth=1
	s_or_b32 exec_lo, exec_lo, s0
	s_delay_alu instid0(SALU_CYCLE_1) | instskip(SKIP_2) | instid1(SALU_CYCLE_1)
	s_mov_b32 s0, exec_lo
	v_readlane_b32 s1, v87, 1
	s_and_b32 s1, s0, s1
	s_mov_b32 exec_lo, s1
	s_cbranch_execz .LBB160_575
; %bb.574:                              ;   in Loop: Header=BB160_3 Depth=1
	ds_load_b64 v[36:37], v59 offset:29184
	ds_load_b64 v[38:39], v60 offset:32712
	s_wait_dscnt 0x0
	v_dual_mul_f32 v77, v39, v37 :: v_dual_mul_f32 v37, v38, v37
	s_delay_alu instid0(VALU_DEP_1) | instskip(NEXT) | instid1(VALU_DEP_1)
	v_fmac_f32_e32 v37, v39, v36
	v_dual_fma_f32 v38, v38, v36, -v77 :: v_dual_add_f32 v35, v35, v37
	s_delay_alu instid0(VALU_DEP_1)
	v_add_f32_e32 v34, v34, v38
.LBB160_575:                            ;   in Loop: Header=BB160_3 Depth=1
	s_or_b32 exec_lo, exec_lo, s0
	s_delay_alu instid0(SALU_CYCLE_1) | instskip(SKIP_2) | instid1(SALU_CYCLE_1)
	s_mov_b32 s0, exec_lo
	v_readlane_b32 s1, v87, 3
	s_and_b32 s1, s0, s1
	s_mov_b32 exec_lo, s1
	;; [unrolled: 18-line block ×4, first 2 shown]
	s_cbranch_execz .LBB160_581
; %bb.580:                              ;   in Loop: Header=BB160_3 Depth=1
	ds_load_b64 v[36:37], v59 offset:30720
	ds_load_b64 v[38:39], v60 offset:32736
	s_wait_dscnt 0x0
	v_dual_mul_f32 v77, v39, v37 :: v_dual_mul_f32 v79, v38, v37
	s_delay_alu instid0(VALU_DEP_1) | instskip(NEXT) | instid1(VALU_DEP_1)
	v_dual_fma_f32 v78, v38, v36, -v77 :: v_dual_fmac_f32 v79, v39, v36
	v_pk_add_f32 v[34:35], v[34:35], v[78:79]
.LBB160_581:                            ;   in Loop: Header=BB160_3 Depth=1
	s_or_b32 exec_lo, exec_lo, s0
	s_delay_alu instid0(SALU_CYCLE_1) | instskip(SKIP_2) | instid1(SALU_CYCLE_1)
	s_mov_b32 s0, exec_lo
	v_readlane_b32 s1, v87, 9
	s_and_b32 s1, s0, s1
	s_mov_b32 exec_lo, s1
	s_cbranch_execnz .LBB160_1072
; %bb.582:                              ;   in Loop: Header=BB160_3 Depth=1
	s_or_b32 exec_lo, exec_lo, s0
	s_and_saveexec_b32 s0, s5
	s_cbranch_execnz .LBB160_1073
.LBB160_583:                            ;   in Loop: Header=BB160_3 Depth=1
	s_or_b32 exec_lo, exec_lo, s0
	s_and_saveexec_b32 s0, s21
	s_delay_alu instid0(SALU_CYCLE_1)
	s_xor_b32 s0, exec_lo, s0
	s_cbranch_execz .LBB160_585
.LBB160_584:                            ;   in Loop: Header=BB160_3 Depth=1
	ds_load_b64 v[36:37], v59 offset:32256
	ds_load_b64 v[38:39], v60 offset:32760
	s_wait_dscnt 0x0
	v_pk_mul_f32 v[78:79], v[38:39], v[36:37] op_sel:[1,1] op_sel_hi:[0,1]
	s_delay_alu instid0(VALU_DEP_1) | instskip(SKIP_1) | instid1(VALU_DEP_2)
	v_pk_fma_f32 v[80:81], v[38:39], v[36:37], v[78:79] op_sel_hi:[1,0,1]
	v_pk_fma_f32 v[36:37], v[38:39], v[36:37], v[78:79] neg_lo:[0,0,1] neg_hi:[0,0,1]
	v_mov_b32_e32 v37, v81
	s_delay_alu instid0(VALU_DEP_1)
	v_pk_add_f32 v[34:35], v[34:35], v[36:37]
.LBB160_585:                            ;   in Loop: Header=BB160_3 Depth=1
	s_or_b32 exec_lo, exec_lo, s0
.LBB160_586:                            ;   in Loop: Header=BB160_3 Depth=1
	s_delay_alu instid0(SALU_CYCLE_1)
	s_or_b32 exec_lo, exec_lo, s70
	v_dual_mov_b32 v36, v76 :: v_dual_mov_b32 v37, v74
	s_mov_b32 s1, 31
	s_branch .LBB160_588
.LBB160_587:                            ;   in Loop: Header=BB160_588 Depth=2
	s_or_b32 exec_lo, exec_lo, s0
	v_add_nc_u32_e32 v37, 0xfffffc00, v37
	v_add_nc_u32_e32 v36, 2, v36
	s_add_co_i32 s1, s1, -2
	s_cmp_eq_u32 s70, 0
	s_barrier_signal -1
	s_barrier_wait -1
	s_cbranch_scc1 .LBB160_596
.LBB160_588:                            ;   Parent Loop BB160_3 Depth=1
                                        ; =>  This Inner Loop Header: Depth=2
	s_delay_alu instid0(VALU_DEP_1) | instskip(SKIP_1) | instid1(SALU_CYCLE_1)
	v_cmp_eq_u32_e32 vcc_lo, 0, v36
	s_and_b32 s11, s13, vcc_lo
	s_and_saveexec_b32 s0, s11
	s_cbranch_execz .LBB160_590
; %bb.589:                              ;   in Loop: Header=BB160_588 Depth=2
	ds_load_b64 v[38:39], v75
	s_wait_dscnt 0x0
	v_pk_mul_f32 v[78:79], v[34:35], v[38:39] op_sel:[1,1] op_sel_hi:[1,0]
	s_delay_alu instid0(VALU_DEP_1) | instskip(SKIP_1) | instid1(VALU_DEP_2)
	v_pk_fma_f32 v[80:81], v[34:35], v[38:39], v[78:79] op_sel_hi:[0,1,1]
	v_pk_fma_f32 v[34:35], v[34:35], v[38:39], v[78:79] neg_lo:[0,0,1] neg_hi:[0,0,1]
	v_mov_b32_e32 v35, v81
	s_delay_alu instid0(VALU_DEP_1)
	v_pk_add_f32 v[38:39], v[34:35], 0 neg_lo:[1,1] neg_hi:[1,1]
	ds_store_b64 v58, v[38:39]
.LBB160_590:                            ;   in Loop: Header=BB160_588 Depth=2
	s_or_b32 exec_lo, exec_lo, s0
	v_cmp_gt_u32_e32 vcc_lo, s1, v57
	s_wait_loadcnt_dscnt 0x0
	s_barrier_signal -1
	s_barrier_wait -1
	s_and_b32 s11, s13, vcc_lo
	s_delay_alu instid0(SALU_CYCLE_1)
	s_and_saveexec_b32 s0, s11
	s_cbranch_execz .LBB160_592
; %bb.591:                              ;   in Loop: Header=BB160_588 Depth=2
	ds_load_b64 v[38:39], v37 offset:512
	ds_load_b64 v[78:79], v58
	s_wait_dscnt 0x0
	v_pk_mul_f32 v[80:81], v[78:79], v[38:39] op_sel:[1,1] op_sel_hi:[0,1]
	s_delay_alu instid0(VALU_DEP_1) | instskip(SKIP_1) | instid1(VALU_DEP_2)
	v_pk_fma_f32 v[82:83], v[78:79], v[38:39], v[80:81] op_sel_hi:[1,0,1]
	v_pk_fma_f32 v[38:39], v[78:79], v[38:39], v[80:81] neg_lo:[0,0,1] neg_hi:[0,0,1]
	v_mov_b32_e32 v39, v83
	s_delay_alu instid0(VALU_DEP_1)
	v_pk_add_f32 v[34:35], v[34:35], v[38:39] neg_lo:[0,1] neg_hi:[0,1]
.LBB160_592:                            ;   in Loop: Header=BB160_588 Depth=2
	s_or_b32 exec_lo, exec_lo, s0
	s_add_co_i32 s70, s1, -1
	s_delay_alu instid0(SALU_CYCLE_1) | instskip(SKIP_3) | instid1(SALU_CYCLE_1)
	v_cmp_eq_u32_e32 vcc_lo, s70, v57
	s_barrier_signal -1
	s_barrier_wait -1
	s_and_b32 s11, s13, vcc_lo
	s_and_saveexec_b32 s0, s11
	s_cbranch_execz .LBB160_594
; %bb.593:                              ;   in Loop: Header=BB160_588 Depth=2
	ds_load_b64 v[38:39], v75
	s_wait_dscnt 0x0
	v_pk_mul_f32 v[78:79], v[34:35], v[38:39] op_sel:[1,1] op_sel_hi:[1,0]
	s_delay_alu instid0(VALU_DEP_1) | instskip(SKIP_1) | instid1(VALU_DEP_2)
	v_pk_fma_f32 v[80:81], v[34:35], v[38:39], v[78:79] op_sel_hi:[0,1,1]
	v_pk_fma_f32 v[34:35], v[34:35], v[38:39], v[78:79] neg_lo:[0,0,1] neg_hi:[0,0,1]
	v_mov_b32_e32 v35, v81
	s_delay_alu instid0(VALU_DEP_1)
	v_pk_add_f32 v[38:39], v[34:35], 0 neg_lo:[1,1] neg_hi:[1,1]
	ds_store_b64 v58, v[38:39]
.LBB160_594:                            ;   in Loop: Header=BB160_588 Depth=2
	s_or_b32 exec_lo, exec_lo, s0
	v_cmp_gt_u32_e32 vcc_lo, s70, v57
	s_wait_dscnt 0x0
	s_barrier_signal -1
	s_barrier_wait -1
	s_and_b32 s11, s13, vcc_lo
	s_delay_alu instid0(SALU_CYCLE_1)
	s_and_saveexec_b32 s0, s11
	s_cbranch_execz .LBB160_587
; %bb.595:                              ;   in Loop: Header=BB160_588 Depth=2
	ds_load_b64 v[38:39], v37
	ds_load_b64 v[78:79], v58
	s_wait_dscnt 0x0
	v_pk_mul_f32 v[80:81], v[78:79], v[38:39] op_sel:[1,1] op_sel_hi:[0,1]
	s_delay_alu instid0(VALU_DEP_1) | instskip(SKIP_1) | instid1(VALU_DEP_2)
	v_pk_fma_f32 v[82:83], v[78:79], v[38:39], v[80:81] op_sel_hi:[1,0,1]
	v_pk_fma_f32 v[38:39], v[78:79], v[38:39], v[80:81] neg_lo:[0,0,1] neg_hi:[0,0,1]
	v_mov_b32_e32 v39, v83
	s_delay_alu instid0(VALU_DEP_1)
	v_pk_add_f32 v[34:35], v[34:35], v[38:39] neg_lo:[0,1] neg_hi:[0,1]
	s_branch .LBB160_587
.LBB160_596:                            ;   in Loop: Header=BB160_3 Depth=1
	s_and_saveexec_b32 s0, s35
; %bb.597:                              ;   in Loop: Header=BB160_3 Depth=1
	ds_store_b64 v61, v[34:35] offset:32256
; %bb.598:                              ;   in Loop: Header=BB160_3 Depth=1
	s_or_b32 exec_lo, exec_lo, s0
	s_wait_dscnt 0x0
	s_barrier_signal -1
	s_barrier_wait -1
	s_barrier_signal -1
	s_barrier_wait -1
	s_and_saveexec_b32 s0, s14
	s_cbranch_execz .LBB160_600
; %bb.599:                              ;   in Loop: Header=BB160_3 Depth=1
	v_add_nc_u32_e64 v34, 0xf0, 0
	ds_load_b64 v[38:39], v5 offset:16120
	ds_load_2addr_stride64_b64 v[34:37], v34 offset0:30 offset1:31
	s_wait_dscnt 0x0
	v_dual_mul_f32 v77, v39, v35 :: v_dual_mul_f32 v78, v38, v35
	s_delay_alu instid0(VALU_DEP_1) | instskip(NEXT) | instid1(VALU_DEP_1)
	v_xor_b32_e32 v80, 0x80000000, v77
	v_dual_fmac_f32 v78, v39, v34 :: v_dual_fmac_f32 v80, v38, v34
	s_delay_alu instid0(VALU_DEP_1) | instskip(NEXT) | instid1(VALU_DEP_1)
	v_pk_mul_f32 v[34:35], v[78:79], v[36:37] op_sel:[0,1] op_sel_hi:[0,0]
	v_pk_fma_f32 v[38:39], v[80:81], v[36:37], v[34:35] op_sel_hi:[0,1,1]
	v_pk_fma_f32 v[34:35], v[80:81], v[36:37], v[34:35] neg_lo:[0,0,1] neg_hi:[0,0,1]
	s_delay_alu instid0(VALU_DEP_2)
	v_mov_b32_e32 v35, v39
	ds_store_b64 v5, v[34:35] offset:16112
.LBB160_600:                            ;   in Loop: Header=BB160_3 Depth=1
	s_or_b32 exec_lo, exec_lo, s0
	v_dual_mov_b32 v34, 0 :: v_dual_mov_b32 v35, 0
	s_wait_dscnt 0x0
	s_barrier_signal -1
	s_barrier_wait -1
	global_wb scope:SCOPE_DEV
	s_wait_storecnt 0x0
	global_inv scope:SCOPE_DEV
	s_and_saveexec_b32 s1, s3
	s_cbranch_execz .LBB160_604
; %bb.601:                              ;   in Loop: Header=BB160_3 Depth=1
	ds_load_b64 v[34:35], v41 offset:15584
	ds_load_b64 v[36:37], v42 offset:16112
	s_wait_dscnt 0x0
	v_pk_mul_f32 v[38:39], v[36:37], v[34:35] op_sel:[1,1] op_sel_hi:[0,1]
	s_delay_alu instid0(VALU_DEP_1) | instskip(SKIP_1) | instid1(VALU_DEP_2)
	v_pk_fma_f32 v[78:79], v[36:37], v[34:35], v[38:39] op_sel_hi:[1,0,1]
	v_pk_fma_f32 v[34:35], v[36:37], v[34:35], v[38:39] neg_lo:[0,0,1] neg_hi:[0,0,1]
	v_mov_b32_e32 v35, v79
	s_delay_alu instid0(VALU_DEP_1)
	v_pk_add_f32 v[34:35], v[34:35], 0 op_sel_hi:[1,0]
	s_and_saveexec_b32 s0, s15
	s_cbranch_execz .LBB160_603
; %bb.602:                              ;   in Loop: Header=BB160_3 Depth=1
	ds_load_b64 v[36:37], v43 offset:16096
	ds_load_b64 v[38:39], v5 offset:16120
	s_wait_dscnt 0x0
	v_pk_mul_f32 v[78:79], v[38:39], v[36:37] op_sel:[1,1] op_sel_hi:[0,1]
	s_delay_alu instid0(VALU_DEP_1) | instskip(SKIP_1) | instid1(VALU_DEP_2)
	v_pk_fma_f32 v[80:81], v[38:39], v[36:37], v[78:79] op_sel_hi:[1,0,1]
	v_pk_fma_f32 v[36:37], v[38:39], v[36:37], v[78:79] neg_lo:[0,0,1] neg_hi:[0,0,1]
	v_mov_b32_e32 v37, v81
	s_delay_alu instid0(VALU_DEP_1)
	v_pk_add_f32 v[34:35], v[34:35], v[36:37]
.LBB160_603:                            ;   in Loop: Header=BB160_3 Depth=1
	s_or_b32 exec_lo, exec_lo, s0
.LBB160_604:                            ;   in Loop: Header=BB160_3 Depth=1
	s_delay_alu instid0(SALU_CYCLE_1)
	s_or_b32 exec_lo, exec_lo, s1
	s_and_saveexec_b32 s0, s44
	s_cbranch_execz .LBB160_606
; %bb.605:                              ;   in Loop: Header=BB160_3 Depth=1
	ds_load_b64 v[36:37], v5 offset:15080
	s_wait_dscnt 0x0
	v_pk_mul_f32 v[38:39], v[34:35], v[36:37] op_sel:[1,1] op_sel_hi:[1,0]
	s_delay_alu instid0(VALU_DEP_1) | instskip(SKIP_1) | instid1(VALU_DEP_2)
	v_pk_fma_f32 v[78:79], v[34:35], v[36:37], v[38:39] op_sel_hi:[0,1,1]
	v_pk_fma_f32 v[34:35], v[34:35], v[36:37], v[38:39] neg_lo:[0,0,1] neg_hi:[0,0,1]
	v_mov_b32_e32 v35, v79
	s_delay_alu instid0(VALU_DEP_1)
	v_pk_add_f32 v[36:37], v[34:35], 0 neg_lo:[1,1] neg_hi:[1,1]
	ds_store_b64 v3, v[36:37]
.LBB160_606:                            ;   in Loop: Header=BB160_3 Depth=1
	s_or_b32 exec_lo, exec_lo, s0
	s_wait_loadcnt_dscnt 0x0
	s_barrier_signal -1
	s_barrier_wait -1
	s_and_saveexec_b32 s0, s45
	s_cbranch_execz .LBB160_608
; %bb.607:                              ;   in Loop: Header=BB160_3 Depth=1
	ds_load_b64 v[36:37], v5 offset:15072
	ds_load_b64 v[38:39], v3
	s_wait_dscnt 0x0
	v_pk_mul_f32 v[78:79], v[38:39], v[36:37] op_sel:[1,1] op_sel_hi:[0,1]
	s_delay_alu instid0(VALU_DEP_1) | instskip(SKIP_1) | instid1(VALU_DEP_2)
	v_pk_fma_f32 v[80:81], v[38:39], v[36:37], v[78:79] op_sel_hi:[1,0,1]
	v_pk_fma_f32 v[36:37], v[38:39], v[36:37], v[78:79] neg_lo:[0,0,1] neg_hi:[0,0,1]
	v_mov_b32_e32 v37, v81
	s_delay_alu instid0(VALU_DEP_1)
	v_pk_add_f32 v[34:35], v[34:35], v[36:37] neg_lo:[0,1] neg_hi:[0,1]
.LBB160_608:                            ;   in Loop: Header=BB160_3 Depth=1
	s_or_b32 exec_lo, exec_lo, s0
	s_barrier_signal -1
	s_barrier_wait -1
	s_and_saveexec_b32 s0, s45
	s_cbranch_execz .LBB160_610
; %bb.609:                              ;   in Loop: Header=BB160_3 Depth=1
	ds_load_b64 v[36:37], v5 offset:14560
	s_wait_dscnt 0x0
	v_pk_mul_f32 v[38:39], v[34:35], v[36:37] op_sel:[1,1] op_sel_hi:[1,0]
	s_delay_alu instid0(VALU_DEP_1) | instskip(SKIP_1) | instid1(VALU_DEP_2)
	v_pk_fma_f32 v[78:79], v[34:35], v[36:37], v[38:39] op_sel_hi:[0,1,1]
	v_pk_fma_f32 v[34:35], v[34:35], v[36:37], v[38:39] neg_lo:[0,0,1] neg_hi:[0,0,1]
	v_mov_b32_e32 v35, v79
	s_delay_alu instid0(VALU_DEP_1)
	v_pk_add_f32 v[36:37], v[34:35], 0 neg_lo:[1,1] neg_hi:[1,1]
	ds_store_b64 v3, v[36:37]
.LBB160_610:                            ;   in Loop: Header=BB160_3 Depth=1
	s_or_b32 exec_lo, exec_lo, s0
	s_wait_dscnt 0x0
	s_barrier_signal -1
	s_barrier_wait -1
	s_barrier_signal -1
	s_barrier_wait -1
	s_and_saveexec_b32 s0, s3
; %bb.611:                              ;   in Loop: Header=BB160_3 Depth=1
	ds_store_b64 v44, v[34:35] offset:16096
; %bb.612:                              ;   in Loop: Header=BB160_3 Depth=1
	s_or_b32 exec_lo, exec_lo, s0
	s_wait_dscnt 0x0
	s_barrier_signal -1
	s_barrier_wait -1
	s_barrier_signal -1
	s_barrier_wait -1
	s_and_saveexec_b32 s0, s14
	s_cbranch_execz .LBB160_614
; %bb.613:                              ;   in Loop: Header=BB160_3 Depth=1
	v_add_nc_u32_e64 v34, 0xe0, 0
	ds_load_b64 v[38:39], v5 offset:15080
	ds_load_2addr_stride64_b64 v[34:37], v34 offset0:28 offset1:29
	s_wait_dscnt 0x0
	v_dual_mul_f32 v77, v39, v35 :: v_dual_mul_f32 v78, v38, v35
	s_delay_alu instid0(VALU_DEP_1) | instskip(NEXT) | instid1(VALU_DEP_1)
	v_xor_b32_e32 v80, 0x80000000, v77
	v_dual_fmac_f32 v78, v39, v34 :: v_dual_fmac_f32 v80, v38, v34
	s_delay_alu instid0(VALU_DEP_1) | instskip(NEXT) | instid1(VALU_DEP_1)
	v_pk_mul_f32 v[34:35], v[78:79], v[36:37] op_sel:[0,1] op_sel_hi:[0,0]
	v_pk_fma_f32 v[38:39], v[80:81], v[36:37], v[34:35] op_sel_hi:[0,1,1]
	v_pk_fma_f32 v[34:35], v[80:81], v[36:37], v[34:35] neg_lo:[0,0,1] neg_hi:[0,0,1]
	s_delay_alu instid0(VALU_DEP_2)
	v_mov_b32_e32 v35, v39
	ds_store_b64 v5, v[34:35] offset:15072
.LBB160_614:                            ;   in Loop: Header=BB160_3 Depth=1
	s_or_b32 exec_lo, exec_lo, s0
	v_mov_b64_e32 v[34:35], 0
	s_wait_dscnt 0x0
	s_barrier_signal -1
	s_barrier_wait -1
	global_wb scope:SCOPE_DEV
	s_wait_storecnt 0x0
	global_inv scope:SCOPE_DEV
	s_and_saveexec_b32 s1, s4
	s_cbranch_execz .LBB160_620
; %bb.615:                              ;   in Loop: Header=BB160_3 Depth=1
	ds_load_b64 v[34:35], v46 offset:14528
	ds_load_b64 v[36:37], v47 offset:16096
	s_wait_dscnt 0x0
	v_dual_mul_f32 v38, v37, v35 :: v_dual_mul_f32 v35, v36, v35
	s_delay_alu instid0(VALU_DEP_1) | instskip(NEXT) | instid1(VALU_DEP_1)
	v_dual_fma_f32 v36, v36, v34, -v38 :: v_dual_fmac_f32 v35, v37, v34
	v_dual_add_f32 v34, 0, v36 :: v_dual_add_f32 v35, 0, v35
	s_and_saveexec_b32 s0, s16
	s_cbranch_execnz .LBB160_1074
; %bb.616:                              ;   in Loop: Header=BB160_3 Depth=1
	s_or_b32 exec_lo, exec_lo, s0
	s_and_saveexec_b32 s0, s17
	s_cbranch_execnz .LBB160_1075
.LBB160_617:                            ;   in Loop: Header=BB160_3 Depth=1
	s_or_b32 exec_lo, exec_lo, s0
	s_and_saveexec_b32 s0, s3
	s_cbranch_execz .LBB160_619
.LBB160_618:                            ;   in Loop: Header=BB160_3 Depth=1
	ds_load_b64 v[36:37], v43 offset:16064
	ds_load_b64 v[38:39], v5 offset:16120
	s_wait_dscnt 0x0
	v_dual_mul_f32 v77, v39, v37 :: v_dual_mul_f32 v37, v38, v37
	s_delay_alu instid0(VALU_DEP_1) | instskip(NEXT) | instid1(VALU_DEP_1)
	v_fmac_f32_e32 v37, v39, v36
	v_dual_fma_f32 v38, v38, v36, -v77 :: v_dual_add_f32 v35, v35, v37
	s_delay_alu instid0(VALU_DEP_1)
	v_add_f32_e32 v34, v34, v38
.LBB160_619:                            ;   in Loop: Header=BB160_3 Depth=1
	s_or_b32 exec_lo, exec_lo, s0
.LBB160_620:                            ;   in Loop: Header=BB160_3 Depth=1
	s_delay_alu instid0(SALU_CYCLE_1)
	s_or_b32 exec_lo, exec_lo, s1
	s_and_saveexec_b32 s0, s46
	s_cbranch_execz .LBB160_622
; %bb.621:                              ;   in Loop: Header=BB160_3 Depth=1
	ds_load_b64 v[36:37], v5 offset:14040
	s_wait_dscnt 0x0
	v_dual_mul_f32 v38, v35, v36 :: v_dual_mul_f32 v78, v35, v37
	s_delay_alu instid0(VALU_DEP_1) | instskip(NEXT) | instid1(VALU_DEP_2)
	v_pk_fma_f32 v[38:39], v[34:35], v[36:37], v[38:39] op_sel:[1,0,0] op_sel_hi:[0,1,0]
	v_pk_fma_f32 v[34:35], v[34:35], v[36:37], v[78:79] op_sel_hi:[1,1,0] neg_lo:[0,0,1] neg_hi:[0,0,1]
	s_delay_alu instid0(VALU_DEP_2) | instskip(NEXT) | instid1(VALU_DEP_1)
	v_mov_b32_e32 v35, v39
	v_pk_add_f32 v[36:37], v[34:35], 0 neg_lo:[1,1] neg_hi:[1,1]
	ds_store_b64 v45, v[36:37]
.LBB160_622:                            ;   in Loop: Header=BB160_3 Depth=1
	s_or_b32 exec_lo, exec_lo, s0
	s_wait_loadcnt_dscnt 0x0
	s_barrier_signal -1
	s_barrier_wait -1
	s_and_saveexec_b32 s0, s47
	s_cbranch_execz .LBB160_624
; %bb.623:                              ;   in Loop: Header=BB160_3 Depth=1
	ds_load_b64 v[36:37], v46 offset:14016
	ds_load_b64 v[38:39], v45
	s_wait_dscnt 0x0
	v_pk_mul_f32 v[78:79], v[38:39], v[36:37] op_sel:[1,1] op_sel_hi:[0,1]
	s_delay_alu instid0(VALU_DEP_1) | instskip(SKIP_1) | instid1(VALU_DEP_2)
	v_pk_fma_f32 v[80:81], v[38:39], v[36:37], v[78:79] op_sel_hi:[1,0,1]
	v_pk_fma_f32 v[36:37], v[38:39], v[36:37], v[78:79] neg_lo:[0,0,1] neg_hi:[0,0,1]
	v_mov_b32_e32 v37, v81
	s_delay_alu instid0(VALU_DEP_1)
	v_pk_add_f32 v[34:35], v[34:35], v[36:37] neg_lo:[0,1] neg_hi:[0,1]
.LBB160_624:                            ;   in Loop: Header=BB160_3 Depth=1
	s_or_b32 exec_lo, exec_lo, s0
	s_barrier_signal -1
	s_barrier_wait -1
	s_and_saveexec_b32 s0, s48
	s_cbranch_execz .LBB160_626
; %bb.625:                              ;   in Loop: Header=BB160_3 Depth=1
	ds_load_b64 v[36:37], v5 offset:13520
	s_wait_dscnt 0x0
	v_pk_mul_f32 v[38:39], v[34:35], v[36:37] op_sel:[1,1] op_sel_hi:[1,0]
	s_delay_alu instid0(VALU_DEP_1) | instskip(SKIP_1) | instid1(VALU_DEP_2)
	v_pk_fma_f32 v[78:79], v[34:35], v[36:37], v[38:39] op_sel_hi:[0,1,1]
	v_pk_fma_f32 v[34:35], v[34:35], v[36:37], v[38:39] neg_lo:[0,0,1] neg_hi:[0,0,1]
	v_mov_b32_e32 v35, v79
	s_delay_alu instid0(VALU_DEP_1)
	v_pk_add_f32 v[36:37], v[34:35], 0 neg_lo:[1,1] neg_hi:[1,1]
	ds_store_b64 v45, v[36:37]
.LBB160_626:                            ;   in Loop: Header=BB160_3 Depth=1
	s_or_b32 exec_lo, exec_lo, s0
	s_wait_dscnt 0x0
	s_barrier_signal -1
	s_barrier_wait -1
	s_and_saveexec_b32 s0, s49
	s_cbranch_execz .LBB160_628
; %bb.627:                              ;   in Loop: Header=BB160_3 Depth=1
	ds_load_b64 v[36:37], v46 offset:13504
	ds_load_b64 v[38:39], v45
	s_wait_dscnt 0x0
	v_pk_mul_f32 v[78:79], v[38:39], v[36:37] op_sel:[1,1] op_sel_hi:[0,1]
	s_delay_alu instid0(VALU_DEP_1) | instskip(SKIP_1) | instid1(VALU_DEP_2)
	v_pk_fma_f32 v[80:81], v[38:39], v[36:37], v[78:79] op_sel_hi:[1,0,1]
	v_pk_fma_f32 v[36:37], v[38:39], v[36:37], v[78:79] neg_lo:[0,0,1] neg_hi:[0,0,1]
	v_mov_b32_e32 v37, v81
	s_delay_alu instid0(VALU_DEP_1)
	v_pk_add_f32 v[34:35], v[34:35], v[36:37] neg_lo:[0,1] neg_hi:[0,1]
.LBB160_628:                            ;   in Loop: Header=BB160_3 Depth=1
	s_or_b32 exec_lo, exec_lo, s0
	s_barrier_signal -1
	s_barrier_wait -1
	s_and_saveexec_b32 s0, s50
	s_cbranch_execz .LBB160_630
; %bb.629:                              ;   in Loop: Header=BB160_3 Depth=1
	ds_load_b64 v[36:37], v5 offset:13000
	s_wait_dscnt 0x0
	v_pk_mul_f32 v[38:39], v[34:35], v[36:37] op_sel:[1,1] op_sel_hi:[1,0]
	s_delay_alu instid0(VALU_DEP_1) | instskip(SKIP_1) | instid1(VALU_DEP_2)
	v_pk_fma_f32 v[78:79], v[34:35], v[36:37], v[38:39] op_sel_hi:[0,1,1]
	v_pk_fma_f32 v[34:35], v[34:35], v[36:37], v[38:39] neg_lo:[0,0,1] neg_hi:[0,0,1]
	v_mov_b32_e32 v35, v79
	s_delay_alu instid0(VALU_DEP_1)
	v_pk_add_f32 v[36:37], v[34:35], 0 neg_lo:[1,1] neg_hi:[1,1]
	ds_store_b64 v45, v[36:37]
.LBB160_630:                            ;   in Loop: Header=BB160_3 Depth=1
	s_or_b32 exec_lo, exec_lo, s0
	s_wait_dscnt 0x0
	;; [unrolled: 35-line block ×3, first 2 shown]
	s_barrier_signal -1
	s_barrier_wait -1
	s_barrier_signal -1
	s_barrier_wait -1
	s_and_saveexec_b32 s0, s4
; %bb.635:                              ;   in Loop: Header=BB160_3 Depth=1
	ds_store_b64 v48, v[34:35] offset:16064
; %bb.636:                              ;   in Loop: Header=BB160_3 Depth=1
	s_or_b32 exec_lo, exec_lo, s0
	s_wait_dscnt 0x0
	s_barrier_signal -1
	s_barrier_wait -1
	s_barrier_signal -1
	s_barrier_wait -1
	s_and_saveexec_b32 s0, s14
	s_cbranch_execz .LBB160_638
; %bb.637:                              ;   in Loop: Header=BB160_3 Depth=1
	v_add_nc_u32_e64 v34, 0xd0, 0
	ds_load_b64 v[38:39], v5 offset:14040
	ds_load_2addr_stride64_b64 v[34:37], v34 offset0:26 offset1:27
	s_wait_dscnt 0x0
	v_dual_mul_f32 v77, v39, v35 :: v_dual_mul_f32 v78, v38, v35
	s_delay_alu instid0(VALU_DEP_1) | instskip(NEXT) | instid1(VALU_DEP_1)
	v_xor_b32_e32 v80, 0x80000000, v77
	v_dual_fmac_f32 v78, v39, v34 :: v_dual_fmac_f32 v80, v38, v34
	s_delay_alu instid0(VALU_DEP_1) | instskip(NEXT) | instid1(VALU_DEP_1)
	v_pk_mul_f32 v[34:35], v[78:79], v[36:37] op_sel:[0,1] op_sel_hi:[0,0]
	v_pk_fma_f32 v[38:39], v[80:81], v[36:37], v[34:35] op_sel_hi:[0,1,1]
	v_pk_fma_f32 v[34:35], v[80:81], v[36:37], v[34:35] neg_lo:[0,0,1] neg_hi:[0,0,1]
	s_delay_alu instid0(VALU_DEP_2)
	v_mov_b32_e32 v35, v39
	ds_store_b64 v5, v[34:35] offset:14032
.LBB160_638:                            ;   in Loop: Header=BB160_3 Depth=1
	s_or_b32 exec_lo, exec_lo, s0
	v_dual_mov_b32 v34, 0 :: v_dual_mov_b32 v35, 0
	s_wait_dscnt 0x0
	s_barrier_signal -1
	s_barrier_wait -1
	global_wb scope:SCOPE_DEV
	s_wait_storecnt 0x0
	global_inv scope:SCOPE_DEV
	s_and_saveexec_b32 s1, s3
	s_cbranch_execz .LBB160_642
; %bb.639:                              ;   in Loop: Header=BB160_3 Depth=1
	ds_load_b64 v[34:35], v41 offset:13504
	ds_load_b64 v[36:37], v42 offset:14032
	s_wait_dscnt 0x0
	v_pk_mul_f32 v[38:39], v[36:37], v[34:35] op_sel:[1,1] op_sel_hi:[0,1]
	s_delay_alu instid0(VALU_DEP_1) | instskip(SKIP_1) | instid1(VALU_DEP_2)
	v_pk_fma_f32 v[78:79], v[36:37], v[34:35], v[38:39] op_sel_hi:[1,0,1]
	v_pk_fma_f32 v[34:35], v[36:37], v[34:35], v[38:39] neg_lo:[0,0,1] neg_hi:[0,0,1]
	v_mov_b32_e32 v35, v79
	s_delay_alu instid0(VALU_DEP_1)
	v_pk_add_f32 v[34:35], v[34:35], 0 op_sel_hi:[1,0]
	s_and_saveexec_b32 s0, s15
	s_cbranch_execz .LBB160_641
; %bb.640:                              ;   in Loop: Header=BB160_3 Depth=1
	ds_load_b64 v[36:37], v43 offset:14016
	ds_load_b64 v[38:39], v5 offset:14040
	s_wait_dscnt 0x0
	v_pk_mul_f32 v[78:79], v[38:39], v[36:37] op_sel:[1,1] op_sel_hi:[0,1]
	s_delay_alu instid0(VALU_DEP_1) | instskip(SKIP_1) | instid1(VALU_DEP_2)
	v_pk_fma_f32 v[80:81], v[38:39], v[36:37], v[78:79] op_sel_hi:[1,0,1]
	v_pk_fma_f32 v[36:37], v[38:39], v[36:37], v[78:79] neg_lo:[0,0,1] neg_hi:[0,0,1]
	v_mov_b32_e32 v37, v81
	s_delay_alu instid0(VALU_DEP_1)
	v_pk_add_f32 v[34:35], v[34:35], v[36:37]
.LBB160_641:                            ;   in Loop: Header=BB160_3 Depth=1
	s_or_b32 exec_lo, exec_lo, s0
.LBB160_642:                            ;   in Loop: Header=BB160_3 Depth=1
	s_delay_alu instid0(SALU_CYCLE_1)
	s_or_b32 exec_lo, exec_lo, s1
	s_and_saveexec_b32 s0, s44
	s_cbranch_execz .LBB160_644
; %bb.643:                              ;   in Loop: Header=BB160_3 Depth=1
	ds_load_b64 v[36:37], v5 offset:13000
	s_wait_dscnt 0x0
	v_pk_mul_f32 v[38:39], v[34:35], v[36:37] op_sel:[1,1] op_sel_hi:[1,0]
	s_delay_alu instid0(VALU_DEP_1) | instskip(SKIP_1) | instid1(VALU_DEP_2)
	v_pk_fma_f32 v[78:79], v[34:35], v[36:37], v[38:39] op_sel_hi:[0,1,1]
	v_pk_fma_f32 v[34:35], v[34:35], v[36:37], v[38:39] neg_lo:[0,0,1] neg_hi:[0,0,1]
	v_mov_b32_e32 v35, v79
	s_delay_alu instid0(VALU_DEP_1)
	v_pk_add_f32 v[36:37], v[34:35], 0 neg_lo:[1,1] neg_hi:[1,1]
	ds_store_b64 v3, v[36:37]
.LBB160_644:                            ;   in Loop: Header=BB160_3 Depth=1
	s_or_b32 exec_lo, exec_lo, s0
	s_wait_loadcnt_dscnt 0x0
	s_barrier_signal -1
	s_barrier_wait -1
	s_and_saveexec_b32 s0, s45
	s_cbranch_execz .LBB160_646
; %bb.645:                              ;   in Loop: Header=BB160_3 Depth=1
	ds_load_b64 v[36:37], v5 offset:12992
	ds_load_b64 v[38:39], v3
	s_wait_dscnt 0x0
	v_pk_mul_f32 v[78:79], v[38:39], v[36:37] op_sel:[1,1] op_sel_hi:[0,1]
	s_delay_alu instid0(VALU_DEP_1) | instskip(SKIP_1) | instid1(VALU_DEP_2)
	v_pk_fma_f32 v[80:81], v[38:39], v[36:37], v[78:79] op_sel_hi:[1,0,1]
	v_pk_fma_f32 v[36:37], v[38:39], v[36:37], v[78:79] neg_lo:[0,0,1] neg_hi:[0,0,1]
	v_mov_b32_e32 v37, v81
	s_delay_alu instid0(VALU_DEP_1)
	v_pk_add_f32 v[34:35], v[34:35], v[36:37] neg_lo:[0,1] neg_hi:[0,1]
.LBB160_646:                            ;   in Loop: Header=BB160_3 Depth=1
	s_or_b32 exec_lo, exec_lo, s0
	s_barrier_signal -1
	s_barrier_wait -1
	s_and_saveexec_b32 s0, s45
	s_cbranch_execz .LBB160_648
; %bb.647:                              ;   in Loop: Header=BB160_3 Depth=1
	ds_load_b64 v[36:37], v5 offset:12480
	s_wait_dscnt 0x0
	v_pk_mul_f32 v[38:39], v[34:35], v[36:37] op_sel:[1,1] op_sel_hi:[1,0]
	s_delay_alu instid0(VALU_DEP_1) | instskip(SKIP_1) | instid1(VALU_DEP_2)
	v_pk_fma_f32 v[78:79], v[34:35], v[36:37], v[38:39] op_sel_hi:[0,1,1]
	v_pk_fma_f32 v[34:35], v[34:35], v[36:37], v[38:39] neg_lo:[0,0,1] neg_hi:[0,0,1]
	v_mov_b32_e32 v35, v79
	s_delay_alu instid0(VALU_DEP_1)
	v_pk_add_f32 v[36:37], v[34:35], 0 neg_lo:[1,1] neg_hi:[1,1]
	ds_store_b64 v3, v[36:37]
.LBB160_648:                            ;   in Loop: Header=BB160_3 Depth=1
	s_or_b32 exec_lo, exec_lo, s0
	s_wait_dscnt 0x0
	s_barrier_signal -1
	s_barrier_wait -1
	s_barrier_signal -1
	s_barrier_wait -1
	s_and_saveexec_b32 s0, s3
; %bb.649:                              ;   in Loop: Header=BB160_3 Depth=1
	ds_store_b64 v44, v[34:35] offset:14016
; %bb.650:                              ;   in Loop: Header=BB160_3 Depth=1
	s_or_b32 exec_lo, exec_lo, s0
	s_wait_dscnt 0x0
	s_barrier_signal -1
	s_barrier_wait -1
	s_barrier_signal -1
	s_barrier_wait -1
	s_and_saveexec_b32 s0, s14
	s_cbranch_execz .LBB160_652
; %bb.651:                              ;   in Loop: Header=BB160_3 Depth=1
	v_add_nc_u32_e64 v34, 0xc0, 0
	ds_load_b64 v[38:39], v5 offset:13000
	ds_load_2addr_stride64_b64 v[34:37], v34 offset0:24 offset1:25
	s_wait_dscnt 0x0
	v_dual_mul_f32 v77, v39, v35 :: v_dual_mul_f32 v78, v38, v35
	s_delay_alu instid0(VALU_DEP_1) | instskip(NEXT) | instid1(VALU_DEP_1)
	v_xor_b32_e32 v80, 0x80000000, v77
	v_dual_fmac_f32 v78, v39, v34 :: v_dual_fmac_f32 v80, v38, v34
	s_delay_alu instid0(VALU_DEP_1) | instskip(NEXT) | instid1(VALU_DEP_1)
	v_pk_mul_f32 v[34:35], v[78:79], v[36:37] op_sel:[0,1] op_sel_hi:[0,0]
	v_pk_fma_f32 v[38:39], v[80:81], v[36:37], v[34:35] op_sel_hi:[0,1,1]
	v_pk_fma_f32 v[34:35], v[80:81], v[36:37], v[34:35] neg_lo:[0,0,1] neg_hi:[0,0,1]
	s_delay_alu instid0(VALU_DEP_2)
	v_mov_b32_e32 v35, v39
	ds_store_b64 v5, v[34:35] offset:12992
.LBB160_652:                            ;   in Loop: Header=BB160_3 Depth=1
	s_or_b32 exec_lo, exec_lo, s0
	v_mov_b64_e32 v[34:35], 0
	s_wait_dscnt 0x0
	s_barrier_signal -1
	s_barrier_wait -1
	global_wb scope:SCOPE_DEV
	s_wait_storecnt 0x0
	global_inv scope:SCOPE_DEV
	s_and_saveexec_b32 s1, s5
	s_cbranch_execz .LBB160_662
; %bb.653:                              ;   in Loop: Header=BB160_3 Depth=1
	ds_load_b64 v[34:35], v50 offset:12416
	ds_load_b64 v[36:37], v51 offset:16064
	s_wait_dscnt 0x0
	v_dual_mul_f32 v38, v37, v35 :: v_dual_mul_f32 v35, v36, v35
	s_delay_alu instid0(VALU_DEP_1) | instskip(NEXT) | instid1(VALU_DEP_1)
	v_dual_fma_f32 v36, v36, v34, -v38 :: v_dual_fmac_f32 v35, v37, v34
	v_dual_add_f32 v34, 0, v36 :: v_dual_add_f32 v35, 0, v35
	s_and_saveexec_b32 s0, s18
	s_cbranch_execnz .LBB160_1076
; %bb.654:                              ;   in Loop: Header=BB160_3 Depth=1
	s_or_b32 exec_lo, exec_lo, s0
	s_and_saveexec_b32 s0, s19
	s_cbranch_execnz .LBB160_1077
.LBB160_655:                            ;   in Loop: Header=BB160_3 Depth=1
	s_or_b32 exec_lo, exec_lo, s0
	s_and_saveexec_b32 s0, s20
	s_cbranch_execnz .LBB160_1078
.LBB160_656:                            ;   in Loop: Header=BB160_3 Depth=1
	s_or_b32 exec_lo, exec_lo, s0
	s_and_saveexec_b32 s0, s21
	s_cbranch_execnz .LBB160_1079
.LBB160_657:                            ;   in Loop: Header=BB160_3 Depth=1
	s_or_b32 exec_lo, exec_lo, s0
	s_and_saveexec_b32 s0, s22
	s_cbranch_execnz .LBB160_1080
.LBB160_658:                            ;   in Loop: Header=BB160_3 Depth=1
	s_or_b32 exec_lo, exec_lo, s0
	s_and_saveexec_b32 s0, s4
	s_cbranch_execnz .LBB160_1081
.LBB160_659:                            ;   in Loop: Header=BB160_3 Depth=1
	s_or_b32 exec_lo, exec_lo, s0
	s_and_saveexec_b32 s0, s17
	s_cbranch_execz .LBB160_661
.LBB160_660:                            ;   in Loop: Header=BB160_3 Depth=1
	ds_load_b64 v[36:37], v43 offset:16000
	ds_load_b64 v[38:39], v5 offset:16120
	s_wait_dscnt 0x0
	v_dual_mul_f32 v77, v39, v37 :: v_dual_mul_f32 v79, v38, v37
	s_delay_alu instid0(VALU_DEP_1) | instskip(NEXT) | instid1(VALU_DEP_1)
	v_dual_fma_f32 v78, v38, v36, -v77 :: v_dual_fmac_f32 v79, v39, v36
	v_pk_add_f32 v[34:35], v[34:35], v[78:79]
.LBB160_661:                            ;   in Loop: Header=BB160_3 Depth=1
	s_or_b32 exec_lo, exec_lo, s0
.LBB160_662:                            ;   in Loop: Header=BB160_3 Depth=1
	s_delay_alu instid0(SALU_CYCLE_1)
	s_or_b32 exec_lo, exec_lo, s1
	s_and_saveexec_b32 s0, s52
	s_cbranch_execz .LBB160_664
; %bb.663:                              ;   in Loop: Header=BB160_3 Depth=1
	ds_load_b64 v[36:37], v5 offset:11960
	s_wait_dscnt 0x0
	v_pk_mul_f32 v[38:39], v[34:35], v[36:37] op_sel:[1,1] op_sel_hi:[1,0]
	s_delay_alu instid0(VALU_DEP_1) | instskip(SKIP_1) | instid1(VALU_DEP_2)
	v_pk_fma_f32 v[78:79], v[34:35], v[36:37], v[38:39] op_sel_hi:[0,1,1]
	v_pk_fma_f32 v[34:35], v[34:35], v[36:37], v[38:39] neg_lo:[0,0,1] neg_hi:[0,0,1]
	v_mov_b32_e32 v35, v79
	s_delay_alu instid0(VALU_DEP_1)
	v_pk_add_f32 v[36:37], v[34:35], 0 neg_lo:[1,1] neg_hi:[1,1]
	ds_store_b64 v49, v[36:37]
.LBB160_664:                            ;   in Loop: Header=BB160_3 Depth=1
	s_or_b32 exec_lo, exec_lo, s0
	s_wait_loadcnt_dscnt 0x0
	s_barrier_signal -1
	s_barrier_wait -1
	s_and_saveexec_b32 s0, s53
	s_cbranch_execz .LBB160_666
; %bb.665:                              ;   in Loop: Header=BB160_3 Depth=1
	ds_load_b64 v[36:37], v50 offset:11904
	ds_load_b64 v[38:39], v49
	s_wait_dscnt 0x0
	v_pk_mul_f32 v[78:79], v[38:39], v[36:37] op_sel:[1,1] op_sel_hi:[0,1]
	s_delay_alu instid0(VALU_DEP_1) | instskip(SKIP_1) | instid1(VALU_DEP_2)
	v_pk_fma_f32 v[80:81], v[38:39], v[36:37], v[78:79] op_sel_hi:[1,0,1]
	v_pk_fma_f32 v[36:37], v[38:39], v[36:37], v[78:79] neg_lo:[0,0,1] neg_hi:[0,0,1]
	v_mov_b32_e32 v37, v81
	s_delay_alu instid0(VALU_DEP_1)
	v_pk_add_f32 v[34:35], v[34:35], v[36:37] neg_lo:[0,1] neg_hi:[0,1]
.LBB160_666:                            ;   in Loop: Header=BB160_3 Depth=1
	s_or_b32 exec_lo, exec_lo, s0
	s_barrier_signal -1
	s_barrier_wait -1
	s_and_saveexec_b32 s0, s54
	s_cbranch_execz .LBB160_668
; %bb.667:                              ;   in Loop: Header=BB160_3 Depth=1
	ds_load_b64 v[36:37], v5 offset:11440
	s_wait_dscnt 0x0
	v_pk_mul_f32 v[38:39], v[34:35], v[36:37] op_sel:[1,1] op_sel_hi:[1,0]
	s_delay_alu instid0(VALU_DEP_1) | instskip(SKIP_1) | instid1(VALU_DEP_2)
	v_pk_fma_f32 v[78:79], v[34:35], v[36:37], v[38:39] op_sel_hi:[0,1,1]
	v_pk_fma_f32 v[34:35], v[34:35], v[36:37], v[38:39] neg_lo:[0,0,1] neg_hi:[0,0,1]
	v_mov_b32_e32 v35, v79
	s_delay_alu instid0(VALU_DEP_1)
	v_pk_add_f32 v[36:37], v[34:35], 0 neg_lo:[1,1] neg_hi:[1,1]
	ds_store_b64 v49, v[36:37]
.LBB160_668:                            ;   in Loop: Header=BB160_3 Depth=1
	s_or_b32 exec_lo, exec_lo, s0
	s_wait_dscnt 0x0
	s_barrier_signal -1
	s_barrier_wait -1
	s_and_saveexec_b32 s0, s55
	s_cbranch_execz .LBB160_670
; %bb.669:                              ;   in Loop: Header=BB160_3 Depth=1
	ds_load_b64 v[36:37], v50 offset:11392
	ds_load_b64 v[38:39], v49
	s_wait_dscnt 0x0
	v_pk_mul_f32 v[78:79], v[38:39], v[36:37] op_sel:[1,1] op_sel_hi:[0,1]
	s_delay_alu instid0(VALU_DEP_1) | instskip(SKIP_1) | instid1(VALU_DEP_2)
	v_pk_fma_f32 v[80:81], v[38:39], v[36:37], v[78:79] op_sel_hi:[1,0,1]
	v_pk_fma_f32 v[36:37], v[38:39], v[36:37], v[78:79] neg_lo:[0,0,1] neg_hi:[0,0,1]
	v_mov_b32_e32 v37, v81
	s_delay_alu instid0(VALU_DEP_1)
	v_pk_add_f32 v[34:35], v[34:35], v[36:37] neg_lo:[0,1] neg_hi:[0,1]
.LBB160_670:                            ;   in Loop: Header=BB160_3 Depth=1
	s_or_b32 exec_lo, exec_lo, s0
	s_barrier_signal -1
	s_barrier_wait -1
	s_and_saveexec_b32 s0, s56
	s_cbranch_execz .LBB160_672
; %bb.671:                              ;   in Loop: Header=BB160_3 Depth=1
	ds_load_b64 v[36:37], v5 offset:10920
	s_wait_dscnt 0x0
	v_pk_mul_f32 v[38:39], v[34:35], v[36:37] op_sel:[1,1] op_sel_hi:[1,0]
	s_delay_alu instid0(VALU_DEP_1) | instskip(SKIP_1) | instid1(VALU_DEP_2)
	v_pk_fma_f32 v[78:79], v[34:35], v[36:37], v[38:39] op_sel_hi:[0,1,1]
	v_pk_fma_f32 v[34:35], v[34:35], v[36:37], v[38:39] neg_lo:[0,0,1] neg_hi:[0,0,1]
	v_mov_b32_e32 v35, v79
	s_delay_alu instid0(VALU_DEP_1)
	v_pk_add_f32 v[36:37], v[34:35], 0 neg_lo:[1,1] neg_hi:[1,1]
	ds_store_b64 v49, v[36:37]
.LBB160_672:                            ;   in Loop: Header=BB160_3 Depth=1
	s_or_b32 exec_lo, exec_lo, s0
	s_wait_dscnt 0x0
	s_barrier_signal -1
	s_barrier_wait -1
	s_and_saveexec_b32 s0, s57
	s_cbranch_execz .LBB160_674
; %bb.673:                              ;   in Loop: Header=BB160_3 Depth=1
	ds_load_b64 v[36:37], v50 offset:10880
	ds_load_b64 v[38:39], v49
	s_wait_dscnt 0x0
	v_pk_mul_f32 v[78:79], v[38:39], v[36:37] op_sel:[1,1] op_sel_hi:[0,1]
	s_delay_alu instid0(VALU_DEP_1) | instskip(SKIP_1) | instid1(VALU_DEP_2)
	v_pk_fma_f32 v[80:81], v[38:39], v[36:37], v[78:79] op_sel_hi:[1,0,1]
	v_pk_fma_f32 v[36:37], v[38:39], v[36:37], v[78:79] neg_lo:[0,0,1] neg_hi:[0,0,1]
	v_mov_b32_e32 v37, v81
	s_delay_alu instid0(VALU_DEP_1)
	v_pk_add_f32 v[34:35], v[34:35], v[36:37] neg_lo:[0,1] neg_hi:[0,1]
.LBB160_674:                            ;   in Loop: Header=BB160_3 Depth=1
	s_or_b32 exec_lo, exec_lo, s0
	s_barrier_signal -1
	s_barrier_wait -1
	s_and_saveexec_b32 s0, s58
	s_cbranch_execz .LBB160_676
; %bb.675:                              ;   in Loop: Header=BB160_3 Depth=1
	ds_load_b64 v[36:37], v5 offset:10400
	s_wait_dscnt 0x0
	v_pk_mul_f32 v[38:39], v[34:35], v[36:37]
	v_pk_mul_f32 v[34:35], v[34:35], v[36:37] op_sel:[1,0] op_sel_hi:[0,1]
	s_delay_alu instid0(VALU_DEP_1) | instskip(NEXT) | instid1(VALU_DEP_3)
	v_dual_mov_b32 v36, v38 :: v_dual_mov_b32 v37, v34
	v_mov_b32_e32 v34, v39
	s_delay_alu instid0(VALU_DEP_1) | instskip(SKIP_1) | instid1(VALU_DEP_2)
	v_pk_add_f32 v[38:39], v[36:37], v[34:35]
	v_pk_add_f32 v[34:35], v[36:37], v[34:35] neg_lo:[0,1] neg_hi:[0,1]
	v_mov_b32_e32 v35, v39
	s_delay_alu instid0(VALU_DEP_1)
	v_pk_add_f32 v[36:37], v[34:35], 0 neg_lo:[1,1] neg_hi:[1,1]
	ds_store_b64 v49, v[36:37]
.LBB160_676:                            ;   in Loop: Header=BB160_3 Depth=1
	s_or_b32 exec_lo, exec_lo, s0
	s_wait_dscnt 0x0
	s_barrier_signal -1
	s_barrier_wait -1
	s_and_saveexec_b32 s0, s59
	s_cbranch_execz .LBB160_678
; %bb.677:                              ;   in Loop: Header=BB160_3 Depth=1
	ds_load_b64 v[36:37], v50 offset:10368
	ds_load_b64 v[38:39], v49
	s_wait_dscnt 0x0
	v_dual_mul_f32 v77, v39, v37 :: v_dual_mul_f32 v37, v38, v37
	s_delay_alu instid0(VALU_DEP_1) | instskip(NEXT) | instid1(VALU_DEP_1)
	v_fmac_f32_e32 v37, v39, v36
	v_dual_fma_f32 v38, v38, v36, -v77 :: v_dual_sub_f32 v35, v35, v37
	s_delay_alu instid0(VALU_DEP_1)
	v_sub_f32_e32 v34, v34, v38
.LBB160_678:                            ;   in Loop: Header=BB160_3 Depth=1
	s_or_b32 exec_lo, exec_lo, s0
	s_barrier_signal -1
	s_barrier_wait -1
	s_and_saveexec_b32 s0, s60
	s_cbranch_execz .LBB160_680
; %bb.679:                              ;   in Loop: Header=BB160_3 Depth=1
	ds_load_b64 v[36:37], v5 offset:9880
	s_wait_dscnt 0x0
	v_dual_mul_f32 v38, v35, v36 :: v_dual_mul_f32 v78, v35, v37
	s_delay_alu instid0(VALU_DEP_1) | instskip(NEXT) | instid1(VALU_DEP_2)
	v_pk_fma_f32 v[38:39], v[34:35], v[36:37], v[38:39] op_sel:[1,0,0] op_sel_hi:[0,1,0]
	v_pk_fma_f32 v[34:35], v[34:35], v[36:37], v[78:79] op_sel_hi:[1,1,0] neg_lo:[0,0,1] neg_hi:[0,0,1]
	s_delay_alu instid0(VALU_DEP_2) | instskip(NEXT) | instid1(VALU_DEP_1)
	v_mov_b32_e32 v35, v39
	v_pk_add_f32 v[36:37], v[34:35], 0 neg_lo:[1,1] neg_hi:[1,1]
	ds_store_b64 v49, v[36:37]
.LBB160_680:                            ;   in Loop: Header=BB160_3 Depth=1
	s_or_b32 exec_lo, exec_lo, s0
	s_wait_dscnt 0x0
	s_barrier_signal -1
	s_barrier_wait -1
	s_and_saveexec_b32 s0, s61
	s_cbranch_execz .LBB160_682
; %bb.681:                              ;   in Loop: Header=BB160_3 Depth=1
	ds_load_b64 v[36:37], v50 offset:9856
	ds_load_b64 v[38:39], v49
	s_wait_dscnt 0x0
	v_pk_mul_f32 v[78:79], v[38:39], v[36:37] op_sel:[1,1] op_sel_hi:[0,1]
	s_delay_alu instid0(VALU_DEP_1) | instskip(SKIP_1) | instid1(VALU_DEP_2)
	v_pk_fma_f32 v[80:81], v[38:39], v[36:37], v[78:79] op_sel_hi:[1,0,1]
	v_pk_fma_f32 v[36:37], v[38:39], v[36:37], v[78:79] neg_lo:[0,0,1] neg_hi:[0,0,1]
	v_mov_b32_e32 v37, v81
	s_delay_alu instid0(VALU_DEP_1)
	v_pk_add_f32 v[34:35], v[34:35], v[36:37] neg_lo:[0,1] neg_hi:[0,1]
.LBB160_682:                            ;   in Loop: Header=BB160_3 Depth=1
	s_or_b32 exec_lo, exec_lo, s0
	s_barrier_signal -1
	s_barrier_wait -1
	s_and_saveexec_b32 s0, s62
	s_cbranch_execz .LBB160_684
; %bb.683:                              ;   in Loop: Header=BB160_3 Depth=1
	ds_load_b64 v[36:37], v5 offset:9360
	s_wait_dscnt 0x0
	v_pk_mul_f32 v[38:39], v[34:35], v[36:37] op_sel:[1,1] op_sel_hi:[1,0]
	s_delay_alu instid0(VALU_DEP_1) | instskip(SKIP_1) | instid1(VALU_DEP_2)
	v_pk_fma_f32 v[78:79], v[34:35], v[36:37], v[38:39] op_sel_hi:[0,1,1]
	v_pk_fma_f32 v[34:35], v[34:35], v[36:37], v[38:39] neg_lo:[0,0,1] neg_hi:[0,0,1]
	v_mov_b32_e32 v35, v79
	s_delay_alu instid0(VALU_DEP_1)
	v_pk_add_f32 v[36:37], v[34:35], 0 neg_lo:[1,1] neg_hi:[1,1]
	ds_store_b64 v49, v[36:37]
.LBB160_684:                            ;   in Loop: Header=BB160_3 Depth=1
	s_or_b32 exec_lo, exec_lo, s0
	s_wait_dscnt 0x0
	s_barrier_signal -1
	s_barrier_wait -1
	s_and_saveexec_b32 s0, s63
	s_cbranch_execz .LBB160_686
; %bb.685:                              ;   in Loop: Header=BB160_3 Depth=1
	ds_load_b64 v[36:37], v50 offset:9344
	ds_load_b64 v[38:39], v49
	s_wait_dscnt 0x0
	v_pk_mul_f32 v[78:79], v[38:39], v[36:37] op_sel:[1,1] op_sel_hi:[0,1]
	s_delay_alu instid0(VALU_DEP_1) | instskip(SKIP_1) | instid1(VALU_DEP_2)
	v_pk_fma_f32 v[80:81], v[38:39], v[36:37], v[78:79] op_sel_hi:[1,0,1]
	v_pk_fma_f32 v[36:37], v[38:39], v[36:37], v[78:79] neg_lo:[0,0,1] neg_hi:[0,0,1]
	v_mov_b32_e32 v37, v81
	s_delay_alu instid0(VALU_DEP_1)
	v_pk_add_f32 v[34:35], v[34:35], v[36:37] neg_lo:[0,1] neg_hi:[0,1]
.LBB160_686:                            ;   in Loop: Header=BB160_3 Depth=1
	s_or_b32 exec_lo, exec_lo, s0
	s_barrier_signal -1
	s_barrier_wait -1
	s_and_saveexec_b32 s0, s64
	s_cbranch_execz .LBB160_688
; %bb.687:                              ;   in Loop: Header=BB160_3 Depth=1
	ds_load_b64 v[36:37], v5 offset:8840
	s_wait_dscnt 0x0
	v_pk_mul_f32 v[38:39], v[34:35], v[36:37] op_sel:[1,1] op_sel_hi:[1,0]
	s_delay_alu instid0(VALU_DEP_1) | instskip(SKIP_1) | instid1(VALU_DEP_2)
	v_pk_fma_f32 v[78:79], v[34:35], v[36:37], v[38:39] op_sel_hi:[0,1,1]
	v_pk_fma_f32 v[34:35], v[34:35], v[36:37], v[38:39] neg_lo:[0,0,1] neg_hi:[0,0,1]
	v_mov_b32_e32 v35, v79
	s_delay_alu instid0(VALU_DEP_1)
	v_pk_add_f32 v[36:37], v[34:35], 0 neg_lo:[1,1] neg_hi:[1,1]
	ds_store_b64 v49, v[36:37]
.LBB160_688:                            ;   in Loop: Header=BB160_3 Depth=1
	;; [unrolled: 35-line block ×3, first 2 shown]
	s_or_b32 exec_lo, exec_lo, s0
	s_wait_dscnt 0x0
	s_barrier_signal -1
	s_barrier_wait -1
	s_barrier_signal -1
	s_barrier_wait -1
	s_and_saveexec_b32 s0, s5
; %bb.693:                              ;   in Loop: Header=BB160_3 Depth=1
	ds_store_b64 v52, v[34:35] offset:16000
; %bb.694:                              ;   in Loop: Header=BB160_3 Depth=1
	s_or_b32 exec_lo, exec_lo, s0
	s_wait_dscnt 0x0
	s_barrier_signal -1
	s_barrier_wait -1
	s_barrier_signal -1
	s_barrier_wait -1
	s_and_saveexec_b32 s0, s14
	s_cbranch_execz .LBB160_696
; %bb.695:                              ;   in Loop: Header=BB160_3 Depth=1
	v_add_nc_u32_e64 v34, 0xb0, 0
	ds_load_b64 v[38:39], v5 offset:11960
	ds_load_2addr_stride64_b64 v[34:37], v34 offset0:22 offset1:23
	s_wait_dscnt 0x0
	v_dual_mul_f32 v77, v39, v35 :: v_dual_mul_f32 v78, v38, v35
	s_delay_alu instid0(VALU_DEP_1) | instskip(NEXT) | instid1(VALU_DEP_1)
	v_xor_b32_e32 v80, 0x80000000, v77
	v_dual_fmac_f32 v78, v39, v34 :: v_dual_fmac_f32 v80, v38, v34
	s_delay_alu instid0(VALU_DEP_1) | instskip(NEXT) | instid1(VALU_DEP_1)
	v_pk_mul_f32 v[34:35], v[78:79], v[36:37] op_sel:[0,1] op_sel_hi:[0,0]
	v_pk_fma_f32 v[38:39], v[80:81], v[36:37], v[34:35] op_sel_hi:[0,1,1]
	v_pk_fma_f32 v[34:35], v[80:81], v[36:37], v[34:35] neg_lo:[0,0,1] neg_hi:[0,0,1]
	s_delay_alu instid0(VALU_DEP_2)
	v_mov_b32_e32 v35, v39
	ds_store_b64 v5, v[34:35] offset:11952
.LBB160_696:                            ;   in Loop: Header=BB160_3 Depth=1
	s_or_b32 exec_lo, exec_lo, s0
	v_dual_mov_b32 v34, 0 :: v_dual_mov_b32 v35, 0
	s_wait_dscnt 0x0
	s_barrier_signal -1
	s_barrier_wait -1
	global_wb scope:SCOPE_DEV
	s_wait_storecnt 0x0
	global_inv scope:SCOPE_DEV
	s_and_saveexec_b32 s1, s3
	s_cbranch_execz .LBB160_700
; %bb.697:                              ;   in Loop: Header=BB160_3 Depth=1
	ds_load_b64 v[34:35], v41 offset:11424
	ds_load_b64 v[36:37], v42 offset:11952
	s_wait_dscnt 0x0
	v_pk_mul_f32 v[38:39], v[36:37], v[34:35] op_sel:[1,1] op_sel_hi:[0,1]
	s_delay_alu instid0(VALU_DEP_1) | instskip(SKIP_1) | instid1(VALU_DEP_2)
	v_pk_fma_f32 v[78:79], v[36:37], v[34:35], v[38:39] op_sel_hi:[1,0,1]
	v_pk_fma_f32 v[34:35], v[36:37], v[34:35], v[38:39] neg_lo:[0,0,1] neg_hi:[0,0,1]
	v_mov_b32_e32 v35, v79
	s_delay_alu instid0(VALU_DEP_1)
	v_pk_add_f32 v[34:35], v[34:35], 0 op_sel_hi:[1,0]
	s_and_saveexec_b32 s0, s15
	s_cbranch_execz .LBB160_699
; %bb.698:                              ;   in Loop: Header=BB160_3 Depth=1
	ds_load_b64 v[36:37], v43 offset:11936
	ds_load_b64 v[38:39], v5 offset:11960
	s_wait_dscnt 0x0
	v_pk_mul_f32 v[78:79], v[38:39], v[36:37] op_sel:[1,1] op_sel_hi:[0,1]
	s_delay_alu instid0(VALU_DEP_1) | instskip(SKIP_1) | instid1(VALU_DEP_2)
	v_pk_fma_f32 v[80:81], v[38:39], v[36:37], v[78:79] op_sel_hi:[1,0,1]
	v_pk_fma_f32 v[36:37], v[38:39], v[36:37], v[78:79] neg_lo:[0,0,1] neg_hi:[0,0,1]
	v_mov_b32_e32 v37, v81
	s_delay_alu instid0(VALU_DEP_1)
	v_pk_add_f32 v[34:35], v[34:35], v[36:37]
.LBB160_699:                            ;   in Loop: Header=BB160_3 Depth=1
	s_or_b32 exec_lo, exec_lo, s0
.LBB160_700:                            ;   in Loop: Header=BB160_3 Depth=1
	s_delay_alu instid0(SALU_CYCLE_1)
	s_or_b32 exec_lo, exec_lo, s1
	s_and_saveexec_b32 s0, s44
	s_cbranch_execz .LBB160_702
; %bb.701:                              ;   in Loop: Header=BB160_3 Depth=1
	ds_load_b64 v[36:37], v5 offset:10920
	s_wait_dscnt 0x0
	v_pk_mul_f32 v[38:39], v[34:35], v[36:37] op_sel:[1,1] op_sel_hi:[1,0]
	s_delay_alu instid0(VALU_DEP_1) | instskip(SKIP_1) | instid1(VALU_DEP_2)
	v_pk_fma_f32 v[78:79], v[34:35], v[36:37], v[38:39] op_sel_hi:[0,1,1]
	v_pk_fma_f32 v[34:35], v[34:35], v[36:37], v[38:39] neg_lo:[0,0,1] neg_hi:[0,0,1]
	v_mov_b32_e32 v35, v79
	s_delay_alu instid0(VALU_DEP_1)
	v_pk_add_f32 v[36:37], v[34:35], 0 neg_lo:[1,1] neg_hi:[1,1]
	ds_store_b64 v3, v[36:37]
.LBB160_702:                            ;   in Loop: Header=BB160_3 Depth=1
	s_or_b32 exec_lo, exec_lo, s0
	s_wait_loadcnt_dscnt 0x0
	s_barrier_signal -1
	s_barrier_wait -1
	s_and_saveexec_b32 s0, s45
	s_cbranch_execz .LBB160_704
; %bb.703:                              ;   in Loop: Header=BB160_3 Depth=1
	ds_load_b64 v[36:37], v5 offset:10912
	ds_load_b64 v[38:39], v3
	s_wait_dscnt 0x0
	v_pk_mul_f32 v[78:79], v[38:39], v[36:37] op_sel:[1,1] op_sel_hi:[0,1]
	s_delay_alu instid0(VALU_DEP_1) | instskip(SKIP_1) | instid1(VALU_DEP_2)
	v_pk_fma_f32 v[80:81], v[38:39], v[36:37], v[78:79] op_sel_hi:[1,0,1]
	v_pk_fma_f32 v[36:37], v[38:39], v[36:37], v[78:79] neg_lo:[0,0,1] neg_hi:[0,0,1]
	v_mov_b32_e32 v37, v81
	s_delay_alu instid0(VALU_DEP_1)
	v_pk_add_f32 v[34:35], v[34:35], v[36:37] neg_lo:[0,1] neg_hi:[0,1]
.LBB160_704:                            ;   in Loop: Header=BB160_3 Depth=1
	s_or_b32 exec_lo, exec_lo, s0
	s_barrier_signal -1
	s_barrier_wait -1
	s_and_saveexec_b32 s0, s45
	s_cbranch_execz .LBB160_706
; %bb.705:                              ;   in Loop: Header=BB160_3 Depth=1
	ds_load_b64 v[36:37], v5 offset:10400
	s_wait_dscnt 0x0
	v_pk_mul_f32 v[38:39], v[34:35], v[36:37] op_sel:[1,1] op_sel_hi:[1,0]
	s_delay_alu instid0(VALU_DEP_1) | instskip(SKIP_1) | instid1(VALU_DEP_2)
	v_pk_fma_f32 v[78:79], v[34:35], v[36:37], v[38:39] op_sel_hi:[0,1,1]
	v_pk_fma_f32 v[34:35], v[34:35], v[36:37], v[38:39] neg_lo:[0,0,1] neg_hi:[0,0,1]
	v_mov_b32_e32 v35, v79
	s_delay_alu instid0(VALU_DEP_1)
	v_pk_add_f32 v[36:37], v[34:35], 0 neg_lo:[1,1] neg_hi:[1,1]
	ds_store_b64 v3, v[36:37]
.LBB160_706:                            ;   in Loop: Header=BB160_3 Depth=1
	s_or_b32 exec_lo, exec_lo, s0
	s_wait_dscnt 0x0
	s_barrier_signal -1
	s_barrier_wait -1
	s_barrier_signal -1
	s_barrier_wait -1
	s_and_saveexec_b32 s0, s3
; %bb.707:                              ;   in Loop: Header=BB160_3 Depth=1
	ds_store_b64 v44, v[34:35] offset:11936
; %bb.708:                              ;   in Loop: Header=BB160_3 Depth=1
	s_or_b32 exec_lo, exec_lo, s0
	s_wait_dscnt 0x0
	s_barrier_signal -1
	s_barrier_wait -1
	s_barrier_signal -1
	s_barrier_wait -1
	s_and_saveexec_b32 s0, s14
	s_cbranch_execz .LBB160_710
; %bb.709:                              ;   in Loop: Header=BB160_3 Depth=1
	v_add_nc_u32_e64 v34, 0xa0, 0
	ds_load_b64 v[38:39], v5 offset:10920
	ds_load_2addr_stride64_b64 v[34:37], v34 offset0:20 offset1:21
	s_wait_dscnt 0x0
	v_dual_mul_f32 v77, v39, v35 :: v_dual_mul_f32 v78, v38, v35
	s_delay_alu instid0(VALU_DEP_1) | instskip(NEXT) | instid1(VALU_DEP_1)
	v_xor_b32_e32 v80, 0x80000000, v77
	v_dual_fmac_f32 v78, v39, v34 :: v_dual_fmac_f32 v80, v38, v34
	s_delay_alu instid0(VALU_DEP_1) | instskip(NEXT) | instid1(VALU_DEP_1)
	v_pk_mul_f32 v[34:35], v[78:79], v[36:37] op_sel:[0,1] op_sel_hi:[0,0]
	v_pk_fma_f32 v[38:39], v[80:81], v[36:37], v[34:35] op_sel_hi:[0,1,1]
	v_pk_fma_f32 v[34:35], v[80:81], v[36:37], v[34:35] neg_lo:[0,0,1] neg_hi:[0,0,1]
	s_delay_alu instid0(VALU_DEP_2)
	v_mov_b32_e32 v35, v39
	ds_store_b64 v5, v[34:35] offset:10912
.LBB160_710:                            ;   in Loop: Header=BB160_3 Depth=1
	s_or_b32 exec_lo, exec_lo, s0
	v_mov_b64_e32 v[34:35], 0
	s_wait_dscnt 0x0
	s_barrier_signal -1
	s_barrier_wait -1
	global_wb scope:SCOPE_DEV
	s_wait_storecnt 0x0
	global_inv scope:SCOPE_DEV
	s_and_saveexec_b32 s1, s4
	s_cbranch_execz .LBB160_716
; %bb.711:                              ;   in Loop: Header=BB160_3 Depth=1
	ds_load_b64 v[34:35], v46 offset:10368
	ds_load_b64 v[36:37], v47 offset:11936
	s_wait_dscnt 0x0
	v_dual_mul_f32 v38, v37, v35 :: v_dual_mul_f32 v35, v36, v35
	s_delay_alu instid0(VALU_DEP_1) | instskip(NEXT) | instid1(VALU_DEP_1)
	v_dual_fma_f32 v36, v36, v34, -v38 :: v_dual_fmac_f32 v35, v37, v34
	v_dual_add_f32 v34, 0, v36 :: v_dual_add_f32 v35, 0, v35
	s_and_saveexec_b32 s0, s16
	s_cbranch_execnz .LBB160_1082
; %bb.712:                              ;   in Loop: Header=BB160_3 Depth=1
	s_or_b32 exec_lo, exec_lo, s0
	s_and_saveexec_b32 s0, s17
	s_cbranch_execnz .LBB160_1083
.LBB160_713:                            ;   in Loop: Header=BB160_3 Depth=1
	s_or_b32 exec_lo, exec_lo, s0
	s_and_saveexec_b32 s0, s3
	s_cbranch_execz .LBB160_715
.LBB160_714:                            ;   in Loop: Header=BB160_3 Depth=1
	ds_load_b64 v[36:37], v43 offset:11904
	ds_load_b64 v[38:39], v5 offset:11960
	s_wait_dscnt 0x0
	v_dual_mul_f32 v77, v39, v37 :: v_dual_mul_f32 v37, v38, v37
	s_delay_alu instid0(VALU_DEP_1) | instskip(NEXT) | instid1(VALU_DEP_1)
	v_fmac_f32_e32 v37, v39, v36
	v_dual_fma_f32 v38, v38, v36, -v77 :: v_dual_add_f32 v35, v35, v37
	s_delay_alu instid0(VALU_DEP_1)
	v_add_f32_e32 v34, v34, v38
.LBB160_715:                            ;   in Loop: Header=BB160_3 Depth=1
	s_or_b32 exec_lo, exec_lo, s0
.LBB160_716:                            ;   in Loop: Header=BB160_3 Depth=1
	s_delay_alu instid0(SALU_CYCLE_1)
	s_or_b32 exec_lo, exec_lo, s1
	s_and_saveexec_b32 s0, s46
	s_cbranch_execz .LBB160_718
; %bb.717:                              ;   in Loop: Header=BB160_3 Depth=1
	ds_load_b64 v[36:37], v5 offset:9880
	s_wait_dscnt 0x0
	v_dual_mul_f32 v38, v35, v36 :: v_dual_mul_f32 v78, v35, v37
	s_delay_alu instid0(VALU_DEP_1) | instskip(NEXT) | instid1(VALU_DEP_2)
	v_pk_fma_f32 v[38:39], v[34:35], v[36:37], v[38:39] op_sel:[1,0,0] op_sel_hi:[0,1,0]
	v_pk_fma_f32 v[34:35], v[34:35], v[36:37], v[78:79] op_sel_hi:[1,1,0] neg_lo:[0,0,1] neg_hi:[0,0,1]
	s_delay_alu instid0(VALU_DEP_2) | instskip(NEXT) | instid1(VALU_DEP_1)
	v_mov_b32_e32 v35, v39
	v_pk_add_f32 v[36:37], v[34:35], 0 neg_lo:[1,1] neg_hi:[1,1]
	ds_store_b64 v45, v[36:37]
.LBB160_718:                            ;   in Loop: Header=BB160_3 Depth=1
	s_or_b32 exec_lo, exec_lo, s0
	s_wait_loadcnt_dscnt 0x0
	s_barrier_signal -1
	s_barrier_wait -1
	s_and_saveexec_b32 s0, s47
	s_cbranch_execz .LBB160_720
; %bb.719:                              ;   in Loop: Header=BB160_3 Depth=1
	ds_load_b64 v[36:37], v46 offset:9856
	ds_load_b64 v[38:39], v45
	s_wait_dscnt 0x0
	v_pk_mul_f32 v[78:79], v[38:39], v[36:37] op_sel:[1,1] op_sel_hi:[0,1]
	s_delay_alu instid0(VALU_DEP_1) | instskip(SKIP_1) | instid1(VALU_DEP_2)
	v_pk_fma_f32 v[80:81], v[38:39], v[36:37], v[78:79] op_sel_hi:[1,0,1]
	v_pk_fma_f32 v[36:37], v[38:39], v[36:37], v[78:79] neg_lo:[0,0,1] neg_hi:[0,0,1]
	v_mov_b32_e32 v37, v81
	s_delay_alu instid0(VALU_DEP_1)
	v_pk_add_f32 v[34:35], v[34:35], v[36:37] neg_lo:[0,1] neg_hi:[0,1]
.LBB160_720:                            ;   in Loop: Header=BB160_3 Depth=1
	s_or_b32 exec_lo, exec_lo, s0
	s_barrier_signal -1
	s_barrier_wait -1
	s_and_saveexec_b32 s0, s48
	s_cbranch_execz .LBB160_722
; %bb.721:                              ;   in Loop: Header=BB160_3 Depth=1
	ds_load_b64 v[36:37], v5 offset:9360
	s_wait_dscnt 0x0
	v_pk_mul_f32 v[38:39], v[34:35], v[36:37] op_sel:[1,1] op_sel_hi:[1,0]
	s_delay_alu instid0(VALU_DEP_1) | instskip(SKIP_1) | instid1(VALU_DEP_2)
	v_pk_fma_f32 v[78:79], v[34:35], v[36:37], v[38:39] op_sel_hi:[0,1,1]
	v_pk_fma_f32 v[34:35], v[34:35], v[36:37], v[38:39] neg_lo:[0,0,1] neg_hi:[0,0,1]
	v_mov_b32_e32 v35, v79
	s_delay_alu instid0(VALU_DEP_1)
	v_pk_add_f32 v[36:37], v[34:35], 0 neg_lo:[1,1] neg_hi:[1,1]
	ds_store_b64 v45, v[36:37]
.LBB160_722:                            ;   in Loop: Header=BB160_3 Depth=1
	s_or_b32 exec_lo, exec_lo, s0
	s_wait_dscnt 0x0
	s_barrier_signal -1
	s_barrier_wait -1
	s_and_saveexec_b32 s0, s49
	s_cbranch_execz .LBB160_724
; %bb.723:                              ;   in Loop: Header=BB160_3 Depth=1
	ds_load_b64 v[36:37], v46 offset:9344
	ds_load_b64 v[38:39], v45
	s_wait_dscnt 0x0
	v_pk_mul_f32 v[78:79], v[38:39], v[36:37] op_sel:[1,1] op_sel_hi:[0,1]
	s_delay_alu instid0(VALU_DEP_1) | instskip(SKIP_1) | instid1(VALU_DEP_2)
	v_pk_fma_f32 v[80:81], v[38:39], v[36:37], v[78:79] op_sel_hi:[1,0,1]
	v_pk_fma_f32 v[36:37], v[38:39], v[36:37], v[78:79] neg_lo:[0,0,1] neg_hi:[0,0,1]
	v_mov_b32_e32 v37, v81
	s_delay_alu instid0(VALU_DEP_1)
	v_pk_add_f32 v[34:35], v[34:35], v[36:37] neg_lo:[0,1] neg_hi:[0,1]
.LBB160_724:                            ;   in Loop: Header=BB160_3 Depth=1
	s_or_b32 exec_lo, exec_lo, s0
	s_barrier_signal -1
	s_barrier_wait -1
	s_and_saveexec_b32 s0, s50
	s_cbranch_execz .LBB160_726
; %bb.725:                              ;   in Loop: Header=BB160_3 Depth=1
	ds_load_b64 v[36:37], v5 offset:8840
	s_wait_dscnt 0x0
	v_pk_mul_f32 v[38:39], v[34:35], v[36:37] op_sel:[1,1] op_sel_hi:[1,0]
	s_delay_alu instid0(VALU_DEP_1) | instskip(SKIP_1) | instid1(VALU_DEP_2)
	v_pk_fma_f32 v[78:79], v[34:35], v[36:37], v[38:39] op_sel_hi:[0,1,1]
	v_pk_fma_f32 v[34:35], v[34:35], v[36:37], v[38:39] neg_lo:[0,0,1] neg_hi:[0,0,1]
	v_mov_b32_e32 v35, v79
	s_delay_alu instid0(VALU_DEP_1)
	v_pk_add_f32 v[36:37], v[34:35], 0 neg_lo:[1,1] neg_hi:[1,1]
	ds_store_b64 v45, v[36:37]
.LBB160_726:                            ;   in Loop: Header=BB160_3 Depth=1
	s_or_b32 exec_lo, exec_lo, s0
	s_wait_dscnt 0x0
	;; [unrolled: 35-line block ×3, first 2 shown]
	s_barrier_signal -1
	s_barrier_wait -1
	s_barrier_signal -1
	s_barrier_wait -1
	s_and_saveexec_b32 s0, s4
; %bb.731:                              ;   in Loop: Header=BB160_3 Depth=1
	ds_store_b64 v48, v[34:35] offset:11904
; %bb.732:                              ;   in Loop: Header=BB160_3 Depth=1
	s_or_b32 exec_lo, exec_lo, s0
	s_wait_dscnt 0x0
	s_barrier_signal -1
	s_barrier_wait -1
	s_barrier_signal -1
	s_barrier_wait -1
	s_and_saveexec_b32 s0, s14
	s_cbranch_execz .LBB160_734
; %bb.733:                              ;   in Loop: Header=BB160_3 Depth=1
	v_add_nc_u32_e64 v34, 0x90, 0
	ds_load_b64 v[38:39], v5 offset:9880
	ds_load_2addr_stride64_b64 v[34:37], v34 offset0:18 offset1:19
	s_wait_dscnt 0x0
	v_dual_mul_f32 v77, v39, v35 :: v_dual_mul_f32 v78, v38, v35
	s_delay_alu instid0(VALU_DEP_1) | instskip(NEXT) | instid1(VALU_DEP_1)
	v_xor_b32_e32 v80, 0x80000000, v77
	v_dual_fmac_f32 v78, v39, v34 :: v_dual_fmac_f32 v80, v38, v34
	s_delay_alu instid0(VALU_DEP_1) | instskip(NEXT) | instid1(VALU_DEP_1)
	v_pk_mul_f32 v[34:35], v[78:79], v[36:37] op_sel:[0,1] op_sel_hi:[0,0]
	v_pk_fma_f32 v[38:39], v[80:81], v[36:37], v[34:35] op_sel_hi:[0,1,1]
	v_pk_fma_f32 v[34:35], v[80:81], v[36:37], v[34:35] neg_lo:[0,0,1] neg_hi:[0,0,1]
	s_delay_alu instid0(VALU_DEP_2)
	v_mov_b32_e32 v35, v39
	ds_store_b64 v5, v[34:35] offset:9872
.LBB160_734:                            ;   in Loop: Header=BB160_3 Depth=1
	s_or_b32 exec_lo, exec_lo, s0
	v_dual_mov_b32 v34, 0 :: v_dual_mov_b32 v35, 0
	s_wait_dscnt 0x0
	s_barrier_signal -1
	s_barrier_wait -1
	global_wb scope:SCOPE_DEV
	s_wait_storecnt 0x0
	global_inv scope:SCOPE_DEV
	s_and_saveexec_b32 s1, s3
	s_cbranch_execz .LBB160_738
; %bb.735:                              ;   in Loop: Header=BB160_3 Depth=1
	ds_load_b64 v[34:35], v41 offset:9344
	ds_load_b64 v[36:37], v42 offset:9872
	s_wait_dscnt 0x0
	v_pk_mul_f32 v[38:39], v[36:37], v[34:35] op_sel:[1,1] op_sel_hi:[0,1]
	s_delay_alu instid0(VALU_DEP_1) | instskip(SKIP_1) | instid1(VALU_DEP_2)
	v_pk_fma_f32 v[78:79], v[36:37], v[34:35], v[38:39] op_sel_hi:[1,0,1]
	v_pk_fma_f32 v[34:35], v[36:37], v[34:35], v[38:39] neg_lo:[0,0,1] neg_hi:[0,0,1]
	v_mov_b32_e32 v35, v79
	s_delay_alu instid0(VALU_DEP_1)
	v_pk_add_f32 v[34:35], v[34:35], 0 op_sel_hi:[1,0]
	s_and_saveexec_b32 s0, s15
	s_cbranch_execz .LBB160_737
; %bb.736:                              ;   in Loop: Header=BB160_3 Depth=1
	ds_load_b64 v[36:37], v43 offset:9856
	ds_load_b64 v[38:39], v5 offset:9880
	s_wait_dscnt 0x0
	v_pk_mul_f32 v[78:79], v[38:39], v[36:37] op_sel:[1,1] op_sel_hi:[0,1]
	s_delay_alu instid0(VALU_DEP_1) | instskip(SKIP_1) | instid1(VALU_DEP_2)
	v_pk_fma_f32 v[80:81], v[38:39], v[36:37], v[78:79] op_sel_hi:[1,0,1]
	v_pk_fma_f32 v[36:37], v[38:39], v[36:37], v[78:79] neg_lo:[0,0,1] neg_hi:[0,0,1]
	v_mov_b32_e32 v37, v81
	s_delay_alu instid0(VALU_DEP_1)
	v_pk_add_f32 v[34:35], v[34:35], v[36:37]
.LBB160_737:                            ;   in Loop: Header=BB160_3 Depth=1
	s_or_b32 exec_lo, exec_lo, s0
.LBB160_738:                            ;   in Loop: Header=BB160_3 Depth=1
	s_delay_alu instid0(SALU_CYCLE_1)
	s_or_b32 exec_lo, exec_lo, s1
	s_and_saveexec_b32 s0, s44
	s_cbranch_execz .LBB160_740
; %bb.739:                              ;   in Loop: Header=BB160_3 Depth=1
	ds_load_b64 v[36:37], v5 offset:8840
	s_wait_dscnt 0x0
	v_pk_mul_f32 v[38:39], v[34:35], v[36:37] op_sel:[1,1] op_sel_hi:[1,0]
	s_delay_alu instid0(VALU_DEP_1) | instskip(SKIP_1) | instid1(VALU_DEP_2)
	v_pk_fma_f32 v[78:79], v[34:35], v[36:37], v[38:39] op_sel_hi:[0,1,1]
	v_pk_fma_f32 v[34:35], v[34:35], v[36:37], v[38:39] neg_lo:[0,0,1] neg_hi:[0,0,1]
	v_mov_b32_e32 v35, v79
	s_delay_alu instid0(VALU_DEP_1)
	v_pk_add_f32 v[36:37], v[34:35], 0 neg_lo:[1,1] neg_hi:[1,1]
	ds_store_b64 v3, v[36:37]
.LBB160_740:                            ;   in Loop: Header=BB160_3 Depth=1
	s_or_b32 exec_lo, exec_lo, s0
	s_wait_loadcnt_dscnt 0x0
	s_barrier_signal -1
	s_barrier_wait -1
	s_and_saveexec_b32 s0, s45
	s_cbranch_execz .LBB160_742
; %bb.741:                              ;   in Loop: Header=BB160_3 Depth=1
	ds_load_b64 v[36:37], v5 offset:8832
	ds_load_b64 v[38:39], v3
	s_wait_dscnt 0x0
	v_pk_mul_f32 v[78:79], v[38:39], v[36:37] op_sel:[1,1] op_sel_hi:[0,1]
	s_delay_alu instid0(VALU_DEP_1) | instskip(SKIP_1) | instid1(VALU_DEP_2)
	v_pk_fma_f32 v[80:81], v[38:39], v[36:37], v[78:79] op_sel_hi:[1,0,1]
	v_pk_fma_f32 v[36:37], v[38:39], v[36:37], v[78:79] neg_lo:[0,0,1] neg_hi:[0,0,1]
	v_mov_b32_e32 v37, v81
	s_delay_alu instid0(VALU_DEP_1)
	v_pk_add_f32 v[34:35], v[34:35], v[36:37] neg_lo:[0,1] neg_hi:[0,1]
.LBB160_742:                            ;   in Loop: Header=BB160_3 Depth=1
	s_or_b32 exec_lo, exec_lo, s0
	s_barrier_signal -1
	s_barrier_wait -1
	s_and_saveexec_b32 s0, s45
	s_cbranch_execz .LBB160_744
; %bb.743:                              ;   in Loop: Header=BB160_3 Depth=1
	ds_load_b64 v[36:37], v5 offset:8320
	s_wait_dscnt 0x0
	v_pk_mul_f32 v[38:39], v[34:35], v[36:37] op_sel:[1,1] op_sel_hi:[1,0]
	s_delay_alu instid0(VALU_DEP_1) | instskip(SKIP_1) | instid1(VALU_DEP_2)
	v_pk_fma_f32 v[78:79], v[34:35], v[36:37], v[38:39] op_sel_hi:[0,1,1]
	v_pk_fma_f32 v[34:35], v[34:35], v[36:37], v[38:39] neg_lo:[0,0,1] neg_hi:[0,0,1]
	v_mov_b32_e32 v35, v79
	s_delay_alu instid0(VALU_DEP_1)
	v_pk_add_f32 v[36:37], v[34:35], 0 neg_lo:[1,1] neg_hi:[1,1]
	ds_store_b64 v3, v[36:37]
.LBB160_744:                            ;   in Loop: Header=BB160_3 Depth=1
	s_or_b32 exec_lo, exec_lo, s0
	s_wait_dscnt 0x0
	s_barrier_signal -1
	s_barrier_wait -1
	s_barrier_signal -1
	s_barrier_wait -1
	s_and_saveexec_b32 s0, s3
; %bb.745:                              ;   in Loop: Header=BB160_3 Depth=1
	ds_store_b64 v44, v[34:35] offset:9856
; %bb.746:                              ;   in Loop: Header=BB160_3 Depth=1
	s_or_b32 exec_lo, exec_lo, s0
	s_wait_dscnt 0x0
	s_barrier_signal -1
	s_barrier_wait -1
	s_barrier_signal -1
	s_barrier_wait -1
	s_and_saveexec_b32 s0, s14
	s_cbranch_execz .LBB160_748
; %bb.747:                              ;   in Loop: Header=BB160_3 Depth=1
	v_add_nc_u32_e64 v34, 0x80, 0
	ds_load_b64 v[38:39], v5 offset:8840
	ds_load_2addr_stride64_b64 v[34:37], v34 offset0:16 offset1:17
	s_wait_dscnt 0x0
	v_dual_mul_f32 v77, v39, v35 :: v_dual_mul_f32 v78, v38, v35
	s_delay_alu instid0(VALU_DEP_1) | instskip(NEXT) | instid1(VALU_DEP_1)
	v_xor_b32_e32 v80, 0x80000000, v77
	v_dual_fmac_f32 v78, v39, v34 :: v_dual_fmac_f32 v80, v38, v34
	s_delay_alu instid0(VALU_DEP_1) | instskip(NEXT) | instid1(VALU_DEP_1)
	v_pk_mul_f32 v[34:35], v[78:79], v[36:37] op_sel:[0,1] op_sel_hi:[0,0]
	v_pk_fma_f32 v[38:39], v[80:81], v[36:37], v[34:35] op_sel_hi:[0,1,1]
	v_pk_fma_f32 v[34:35], v[80:81], v[36:37], v[34:35] neg_lo:[0,0,1] neg_hi:[0,0,1]
	s_delay_alu instid0(VALU_DEP_2)
	v_mov_b32_e32 v35, v39
	ds_store_b64 v5, v[34:35] offset:8832
.LBB160_748:                            ;   in Loop: Header=BB160_3 Depth=1
	s_or_b32 exec_lo, exec_lo, s0
	v_mov_b64_e32 v[34:35], 0
	s_wait_dscnt 0x0
	s_barrier_signal -1
	s_barrier_wait -1
	global_wb scope:SCOPE_DEV
	s_wait_storecnt 0x0
	global_inv scope:SCOPE_DEV
	s_and_saveexec_b32 s70, s6
	s_cbranch_execz .LBB160_776
; %bb.749:                              ;   in Loop: Header=BB160_3 Depth=1
	ds_load_b64 v[34:35], v54 offset:8192
	ds_load_b64 v[36:37], v55 offset:16000
	s_wait_dscnt 0x0
	v_dual_mul_f32 v38, v37, v35 :: v_dual_mul_f32 v35, v36, v35
	s_delay_alu instid0(VALU_DEP_1) | instskip(NEXT) | instid1(VALU_DEP_1)
	v_dual_fma_f32 v36, v36, v34, -v38 :: v_dual_fmac_f32 v35, v37, v34
	v_dual_add_f32 v34, 0, v36 :: v_dual_add_f32 v35, 0, v35
	s_mov_b32 s0, exec_lo
	v_readlane_b32 s1, v87, 0
	s_and_b32 s1, s0, s1
	s_delay_alu instid0(SALU_CYCLE_1)
	s_mov_b32 exec_lo, s1
	s_cbranch_execz .LBB160_751
; %bb.750:                              ;   in Loop: Header=BB160_3 Depth=1
	ds_load_b64 v[36:37], v54 offset:8704
	ds_load_b64 v[38:39], v55 offset:16008
	s_wait_dscnt 0x0
	v_dual_mul_f32 v77, v39, v37 :: v_dual_mul_f32 v37, v38, v37
	s_delay_alu instid0(VALU_DEP_1) | instskip(NEXT) | instid1(VALU_DEP_1)
	v_fmac_f32_e32 v37, v39, v36
	v_dual_fma_f32 v38, v38, v36, -v77 :: v_dual_add_f32 v35, v35, v37
	s_delay_alu instid0(VALU_DEP_1)
	v_add_f32_e32 v34, v34, v38
.LBB160_751:                            ;   in Loop: Header=BB160_3 Depth=1
	s_or_b32 exec_lo, exec_lo, s0
	s_delay_alu instid0(SALU_CYCLE_1) | instskip(SKIP_2) | instid1(SALU_CYCLE_1)
	s_mov_b32 s0, exec_lo
	v_readlane_b32 s1, v87, 1
	s_and_b32 s1, s0, s1
	s_mov_b32 exec_lo, s1
	s_cbranch_execz .LBB160_753
; %bb.752:                              ;   in Loop: Header=BB160_3 Depth=1
	ds_load_b64 v[36:37], v54 offset:9216
	ds_load_b64 v[38:39], v55 offset:16016
	s_wait_dscnt 0x0
	v_dual_mul_f32 v77, v39, v37 :: v_dual_mul_f32 v37, v38, v37
	s_delay_alu instid0(VALU_DEP_1) | instskip(NEXT) | instid1(VALU_DEP_1)
	v_fmac_f32_e32 v37, v39, v36
	v_dual_fma_f32 v38, v38, v36, -v77 :: v_dual_add_f32 v35, v35, v37
	s_delay_alu instid0(VALU_DEP_1)
	v_add_f32_e32 v34, v34, v38
.LBB160_753:                            ;   in Loop: Header=BB160_3 Depth=1
	s_or_b32 exec_lo, exec_lo, s0
	s_delay_alu instid0(SALU_CYCLE_1) | instskip(SKIP_2) | instid1(SALU_CYCLE_1)
	s_mov_b32 s0, exec_lo
	v_readlane_b32 s1, v87, 2
	s_and_b32 s1, s0, s1
	;; [unrolled: 18-line block ×10, first 2 shown]
	s_mov_b32 exec_lo, s1
	s_cbranch_execnz .LBB160_1084
; %bb.770:                              ;   in Loop: Header=BB160_3 Depth=1
	s_or_b32 exec_lo, exec_lo, s0
	s_and_saveexec_b32 s0, s5
	s_cbranch_execnz .LBB160_1085
.LBB160_771:                            ;   in Loop: Header=BB160_3 Depth=1
	s_or_b32 exec_lo, exec_lo, s0
	s_and_saveexec_b32 s0, s19
	s_cbranch_execnz .LBB160_1086
.LBB160_772:                            ;   in Loop: Header=BB160_3 Depth=1
	s_or_b32 exec_lo, exec_lo, s0
	s_and_saveexec_b32 s0, s21
	s_cbranch_execnz .LBB160_1087
.LBB160_773:                            ;   in Loop: Header=BB160_3 Depth=1
	s_or_b32 exec_lo, exec_lo, s0
	s_and_saveexec_b32 s0, s4
	s_cbranch_execz .LBB160_775
.LBB160_774:                            ;   in Loop: Header=BB160_3 Depth=1
	ds_load_b64 v[36:37], v43 offset:15872
	ds_load_b64 v[38:39], v5 offset:16120
	s_wait_dscnt 0x0
	v_dual_mul_f32 v77, v39, v37 :: v_dual_mul_f32 v79, v38, v37
	s_delay_alu instid0(VALU_DEP_1) | instskip(NEXT) | instid1(VALU_DEP_1)
	v_dual_fma_f32 v78, v38, v36, -v77 :: v_dual_fmac_f32 v79, v39, v36
	v_pk_add_f32 v[34:35], v[34:35], v[78:79]
.LBB160_775:                            ;   in Loop: Header=BB160_3 Depth=1
	s_or_b32 exec_lo, exec_lo, s0
.LBB160_776:                            ;   in Loop: Header=BB160_3 Depth=1
	s_delay_alu instid0(SALU_CYCLE_1) | instskip(NEXT) | instid1(SALU_CYCLE_1)
	s_or_b32 exec_lo, exec_lo, s70
	s_mov_b32 s0, exec_lo
	v_readlane_b32 s1, v88, 1
	s_and_b32 s1, s0, s1
	s_delay_alu instid0(SALU_CYCLE_1)
	s_mov_b32 exec_lo, s1
	s_cbranch_execz .LBB160_778
; %bb.777:                              ;   in Loop: Header=BB160_3 Depth=1
	ds_load_b64 v[36:37], v5 offset:7800
	s_wait_dscnt 0x0
	v_pk_mul_f32 v[38:39], v[34:35], v[36:37] op_sel:[1,1] op_sel_hi:[1,0]
	s_delay_alu instid0(VALU_DEP_1) | instskip(SKIP_1) | instid1(VALU_DEP_2)
	v_pk_fma_f32 v[78:79], v[34:35], v[36:37], v[38:39] op_sel_hi:[0,1,1]
	v_pk_fma_f32 v[34:35], v[34:35], v[36:37], v[38:39] neg_lo:[0,0,1] neg_hi:[0,0,1]
	v_mov_b32_e32 v35, v79
	s_delay_alu instid0(VALU_DEP_1)
	v_pk_add_f32 v[36:37], v[34:35], 0 neg_lo:[1,1] neg_hi:[1,1]
	ds_store_b64 v53, v[36:37]
.LBB160_778:                            ;   in Loop: Header=BB160_3 Depth=1
	s_or_b32 exec_lo, exec_lo, s0
	s_wait_loadcnt_dscnt 0x0
	s_barrier_signal -1
	s_barrier_wait -1
	s_mov_b32 s0, exec_lo
	v_readlane_b32 s1, v88, 2
	s_and_b32 s1, s0, s1
	s_delay_alu instid0(SALU_CYCLE_1)
	s_mov_b32 exec_lo, s1
	s_cbranch_execz .LBB160_780
; %bb.779:                              ;   in Loop: Header=BB160_3 Depth=1
	ds_load_b64 v[36:37], v54 offset:7680
	ds_load_b64 v[38:39], v53
	s_wait_dscnt 0x0
	v_pk_mul_f32 v[78:79], v[38:39], v[36:37] op_sel:[1,1] op_sel_hi:[0,1]
	s_delay_alu instid0(VALU_DEP_1) | instskip(SKIP_1) | instid1(VALU_DEP_2)
	v_pk_fma_f32 v[80:81], v[38:39], v[36:37], v[78:79] op_sel_hi:[1,0,1]
	v_pk_fma_f32 v[36:37], v[38:39], v[36:37], v[78:79] neg_lo:[0,0,1] neg_hi:[0,0,1]
	v_mov_b32_e32 v37, v81
	s_delay_alu instid0(VALU_DEP_1)
	v_pk_add_f32 v[34:35], v[34:35], v[36:37] neg_lo:[0,1] neg_hi:[0,1]
.LBB160_780:                            ;   in Loop: Header=BB160_3 Depth=1
	s_or_b32 exec_lo, exec_lo, s0
	s_barrier_signal -1
	s_barrier_wait -1
	s_mov_b32 s0, exec_lo
	v_readlane_b32 s1, v88, 3
	s_and_b32 s1, s0, s1
	s_delay_alu instid0(SALU_CYCLE_1)
	s_mov_b32 exec_lo, s1
	s_cbranch_execz .LBB160_782
; %bb.781:                              ;   in Loop: Header=BB160_3 Depth=1
	ds_load_b64 v[36:37], v5 offset:7280
	s_wait_dscnt 0x0
	v_pk_mul_f32 v[38:39], v[34:35], v[36:37] op_sel:[1,1] op_sel_hi:[1,0]
	s_delay_alu instid0(VALU_DEP_1) | instskip(SKIP_1) | instid1(VALU_DEP_2)
	v_pk_fma_f32 v[78:79], v[34:35], v[36:37], v[38:39] op_sel_hi:[0,1,1]
	v_pk_fma_f32 v[34:35], v[34:35], v[36:37], v[38:39] neg_lo:[0,0,1] neg_hi:[0,0,1]
	v_mov_b32_e32 v35, v79
	s_delay_alu instid0(VALU_DEP_1)
	v_pk_add_f32 v[36:37], v[34:35], 0 neg_lo:[1,1] neg_hi:[1,1]
	ds_store_b64 v53, v[36:37]
.LBB160_782:                            ;   in Loop: Header=BB160_3 Depth=1
	s_or_b32 exec_lo, exec_lo, s0
	s_wait_dscnt 0x0
	s_barrier_signal -1
	s_barrier_wait -1
	s_mov_b32 s0, exec_lo
	v_readlane_b32 s1, v88, 4
	s_and_b32 s1, s0, s1
	s_delay_alu instid0(SALU_CYCLE_1)
	s_mov_b32 exec_lo, s1
	s_cbranch_execz .LBB160_784
; %bb.783:                              ;   in Loop: Header=BB160_3 Depth=1
	ds_load_b64 v[36:37], v54 offset:7168
	ds_load_b64 v[38:39], v53
	s_wait_dscnt 0x0
	v_pk_mul_f32 v[78:79], v[38:39], v[36:37] op_sel:[1,1] op_sel_hi:[0,1]
	s_delay_alu instid0(VALU_DEP_1) | instskip(SKIP_1) | instid1(VALU_DEP_2)
	v_pk_fma_f32 v[80:81], v[38:39], v[36:37], v[78:79] op_sel_hi:[1,0,1]
	v_pk_fma_f32 v[36:37], v[38:39], v[36:37], v[78:79] neg_lo:[0,0,1] neg_hi:[0,0,1]
	v_mov_b32_e32 v37, v81
	s_delay_alu instid0(VALU_DEP_1)
	v_pk_add_f32 v[34:35], v[34:35], v[36:37] neg_lo:[0,1] neg_hi:[0,1]
.LBB160_784:                            ;   in Loop: Header=BB160_3 Depth=1
	s_or_b32 exec_lo, exec_lo, s0
	s_barrier_signal -1
	s_barrier_wait -1
	s_mov_b32 s0, exec_lo
	v_readlane_b32 s1, v88, 5
	s_and_b32 s1, s0, s1
	s_delay_alu instid0(SALU_CYCLE_1)
	s_mov_b32 exec_lo, s1
	s_cbranch_execz .LBB160_786
; %bb.785:                              ;   in Loop: Header=BB160_3 Depth=1
	ds_load_b64 v[36:37], v5 offset:6760
	s_wait_dscnt 0x0
	v_pk_mul_f32 v[38:39], v[34:35], v[36:37] op_sel:[1,1] op_sel_hi:[1,0]
	s_delay_alu instid0(VALU_DEP_1) | instskip(SKIP_1) | instid1(VALU_DEP_2)
	v_pk_fma_f32 v[78:79], v[34:35], v[36:37], v[38:39] op_sel_hi:[0,1,1]
	v_pk_fma_f32 v[34:35], v[34:35], v[36:37], v[38:39] neg_lo:[0,0,1] neg_hi:[0,0,1]
	v_mov_b32_e32 v35, v79
	s_delay_alu instid0(VALU_DEP_1)
	v_pk_add_f32 v[36:37], v[34:35], 0 neg_lo:[1,1] neg_hi:[1,1]
	ds_store_b64 v53, v[36:37]
.LBB160_786:                            ;   in Loop: Header=BB160_3 Depth=1
	s_or_b32 exec_lo, exec_lo, s0
	s_wait_dscnt 0x0
	s_barrier_signal -1
	s_barrier_wait -1
	s_mov_b32 s0, exec_lo
	v_readlane_b32 s1, v88, 6
	s_and_b32 s1, s0, s1
	s_delay_alu instid0(SALU_CYCLE_1)
	s_mov_b32 exec_lo, s1
	s_cbranch_execz .LBB160_788
; %bb.787:                              ;   in Loop: Header=BB160_3 Depth=1
	ds_load_b64 v[36:37], v54 offset:6656
	ds_load_b64 v[38:39], v53
	s_wait_dscnt 0x0
	v_pk_mul_f32 v[78:79], v[38:39], v[36:37] op_sel:[1,1] op_sel_hi:[0,1]
	s_delay_alu instid0(VALU_DEP_1) | instskip(SKIP_1) | instid1(VALU_DEP_2)
	v_pk_fma_f32 v[80:81], v[38:39], v[36:37], v[78:79] op_sel_hi:[1,0,1]
	v_pk_fma_f32 v[36:37], v[38:39], v[36:37], v[78:79] neg_lo:[0,0,1] neg_hi:[0,0,1]
	v_mov_b32_e32 v37, v81
	s_delay_alu instid0(VALU_DEP_1)
	v_pk_add_f32 v[34:35], v[34:35], v[36:37] neg_lo:[0,1] neg_hi:[0,1]
.LBB160_788:                            ;   in Loop: Header=BB160_3 Depth=1
	s_or_b32 exec_lo, exec_lo, s0
	s_delay_alu instid0(VALU_DEP_1)
	v_dual_mov_b32 v36, v35 :: v_dual_mov_b32 v37, v34
	s_barrier_signal -1
	s_barrier_wait -1
	s_mov_b32 s0, exec_lo
	v_readlane_b32 s1, v88, 7
	s_and_b32 s1, s0, s1
	s_delay_alu instid0(SALU_CYCLE_1)
	s_mov_b32 exec_lo, s1
	s_cbranch_execz .LBB160_790
; %bb.789:                              ;   in Loop: Header=BB160_3 Depth=1
	ds_load_b64 v[38:39], v5 offset:6240
	s_wait_dscnt 0x0
	v_dual_mul_f32 v78, v37, v39 :: v_dual_mul_f32 v80, v35, v39
	s_delay_alu instid0(VALU_DEP_1) | instskip(NEXT) | instid1(VALU_DEP_2)
	v_pk_fma_f32 v[36:37], v[36:37], v[38:39], v[78:79] op_sel_hi:[1,1,0]
	v_pk_fma_f32 v[34:35], v[34:35], v[38:39], v[80:81] op_sel_hi:[1,1,0] neg_lo:[0,0,1] neg_hi:[0,0,1]
	s_delay_alu instid0(VALU_DEP_1) | instskip(NEXT) | instid1(VALU_DEP_1)
	v_dual_mov_b32 v35, v36 :: v_dual_mov_b32 v37, v34
	v_pk_add_f32 v[38:39], v[34:35], 0 neg_lo:[1,1] neg_hi:[1,1]
	ds_store_b64 v53, v[38:39]
.LBB160_790:                            ;   in Loop: Header=BB160_3 Depth=1
	s_or_b32 exec_lo, exec_lo, s0
	s_wait_dscnt 0x0
	s_barrier_signal -1
	s_barrier_wait -1
	s_and_saveexec_b32 s0, s29
	s_cbranch_execz .LBB160_792
; %bb.791:                              ;   in Loop: Header=BB160_3 Depth=1
	ds_load_b64 v[34:35], v54 offset:6144
	ds_load_b64 v[38:39], v53
	s_wait_dscnt 0x0
	v_dual_mul_f32 v77, v39, v35 :: v_dual_mul_f32 v78, v38, v35
	s_delay_alu instid0(VALU_DEP_1) | instskip(NEXT) | instid1(VALU_DEP_1)
	v_dual_fma_f32 v79, v38, v34, -v77 :: v_dual_fmac_f32 v78, v39, v34
	v_pk_add_f32 v[36:37], v[36:37], v[78:79] neg_lo:[0,1] neg_hi:[0,1]
.LBB160_792:                            ;   in Loop: Header=BB160_3 Depth=1
	s_or_b32 exec_lo, exec_lo, s0
	s_barrier_signal -1
	s_barrier_wait -1
	s_and_saveexec_b32 s0, s31
	s_cbranch_execz .LBB160_794
; %bb.793:                              ;   in Loop: Header=BB160_3 Depth=1
	ds_load_b64 v[34:35], v5 offset:5720
	s_wait_dscnt 0x0
	v_pk_mul_f32 v[38:39], v[36:37], v[34:35] op_sel_hi:[0,1]
	s_delay_alu instid0(VALU_DEP_1) | instskip(SKIP_1) | instid1(VALU_DEP_2)
	v_pk_fma_f32 v[78:79], v[36:37], v[34:35], v[38:39] op_sel:[1,1,0] op_sel_hi:[1,0,1] neg_lo:[0,0,1] neg_hi:[0,0,1]
	v_pk_fma_f32 v[36:37], v[36:37], v[34:35], v[38:39] op_sel:[1,1,0] op_sel_hi:[1,0,1]
	v_mov_b32_e32 v37, v79
	s_delay_alu instid0(VALU_DEP_2)
	v_xor_b32_e32 v35, 0x80000000, v36
	v_xor_b32_e32 v34, 0x80000000, v79
	ds_store_b64 v53, v[34:35]
.LBB160_794:                            ;   in Loop: Header=BB160_3 Depth=1
	s_or_b32 exec_lo, exec_lo, s0
	s_wait_dscnt 0x0
	s_barrier_signal -1
	s_barrier_wait -1
	s_and_saveexec_b32 s0, s34
	s_cbranch_execz .LBB160_796
; %bb.795:                              ;   in Loop: Header=BB160_3 Depth=1
	ds_load_b64 v[34:35], v54 offset:5632
	ds_load_b64 v[38:39], v53
	s_wait_dscnt 0x0
	v_pk_mul_f32 v[78:79], v[38:39], v[34:35] op_sel:[0,1]
	s_delay_alu instid0(VALU_DEP_1) | instskip(SKIP_1) | instid1(VALU_DEP_2)
	v_pk_fma_f32 v[80:81], v[38:39], v[34:35], v[78:79] op_sel:[1,0,0] op_sel_hi:[0,0,1] neg_lo:[0,0,1] neg_hi:[0,0,1]
	v_pk_fma_f32 v[34:35], v[38:39], v[34:35], v[78:79] op_sel:[1,0,0] op_sel_hi:[0,1,1]
	v_mov_b32_e32 v35, v81
	s_delay_alu instid0(VALU_DEP_1)
	v_pk_add_f32 v[36:37], v[36:37], v[34:35] neg_lo:[0,1] neg_hi:[0,1]
.LBB160_796:                            ;   in Loop: Header=BB160_3 Depth=1
	s_or_b32 exec_lo, exec_lo, s0
	s_barrier_signal -1
	s_barrier_wait -1
	s_and_saveexec_b32 s0, s38
	s_cbranch_execz .LBB160_798
; %bb.797:                              ;   in Loop: Header=BB160_3 Depth=1
	ds_load_b64 v[34:35], v5 offset:5200
	s_wait_dscnt 0x0
	v_pk_mul_f32 v[38:39], v[36:37], v[34:35] op_sel_hi:[0,1]
	s_delay_alu instid0(VALU_DEP_1) | instskip(SKIP_1) | instid1(VALU_DEP_2)
	v_pk_fma_f32 v[78:79], v[36:37], v[34:35], v[38:39] op_sel:[1,1,0] op_sel_hi:[1,0,1] neg_lo:[0,0,1] neg_hi:[0,0,1]
	v_pk_fma_f32 v[36:37], v[36:37], v[34:35], v[38:39] op_sel:[1,1,0] op_sel_hi:[1,0,1]
	v_mov_b32_e32 v37, v79
	s_delay_alu instid0(VALU_DEP_2)
	v_xor_b32_e32 v35, 0x80000000, v36
	v_xor_b32_e32 v34, 0x80000000, v79
	ds_store_b64 v53, v[34:35]
.LBB160_798:                            ;   in Loop: Header=BB160_3 Depth=1
	s_or_b32 exec_lo, exec_lo, s0
	s_wait_dscnt 0x0
	s_barrier_signal -1
	s_barrier_wait -1
	s_and_saveexec_b32 s0, s39
	s_cbranch_execz .LBB160_800
; %bb.799:                              ;   in Loop: Header=BB160_3 Depth=1
	ds_load_b64 v[34:35], v54 offset:5120
	ds_load_b64 v[38:39], v53
	s_wait_dscnt 0x0
	v_pk_mul_f32 v[78:79], v[38:39], v[34:35] op_sel:[0,1]
	s_delay_alu instid0(VALU_DEP_1) | instskip(SKIP_1) | instid1(VALU_DEP_2)
	v_pk_fma_f32 v[80:81], v[38:39], v[34:35], v[78:79] op_sel:[1,0,0] op_sel_hi:[0,0,1] neg_lo:[0,0,1] neg_hi:[0,0,1]
	v_pk_fma_f32 v[34:35], v[38:39], v[34:35], v[78:79] op_sel:[1,0,0] op_sel_hi:[0,1,1]
	v_mov_b32_e32 v35, v81
	s_delay_alu instid0(VALU_DEP_1)
	v_pk_add_f32 v[36:37], v[36:37], v[34:35] neg_lo:[0,1] neg_hi:[0,1]
.LBB160_800:                            ;   in Loop: Header=BB160_3 Depth=1
	;; [unrolled: 36-line block ×3, first 2 shown]
	s_or_b32 exec_lo, exec_lo, s0
	s_delay_alu instid0(VALU_DEP_1)
	v_dual_mov_b32 v34, v37 :: v_dual_mov_b32 v35, v36
	s_barrier_signal -1
	s_barrier_wait -1
	s_and_saveexec_b32 s0, s92
	s_cbranch_execz .LBB160_806
; %bb.805:                              ;   in Loop: Header=BB160_3 Depth=1
	ds_load_b64 v[38:39], v5 offset:4160
	s_wait_dscnt 0x0
	v_dual_mul_f32 v78, v36, v38 :: v_dual_mul_f32 v80, v35, v39
	s_delay_alu instid0(VALU_DEP_1) | instskip(NEXT) | instid1(VALU_DEP_2)
	v_pk_fma_f32 v[36:37], v[36:37], v[38:39], v[78:79] op_sel_hi:[1,1,0]
	v_pk_fma_f32 v[34:35], v[34:35], v[38:39], v[80:81] op_sel_hi:[1,1,0] neg_lo:[0,0,1] neg_hi:[0,0,1]
	s_delay_alu instid0(VALU_DEP_2) | instskip(NEXT) | instid1(VALU_DEP_1)
	v_mov_b32_e32 v35, v37
	v_pk_add_f32 v[36:37], v[34:35], 0 neg_lo:[1,1] neg_hi:[1,1]
	ds_store_b64 v53, v[36:37]
.LBB160_806:                            ;   in Loop: Header=BB160_3 Depth=1
	s_or_b32 exec_lo, exec_lo, s0
	s_wait_dscnt 0x0
	s_barrier_signal -1
	s_barrier_wait -1
	s_and_saveexec_b32 s0, s93
	s_cbranch_execz .LBB160_808
; %bb.807:                              ;   in Loop: Header=BB160_3 Depth=1
	ds_load_b64 v[36:37], v54 offset:4096
	ds_load_b64 v[38:39], v53
	s_wait_dscnt 0x0
	v_dual_mul_f32 v77, v39, v37 :: v_dual_mul_f32 v79, v38, v37
	s_delay_alu instid0(VALU_DEP_1) | instskip(NEXT) | instid1(VALU_DEP_1)
	v_dual_fma_f32 v78, v38, v36, -v77 :: v_dual_fmac_f32 v79, v39, v36
	v_pk_add_f32 v[34:35], v[34:35], v[78:79] neg_lo:[0,1] neg_hi:[0,1]
.LBB160_808:                            ;   in Loop: Header=BB160_3 Depth=1
	s_or_b32 exec_lo, exec_lo, s0
	s_barrier_signal -1
	s_barrier_wait -1
	s_and_saveexec_b32 s0, s86
	s_cbranch_execz .LBB160_810
; %bb.809:                              ;   in Loop: Header=BB160_3 Depth=1
	ds_load_b64 v[36:37], v5 offset:3640
	s_wait_dscnt 0x0
	v_pk_mul_f32 v[38:39], v[34:35], v[36:37] op_sel:[1,1] op_sel_hi:[1,0]
	s_delay_alu instid0(VALU_DEP_1) | instskip(SKIP_1) | instid1(VALU_DEP_2)
	v_pk_fma_f32 v[78:79], v[34:35], v[36:37], v[38:39] op_sel_hi:[0,1,1]
	v_pk_fma_f32 v[34:35], v[34:35], v[36:37], v[38:39] neg_lo:[0,0,1] neg_hi:[0,0,1]
	v_mov_b32_e32 v35, v79
	s_delay_alu instid0(VALU_DEP_1)
	v_pk_add_f32 v[36:37], v[34:35], 0 neg_lo:[1,1] neg_hi:[1,1]
	ds_store_b64 v53, v[36:37]
.LBB160_810:                            ;   in Loop: Header=BB160_3 Depth=1
	s_or_b32 exec_lo, exec_lo, s0
	s_wait_dscnt 0x0
	s_barrier_signal -1
	s_barrier_wait -1
	s_and_saveexec_b32 s0, s87
	s_cbranch_execz .LBB160_812
; %bb.811:                              ;   in Loop: Header=BB160_3 Depth=1
	ds_load_b64 v[36:37], v54 offset:3584
	ds_load_b64 v[38:39], v53
	s_wait_dscnt 0x0
	v_pk_mul_f32 v[78:79], v[38:39], v[36:37] op_sel:[1,1] op_sel_hi:[0,1]
	s_delay_alu instid0(VALU_DEP_1) | instskip(SKIP_1) | instid1(VALU_DEP_2)
	v_pk_fma_f32 v[80:81], v[38:39], v[36:37], v[78:79] op_sel_hi:[1,0,1]
	v_pk_fma_f32 v[36:37], v[38:39], v[36:37], v[78:79] neg_lo:[0,0,1] neg_hi:[0,0,1]
	v_mov_b32_e32 v37, v81
	s_delay_alu instid0(VALU_DEP_1)
	v_pk_add_f32 v[34:35], v[34:35], v[36:37] neg_lo:[0,1] neg_hi:[0,1]
.LBB160_812:                            ;   in Loop: Header=BB160_3 Depth=1
	s_or_b32 exec_lo, exec_lo, s0
	s_barrier_signal -1
	s_barrier_wait -1
	s_and_saveexec_b32 s0, s42
	s_cbranch_execz .LBB160_814
; %bb.813:                              ;   in Loop: Header=BB160_3 Depth=1
	ds_load_b64 v[36:37], v5 offset:3120
	s_wait_dscnt 0x0
	v_pk_mul_f32 v[38:39], v[34:35], v[36:37] op_sel:[1,1] op_sel_hi:[1,0]
	s_delay_alu instid0(VALU_DEP_1) | instskip(SKIP_1) | instid1(VALU_DEP_2)
	v_pk_fma_f32 v[78:79], v[34:35], v[36:37], v[38:39] op_sel_hi:[0,1,1]
	v_pk_fma_f32 v[34:35], v[34:35], v[36:37], v[38:39] neg_lo:[0,0,1] neg_hi:[0,0,1]
	v_mov_b32_e32 v35, v79
	s_delay_alu instid0(VALU_DEP_1)
	v_pk_add_f32 v[36:37], v[34:35], 0 neg_lo:[1,1] neg_hi:[1,1]
	ds_store_b64 v53, v[36:37]
.LBB160_814:                            ;   in Loop: Header=BB160_3 Depth=1
	s_or_b32 exec_lo, exec_lo, s0
	s_wait_dscnt 0x0
	s_barrier_signal -1
	s_barrier_wait -1
	s_and_saveexec_b32 s0, s24
	s_cbranch_execz .LBB160_816
; %bb.815:                              ;   in Loop: Header=BB160_3 Depth=1
	ds_load_b64 v[36:37], v54 offset:3072
	ds_load_b64 v[38:39], v53
	s_wait_dscnt 0x0
	v_pk_mul_f32 v[78:79], v[38:39], v[36:37] op_sel:[1,1] op_sel_hi:[0,1]
	s_delay_alu instid0(VALU_DEP_1) | instskip(SKIP_1) | instid1(VALU_DEP_2)
	v_pk_fma_f32 v[80:81], v[38:39], v[36:37], v[78:79] op_sel_hi:[1,0,1]
	v_pk_fma_f32 v[36:37], v[38:39], v[36:37], v[78:79] neg_lo:[0,0,1] neg_hi:[0,0,1]
	v_mov_b32_e32 v37, v81
	s_delay_alu instid0(VALU_DEP_1)
	v_pk_add_f32 v[34:35], v[34:35], v[36:37] neg_lo:[0,1] neg_hi:[0,1]
.LBB160_816:                            ;   in Loop: Header=BB160_3 Depth=1
	;; [unrolled: 35-line block ×3, first 2 shown]
	s_or_b32 exec_lo, exec_lo, s0
	s_barrier_signal -1
	s_barrier_wait -1
	s_and_saveexec_b32 s0, s30
	s_cbranch_execz .LBB160_822
; %bb.821:                              ;   in Loop: Header=BB160_3 Depth=1
	ds_load_b64 v[36:37], v5 offset:2080
	s_wait_dscnt 0x0
	v_pk_mul_f32 v[38:39], v[34:35], v[36:37]
	v_pk_mul_f32 v[34:35], v[34:35], v[36:37] op_sel:[1,0] op_sel_hi:[0,1]
	s_delay_alu instid0(VALU_DEP_1) | instskip(NEXT) | instid1(VALU_DEP_3)
	v_dual_mov_b32 v36, v38 :: v_dual_mov_b32 v37, v34
	v_mov_b32_e32 v34, v39
	s_delay_alu instid0(VALU_DEP_1) | instskip(SKIP_1) | instid1(VALU_DEP_2)
	v_pk_add_f32 v[38:39], v[36:37], v[34:35]
	v_pk_add_f32 v[34:35], v[36:37], v[34:35] neg_lo:[0,1] neg_hi:[0,1]
	v_mov_b32_e32 v35, v39
	s_delay_alu instid0(VALU_DEP_1)
	v_pk_add_f32 v[36:37], v[34:35], 0 neg_lo:[1,1] neg_hi:[1,1]
	ds_store_b64 v53, v[36:37]
.LBB160_822:                            ;   in Loop: Header=BB160_3 Depth=1
	s_or_b32 exec_lo, exec_lo, s0
	s_wait_dscnt 0x0
	s_barrier_signal -1
	s_barrier_wait -1
	s_and_saveexec_b32 s0, s33
	s_cbranch_execz .LBB160_824
; %bb.823:                              ;   in Loop: Header=BB160_3 Depth=1
	ds_load_b64 v[36:37], v54 offset:2048
	ds_load_b64 v[38:39], v53
	s_wait_dscnt 0x0
	v_dual_mul_f32 v77, v39, v37 :: v_dual_mul_f32 v37, v38, v37
	s_delay_alu instid0(VALU_DEP_1) | instskip(NEXT) | instid1(VALU_DEP_1)
	v_fmac_f32_e32 v37, v39, v36
	v_dual_fma_f32 v38, v38, v36, -v77 :: v_dual_sub_f32 v35, v35, v37
	s_delay_alu instid0(VALU_DEP_1)
	v_sub_f32_e32 v34, v34, v38
.LBB160_824:                            ;   in Loop: Header=BB160_3 Depth=1
	s_or_b32 exec_lo, exec_lo, s0
	s_barrier_signal -1
	s_barrier_wait -1
	s_and_saveexec_b32 s0, vcc_hi
	s_cbranch_execz .LBB160_826
; %bb.825:                              ;   in Loop: Header=BB160_3 Depth=1
	ds_load_b64 v[36:37], v5 offset:1560
	s_wait_dscnt 0x0
	v_dual_mul_f32 v38, v35, v36 :: v_dual_mul_f32 v78, v35, v37
	s_delay_alu instid0(VALU_DEP_1) | instskip(NEXT) | instid1(VALU_DEP_2)
	v_pk_fma_f32 v[38:39], v[34:35], v[36:37], v[38:39] op_sel:[1,0,0] op_sel_hi:[0,1,0]
	v_pk_fma_f32 v[34:35], v[34:35], v[36:37], v[78:79] op_sel_hi:[1,1,0] neg_lo:[0,0,1] neg_hi:[0,0,1]
	s_delay_alu instid0(VALU_DEP_2) | instskip(NEXT) | instid1(VALU_DEP_1)
	v_mov_b32_e32 v35, v39
	v_pk_add_f32 v[36:37], v[34:35], 0 neg_lo:[1,1] neg_hi:[1,1]
	ds_store_b64 v53, v[36:37]
.LBB160_826:                            ;   in Loop: Header=BB160_3 Depth=1
	s_or_b32 exec_lo, exec_lo, s0
	s_wait_dscnt 0x0
	s_barrier_signal -1
	s_barrier_wait -1
	s_and_saveexec_b32 s0, s66
	s_cbranch_execz .LBB160_828
; %bb.827:                              ;   in Loop: Header=BB160_3 Depth=1
	ds_load_b64 v[36:37], v54 offset:1536
	ds_load_b64 v[38:39], v53
	s_wait_dscnt 0x0
	v_pk_mul_f32 v[78:79], v[38:39], v[36:37] op_sel:[1,1] op_sel_hi:[0,1]
	s_delay_alu instid0(VALU_DEP_1) | instskip(SKIP_1) | instid1(VALU_DEP_2)
	v_pk_fma_f32 v[80:81], v[38:39], v[36:37], v[78:79] op_sel_hi:[1,0,1]
	v_pk_fma_f32 v[36:37], v[38:39], v[36:37], v[78:79] neg_lo:[0,0,1] neg_hi:[0,0,1]
	v_mov_b32_e32 v37, v81
	s_delay_alu instid0(VALU_DEP_1)
	v_pk_add_f32 v[34:35], v[34:35], v[36:37] neg_lo:[0,1] neg_hi:[0,1]
.LBB160_828:                            ;   in Loop: Header=BB160_3 Depth=1
	s_or_b32 exec_lo, exec_lo, s0
	s_barrier_signal -1
	s_barrier_wait -1
	s_and_saveexec_b32 s0, s67
	s_cbranch_execz .LBB160_830
; %bb.829:                              ;   in Loop: Header=BB160_3 Depth=1
	ds_load_b64 v[36:37], v5 offset:1040
	s_wait_dscnt 0x0
	v_pk_mul_f32 v[38:39], v[34:35], v[36:37] op_sel:[1,1] op_sel_hi:[1,0]
	s_delay_alu instid0(VALU_DEP_1) | instskip(SKIP_1) | instid1(VALU_DEP_2)
	v_pk_fma_f32 v[78:79], v[34:35], v[36:37], v[38:39] op_sel_hi:[0,1,1]
	v_pk_fma_f32 v[34:35], v[34:35], v[36:37], v[38:39] neg_lo:[0,0,1] neg_hi:[0,0,1]
	v_mov_b32_e32 v35, v79
	s_delay_alu instid0(VALU_DEP_1)
	v_pk_add_f32 v[36:37], v[34:35], 0 neg_lo:[1,1] neg_hi:[1,1]
	ds_store_b64 v53, v[36:37]
.LBB160_830:                            ;   in Loop: Header=BB160_3 Depth=1
	s_or_b32 exec_lo, exec_lo, s0
	s_wait_dscnt 0x0
	s_barrier_signal -1
	s_barrier_wait -1
	s_and_saveexec_b32 s0, s9
	s_cbranch_execz .LBB160_832
; %bb.831:                              ;   in Loop: Header=BB160_3 Depth=1
	ds_load_b64 v[36:37], v54 offset:1024
	ds_load_b64 v[38:39], v53
	s_wait_dscnt 0x0
	v_pk_mul_f32 v[78:79], v[38:39], v[36:37] op_sel:[1,1] op_sel_hi:[0,1]
	s_delay_alu instid0(VALU_DEP_1) | instskip(SKIP_1) | instid1(VALU_DEP_2)
	v_pk_fma_f32 v[80:81], v[38:39], v[36:37], v[78:79] op_sel_hi:[1,0,1]
	v_pk_fma_f32 v[36:37], v[38:39], v[36:37], v[78:79] neg_lo:[0,0,1] neg_hi:[0,0,1]
	v_mov_b32_e32 v37, v81
	s_delay_alu instid0(VALU_DEP_1)
	v_pk_add_f32 v[34:35], v[34:35], v[36:37] neg_lo:[0,1] neg_hi:[0,1]
.LBB160_832:                            ;   in Loop: Header=BB160_3 Depth=1
	s_or_b32 exec_lo, exec_lo, s0
	s_barrier_signal -1
	s_barrier_wait -1
	s_and_saveexec_b32 s0, s10
	s_cbranch_execz .LBB160_834
; %bb.833:                              ;   in Loop: Header=BB160_3 Depth=1
	ds_load_b64 v[36:37], v5 offset:520
	s_wait_dscnt 0x0
	v_pk_mul_f32 v[38:39], v[34:35], v[36:37] op_sel:[1,1] op_sel_hi:[1,0]
	s_delay_alu instid0(VALU_DEP_1) | instskip(SKIP_1) | instid1(VALU_DEP_2)
	v_pk_fma_f32 v[78:79], v[34:35], v[36:37], v[38:39] op_sel_hi:[0,1,1]
	v_pk_fma_f32 v[34:35], v[34:35], v[36:37], v[38:39] neg_lo:[0,0,1] neg_hi:[0,0,1]
	v_mov_b32_e32 v35, v79
	s_delay_alu instid0(VALU_DEP_1)
	v_pk_add_f32 v[36:37], v[34:35], 0 neg_lo:[1,1] neg_hi:[1,1]
	ds_store_b64 v53, v[36:37]
.LBB160_834:                            ;   in Loop: Header=BB160_3 Depth=1
	s_or_b32 exec_lo, exec_lo, s0
	s_wait_dscnt 0x0
	s_barrier_signal -1
	s_barrier_wait -1
	s_and_saveexec_b32 s0, s68
	s_cbranch_execz .LBB160_836
; %bb.835:                              ;   in Loop: Header=BB160_3 Depth=1
	ds_load_b64 v[36:37], v5 offset:512
	ds_load_b64 v[38:39], v53
	s_wait_dscnt 0x0
	v_pk_mul_f32 v[78:79], v[38:39], v[36:37] op_sel:[1,1] op_sel_hi:[0,1]
	s_delay_alu instid0(VALU_DEP_1) | instskip(SKIP_1) | instid1(VALU_DEP_2)
	v_pk_fma_f32 v[80:81], v[38:39], v[36:37], v[78:79] op_sel_hi:[1,0,1]
	v_pk_fma_f32 v[36:37], v[38:39], v[36:37], v[78:79] neg_lo:[0,0,1] neg_hi:[0,0,1]
	v_mov_b32_e32 v37, v81
	s_delay_alu instid0(VALU_DEP_1)
	v_pk_add_f32 v[34:35], v[34:35], v[36:37] neg_lo:[0,1] neg_hi:[0,1]
.LBB160_836:                            ;   in Loop: Header=BB160_3 Depth=1
	s_or_b32 exec_lo, exec_lo, s0
	s_barrier_signal -1
	s_barrier_wait -1
	s_and_saveexec_b32 s0, s68
	s_cbranch_execz .LBB160_838
; %bb.837:                              ;   in Loop: Header=BB160_3 Depth=1
	ds_load_b64 v[36:37], v5
	s_wait_dscnt 0x0
	v_pk_mul_f32 v[38:39], v[34:35], v[36:37] op_sel:[1,1] op_sel_hi:[1,0]
	s_delay_alu instid0(VALU_DEP_1) | instskip(SKIP_1) | instid1(VALU_DEP_2)
	v_pk_fma_f32 v[78:79], v[34:35], v[36:37], v[38:39] op_sel_hi:[0,1,1]
	v_pk_fma_f32 v[34:35], v[34:35], v[36:37], v[38:39] neg_lo:[0,0,1] neg_hi:[0,0,1]
	v_mov_b32_e32 v35, v79
	s_delay_alu instid0(VALU_DEP_1)
	v_pk_add_f32 v[36:37], v[34:35], 0 neg_lo:[1,1] neg_hi:[1,1]
	ds_store_b64 v53, v[36:37]
.LBB160_838:                            ;   in Loop: Header=BB160_3 Depth=1
	s_or_b32 exec_lo, exec_lo, s0
	s_wait_dscnt 0x0
	s_barrier_signal -1
	s_barrier_wait -1
	s_barrier_signal -1
	s_barrier_wait -1
	s_and_saveexec_b32 s0, s6
; %bb.839:                              ;   in Loop: Header=BB160_3 Depth=1
	ds_store_b64 v56, v[34:35] offset:15872
; %bb.840:                              ;   in Loop: Header=BB160_3 Depth=1
	s_or_b32 exec_lo, exec_lo, s0
	s_wait_dscnt 0x0
	s_barrier_signal -1
	s_barrier_wait -1
	s_barrier_signal -1
	s_barrier_wait -1
	s_and_saveexec_b32 s0, s14
	s_cbranch_execz .LBB160_842
; %bb.841:                              ;   in Loop: Header=BB160_3 Depth=1
	v_add_nc_u32_e64 v34, 0x70, 0
	ds_load_b64 v[38:39], v5 offset:7800
	ds_load_2addr_stride64_b64 v[34:37], v34 offset0:14 offset1:15
	s_wait_dscnt 0x0
	v_dual_mul_f32 v77, v39, v35 :: v_dual_mul_f32 v78, v38, v35
	s_delay_alu instid0(VALU_DEP_1) | instskip(NEXT) | instid1(VALU_DEP_1)
	v_xor_b32_e32 v80, 0x80000000, v77
	v_dual_fmac_f32 v78, v39, v34 :: v_dual_fmac_f32 v80, v38, v34
	s_delay_alu instid0(VALU_DEP_1) | instskip(NEXT) | instid1(VALU_DEP_1)
	v_pk_mul_f32 v[34:35], v[78:79], v[36:37] op_sel:[0,1] op_sel_hi:[0,0]
	v_pk_fma_f32 v[38:39], v[80:81], v[36:37], v[34:35] op_sel_hi:[0,1,1]
	v_pk_fma_f32 v[34:35], v[80:81], v[36:37], v[34:35] neg_lo:[0,0,1] neg_hi:[0,0,1]
	s_delay_alu instid0(VALU_DEP_2)
	v_mov_b32_e32 v35, v39
	ds_store_b64 v5, v[34:35] offset:7792
.LBB160_842:                            ;   in Loop: Header=BB160_3 Depth=1
	s_or_b32 exec_lo, exec_lo, s0
	v_dual_mov_b32 v34, 0 :: v_dual_mov_b32 v35, 0
	s_wait_dscnt 0x0
	s_barrier_signal -1
	s_barrier_wait -1
	global_wb scope:SCOPE_DEV
	s_wait_storecnt 0x0
	global_inv scope:SCOPE_DEV
	s_and_saveexec_b32 s1, s3
	s_cbranch_execz .LBB160_846
; %bb.843:                              ;   in Loop: Header=BB160_3 Depth=1
	ds_load_b64 v[34:35], v41 offset:7264
	ds_load_b64 v[36:37], v42 offset:7792
	s_wait_dscnt 0x0
	v_pk_mul_f32 v[38:39], v[36:37], v[34:35] op_sel:[1,1] op_sel_hi:[0,1]
	s_delay_alu instid0(VALU_DEP_1) | instskip(SKIP_1) | instid1(VALU_DEP_2)
	v_pk_fma_f32 v[78:79], v[36:37], v[34:35], v[38:39] op_sel_hi:[1,0,1]
	v_pk_fma_f32 v[34:35], v[36:37], v[34:35], v[38:39] neg_lo:[0,0,1] neg_hi:[0,0,1]
	v_mov_b32_e32 v35, v79
	s_delay_alu instid0(VALU_DEP_1)
	v_pk_add_f32 v[34:35], v[34:35], 0 op_sel_hi:[1,0]
	s_and_saveexec_b32 s0, s15
	s_cbranch_execz .LBB160_845
; %bb.844:                              ;   in Loop: Header=BB160_3 Depth=1
	ds_load_b64 v[36:37], v43 offset:7776
	ds_load_b64 v[38:39], v5 offset:7800
	s_wait_dscnt 0x0
	v_pk_mul_f32 v[78:79], v[38:39], v[36:37] op_sel:[1,1] op_sel_hi:[0,1]
	s_delay_alu instid0(VALU_DEP_1) | instskip(SKIP_1) | instid1(VALU_DEP_2)
	v_pk_fma_f32 v[80:81], v[38:39], v[36:37], v[78:79] op_sel_hi:[1,0,1]
	v_pk_fma_f32 v[36:37], v[38:39], v[36:37], v[78:79] neg_lo:[0,0,1] neg_hi:[0,0,1]
	v_mov_b32_e32 v37, v81
	s_delay_alu instid0(VALU_DEP_1)
	v_pk_add_f32 v[34:35], v[34:35], v[36:37]
.LBB160_845:                            ;   in Loop: Header=BB160_3 Depth=1
	s_or_b32 exec_lo, exec_lo, s0
.LBB160_846:                            ;   in Loop: Header=BB160_3 Depth=1
	s_delay_alu instid0(SALU_CYCLE_1)
	s_or_b32 exec_lo, exec_lo, s1
	s_and_saveexec_b32 s0, s44
	s_cbranch_execz .LBB160_848
; %bb.847:                              ;   in Loop: Header=BB160_3 Depth=1
	ds_load_b64 v[36:37], v5 offset:6760
	s_wait_dscnt 0x0
	v_pk_mul_f32 v[38:39], v[34:35], v[36:37] op_sel:[1,1] op_sel_hi:[1,0]
	s_delay_alu instid0(VALU_DEP_1) | instskip(SKIP_1) | instid1(VALU_DEP_2)
	v_pk_fma_f32 v[78:79], v[34:35], v[36:37], v[38:39] op_sel_hi:[0,1,1]
	v_pk_fma_f32 v[34:35], v[34:35], v[36:37], v[38:39] neg_lo:[0,0,1] neg_hi:[0,0,1]
	v_mov_b32_e32 v35, v79
	s_delay_alu instid0(VALU_DEP_1)
	v_pk_add_f32 v[36:37], v[34:35], 0 neg_lo:[1,1] neg_hi:[1,1]
	ds_store_b64 v3, v[36:37]
.LBB160_848:                            ;   in Loop: Header=BB160_3 Depth=1
	s_or_b32 exec_lo, exec_lo, s0
	s_wait_loadcnt_dscnt 0x0
	s_barrier_signal -1
	s_barrier_wait -1
	s_and_saveexec_b32 s0, s45
	s_cbranch_execz .LBB160_850
; %bb.849:                              ;   in Loop: Header=BB160_3 Depth=1
	ds_load_b64 v[36:37], v5 offset:6752
	ds_load_b64 v[38:39], v3
	s_wait_dscnt 0x0
	v_pk_mul_f32 v[78:79], v[38:39], v[36:37] op_sel:[1,1] op_sel_hi:[0,1]
	s_delay_alu instid0(VALU_DEP_1) | instskip(SKIP_1) | instid1(VALU_DEP_2)
	v_pk_fma_f32 v[80:81], v[38:39], v[36:37], v[78:79] op_sel_hi:[1,0,1]
	v_pk_fma_f32 v[36:37], v[38:39], v[36:37], v[78:79] neg_lo:[0,0,1] neg_hi:[0,0,1]
	v_mov_b32_e32 v37, v81
	s_delay_alu instid0(VALU_DEP_1)
	v_pk_add_f32 v[34:35], v[34:35], v[36:37] neg_lo:[0,1] neg_hi:[0,1]
.LBB160_850:                            ;   in Loop: Header=BB160_3 Depth=1
	s_or_b32 exec_lo, exec_lo, s0
	s_barrier_signal -1
	s_barrier_wait -1
	s_and_saveexec_b32 s0, s45
	s_cbranch_execz .LBB160_852
; %bb.851:                              ;   in Loop: Header=BB160_3 Depth=1
	ds_load_b64 v[36:37], v5 offset:6240
	s_wait_dscnt 0x0
	v_pk_mul_f32 v[38:39], v[34:35], v[36:37] op_sel:[1,1] op_sel_hi:[1,0]
	s_delay_alu instid0(VALU_DEP_1) | instskip(SKIP_1) | instid1(VALU_DEP_2)
	v_pk_fma_f32 v[78:79], v[34:35], v[36:37], v[38:39] op_sel_hi:[0,1,1]
	v_pk_fma_f32 v[34:35], v[34:35], v[36:37], v[38:39] neg_lo:[0,0,1] neg_hi:[0,0,1]
	v_mov_b32_e32 v35, v79
	s_delay_alu instid0(VALU_DEP_1)
	v_pk_add_f32 v[36:37], v[34:35], 0 neg_lo:[1,1] neg_hi:[1,1]
	ds_store_b64 v3, v[36:37]
.LBB160_852:                            ;   in Loop: Header=BB160_3 Depth=1
	s_or_b32 exec_lo, exec_lo, s0
	s_wait_dscnt 0x0
	s_barrier_signal -1
	s_barrier_wait -1
	s_barrier_signal -1
	s_barrier_wait -1
	s_and_saveexec_b32 s0, s3
; %bb.853:                              ;   in Loop: Header=BB160_3 Depth=1
	ds_store_b64 v44, v[34:35] offset:7776
; %bb.854:                              ;   in Loop: Header=BB160_3 Depth=1
	s_or_b32 exec_lo, exec_lo, s0
	s_wait_dscnt 0x0
	s_barrier_signal -1
	s_barrier_wait -1
	s_barrier_signal -1
	s_barrier_wait -1
	s_and_saveexec_b32 s0, s14
	s_cbranch_execz .LBB160_856
; %bb.855:                              ;   in Loop: Header=BB160_3 Depth=1
	v_add_nc_u32_e64 v34, 0x60, 0
	ds_load_b64 v[38:39], v5 offset:6760
	ds_load_2addr_stride64_b64 v[34:37], v34 offset0:12 offset1:13
	s_wait_dscnt 0x0
	v_dual_mul_f32 v77, v39, v35 :: v_dual_mul_f32 v78, v38, v35
	s_delay_alu instid0(VALU_DEP_1) | instskip(NEXT) | instid1(VALU_DEP_1)
	v_xor_b32_e32 v80, 0x80000000, v77
	v_dual_fmac_f32 v78, v39, v34 :: v_dual_fmac_f32 v80, v38, v34
	s_delay_alu instid0(VALU_DEP_1) | instskip(NEXT) | instid1(VALU_DEP_1)
	v_pk_mul_f32 v[34:35], v[78:79], v[36:37] op_sel:[0,1] op_sel_hi:[0,0]
	v_pk_fma_f32 v[38:39], v[80:81], v[36:37], v[34:35] op_sel_hi:[0,1,1]
	v_pk_fma_f32 v[34:35], v[80:81], v[36:37], v[34:35] neg_lo:[0,0,1] neg_hi:[0,0,1]
	s_delay_alu instid0(VALU_DEP_2)
	v_mov_b32_e32 v35, v39
	ds_store_b64 v5, v[34:35] offset:6752
.LBB160_856:                            ;   in Loop: Header=BB160_3 Depth=1
	s_or_b32 exec_lo, exec_lo, s0
	v_mov_b64_e32 v[34:35], 0
	s_wait_dscnt 0x0
	s_barrier_signal -1
	s_barrier_wait -1
	global_wb scope:SCOPE_DEV
	s_wait_storecnt 0x0
	global_inv scope:SCOPE_DEV
	s_and_saveexec_b32 s1, s4
	s_cbranch_execz .LBB160_862
; %bb.857:                              ;   in Loop: Header=BB160_3 Depth=1
	ds_load_b64 v[34:35], v46 offset:6208
	ds_load_b64 v[36:37], v47 offset:7776
	s_wait_dscnt 0x0
	v_dual_mul_f32 v38, v37, v35 :: v_dual_mul_f32 v35, v36, v35
	s_delay_alu instid0(VALU_DEP_1) | instskip(NEXT) | instid1(VALU_DEP_1)
	v_dual_fma_f32 v36, v36, v34, -v38 :: v_dual_fmac_f32 v35, v37, v34
	v_dual_add_f32 v34, 0, v36 :: v_dual_add_f32 v35, 0, v35
	s_and_saveexec_b32 s0, s16
	s_cbranch_execnz .LBB160_1088
; %bb.858:                              ;   in Loop: Header=BB160_3 Depth=1
	s_or_b32 exec_lo, exec_lo, s0
	s_and_saveexec_b32 s0, s17
	s_cbranch_execnz .LBB160_1089
.LBB160_859:                            ;   in Loop: Header=BB160_3 Depth=1
	s_or_b32 exec_lo, exec_lo, s0
	s_and_saveexec_b32 s0, s3
	s_cbranch_execz .LBB160_861
.LBB160_860:                            ;   in Loop: Header=BB160_3 Depth=1
	ds_load_b64 v[36:37], v43 offset:7744
	ds_load_b64 v[38:39], v5 offset:7800
	s_wait_dscnt 0x0
	v_dual_mul_f32 v77, v39, v37 :: v_dual_mul_f32 v37, v38, v37
	s_delay_alu instid0(VALU_DEP_1) | instskip(NEXT) | instid1(VALU_DEP_1)
	v_fmac_f32_e32 v37, v39, v36
	v_dual_fma_f32 v38, v38, v36, -v77 :: v_dual_add_f32 v35, v35, v37
	s_delay_alu instid0(VALU_DEP_1)
	v_add_f32_e32 v34, v34, v38
.LBB160_861:                            ;   in Loop: Header=BB160_3 Depth=1
	s_or_b32 exec_lo, exec_lo, s0
.LBB160_862:                            ;   in Loop: Header=BB160_3 Depth=1
	s_delay_alu instid0(SALU_CYCLE_1)
	s_or_b32 exec_lo, exec_lo, s1
	s_and_saveexec_b32 s0, s46
	s_cbranch_execz .LBB160_864
; %bb.863:                              ;   in Loop: Header=BB160_3 Depth=1
	ds_load_b64 v[36:37], v5 offset:5720
	s_wait_dscnt 0x0
	v_dual_mul_f32 v38, v35, v36 :: v_dual_mul_f32 v78, v35, v37
	s_delay_alu instid0(VALU_DEP_1) | instskip(NEXT) | instid1(VALU_DEP_2)
	v_pk_fma_f32 v[38:39], v[34:35], v[36:37], v[38:39] op_sel:[1,0,0] op_sel_hi:[0,1,0]
	v_pk_fma_f32 v[34:35], v[34:35], v[36:37], v[78:79] op_sel_hi:[1,1,0] neg_lo:[0,0,1] neg_hi:[0,0,1]
	s_delay_alu instid0(VALU_DEP_2) | instskip(NEXT) | instid1(VALU_DEP_1)
	v_mov_b32_e32 v35, v39
	v_pk_add_f32 v[36:37], v[34:35], 0 neg_lo:[1,1] neg_hi:[1,1]
	ds_store_b64 v45, v[36:37]
.LBB160_864:                            ;   in Loop: Header=BB160_3 Depth=1
	s_or_b32 exec_lo, exec_lo, s0
	s_wait_loadcnt_dscnt 0x0
	s_barrier_signal -1
	s_barrier_wait -1
	s_and_saveexec_b32 s0, s47
	s_cbranch_execz .LBB160_866
; %bb.865:                              ;   in Loop: Header=BB160_3 Depth=1
	ds_load_b64 v[36:37], v46 offset:5696
	ds_load_b64 v[38:39], v45
	s_wait_dscnt 0x0
	v_pk_mul_f32 v[78:79], v[38:39], v[36:37] op_sel:[1,1] op_sel_hi:[0,1]
	s_delay_alu instid0(VALU_DEP_1) | instskip(SKIP_1) | instid1(VALU_DEP_2)
	v_pk_fma_f32 v[80:81], v[38:39], v[36:37], v[78:79] op_sel_hi:[1,0,1]
	v_pk_fma_f32 v[36:37], v[38:39], v[36:37], v[78:79] neg_lo:[0,0,1] neg_hi:[0,0,1]
	v_mov_b32_e32 v37, v81
	s_delay_alu instid0(VALU_DEP_1)
	v_pk_add_f32 v[34:35], v[34:35], v[36:37] neg_lo:[0,1] neg_hi:[0,1]
.LBB160_866:                            ;   in Loop: Header=BB160_3 Depth=1
	s_or_b32 exec_lo, exec_lo, s0
	s_barrier_signal -1
	s_barrier_wait -1
	s_and_saveexec_b32 s0, s48
	s_cbranch_execz .LBB160_868
; %bb.867:                              ;   in Loop: Header=BB160_3 Depth=1
	ds_load_b64 v[36:37], v5 offset:5200
	s_wait_dscnt 0x0
	v_pk_mul_f32 v[38:39], v[34:35], v[36:37] op_sel:[1,1] op_sel_hi:[1,0]
	s_delay_alu instid0(VALU_DEP_1) | instskip(SKIP_1) | instid1(VALU_DEP_2)
	v_pk_fma_f32 v[78:79], v[34:35], v[36:37], v[38:39] op_sel_hi:[0,1,1]
	v_pk_fma_f32 v[34:35], v[34:35], v[36:37], v[38:39] neg_lo:[0,0,1] neg_hi:[0,0,1]
	v_mov_b32_e32 v35, v79
	s_delay_alu instid0(VALU_DEP_1)
	v_pk_add_f32 v[36:37], v[34:35], 0 neg_lo:[1,1] neg_hi:[1,1]
	ds_store_b64 v45, v[36:37]
.LBB160_868:                            ;   in Loop: Header=BB160_3 Depth=1
	s_or_b32 exec_lo, exec_lo, s0
	s_wait_dscnt 0x0
	s_barrier_signal -1
	s_barrier_wait -1
	s_and_saveexec_b32 s0, s49
	s_cbranch_execz .LBB160_870
; %bb.869:                              ;   in Loop: Header=BB160_3 Depth=1
	ds_load_b64 v[36:37], v46 offset:5184
	ds_load_b64 v[38:39], v45
	s_wait_dscnt 0x0
	v_pk_mul_f32 v[78:79], v[38:39], v[36:37] op_sel:[1,1] op_sel_hi:[0,1]
	s_delay_alu instid0(VALU_DEP_1) | instskip(SKIP_1) | instid1(VALU_DEP_2)
	v_pk_fma_f32 v[80:81], v[38:39], v[36:37], v[78:79] op_sel_hi:[1,0,1]
	v_pk_fma_f32 v[36:37], v[38:39], v[36:37], v[78:79] neg_lo:[0,0,1] neg_hi:[0,0,1]
	v_mov_b32_e32 v37, v81
	s_delay_alu instid0(VALU_DEP_1)
	v_pk_add_f32 v[34:35], v[34:35], v[36:37] neg_lo:[0,1] neg_hi:[0,1]
.LBB160_870:                            ;   in Loop: Header=BB160_3 Depth=1
	s_or_b32 exec_lo, exec_lo, s0
	s_barrier_signal -1
	s_barrier_wait -1
	s_and_saveexec_b32 s0, s50
	s_cbranch_execz .LBB160_872
; %bb.871:                              ;   in Loop: Header=BB160_3 Depth=1
	ds_load_b64 v[36:37], v5 offset:4680
	s_wait_dscnt 0x0
	v_pk_mul_f32 v[38:39], v[34:35], v[36:37] op_sel:[1,1] op_sel_hi:[1,0]
	s_delay_alu instid0(VALU_DEP_1) | instskip(SKIP_1) | instid1(VALU_DEP_2)
	v_pk_fma_f32 v[78:79], v[34:35], v[36:37], v[38:39] op_sel_hi:[0,1,1]
	v_pk_fma_f32 v[34:35], v[34:35], v[36:37], v[38:39] neg_lo:[0,0,1] neg_hi:[0,0,1]
	v_mov_b32_e32 v35, v79
	s_delay_alu instid0(VALU_DEP_1)
	v_pk_add_f32 v[36:37], v[34:35], 0 neg_lo:[1,1] neg_hi:[1,1]
	ds_store_b64 v45, v[36:37]
.LBB160_872:                            ;   in Loop: Header=BB160_3 Depth=1
	s_or_b32 exec_lo, exec_lo, s0
	s_wait_dscnt 0x0
	;; [unrolled: 35-line block ×3, first 2 shown]
	s_barrier_signal -1
	s_barrier_wait -1
	s_barrier_signal -1
	s_barrier_wait -1
	s_and_saveexec_b32 s0, s4
; %bb.877:                              ;   in Loop: Header=BB160_3 Depth=1
	ds_store_b64 v48, v[34:35] offset:7744
; %bb.878:                              ;   in Loop: Header=BB160_3 Depth=1
	s_or_b32 exec_lo, exec_lo, s0
	s_wait_dscnt 0x0
	s_barrier_signal -1
	s_barrier_wait -1
	s_barrier_signal -1
	s_barrier_wait -1
	s_and_saveexec_b32 s0, s14
	s_cbranch_execz .LBB160_880
; %bb.879:                              ;   in Loop: Header=BB160_3 Depth=1
	v_add_nc_u32_e64 v34, 0x50, 0
	ds_load_b64 v[38:39], v5 offset:5720
	ds_load_2addr_stride64_b64 v[34:37], v34 offset0:10 offset1:11
	s_wait_dscnt 0x0
	v_dual_mul_f32 v77, v39, v35 :: v_dual_mul_f32 v78, v38, v35
	s_delay_alu instid0(VALU_DEP_1) | instskip(NEXT) | instid1(VALU_DEP_1)
	v_xor_b32_e32 v80, 0x80000000, v77
	v_dual_fmac_f32 v78, v39, v34 :: v_dual_fmac_f32 v80, v38, v34
	s_delay_alu instid0(VALU_DEP_1) | instskip(NEXT) | instid1(VALU_DEP_1)
	v_pk_mul_f32 v[34:35], v[78:79], v[36:37] op_sel:[0,1] op_sel_hi:[0,0]
	v_pk_fma_f32 v[38:39], v[80:81], v[36:37], v[34:35] op_sel_hi:[0,1,1]
	v_pk_fma_f32 v[34:35], v[80:81], v[36:37], v[34:35] neg_lo:[0,0,1] neg_hi:[0,0,1]
	s_delay_alu instid0(VALU_DEP_2)
	v_mov_b32_e32 v35, v39
	ds_store_b64 v5, v[34:35] offset:5712
.LBB160_880:                            ;   in Loop: Header=BB160_3 Depth=1
	s_or_b32 exec_lo, exec_lo, s0
	v_dual_mov_b32 v34, 0 :: v_dual_mov_b32 v35, 0
	s_wait_dscnt 0x0
	s_barrier_signal -1
	s_barrier_wait -1
	global_wb scope:SCOPE_DEV
	s_wait_storecnt 0x0
	global_inv scope:SCOPE_DEV
	s_and_saveexec_b32 s1, s3
	s_cbranch_execz .LBB160_884
; %bb.881:                              ;   in Loop: Header=BB160_3 Depth=1
	ds_load_b64 v[34:35], v41 offset:5184
	ds_load_b64 v[36:37], v42 offset:5712
	s_wait_dscnt 0x0
	v_pk_mul_f32 v[38:39], v[36:37], v[34:35] op_sel:[1,1] op_sel_hi:[0,1]
	s_delay_alu instid0(VALU_DEP_1) | instskip(SKIP_1) | instid1(VALU_DEP_2)
	v_pk_fma_f32 v[78:79], v[36:37], v[34:35], v[38:39] op_sel_hi:[1,0,1]
	v_pk_fma_f32 v[34:35], v[36:37], v[34:35], v[38:39] neg_lo:[0,0,1] neg_hi:[0,0,1]
	v_mov_b32_e32 v35, v79
	s_delay_alu instid0(VALU_DEP_1)
	v_pk_add_f32 v[34:35], v[34:35], 0 op_sel_hi:[1,0]
	s_and_saveexec_b32 s0, s15
	s_cbranch_execz .LBB160_883
; %bb.882:                              ;   in Loop: Header=BB160_3 Depth=1
	ds_load_b64 v[36:37], v43 offset:5696
	ds_load_b64 v[38:39], v5 offset:5720
	s_wait_dscnt 0x0
	v_pk_mul_f32 v[78:79], v[38:39], v[36:37] op_sel:[1,1] op_sel_hi:[0,1]
	s_delay_alu instid0(VALU_DEP_1) | instskip(SKIP_1) | instid1(VALU_DEP_2)
	v_pk_fma_f32 v[80:81], v[38:39], v[36:37], v[78:79] op_sel_hi:[1,0,1]
	v_pk_fma_f32 v[36:37], v[38:39], v[36:37], v[78:79] neg_lo:[0,0,1] neg_hi:[0,0,1]
	v_mov_b32_e32 v37, v81
	s_delay_alu instid0(VALU_DEP_1)
	v_pk_add_f32 v[34:35], v[34:35], v[36:37]
.LBB160_883:                            ;   in Loop: Header=BB160_3 Depth=1
	s_or_b32 exec_lo, exec_lo, s0
.LBB160_884:                            ;   in Loop: Header=BB160_3 Depth=1
	s_delay_alu instid0(SALU_CYCLE_1)
	s_or_b32 exec_lo, exec_lo, s1
	s_and_saveexec_b32 s0, s44
	s_cbranch_execz .LBB160_886
; %bb.885:                              ;   in Loop: Header=BB160_3 Depth=1
	ds_load_b64 v[36:37], v5 offset:4680
	s_wait_dscnt 0x0
	v_pk_mul_f32 v[38:39], v[34:35], v[36:37] op_sel:[1,1] op_sel_hi:[1,0]
	s_delay_alu instid0(VALU_DEP_1) | instskip(SKIP_1) | instid1(VALU_DEP_2)
	v_pk_fma_f32 v[78:79], v[34:35], v[36:37], v[38:39] op_sel_hi:[0,1,1]
	v_pk_fma_f32 v[34:35], v[34:35], v[36:37], v[38:39] neg_lo:[0,0,1] neg_hi:[0,0,1]
	v_mov_b32_e32 v35, v79
	s_delay_alu instid0(VALU_DEP_1)
	v_pk_add_f32 v[36:37], v[34:35], 0 neg_lo:[1,1] neg_hi:[1,1]
	ds_store_b64 v3, v[36:37]
.LBB160_886:                            ;   in Loop: Header=BB160_3 Depth=1
	s_or_b32 exec_lo, exec_lo, s0
	s_wait_loadcnt_dscnt 0x0
	s_barrier_signal -1
	s_barrier_wait -1
	s_and_saveexec_b32 s0, s45
	s_cbranch_execz .LBB160_888
; %bb.887:                              ;   in Loop: Header=BB160_3 Depth=1
	ds_load_b64 v[36:37], v5 offset:4672
	ds_load_b64 v[38:39], v3
	s_wait_dscnt 0x0
	v_pk_mul_f32 v[78:79], v[38:39], v[36:37] op_sel:[1,1] op_sel_hi:[0,1]
	s_delay_alu instid0(VALU_DEP_1) | instskip(SKIP_1) | instid1(VALU_DEP_2)
	v_pk_fma_f32 v[80:81], v[38:39], v[36:37], v[78:79] op_sel_hi:[1,0,1]
	v_pk_fma_f32 v[36:37], v[38:39], v[36:37], v[78:79] neg_lo:[0,0,1] neg_hi:[0,0,1]
	v_mov_b32_e32 v37, v81
	s_delay_alu instid0(VALU_DEP_1)
	v_pk_add_f32 v[34:35], v[34:35], v[36:37] neg_lo:[0,1] neg_hi:[0,1]
.LBB160_888:                            ;   in Loop: Header=BB160_3 Depth=1
	s_or_b32 exec_lo, exec_lo, s0
	s_barrier_signal -1
	s_barrier_wait -1
	s_and_saveexec_b32 s0, s45
	s_cbranch_execz .LBB160_890
; %bb.889:                              ;   in Loop: Header=BB160_3 Depth=1
	ds_load_b64 v[36:37], v5 offset:4160
	s_wait_dscnt 0x0
	v_pk_mul_f32 v[38:39], v[34:35], v[36:37] op_sel:[1,1] op_sel_hi:[1,0]
	s_delay_alu instid0(VALU_DEP_1) | instskip(SKIP_1) | instid1(VALU_DEP_2)
	v_pk_fma_f32 v[78:79], v[34:35], v[36:37], v[38:39] op_sel_hi:[0,1,1]
	v_pk_fma_f32 v[34:35], v[34:35], v[36:37], v[38:39] neg_lo:[0,0,1] neg_hi:[0,0,1]
	v_mov_b32_e32 v35, v79
	s_delay_alu instid0(VALU_DEP_1)
	v_pk_add_f32 v[36:37], v[34:35], 0 neg_lo:[1,1] neg_hi:[1,1]
	ds_store_b64 v3, v[36:37]
.LBB160_890:                            ;   in Loop: Header=BB160_3 Depth=1
	s_or_b32 exec_lo, exec_lo, s0
	s_wait_dscnt 0x0
	s_barrier_signal -1
	s_barrier_wait -1
	s_barrier_signal -1
	s_barrier_wait -1
	s_and_saveexec_b32 s0, s3
; %bb.891:                              ;   in Loop: Header=BB160_3 Depth=1
	ds_store_b64 v44, v[34:35] offset:5696
; %bb.892:                              ;   in Loop: Header=BB160_3 Depth=1
	s_or_b32 exec_lo, exec_lo, s0
	s_wait_dscnt 0x0
	s_barrier_signal -1
	s_barrier_wait -1
	s_barrier_signal -1
	s_barrier_wait -1
	s_and_saveexec_b32 s0, s14
	s_cbranch_execz .LBB160_894
; %bb.893:                              ;   in Loop: Header=BB160_3 Depth=1
	v_add_nc_u32_e64 v34, 64, 0
	ds_load_b64 v[38:39], v5 offset:4680
	ds_load_2addr_stride64_b64 v[34:37], v34 offset0:8 offset1:9
	s_wait_dscnt 0x0
	v_dual_mul_f32 v77, v39, v35 :: v_dual_mul_f32 v78, v38, v35
	s_delay_alu instid0(VALU_DEP_1) | instskip(NEXT) | instid1(VALU_DEP_1)
	v_xor_b32_e32 v80, 0x80000000, v77
	v_dual_fmac_f32 v78, v39, v34 :: v_dual_fmac_f32 v80, v38, v34
	s_delay_alu instid0(VALU_DEP_1) | instskip(NEXT) | instid1(VALU_DEP_1)
	v_pk_mul_f32 v[34:35], v[78:79], v[36:37] op_sel:[0,1] op_sel_hi:[0,0]
	v_pk_fma_f32 v[38:39], v[80:81], v[36:37], v[34:35] op_sel_hi:[0,1,1]
	v_pk_fma_f32 v[34:35], v[80:81], v[36:37], v[34:35] neg_lo:[0,0,1] neg_hi:[0,0,1]
	s_delay_alu instid0(VALU_DEP_2)
	v_mov_b32_e32 v35, v39
	ds_store_b64 v5, v[34:35] offset:4672
.LBB160_894:                            ;   in Loop: Header=BB160_3 Depth=1
	s_or_b32 exec_lo, exec_lo, s0
	v_mov_b64_e32 v[34:35], 0
	s_wait_dscnt 0x0
	s_barrier_signal -1
	s_barrier_wait -1
	global_wb scope:SCOPE_DEV
	s_wait_storecnt 0x0
	global_inv scope:SCOPE_DEV
	s_and_saveexec_b32 s1, s5
	s_cbranch_execz .LBB160_904
; %bb.895:                              ;   in Loop: Header=BB160_3 Depth=1
	ds_load_b64 v[34:35], v50 offset:4096
	ds_load_b64 v[36:37], v51 offset:7744
	s_wait_dscnt 0x0
	v_dual_mul_f32 v38, v37, v35 :: v_dual_mul_f32 v35, v36, v35
	s_delay_alu instid0(VALU_DEP_1) | instskip(NEXT) | instid1(VALU_DEP_1)
	v_dual_fma_f32 v36, v36, v34, -v38 :: v_dual_fmac_f32 v35, v37, v34
	v_dual_add_f32 v34, 0, v36 :: v_dual_add_f32 v35, 0, v35
	s_and_saveexec_b32 s0, s18
	s_cbranch_execnz .LBB160_1090
; %bb.896:                              ;   in Loop: Header=BB160_3 Depth=1
	s_or_b32 exec_lo, exec_lo, s0
	s_and_saveexec_b32 s0, s19
	s_cbranch_execnz .LBB160_1091
.LBB160_897:                            ;   in Loop: Header=BB160_3 Depth=1
	s_or_b32 exec_lo, exec_lo, s0
	s_and_saveexec_b32 s0, s20
	s_cbranch_execnz .LBB160_1092
.LBB160_898:                            ;   in Loop: Header=BB160_3 Depth=1
	s_or_b32 exec_lo, exec_lo, s0
	s_and_saveexec_b32 s0, s21
	s_cbranch_execnz .LBB160_1093
.LBB160_899:                            ;   in Loop: Header=BB160_3 Depth=1
	s_or_b32 exec_lo, exec_lo, s0
	s_and_saveexec_b32 s0, s22
	s_cbranch_execnz .LBB160_1094
.LBB160_900:                            ;   in Loop: Header=BB160_3 Depth=1
	s_or_b32 exec_lo, exec_lo, s0
	s_and_saveexec_b32 s0, s4
	s_cbranch_execnz .LBB160_1095
.LBB160_901:                            ;   in Loop: Header=BB160_3 Depth=1
	s_or_b32 exec_lo, exec_lo, s0
	s_and_saveexec_b32 s0, s17
	s_cbranch_execz .LBB160_903
.LBB160_902:                            ;   in Loop: Header=BB160_3 Depth=1
	ds_load_b64 v[36:37], v43 offset:7680
	ds_load_b64 v[38:39], v5 offset:7800
	s_wait_dscnt 0x0
	v_dual_mul_f32 v77, v39, v37 :: v_dual_mul_f32 v79, v38, v37
	s_delay_alu instid0(VALU_DEP_1) | instskip(NEXT) | instid1(VALU_DEP_1)
	v_dual_fma_f32 v78, v38, v36, -v77 :: v_dual_fmac_f32 v79, v39, v36
	v_pk_add_f32 v[34:35], v[34:35], v[78:79]
.LBB160_903:                            ;   in Loop: Header=BB160_3 Depth=1
	s_or_b32 exec_lo, exec_lo, s0
.LBB160_904:                            ;   in Loop: Header=BB160_3 Depth=1
	s_delay_alu instid0(SALU_CYCLE_1)
	s_or_b32 exec_lo, exec_lo, s1
	s_and_saveexec_b32 s0, s52
	s_cbranch_execz .LBB160_906
; %bb.905:                              ;   in Loop: Header=BB160_3 Depth=1
	ds_load_b64 v[36:37], v5 offset:3640
	s_wait_dscnt 0x0
	v_pk_mul_f32 v[38:39], v[34:35], v[36:37] op_sel:[1,1] op_sel_hi:[1,0]
	s_delay_alu instid0(VALU_DEP_1) | instskip(SKIP_1) | instid1(VALU_DEP_2)
	v_pk_fma_f32 v[78:79], v[34:35], v[36:37], v[38:39] op_sel_hi:[0,1,1]
	v_pk_fma_f32 v[34:35], v[34:35], v[36:37], v[38:39] neg_lo:[0,0,1] neg_hi:[0,0,1]
	v_mov_b32_e32 v35, v79
	s_delay_alu instid0(VALU_DEP_1)
	v_pk_add_f32 v[36:37], v[34:35], 0 neg_lo:[1,1] neg_hi:[1,1]
	ds_store_b64 v49, v[36:37]
.LBB160_906:                            ;   in Loop: Header=BB160_3 Depth=1
	s_or_b32 exec_lo, exec_lo, s0
	s_wait_loadcnt_dscnt 0x0
	s_barrier_signal -1
	s_barrier_wait -1
	s_and_saveexec_b32 s0, s53
	s_cbranch_execz .LBB160_908
; %bb.907:                              ;   in Loop: Header=BB160_3 Depth=1
	ds_load_b64 v[36:37], v50 offset:3584
	ds_load_b64 v[38:39], v49
	s_wait_dscnt 0x0
	v_pk_mul_f32 v[78:79], v[38:39], v[36:37] op_sel:[1,1] op_sel_hi:[0,1]
	s_delay_alu instid0(VALU_DEP_1) | instskip(SKIP_1) | instid1(VALU_DEP_2)
	v_pk_fma_f32 v[80:81], v[38:39], v[36:37], v[78:79] op_sel_hi:[1,0,1]
	v_pk_fma_f32 v[36:37], v[38:39], v[36:37], v[78:79] neg_lo:[0,0,1] neg_hi:[0,0,1]
	v_mov_b32_e32 v37, v81
	s_delay_alu instid0(VALU_DEP_1)
	v_pk_add_f32 v[34:35], v[34:35], v[36:37] neg_lo:[0,1] neg_hi:[0,1]
.LBB160_908:                            ;   in Loop: Header=BB160_3 Depth=1
	s_or_b32 exec_lo, exec_lo, s0
	s_barrier_signal -1
	s_barrier_wait -1
	s_and_saveexec_b32 s0, s54
	s_cbranch_execz .LBB160_910
; %bb.909:                              ;   in Loop: Header=BB160_3 Depth=1
	ds_load_b64 v[36:37], v5 offset:3120
	s_wait_dscnt 0x0
	v_pk_mul_f32 v[38:39], v[34:35], v[36:37] op_sel:[1,1] op_sel_hi:[1,0]
	s_delay_alu instid0(VALU_DEP_1) | instskip(SKIP_1) | instid1(VALU_DEP_2)
	v_pk_fma_f32 v[78:79], v[34:35], v[36:37], v[38:39] op_sel_hi:[0,1,1]
	v_pk_fma_f32 v[34:35], v[34:35], v[36:37], v[38:39] neg_lo:[0,0,1] neg_hi:[0,0,1]
	v_mov_b32_e32 v35, v79
	s_delay_alu instid0(VALU_DEP_1)
	v_pk_add_f32 v[36:37], v[34:35], 0 neg_lo:[1,1] neg_hi:[1,1]
	ds_store_b64 v49, v[36:37]
.LBB160_910:                            ;   in Loop: Header=BB160_3 Depth=1
	s_or_b32 exec_lo, exec_lo, s0
	s_wait_dscnt 0x0
	s_barrier_signal -1
	s_barrier_wait -1
	s_and_saveexec_b32 s0, s55
	s_cbranch_execz .LBB160_912
; %bb.911:                              ;   in Loop: Header=BB160_3 Depth=1
	ds_load_b64 v[36:37], v50 offset:3072
	ds_load_b64 v[38:39], v49
	s_wait_dscnt 0x0
	v_pk_mul_f32 v[78:79], v[38:39], v[36:37] op_sel:[1,1] op_sel_hi:[0,1]
	s_delay_alu instid0(VALU_DEP_1) | instskip(SKIP_1) | instid1(VALU_DEP_2)
	v_pk_fma_f32 v[80:81], v[38:39], v[36:37], v[78:79] op_sel_hi:[1,0,1]
	v_pk_fma_f32 v[36:37], v[38:39], v[36:37], v[78:79] neg_lo:[0,0,1] neg_hi:[0,0,1]
	v_mov_b32_e32 v37, v81
	s_delay_alu instid0(VALU_DEP_1)
	v_pk_add_f32 v[34:35], v[34:35], v[36:37] neg_lo:[0,1] neg_hi:[0,1]
.LBB160_912:                            ;   in Loop: Header=BB160_3 Depth=1
	s_or_b32 exec_lo, exec_lo, s0
	s_barrier_signal -1
	s_barrier_wait -1
	s_and_saveexec_b32 s0, s56
	s_cbranch_execz .LBB160_914
; %bb.913:                              ;   in Loop: Header=BB160_3 Depth=1
	ds_load_b64 v[36:37], v5 offset:2600
	s_wait_dscnt 0x0
	v_pk_mul_f32 v[38:39], v[34:35], v[36:37] op_sel:[1,1] op_sel_hi:[1,0]
	s_delay_alu instid0(VALU_DEP_1) | instskip(SKIP_1) | instid1(VALU_DEP_2)
	v_pk_fma_f32 v[78:79], v[34:35], v[36:37], v[38:39] op_sel_hi:[0,1,1]
	v_pk_fma_f32 v[34:35], v[34:35], v[36:37], v[38:39] neg_lo:[0,0,1] neg_hi:[0,0,1]
	v_mov_b32_e32 v35, v79
	s_delay_alu instid0(VALU_DEP_1)
	v_pk_add_f32 v[36:37], v[34:35], 0 neg_lo:[1,1] neg_hi:[1,1]
	ds_store_b64 v49, v[36:37]
.LBB160_914:                            ;   in Loop: Header=BB160_3 Depth=1
	s_or_b32 exec_lo, exec_lo, s0
	s_wait_dscnt 0x0
	s_barrier_signal -1
	s_barrier_wait -1
	s_and_saveexec_b32 s0, s57
	s_cbranch_execz .LBB160_916
; %bb.915:                              ;   in Loop: Header=BB160_3 Depth=1
	ds_load_b64 v[36:37], v50 offset:2560
	ds_load_b64 v[38:39], v49
	s_wait_dscnt 0x0
	v_pk_mul_f32 v[78:79], v[38:39], v[36:37] op_sel:[1,1] op_sel_hi:[0,1]
	s_delay_alu instid0(VALU_DEP_1) | instskip(SKIP_1) | instid1(VALU_DEP_2)
	v_pk_fma_f32 v[80:81], v[38:39], v[36:37], v[78:79] op_sel_hi:[1,0,1]
	v_pk_fma_f32 v[36:37], v[38:39], v[36:37], v[78:79] neg_lo:[0,0,1] neg_hi:[0,0,1]
	v_mov_b32_e32 v37, v81
	s_delay_alu instid0(VALU_DEP_1)
	v_pk_add_f32 v[34:35], v[34:35], v[36:37] neg_lo:[0,1] neg_hi:[0,1]
.LBB160_916:                            ;   in Loop: Header=BB160_3 Depth=1
	s_or_b32 exec_lo, exec_lo, s0
	s_barrier_signal -1
	s_barrier_wait -1
	s_and_saveexec_b32 s0, s58
	s_cbranch_execz .LBB160_918
; %bb.917:                              ;   in Loop: Header=BB160_3 Depth=1
	ds_load_b64 v[36:37], v5 offset:2080
	s_wait_dscnt 0x0
	v_pk_mul_f32 v[38:39], v[34:35], v[36:37]
	v_pk_mul_f32 v[34:35], v[34:35], v[36:37] op_sel:[1,0] op_sel_hi:[0,1]
	s_delay_alu instid0(VALU_DEP_1) | instskip(NEXT) | instid1(VALU_DEP_3)
	v_dual_mov_b32 v36, v38 :: v_dual_mov_b32 v37, v34
	v_mov_b32_e32 v34, v39
	s_delay_alu instid0(VALU_DEP_1) | instskip(SKIP_1) | instid1(VALU_DEP_2)
	v_pk_add_f32 v[38:39], v[36:37], v[34:35]
	v_pk_add_f32 v[34:35], v[36:37], v[34:35] neg_lo:[0,1] neg_hi:[0,1]
	v_mov_b32_e32 v35, v39
	s_delay_alu instid0(VALU_DEP_1)
	v_pk_add_f32 v[36:37], v[34:35], 0 neg_lo:[1,1] neg_hi:[1,1]
	ds_store_b64 v49, v[36:37]
.LBB160_918:                            ;   in Loop: Header=BB160_3 Depth=1
	s_or_b32 exec_lo, exec_lo, s0
	s_wait_dscnt 0x0
	s_barrier_signal -1
	s_barrier_wait -1
	s_and_saveexec_b32 s0, s59
	s_cbranch_execz .LBB160_920
; %bb.919:                              ;   in Loop: Header=BB160_3 Depth=1
	ds_load_b64 v[36:37], v50 offset:2048
	ds_load_b64 v[38:39], v49
	s_wait_dscnt 0x0
	v_dual_mul_f32 v77, v39, v37 :: v_dual_mul_f32 v37, v38, v37
	s_delay_alu instid0(VALU_DEP_1) | instskip(NEXT) | instid1(VALU_DEP_1)
	v_fmac_f32_e32 v37, v39, v36
	v_dual_fma_f32 v38, v38, v36, -v77 :: v_dual_sub_f32 v35, v35, v37
	s_delay_alu instid0(VALU_DEP_1)
	v_sub_f32_e32 v34, v34, v38
.LBB160_920:                            ;   in Loop: Header=BB160_3 Depth=1
	s_or_b32 exec_lo, exec_lo, s0
	s_barrier_signal -1
	s_barrier_wait -1
	s_and_saveexec_b32 s0, s60
	s_cbranch_execz .LBB160_922
; %bb.921:                              ;   in Loop: Header=BB160_3 Depth=1
	ds_load_b64 v[36:37], v5 offset:1560
	s_wait_dscnt 0x0
	v_dual_mul_f32 v38, v35, v36 :: v_dual_mul_f32 v78, v35, v37
	s_delay_alu instid0(VALU_DEP_1) | instskip(NEXT) | instid1(VALU_DEP_2)
	v_pk_fma_f32 v[38:39], v[34:35], v[36:37], v[38:39] op_sel:[1,0,0] op_sel_hi:[0,1,0]
	v_pk_fma_f32 v[34:35], v[34:35], v[36:37], v[78:79] op_sel_hi:[1,1,0] neg_lo:[0,0,1] neg_hi:[0,0,1]
	s_delay_alu instid0(VALU_DEP_2) | instskip(NEXT) | instid1(VALU_DEP_1)
	v_mov_b32_e32 v35, v39
	v_pk_add_f32 v[36:37], v[34:35], 0 neg_lo:[1,1] neg_hi:[1,1]
	ds_store_b64 v49, v[36:37]
.LBB160_922:                            ;   in Loop: Header=BB160_3 Depth=1
	s_or_b32 exec_lo, exec_lo, s0
	s_wait_dscnt 0x0
	s_barrier_signal -1
	s_barrier_wait -1
	s_and_saveexec_b32 s0, s61
	s_cbranch_execz .LBB160_924
; %bb.923:                              ;   in Loop: Header=BB160_3 Depth=1
	ds_load_b64 v[36:37], v50 offset:1536
	ds_load_b64 v[38:39], v49
	s_wait_dscnt 0x0
	v_pk_mul_f32 v[78:79], v[38:39], v[36:37] op_sel:[1,1] op_sel_hi:[0,1]
	s_delay_alu instid0(VALU_DEP_1) | instskip(SKIP_1) | instid1(VALU_DEP_2)
	v_pk_fma_f32 v[80:81], v[38:39], v[36:37], v[78:79] op_sel_hi:[1,0,1]
	v_pk_fma_f32 v[36:37], v[38:39], v[36:37], v[78:79] neg_lo:[0,0,1] neg_hi:[0,0,1]
	v_mov_b32_e32 v37, v81
	s_delay_alu instid0(VALU_DEP_1)
	v_pk_add_f32 v[34:35], v[34:35], v[36:37] neg_lo:[0,1] neg_hi:[0,1]
.LBB160_924:                            ;   in Loop: Header=BB160_3 Depth=1
	s_or_b32 exec_lo, exec_lo, s0
	s_barrier_signal -1
	s_barrier_wait -1
	s_and_saveexec_b32 s0, s62
	s_cbranch_execz .LBB160_926
; %bb.925:                              ;   in Loop: Header=BB160_3 Depth=1
	ds_load_b64 v[36:37], v5 offset:1040
	s_wait_dscnt 0x0
	v_pk_mul_f32 v[38:39], v[34:35], v[36:37] op_sel:[1,1] op_sel_hi:[1,0]
	s_delay_alu instid0(VALU_DEP_1) | instskip(SKIP_1) | instid1(VALU_DEP_2)
	v_pk_fma_f32 v[78:79], v[34:35], v[36:37], v[38:39] op_sel_hi:[0,1,1]
	v_pk_fma_f32 v[34:35], v[34:35], v[36:37], v[38:39] neg_lo:[0,0,1] neg_hi:[0,0,1]
	v_mov_b32_e32 v35, v79
	s_delay_alu instid0(VALU_DEP_1)
	v_pk_add_f32 v[36:37], v[34:35], 0 neg_lo:[1,1] neg_hi:[1,1]
	ds_store_b64 v49, v[36:37]
.LBB160_926:                            ;   in Loop: Header=BB160_3 Depth=1
	s_or_b32 exec_lo, exec_lo, s0
	s_wait_dscnt 0x0
	s_barrier_signal -1
	s_barrier_wait -1
	s_and_saveexec_b32 s0, s63
	s_cbranch_execz .LBB160_928
; %bb.927:                              ;   in Loop: Header=BB160_3 Depth=1
	ds_load_b64 v[36:37], v50 offset:1024
	ds_load_b64 v[38:39], v49
	s_wait_dscnt 0x0
	v_pk_mul_f32 v[78:79], v[38:39], v[36:37] op_sel:[1,1] op_sel_hi:[0,1]
	s_delay_alu instid0(VALU_DEP_1) | instskip(SKIP_1) | instid1(VALU_DEP_2)
	v_pk_fma_f32 v[80:81], v[38:39], v[36:37], v[78:79] op_sel_hi:[1,0,1]
	v_pk_fma_f32 v[36:37], v[38:39], v[36:37], v[78:79] neg_lo:[0,0,1] neg_hi:[0,0,1]
	v_mov_b32_e32 v37, v81
	s_delay_alu instid0(VALU_DEP_1)
	v_pk_add_f32 v[34:35], v[34:35], v[36:37] neg_lo:[0,1] neg_hi:[0,1]
.LBB160_928:                            ;   in Loop: Header=BB160_3 Depth=1
	s_or_b32 exec_lo, exec_lo, s0
	s_barrier_signal -1
	s_barrier_wait -1
	s_and_saveexec_b32 s0, s64
	s_cbranch_execz .LBB160_930
; %bb.929:                              ;   in Loop: Header=BB160_3 Depth=1
	ds_load_b64 v[36:37], v5 offset:520
	s_wait_dscnt 0x0
	v_pk_mul_f32 v[38:39], v[34:35], v[36:37] op_sel:[1,1] op_sel_hi:[1,0]
	s_delay_alu instid0(VALU_DEP_1) | instskip(SKIP_1) | instid1(VALU_DEP_2)
	v_pk_fma_f32 v[78:79], v[34:35], v[36:37], v[38:39] op_sel_hi:[0,1,1]
	v_pk_fma_f32 v[34:35], v[34:35], v[36:37], v[38:39] neg_lo:[0,0,1] neg_hi:[0,0,1]
	v_mov_b32_e32 v35, v79
	s_delay_alu instid0(VALU_DEP_1)
	v_pk_add_f32 v[36:37], v[34:35], 0 neg_lo:[1,1] neg_hi:[1,1]
	ds_store_b64 v49, v[36:37]
.LBB160_930:                            ;   in Loop: Header=BB160_3 Depth=1
	s_or_b32 exec_lo, exec_lo, s0
	s_wait_dscnt 0x0
	s_barrier_signal -1
	s_barrier_wait -1
	s_and_saveexec_b32 s0, s65
	s_cbranch_execz .LBB160_932
; %bb.931:                              ;   in Loop: Header=BB160_3 Depth=1
	ds_load_b64 v[36:37], v5 offset:512
	ds_load_b64 v[38:39], v49
	s_wait_dscnt 0x0
	v_pk_mul_f32 v[78:79], v[38:39], v[36:37] op_sel:[1,1] op_sel_hi:[0,1]
	s_delay_alu instid0(VALU_DEP_1) | instskip(SKIP_1) | instid1(VALU_DEP_2)
	v_pk_fma_f32 v[80:81], v[38:39], v[36:37], v[78:79] op_sel_hi:[1,0,1]
	v_pk_fma_f32 v[36:37], v[38:39], v[36:37], v[78:79] neg_lo:[0,0,1] neg_hi:[0,0,1]
	v_mov_b32_e32 v37, v81
	s_delay_alu instid0(VALU_DEP_1)
	v_pk_add_f32 v[34:35], v[34:35], v[36:37] neg_lo:[0,1] neg_hi:[0,1]
.LBB160_932:                            ;   in Loop: Header=BB160_3 Depth=1
	s_or_b32 exec_lo, exec_lo, s0
	s_barrier_signal -1
	s_barrier_wait -1
	s_and_saveexec_b32 s0, s65
	s_cbranch_execz .LBB160_934
; %bb.933:                              ;   in Loop: Header=BB160_3 Depth=1
	ds_load_b64 v[36:37], v5
	s_wait_dscnt 0x0
	v_pk_mul_f32 v[38:39], v[34:35], v[36:37] op_sel:[1,1] op_sel_hi:[1,0]
	s_delay_alu instid0(VALU_DEP_1) | instskip(SKIP_1) | instid1(VALU_DEP_2)
	v_pk_fma_f32 v[78:79], v[34:35], v[36:37], v[38:39] op_sel_hi:[0,1,1]
	v_pk_fma_f32 v[34:35], v[34:35], v[36:37], v[38:39] neg_lo:[0,0,1] neg_hi:[0,0,1]
	v_mov_b32_e32 v35, v79
	s_delay_alu instid0(VALU_DEP_1)
	v_pk_add_f32 v[36:37], v[34:35], 0 neg_lo:[1,1] neg_hi:[1,1]
	ds_store_b64 v49, v[36:37]
.LBB160_934:                            ;   in Loop: Header=BB160_3 Depth=1
	s_or_b32 exec_lo, exec_lo, s0
	s_wait_dscnt 0x0
	s_barrier_signal -1
	s_barrier_wait -1
	s_barrier_signal -1
	s_barrier_wait -1
	s_and_saveexec_b32 s0, s5
; %bb.935:                              ;   in Loop: Header=BB160_3 Depth=1
	ds_store_b64 v52, v[34:35] offset:7680
; %bb.936:                              ;   in Loop: Header=BB160_3 Depth=1
	s_or_b32 exec_lo, exec_lo, s0
	s_wait_dscnt 0x0
	s_barrier_signal -1
	s_barrier_wait -1
	s_barrier_signal -1
	s_barrier_wait -1
	s_and_saveexec_b32 s0, s14
	s_cbranch_execz .LBB160_938
; %bb.937:                              ;   in Loop: Header=BB160_3 Depth=1
	v_add_nc_u32_e64 v34, 48, 0
	ds_load_b64 v[38:39], v5 offset:3640
	ds_load_2addr_stride64_b64 v[34:37], v34 offset0:6 offset1:7
	s_wait_dscnt 0x0
	v_dual_mul_f32 v77, v39, v35 :: v_dual_mul_f32 v78, v38, v35
	s_delay_alu instid0(VALU_DEP_1) | instskip(NEXT) | instid1(VALU_DEP_1)
	v_xor_b32_e32 v80, 0x80000000, v77
	v_dual_fmac_f32 v78, v39, v34 :: v_dual_fmac_f32 v80, v38, v34
	s_delay_alu instid0(VALU_DEP_1) | instskip(NEXT) | instid1(VALU_DEP_1)
	v_pk_mul_f32 v[34:35], v[78:79], v[36:37] op_sel:[0,1] op_sel_hi:[0,0]
	v_pk_fma_f32 v[38:39], v[80:81], v[36:37], v[34:35] op_sel_hi:[0,1,1]
	v_pk_fma_f32 v[34:35], v[80:81], v[36:37], v[34:35] neg_lo:[0,0,1] neg_hi:[0,0,1]
	s_delay_alu instid0(VALU_DEP_2)
	v_mov_b32_e32 v35, v39
	ds_store_b64 v5, v[34:35] offset:3632
.LBB160_938:                            ;   in Loop: Header=BB160_3 Depth=1
	s_or_b32 exec_lo, exec_lo, s0
	v_dual_mov_b32 v34, 0 :: v_dual_mov_b32 v35, 0
	s_wait_dscnt 0x0
	s_barrier_signal -1
	s_barrier_wait -1
	global_wb scope:SCOPE_DEV
	s_wait_storecnt 0x0
	global_inv scope:SCOPE_DEV
	s_and_saveexec_b32 s1, s3
	s_cbranch_execz .LBB160_942
; %bb.939:                              ;   in Loop: Header=BB160_3 Depth=1
	ds_load_b64 v[34:35], v41 offset:3104
	ds_load_b64 v[36:37], v42 offset:3632
	s_wait_dscnt 0x0
	v_pk_mul_f32 v[38:39], v[36:37], v[34:35] op_sel:[1,1] op_sel_hi:[0,1]
	s_delay_alu instid0(VALU_DEP_1) | instskip(SKIP_1) | instid1(VALU_DEP_2)
	v_pk_fma_f32 v[78:79], v[36:37], v[34:35], v[38:39] op_sel_hi:[1,0,1]
	v_pk_fma_f32 v[34:35], v[36:37], v[34:35], v[38:39] neg_lo:[0,0,1] neg_hi:[0,0,1]
	v_mov_b32_e32 v35, v79
	s_delay_alu instid0(VALU_DEP_1)
	v_pk_add_f32 v[34:35], v[34:35], 0 op_sel_hi:[1,0]
	s_and_saveexec_b32 s0, s15
	s_cbranch_execz .LBB160_941
; %bb.940:                              ;   in Loop: Header=BB160_3 Depth=1
	ds_load_b64 v[36:37], v43 offset:3616
	ds_load_b64 v[38:39], v5 offset:3640
	s_wait_dscnt 0x0
	v_pk_mul_f32 v[78:79], v[38:39], v[36:37] op_sel:[1,1] op_sel_hi:[0,1]
	s_delay_alu instid0(VALU_DEP_1) | instskip(SKIP_1) | instid1(VALU_DEP_2)
	v_pk_fma_f32 v[80:81], v[38:39], v[36:37], v[78:79] op_sel_hi:[1,0,1]
	v_pk_fma_f32 v[36:37], v[38:39], v[36:37], v[78:79] neg_lo:[0,0,1] neg_hi:[0,0,1]
	v_mov_b32_e32 v37, v81
	s_delay_alu instid0(VALU_DEP_1)
	v_pk_add_f32 v[34:35], v[34:35], v[36:37]
.LBB160_941:                            ;   in Loop: Header=BB160_3 Depth=1
	s_or_b32 exec_lo, exec_lo, s0
.LBB160_942:                            ;   in Loop: Header=BB160_3 Depth=1
	s_delay_alu instid0(SALU_CYCLE_1)
	s_or_b32 exec_lo, exec_lo, s1
	s_and_saveexec_b32 s0, s44
	s_cbranch_execz .LBB160_944
; %bb.943:                              ;   in Loop: Header=BB160_3 Depth=1
	ds_load_b64 v[36:37], v5 offset:2600
	s_wait_dscnt 0x0
	v_pk_mul_f32 v[38:39], v[34:35], v[36:37] op_sel:[1,1] op_sel_hi:[1,0]
	s_delay_alu instid0(VALU_DEP_1) | instskip(SKIP_1) | instid1(VALU_DEP_2)
	v_pk_fma_f32 v[78:79], v[34:35], v[36:37], v[38:39] op_sel_hi:[0,1,1]
	v_pk_fma_f32 v[34:35], v[34:35], v[36:37], v[38:39] neg_lo:[0,0,1] neg_hi:[0,0,1]
	v_mov_b32_e32 v35, v79
	s_delay_alu instid0(VALU_DEP_1)
	v_pk_add_f32 v[36:37], v[34:35], 0 neg_lo:[1,1] neg_hi:[1,1]
	ds_store_b64 v3, v[36:37]
.LBB160_944:                            ;   in Loop: Header=BB160_3 Depth=1
	s_or_b32 exec_lo, exec_lo, s0
	s_wait_loadcnt_dscnt 0x0
	s_barrier_signal -1
	s_barrier_wait -1
	s_and_saveexec_b32 s0, s45
	s_cbranch_execz .LBB160_946
; %bb.945:                              ;   in Loop: Header=BB160_3 Depth=1
	ds_load_b64 v[36:37], v5 offset:2592
	ds_load_b64 v[38:39], v3
	s_wait_dscnt 0x0
	v_pk_mul_f32 v[78:79], v[38:39], v[36:37] op_sel:[1,1] op_sel_hi:[0,1]
	s_delay_alu instid0(VALU_DEP_1) | instskip(SKIP_1) | instid1(VALU_DEP_2)
	v_pk_fma_f32 v[80:81], v[38:39], v[36:37], v[78:79] op_sel_hi:[1,0,1]
	v_pk_fma_f32 v[36:37], v[38:39], v[36:37], v[78:79] neg_lo:[0,0,1] neg_hi:[0,0,1]
	v_mov_b32_e32 v37, v81
	s_delay_alu instid0(VALU_DEP_1)
	v_pk_add_f32 v[34:35], v[34:35], v[36:37] neg_lo:[0,1] neg_hi:[0,1]
.LBB160_946:                            ;   in Loop: Header=BB160_3 Depth=1
	s_or_b32 exec_lo, exec_lo, s0
	s_barrier_signal -1
	s_barrier_wait -1
	s_and_saveexec_b32 s0, s45
	s_cbranch_execz .LBB160_948
; %bb.947:                              ;   in Loop: Header=BB160_3 Depth=1
	ds_load_b64 v[36:37], v5 offset:2080
	s_wait_dscnt 0x0
	v_pk_mul_f32 v[38:39], v[34:35], v[36:37] op_sel:[1,1] op_sel_hi:[1,0]
	s_delay_alu instid0(VALU_DEP_1) | instskip(SKIP_1) | instid1(VALU_DEP_2)
	v_pk_fma_f32 v[78:79], v[34:35], v[36:37], v[38:39] op_sel_hi:[0,1,1]
	v_pk_fma_f32 v[34:35], v[34:35], v[36:37], v[38:39] neg_lo:[0,0,1] neg_hi:[0,0,1]
	v_mov_b32_e32 v35, v79
	s_delay_alu instid0(VALU_DEP_1)
	v_pk_add_f32 v[36:37], v[34:35], 0 neg_lo:[1,1] neg_hi:[1,1]
	ds_store_b64 v3, v[36:37]
.LBB160_948:                            ;   in Loop: Header=BB160_3 Depth=1
	s_or_b32 exec_lo, exec_lo, s0
	s_wait_dscnt 0x0
	s_barrier_signal -1
	s_barrier_wait -1
	s_barrier_signal -1
	s_barrier_wait -1
	s_and_saveexec_b32 s0, s3
; %bb.949:                              ;   in Loop: Header=BB160_3 Depth=1
	ds_store_b64 v44, v[34:35] offset:3616
; %bb.950:                              ;   in Loop: Header=BB160_3 Depth=1
	s_or_b32 exec_lo, exec_lo, s0
	s_wait_dscnt 0x0
	s_barrier_signal -1
	s_barrier_wait -1
	s_barrier_signal -1
	s_barrier_wait -1
	s_and_saveexec_b32 s0, s14
	s_cbranch_execz .LBB160_952
; %bb.951:                              ;   in Loop: Header=BB160_3 Depth=1
	v_add_nc_u32_e64 v34, 32, 0
	ds_load_b64 v[38:39], v5 offset:2600
	ds_load_2addr_stride64_b64 v[34:37], v34 offset0:4 offset1:5
	s_wait_dscnt 0x0
	v_dual_mul_f32 v77, v39, v35 :: v_dual_mul_f32 v78, v38, v35
	s_delay_alu instid0(VALU_DEP_1) | instskip(NEXT) | instid1(VALU_DEP_1)
	v_xor_b32_e32 v80, 0x80000000, v77
	v_dual_fmac_f32 v78, v39, v34 :: v_dual_fmac_f32 v80, v38, v34
	s_delay_alu instid0(VALU_DEP_1) | instskip(NEXT) | instid1(VALU_DEP_1)
	v_pk_mul_f32 v[34:35], v[78:79], v[36:37] op_sel:[0,1] op_sel_hi:[0,0]
	v_pk_fma_f32 v[38:39], v[80:81], v[36:37], v[34:35] op_sel_hi:[0,1,1]
	v_pk_fma_f32 v[34:35], v[80:81], v[36:37], v[34:35] neg_lo:[0,0,1] neg_hi:[0,0,1]
	s_delay_alu instid0(VALU_DEP_2)
	v_mov_b32_e32 v35, v39
	ds_store_b64 v5, v[34:35] offset:2592
.LBB160_952:                            ;   in Loop: Header=BB160_3 Depth=1
	s_or_b32 exec_lo, exec_lo, s0
	v_mov_b64_e32 v[34:35], 0
	s_wait_dscnt 0x0
	s_barrier_signal -1
	s_barrier_wait -1
	global_wb scope:SCOPE_DEV
	s_wait_storecnt 0x0
	global_inv scope:SCOPE_DEV
	s_and_saveexec_b32 s1, s4
	s_cbranch_execz .LBB160_958
; %bb.953:                              ;   in Loop: Header=BB160_3 Depth=1
	ds_load_b64 v[34:35], v46 offset:2048
	ds_load_b64 v[36:37], v47 offset:3616
	s_wait_dscnt 0x0
	v_dual_mul_f32 v38, v37, v35 :: v_dual_mul_f32 v35, v36, v35
	s_delay_alu instid0(VALU_DEP_1) | instskip(NEXT) | instid1(VALU_DEP_1)
	v_dual_fma_f32 v36, v36, v34, -v38 :: v_dual_fmac_f32 v35, v37, v34
	v_dual_add_f32 v34, 0, v36 :: v_dual_add_f32 v35, 0, v35
	s_and_saveexec_b32 s0, s16
	s_cbranch_execnz .LBB160_1096
; %bb.954:                              ;   in Loop: Header=BB160_3 Depth=1
	s_or_b32 exec_lo, exec_lo, s0
	s_and_saveexec_b32 s0, s17
	s_cbranch_execnz .LBB160_1097
.LBB160_955:                            ;   in Loop: Header=BB160_3 Depth=1
	s_or_b32 exec_lo, exec_lo, s0
	s_and_saveexec_b32 s0, s3
	s_cbranch_execz .LBB160_957
.LBB160_956:                            ;   in Loop: Header=BB160_3 Depth=1
	ds_load_b64 v[36:37], v43 offset:3584
	ds_load_b64 v[38:39], v5 offset:3640
	s_wait_dscnt 0x0
	v_dual_mul_f32 v77, v39, v37 :: v_dual_mul_f32 v37, v38, v37
	s_delay_alu instid0(VALU_DEP_1) | instskip(NEXT) | instid1(VALU_DEP_1)
	v_fmac_f32_e32 v37, v39, v36
	v_dual_fma_f32 v38, v38, v36, -v77 :: v_dual_add_f32 v35, v35, v37
	s_delay_alu instid0(VALU_DEP_1)
	v_add_f32_e32 v34, v34, v38
.LBB160_957:                            ;   in Loop: Header=BB160_3 Depth=1
	s_or_b32 exec_lo, exec_lo, s0
.LBB160_958:                            ;   in Loop: Header=BB160_3 Depth=1
	s_delay_alu instid0(SALU_CYCLE_1)
	s_or_b32 exec_lo, exec_lo, s1
	s_and_saveexec_b32 s0, s46
	s_cbranch_execz .LBB160_960
; %bb.959:                              ;   in Loop: Header=BB160_3 Depth=1
	ds_load_b64 v[36:37], v5 offset:1560
	s_wait_dscnt 0x0
	v_dual_mul_f32 v38, v35, v36 :: v_dual_mul_f32 v78, v35, v37
	s_delay_alu instid0(VALU_DEP_1) | instskip(NEXT) | instid1(VALU_DEP_2)
	v_pk_fma_f32 v[38:39], v[34:35], v[36:37], v[38:39] op_sel:[1,0,0] op_sel_hi:[0,1,0]
	v_pk_fma_f32 v[34:35], v[34:35], v[36:37], v[78:79] op_sel_hi:[1,1,0] neg_lo:[0,0,1] neg_hi:[0,0,1]
	s_delay_alu instid0(VALU_DEP_2) | instskip(NEXT) | instid1(VALU_DEP_1)
	v_mov_b32_e32 v35, v39
	v_pk_add_f32 v[36:37], v[34:35], 0 neg_lo:[1,1] neg_hi:[1,1]
	ds_store_b64 v45, v[36:37]
.LBB160_960:                            ;   in Loop: Header=BB160_3 Depth=1
	s_or_b32 exec_lo, exec_lo, s0
	s_wait_loadcnt_dscnt 0x0
	s_barrier_signal -1
	s_barrier_wait -1
	s_and_saveexec_b32 s0, s47
	s_cbranch_execz .LBB160_962
; %bb.961:                              ;   in Loop: Header=BB160_3 Depth=1
	ds_load_b64 v[36:37], v46 offset:1536
	ds_load_b64 v[38:39], v45
	s_wait_dscnt 0x0
	v_pk_mul_f32 v[78:79], v[38:39], v[36:37] op_sel:[1,1] op_sel_hi:[0,1]
	s_delay_alu instid0(VALU_DEP_1) | instskip(SKIP_1) | instid1(VALU_DEP_2)
	v_pk_fma_f32 v[80:81], v[38:39], v[36:37], v[78:79] op_sel_hi:[1,0,1]
	v_pk_fma_f32 v[36:37], v[38:39], v[36:37], v[78:79] neg_lo:[0,0,1] neg_hi:[0,0,1]
	v_mov_b32_e32 v37, v81
	s_delay_alu instid0(VALU_DEP_1)
	v_pk_add_f32 v[34:35], v[34:35], v[36:37] neg_lo:[0,1] neg_hi:[0,1]
.LBB160_962:                            ;   in Loop: Header=BB160_3 Depth=1
	s_or_b32 exec_lo, exec_lo, s0
	s_barrier_signal -1
	s_barrier_wait -1
	s_and_saveexec_b32 s0, s48
	s_cbranch_execz .LBB160_964
; %bb.963:                              ;   in Loop: Header=BB160_3 Depth=1
	ds_load_b64 v[36:37], v5 offset:1040
	s_wait_dscnt 0x0
	v_pk_mul_f32 v[38:39], v[34:35], v[36:37] op_sel:[1,1] op_sel_hi:[1,0]
	s_delay_alu instid0(VALU_DEP_1) | instskip(SKIP_1) | instid1(VALU_DEP_2)
	v_pk_fma_f32 v[78:79], v[34:35], v[36:37], v[38:39] op_sel_hi:[0,1,1]
	v_pk_fma_f32 v[34:35], v[34:35], v[36:37], v[38:39] neg_lo:[0,0,1] neg_hi:[0,0,1]
	v_mov_b32_e32 v35, v79
	s_delay_alu instid0(VALU_DEP_1)
	v_pk_add_f32 v[36:37], v[34:35], 0 neg_lo:[1,1] neg_hi:[1,1]
	ds_store_b64 v45, v[36:37]
.LBB160_964:                            ;   in Loop: Header=BB160_3 Depth=1
	s_or_b32 exec_lo, exec_lo, s0
	s_wait_dscnt 0x0
	s_barrier_signal -1
	s_barrier_wait -1
	s_and_saveexec_b32 s0, s49
	s_cbranch_execz .LBB160_966
; %bb.965:                              ;   in Loop: Header=BB160_3 Depth=1
	ds_load_b64 v[36:37], v46 offset:1024
	ds_load_b64 v[38:39], v45
	s_wait_dscnt 0x0
	v_pk_mul_f32 v[78:79], v[38:39], v[36:37] op_sel:[1,1] op_sel_hi:[0,1]
	s_delay_alu instid0(VALU_DEP_1) | instskip(SKIP_1) | instid1(VALU_DEP_2)
	v_pk_fma_f32 v[80:81], v[38:39], v[36:37], v[78:79] op_sel_hi:[1,0,1]
	v_pk_fma_f32 v[36:37], v[38:39], v[36:37], v[78:79] neg_lo:[0,0,1] neg_hi:[0,0,1]
	v_mov_b32_e32 v37, v81
	s_delay_alu instid0(VALU_DEP_1)
	v_pk_add_f32 v[34:35], v[34:35], v[36:37] neg_lo:[0,1] neg_hi:[0,1]
.LBB160_966:                            ;   in Loop: Header=BB160_3 Depth=1
	s_or_b32 exec_lo, exec_lo, s0
	s_barrier_signal -1
	s_barrier_wait -1
	s_and_saveexec_b32 s0, s50
	s_cbranch_execz .LBB160_968
; %bb.967:                              ;   in Loop: Header=BB160_3 Depth=1
	ds_load_b64 v[36:37], v5 offset:520
	s_wait_dscnt 0x0
	v_pk_mul_f32 v[38:39], v[34:35], v[36:37] op_sel:[1,1] op_sel_hi:[1,0]
	s_delay_alu instid0(VALU_DEP_1) | instskip(SKIP_1) | instid1(VALU_DEP_2)
	v_pk_fma_f32 v[78:79], v[34:35], v[36:37], v[38:39] op_sel_hi:[0,1,1]
	v_pk_fma_f32 v[34:35], v[34:35], v[36:37], v[38:39] neg_lo:[0,0,1] neg_hi:[0,0,1]
	v_mov_b32_e32 v35, v79
	s_delay_alu instid0(VALU_DEP_1)
	v_pk_add_f32 v[36:37], v[34:35], 0 neg_lo:[1,1] neg_hi:[1,1]
	ds_store_b64 v45, v[36:37]
.LBB160_968:                            ;   in Loop: Header=BB160_3 Depth=1
	s_or_b32 exec_lo, exec_lo, s0
	s_wait_dscnt 0x0
	s_barrier_signal -1
	s_barrier_wait -1
	s_and_saveexec_b32 s0, s51
	s_cbranch_execz .LBB160_970
; %bb.969:                              ;   in Loop: Header=BB160_3 Depth=1
	ds_load_b64 v[36:37], v5 offset:512
	ds_load_b64 v[38:39], v45
	s_wait_dscnt 0x0
	v_pk_mul_f32 v[78:79], v[38:39], v[36:37] op_sel:[1,1] op_sel_hi:[0,1]
	s_delay_alu instid0(VALU_DEP_1) | instskip(SKIP_1) | instid1(VALU_DEP_2)
	v_pk_fma_f32 v[80:81], v[38:39], v[36:37], v[78:79] op_sel_hi:[1,0,1]
	v_pk_fma_f32 v[36:37], v[38:39], v[36:37], v[78:79] neg_lo:[0,0,1] neg_hi:[0,0,1]
	v_mov_b32_e32 v37, v81
	s_delay_alu instid0(VALU_DEP_1)
	v_pk_add_f32 v[34:35], v[34:35], v[36:37] neg_lo:[0,1] neg_hi:[0,1]
.LBB160_970:                            ;   in Loop: Header=BB160_3 Depth=1
	s_or_b32 exec_lo, exec_lo, s0
	s_barrier_signal -1
	s_barrier_wait -1
	s_and_saveexec_b32 s0, s51
	s_cbranch_execz .LBB160_972
; %bb.971:                              ;   in Loop: Header=BB160_3 Depth=1
	ds_load_b64 v[36:37], v5
	s_wait_dscnt 0x0
	v_pk_mul_f32 v[38:39], v[34:35], v[36:37] op_sel:[1,1] op_sel_hi:[1,0]
	s_delay_alu instid0(VALU_DEP_1) | instskip(SKIP_1) | instid1(VALU_DEP_2)
	v_pk_fma_f32 v[78:79], v[34:35], v[36:37], v[38:39] op_sel_hi:[0,1,1]
	v_pk_fma_f32 v[34:35], v[34:35], v[36:37], v[38:39] neg_lo:[0,0,1] neg_hi:[0,0,1]
	v_mov_b32_e32 v35, v79
	s_delay_alu instid0(VALU_DEP_1)
	v_pk_add_f32 v[36:37], v[34:35], 0 neg_lo:[1,1] neg_hi:[1,1]
	ds_store_b64 v45, v[36:37]
.LBB160_972:                            ;   in Loop: Header=BB160_3 Depth=1
	s_or_b32 exec_lo, exec_lo, s0
	s_wait_dscnt 0x0
	s_barrier_signal -1
	s_barrier_wait -1
	s_barrier_signal -1
	s_barrier_wait -1
	s_and_saveexec_b32 s0, s4
; %bb.973:                              ;   in Loop: Header=BB160_3 Depth=1
	ds_store_b64 v48, v[34:35] offset:3584
; %bb.974:                              ;   in Loop: Header=BB160_3 Depth=1
	s_or_b32 exec_lo, exec_lo, s0
	s_wait_dscnt 0x0
	s_barrier_signal -1
	s_barrier_wait -1
	s_barrier_signal -1
	s_barrier_wait -1
	s_and_saveexec_b32 s0, s14
	s_cbranch_execz .LBB160_976
; %bb.975:                              ;   in Loop: Header=BB160_3 Depth=1
	ds_load_2addr_b64 v[34:37], v5 offset0:130 offset1:194
	ds_load_b64 v[38:39], v5 offset:1560
	s_wait_dscnt 0x0
	v_dual_mul_f32 v77, v39, v35 :: v_dual_mul_f32 v78, v38, v35
	s_delay_alu instid0(VALU_DEP_1) | instskip(NEXT) | instid1(VALU_DEP_1)
	v_xor_b32_e32 v80, 0x80000000, v77
	v_dual_fmac_f32 v78, v39, v34 :: v_dual_fmac_f32 v80, v38, v34
	s_delay_alu instid0(VALU_DEP_1) | instskip(NEXT) | instid1(VALU_DEP_1)
	v_pk_mul_f32 v[34:35], v[78:79], v[36:37] op_sel:[0,1] op_sel_hi:[0,0]
	v_pk_fma_f32 v[38:39], v[80:81], v[36:37], v[34:35] op_sel_hi:[0,1,1]
	v_pk_fma_f32 v[34:35], v[80:81], v[36:37], v[34:35] neg_lo:[0,0,1] neg_hi:[0,0,1]
	s_delay_alu instid0(VALU_DEP_2)
	v_mov_b32_e32 v35, v39
	ds_store_b64 v5, v[34:35] offset:1552
.LBB160_976:                            ;   in Loop: Header=BB160_3 Depth=1
	s_or_b32 exec_lo, exec_lo, s0
	v_dual_mov_b32 v34, 0 :: v_dual_mov_b32 v35, 0
	s_wait_dscnt 0x0
	s_barrier_signal -1
	s_barrier_wait -1
	global_wb scope:SCOPE_DEV
	s_wait_storecnt 0x0
	global_inv scope:SCOPE_DEV
	s_and_saveexec_b32 s1, s3
	s_cbranch_execz .LBB160_980
; %bb.977:                              ;   in Loop: Header=BB160_3 Depth=1
	ds_load_b64 v[34:35], v41 offset:1024
	ds_load_b64 v[36:37], v42 offset:1552
	s_wait_dscnt 0x0
	v_pk_mul_f32 v[38:39], v[36:37], v[34:35] op_sel:[1,1] op_sel_hi:[0,1]
	s_delay_alu instid0(VALU_DEP_1) | instskip(SKIP_1) | instid1(VALU_DEP_2)
	v_pk_fma_f32 v[78:79], v[36:37], v[34:35], v[38:39] op_sel_hi:[1,0,1]
	v_pk_fma_f32 v[34:35], v[36:37], v[34:35], v[38:39] neg_lo:[0,0,1] neg_hi:[0,0,1]
	v_mov_b32_e32 v35, v79
	s_delay_alu instid0(VALU_DEP_1)
	v_pk_add_f32 v[34:35], v[34:35], 0 op_sel_hi:[1,0]
	s_and_saveexec_b32 s0, s15
	s_cbranch_execz .LBB160_979
; %bb.978:                              ;   in Loop: Header=BB160_3 Depth=1
	ds_load_b64 v[36:37], v43 offset:1536
	ds_load_b64 v[38:39], v5 offset:1560
	s_wait_dscnt 0x0
	v_pk_mul_f32 v[78:79], v[38:39], v[36:37] op_sel:[1,1] op_sel_hi:[0,1]
	s_delay_alu instid0(VALU_DEP_1) | instskip(SKIP_1) | instid1(VALU_DEP_2)
	v_pk_fma_f32 v[80:81], v[38:39], v[36:37], v[78:79] op_sel_hi:[1,0,1]
	v_pk_fma_f32 v[36:37], v[38:39], v[36:37], v[78:79] neg_lo:[0,0,1] neg_hi:[0,0,1]
	v_mov_b32_e32 v37, v81
	s_delay_alu instid0(VALU_DEP_1)
	v_pk_add_f32 v[34:35], v[34:35], v[36:37]
.LBB160_979:                            ;   in Loop: Header=BB160_3 Depth=1
	s_or_b32 exec_lo, exec_lo, s0
.LBB160_980:                            ;   in Loop: Header=BB160_3 Depth=1
	s_delay_alu instid0(SALU_CYCLE_1)
	s_or_b32 exec_lo, exec_lo, s1
	s_and_saveexec_b32 s0, s44
	s_cbranch_execz .LBB160_982
; %bb.981:                              ;   in Loop: Header=BB160_3 Depth=1
	ds_load_b64 v[36:37], v5 offset:520
	s_wait_dscnt 0x0
	v_pk_mul_f32 v[38:39], v[34:35], v[36:37] op_sel:[1,1] op_sel_hi:[1,0]
	s_delay_alu instid0(VALU_DEP_1) | instskip(SKIP_1) | instid1(VALU_DEP_2)
	v_pk_fma_f32 v[78:79], v[34:35], v[36:37], v[38:39] op_sel_hi:[0,1,1]
	v_pk_fma_f32 v[34:35], v[34:35], v[36:37], v[38:39] neg_lo:[0,0,1] neg_hi:[0,0,1]
	v_mov_b32_e32 v35, v79
	s_delay_alu instid0(VALU_DEP_1)
	v_pk_add_f32 v[36:37], v[34:35], 0 neg_lo:[1,1] neg_hi:[1,1]
	ds_store_b64 v3, v[36:37]
.LBB160_982:                            ;   in Loop: Header=BB160_3 Depth=1
	s_or_b32 exec_lo, exec_lo, s0
	s_wait_loadcnt_dscnt 0x0
	s_barrier_signal -1
	s_barrier_wait -1
	s_and_saveexec_b32 s0, s45
	s_cbranch_execz .LBB160_984
; %bb.983:                              ;   in Loop: Header=BB160_3 Depth=1
	ds_load_b64 v[36:37], v5 offset:512
	ds_load_b64 v[38:39], v3
	s_wait_dscnt 0x0
	v_pk_mul_f32 v[78:79], v[38:39], v[36:37] op_sel:[1,1] op_sel_hi:[0,1]
	s_delay_alu instid0(VALU_DEP_1) | instskip(SKIP_1) | instid1(VALU_DEP_2)
	v_pk_fma_f32 v[80:81], v[38:39], v[36:37], v[78:79] op_sel_hi:[1,0,1]
	v_pk_fma_f32 v[36:37], v[38:39], v[36:37], v[78:79] neg_lo:[0,0,1] neg_hi:[0,0,1]
	v_mov_b32_e32 v37, v81
	s_delay_alu instid0(VALU_DEP_1)
	v_pk_add_f32 v[34:35], v[34:35], v[36:37] neg_lo:[0,1] neg_hi:[0,1]
.LBB160_984:                            ;   in Loop: Header=BB160_3 Depth=1
	s_or_b32 exec_lo, exec_lo, s0
	s_barrier_signal -1
	s_barrier_wait -1
	s_and_saveexec_b32 s0, s45
	s_cbranch_execz .LBB160_986
; %bb.985:                              ;   in Loop: Header=BB160_3 Depth=1
	ds_load_b64 v[36:37], v5
	s_wait_dscnt 0x0
	v_pk_mul_f32 v[38:39], v[34:35], v[36:37] op_sel:[1,1] op_sel_hi:[1,0]
	s_delay_alu instid0(VALU_DEP_1) | instskip(SKIP_1) | instid1(VALU_DEP_2)
	v_pk_fma_f32 v[78:79], v[34:35], v[36:37], v[38:39] op_sel_hi:[0,1,1]
	v_pk_fma_f32 v[34:35], v[34:35], v[36:37], v[38:39] neg_lo:[0,0,1] neg_hi:[0,0,1]
	v_mov_b32_e32 v35, v79
	s_delay_alu instid0(VALU_DEP_1)
	v_pk_add_f32 v[36:37], v[34:35], 0 neg_lo:[1,1] neg_hi:[1,1]
	ds_store_b64 v3, v[36:37]
.LBB160_986:                            ;   in Loop: Header=BB160_3 Depth=1
	s_or_b32 exec_lo, exec_lo, s0
	s_wait_dscnt 0x0
	s_barrier_signal -1
	s_barrier_wait -1
	s_barrier_signal -1
	s_barrier_wait -1
	s_and_saveexec_b32 s0, s3
; %bb.987:                              ;   in Loop: Header=BB160_3 Depth=1
	ds_store_b64 v44, v[34:35] offset:1536
; %bb.988:                              ;   in Loop: Header=BB160_3 Depth=1
	s_or_b32 exec_lo, exec_lo, s0
	s_wait_dscnt 0x0
	s_barrier_signal -1
	s_barrier_wait -1
	s_barrier_signal -1
	s_barrier_wait -1
	s_and_saveexec_b32 s0, s14
	s_cbranch_execz .LBB160_990
; %bb.989:                              ;   in Loop: Header=BB160_3 Depth=1
	ds_load_2addr_stride64_b64 v[34:37], v5 offset1:1
	ds_load_b64 v[38:39], v5 offset:520
	s_wait_dscnt 0x0
	v_dual_mul_f32 v77, v39, v35 :: v_dual_mul_f32 v78, v38, v35
	s_delay_alu instid0(VALU_DEP_1) | instskip(NEXT) | instid1(VALU_DEP_1)
	v_xor_b32_e32 v80, 0x80000000, v77
	v_dual_fmac_f32 v78, v39, v34 :: v_dual_fmac_f32 v80, v38, v34
	s_delay_alu instid0(VALU_DEP_1) | instskip(NEXT) | instid1(VALU_DEP_1)
	v_pk_mul_f32 v[34:35], v[78:79], v[36:37] op_sel:[0,1] op_sel_hi:[0,0]
	v_pk_fma_f32 v[38:39], v[80:81], v[36:37], v[34:35] op_sel_hi:[0,1,1]
	v_pk_fma_f32 v[34:35], v[80:81], v[36:37], v[34:35] neg_lo:[0,0,1] neg_hi:[0,0,1]
	s_delay_alu instid0(VALU_DEP_2)
	v_mov_b32_e32 v35, v39
	ds_store_b64 v5, v[34:35] offset:512
.LBB160_990:                            ;   in Loop: Header=BB160_3 Depth=1
	s_or_b32 exec_lo, exec_lo, s0
.LBB160_991:                            ;   in Loop: Header=BB160_3 Depth=1
	v_add_nc_u64_e32 v[32:33], s[78:79], v[32:33]
	v_mov_b64_e32 v[34:35], 0
	s_wait_dscnt 0x0
	s_barrier_signal -1
	s_barrier_wait -1
	s_and_saveexec_b32 s0, s23
	s_cbranch_execz .LBB160_993
; %bb.992:                              ;   in Loop: Header=BB160_3 Depth=1
	v_lshl_add_u64 v[34:35], v[24:25], 3, v[32:33]
	v_readlane_b32 s100, v88, 28
	v_readlane_b32 s101, v88, 29
	flat_load_b64 v[34:35], v[34:35]
	v_mov_b64_e32 v[36:37], s[100:101]
	v_readlane_b32 s100, v88, 30
	v_readlane_b32 s101, v88, 31
	s_delay_alu instid0(VALU_DEP_1) | instskip(SKIP_1) | instid1(VALU_DEP_4)
	v_mov_b64_e32 v[38:39], s[100:101]
	s_wait_loadcnt_dscnt 0x0
	v_pk_mul_f32 v[36:37], v[36:37], v[34:35]
	s_delay_alu instid0(VALU_DEP_1)
	v_pk_fma_f32 v[34:35], v[38:39], v[34:35], v[36:37] op_sel:[0,0,1] op_sel_hi:[1,1,0] neg_lo:[1,0,0] neg_hi:[1,0,0]
.LBB160_993:                            ;   in Loop: Header=BB160_3 Depth=1
	s_or_b32 exec_lo, exec_lo, s0
	s_delay_alu instid0(SALU_CYCLE_1)
	s_and_not1_b32 vcc_lo, exec_lo, s25
	s_cbranch_vccnz .LBB160_1012
; %bb.994:                              ;   in Loop: Header=BB160_3 Depth=1
	v_lshl_add_u64 v[30:31], v[6:7], 3, v[30:31]
	v_mov_b32_e32 v77, -1
	s_lshl_b64 s[0:1], s[80:81], 2
	s_delay_alu instid0(SALU_CYCLE_1)
	s_add_nc_u64 s[100:101], s[90:91], s[0:1]
	s_mov_b32 s1, 0
	s_branch .LBB160_996
.LBB160_995:                            ;   in Loop: Header=BB160_996 Depth=2
	s_or_b32 exec_lo, exec_lo, s0
	s_add_co_i32 s1, s1, 1
	s_delay_alu instid0(SALU_CYCLE_1)
	s_cmp_eq_u32 s1, s102
	s_cbranch_scc1 .LBB160_1012
.LBB160_996:                            ;   Parent Loop BB160_3 Depth=1
                                        ; =>  This Loop Header: Depth=2
                                        ;       Child Loop BB160_998 Depth 3
	v_cmp_gt_i32_e32 vcc_lo, s1, v77
	s_and_b32 s11, s36, vcc_lo
	s_delay_alu instid0(SALU_CYCLE_1)
	s_and_saveexec_b32 s0, s11
	s_cbranch_execz .LBB160_999
; %bb.997:                              ;   in Loop: Header=BB160_996 Depth=2
	global_load_b32 v77, v5, s[100:101]
	s_wait_loadcnt 0x0
	v_cmp_le_i32_e32 vcc_lo, s1, v77
	s_cbranch_vccnz .LBB160_999
.LBB160_998:                            ;   Parent Loop BB160_3 Depth=1
                                        ;     Parent Loop BB160_996 Depth=2
                                        ; =>    This Inner Loop Header: Depth=3
	global_wb scope:SCOPE_DEV
	s_wait_storecnt 0x0
	global_inv scope:SCOPE_DEV
	global_load_b32 v77, v5, s[100:101]
	s_wait_loadcnt 0x0
	v_cmp_gt_i32_e32 vcc_lo, s1, v77
	s_cbranch_vccnz .LBB160_998
.LBB160_999:                            ;   in Loop: Header=BB160_996 Depth=2
	s_or_b32 exec_lo, exec_lo, s0
	s_sub_co_i32 s11, s103, s1
	global_wb scope:SCOPE_DEV
	s_wait_storecnt 0x0
	global_inv scope:SCOPE_DEV
	s_lshl_b32 s70, s11, 6
	s_wait_loadcnt 0x0
	s_barrier_signal -1
	s_barrier_wait -1
	s_and_saveexec_b32 s0, s37
	s_cbranch_execz .LBB160_1004
; %bb.1000:                             ;   in Loop: Header=BB160_996 Depth=2
	s_ashr_i32 vcc_lo, s70, 31
	s_delay_alu instid0(SALU_CYCLE_1) | instskip(NEXT) | instid1(VALU_DEP_1)
	v_dual_mov_b32 v37, vcc_lo :: v_dual_bitop2_b32 v36, s70, v4 bitop3:0x54
	v_cmp_le_i64_e32 vcc_lo, s[82:83], v[36:37]
	s_and_saveexec_b32 s8, vcc_lo
	s_delay_alu instid0(SALU_CYCLE_1)
	s_xor_b32 vcc_lo, exec_lo, s8
; %bb.1001:                             ;   in Loop: Header=BB160_996 Depth=2
	ds_store_b64 v68, v[28:29]
                                        ; implicit-def: $vgpr36_vgpr37
; %bb.1002:                             ;   in Loop: Header=BB160_996 Depth=2
	s_and_not1_saveexec_b32 s8, vcc_lo
	s_cbranch_execz .LBB160_1004
; %bb.1003:                             ;   in Loop: Header=BB160_996 Depth=2
	v_mul_u64_e32 v[36:37], s[88:89], v[36:37]
	s_delay_alu instid0(VALU_DEP_1)
	v_lshl_add_u64 v[36:37], v[36:37], 3, v[32:33]
	flat_load_b64 v[36:37], v[36:37]
	s_wait_loadcnt_dscnt 0x0
	ds_store_b64 v68, v[36:37]
.LBB160_1004:                           ;   in Loop: Header=BB160_996 Depth=2
	s_or_b32 exec_lo, exec_lo, s0
	v_add_nc_u32_e32 v36, s70, v40
	s_cmp_eq_u32 s11, s12
	s_wait_dscnt 0x0
	s_cselect_b32 vcc_lo, -1, 0
	s_barrier_signal -1
	v_ashrrev_i32_e32 v37, 31, v36
	v_cmp_gt_i32_e64 s70, s82, v36
	s_barrier_wait -1
	s_delay_alu instid0(VALU_DEP_2) | instskip(SKIP_1) | instid1(VALU_DEP_1)
	v_mul_u64_e32 v[38:39], s[84:85], v[36:37]
	s_and_b32 s8, s2, s70
	v_lshl_add_u64 v[38:39], v[38:39], 3, v[30:31]
	s_and_saveexec_b32 s0, s8
	s_cbranch_execz .LBB160_1006
; %bb.1005:                             ;   in Loop: Header=BB160_996 Depth=2
	s_delay_alu instid0(VALU_DEP_1) | instskip(SKIP_4) | instid1(VALU_DEP_1)
	v_dual_cndmask_b32 v79, v39, v19 :: v_dual_cndmask_b32 v78, v38, v18
	ds_load_b64 v[80:81], v67
	flat_load_b64 v[78:79], v[78:79]
	s_wait_loadcnt_dscnt 0x0
	v_dual_mul_f32 v37, v81, v79 :: v_dual_mul_f32 v79, v80, v79
	v_dual_fma_f32 v37, v80, v78, -v37 :: v_dual_fmac_f32 v79, v81, v78
	s_delay_alu instid0(VALU_DEP_1)
	v_dual_add_f32 v34, v34, v37 :: v_dual_add_f32 v35, v35, v79
.LBB160_1006:                           ;   in Loop: Header=BB160_996 Depth=2
	s_or_b32 exec_lo, exec_lo, s0
	v_add_nc_u32_e32 v37, 16, v36
	s_delay_alu instid0(VALU_DEP_1) | instskip(SKIP_1) | instid1(SALU_CYCLE_1)
	v_cmp_gt_i32_e64 s70, s82, v37
	s_and_b32 s8, s2, s70
	s_and_saveexec_b32 s0, s8
	s_cbranch_execz .LBB160_1008
; %bb.1007:                             ;   in Loop: Header=BB160_996 Depth=2
	v_add_nc_u64_e32 v[78:79], s[94:95], v[38:39]
	ds_load_b64 v[80:81], v67 offset:128
	v_dual_cndmask_b32 v79, v79, v21 :: v_dual_cndmask_b32 v78, v78, v20
	flat_load_b64 v[78:79], v[78:79]
	s_wait_loadcnt_dscnt 0x0
	v_dual_mul_f32 v37, v81, v79 :: v_dual_mul_f32 v79, v80, v79
	s_delay_alu instid0(VALU_DEP_1) | instskip(NEXT) | instid1(VALU_DEP_1)
	v_dual_fma_f32 v37, v80, v78, -v37 :: v_dual_fmac_f32 v79, v81, v78
	v_dual_add_f32 v34, v34, v37 :: v_dual_add_f32 v35, v35, v79
.LBB160_1008:                           ;   in Loop: Header=BB160_996 Depth=2
	s_or_b32 exec_lo, exec_lo, s0
	v_add_nc_u32_e32 v37, 32, v36
	s_delay_alu instid0(VALU_DEP_1) | instskip(SKIP_1) | instid1(SALU_CYCLE_1)
	v_cmp_gt_i32_e64 s70, s82, v37
	s_and_b32 s8, s2, s70
	s_and_saveexec_b32 s0, s8
	s_cbranch_execz .LBB160_1010
; %bb.1009:                             ;   in Loop: Header=BB160_996 Depth=2
	v_add_nc_u64_e32 v[78:79], s[96:97], v[38:39]
	ds_load_b64 v[80:81], v67 offset:256
	v_dual_cndmask_b32 v79, v79, v23 :: v_dual_cndmask_b32 v78, v78, v22
	flat_load_b64 v[78:79], v[78:79]
	s_wait_loadcnt_dscnt 0x0
	v_dual_mul_f32 v37, v81, v79 :: v_dual_mul_f32 v83, v80, v79
	s_delay_alu instid0(VALU_DEP_1) | instskip(NEXT) | instid1(VALU_DEP_1)
	v_dual_fma_f32 v82, v80, v78, -v37 :: v_dual_fmac_f32 v83, v81, v78
	v_pk_add_f32 v[34:35], v[34:35], v[82:83]
.LBB160_1010:                           ;   in Loop: Header=BB160_996 Depth=2
	s_or_b32 exec_lo, exec_lo, s0
	v_add_nc_u32_e32 v36, 48, v36
	s_delay_alu instid0(VALU_DEP_1) | instskip(SKIP_1) | instid1(SALU_CYCLE_1)
	v_cmp_gt_i32_e64 s70, s82, v36
	s_and_b32 s8, s2, s70
	s_and_saveexec_b32 s0, s8
	s_cbranch_execz .LBB160_995
; %bb.1011:                             ;   in Loop: Header=BB160_996 Depth=2
	v_add_nc_u64_e32 v[36:37], s[98:99], v[38:39]
	ds_load_b64 v[38:39], v67 offset:384
	v_dual_cndmask_b32 v37, v37, v27 :: v_dual_cndmask_b32 v36, v36, v26
	flat_load_b64 v[36:37], v[36:37]
	s_wait_loadcnt_dscnt 0x0
	v_pk_mul_f32 v[78:79], v[38:39], v[36:37] op_sel:[1,1] op_sel_hi:[0,1]
	s_delay_alu instid0(VALU_DEP_1) | instskip(SKIP_1) | instid1(VALU_DEP_2)
	v_pk_fma_f32 v[80:81], v[38:39], v[36:37], v[78:79] op_sel_hi:[1,0,1]
	v_pk_fma_f32 v[36:37], v[38:39], v[36:37], v[78:79] neg_lo:[0,0,1] neg_hi:[0,0,1]
	v_mov_b32_e32 v37, v81
	s_delay_alu instid0(VALU_DEP_1)
	v_pk_add_f32 v[34:35], v[34:35], v[36:37]
	s_branch .LBB160_995
.LBB160_1012:                           ;   in Loop: Header=BB160_3 Depth=1
	ds_store_b64 v69, v[34:35]
	s_wait_dscnt 0x0
	s_barrier_signal -1
	s_barrier_wait -1
	s_and_saveexec_b32 s1, s7
	s_cbranch_execz .LBB160_1014
; %bb.1013:                             ;   in Loop: Header=BB160_3 Depth=1
	ds_load_2addr_stride64_b64 v[36:39], v70 offset0:1 offset1:2
	ds_load_2addr_stride64_b64 v[78:81], v70 offset0:3 offset1:4
	;; [unrolled: 1-line block ×3, first 2 shown]
	s_wait_dscnt 0x2
	v_pk_add_f32 v[30:31], v[34:35], v[36:37]
	ds_load_2addr_stride64_b64 v[34:37], v70 offset0:7 offset1:8
	v_pk_add_f32 v[30:31], v[30:31], v[38:39]
	ds_load_b64 v[38:39], v70 offset:7680
	s_wait_dscnt 0x3
	v_pk_add_f32 v[30:31], v[30:31], v[78:79]
	s_delay_alu instid0(VALU_DEP_1) | instskip(SKIP_3) | instid1(VALU_DEP_1)
	v_pk_add_f32 v[30:31], v[30:31], v[80:81]
	ds_load_2addr_stride64_b64 v[78:81], v70 offset0:9 offset1:10
	s_wait_dscnt 0x3
	v_pk_add_f32 v[30:31], v[30:31], v[82:83]
	v_pk_add_f32 v[30:31], v[30:31], v[84:85]
	ds_load_2addr_stride64_b64 v[82:85], v70 offset0:11 offset1:12
	s_wait_dscnt 0x3
	v_pk_add_f32 v[30:31], v[30:31], v[34:35]
	s_delay_alu instid0(VALU_DEP_1) | instskip(SKIP_3) | instid1(VALU_DEP_1)
	v_pk_add_f32 v[30:31], v[30:31], v[36:37]
	ds_load_2addr_stride64_b64 v[34:37], v70 offset0:13 offset1:14
	s_wait_dscnt 0x2
	v_pk_add_f32 v[30:31], v[30:31], v[78:79]
	v_pk_add_f32 v[30:31], v[30:31], v[80:81]
	s_wait_dscnt 0x1
	s_delay_alu instid0(VALU_DEP_1) | instskip(NEXT) | instid1(VALU_DEP_1)
	v_pk_add_f32 v[30:31], v[30:31], v[82:83]
	v_pk_add_f32 v[30:31], v[30:31], v[84:85]
	s_wait_dscnt 0x0
	s_delay_alu instid0(VALU_DEP_1) | instskip(NEXT) | instid1(VALU_DEP_1)
	v_pk_add_f32 v[30:31], v[30:31], v[34:35]
	v_pk_add_f32 v[30:31], v[30:31], v[36:37]
	s_delay_alu instid0(VALU_DEP_1) | instskip(NEXT) | instid1(VALU_DEP_1)
	v_pk_add_f32 v[30:31], v[30:31], v[38:39]
	v_cndmask_b32_e64 v35, -v31, 0, s69
	s_delay_alu instid0(VALU_DEP_2)
	v_cndmask_b32_e64 v34, -v30, 0, s69
.LBB160_1014:                           ;   in Loop: Header=BB160_3 Depth=1
	s_or_b32 exec_lo, exec_lo, s1
	s_delay_alu instid0(SALU_CYCLE_1)
	s_and_not1_b32 vcc_lo, exec_lo, s43
	s_cbranch_vccnz .LBB160_1027
; %bb.1015:                             ;   in Loop: Header=BB160_3 Depth=1
	s_and_saveexec_b32 s0, s7
; %bb.1016:                             ;   in Loop: Header=BB160_3 Depth=1
	ds_store_b64 v72, v[34:35]
; %bb.1017:                             ;   in Loop: Header=BB160_3 Depth=1
	s_or_b32 exec_lo, exec_lo, s0
	v_mov_b64_e32 v[30:31], 0
	s_wait_dscnt 0x0
	s_barrier_signal -1
	s_barrier_wait -1
	s_mov_b32 s0, exec_lo
	v_readlane_b32 s1, v87, 11
	s_and_b32 s1, s0, s1
	s_delay_alu instid0(SALU_CYCLE_1)
	s_mov_b32 exec_lo, s1
	s_cbranch_execz .LBB160_1019
; %bb.1018:                             ;   in Loop: Header=BB160_3 Depth=1
	ds_load_b64 v[30:31], v71
	ds_load_b64 v[36:37], v67
	s_wait_dscnt 0x0
	v_dual_mul_f32 v38, v37, v31 :: v_dual_mul_f32 v31, v36, v31
	s_delay_alu instid0(VALU_DEP_1) | instskip(NEXT) | instid1(VALU_DEP_1)
	v_dual_fma_f32 v36, v36, v30, -v38 :: v_dual_fmac_f32 v31, v37, v30
	v_dual_add_f32 v30, 0, v36 :: v_dual_add_f32 v31, 0, v31
.LBB160_1019:                           ;   in Loop: Header=BB160_3 Depth=1
	s_or_b32 exec_lo, exec_lo, s0
	s_delay_alu instid0(SALU_CYCLE_1) | instskip(SKIP_2) | instid1(SALU_CYCLE_1)
	s_mov_b32 s0, exec_lo
	v_readlane_b32 s1, v87, 12
	s_and_b32 s1, s0, s1
	s_mov_b32 exec_lo, s1
	s_cbranch_execz .LBB160_1021
; %bb.1020:                             ;   in Loop: Header=BB160_3 Depth=1
	ds_load_b64 v[36:37], v71 offset:8192
	ds_load_b64 v[38:39], v67 offset:128
	s_wait_dscnt 0x0
	v_dual_mul_f32 v77, v39, v37 :: v_dual_mul_f32 v79, v38, v37
	s_delay_alu instid0(VALU_DEP_1) | instskip(NEXT) | instid1(VALU_DEP_1)
	v_dual_fma_f32 v78, v38, v36, -v77 :: v_dual_fmac_f32 v79, v39, v36
	v_pk_add_f32 v[30:31], v[30:31], v[78:79]
.LBB160_1021:                           ;   in Loop: Header=BB160_3 Depth=1
	s_or_b32 exec_lo, exec_lo, s0
	s_delay_alu instid0(SALU_CYCLE_1) | instskip(SKIP_2) | instid1(SALU_CYCLE_1)
	s_mov_b32 s0, exec_lo
	v_readlane_b32 s1, v87, 13
	s_and_b32 s1, s0, s1
	s_mov_b32 exec_lo, s1
	s_cbranch_execz .LBB160_1023
; %bb.1022:                             ;   in Loop: Header=BB160_3 Depth=1
	ds_load_b64 v[36:37], v71 offset:16384
	ds_load_b64 v[38:39], v67 offset:256
	s_wait_dscnt 0x0
	v_pk_mul_f32 v[78:79], v[38:39], v[36:37] op_sel:[1,1] op_sel_hi:[0,1]
	s_delay_alu instid0(VALU_DEP_1) | instskip(SKIP_1) | instid1(VALU_DEP_2)
	v_pk_fma_f32 v[80:81], v[38:39], v[36:37], v[78:79] op_sel_hi:[1,0,1]
	v_pk_fma_f32 v[36:37], v[38:39], v[36:37], v[78:79] neg_lo:[0,0,1] neg_hi:[0,0,1]
	v_mov_b32_e32 v37, v81
	s_delay_alu instid0(VALU_DEP_1)
	v_pk_add_f32 v[30:31], v[30:31], v[36:37]
.LBB160_1023:                           ;   in Loop: Header=BB160_3 Depth=1
	s_or_b32 exec_lo, exec_lo, s0
	s_delay_alu instid0(SALU_CYCLE_1) | instskip(SKIP_2) | instid1(SALU_CYCLE_1)
	s_mov_b32 s0, exec_lo
	v_readlane_b32 s1, v87, 14
	s_and_b32 s1, s0, s1
	s_mov_b32 exec_lo, s1
	s_cbranch_execz .LBB160_1025
; %bb.1024:                             ;   in Loop: Header=BB160_3 Depth=1
	ds_load_b64 v[36:37], v71 offset:24576
	ds_load_b64 v[38:39], v67 offset:384
	s_wait_dscnt 0x0
	v_pk_mul_f32 v[78:79], v[38:39], v[36:37] op_sel:[1,1] op_sel_hi:[0,1]
	s_delay_alu instid0(VALU_DEP_1) | instskip(SKIP_1) | instid1(VALU_DEP_2)
	v_pk_fma_f32 v[80:81], v[38:39], v[36:37], v[78:79] op_sel_hi:[1,0,1]
	v_pk_fma_f32 v[36:37], v[38:39], v[36:37], v[78:79] neg_lo:[0,0,1] neg_hi:[0,0,1]
	v_mov_b32_e32 v37, v81
	s_delay_alu instid0(VALU_DEP_1)
	v_pk_add_f32 v[30:31], v[30:31], v[36:37]
.LBB160_1025:                           ;   in Loop: Header=BB160_3 Depth=1
	s_or_b32 exec_lo, exec_lo, s0
	s_mov_b32 s1, 0
	s_mov_b32 s70, 0
	ds_store_b64 v69, v[30:31]
	s_wait_dscnt 0x0
	s_barrier_signal -1
	s_barrier_wait -1
                                        ; implicit-def: $vgpr36_vgpr37
	s_and_saveexec_b32 s11, s7
	s_cbranch_execz .LBB160_1044
; %bb.1026:                             ;   in Loop: Header=BB160_3 Depth=1
	ds_load_2addr_stride64_b64 v[36:39], v70 offset0:1 offset1:2
	ds_load_2addr_stride64_b64 v[78:81], v70 offset0:3 offset1:4
	;; [unrolled: 1-line block ×3, first 2 shown]
	s_mov_b32 s70, exec_lo
	s_wait_dscnt 0x2
	v_pk_add_f32 v[30:31], v[30:31], v[36:37]
	s_delay_alu instid0(VALU_DEP_1) | instskip(SKIP_3) | instid1(VALU_DEP_1)
	v_pk_add_f32 v[30:31], v[30:31], v[38:39]
	ds_load_2addr_stride64_b64 v[36:39], v70 offset0:7 offset1:8
	s_wait_dscnt 0x2
	v_pk_add_f32 v[30:31], v[30:31], v[78:79]
	v_pk_add_f32 v[30:31], v[30:31], v[80:81]
	ds_load_2addr_stride64_b64 v[78:81], v70 offset0:9 offset1:10
	s_wait_dscnt 0x2
	v_pk_add_f32 v[30:31], v[30:31], v[82:83]
	s_delay_alu instid0(VALU_DEP_1) | instskip(SKIP_3) | instid1(VALU_DEP_1)
	v_pk_add_f32 v[30:31], v[30:31], v[84:85]
	ds_load_2addr_stride64_b64 v[82:85], v70 offset0:11 offset1:12
	s_wait_dscnt 0x2
	v_pk_add_f32 v[30:31], v[30:31], v[36:37]
	v_pk_add_f32 v[30:31], v[30:31], v[38:39]
	ds_load_2addr_stride64_b64 v[36:39], v70 offset0:13 offset1:14
	s_wait_dscnt 0x2
	v_pk_add_f32 v[30:31], v[30:31], v[78:79]
	ds_load_b64 v[78:79], v70 offset:7680
	v_pk_add_f32 v[30:31], v[30:31], v[80:81]
	s_wait_dscnt 0x2
	s_delay_alu instid0(VALU_DEP_1) | instskip(NEXT) | instid1(VALU_DEP_1)
	v_pk_add_f32 v[30:31], v[30:31], v[82:83]
	v_pk_add_f32 v[30:31], v[30:31], v[84:85]
	s_wait_dscnt 0x1
	s_delay_alu instid0(VALU_DEP_1) | instskip(NEXT) | instid1(VALU_DEP_1)
	v_pk_add_f32 v[30:31], v[30:31], v[36:37]
	v_pk_add_f32 v[30:31], v[30:31], v[38:39]
	s_wait_dscnt 0x0
	s_delay_alu instid0(VALU_DEP_1) | instskip(SKIP_1) | instid1(SALU_CYCLE_1)
	v_pk_add_f32 v[36:37], v[30:31], v[78:79]
	s_or_b32 exec_lo, exec_lo, s11
	s_and_b32 vcc_lo, exec_lo, s1
	s_cbranch_vccnz .LBB160_1028
	s_branch .LBB160_1045
.LBB160_1027:                           ;   in Loop: Header=BB160_3 Depth=1
	s_mov_b32 s70, 0
                                        ; implicit-def: $vgpr36_vgpr37
	s_cbranch_execz .LBB160_1045
.LBB160_1028:                           ;   in Loop: Header=BB160_3 Depth=1
	v_mov_b32_e32 v30, v63
	s_mov_b32 s1, 63
	s_branch .LBB160_1030
.LBB160_1029:                           ;   in Loop: Header=BB160_1030 Depth=2
	s_or_b32 exec_lo, exec_lo, s0
	v_add_nc_u32_e32 v30, 0xfffffc00, v30
	s_add_co_i32 s1, s1, -2
	s_cmp_lg_u32 s100, 0
	s_barrier_signal -1
	s_barrier_wait -1
	s_cbranch_scc0 .LBB160_1038
.LBB160_1030:                           ;   Parent Loop BB160_3 Depth=1
                                        ; =>  This Inner Loop Header: Depth=2
	s_delay_alu instid0(VALU_DEP_1) | instskip(SKIP_1) | instid1(SALU_CYCLE_1)
	v_cmp_eq_u32_e32 vcc_lo, 0xffff8200, v30
	s_and_b32 s8, s7, vcc_lo
	s_and_saveexec_b32 s0, s8
	s_cbranch_execz .LBB160_1032
; %bb.1031:                             ;   in Loop: Header=BB160_1030 Depth=2
	ds_load_b64 v[36:37], v62
	s_wait_dscnt 0x0
	v_pk_mul_f32 v[38:39], v[34:35], v[36:37] op_sel:[1,1] op_sel_hi:[1,0]
	s_delay_alu instid0(VALU_DEP_1) | instskip(SKIP_1) | instid1(VALU_DEP_2)
	v_pk_fma_f32 v[78:79], v[34:35], v[36:37], v[38:39] op_sel_hi:[0,1,1]
	v_pk_fma_f32 v[36:37], v[34:35], v[36:37], v[38:39] neg_lo:[0,0,1] neg_hi:[0,0,1]
	v_mov_b32_e32 v37, v79
	s_delay_alu instid0(VALU_DEP_1)
	v_mov_b64_e32 v[34:35], v[36:37]
	ds_store_b64 v5, v[36:37] offset:41472
.LBB160_1032:                           ;   in Loop: Header=BB160_1030 Depth=2
	s_or_b32 exec_lo, exec_lo, s0
	v_cmp_gt_u32_e32 vcc_lo, s1, v2
	v_add_nc_u32_e32 v31, v66, v30
	s_wait_dscnt 0x0
	s_barrier_signal -1
	s_barrier_wait -1
	s_and_b32 s8, s7, vcc_lo
	s_delay_alu instid0(SALU_CYCLE_1)
	s_and_saveexec_b32 s0, s8
	s_cbranch_execz .LBB160_1034
; %bb.1033:                             ;   in Loop: Header=BB160_1030 Depth=2
	ds_load_b64 v[36:37], v31 offset:512
	ds_load_b64 v[38:39], v5 offset:41472
	s_wait_dscnt 0x0
	v_pk_mul_f32 v[78:79], v[38:39], v[36:37] op_sel:[1,1] op_sel_hi:[0,1]
	s_delay_alu instid0(VALU_DEP_1) | instskip(SKIP_1) | instid1(VALU_DEP_2)
	v_pk_fma_f32 v[80:81], v[38:39], v[36:37], v[78:79] op_sel_hi:[1,0,1]
	v_pk_fma_f32 v[36:37], v[38:39], v[36:37], v[78:79] neg_lo:[0,0,1] neg_hi:[0,0,1]
	v_mov_b32_e32 v37, v81
	s_delay_alu instid0(VALU_DEP_1)
	v_pk_add_f32 v[34:35], v[34:35], v[36:37]
.LBB160_1034:                           ;   in Loop: Header=BB160_1030 Depth=2
	s_or_b32 exec_lo, exec_lo, s0
	s_add_co_i32 s100, s1, -1
	s_delay_alu instid0(SALU_CYCLE_1) | instskip(SKIP_3) | instid1(SALU_CYCLE_1)
	v_cmp_eq_u32_e32 vcc_lo, s100, v2
	s_barrier_signal -1
	s_barrier_wait -1
	s_and_b32 s8, s7, vcc_lo
	s_and_saveexec_b32 s0, s8
	s_cbranch_execz .LBB160_1036
; %bb.1035:                             ;   in Loop: Header=BB160_1030 Depth=2
	ds_load_b64 v[36:37], v62
	s_wait_dscnt 0x0
	v_pk_mul_f32 v[38:39], v[34:35], v[36:37] op_sel:[1,1] op_sel_hi:[1,0]
	s_delay_alu instid0(VALU_DEP_1) | instskip(SKIP_1) | instid1(VALU_DEP_2)
	v_pk_fma_f32 v[78:79], v[34:35], v[36:37], v[38:39] op_sel_hi:[0,1,1]
	v_pk_fma_f32 v[36:37], v[34:35], v[36:37], v[38:39] neg_lo:[0,0,1] neg_hi:[0,0,1]
	v_mov_b32_e32 v37, v79
	s_delay_alu instid0(VALU_DEP_1)
	v_mov_b64_e32 v[34:35], v[36:37]
	ds_store_b64 v5, v[36:37] offset:41472
.LBB160_1036:                           ;   in Loop: Header=BB160_1030 Depth=2
	s_or_b32 exec_lo, exec_lo, s0
	v_cmp_gt_u32_e32 vcc_lo, s100, v2
	s_wait_dscnt 0x0
	s_barrier_signal -1
	s_barrier_wait -1
	s_and_b32 s8, s7, vcc_lo
	s_delay_alu instid0(SALU_CYCLE_1)
	s_and_saveexec_b32 s0, s8
	s_cbranch_execz .LBB160_1029
; %bb.1037:                             ;   in Loop: Header=BB160_1030 Depth=2
	ds_load_b64 v[36:37], v31
	ds_load_b64 v[38:39], v5 offset:41472
	s_wait_dscnt 0x0
	v_pk_mul_f32 v[78:79], v[38:39], v[36:37] op_sel:[1,1] op_sel_hi:[0,1]
	s_delay_alu instid0(VALU_DEP_1) | instskip(SKIP_1) | instid1(VALU_DEP_2)
	v_pk_fma_f32 v[80:81], v[38:39], v[36:37], v[78:79] op_sel_hi:[1,0,1]
	v_pk_fma_f32 v[36:37], v[38:39], v[36:37], v[78:79] neg_lo:[0,0,1] neg_hi:[0,0,1]
	v_mov_b32_e32 v37, v81
	s_delay_alu instid0(VALU_DEP_1)
	v_pk_add_f32 v[34:35], v[34:35], v[36:37]
	s_branch .LBB160_1029
.LBB160_1038:                           ;   in Loop: Header=BB160_3 Depth=1
	s_and_b32 vcc_lo, exec_lo, s104
	s_mov_b32 s0, -1
	s_cbranch_vccnz .LBB160_1046
; %bb.1039:                             ;   in Loop: Header=BB160_3 Depth=1
	s_and_not1_b32 vcc_lo, exec_lo, s0
	s_cbranch_vccz .LBB160_1047
.LBB160_1040:                           ;   in Loop: Header=BB160_3 Depth=1
	s_and_saveexec_b32 s0, s70
	s_cbranch_execz .LBB160_1042
.LBB160_1041:                           ;   in Loop: Header=BB160_3 Depth=1
	v_lshl_add_u64 v[30:31], v[0:1], 3, v[32:33]
	flat_store_b64 v[30:31], v[34:35]
.LBB160_1042:                           ;   in Loop: Header=BB160_3 Depth=1
	s_wait_xcnt 0x0
	s_or_b32 exec_lo, exec_lo, s0
	global_wb scope:SCOPE_DEV
	s_wait_storecnt_dscnt 0x0
	global_inv scope:SCOPE_DEV
	s_wait_loadcnt 0x0
	s_barrier_signal -1
	s_barrier_wait -1
	s_and_saveexec_b32 s0, s36
	s_cbranch_execz .LBB160_2
; %bb.1043:                             ;   in Loop: Header=BB160_3 Depth=1
	s_lshl_b64 s[100:101], s[80:81], 2
	s_delay_alu instid0(SALU_CYCLE_1)
	s_add_nc_u64 s[100:101], s[90:91], s[100:101]
	global_load_b32 v30, v5, s[100:101]
	s_wait_loadcnt 0x0
	v_add_nc_u32_e32 v30, 1, v30
	global_store_b32 v5, v30, s[100:101]
	s_branch .LBB160_2
.LBB160_1044:                           ;   in Loop: Header=BB160_3 Depth=1
	s_or_b32 exec_lo, exec_lo, s11
	s_delay_alu instid0(SALU_CYCLE_1)
	s_and_b32 vcc_lo, exec_lo, s1
	s_cbranch_vccnz .LBB160_1028
.LBB160_1045:                           ;   in Loop: Header=BB160_3 Depth=1
	v_mov_b64_e32 v[34:35], v[36:37]
	s_and_saveexec_b32 s0, s70
	s_cbranch_execnz .LBB160_1041
	s_branch .LBB160_1042
.LBB160_1046:                           ;   in Loop: Header=BB160_3 Depth=1
	s_and_not1_b32 s1, s70, exec_lo
	s_and_b32 s8, s7, exec_lo
	s_delay_alu instid0(SALU_CYCLE_1)
	s_or_b32 s70, s1, s8
	s_cbranch_execnz .LBB160_1040
.LBB160_1047:                           ;   in Loop: Header=BB160_3 Depth=1
	v_readlane_b32 s1, v88, 8
	s_and_not1_b32 s0, s70, exec_lo
	s_and_b32 s1, s1, exec_lo
	s_delay_alu instid0(SALU_CYCLE_1) | instskip(NEXT) | instid1(SALU_CYCLE_1)
	s_or_b32 s70, s0, s1
	s_and_saveexec_b32 s0, s70
	s_cbranch_execnz .LBB160_1041
	s_branch .LBB160_1042
.LBB160_1048:                           ;   in Loop: Header=BB160_3 Depth=1
	ds_load_b64 v[36:37], v46 offset:31680
	ds_load_b64 v[38:39], v47 offset:32744
	s_wait_dscnt 0x0
	v_dual_mul_f32 v77, v39, v37 :: v_dual_mul_f32 v37, v38, v37
	s_delay_alu instid0(VALU_DEP_1) | instskip(NEXT) | instid1(VALU_DEP_1)
	v_fmac_f32_e32 v37, v39, v36
	v_dual_fma_f32 v38, v38, v36, -v77 :: v_dual_add_f32 v35, v35, v37
	s_delay_alu instid0(VALU_DEP_1)
	v_add_f32_e32 v34, v34, v38
	s_or_b32 exec_lo, exec_lo, s0
	s_and_saveexec_b32 s0, s17
	s_cbranch_execz .LBB160_151
.LBB160_1049:                           ;   in Loop: Header=BB160_3 Depth=1
	ds_load_b64 v[36:37], v46 offset:32192
	ds_load_b64 v[38:39], v47 offset:32752
	s_wait_dscnt 0x0
	v_dual_mul_f32 v77, v39, v37 :: v_dual_mul_f32 v37, v38, v37
	s_delay_alu instid0(VALU_DEP_1) | instskip(NEXT) | instid1(VALU_DEP_1)
	v_fmac_f32_e32 v37, v39, v36
	v_dual_fma_f32 v38, v38, v36, -v77 :: v_dual_add_f32 v35, v35, v37
	s_delay_alu instid0(VALU_DEP_1)
	v_add_f32_e32 v34, v34, v38
	s_or_b32 exec_lo, exec_lo, s0
	s_and_saveexec_b32 s0, s3
	s_cbranch_execnz .LBB160_152
	s_branch .LBB160_153
.LBB160_1050:                           ;   in Loop: Header=BB160_3 Depth=1
	ds_load_b64 v[36:37], v50 offset:29568
	ds_load_b64 v[38:39], v51 offset:32712
	s_wait_dscnt 0x0
	v_dual_mul_f32 v77, v39, v37 :: v_dual_mul_f32 v37, v38, v37
	s_delay_alu instid0(VALU_DEP_1) | instskip(NEXT) | instid1(VALU_DEP_1)
	v_fmac_f32_e32 v37, v39, v36
	v_dual_fma_f32 v38, v38, v36, -v77 :: v_dual_add_f32 v35, v35, v37
	s_delay_alu instid0(VALU_DEP_1)
	v_add_f32_e32 v34, v34, v38
	s_or_b32 exec_lo, exec_lo, s0
	s_and_saveexec_b32 s0, s19
	s_cbranch_execz .LBB160_189
.LBB160_1051:                           ;   in Loop: Header=BB160_3 Depth=1
	ds_load_b64 v[36:37], v50 offset:30080
	ds_load_b64 v[38:39], v51 offset:32720
	s_wait_dscnt 0x0
	v_dual_mul_f32 v77, v39, v37 :: v_dual_mul_f32 v37, v38, v37
	s_delay_alu instid0(VALU_DEP_1) | instskip(NEXT) | instid1(VALU_DEP_1)
	v_fmac_f32_e32 v37, v39, v36
	v_dual_fma_f32 v38, v38, v36, -v77 :: v_dual_add_f32 v35, v35, v37
	s_delay_alu instid0(VALU_DEP_1)
	v_add_f32_e32 v34, v34, v38
	s_or_b32 exec_lo, exec_lo, s0
	s_and_saveexec_b32 s0, s20
	s_cbranch_execz .LBB160_190
.LBB160_1052:                           ;   in Loop: Header=BB160_3 Depth=1
	ds_load_b64 v[36:37], v50 offset:30592
	ds_load_b64 v[38:39], v51 offset:32728
	s_wait_dscnt 0x0
	v_dual_mul_f32 v77, v39, v37 :: v_dual_mul_f32 v37, v38, v37
	s_delay_alu instid0(VALU_DEP_1) | instskip(NEXT) | instid1(VALU_DEP_1)
	v_fmac_f32_e32 v37, v39, v36
	v_dual_fma_f32 v38, v38, v36, -v77 :: v_dual_add_f32 v35, v35, v37
	s_delay_alu instid0(VALU_DEP_1)
	v_add_f32_e32 v34, v34, v38
	s_or_b32 exec_lo, exec_lo, s0
	s_and_saveexec_b32 s0, s21
	s_cbranch_execz .LBB160_191
.LBB160_1053:                           ;   in Loop: Header=BB160_3 Depth=1
	ds_load_b64 v[36:37], v50 offset:31104
	ds_load_b64 v[38:39], v51 offset:32736
	s_wait_dscnt 0x0
	v_dual_mul_f32 v77, v39, v37 :: v_dual_mul_f32 v37, v38, v37
	s_delay_alu instid0(VALU_DEP_1) | instskip(NEXT) | instid1(VALU_DEP_1)
	v_fmac_f32_e32 v37, v39, v36
	v_dual_fma_f32 v38, v38, v36, -v77 :: v_dual_add_f32 v35, v35, v37
	s_delay_alu instid0(VALU_DEP_1)
	v_add_f32_e32 v34, v34, v38
	s_or_b32 exec_lo, exec_lo, s0
	s_and_saveexec_b32 s0, s22
	s_cbranch_execz .LBB160_192
.LBB160_1054:                           ;   in Loop: Header=BB160_3 Depth=1
	ds_load_b64 v[36:37], v50 offset:31616
	ds_load_b64 v[38:39], v51 offset:32744
	s_wait_dscnt 0x0
	v_dual_mul_f32 v77, v39, v37 :: v_dual_mul_f32 v37, v38, v37
	s_delay_alu instid0(VALU_DEP_1) | instskip(NEXT) | instid1(VALU_DEP_1)
	v_fmac_f32_e32 v37, v39, v36
	v_dual_fma_f32 v38, v38, v36, -v77 :: v_dual_add_f32 v35, v35, v37
	s_delay_alu instid0(VALU_DEP_1)
	v_add_f32_e32 v34, v34, v38
	s_or_b32 exec_lo, exec_lo, s0
	s_and_saveexec_b32 s0, s4
	s_cbranch_execz .LBB160_193
.LBB160_1055:                           ;   in Loop: Header=BB160_3 Depth=1
	ds_load_b64 v[36:37], v50 offset:32128
	ds_load_b64 v[38:39], v51 offset:32752
	s_wait_dscnt 0x0
	v_dual_mul_f32 v77, v39, v37 :: v_dual_mul_f32 v37, v38, v37
	s_delay_alu instid0(VALU_DEP_1) | instskip(NEXT) | instid1(VALU_DEP_1)
	v_fmac_f32_e32 v37, v39, v36
	v_dual_fma_f32 v38, v38, v36, -v77 :: v_dual_add_f32 v35, v35, v37
	s_delay_alu instid0(VALU_DEP_1)
	v_add_f32_e32 v34, v34, v38
	s_or_b32 exec_lo, exec_lo, s0
	s_and_saveexec_b32 s0, s17
	s_cbranch_execnz .LBB160_194
	s_branch .LBB160_195
.LBB160_1056:                           ;   in Loop: Header=BB160_3 Depth=1
	ds_load_b64 v[36:37], v46 offset:27520
	ds_load_b64 v[38:39], v47 offset:28584
	s_wait_dscnt 0x0
	v_dual_mul_f32 v77, v39, v37 :: v_dual_mul_f32 v37, v38, v37
	s_delay_alu instid0(VALU_DEP_1) | instskip(NEXT) | instid1(VALU_DEP_1)
	v_fmac_f32_e32 v37, v39, v36
	v_dual_fma_f32 v38, v38, v36, -v77 :: v_dual_add_f32 v35, v35, v37
	s_delay_alu instid0(VALU_DEP_1)
	v_add_f32_e32 v34, v34, v38
	s_or_b32 exec_lo, exec_lo, s0
	s_and_saveexec_b32 s0, s17
	s_cbranch_execz .LBB160_247
.LBB160_1057:                           ;   in Loop: Header=BB160_3 Depth=1
	ds_load_b64 v[36:37], v46 offset:28032
	ds_load_b64 v[38:39], v47 offset:28592
	s_wait_dscnt 0x0
	v_dual_mul_f32 v77, v39, v37 :: v_dual_mul_f32 v37, v38, v37
	s_delay_alu instid0(VALU_DEP_1) | instskip(NEXT) | instid1(VALU_DEP_1)
	v_fmac_f32_e32 v37, v39, v36
	v_dual_fma_f32 v38, v38, v36, -v77 :: v_dual_add_f32 v35, v35, v37
	s_delay_alu instid0(VALU_DEP_1)
	v_add_f32_e32 v34, v34, v38
	s_or_b32 exec_lo, exec_lo, s0
	s_and_saveexec_b32 s0, s3
	s_cbranch_execnz .LBB160_248
	s_branch .LBB160_249
.LBB160_1058:                           ;   in Loop: Header=BB160_3 Depth=1
	ds_load_b64 v[36:37], v54 offset:30464
	ds_load_b64 v[38:39], v55 offset:32728
	s_wait_dscnt 0x0
	v_dual_mul_f32 v77, v39, v37 :: v_dual_mul_f32 v37, v38, v37
	s_delay_alu instid0(VALU_DEP_1) | instskip(NEXT) | instid1(VALU_DEP_1)
	v_fmac_f32_e32 v37, v39, v36
	v_dual_fma_f32 v38, v38, v36, -v77 :: v_dual_add_f32 v35, v35, v37
	s_delay_alu instid0(VALU_DEP_1)
	v_add_f32_e32 v34, v34, v38
	s_or_b32 exec_lo, exec_lo, s0
	s_and_saveexec_b32 s0, s5
	s_cbranch_execz .LBB160_305
.LBB160_1059:                           ;   in Loop: Header=BB160_3 Depth=1
	ds_load_b64 v[36:37], v54 offset:30976
	ds_load_b64 v[38:39], v55 offset:32736
	s_wait_dscnt 0x0
	v_dual_mul_f32 v77, v39, v37 :: v_dual_mul_f32 v37, v38, v37
	s_delay_alu instid0(VALU_DEP_1) | instskip(NEXT) | instid1(VALU_DEP_1)
	v_fmac_f32_e32 v37, v39, v36
	v_dual_fma_f32 v38, v38, v36, -v77 :: v_dual_add_f32 v35, v35, v37
	s_delay_alu instid0(VALU_DEP_1)
	v_add_f32_e32 v34, v34, v38
	s_or_b32 exec_lo, exec_lo, s0
	s_and_saveexec_b32 s0, s19
	s_cbranch_execz .LBB160_306
.LBB160_1060:                           ;   in Loop: Header=BB160_3 Depth=1
	ds_load_b64 v[36:37], v54 offset:31488
	ds_load_b64 v[38:39], v55 offset:32744
	s_wait_dscnt 0x0
	v_dual_mul_f32 v77, v39, v37 :: v_dual_mul_f32 v37, v38, v37
	s_delay_alu instid0(VALU_DEP_1) | instskip(NEXT) | instid1(VALU_DEP_1)
	v_fmac_f32_e32 v37, v39, v36
	v_dual_fma_f32 v38, v38, v36, -v77 :: v_dual_add_f32 v35, v35, v37
	s_delay_alu instid0(VALU_DEP_1)
	v_add_f32_e32 v34, v34, v38
	s_or_b32 exec_lo, exec_lo, s0
	s_and_saveexec_b32 s0, s21
	s_cbranch_execz .LBB160_307
.LBB160_1061:                           ;   in Loop: Header=BB160_3 Depth=1
	ds_load_b64 v[36:37], v54 offset:32000
	ds_load_b64 v[38:39], v55 offset:32752
	s_wait_dscnt 0x0
	v_dual_mul_f32 v77, v39, v37 :: v_dual_mul_f32 v37, v38, v37
	s_delay_alu instid0(VALU_DEP_1) | instskip(NEXT) | instid1(VALU_DEP_1)
	v_fmac_f32_e32 v37, v39, v36
	v_dual_fma_f32 v38, v38, v36, -v77 :: v_dual_add_f32 v35, v35, v37
	s_delay_alu instid0(VALU_DEP_1)
	v_add_f32_e32 v34, v34, v38
	s_or_b32 exec_lo, exec_lo, s0
	s_and_saveexec_b32 s0, s4
	s_cbranch_execnz .LBB160_308
	s_branch .LBB160_309
.LBB160_1062:                           ;   in Loop: Header=BB160_3 Depth=1
	ds_load_b64 v[36:37], v46 offset:23360
	ds_load_b64 v[38:39], v47 offset:24424
	s_wait_dscnt 0x0
	v_dual_mul_f32 v77, v39, v37 :: v_dual_mul_f32 v37, v38, v37
	s_delay_alu instid0(VALU_DEP_1) | instskip(NEXT) | instid1(VALU_DEP_1)
	v_fmac_f32_e32 v37, v39, v36
	v_dual_fma_f32 v38, v38, v36, -v77 :: v_dual_add_f32 v35, v35, v37
	s_delay_alu instid0(VALU_DEP_1)
	v_add_f32_e32 v34, v34, v38
	s_or_b32 exec_lo, exec_lo, s0
	s_and_saveexec_b32 s0, s17
	s_cbranch_execz .LBB160_393
.LBB160_1063:                           ;   in Loop: Header=BB160_3 Depth=1
	ds_load_b64 v[36:37], v46 offset:23872
	ds_load_b64 v[38:39], v47 offset:24432
	s_wait_dscnt 0x0
	v_dual_mul_f32 v77, v39, v37 :: v_dual_mul_f32 v37, v38, v37
	s_delay_alu instid0(VALU_DEP_1) | instskip(NEXT) | instid1(VALU_DEP_1)
	v_fmac_f32_e32 v37, v39, v36
	v_dual_fma_f32 v38, v38, v36, -v77 :: v_dual_add_f32 v35, v35, v37
	s_delay_alu instid0(VALU_DEP_1)
	v_add_f32_e32 v34, v34, v38
	s_or_b32 exec_lo, exec_lo, s0
	s_and_saveexec_b32 s0, s3
	s_cbranch_execnz .LBB160_394
	s_branch .LBB160_395
.LBB160_1064:                           ;   in Loop: Header=BB160_3 Depth=1
	ds_load_b64 v[36:37], v50 offset:21248
	ds_load_b64 v[38:39], v51 offset:24392
	s_wait_dscnt 0x0
	v_dual_mul_f32 v77, v39, v37 :: v_dual_mul_f32 v37, v38, v37
	s_delay_alu instid0(VALU_DEP_1) | instskip(NEXT) | instid1(VALU_DEP_1)
	v_fmac_f32_e32 v37, v39, v36
	v_dual_fma_f32 v38, v38, v36, -v77 :: v_dual_add_f32 v35, v35, v37
	s_delay_alu instid0(VALU_DEP_1)
	v_add_f32_e32 v34, v34, v38
	s_or_b32 exec_lo, exec_lo, s0
	s_and_saveexec_b32 s0, s19
	s_cbranch_execz .LBB160_431
.LBB160_1065:                           ;   in Loop: Header=BB160_3 Depth=1
	ds_load_b64 v[36:37], v50 offset:21760
	ds_load_b64 v[38:39], v51 offset:24400
	s_wait_dscnt 0x0
	v_dual_mul_f32 v77, v39, v37 :: v_dual_mul_f32 v37, v38, v37
	s_delay_alu instid0(VALU_DEP_1) | instskip(NEXT) | instid1(VALU_DEP_1)
	v_fmac_f32_e32 v37, v39, v36
	v_dual_fma_f32 v38, v38, v36, -v77 :: v_dual_add_f32 v35, v35, v37
	s_delay_alu instid0(VALU_DEP_1)
	v_add_f32_e32 v34, v34, v38
	s_or_b32 exec_lo, exec_lo, s0
	s_and_saveexec_b32 s0, s20
	s_cbranch_execz .LBB160_432
.LBB160_1066:                           ;   in Loop: Header=BB160_3 Depth=1
	ds_load_b64 v[36:37], v50 offset:22272
	ds_load_b64 v[38:39], v51 offset:24408
	s_wait_dscnt 0x0
	v_dual_mul_f32 v77, v39, v37 :: v_dual_mul_f32 v37, v38, v37
	s_delay_alu instid0(VALU_DEP_1) | instskip(NEXT) | instid1(VALU_DEP_1)
	v_fmac_f32_e32 v37, v39, v36
	v_dual_fma_f32 v38, v38, v36, -v77 :: v_dual_add_f32 v35, v35, v37
	s_delay_alu instid0(VALU_DEP_1)
	v_add_f32_e32 v34, v34, v38
	s_or_b32 exec_lo, exec_lo, s0
	s_and_saveexec_b32 s0, s21
	s_cbranch_execz .LBB160_433
.LBB160_1067:                           ;   in Loop: Header=BB160_3 Depth=1
	ds_load_b64 v[36:37], v50 offset:22784
	ds_load_b64 v[38:39], v51 offset:24416
	s_wait_dscnt 0x0
	v_dual_mul_f32 v77, v39, v37 :: v_dual_mul_f32 v37, v38, v37
	s_delay_alu instid0(VALU_DEP_1) | instskip(NEXT) | instid1(VALU_DEP_1)
	v_fmac_f32_e32 v37, v39, v36
	v_dual_fma_f32 v38, v38, v36, -v77 :: v_dual_add_f32 v35, v35, v37
	s_delay_alu instid0(VALU_DEP_1)
	v_add_f32_e32 v34, v34, v38
	s_or_b32 exec_lo, exec_lo, s0
	s_and_saveexec_b32 s0, s22
	s_cbranch_execz .LBB160_434
.LBB160_1068:                           ;   in Loop: Header=BB160_3 Depth=1
	ds_load_b64 v[36:37], v50 offset:23296
	ds_load_b64 v[38:39], v51 offset:24424
	s_wait_dscnt 0x0
	v_dual_mul_f32 v77, v39, v37 :: v_dual_mul_f32 v37, v38, v37
	s_delay_alu instid0(VALU_DEP_1) | instskip(NEXT) | instid1(VALU_DEP_1)
	v_fmac_f32_e32 v37, v39, v36
	v_dual_fma_f32 v38, v38, v36, -v77 :: v_dual_add_f32 v35, v35, v37
	s_delay_alu instid0(VALU_DEP_1)
	v_add_f32_e32 v34, v34, v38
	s_or_b32 exec_lo, exec_lo, s0
	s_and_saveexec_b32 s0, s4
	s_cbranch_execz .LBB160_435
.LBB160_1069:                           ;   in Loop: Header=BB160_3 Depth=1
	ds_load_b64 v[36:37], v50 offset:23808
	ds_load_b64 v[38:39], v51 offset:24432
	s_wait_dscnt 0x0
	v_dual_mul_f32 v77, v39, v37 :: v_dual_mul_f32 v37, v38, v37
	s_delay_alu instid0(VALU_DEP_1) | instskip(NEXT) | instid1(VALU_DEP_1)
	v_fmac_f32_e32 v37, v39, v36
	v_dual_fma_f32 v38, v38, v36, -v77 :: v_dual_add_f32 v35, v35, v37
	s_delay_alu instid0(VALU_DEP_1)
	v_add_f32_e32 v34, v34, v38
	s_or_b32 exec_lo, exec_lo, s0
	s_and_saveexec_b32 s0, s17
	s_cbranch_execnz .LBB160_436
	s_branch .LBB160_437
.LBB160_1070:                           ;   in Loop: Header=BB160_3 Depth=1
	ds_load_b64 v[36:37], v46 offset:19200
	ds_load_b64 v[38:39], v47 offset:20264
	s_wait_dscnt 0x0
	v_dual_mul_f32 v77, v39, v37 :: v_dual_mul_f32 v37, v38, v37
	s_delay_alu instid0(VALU_DEP_1) | instskip(NEXT) | instid1(VALU_DEP_1)
	v_fmac_f32_e32 v37, v39, v36
	v_dual_fma_f32 v38, v38, v36, -v77 :: v_dual_add_f32 v35, v35, v37
	s_delay_alu instid0(VALU_DEP_1)
	v_add_f32_e32 v34, v34, v38
	s_or_b32 exec_lo, exec_lo, s0
	s_and_saveexec_b32 s0, s17
	s_cbranch_execz .LBB160_489
.LBB160_1071:                           ;   in Loop: Header=BB160_3 Depth=1
	ds_load_b64 v[36:37], v46 offset:19712
	ds_load_b64 v[38:39], v47 offset:20272
	s_wait_dscnt 0x0
	v_dual_mul_f32 v77, v39, v37 :: v_dual_mul_f32 v37, v38, v37
	s_delay_alu instid0(VALU_DEP_1) | instskip(NEXT) | instid1(VALU_DEP_1)
	v_fmac_f32_e32 v37, v39, v36
	v_dual_fma_f32 v38, v38, v36, -v77 :: v_dual_add_f32 v35, v35, v37
	s_delay_alu instid0(VALU_DEP_1)
	v_add_f32_e32 v34, v34, v38
	s_or_b32 exec_lo, exec_lo, s0
	s_and_saveexec_b32 s0, s3
	s_cbranch_execnz .LBB160_490
	s_branch .LBB160_491
.LBB160_1072:                           ;   in Loop: Header=BB160_3 Depth=1
	ds_load_b64 v[36:37], v59 offset:31232
	ds_load_b64 v[38:39], v60 offset:32744
	s_wait_dscnt 0x0
	v_pk_mul_f32 v[78:79], v[38:39], v[36:37] op_sel:[1,1] op_sel_hi:[0,1]
	s_delay_alu instid0(VALU_DEP_1) | instskip(SKIP_1) | instid1(VALU_DEP_2)
	v_pk_fma_f32 v[80:81], v[38:39], v[36:37], v[78:79] op_sel_hi:[1,0,1]
	v_pk_fma_f32 v[36:37], v[38:39], v[36:37], v[78:79] neg_lo:[0,0,1] neg_hi:[0,0,1]
	v_mov_b32_e32 v37, v81
	s_delay_alu instid0(VALU_DEP_1)
	v_pk_add_f32 v[34:35], v[34:35], v[36:37]
	s_or_b32 exec_lo, exec_lo, s0
	s_and_saveexec_b32 s0, s5
	s_cbranch_execz .LBB160_583
.LBB160_1073:                           ;   in Loop: Header=BB160_3 Depth=1
	ds_load_b64 v[36:37], v59 offset:31744
	ds_load_b64 v[38:39], v60 offset:32752
	s_wait_dscnt 0x0
	v_pk_mul_f32 v[78:79], v[38:39], v[36:37] op_sel:[1,1] op_sel_hi:[0,1]
	s_delay_alu instid0(VALU_DEP_1) | instskip(SKIP_1) | instid1(VALU_DEP_2)
	v_pk_fma_f32 v[80:81], v[38:39], v[36:37], v[78:79] op_sel_hi:[1,0,1]
	v_pk_fma_f32 v[36:37], v[38:39], v[36:37], v[78:79] neg_lo:[0,0,1] neg_hi:[0,0,1]
	v_mov_b32_e32 v37, v81
	s_delay_alu instid0(VALU_DEP_1) | instskip(SKIP_2) | instid1(SALU_CYCLE_1)
	v_pk_add_f32 v[34:35], v[34:35], v[36:37]
	s_or_b32 exec_lo, exec_lo, s0
	s_and_saveexec_b32 s0, s21
	s_xor_b32 s0, exec_lo, s0
	s_cbranch_execnz .LBB160_584
	s_branch .LBB160_585
.LBB160_1074:                           ;   in Loop: Header=BB160_3 Depth=1
	ds_load_b64 v[36:37], v46 offset:15040
	ds_load_b64 v[38:39], v47 offset:16104
	s_wait_dscnt 0x0
	v_dual_mul_f32 v77, v39, v37 :: v_dual_mul_f32 v37, v38, v37
	s_delay_alu instid0(VALU_DEP_1) | instskip(NEXT) | instid1(VALU_DEP_1)
	v_fmac_f32_e32 v37, v39, v36
	v_dual_fma_f32 v38, v38, v36, -v77 :: v_dual_add_f32 v35, v35, v37
	s_delay_alu instid0(VALU_DEP_1)
	v_add_f32_e32 v34, v34, v38
	s_or_b32 exec_lo, exec_lo, s0
	s_and_saveexec_b32 s0, s17
	s_cbranch_execz .LBB160_617
.LBB160_1075:                           ;   in Loop: Header=BB160_3 Depth=1
	ds_load_b64 v[36:37], v46 offset:15552
	ds_load_b64 v[38:39], v47 offset:16112
	s_wait_dscnt 0x0
	v_dual_mul_f32 v77, v39, v37 :: v_dual_mul_f32 v37, v38, v37
	s_delay_alu instid0(VALU_DEP_1) | instskip(NEXT) | instid1(VALU_DEP_1)
	v_fmac_f32_e32 v37, v39, v36
	v_dual_fma_f32 v38, v38, v36, -v77 :: v_dual_add_f32 v35, v35, v37
	s_delay_alu instid0(VALU_DEP_1)
	v_add_f32_e32 v34, v34, v38
	s_or_b32 exec_lo, exec_lo, s0
	s_and_saveexec_b32 s0, s3
	s_cbranch_execnz .LBB160_618
	s_branch .LBB160_619
.LBB160_1076:                           ;   in Loop: Header=BB160_3 Depth=1
	ds_load_b64 v[36:37], v50 offset:12928
	ds_load_b64 v[38:39], v51 offset:16072
	s_wait_dscnt 0x0
	v_dual_mul_f32 v77, v39, v37 :: v_dual_mul_f32 v37, v38, v37
	s_delay_alu instid0(VALU_DEP_1) | instskip(NEXT) | instid1(VALU_DEP_1)
	v_fmac_f32_e32 v37, v39, v36
	v_dual_fma_f32 v38, v38, v36, -v77 :: v_dual_add_f32 v35, v35, v37
	s_delay_alu instid0(VALU_DEP_1)
	v_add_f32_e32 v34, v34, v38
	s_or_b32 exec_lo, exec_lo, s0
	s_and_saveexec_b32 s0, s19
	s_cbranch_execz .LBB160_655
.LBB160_1077:                           ;   in Loop: Header=BB160_3 Depth=1
	ds_load_b64 v[36:37], v50 offset:13440
	ds_load_b64 v[38:39], v51 offset:16080
	s_wait_dscnt 0x0
	v_dual_mul_f32 v77, v39, v37 :: v_dual_mul_f32 v37, v38, v37
	s_delay_alu instid0(VALU_DEP_1) | instskip(NEXT) | instid1(VALU_DEP_1)
	v_fmac_f32_e32 v37, v39, v36
	v_dual_fma_f32 v38, v38, v36, -v77 :: v_dual_add_f32 v35, v35, v37
	s_delay_alu instid0(VALU_DEP_1)
	v_add_f32_e32 v34, v34, v38
	s_or_b32 exec_lo, exec_lo, s0
	s_and_saveexec_b32 s0, s20
	s_cbranch_execz .LBB160_656
.LBB160_1078:                           ;   in Loop: Header=BB160_3 Depth=1
	ds_load_b64 v[36:37], v50 offset:13952
	ds_load_b64 v[38:39], v51 offset:16088
	s_wait_dscnt 0x0
	v_dual_mul_f32 v77, v39, v37 :: v_dual_mul_f32 v37, v38, v37
	s_delay_alu instid0(VALU_DEP_1) | instskip(NEXT) | instid1(VALU_DEP_1)
	v_fmac_f32_e32 v37, v39, v36
	v_dual_fma_f32 v38, v38, v36, -v77 :: v_dual_add_f32 v35, v35, v37
	s_delay_alu instid0(VALU_DEP_1)
	v_add_f32_e32 v34, v34, v38
	s_or_b32 exec_lo, exec_lo, s0
	s_and_saveexec_b32 s0, s21
	s_cbranch_execz .LBB160_657
.LBB160_1079:                           ;   in Loop: Header=BB160_3 Depth=1
	ds_load_b64 v[36:37], v50 offset:14464
	ds_load_b64 v[38:39], v51 offset:16096
	s_wait_dscnt 0x0
	v_dual_mul_f32 v77, v39, v37 :: v_dual_mul_f32 v37, v38, v37
	s_delay_alu instid0(VALU_DEP_1) | instskip(NEXT) | instid1(VALU_DEP_1)
	v_fmac_f32_e32 v37, v39, v36
	v_dual_fma_f32 v38, v38, v36, -v77 :: v_dual_add_f32 v35, v35, v37
	s_delay_alu instid0(VALU_DEP_1)
	v_add_f32_e32 v34, v34, v38
	s_or_b32 exec_lo, exec_lo, s0
	s_and_saveexec_b32 s0, s22
	s_cbranch_execz .LBB160_658
.LBB160_1080:                           ;   in Loop: Header=BB160_3 Depth=1
	ds_load_b64 v[36:37], v50 offset:14976
	ds_load_b64 v[38:39], v51 offset:16104
	s_wait_dscnt 0x0
	v_dual_mul_f32 v77, v39, v37 :: v_dual_mul_f32 v37, v38, v37
	s_delay_alu instid0(VALU_DEP_1) | instskip(NEXT) | instid1(VALU_DEP_1)
	v_fmac_f32_e32 v37, v39, v36
	v_dual_fma_f32 v38, v38, v36, -v77 :: v_dual_add_f32 v35, v35, v37
	s_delay_alu instid0(VALU_DEP_1)
	v_add_f32_e32 v34, v34, v38
	s_or_b32 exec_lo, exec_lo, s0
	s_and_saveexec_b32 s0, s4
	s_cbranch_execz .LBB160_659
.LBB160_1081:                           ;   in Loop: Header=BB160_3 Depth=1
	ds_load_b64 v[36:37], v50 offset:15488
	ds_load_b64 v[38:39], v51 offset:16112
	s_wait_dscnt 0x0
	v_dual_mul_f32 v77, v39, v37 :: v_dual_mul_f32 v37, v38, v37
	s_delay_alu instid0(VALU_DEP_1) | instskip(NEXT) | instid1(VALU_DEP_1)
	v_fmac_f32_e32 v37, v39, v36
	v_dual_fma_f32 v38, v38, v36, -v77 :: v_dual_add_f32 v35, v35, v37
	s_delay_alu instid0(VALU_DEP_1)
	v_add_f32_e32 v34, v34, v38
	s_or_b32 exec_lo, exec_lo, s0
	s_and_saveexec_b32 s0, s17
	s_cbranch_execnz .LBB160_660
	s_branch .LBB160_661
.LBB160_1082:                           ;   in Loop: Header=BB160_3 Depth=1
	ds_load_b64 v[36:37], v46 offset:10880
	ds_load_b64 v[38:39], v47 offset:11944
	s_wait_dscnt 0x0
	v_dual_mul_f32 v77, v39, v37 :: v_dual_mul_f32 v37, v38, v37
	s_delay_alu instid0(VALU_DEP_1) | instskip(NEXT) | instid1(VALU_DEP_1)
	v_fmac_f32_e32 v37, v39, v36
	v_dual_fma_f32 v38, v38, v36, -v77 :: v_dual_add_f32 v35, v35, v37
	s_delay_alu instid0(VALU_DEP_1)
	v_add_f32_e32 v34, v34, v38
	s_or_b32 exec_lo, exec_lo, s0
	s_and_saveexec_b32 s0, s17
	s_cbranch_execz .LBB160_713
.LBB160_1083:                           ;   in Loop: Header=BB160_3 Depth=1
	ds_load_b64 v[36:37], v46 offset:11392
	ds_load_b64 v[38:39], v47 offset:11952
	s_wait_dscnt 0x0
	v_dual_mul_f32 v77, v39, v37 :: v_dual_mul_f32 v37, v38, v37
	s_delay_alu instid0(VALU_DEP_1) | instskip(NEXT) | instid1(VALU_DEP_1)
	v_fmac_f32_e32 v37, v39, v36
	v_dual_fma_f32 v38, v38, v36, -v77 :: v_dual_add_f32 v35, v35, v37
	s_delay_alu instid0(VALU_DEP_1)
	v_add_f32_e32 v34, v34, v38
	s_or_b32 exec_lo, exec_lo, s0
	s_and_saveexec_b32 s0, s3
	s_cbranch_execnz .LBB160_714
	s_branch .LBB160_715
.LBB160_1084:                           ;   in Loop: Header=BB160_3 Depth=1
	ds_load_b64 v[36:37], v54 offset:13824
	ds_load_b64 v[38:39], v55 offset:16088
	s_wait_dscnt 0x0
	v_dual_mul_f32 v77, v39, v37 :: v_dual_mul_f32 v37, v38, v37
	s_delay_alu instid0(VALU_DEP_1) | instskip(NEXT) | instid1(VALU_DEP_1)
	v_fmac_f32_e32 v37, v39, v36
	v_dual_fma_f32 v38, v38, v36, -v77 :: v_dual_add_f32 v35, v35, v37
	s_delay_alu instid0(VALU_DEP_1)
	v_add_f32_e32 v34, v34, v38
	s_or_b32 exec_lo, exec_lo, s0
	s_and_saveexec_b32 s0, s5
	s_cbranch_execz .LBB160_771
.LBB160_1085:                           ;   in Loop: Header=BB160_3 Depth=1
	ds_load_b64 v[36:37], v54 offset:14336
	ds_load_b64 v[38:39], v55 offset:16096
	s_wait_dscnt 0x0
	v_dual_mul_f32 v77, v39, v37 :: v_dual_mul_f32 v37, v38, v37
	s_delay_alu instid0(VALU_DEP_1) | instskip(NEXT) | instid1(VALU_DEP_1)
	v_fmac_f32_e32 v37, v39, v36
	v_dual_fma_f32 v38, v38, v36, -v77 :: v_dual_add_f32 v35, v35, v37
	s_delay_alu instid0(VALU_DEP_1)
	v_add_f32_e32 v34, v34, v38
	s_or_b32 exec_lo, exec_lo, s0
	s_and_saveexec_b32 s0, s19
	s_cbranch_execz .LBB160_772
.LBB160_1086:                           ;   in Loop: Header=BB160_3 Depth=1
	ds_load_b64 v[36:37], v54 offset:14848
	ds_load_b64 v[38:39], v55 offset:16104
	s_wait_dscnt 0x0
	v_dual_mul_f32 v77, v39, v37 :: v_dual_mul_f32 v37, v38, v37
	s_delay_alu instid0(VALU_DEP_1) | instskip(NEXT) | instid1(VALU_DEP_1)
	v_fmac_f32_e32 v37, v39, v36
	v_dual_fma_f32 v38, v38, v36, -v77 :: v_dual_add_f32 v35, v35, v37
	s_delay_alu instid0(VALU_DEP_1)
	v_add_f32_e32 v34, v34, v38
	s_or_b32 exec_lo, exec_lo, s0
	s_and_saveexec_b32 s0, s21
	s_cbranch_execz .LBB160_773
.LBB160_1087:                           ;   in Loop: Header=BB160_3 Depth=1
	ds_load_b64 v[36:37], v54 offset:15360
	ds_load_b64 v[38:39], v55 offset:16112
	s_wait_dscnt 0x0
	v_dual_mul_f32 v77, v39, v37 :: v_dual_mul_f32 v37, v38, v37
	s_delay_alu instid0(VALU_DEP_1) | instskip(NEXT) | instid1(VALU_DEP_1)
	v_fmac_f32_e32 v37, v39, v36
	v_dual_fma_f32 v38, v38, v36, -v77 :: v_dual_add_f32 v35, v35, v37
	s_delay_alu instid0(VALU_DEP_1)
	v_add_f32_e32 v34, v34, v38
	s_or_b32 exec_lo, exec_lo, s0
	s_and_saveexec_b32 s0, s4
	s_cbranch_execnz .LBB160_774
	s_branch .LBB160_775
.LBB160_1088:                           ;   in Loop: Header=BB160_3 Depth=1
	ds_load_b64 v[36:37], v46 offset:6720
	ds_load_b64 v[38:39], v47 offset:7784
	s_wait_dscnt 0x0
	v_dual_mul_f32 v77, v39, v37 :: v_dual_mul_f32 v37, v38, v37
	s_delay_alu instid0(VALU_DEP_1) | instskip(NEXT) | instid1(VALU_DEP_1)
	v_fmac_f32_e32 v37, v39, v36
	v_dual_fma_f32 v38, v38, v36, -v77 :: v_dual_add_f32 v35, v35, v37
	s_delay_alu instid0(VALU_DEP_1)
	v_add_f32_e32 v34, v34, v38
	s_or_b32 exec_lo, exec_lo, s0
	s_and_saveexec_b32 s0, s17
	s_cbranch_execz .LBB160_859
.LBB160_1089:                           ;   in Loop: Header=BB160_3 Depth=1
	ds_load_b64 v[36:37], v46 offset:7232
	ds_load_b64 v[38:39], v47 offset:7792
	s_wait_dscnt 0x0
	v_dual_mul_f32 v77, v39, v37 :: v_dual_mul_f32 v37, v38, v37
	s_delay_alu instid0(VALU_DEP_1) | instskip(NEXT) | instid1(VALU_DEP_1)
	v_fmac_f32_e32 v37, v39, v36
	v_dual_fma_f32 v38, v38, v36, -v77 :: v_dual_add_f32 v35, v35, v37
	s_delay_alu instid0(VALU_DEP_1)
	v_add_f32_e32 v34, v34, v38
	s_or_b32 exec_lo, exec_lo, s0
	s_and_saveexec_b32 s0, s3
	s_cbranch_execnz .LBB160_860
	s_branch .LBB160_861
.LBB160_1090:                           ;   in Loop: Header=BB160_3 Depth=1
	ds_load_b64 v[36:37], v50 offset:4608
	ds_load_b64 v[38:39], v51 offset:7752
	s_wait_dscnt 0x0
	v_dual_mul_f32 v77, v39, v37 :: v_dual_mul_f32 v37, v38, v37
	s_delay_alu instid0(VALU_DEP_1) | instskip(NEXT) | instid1(VALU_DEP_1)
	v_fmac_f32_e32 v37, v39, v36
	v_dual_fma_f32 v38, v38, v36, -v77 :: v_dual_add_f32 v35, v35, v37
	s_delay_alu instid0(VALU_DEP_1)
	v_add_f32_e32 v34, v34, v38
	s_or_b32 exec_lo, exec_lo, s0
	s_and_saveexec_b32 s0, s19
	s_cbranch_execz .LBB160_897
.LBB160_1091:                           ;   in Loop: Header=BB160_3 Depth=1
	ds_load_b64 v[36:37], v50 offset:5120
	ds_load_b64 v[38:39], v51 offset:7760
	s_wait_dscnt 0x0
	v_dual_mul_f32 v77, v39, v37 :: v_dual_mul_f32 v37, v38, v37
	s_delay_alu instid0(VALU_DEP_1) | instskip(NEXT) | instid1(VALU_DEP_1)
	v_fmac_f32_e32 v37, v39, v36
	v_dual_fma_f32 v38, v38, v36, -v77 :: v_dual_add_f32 v35, v35, v37
	s_delay_alu instid0(VALU_DEP_1)
	v_add_f32_e32 v34, v34, v38
	s_or_b32 exec_lo, exec_lo, s0
	s_and_saveexec_b32 s0, s20
	s_cbranch_execz .LBB160_898
.LBB160_1092:                           ;   in Loop: Header=BB160_3 Depth=1
	ds_load_b64 v[36:37], v50 offset:5632
	ds_load_b64 v[38:39], v51 offset:7768
	s_wait_dscnt 0x0
	v_dual_mul_f32 v77, v39, v37 :: v_dual_mul_f32 v37, v38, v37
	s_delay_alu instid0(VALU_DEP_1) | instskip(NEXT) | instid1(VALU_DEP_1)
	v_fmac_f32_e32 v37, v39, v36
	v_dual_fma_f32 v38, v38, v36, -v77 :: v_dual_add_f32 v35, v35, v37
	s_delay_alu instid0(VALU_DEP_1)
	v_add_f32_e32 v34, v34, v38
	s_or_b32 exec_lo, exec_lo, s0
	s_and_saveexec_b32 s0, s21
	s_cbranch_execz .LBB160_899
.LBB160_1093:                           ;   in Loop: Header=BB160_3 Depth=1
	ds_load_b64 v[36:37], v50 offset:6144
	ds_load_b64 v[38:39], v51 offset:7776
	s_wait_dscnt 0x0
	v_dual_mul_f32 v77, v39, v37 :: v_dual_mul_f32 v37, v38, v37
	s_delay_alu instid0(VALU_DEP_1) | instskip(NEXT) | instid1(VALU_DEP_1)
	v_fmac_f32_e32 v37, v39, v36
	v_dual_fma_f32 v38, v38, v36, -v77 :: v_dual_add_f32 v35, v35, v37
	s_delay_alu instid0(VALU_DEP_1)
	v_add_f32_e32 v34, v34, v38
	s_or_b32 exec_lo, exec_lo, s0
	s_and_saveexec_b32 s0, s22
	s_cbranch_execz .LBB160_900
.LBB160_1094:                           ;   in Loop: Header=BB160_3 Depth=1
	ds_load_b64 v[36:37], v50 offset:6656
	ds_load_b64 v[38:39], v51 offset:7784
	s_wait_dscnt 0x0
	v_dual_mul_f32 v77, v39, v37 :: v_dual_mul_f32 v37, v38, v37
	s_delay_alu instid0(VALU_DEP_1) | instskip(NEXT) | instid1(VALU_DEP_1)
	v_fmac_f32_e32 v37, v39, v36
	v_dual_fma_f32 v38, v38, v36, -v77 :: v_dual_add_f32 v35, v35, v37
	s_delay_alu instid0(VALU_DEP_1)
	v_add_f32_e32 v34, v34, v38
	s_or_b32 exec_lo, exec_lo, s0
	s_and_saveexec_b32 s0, s4
	s_cbranch_execz .LBB160_901
.LBB160_1095:                           ;   in Loop: Header=BB160_3 Depth=1
	ds_load_b64 v[36:37], v50 offset:7168
	ds_load_b64 v[38:39], v51 offset:7792
	s_wait_dscnt 0x0
	v_dual_mul_f32 v77, v39, v37 :: v_dual_mul_f32 v37, v38, v37
	s_delay_alu instid0(VALU_DEP_1) | instskip(NEXT) | instid1(VALU_DEP_1)
	v_fmac_f32_e32 v37, v39, v36
	v_dual_fma_f32 v38, v38, v36, -v77 :: v_dual_add_f32 v35, v35, v37
	s_delay_alu instid0(VALU_DEP_1)
	v_add_f32_e32 v34, v34, v38
	s_or_b32 exec_lo, exec_lo, s0
	s_and_saveexec_b32 s0, s17
	s_cbranch_execnz .LBB160_902
	s_branch .LBB160_903
.LBB160_1096:                           ;   in Loop: Header=BB160_3 Depth=1
	ds_load_b64 v[36:37], v46 offset:2560
	ds_load_b64 v[38:39], v47 offset:3624
	s_wait_dscnt 0x0
	v_dual_mul_f32 v77, v39, v37 :: v_dual_mul_f32 v37, v38, v37
	s_delay_alu instid0(VALU_DEP_1) | instskip(NEXT) | instid1(VALU_DEP_1)
	v_fmac_f32_e32 v37, v39, v36
	v_dual_fma_f32 v38, v38, v36, -v77 :: v_dual_add_f32 v35, v35, v37
	s_delay_alu instid0(VALU_DEP_1)
	v_add_f32_e32 v34, v34, v38
	s_or_b32 exec_lo, exec_lo, s0
	s_and_saveexec_b32 s0, s17
	s_cbranch_execz .LBB160_955
.LBB160_1097:                           ;   in Loop: Header=BB160_3 Depth=1
	ds_load_b64 v[36:37], v46 offset:3072
	ds_load_b64 v[38:39], v47 offset:3632
	s_wait_dscnt 0x0
	v_dual_mul_f32 v77, v39, v37 :: v_dual_mul_f32 v37, v38, v37
	s_delay_alu instid0(VALU_DEP_1) | instskip(NEXT) | instid1(VALU_DEP_1)
	v_fmac_f32_e32 v37, v39, v36
	v_dual_fma_f32 v38, v38, v36, -v77 :: v_dual_add_f32 v35, v35, v37
	s_delay_alu instid0(VALU_DEP_1)
	v_add_f32_e32 v34, v34, v38
	s_or_b32 exec_lo, exec_lo, s0
	s_and_saveexec_b32 s0, s3
	s_cbranch_execnz .LBB160_956
	s_branch .LBB160_957
.LBB160_1098:
	s_endpgm
	.section	.rodata,"a",@progbits
	.p2align	6, 0x0
	.amdhsa_kernel _ZL19rocblas_trsv_deviceILi64ELi16ELb0ELb0ELb0ELb0E19rocblas_complex_numIfES1_PKPKS1_PKPS1_EviT7_lllT6_T8_lllPii
		.amdhsa_group_segment_fixed_size 41480
		.amdhsa_private_segment_fixed_size 48
		.amdhsa_kernarg_size 352
		.amdhsa_user_sgpr_count 2
		.amdhsa_user_sgpr_dispatch_ptr 0
		.amdhsa_user_sgpr_queue_ptr 0
		.amdhsa_user_sgpr_kernarg_segment_ptr 1
		.amdhsa_user_sgpr_dispatch_id 0
		.amdhsa_user_sgpr_kernarg_preload_length 0
		.amdhsa_user_sgpr_kernarg_preload_offset 0
		.amdhsa_user_sgpr_private_segment_size 0
		.amdhsa_wavefront_size32 1
		.amdhsa_uses_dynamic_stack 0
		.amdhsa_enable_private_segment 1
		.amdhsa_system_sgpr_workgroup_id_x 1
		.amdhsa_system_sgpr_workgroup_id_y 0
		.amdhsa_system_sgpr_workgroup_id_z 1
		.amdhsa_system_sgpr_workgroup_info 0
		.amdhsa_system_vgpr_workitem_id 1
		.amdhsa_next_free_vgpr 89
		.amdhsa_next_free_sgpr 105
		.amdhsa_named_barrier_count 0
		.amdhsa_reserve_vcc 1
		.amdhsa_float_round_mode_32 0
		.amdhsa_float_round_mode_16_64 0
		.amdhsa_float_denorm_mode_32 3
		.amdhsa_float_denorm_mode_16_64 3
		.amdhsa_fp16_overflow 0
		.amdhsa_memory_ordered 1
		.amdhsa_forward_progress 1
		.amdhsa_inst_pref_size 255
		.amdhsa_round_robin_scheduling 0
		.amdhsa_exception_fp_ieee_invalid_op 0
		.amdhsa_exception_fp_denorm_src 0
		.amdhsa_exception_fp_ieee_div_zero 0
		.amdhsa_exception_fp_ieee_overflow 0
		.amdhsa_exception_fp_ieee_underflow 0
		.amdhsa_exception_fp_ieee_inexact 0
		.amdhsa_exception_int_div_zero 0
	.end_amdhsa_kernel
	.section	.text._ZL19rocblas_trsv_deviceILi64ELi16ELb0ELb0ELb0ELb0E19rocblas_complex_numIfES1_PKPKS1_PKPS1_EviT7_lllT6_T8_lllPii,"axG",@progbits,_ZL19rocblas_trsv_deviceILi64ELi16ELb0ELb0ELb0ELb0E19rocblas_complex_numIfES1_PKPKS1_PKPS1_EviT7_lllT6_T8_lllPii,comdat
.Lfunc_end160:
	.size	_ZL19rocblas_trsv_deviceILi64ELi16ELb0ELb0ELb0ELb0E19rocblas_complex_numIfES1_PKPKS1_PKPS1_EviT7_lllT6_T8_lllPii, .Lfunc_end160-_ZL19rocblas_trsv_deviceILi64ELi16ELb0ELb0ELb0ELb0E19rocblas_complex_numIfES1_PKPKS1_PKPS1_EviT7_lllT6_T8_lllPii
                                        ; -- End function
	.set _ZL19rocblas_trsv_deviceILi64ELi16ELb0ELb0ELb0ELb0E19rocblas_complex_numIfES1_PKPKS1_PKPS1_EviT7_lllT6_T8_lllPii.num_vgpr, 89
	.set _ZL19rocblas_trsv_deviceILi64ELi16ELb0ELb0ELb0ELb0E19rocblas_complex_numIfES1_PKPKS1_PKPS1_EviT7_lllT6_T8_lllPii.num_agpr, 0
	.set _ZL19rocblas_trsv_deviceILi64ELi16ELb0ELb0ELb0ELb0E19rocblas_complex_numIfES1_PKPKS1_PKPS1_EviT7_lllT6_T8_lllPii.numbered_sgpr, 105
	.set _ZL19rocblas_trsv_deviceILi64ELi16ELb0ELb0ELb0ELb0E19rocblas_complex_numIfES1_PKPKS1_PKPS1_EviT7_lllT6_T8_lllPii.num_named_barrier, 0
	.set _ZL19rocblas_trsv_deviceILi64ELi16ELb0ELb0ELb0ELb0E19rocblas_complex_numIfES1_PKPKS1_PKPS1_EviT7_lllT6_T8_lllPii.private_seg_size, 48
	.set _ZL19rocblas_trsv_deviceILi64ELi16ELb0ELb0ELb0ELb0E19rocblas_complex_numIfES1_PKPKS1_PKPS1_EviT7_lllT6_T8_lllPii.uses_vcc, 1
	.set _ZL19rocblas_trsv_deviceILi64ELi16ELb0ELb0ELb0ELb0E19rocblas_complex_numIfES1_PKPKS1_PKPS1_EviT7_lllT6_T8_lllPii.uses_flat_scratch, 0
	.set _ZL19rocblas_trsv_deviceILi64ELi16ELb0ELb0ELb0ELb0E19rocblas_complex_numIfES1_PKPKS1_PKPS1_EviT7_lllT6_T8_lllPii.has_dyn_sized_stack, 0
	.set _ZL19rocblas_trsv_deviceILi64ELi16ELb0ELb0ELb0ELb0E19rocblas_complex_numIfES1_PKPKS1_PKPS1_EviT7_lllT6_T8_lllPii.has_recursion, 0
	.set _ZL19rocblas_trsv_deviceILi64ELi16ELb0ELb0ELb0ELb0E19rocblas_complex_numIfES1_PKPKS1_PKPS1_EviT7_lllT6_T8_lllPii.has_indirect_call, 0
	.section	.AMDGPU.csdata,"",@progbits
; Kernel info:
; codeLenInByte = 51708
; TotalNumSgprs: 107
; NumVgprs: 89
; ScratchSize: 48
; MemoryBound: 0
; FloatMode: 240
; IeeeMode: 1
; LDSByteSize: 41480 bytes/workgroup (compile time only)
; SGPRBlocks: 0
; VGPRBlocks: 5
; NumSGPRsForWavesPerEU: 107
; NumVGPRsForWavesPerEU: 89
; NamedBarCnt: 0
; Occupancy: 10
; WaveLimiterHint : 1
; COMPUTE_PGM_RSRC2:SCRATCH_EN: 1
; COMPUTE_PGM_RSRC2:USER_SGPR: 2
; COMPUTE_PGM_RSRC2:TRAP_HANDLER: 0
; COMPUTE_PGM_RSRC2:TGID_X_EN: 1
; COMPUTE_PGM_RSRC2:TGID_Y_EN: 0
; COMPUTE_PGM_RSRC2:TGID_Z_EN: 1
; COMPUTE_PGM_RSRC2:TIDIG_COMP_CNT: 1
	.section	.text._ZL19rocblas_trsv_deviceILi64ELi16ELb0ELb1ELb0ELb0E19rocblas_complex_numIfES1_PKPKS1_PKPS1_EviT7_lllT6_T8_lllPii,"axG",@progbits,_ZL19rocblas_trsv_deviceILi64ELi16ELb0ELb1ELb0ELb0E19rocblas_complex_numIfES1_PKPKS1_PKPS1_EviT7_lllT6_T8_lllPii,comdat
	.globl	_ZL19rocblas_trsv_deviceILi64ELi16ELb0ELb1ELb0ELb0E19rocblas_complex_numIfES1_PKPKS1_PKPS1_EviT7_lllT6_T8_lllPii ; -- Begin function _ZL19rocblas_trsv_deviceILi64ELi16ELb0ELb1ELb0ELb0E19rocblas_complex_numIfES1_PKPKS1_PKPS1_EviT7_lllT6_T8_lllPii
	.p2align	8
	.type	_ZL19rocblas_trsv_deviceILi64ELi16ELb0ELb1ELb0ELb0E19rocblas_complex_numIfES1_PKPKS1_PKPS1_EviT7_lllT6_T8_lllPii,@function
_ZL19rocblas_trsv_deviceILi64ELi16ELb0ELb1ELb0ELb0E19rocblas_complex_numIfES1_PKPKS1_PKPS1_EviT7_lllT6_T8_lllPii: ; @_ZL19rocblas_trsv_deviceILi64ELi16ELb0ELb1ELb0ELb0E19rocblas_complex_numIfES1_PKPKS1_PKPS1_EviT7_lllT6_T8_lllPii
; %bb.0:
	s_load_b32 s67, s[0:1], 0x58
	s_bfe_u32 s2, ttmp6, 0x40014
	s_lshr_b32 s3, ttmp7, 16
	s_add_co_i32 s2, s2, 1
	s_bfe_u32 s5, ttmp6, 0x40008
	s_mul_i32 s4, s3, s2
	s_getreg_b32 s2, hwreg(HW_REG_IB_STS2, 6, 4)
	s_add_co_i32 s5, s5, s4
	s_cmp_eq_u32 s2, 0
	s_mov_b32 s77, 0
	s_cselect_b32 s76, s3, s5
	s_wait_kmcnt 0x0
	s_cmp_ge_u32 s76, s67
	s_cbranch_scc1 .LBB161_1160
; %bb.1:
	s_clause 0x3
	s_load_b32 s3, s[0:1], 0x6c
	s_load_b32 s88, s[0:1], 0x0
	s_load_b64 s[16:17], s[0:1], 0x18
	s_load_b64 s[22:23], s[0:1], 0x28
	s_bfe_u32 s5, ttmp6, 0x4000c
	s_and_b32 s4, ttmp6, 15
	s_add_co_i32 s5, s5, 1
	v_and_b32_e32 v2, 0x3ff, v0
	s_mul_i32 s5, ttmp9, s5
	v_mov_b32_e32 v1, 0
	s_add_co_i32 s4, s4, s5
	s_cmp_eq_u32 s2, 0
	v_bfe_u32 v46, v0, 10, 10
	s_cselect_b32 s89, ttmp9, s4
	v_dual_mov_b32 v5, v1 :: v_dual_lshlrev_b32 v22, 6, v2
	v_mov_b32_e32 v3, v1
	s_delay_alu instid0(VALU_DEP_3)
	v_lshl_add_u32 v34, v46, 6, v2
	v_cmp_gt_u32_e64 s7, 2, v2
	v_dual_add_nc_u32 v33, 32, v46 :: v_dual_add_nc_u32 v38, 48, v46
	s_wait_kmcnt 0x0
	s_and_b32 s2, s3, 0xffff
	s_add_co_i32 s3, s88, -1
	s_ashr_i32 s4, s88, 31
	s_ashr_i32 s5, s3, 31
	s_lshr_b32 s4, s4, 26
	s_lshr_b32 s5, s5, 26
	s_add_co_i32 s4, s88, s4
	s_add_co_i32 s3, s3, s5
	s_and_not1_b32 s4, s4, 63
	s_ashr_i32 s3, s3, 6
	s_sub_co_i32 s20, s88, s4
	s_cmp_eq_u32 s3, s89
	v_sub_co_u32 v47, s5, s89, 1
	s_cselect_b32 s3, -1, 0
	s_cmp_lg_u32 s20, 0
	v_add_nc_u32_e32 v32, 16, v46
	s_cselect_b32 s4, -1, 0
	s_lshl_b32 s18, s89, 6
	s_and_b32 s13, s4, s3
	v_add_nc_u32_e32 v23, s18, v46
	v_mad_u32_u24 v4, v46, s2, v2
	s_xor_b32 s2, s5, -1
	s_add_nc_u64 s[4:5], s[16:17], 1
	s_xor_b32 s91, s13, -1
	s_cmp_lt_i32 s89, 5
	v_mad_nc_u64_u32 v[20:21], s4, s18, v[2:3]
	v_dual_add_nc_u32 v3, v46, v22 :: v_dual_add_nc_u32 v10, v32, v22
	v_subrev_nc_u32_e32 v6, 64, v23
	v_lshl_add_u32 v11, v32, 6, v2
	s_cselect_b32 vcc_lo, -1, 0
	s_delay_alu instid0(VALU_DEP_3) | instid1(SALU_CYCLE_1)
	v_dual_add_nc_u32 v18, s18, v2 :: v_dual_cndmask_b32 v24, v34, v3, vcc_lo
	s_or_b32 vcc_lo, vcc_lo, s13
	v_ashrrev_i32_e32 v7, 31, v6
	v_cndmask_b32_e32 v25, v11, v10, vcc_lo
	s_delay_alu instid0(VALU_DEP_3) | instskip(SKIP_3) | instid1(VALU_DEP_3)
	v_dual_ashrrev_i32 v19, 31, v18 :: v_dual_lshrrev_b32 v3, 10, v0
	v_dual_lshrrev_b32 v10, 1, v34 :: v_dual_bitop2_b32 v11, 1, v0 bitop3:0x40
	s_ashr_i32 s19, s18, 31
	v_dual_lshlrev_b32 v74, 3, v24 :: v_dual_bitop2_b32 v40, v32, v2 bitop3:0x54
	v_bitop3_b32 v35, v0, v3, 0x3ff bitop3:0xa8
	s_delay_alu instid0(VALU_DEP_3)
	v_lshlrev_b32_e32 v48, 3, v11
	v_lshl_add_u32 v3, v10, 3, 0x8000
	v_lshlrev_b32_e32 v10, 9, v10
	s_mul_i32 s3, s4, s19
	s_mul_i32 s4, s5, s18
	v_cmp_eq_u32_e64 s5, 1, v11
	v_add3_u32 v21, s3, s4, v21
	v_cmp_gt_u32_e64 s3, 4, v34
	v_cmp_eq_u32_e64 s6, 0, v11
	v_dual_sub_nc_u32 v49, 0, v10 :: v_dual_sub_nc_u32 v50, v48, v10
	v_dual_lshrrev_b32 v11, 2, v34 :: v_dual_bitop2_b32 v10, 3, v0 bitop3:0x40
	v_cmp_eq_u32_e64 s4, 0, v46
	s_and_b32 s93, s5, s3
	s_and_b32 s94, s6, s3
	v_dual_lshlrev_b32 v12, 9, v11 :: v_dual_lshlrev_b32 v52, 3, v10
	v_cmp_gt_u32_e64 s5, 16, v34
	v_cmp_eq_u32_e64 s6, 3, v10
	s_and_b32 s95, s4, s7
	v_lshl_add_u32 v51, v11, 3, 0x8000
	v_sub_nc_u32_e32 v53, 0, v12
	v_cmp_ne_u32_e64 s7, 3, v10
	s_and_b32 s96, s6, s5
	v_cmp_eq_u32_e64 s6, 2, v10
	v_cmp_gt_u32_e64 s8, 2, v10
	v_cmp_eq_u32_e64 s9, 1, v10
	v_cmp_eq_u32_e64 s11, 0, v10
	v_dual_sub_nc_u32 v55, v52, v12 :: v_dual_bitop2_b32 v10, -8, v34 bitop3:0x40
	v_lshlrev_b32_e32 v11, 6, v34
	s_and_b32 s98, s6, s5
	v_cmp_gt_u32_e64 s6, 4, v2
	v_lshl_add_u32 v24, v33, 6, v2
	v_add_nc_u32_e32 v56, 0x8000, v10
	v_and_b32_e32 v10, 0xfffffe00, v11
	v_and_b32_e32 v12, 7, v0
	s_and_b32 s97, s7, s5
	s_and_b32 s99, s8, s5
	;; [unrolled: 1-line block ×3, first 2 shown]
	v_cmp_gt_u32_e64 s6, 64, v34
	v_sub_nc_u32_e32 v58, 0, v10
	v_cmp_eq_u32_e64 s7, 7, v12
	v_cmp_ne_u32_e64 s8, 7, v12
	s_and_b32 s100, s9, s5
	v_dual_lshlrev_b32 v57, 3, v12 :: v_dual_lshrrev_b32 v11, 4, v34
	s_and_b32 s103, s7, s6
	v_cmp_gt_u32_e64 s7, 6, v12
	s_and_b32 s104, s8, s6
	v_cmp_eq_u32_e64 s8, 5, v12
	v_cmp_eq_u32_e64 s9, 6, v12
	v_dual_sub_nc_u32 v59, v57, v10 :: v_dual_bitop2_b32 v10, 15, v0 bitop3:0x40
	s_and_b32 s41, s7, s6
	v_cmp_eq_u32_e64 s7, 4, v12
	s_and_b32 s42, s8, s6
	v_cmp_eq_u32_e64 s8, 3, v12
	s_and_b32 vcc_hi, s9, s6
	v_cmp_gt_u32_e64 s9, 5, v12
	s_and_b32 s44, s7, s6
	v_cmp_gt_u32_e64 s7, 3, v12
	s_and_b32 s46, s8, s6
	;; [unrolled: 2-line block ×4, first 2 shown]
	v_cmp_eq_u32_e64 s7, 0, v12
	s_and_b32 s49, s8, s6
	v_cmp_gt_u32_e64 s8, 8, v2
	s_and_b32 s43, s9, s6
	v_cmp_eq_u32_e64 s9, 2, v12
	s_and_b32 s51, s7, s6
	v_cmp_gt_u32_e64 s7, 0x100, v34
	s_and_b32 s52, s4, s8
	v_cmp_eq_u32_e64 s8, 15, v10
                                        ; implicit-def: $vgpr106 : SGPR spill to VGPR lane
	s_and_b32 s45, s11, s6
	v_writelane_b32 v106, s2, 0
	v_cmp_eq_u32_e64 s11, 1, v12
	s_and_b32 s48, s9, s6
	v_cmp_ne_u32_e64 s9, 15, v10
	s_and_b32 s8, s8, s7
	v_cmp_gt_u32_e64 s12, 14, v10
	v_writelane_b32 v106, s8, 1
	s_and_b32 s50, s11, s6
	v_cmp_eq_u32_e64 s11, 14, v10
	s_and_b32 s8, s9, s7
	s_clause 0x1
	s_load_b64 s[80:81], s[0:1], 0x40
	s_load_b64 s[82:83], s[0:1], 0x50
	v_writelane_b32 v106, s8, 2
	v_cmp_eq_u32_e64 s8, 13, v10
	s_and_b32 s9, s11, s7
	v_cmp_eq_u32_e64 s11, 12, v10
	v_cmp_le_i32_e64 s14, s20, v2
	v_writelane_b32 v106, s9, 3
	s_and_b32 s57, s8, s7
	v_cmp_gt_u32_e64 s8, 12, v10
	s_and_b32 s9, s12, s7
	v_cmp_eq_u32_e64 s12, 11, v10
	v_writelane_b32 v106, s9, 4
	v_cmp_gt_u32_e64 s9, 13, v10
	s_and_b32 s60, s8, s7
	v_cmp_eq_u32_e64 s8, 10, v10
	s_and_b32 s59, s11, s7
	s_and_b32 s61, s12, s7
	;; [unrolled: 1-line block ×3, first 2 shown]
	v_cmp_gt_u32_e64 s9, 11, v10
	s_and_b32 s63, s8, s7
	v_cmp_eq_u32_e64 s8, 8, v10
	v_cmp_gt_u32_e64 s11, 10, v10
	v_cmp_gt_u32_e64 s12, 9, v10
	s_and_b32 s62, s9, s7
	v_cmp_eq_u32_e64 s9, 9, v10
	s_and_b32 s26, s8, s7
	v_cmp_gt_u32_e64 s8, 7, v10
	s_and_b32 s64, s11, s7
	s_and_b32 s15, s12, s7
	;; [unrolled: 1-line block ×3, first 2 shown]
	v_cmp_gt_u32_e64 s9, 8, v10
	s_and_b32 s33, s8, s7
	v_cmp_eq_u32_e64 s8, 5, v10
	v_cmp_eq_u32_e64 s11, 7, v10
	;; [unrolled: 1-line block ×3, first 2 shown]
	s_and_b32 s28, s9, s7
	v_cmp_gt_u32_e64 s9, 6, v10
	s_and_b32 s84, s8, s7
	v_cmp_eq_u32_e64 s8, 3, v10
	s_and_b32 s30, s11, s7
	s_and_b32 s35, s12, s7
	;; [unrolled: 1-line block ×3, first 2 shown]
	v_cmp_eq_u32_e64 s9, 4, v10
	s_and_b32 s27, s8, s7
	v_cmp_gt_u32_e64 s8, 2, v10
	v_cmp_gt_u32_e64 s11, 5, v10
	;; [unrolled: 1-line block ×3, first 2 shown]
	s_and_b32 s78, s9, s7
	v_cmp_gt_u32_e64 s9, 3, v10
	s_and_b32 s34, s8, s7
	v_cmp_gt_u32_e64 s8, 16, v2
	s_and_b32 s85, s11, s7
	s_and_b32 s79, s12, s7
	;; [unrolled: 1-line block ×3, first 2 shown]
	v_cmp_eq_u32_e64 s9, 0, v10
	s_and_b32 s53, s4, s8
	v_cmp_gt_u32_e64 s8, 32, v2
	v_cmp_eq_u32_e64 s11, 2, v10
	v_cmp_eq_u32_e64 s12, 1, v10
	v_lshl_add_u32 v60, v11, 3, 0x8000
	v_dual_lshlrev_b32 v11, 9, v11 :: v_dual_lshlrev_b32 v61, 3, v10
	s_and_b32 s54, s14, s13
	v_cmp_gt_i32_e64 s10, s20, v2
	s_and_b32 s90, s9, s7
	s_xor_b32 s9, s54, -1
	s_and_b32 s8, s4, s8
	s_xor_b32 s92, vcc_lo, -1
	s_and_b32 s31, s11, s7
	s_and_b32 s36, s12, s7
	v_writelane_b32 v106, s8, 5
	s_and_b32 s55, s4, s9
	s_xor_b32 s24, s23, 0x80000000
	v_dual_sub_nc_u32 v62, 0, v11 :: v_dual_lshrrev_b32 v10, 5, v34
	s_cmp_gt_i32 s89, 0
	v_cmp_gt_i32_e64 s2, s88, v18
	s_cselect_b32 s56, -1, 0
	v_subrev_nc_u32_e32 v14, 48, v23
	v_cmp_gt_i32_e64 s11, s88, v6
	s_and_b32 s10, s4, s10
	v_mul_u64_e32 v[8:9], s[16:17], v[18:19]
	v_writelane_b32 v106, s10, 6
	v_dual_sub_nc_u32 v64, v61, v11 :: v_dual_bitop2_b32 v63, 31, v0 bitop3:0x40
	v_lshlrev_b32_e32 v0, 9, v10
	v_lshl_add_u32 v66, v10, 3, 0x8000
	s_wait_kmcnt 0x0
	v_mul_u64_e32 v[10:11], s[80:81], v[18:19]
	v_subrev_nc_u32_e32 v19, 32, v23
	v_add_max_i32_e64 v39, v23, -16, v18
	v_dual_add_nc_u32 v23, v33, v22 :: v_dual_lshlrev_b32 v76, 3, v25
	v_cmp_gt_i32_e64 s12, s88, v14
	s_and_b32 s10, s11, s2
	v_lshl_add_u32 v25, v38, 6, v2
	v_writelane_b32 v106, s10, 7
	v_dual_cndmask_b32 v23, v24, v23 :: v_dual_add_nc_u32 v22, v38, v22
	v_cmp_gt_i32_e64 s13, s88, v19
	s_and_b32 s10, s12, s2
	s_clause 0x1
	s_load_b128 s[68:71], s[0:1], 0x8
	s_load_b128 s[72:75], s[0:1], 0x30
	v_writelane_b32 v106, s10, 8
	v_lshlrev_b32_e32 v79, 3, v23
	v_mbcnt_lo_u32_b32 v23, -1, 0
	v_cndmask_b32_e32 v22, v25, v22, vcc_lo
	v_cmp_le_i32_e32 vcc_lo, s20, v46
	s_wait_xcnt 0x0
	v_cmp_ge_u32_e64 s0, v2, v46
	s_and_b32 s10, s13, s2
	v_cmp_ge_u32_e64 s1, v2, v32
	v_writelane_b32 v106, s10, 9
	v_cmp_le_i32_e64 s10, s20, v32
	s_or_b32 s12, vcc_lo, s14
	v_cmp_le_i32_e32 vcc_lo, s20, v33
	s_or_b32 s12, s12, s0
	v_cmp_ge_u32_e64 s8, v2, v33
	v_writelane_b32 v106, s12, 10
	s_or_b32 s10, s10, s14
	v_cmp_le_i32_e64 s11, s20, v38
	s_or_b32 s10, s10, s1
	v_cmp_ge_u32_e64 s9, v2, v38
	v_writelane_b32 v106, s10, 11
	s_or_b32 s10, vcc_lo, s14
	s_or_b32 s11, s11, s14
	s_or_b32 s10, s10, s8
	v_cmp_ne_u32_e64 s12, v2, v33
	v_writelane_b32 v106, s10, 12
	s_or_b32 s10, s11, s9
	v_cmp_ne_u32_e64 s11, v2, v32
	v_cmp_ne_u32_e64 s13, v2, v38
	s_mov_b32 s25, s23
	v_writelane_b32 v106, s10, 13
	v_cmp_ne_u32_e64 s10, v2, v46
	s_mov_b32 s23, s22
                                        ; implicit-def: $vgpr97 : SGPR spill to VGPR lane
	v_mul_i32_i24_e32 v54, 0xfffffe08, v2
	v_dual_mov_b32 v36, 0 :: v_dual_bitop2_b32 v41, v33, v2 bitop3:0x54
	v_writelane_b32 v106, s10, 14
	s_or_b32 s10, s14, s10
	s_delay_alu instid0(VALU_DEP_3)
	v_mul_lo_u32 v24, v54, 6
	v_mul_u32_u24_e32 v26, 0x1f8, v2
	v_or_b32_e32 v42, v38, v2
	v_writelane_b32 v106, s10, 15
	s_or_b32 s10, s14, s11
	v_lshlrev_b32_e32 v37, 20, v23
	v_mul_u32_u24_e32 v25, 0x1f0, v2
	v_lshlrev_b32_e32 v65, 3, v63
	v_writelane_b32 v106, s11, 16
	v_dual_lshlrev_b32 v69, 3, v2 :: v_dual_sub_nc_u32 v67, 0, v0
	v_mad_u32 v24, v26, 7, v24
	v_lshlrev_b32_e32 v84, 3, v22
	v_writelane_b32 v106, s10, 17
	s_or_b32 s10, s14, s12
	v_add_nc_u64_e32 v[22:23], src_flat_scratch_base_lo, v[36:37]
	v_dual_mov_b32 v36, 8 :: v_dual_sub_nc_u32 v68, v65, v0
	v_writelane_b32 v106, s12, 18
	v_add_nc_u32_e32 v0, s18, v4
	v_mad_u32_u24 v70, 0x1f8, v2, v69
	v_add_nc_u64_e32 v[16:17], s[18:19], v[4:5]
	v_mad_nc_u64_u32 v[12:13], s16, v46, v[20:21]
	v_writelane_b32 v106, s10, 19
	s_or_b32 s10, s14, s13
	v_mad_i32_i24 v5, 0xfffffe08, v2, v70
	v_mul_u64_e32 v[28:29], s[80:81], v[0:1]
	v_mad_nc_u64_u32 v[14:15], s16, v32, v[20:21]
	v_writelane_b32 v106, s13, 20
	v_mul_u64_e32 v[16:17], s[80:81], v[16:17]
	v_mad_u32_u24 v71, 0x1f8, v2, v5
	v_mad_nc_u64_u32 v[18:19], s16, v33, v[20:21]
	v_mad_nc_u64_u32 v[20:21], s16, v38, v[20:21]
	v_writelane_b32 v106, s10, 21
	v_cmp_le_i32_e64 s10, s88, v39
	v_mad_i32_i24 v72, 0xfffffe08, v2, v71
	v_dual_lshlrev_b32 v26, 3, v46 :: v_dual_sub_nc_u32 v86, v24, v25
	v_writelane_b32 v106, s24, 22
	v_add_nc_u64_e32 v[24:25], src_flat_scratch_base_lo, v[36:37]
	s_delay_alu instid0(VALU_DEP_4)
	v_mad_u32_u24 v73, 0x1f8, v2, v72
	v_mov_b32_e32 v36, 16
	v_or_b32_e32 v87, 0xa000, v26
	v_writelane_b32 v106, s25, 23
	v_mad_u32 v13, s17, v46, v13
	v_mad_i32_i24 v75, 0xfffffe08, v2, v73
	v_mad_u32 v15, s17, v32, v15
	v_mad_u32 v19, s17, v33, v19
	v_writelane_b32 v106, s22, 24
	v_mad_u32 v21, s17, v38, v21
	v_mad_u32_u24 v77, 0x1f8, v2, v75
	v_dual_lshlrev_b32 v43, 9, v63 :: v_dual_add_nc_u32 v93, v87, v69
	v_writelane_b32 v106, s23, 25
	v_mov_b64_e32 v[30:31], 0
	s_delay_alu instid0(VALU_DEP_4)
	v_mad_i32_i24 v78, 0xfffffe08, v2, v77
	v_cmp_lt_u32_e32 vcc_lo, 0x3ff, v34
	v_lshl_add_u32 v89, v4, 3, 0xa000
	v_writelane_b32 v106, s10, 26
	v_cmp_gt_u32_e64 s10, 64, v35
	v_mad_u32_u24 v80, 0x1f8, v2, v78
	v_lshl_add_u32 v90, v34, 3, 0x8000
	v_add_nc_u32_e32 v91, 0x8000, v69
	v_or_b32_e32 v94, 0x3c00, v65
	v_writelane_b32 v106, s10, 27
	v_cmp_gt_u32_e64 s10, 64, v40
	v_mad_i32_i24 v81, 0xfffffe08, v2, v80
	v_add_nc_u32_e32 v95, v65, v43
	v_subrev_nc_u32_e32 v96, 31, v63
	v_cmp_eq_u32_e64 s14, 0, v35
	v_writelane_b32 v106, s10, 28
	v_cmp_gt_u32_e64 s10, 0xf0, v34
	v_mad_u32_u24 v82, 0x1f8, v2, v81
	v_lshl_add_u32 v92, v46, 9, v81
	v_cmp_gt_u32_e64 s18, 2, v34
	v_cmp_gt_u32_e64 s19, 12, v34
	v_writelane_b32 v106, s10, 29
	v_cmp_gt_u32_e64 s10, 0xe0, v34
	v_mad_i32_i24 v83, 0xfffffe08, v2, v82
	v_cmp_gt_u32_e64 s20, 8, v34
	v_cmp_gt_u32_e64 s21, 56, v34
	;; [unrolled: 1-line block ×3, first 2 shown]
	v_writelane_b32 v106, s10, 30
	v_cmp_gt_u32_e64 s10, 0xd0, v34
	v_mad_u32_u24 v85, 0x1f8, v2, v83
	v_cmp_gt_u32_e64 s23, 40, v34
	v_cmp_gt_u32_e64 s24, 32, v34
	;; [unrolled: 1-line block ×3, first 2 shown]
	v_writelane_b32 v106, s10, 31
	v_cmp_gt_u32_e64 s10, 0xc0, v34
	v_add_nc_u32_e32 v88, v85, v26
	v_add_nc_u64_e32 v[26:27], src_flat_scratch_base_lo, v[36:37]
	v_mov_b32_e32 v36, 24
	v_cmp_gt_u32_e64 s13, 0x60, v34
	v_writelane_b32 v97, s10, 0
	v_cmp_gt_u32_e64 s10, 0xb0, v34
	v_cmp_gt_u32_e64 s38, 0x400, v34
	v_add_nc_u64_e32 v[32:33], src_flat_scratch_base_lo, v[36:37]
	v_cmp_eq_u32_e64 s39, 0, v4
	v_cmp_gt_u32_e64 s40, 64, v4
	v_writelane_b32 v97, s10, 1
	v_cmp_gt_u32_e64 s10, 0xa0, v34
	s_xor_b32 s17, vcc_lo, -1
	s_wait_kmcnt 0x0
	s_lshl_b64 s[70:71], s[70:71], 3
	s_lshl_b64 s[74:75], s[74:75], 3
	v_writelane_b32 v97, s10, 2
	v_cmp_gt_u32_e64 s10, 0x90, v34
	s_delay_alu instid0(VALU_DEP_1) | instskip(SKIP_1) | instid1(VALU_DEP_1)
	v_writelane_b32 v97, s10, 3
	v_cmp_gt_u32_e64 s10, 0x80, v34
	v_writelane_b32 v97, s10, 4
	v_cmp_gt_u32_e64 s10, 0x70, v34
	s_delay_alu instid0(VALU_DEP_1) | instskip(SKIP_1) | instid1(VALU_DEP_1)
	v_writelane_b32 v97, s10, 5
	v_cmp_gt_u32_e64 s10, 0x50, v34
	;; [unrolled: 5-line block ×14, first 2 shown]
	v_writelane_b32 v97, s10, 30
	v_cmp_gt_u32_e64 s10, 0x120, v34
	s_delay_alu instid0(VALU_DEP_1)
	v_writelane_b32 v97, s10, 31
	s_branch .LBB161_3
.LBB161_2:                              ;   in Loop: Header=BB161_3 Depth=1
	s_wait_xcnt 0x0
	s_or_b32 exec_lo, exec_lo, s10
	s_add_co_i32 s76, s76, 0x10000
	global_wb scope:SCOPE_DEV
	s_wait_storecnt 0x0
	global_inv scope:SCOPE_DEV
	s_cmp_lt_u32 s76, s67
	s_cbranch_scc0 .LBB161_1160
.LBB161_3:                              ; =>This Loop Header: Depth=1
                                        ;     Child Loop BB161_570 Depth 2
                                        ;     Child Loop BB161_1010 Depth 2
                                        ;       Child Loop BB161_1012 Depth 3
                                        ;     Child Loop BB161_1041 Depth 2
	v_mov_b32_e32 v0, s76
	v_readlane_b32 s10, v106, 0
	s_clause 0x1
	global_load_b64 v[34:35], v0, s[68:69] scale_offset
	global_load_b64 v[36:37], v0, s[72:73] scale_offset
	s_and_not1_b32 vcc_lo, exec_lo, s10
	s_wait_loadcnt 0x1
	v_add_nc_u64_e32 v[38:39], s[70:71], v[34:35]
	s_delay_alu instid0(VALU_DEP_1)
	v_lshl_add_u64 v[34:35], v[8:9], 3, v[38:39]
	s_cbranch_vccz .LBB161_6
; %bb.4:                                ;   in Loop: Header=BB161_3 Depth=1
	s_and_not1_b32 vcc_lo, exec_lo, s91
	s_mov_b32 s10, -1
	s_cbranch_vccz .LBB161_17
.LBB161_5:                              ;   in Loop: Header=BB161_3 Depth=1
	s_and_b32 vcc_lo, exec_lo, s10
	s_cbranch_vccnz .LBB161_27
	s_branch .LBB161_84
.LBB161_6:                              ;   in Loop: Header=BB161_3 Depth=1
	s_delay_alu instid0(VALU_DEP_1)
	v_lshl_add_u64 v[40:41], v[6:7], 3, v[34:35]
	v_dual_mov_b32 v42, 0 :: v_dual_mov_b32 v44, 0
	v_mov_b32_e32 v45, 0
	v_readlane_b32 s11, v106, 7
	s_wait_loadcnt 0x0
	s_barrier_signal -1
	s_barrier_wait -1
	s_wait_xcnt 0x0
	s_and_saveexec_b32 s10, s11
	s_cbranch_execz .LBB161_8
; %bb.7:                                ;   in Loop: Header=BB161_3 Depth=1
	flat_load_b64 v[44:45], v[40:41]
.LBB161_8:                              ;   in Loop: Header=BB161_3 Depth=1
	s_wait_xcnt 0x0
	s_or_b32 exec_lo, exec_lo, s10
	v_mov_b32_e32 v43, 0
	v_readlane_b32 s11, v106, 8
	s_wait_loadcnt_dscnt 0x0
	scratch_store_b64 off, v[44:45], off
	s_wait_storecnt 0x0
	s_barrier_signal -1
	s_barrier_wait -1
	s_wait_xcnt 0x0
	s_and_saveexec_b32 s10, s11
	s_cbranch_execz .LBB161_10
; %bb.9:                                ;   in Loop: Header=BB161_3 Depth=1
	flat_load_b64 v[42:43], v[40:41] offset:128
.LBB161_10:                             ;   in Loop: Header=BB161_3 Depth=1
	s_wait_xcnt 0x0
	s_or_b32 exec_lo, exec_lo, s10
	s_wait_loadcnt_dscnt 0x0
	scratch_store_b64 off, v[42:43], off offset:8
	s_wait_xcnt 0x0
	v_dual_mov_b32 v42, 0 :: v_dual_mov_b32 v43, 0
	v_readlane_b32 s11, v106, 9
	s_wait_storecnt 0x0
	s_barrier_signal -1
	s_barrier_wait -1
	s_and_saveexec_b32 s10, s11
	s_cbranch_execz .LBB161_12
; %bb.11:                               ;   in Loop: Header=BB161_3 Depth=1
	flat_load_b64 v[42:43], v[40:41] offset:256
.LBB161_12:                             ;   in Loop: Header=BB161_3 Depth=1
	s_wait_xcnt 0x0
	s_or_b32 exec_lo, exec_lo, s10
	v_readlane_b32 s11, v106, 26
	s_wait_loadcnt_dscnt 0x0
	scratch_store_b64 off, v[42:43], off offset:16
	s_wait_storecnt 0x0
	s_barrier_signal -1
	s_barrier_wait -1
	s_wait_xcnt 0x0
	s_and_saveexec_b32 s10, s11
	s_delay_alu instid0(SALU_CYCLE_1)
	s_xor_b32 s10, exec_lo, s10
	s_cbranch_execz .LBB161_14
; %bb.13:                               ;   in Loop: Header=BB161_3 Depth=1
	scratch_store_b64 off, v[30:31], off offset:24
                                        ; implicit-def: $vgpr40_vgpr41
.LBB161_14:                             ;   in Loop: Header=BB161_3 Depth=1
	s_wait_xcnt 0x0
	s_and_not1_saveexec_b32 s10, s10
	s_cbranch_execz .LBB161_16
; %bb.15:                               ;   in Loop: Header=BB161_3 Depth=1
	flat_load_b64 v[40:41], v[40:41] offset:384
	s_wait_loadcnt_dscnt 0x0
	scratch_store_b64 off, v[40:41], off offset:24
.LBB161_16:                             ;   in Loop: Header=BB161_3 Depth=1
	s_wait_xcnt 0x0
	s_or_b32 exec_lo, exec_lo, s10
	s_delay_alu instid0(SALU_CYCLE_1)
	s_and_not1_b32 vcc_lo, exec_lo, s91
	s_mov_b32 s10, -1
	s_cbranch_vccnz .LBB161_5
.LBB161_17:                             ;   in Loop: Header=BB161_3 Depth=1
	s_wait_xcnt 0x0
	s_and_saveexec_b32 s10, s0
	s_delay_alu instid0(SALU_CYCLE_1)
	s_xor_b32 s16, exec_lo, s10
	s_cbranch_execnz .LBB161_1054
; %bb.18:                               ;   in Loop: Header=BB161_3 Depth=1
	s_and_not1_saveexec_b32 s10, s16
	s_cbranch_execnz .LBB161_1065
.LBB161_19:                             ;   in Loop: Header=BB161_3 Depth=1
	s_or_b32 exec_lo, exec_lo, s10
	s_and_saveexec_b32 s10, s1
	s_delay_alu instid0(SALU_CYCLE_1)
	s_xor_b32 s16, exec_lo, s10
	s_cbranch_execnz .LBB161_1066
.LBB161_20:                             ;   in Loop: Header=BB161_3 Depth=1
	s_and_not1_saveexec_b32 s10, s16
	s_cbranch_execnz .LBB161_1077
.LBB161_21:                             ;   in Loop: Header=BB161_3 Depth=1
	s_or_b32 exec_lo, exec_lo, s10
	s_and_saveexec_b32 s10, s8
	s_delay_alu instid0(SALU_CYCLE_1)
	s_xor_b32 s16, exec_lo, s10
	s_cbranch_execnz .LBB161_1078
.LBB161_22:                             ;   in Loop: Header=BB161_3 Depth=1
	s_and_not1_saveexec_b32 s10, s16
	s_cbranch_execnz .LBB161_1089
.LBB161_23:                             ;   in Loop: Header=BB161_3 Depth=1
	s_or_b32 exec_lo, exec_lo, s10
	s_and_saveexec_b32 s10, s9
	s_delay_alu instid0(SALU_CYCLE_1)
	s_xor_b32 s16, exec_lo, s10
	s_cbranch_execnz .LBB161_1090
.LBB161_24:                             ;   in Loop: Header=BB161_3 Depth=1
	s_and_not1_saveexec_b32 s10, s16
	s_cbranch_execz .LBB161_26
.LBB161_25:                             ;   in Loop: Header=BB161_3 Depth=1
	v_lshl_add_u64 v[40:41], v[20:21], 3, v[38:39]
	flat_load_b64 v[40:41], v[40:41]
	s_wait_loadcnt_dscnt 0x0
	v_pk_add_f32 v[40:41], v[40:41], 0 neg_lo:[1,1] neg_hi:[1,1]
	ds_store_b64 v84, v[40:41]
.LBB161_26:                             ;   in Loop: Header=BB161_3 Depth=1
	s_or_b32 exec_lo, exec_lo, s10
	s_branch .LBB161_84
.LBB161_27:                             ;   in Loop: Header=BB161_3 Depth=1
	v_readlane_b32 s11, v106, 10
	s_wait_xcnt 0x0
	s_and_saveexec_b32 s10, s11
	s_delay_alu instid0(SALU_CYCLE_1)
	s_xor_b32 s16, exec_lo, s10
	s_cbranch_execz .LBB161_39
; %bb.28:                               ;   in Loop: Header=BB161_3 Depth=1
	v_readlane_b32 s11, v106, 15
	s_and_saveexec_b32 s10, s11
	s_delay_alu instid0(SALU_CYCLE_1)
	s_xor_b32 s10, exec_lo, s10
	s_cbranch_execz .LBB161_32
; %bb.29:                               ;   in Loop: Header=BB161_3 Depth=1
	v_readlane_b32 s11, v106, 27
	s_and_saveexec_b32 s66, s11
; %bb.30:                               ;   in Loop: Header=BB161_3 Depth=1
	ds_store_b64 v88, v[30:31]
; %bb.31:                               ;   in Loop: Header=BB161_3 Depth=1
	s_or_b32 exec_lo, exec_lo, s66
.LBB161_32:                             ;   in Loop: Header=BB161_3 Depth=1
	s_and_not1_saveexec_b32 s66, s10
	s_cbranch_execz .LBB161_38
; %bb.33:                               ;   in Loop: Header=BB161_3 Depth=1
	v_lshl_add_u64 v[40:41], v[12:13], 3, v[38:39]
	s_mov_b32 s86, exec_lo
                                        ; implicit-def: $vgpr42_vgpr43
	flat_load_b64 v[40:41], v[40:41]
	s_wait_loadcnt_dscnt 0x0
	v_cmpx_ngt_f32_e64 |v40|, |v41|
	s_xor_b32 s86, exec_lo, s86
	s_cbranch_execz .LBB161_35
; %bb.34:                               ;   in Loop: Header=BB161_3 Depth=1
	v_div_scale_f32 v0, null, v41, v41, v40
	v_div_scale_f32 v44, vcc_lo, v40, v41, v40
	s_delay_alu instid0(VALU_DEP_2) | instskip(SKIP_1) | instid1(TRANS32_DEP_1)
	v_rcp_f32_e32 v42, v0
	v_nop
	v_fma_f32 v43, -v0, v42, 1.0
	s_delay_alu instid0(VALU_DEP_1) | instskip(NEXT) | instid1(VALU_DEP_1)
	v_fmac_f32_e32 v42, v43, v42
	v_mul_f32_e32 v43, v44, v42
	s_delay_alu instid0(VALU_DEP_1) | instskip(NEXT) | instid1(VALU_DEP_1)
	v_fma_f32 v45, -v0, v43, v44
	v_fmac_f32_e32 v43, v45, v42
	s_delay_alu instid0(VALU_DEP_1) | instskip(NEXT) | instid1(VALU_DEP_1)
	v_fma_f32 v0, -v0, v43, v44
	v_div_fmas_f32 v0, v0, v42, v43
	s_delay_alu instid0(VALU_DEP_1) | instskip(NEXT) | instid1(VALU_DEP_1)
	v_div_fixup_f32 v0, v0, v41, v40
	v_fmac_f32_e32 v41, v40, v0
	s_delay_alu instid0(VALU_DEP_1) | instskip(SKIP_1) | instid1(VALU_DEP_2)
	v_div_scale_f32 v40, null, v41, v41, 1.0
	v_div_scale_f32 v44, vcc_lo, 1.0, v41, 1.0
	v_rcp_f32_e32 v42, v40
	v_nop
	s_delay_alu instid0(TRANS32_DEP_1) | instskip(NEXT) | instid1(VALU_DEP_1)
	v_fma_f32 v43, -v40, v42, 1.0
	v_fmac_f32_e32 v42, v43, v42
	s_delay_alu instid0(VALU_DEP_1) | instskip(NEXT) | instid1(VALU_DEP_1)
	v_mul_f32_e32 v43, v44, v42
	v_fma_f32 v45, -v40, v43, v44
	s_delay_alu instid0(VALU_DEP_1) | instskip(NEXT) | instid1(VALU_DEP_1)
	v_fmac_f32_e32 v43, v45, v42
	v_fma_f32 v40, -v40, v43, v44
	s_delay_alu instid0(VALU_DEP_1) | instskip(NEXT) | instid1(VALU_DEP_1)
	v_div_fmas_f32 v40, v40, v42, v43
	v_div_fixup_f32 v40, v40, v41, 1.0
	s_delay_alu instid0(VALU_DEP_1)
	v_mul_f32_e32 v42, v0, v40
	v_xor_b32_e32 v43, 0x80000000, v40
                                        ; implicit-def: $vgpr40_vgpr41
.LBB161_35:                             ;   in Loop: Header=BB161_3 Depth=1
	s_and_not1_saveexec_b32 s86, s86
	s_cbranch_execz .LBB161_37
; %bb.36:                               ;   in Loop: Header=BB161_3 Depth=1
	v_div_scale_f32 v0, null, v40, v40, v41
	v_div_scale_f32 v44, vcc_lo, v41, v40, v41
	s_delay_alu instid0(VALU_DEP_2) | instskip(SKIP_1) | instid1(TRANS32_DEP_1)
	v_rcp_f32_e32 v42, v0
	v_nop
	v_fma_f32 v43, -v0, v42, 1.0
	s_delay_alu instid0(VALU_DEP_1) | instskip(NEXT) | instid1(VALU_DEP_1)
	v_fmac_f32_e32 v42, v43, v42
	v_mul_f32_e32 v43, v44, v42
	s_delay_alu instid0(VALU_DEP_1) | instskip(NEXT) | instid1(VALU_DEP_1)
	v_fma_f32 v45, -v0, v43, v44
	v_fmac_f32_e32 v43, v45, v42
	s_delay_alu instid0(VALU_DEP_1) | instskip(NEXT) | instid1(VALU_DEP_1)
	v_fma_f32 v0, -v0, v43, v44
	v_div_fmas_f32 v0, v0, v42, v43
	s_delay_alu instid0(VALU_DEP_1) | instskip(NEXT) | instid1(VALU_DEP_1)
	v_div_fixup_f32 v0, v0, v40, v41
	v_fmac_f32_e32 v40, v41, v0
	s_delay_alu instid0(VALU_DEP_1) | instskip(NEXT) | instid1(VALU_DEP_1)
	v_div_scale_f32 v41, null, v40, v40, 1.0
	v_rcp_f32_e32 v42, v41
	v_nop
	s_delay_alu instid0(TRANS32_DEP_1) | instskip(NEXT) | instid1(VALU_DEP_1)
	v_fma_f32 v43, -v41, v42, 1.0
	v_fmac_f32_e32 v42, v43, v42
	v_div_scale_f32 v43, vcc_lo, 1.0, v40, 1.0
	s_delay_alu instid0(VALU_DEP_1) | instskip(NEXT) | instid1(VALU_DEP_1)
	v_mul_f32_e32 v44, v43, v42
	v_fma_f32 v45, -v41, v44, v43
	s_delay_alu instid0(VALU_DEP_1) | instskip(NEXT) | instid1(VALU_DEP_1)
	v_fmac_f32_e32 v44, v45, v42
	v_fma_f32 v41, -v41, v44, v43
	s_delay_alu instid0(VALU_DEP_1) | instskip(NEXT) | instid1(VALU_DEP_1)
	v_div_fmas_f32 v41, v41, v42, v44
	v_div_fixup_f32 v42, v41, v40, 1.0
	s_delay_alu instid0(VALU_DEP_1)
	v_mul_f32_e64 v43, v0, -v42
.LBB161_37:                             ;   in Loop: Header=BB161_3 Depth=1
	s_or_b32 exec_lo, exec_lo, s86
	ds_store_b64 v88, v[42:43]
.LBB161_38:                             ;   in Loop: Header=BB161_3 Depth=1
	s_or_b32 exec_lo, exec_lo, s66
.LBB161_39:                             ;   in Loop: Header=BB161_3 Depth=1
	s_and_not1_saveexec_b32 s10, s16
	s_cbranch_execz .LBB161_41
; %bb.40:                               ;   in Loop: Header=BB161_3 Depth=1
	v_lshl_add_u64 v[40:41], v[12:13], 3, v[38:39]
	flat_load_b64 v[40:41], v[40:41]
	s_wait_loadcnt_dscnt 0x0
	v_pk_add_f32 v[40:41], v[40:41], 0 neg_lo:[1,1] neg_hi:[1,1]
	ds_store_b64 v88, v[40:41]
.LBB161_41:                             ;   in Loop: Header=BB161_3 Depth=1
	s_or_b32 exec_lo, exec_lo, s10
	v_readlane_b32 s11, v106, 11
	s_and_saveexec_b32 s10, s11
	s_delay_alu instid0(SALU_CYCLE_1)
	s_xor_b32 s16, exec_lo, s10
	s_cbranch_execz .LBB161_53
; %bb.42:                               ;   in Loop: Header=BB161_3 Depth=1
	v_readlane_b32 s11, v106, 17
	s_and_saveexec_b32 s10, s11
	s_delay_alu instid0(SALU_CYCLE_1)
	s_xor_b32 s10, exec_lo, s10
	s_cbranch_execz .LBB161_46
; %bb.43:                               ;   in Loop: Header=BB161_3 Depth=1
	v_readlane_b32 s11, v106, 28
	s_and_saveexec_b32 s66, s11
; %bb.44:                               ;   in Loop: Header=BB161_3 Depth=1
	ds_store_b64 v76, v[30:31]
; %bb.45:                               ;   in Loop: Header=BB161_3 Depth=1
	s_or_b32 exec_lo, exec_lo, s66
.LBB161_46:                             ;   in Loop: Header=BB161_3 Depth=1
	s_and_not1_saveexec_b32 s66, s10
	s_cbranch_execz .LBB161_52
; %bb.47:                               ;   in Loop: Header=BB161_3 Depth=1
	v_lshl_add_u64 v[40:41], v[14:15], 3, v[38:39]
	s_mov_b32 s86, exec_lo
                                        ; implicit-def: $vgpr42_vgpr43
	flat_load_b64 v[40:41], v[40:41]
	s_wait_loadcnt_dscnt 0x0
	v_cmpx_ngt_f32_e64 |v40|, |v41|
	s_xor_b32 s86, exec_lo, s86
	s_cbranch_execz .LBB161_49
; %bb.48:                               ;   in Loop: Header=BB161_3 Depth=1
	v_div_scale_f32 v0, null, v41, v41, v40
	v_div_scale_f32 v44, vcc_lo, v40, v41, v40
	s_delay_alu instid0(VALU_DEP_2) | instskip(SKIP_1) | instid1(TRANS32_DEP_1)
	v_rcp_f32_e32 v42, v0
	v_nop
	v_fma_f32 v43, -v0, v42, 1.0
	s_delay_alu instid0(VALU_DEP_1) | instskip(NEXT) | instid1(VALU_DEP_1)
	v_fmac_f32_e32 v42, v43, v42
	v_mul_f32_e32 v43, v44, v42
	s_delay_alu instid0(VALU_DEP_1) | instskip(NEXT) | instid1(VALU_DEP_1)
	v_fma_f32 v45, -v0, v43, v44
	v_fmac_f32_e32 v43, v45, v42
	s_delay_alu instid0(VALU_DEP_1) | instskip(NEXT) | instid1(VALU_DEP_1)
	v_fma_f32 v0, -v0, v43, v44
	v_div_fmas_f32 v0, v0, v42, v43
	s_delay_alu instid0(VALU_DEP_1) | instskip(NEXT) | instid1(VALU_DEP_1)
	v_div_fixup_f32 v0, v0, v41, v40
	v_fmac_f32_e32 v41, v40, v0
	s_delay_alu instid0(VALU_DEP_1) | instskip(SKIP_1) | instid1(VALU_DEP_2)
	v_div_scale_f32 v40, null, v41, v41, 1.0
	v_div_scale_f32 v44, vcc_lo, 1.0, v41, 1.0
	v_rcp_f32_e32 v42, v40
	v_nop
	s_delay_alu instid0(TRANS32_DEP_1) | instskip(NEXT) | instid1(VALU_DEP_1)
	v_fma_f32 v43, -v40, v42, 1.0
	v_fmac_f32_e32 v42, v43, v42
	s_delay_alu instid0(VALU_DEP_1) | instskip(NEXT) | instid1(VALU_DEP_1)
	v_mul_f32_e32 v43, v44, v42
	v_fma_f32 v45, -v40, v43, v44
	s_delay_alu instid0(VALU_DEP_1) | instskip(NEXT) | instid1(VALU_DEP_1)
	v_fmac_f32_e32 v43, v45, v42
	v_fma_f32 v40, -v40, v43, v44
	s_delay_alu instid0(VALU_DEP_1) | instskip(NEXT) | instid1(VALU_DEP_1)
	v_div_fmas_f32 v40, v40, v42, v43
	v_div_fixup_f32 v40, v40, v41, 1.0
	s_delay_alu instid0(VALU_DEP_1)
	v_mul_f32_e32 v42, v0, v40
	v_xor_b32_e32 v43, 0x80000000, v40
                                        ; implicit-def: $vgpr40_vgpr41
.LBB161_49:                             ;   in Loop: Header=BB161_3 Depth=1
	s_and_not1_saveexec_b32 s86, s86
	s_cbranch_execz .LBB161_51
; %bb.50:                               ;   in Loop: Header=BB161_3 Depth=1
	v_div_scale_f32 v0, null, v40, v40, v41
	v_div_scale_f32 v44, vcc_lo, v41, v40, v41
	s_delay_alu instid0(VALU_DEP_2) | instskip(SKIP_1) | instid1(TRANS32_DEP_1)
	v_rcp_f32_e32 v42, v0
	v_nop
	v_fma_f32 v43, -v0, v42, 1.0
	s_delay_alu instid0(VALU_DEP_1) | instskip(NEXT) | instid1(VALU_DEP_1)
	v_fmac_f32_e32 v42, v43, v42
	v_mul_f32_e32 v43, v44, v42
	s_delay_alu instid0(VALU_DEP_1) | instskip(NEXT) | instid1(VALU_DEP_1)
	v_fma_f32 v45, -v0, v43, v44
	v_fmac_f32_e32 v43, v45, v42
	s_delay_alu instid0(VALU_DEP_1) | instskip(NEXT) | instid1(VALU_DEP_1)
	v_fma_f32 v0, -v0, v43, v44
	v_div_fmas_f32 v0, v0, v42, v43
	s_delay_alu instid0(VALU_DEP_1) | instskip(NEXT) | instid1(VALU_DEP_1)
	v_div_fixup_f32 v0, v0, v40, v41
	v_fmac_f32_e32 v40, v41, v0
	s_delay_alu instid0(VALU_DEP_1) | instskip(NEXT) | instid1(VALU_DEP_1)
	v_div_scale_f32 v41, null, v40, v40, 1.0
	v_rcp_f32_e32 v42, v41
	v_nop
	s_delay_alu instid0(TRANS32_DEP_1) | instskip(NEXT) | instid1(VALU_DEP_1)
	v_fma_f32 v43, -v41, v42, 1.0
	v_fmac_f32_e32 v42, v43, v42
	v_div_scale_f32 v43, vcc_lo, 1.0, v40, 1.0
	s_delay_alu instid0(VALU_DEP_1) | instskip(NEXT) | instid1(VALU_DEP_1)
	v_mul_f32_e32 v44, v43, v42
	v_fma_f32 v45, -v41, v44, v43
	s_delay_alu instid0(VALU_DEP_1) | instskip(NEXT) | instid1(VALU_DEP_1)
	v_fmac_f32_e32 v44, v45, v42
	v_fma_f32 v41, -v41, v44, v43
	s_delay_alu instid0(VALU_DEP_1) | instskip(NEXT) | instid1(VALU_DEP_1)
	v_div_fmas_f32 v41, v41, v42, v44
	v_div_fixup_f32 v42, v41, v40, 1.0
	s_delay_alu instid0(VALU_DEP_1)
	v_mul_f32_e64 v43, v0, -v42
.LBB161_51:                             ;   in Loop: Header=BB161_3 Depth=1
	s_or_b32 exec_lo, exec_lo, s86
	ds_store_b64 v76, v[42:43]
.LBB161_52:                             ;   in Loop: Header=BB161_3 Depth=1
	s_or_b32 exec_lo, exec_lo, s66
.LBB161_53:                             ;   in Loop: Header=BB161_3 Depth=1
	s_and_not1_saveexec_b32 s10, s16
	s_cbranch_execz .LBB161_55
; %bb.54:                               ;   in Loop: Header=BB161_3 Depth=1
	v_lshl_add_u64 v[40:41], v[14:15], 3, v[38:39]
	flat_load_b64 v[40:41], v[40:41]
	s_wait_loadcnt_dscnt 0x0
	v_pk_add_f32 v[40:41], v[40:41], 0 neg_lo:[1,1] neg_hi:[1,1]
	ds_store_b64 v76, v[40:41]
.LBB161_55:                             ;   in Loop: Header=BB161_3 Depth=1
	s_or_b32 exec_lo, exec_lo, s10
	v_readlane_b32 s11, v106, 12
	s_and_saveexec_b32 s10, s11
	s_delay_alu instid0(SALU_CYCLE_1)
	s_xor_b32 s16, exec_lo, s10
	s_cbranch_execz .LBB161_67
; %bb.56:                               ;   in Loop: Header=BB161_3 Depth=1
	v_readlane_b32 s11, v106, 19
	s_and_saveexec_b32 s10, s11
	s_delay_alu instid0(SALU_CYCLE_1)
	s_xor_b32 s10, exec_lo, s10
	s_cbranch_execz .LBB161_60
; %bb.57:                               ;   in Loop: Header=BB161_3 Depth=1
	v_readlane_b32 s11, v97, 7
	s_and_saveexec_b32 s66, s11
; %bb.58:                               ;   in Loop: Header=BB161_3 Depth=1
	ds_store_b64 v79, v[30:31]
; %bb.59:                               ;   in Loop: Header=BB161_3 Depth=1
	s_or_b32 exec_lo, exec_lo, s66
.LBB161_60:                             ;   in Loop: Header=BB161_3 Depth=1
	s_and_not1_saveexec_b32 s66, s10
	s_cbranch_execz .LBB161_66
; %bb.61:                               ;   in Loop: Header=BB161_3 Depth=1
	v_lshl_add_u64 v[40:41], v[18:19], 3, v[38:39]
	s_mov_b32 s86, exec_lo
                                        ; implicit-def: $vgpr42_vgpr43
	flat_load_b64 v[40:41], v[40:41]
	s_wait_loadcnt_dscnt 0x0
	v_cmpx_ngt_f32_e64 |v40|, |v41|
	s_xor_b32 s86, exec_lo, s86
	s_cbranch_execz .LBB161_63
; %bb.62:                               ;   in Loop: Header=BB161_3 Depth=1
	v_div_scale_f32 v0, null, v41, v41, v40
	v_div_scale_f32 v44, vcc_lo, v40, v41, v40
	s_delay_alu instid0(VALU_DEP_2) | instskip(SKIP_1) | instid1(TRANS32_DEP_1)
	v_rcp_f32_e32 v42, v0
	v_nop
	v_fma_f32 v43, -v0, v42, 1.0
	s_delay_alu instid0(VALU_DEP_1) | instskip(NEXT) | instid1(VALU_DEP_1)
	v_fmac_f32_e32 v42, v43, v42
	v_mul_f32_e32 v43, v44, v42
	s_delay_alu instid0(VALU_DEP_1) | instskip(NEXT) | instid1(VALU_DEP_1)
	v_fma_f32 v45, -v0, v43, v44
	v_fmac_f32_e32 v43, v45, v42
	s_delay_alu instid0(VALU_DEP_1) | instskip(NEXT) | instid1(VALU_DEP_1)
	v_fma_f32 v0, -v0, v43, v44
	v_div_fmas_f32 v0, v0, v42, v43
	s_delay_alu instid0(VALU_DEP_1) | instskip(NEXT) | instid1(VALU_DEP_1)
	v_div_fixup_f32 v0, v0, v41, v40
	v_fmac_f32_e32 v41, v40, v0
	s_delay_alu instid0(VALU_DEP_1) | instskip(SKIP_1) | instid1(VALU_DEP_2)
	v_div_scale_f32 v40, null, v41, v41, 1.0
	v_div_scale_f32 v44, vcc_lo, 1.0, v41, 1.0
	v_rcp_f32_e32 v42, v40
	v_nop
	s_delay_alu instid0(TRANS32_DEP_1) | instskip(NEXT) | instid1(VALU_DEP_1)
	v_fma_f32 v43, -v40, v42, 1.0
	v_fmac_f32_e32 v42, v43, v42
	s_delay_alu instid0(VALU_DEP_1) | instskip(NEXT) | instid1(VALU_DEP_1)
	v_mul_f32_e32 v43, v44, v42
	v_fma_f32 v45, -v40, v43, v44
	s_delay_alu instid0(VALU_DEP_1) | instskip(NEXT) | instid1(VALU_DEP_1)
	v_fmac_f32_e32 v43, v45, v42
	v_fma_f32 v40, -v40, v43, v44
	s_delay_alu instid0(VALU_DEP_1) | instskip(NEXT) | instid1(VALU_DEP_1)
	v_div_fmas_f32 v40, v40, v42, v43
	v_div_fixup_f32 v40, v40, v41, 1.0
	s_delay_alu instid0(VALU_DEP_1)
	v_mul_f32_e32 v42, v0, v40
	v_xor_b32_e32 v43, 0x80000000, v40
                                        ; implicit-def: $vgpr40_vgpr41
.LBB161_63:                             ;   in Loop: Header=BB161_3 Depth=1
	s_and_not1_saveexec_b32 s86, s86
	s_cbranch_execz .LBB161_65
; %bb.64:                               ;   in Loop: Header=BB161_3 Depth=1
	v_div_scale_f32 v0, null, v40, v40, v41
	v_div_scale_f32 v44, vcc_lo, v41, v40, v41
	s_delay_alu instid0(VALU_DEP_2) | instskip(SKIP_1) | instid1(TRANS32_DEP_1)
	v_rcp_f32_e32 v42, v0
	v_nop
	v_fma_f32 v43, -v0, v42, 1.0
	s_delay_alu instid0(VALU_DEP_1) | instskip(NEXT) | instid1(VALU_DEP_1)
	v_fmac_f32_e32 v42, v43, v42
	v_mul_f32_e32 v43, v44, v42
	s_delay_alu instid0(VALU_DEP_1) | instskip(NEXT) | instid1(VALU_DEP_1)
	v_fma_f32 v45, -v0, v43, v44
	v_fmac_f32_e32 v43, v45, v42
	s_delay_alu instid0(VALU_DEP_1) | instskip(NEXT) | instid1(VALU_DEP_1)
	v_fma_f32 v0, -v0, v43, v44
	v_div_fmas_f32 v0, v0, v42, v43
	s_delay_alu instid0(VALU_DEP_1) | instskip(NEXT) | instid1(VALU_DEP_1)
	v_div_fixup_f32 v0, v0, v40, v41
	v_fmac_f32_e32 v40, v41, v0
	s_delay_alu instid0(VALU_DEP_1) | instskip(NEXT) | instid1(VALU_DEP_1)
	v_div_scale_f32 v41, null, v40, v40, 1.0
	v_rcp_f32_e32 v42, v41
	v_nop
	s_delay_alu instid0(TRANS32_DEP_1) | instskip(NEXT) | instid1(VALU_DEP_1)
	v_fma_f32 v43, -v41, v42, 1.0
	v_fmac_f32_e32 v42, v43, v42
	v_div_scale_f32 v43, vcc_lo, 1.0, v40, 1.0
	s_delay_alu instid0(VALU_DEP_1) | instskip(NEXT) | instid1(VALU_DEP_1)
	v_mul_f32_e32 v44, v43, v42
	v_fma_f32 v45, -v41, v44, v43
	s_delay_alu instid0(VALU_DEP_1) | instskip(NEXT) | instid1(VALU_DEP_1)
	v_fmac_f32_e32 v44, v45, v42
	v_fma_f32 v41, -v41, v44, v43
	s_delay_alu instid0(VALU_DEP_1) | instskip(NEXT) | instid1(VALU_DEP_1)
	v_div_fmas_f32 v41, v41, v42, v44
	v_div_fixup_f32 v42, v41, v40, 1.0
	s_delay_alu instid0(VALU_DEP_1)
	v_mul_f32_e64 v43, v0, -v42
.LBB161_65:                             ;   in Loop: Header=BB161_3 Depth=1
	s_or_b32 exec_lo, exec_lo, s86
	ds_store_b64 v79, v[42:43]
.LBB161_66:                             ;   in Loop: Header=BB161_3 Depth=1
	s_or_b32 exec_lo, exec_lo, s66
.LBB161_67:                             ;   in Loop: Header=BB161_3 Depth=1
	s_and_not1_saveexec_b32 s10, s16
	s_cbranch_execz .LBB161_69
; %bb.68:                               ;   in Loop: Header=BB161_3 Depth=1
	v_lshl_add_u64 v[40:41], v[18:19], 3, v[38:39]
	flat_load_b64 v[40:41], v[40:41]
	s_wait_loadcnt_dscnt 0x0
	v_pk_add_f32 v[40:41], v[40:41], 0 neg_lo:[1,1] neg_hi:[1,1]
	ds_store_b64 v79, v[40:41]
.LBB161_69:                             ;   in Loop: Header=BB161_3 Depth=1
	s_or_b32 exec_lo, exec_lo, s10
	v_readlane_b32 s11, v106, 13
	s_and_saveexec_b32 s10, s11
	s_delay_alu instid0(SALU_CYCLE_1)
	s_xor_b32 s16, exec_lo, s10
	s_cbranch_execz .LBB161_81
; %bb.70:                               ;   in Loop: Header=BB161_3 Depth=1
	v_readlane_b32 s11, v106, 21
	s_and_saveexec_b32 s10, s11
	s_delay_alu instid0(SALU_CYCLE_1)
	s_xor_b32 s10, exec_lo, s10
	s_cbranch_execz .LBB161_74
; %bb.71:                               ;   in Loop: Header=BB161_3 Depth=1
	v_readlane_b32 s11, v97, 8
	s_and_saveexec_b32 s66, s11
; %bb.72:                               ;   in Loop: Header=BB161_3 Depth=1
	ds_store_b64 v84, v[30:31]
; %bb.73:                               ;   in Loop: Header=BB161_3 Depth=1
	s_or_b32 exec_lo, exec_lo, s66
                                        ; implicit-def: $vgpr38_vgpr39
.LBB161_74:                             ;   in Loop: Header=BB161_3 Depth=1
	s_and_not1_saveexec_b32 s66, s10
	s_cbranch_execz .LBB161_80
; %bb.75:                               ;   in Loop: Header=BB161_3 Depth=1
	v_lshl_add_u64 v[38:39], v[20:21], 3, v[38:39]
	s_mov_b32 s86, exec_lo
                                        ; implicit-def: $vgpr40_vgpr41
	flat_load_b64 v[38:39], v[38:39]
	s_wait_loadcnt_dscnt 0x0
	v_cmpx_ngt_f32_e64 |v38|, |v39|
	s_xor_b32 s86, exec_lo, s86
	s_cbranch_execz .LBB161_77
; %bb.76:                               ;   in Loop: Header=BB161_3 Depth=1
	v_div_scale_f32 v0, null, v39, v39, v38
	v_div_scale_f32 v42, vcc_lo, v38, v39, v38
	s_delay_alu instid0(VALU_DEP_2) | instskip(SKIP_1) | instid1(TRANS32_DEP_1)
	v_rcp_f32_e32 v40, v0
	v_nop
	v_fma_f32 v41, -v0, v40, 1.0
	s_delay_alu instid0(VALU_DEP_1) | instskip(NEXT) | instid1(VALU_DEP_1)
	v_fmac_f32_e32 v40, v41, v40
	v_mul_f32_e32 v41, v42, v40
	s_delay_alu instid0(VALU_DEP_1) | instskip(NEXT) | instid1(VALU_DEP_1)
	v_fma_f32 v43, -v0, v41, v42
	v_fmac_f32_e32 v41, v43, v40
	s_delay_alu instid0(VALU_DEP_1) | instskip(NEXT) | instid1(VALU_DEP_1)
	v_fma_f32 v0, -v0, v41, v42
	v_div_fmas_f32 v0, v0, v40, v41
	s_delay_alu instid0(VALU_DEP_1) | instskip(NEXT) | instid1(VALU_DEP_1)
	v_div_fixup_f32 v0, v0, v39, v38
	v_fmac_f32_e32 v39, v38, v0
	s_delay_alu instid0(VALU_DEP_1) | instskip(SKIP_1) | instid1(VALU_DEP_2)
	v_div_scale_f32 v38, null, v39, v39, 1.0
	v_div_scale_f32 v42, vcc_lo, 1.0, v39, 1.0
	v_rcp_f32_e32 v40, v38
	v_nop
	s_delay_alu instid0(TRANS32_DEP_1) | instskip(NEXT) | instid1(VALU_DEP_1)
	v_fma_f32 v41, -v38, v40, 1.0
	v_fmac_f32_e32 v40, v41, v40
	s_delay_alu instid0(VALU_DEP_1) | instskip(NEXT) | instid1(VALU_DEP_1)
	v_mul_f32_e32 v41, v42, v40
	v_fma_f32 v43, -v38, v41, v42
	s_delay_alu instid0(VALU_DEP_1) | instskip(NEXT) | instid1(VALU_DEP_1)
	v_fmac_f32_e32 v41, v43, v40
	v_fma_f32 v38, -v38, v41, v42
	s_delay_alu instid0(VALU_DEP_1) | instskip(NEXT) | instid1(VALU_DEP_1)
	v_div_fmas_f32 v38, v38, v40, v41
	v_div_fixup_f32 v38, v38, v39, 1.0
	s_delay_alu instid0(VALU_DEP_1)
	v_mul_f32_e32 v40, v0, v38
	v_xor_b32_e32 v41, 0x80000000, v38
                                        ; implicit-def: $vgpr38_vgpr39
.LBB161_77:                             ;   in Loop: Header=BB161_3 Depth=1
	s_and_not1_saveexec_b32 s86, s86
	s_cbranch_execz .LBB161_79
; %bb.78:                               ;   in Loop: Header=BB161_3 Depth=1
	v_div_scale_f32 v0, null, v38, v38, v39
	v_div_scale_f32 v42, vcc_lo, v39, v38, v39
	s_delay_alu instid0(VALU_DEP_2) | instskip(SKIP_1) | instid1(TRANS32_DEP_1)
	v_rcp_f32_e32 v40, v0
	v_nop
	v_fma_f32 v41, -v0, v40, 1.0
	s_delay_alu instid0(VALU_DEP_1) | instskip(NEXT) | instid1(VALU_DEP_1)
	v_fmac_f32_e32 v40, v41, v40
	v_mul_f32_e32 v41, v42, v40
	s_delay_alu instid0(VALU_DEP_1) | instskip(NEXT) | instid1(VALU_DEP_1)
	v_fma_f32 v43, -v0, v41, v42
	v_fmac_f32_e32 v41, v43, v40
	s_delay_alu instid0(VALU_DEP_1) | instskip(NEXT) | instid1(VALU_DEP_1)
	v_fma_f32 v0, -v0, v41, v42
	v_div_fmas_f32 v0, v0, v40, v41
	s_delay_alu instid0(VALU_DEP_1) | instskip(NEXT) | instid1(VALU_DEP_1)
	v_div_fixup_f32 v0, v0, v38, v39
	v_fmac_f32_e32 v38, v39, v0
	s_delay_alu instid0(VALU_DEP_1) | instskip(NEXT) | instid1(VALU_DEP_1)
	v_div_scale_f32 v39, null, v38, v38, 1.0
	v_rcp_f32_e32 v40, v39
	v_nop
	s_delay_alu instid0(TRANS32_DEP_1) | instskip(NEXT) | instid1(VALU_DEP_1)
	v_fma_f32 v41, -v39, v40, 1.0
	v_fmac_f32_e32 v40, v41, v40
	v_div_scale_f32 v41, vcc_lo, 1.0, v38, 1.0
	s_delay_alu instid0(VALU_DEP_1) | instskip(NEXT) | instid1(VALU_DEP_1)
	v_mul_f32_e32 v42, v41, v40
	v_fma_f32 v43, -v39, v42, v41
	s_delay_alu instid0(VALU_DEP_1) | instskip(NEXT) | instid1(VALU_DEP_1)
	v_fmac_f32_e32 v42, v43, v40
	v_fma_f32 v39, -v39, v42, v41
	s_delay_alu instid0(VALU_DEP_1) | instskip(NEXT) | instid1(VALU_DEP_1)
	v_div_fmas_f32 v39, v39, v40, v42
	v_div_fixup_f32 v40, v39, v38, 1.0
	s_delay_alu instid0(VALU_DEP_1)
	v_mul_f32_e64 v41, v0, -v40
.LBB161_79:                             ;   in Loop: Header=BB161_3 Depth=1
	s_or_b32 exec_lo, exec_lo, s86
	ds_store_b64 v84, v[40:41]
.LBB161_80:                             ;   in Loop: Header=BB161_3 Depth=1
	s_or_b32 exec_lo, exec_lo, s66
                                        ; implicit-def: $vgpr38_vgpr39
.LBB161_81:                             ;   in Loop: Header=BB161_3 Depth=1
	s_and_not1_saveexec_b32 s10, s16
	s_cbranch_execz .LBB161_83
; %bb.82:                               ;   in Loop: Header=BB161_3 Depth=1
	v_lshl_add_u64 v[38:39], v[20:21], 3, v[38:39]
	flat_load_b64 v[38:39], v[38:39]
	s_wait_loadcnt_dscnt 0x0
	v_pk_add_f32 v[38:39], v[38:39], 0 neg_lo:[1,1] neg_hi:[1,1]
	ds_store_b64 v84, v[38:39]
.LBB161_83:                             ;   in Loop: Header=BB161_3 Depth=1
	s_or_b32 exec_lo, exec_lo, s10
.LBB161_84:                             ;   in Loop: Header=BB161_3 Depth=1
	s_delay_alu instid0(SALU_CYCLE_1)
	s_and_not1_b32 vcc_lo, exec_lo, s92
	s_wait_storecnt 0x0
	s_wait_loadcnt_dscnt 0x0
	s_barrier_signal -1
	s_barrier_wait -1
	s_cbranch_vccnz .LBB161_1005
; %bb.85:                               ;   in Loop: Header=BB161_3 Depth=1
	s_wait_xcnt 0x0
	s_and_saveexec_b32 s10, s14
	s_cbranch_execz .LBB161_87
; %bb.86:                               ;   in Loop: Header=BB161_3 Depth=1
	v_add_nc_u32_e64 v0, 0x1f0, 0
	ds_load_b64 v[42:43], v1 offset:32760
	ds_load_2addr_stride64_b64 v[38:41], v0 offset0:62 offset1:63
	s_wait_dscnt 0x0
	v_dual_mul_f32 v44, v43, v39 :: v_dual_mul_f32 v0, v42, v39
	s_delay_alu instid0(VALU_DEP_1) | instskip(NEXT) | instid1(VALU_DEP_2)
	v_xor_b32_e32 v44, 0x80000000, v44
	v_fmac_f32_e32 v0, v43, v38
	s_delay_alu instid0(VALU_DEP_2) | instskip(NEXT) | instid1(VALU_DEP_2)
	v_fmac_f32_e32 v44, v42, v38
	v_pk_mul_f32 v[38:39], v[0:1], v[40:41] op_sel:[0,1] op_sel_hi:[0,0]
	v_add_nc_u32_e64 v0, 0x7800, 0
	s_delay_alu instid0(VALU_DEP_2) | instskip(SKIP_1) | instid1(VALU_DEP_2)
	v_pk_fma_f32 v[42:43], v[44:45], v[40:41], v[38:39] op_sel_hi:[0,1,1]
	v_pk_fma_f32 v[38:39], v[44:45], v[40:41], v[38:39] neg_lo:[0,0,1] neg_hi:[0,0,1]
	v_mov_b32_e32 v39, v43
	ds_store_2addr_b64 v0, v[38:39], v[38:39] offset0:191 offset1:254
.LBB161_87:                             ;   in Loop: Header=BB161_3 Depth=1
	s_or_b32 exec_lo, exec_lo, s10
	v_dual_mov_b32 v38, 0 :: v_dual_mov_b32 v39, 0
	s_wait_dscnt 0x0
	s_barrier_signal -1
	s_barrier_wait -1
	global_wb scope:SCOPE_DEV
	s_wait_storecnt 0x0
	global_inv scope:SCOPE_DEV
	s_and_saveexec_b32 s16, s3
	s_cbranch_execz .LBB161_91
; %bb.88:                               ;   in Loop: Header=BB161_3 Depth=1
	ds_load_b64 v[38:39], v48 offset:32224
	ds_load_b64 v[40:41], v49 offset:32752
	s_wait_dscnt 0x0
	v_pk_mul_f32 v[42:43], v[40:41], v[38:39] op_sel:[1,1] op_sel_hi:[0,1]
	s_delay_alu instid0(VALU_DEP_1) | instskip(SKIP_1) | instid1(VALU_DEP_2)
	v_pk_fma_f32 v[44:45], v[40:41], v[38:39], v[42:43] op_sel_hi:[1,0,1]
	v_pk_fma_f32 v[38:39], v[40:41], v[38:39], v[42:43] neg_lo:[0,0,1] neg_hi:[0,0,1]
	v_mov_b32_e32 v39, v45
	s_delay_alu instid0(VALU_DEP_1)
	v_pk_add_f32 v[38:39], v[38:39], 0 op_sel_hi:[1,0]
	s_and_saveexec_b32 s10, s18
	s_cbranch_execz .LBB161_90
; %bb.89:                               ;   in Loop: Header=BB161_3 Depth=1
	ds_load_b64 v[40:41], v69 offset:32736
	ds_load_b64 v[42:43], v1 offset:32760
	s_wait_dscnt 0x0
	v_pk_mul_f32 v[44:45], v[42:43], v[40:41] op_sel:[1,1] op_sel_hi:[0,1]
	s_delay_alu instid0(VALU_DEP_1) | instskip(SKIP_1) | instid1(VALU_DEP_2)
	v_pk_fma_f32 v[98:99], v[42:43], v[40:41], v[44:45] op_sel_hi:[1,0,1]
	v_pk_fma_f32 v[40:41], v[42:43], v[40:41], v[44:45] neg_lo:[0,0,1] neg_hi:[0,0,1]
	v_mov_b32_e32 v41, v99
	s_delay_alu instid0(VALU_DEP_1)
	v_pk_add_f32 v[38:39], v[38:39], v[40:41]
.LBB161_90:                             ;   in Loop: Header=BB161_3 Depth=1
	s_or_b32 exec_lo, exec_lo, s10
.LBB161_91:                             ;   in Loop: Header=BB161_3 Depth=1
	s_delay_alu instid0(SALU_CYCLE_1)
	s_or_b32 exec_lo, exec_lo, s16
	s_and_saveexec_b32 s10, s93
	s_cbranch_execz .LBB161_93
; %bb.92:                               ;   in Loop: Header=BB161_3 Depth=1
	ds_load_b64 v[40:41], v1 offset:31720
	s_wait_dscnt 0x0
	v_pk_mul_f32 v[42:43], v[38:39], v[40:41] op_sel:[1,1] op_sel_hi:[1,0]
	s_delay_alu instid0(VALU_DEP_1) | instskip(SKIP_1) | instid1(VALU_DEP_2)
	v_pk_fma_f32 v[44:45], v[38:39], v[40:41], v[42:43] op_sel_hi:[0,1,1]
	v_pk_fma_f32 v[38:39], v[38:39], v[40:41], v[42:43] neg_lo:[0,0,1] neg_hi:[0,0,1]
	v_mov_b32_e32 v39, v45
	s_delay_alu instid0(VALU_DEP_1)
	v_pk_add_f32 v[40:41], v[38:39], 0 neg_lo:[1,1] neg_hi:[1,1]
	ds_store_b64 v3, v[40:41]
.LBB161_93:                             ;   in Loop: Header=BB161_3 Depth=1
	s_or_b32 exec_lo, exec_lo, s10
	s_wait_loadcnt_dscnt 0x0
	s_barrier_signal -1
	s_barrier_wait -1
	s_and_saveexec_b32 s10, s94
	s_cbranch_execz .LBB161_95
; %bb.94:                               ;   in Loop: Header=BB161_3 Depth=1
	ds_load_b64 v[40:41], v1 offset:31712
	ds_load_b64 v[42:43], v3
	s_wait_dscnt 0x0
	v_pk_mul_f32 v[44:45], v[42:43], v[40:41] op_sel:[1,1] op_sel_hi:[0,1]
	s_delay_alu instid0(VALU_DEP_1) | instskip(SKIP_1) | instid1(VALU_DEP_2)
	v_pk_fma_f32 v[98:99], v[42:43], v[40:41], v[44:45] op_sel_hi:[1,0,1]
	v_pk_fma_f32 v[40:41], v[42:43], v[40:41], v[44:45] neg_lo:[0,0,1] neg_hi:[0,0,1]
	v_mov_b32_e32 v41, v99
	s_delay_alu instid0(VALU_DEP_1)
	v_pk_add_f32 v[38:39], v[38:39], v[40:41] neg_lo:[0,1] neg_hi:[0,1]
.LBB161_95:                             ;   in Loop: Header=BB161_3 Depth=1
	s_or_b32 exec_lo, exec_lo, s10
	s_barrier_signal -1
	s_barrier_wait -1
	s_and_saveexec_b32 s10, s94
	s_cbranch_execz .LBB161_97
; %bb.96:                               ;   in Loop: Header=BB161_3 Depth=1
	ds_load_b64 v[40:41], v1 offset:31200
	s_wait_dscnt 0x0
	v_pk_mul_f32 v[42:43], v[38:39], v[40:41] op_sel:[1,1] op_sel_hi:[1,0]
	s_delay_alu instid0(VALU_DEP_1) | instskip(SKIP_1) | instid1(VALU_DEP_2)
	v_pk_fma_f32 v[44:45], v[38:39], v[40:41], v[42:43] op_sel_hi:[0,1,1]
	v_pk_fma_f32 v[38:39], v[38:39], v[40:41], v[42:43] neg_lo:[0,0,1] neg_hi:[0,0,1]
	v_mov_b32_e32 v39, v45
	s_delay_alu instid0(VALU_DEP_1)
	v_pk_add_f32 v[40:41], v[38:39], 0 neg_lo:[1,1] neg_hi:[1,1]
	ds_store_b64 v3, v[40:41]
.LBB161_97:                             ;   in Loop: Header=BB161_3 Depth=1
	s_or_b32 exec_lo, exec_lo, s10
	s_wait_dscnt 0x0
	s_barrier_signal -1
	s_barrier_wait -1
	s_barrier_signal -1
	s_barrier_wait -1
	s_and_saveexec_b32 s10, s3
; %bb.98:                               ;   in Loop: Header=BB161_3 Depth=1
	ds_store_b64 v50, v[38:39] offset:32736
; %bb.99:                               ;   in Loop: Header=BB161_3 Depth=1
	s_or_b32 exec_lo, exec_lo, s10
	s_wait_dscnt 0x0
	s_barrier_signal -1
	s_barrier_wait -1
	s_barrier_signal -1
	s_barrier_wait -1
	s_and_saveexec_b32 s10, s95
	s_cbranch_execz .LBB161_101
; %bb.100:                              ;   in Loop: Header=BB161_3 Depth=1
	ds_load_b64 v[38:39], v70 offset:32224
	s_wait_dscnt 0x0
	ds_store_b64 v69, v[38:39] offset:31216
	ds_load_b64 v[38:39], v70 offset:32232
	s_wait_dscnt 0x0
	ds_store_b64 v69, v[38:39] offset:31728
.LBB161_101:                            ;   in Loop: Header=BB161_3 Depth=1
	s_or_b32 exec_lo, exec_lo, s10
	s_wait_dscnt 0x0
	s_barrier_signal -1
	s_barrier_wait -1
	s_and_saveexec_b32 s10, s14
	s_cbranch_execz .LBB161_103
; %bb.102:                              ;   in Loop: Header=BB161_3 Depth=1
	v_add_nc_u32_e64 v0, 0x1e0, 0
	ds_load_b64 v[42:43], v1 offset:31720
	ds_load_2addr_stride64_b64 v[38:41], v0 offset0:60 offset1:61
	s_wait_dscnt 0x0
	v_dual_mul_f32 v44, v43, v39 :: v_dual_mul_f32 v0, v42, v39
	s_delay_alu instid0(VALU_DEP_1) | instskip(NEXT) | instid1(VALU_DEP_2)
	v_xor_b32_e32 v44, 0x80000000, v44
	v_fmac_f32_e32 v0, v43, v38
	s_delay_alu instid0(VALU_DEP_2) | instskip(NEXT) | instid1(VALU_DEP_2)
	v_fmac_f32_e32 v44, v42, v38
	v_pk_mul_f32 v[38:39], v[0:1], v[40:41] op_sel:[0,1] op_sel_hi:[0,0]
	v_add_nc_u32_e64 v0, 0x7800, 0
	s_delay_alu instid0(VALU_DEP_2) | instskip(SKIP_1) | instid1(VALU_DEP_2)
	v_pk_fma_f32 v[42:43], v[44:45], v[40:41], v[38:39] op_sel_hi:[0,1,1]
	v_pk_fma_f32 v[38:39], v[44:45], v[40:41], v[38:39] neg_lo:[0,0,1] neg_hi:[0,0,1]
	v_mov_b32_e32 v39, v43
	ds_store_2addr_b64 v0, v[38:39], v[38:39] offset0:61 offset1:124
.LBB161_103:                            ;   in Loop: Header=BB161_3 Depth=1
	s_or_b32 exec_lo, exec_lo, s10
	v_mov_b64_e32 v[38:39], 0
	s_wait_dscnt 0x0
	s_barrier_signal -1
	s_barrier_wait -1
	global_wb scope:SCOPE_DEV
	s_wait_storecnt 0x0
	global_inv scope:SCOPE_DEV
	s_and_saveexec_b32 s16, s5
	s_cbranch_execz .LBB161_109
; %bb.104:                              ;   in Loop: Header=BB161_3 Depth=1
	ds_load_b64 v[38:39], v52 offset:31168
	ds_load_b64 v[40:41], v53 offset:32736
	s_wait_dscnt 0x0
	v_dual_mul_f32 v0, v41, v39 :: v_dual_mul_f32 v39, v40, v39
	s_delay_alu instid0(VALU_DEP_1) | instskip(NEXT) | instid1(VALU_DEP_1)
	v_dual_fma_f32 v0, v40, v38, -v0 :: v_dual_fmac_f32 v39, v41, v38
	v_dual_add_f32 v38, 0, v0 :: v_dual_add_f32 v39, 0, v39
	s_and_saveexec_b32 s10, s19
	s_cbranch_execnz .LBB161_1109
; %bb.105:                              ;   in Loop: Header=BB161_3 Depth=1
	s_or_b32 exec_lo, exec_lo, s10
	s_and_saveexec_b32 s10, s20
	s_cbranch_execnz .LBB161_1110
.LBB161_106:                            ;   in Loop: Header=BB161_3 Depth=1
	s_or_b32 exec_lo, exec_lo, s10
	s_and_saveexec_b32 s10, s3
	s_cbranch_execz .LBB161_108
.LBB161_107:                            ;   in Loop: Header=BB161_3 Depth=1
	ds_load_b64 v[40:41], v5 offset:32704
	ds_load_b64 v[42:43], v1 offset:32760
	s_wait_dscnt 0x0
	v_dual_mul_f32 v0, v43, v41 :: v_dual_mul_f32 v41, v42, v41
	s_delay_alu instid0(VALU_DEP_1) | instskip(NEXT) | instid1(VALU_DEP_1)
	v_dual_fma_f32 v0, v42, v40, -v0 :: v_dual_fmac_f32 v41, v43, v40
	v_dual_add_f32 v38, v38, v0 :: v_dual_add_f32 v39, v39, v41
.LBB161_108:                            ;   in Loop: Header=BB161_3 Depth=1
	s_or_b32 exec_lo, exec_lo, s10
.LBB161_109:                            ;   in Loop: Header=BB161_3 Depth=1
	s_delay_alu instid0(SALU_CYCLE_1)
	s_or_b32 exec_lo, exec_lo, s16
	s_and_saveexec_b32 s10, s96
	s_cbranch_execz .LBB161_111
; %bb.110:                              ;   in Loop: Header=BB161_3 Depth=1
	ds_load_b64 v[40:41], v1 offset:30680
	s_wait_dscnt 0x0
	v_dual_mul_f32 v0, v39, v40 :: v_dual_mul_f32 v42, v39, v41
	s_delay_alu instid0(VALU_DEP_1) | instskip(NEXT) | instid1(VALU_DEP_2)
	v_pk_fma_f32 v[44:45], v[38:39], v[40:41], v[0:1] op_sel:[1,0,0] op_sel_hi:[0,1,0]
	v_pk_fma_f32 v[38:39], v[38:39], v[40:41], v[42:43] op_sel_hi:[1,1,0] neg_lo:[0,0,1] neg_hi:[0,0,1]
	s_delay_alu instid0(VALU_DEP_2) | instskip(NEXT) | instid1(VALU_DEP_1)
	v_mov_b32_e32 v39, v45
	v_pk_add_f32 v[40:41], v[38:39], 0 neg_lo:[1,1] neg_hi:[1,1]
	ds_store_b64 v51, v[40:41]
.LBB161_111:                            ;   in Loop: Header=BB161_3 Depth=1
	s_or_b32 exec_lo, exec_lo, s10
	s_wait_loadcnt_dscnt 0x0
	s_barrier_signal -1
	s_barrier_wait -1
	s_and_saveexec_b32 s10, s97
	s_cbranch_execz .LBB161_113
; %bb.112:                              ;   in Loop: Header=BB161_3 Depth=1
	ds_load_b64 v[40:41], v52 offset:30656
	ds_load_b64 v[42:43], v51
	s_wait_dscnt 0x0
	v_pk_mul_f32 v[44:45], v[42:43], v[40:41] op_sel:[1,1] op_sel_hi:[0,1]
	s_delay_alu instid0(VALU_DEP_1) | instskip(SKIP_1) | instid1(VALU_DEP_2)
	v_pk_fma_f32 v[98:99], v[42:43], v[40:41], v[44:45] op_sel_hi:[1,0,1]
	v_pk_fma_f32 v[40:41], v[42:43], v[40:41], v[44:45] neg_lo:[0,0,1] neg_hi:[0,0,1]
	v_mov_b32_e32 v41, v99
	s_delay_alu instid0(VALU_DEP_1)
	v_pk_add_f32 v[38:39], v[38:39], v[40:41] neg_lo:[0,1] neg_hi:[0,1]
.LBB161_113:                            ;   in Loop: Header=BB161_3 Depth=1
	s_or_b32 exec_lo, exec_lo, s10
	s_barrier_signal -1
	s_barrier_wait -1
	s_and_saveexec_b32 s10, s98
	s_cbranch_execz .LBB161_115
; %bb.114:                              ;   in Loop: Header=BB161_3 Depth=1
	ds_load_b64 v[40:41], v1 offset:30160
	s_wait_dscnt 0x0
	v_pk_mul_f32 v[42:43], v[38:39], v[40:41] op_sel:[1,1] op_sel_hi:[1,0]
	s_delay_alu instid0(VALU_DEP_1) | instskip(SKIP_1) | instid1(VALU_DEP_2)
	v_pk_fma_f32 v[44:45], v[38:39], v[40:41], v[42:43] op_sel_hi:[0,1,1]
	v_pk_fma_f32 v[38:39], v[38:39], v[40:41], v[42:43] neg_lo:[0,0,1] neg_hi:[0,0,1]
	v_mov_b32_e32 v39, v45
	s_delay_alu instid0(VALU_DEP_1)
	v_pk_add_f32 v[40:41], v[38:39], 0 neg_lo:[1,1] neg_hi:[1,1]
	ds_store_b64 v51, v[40:41]
.LBB161_115:                            ;   in Loop: Header=BB161_3 Depth=1
	s_or_b32 exec_lo, exec_lo, s10
	s_wait_dscnt 0x0
	s_barrier_signal -1
	s_barrier_wait -1
	s_and_saveexec_b32 s10, s99
	s_cbranch_execz .LBB161_117
; %bb.116:                              ;   in Loop: Header=BB161_3 Depth=1
	ds_load_b64 v[40:41], v52 offset:30144
	ds_load_b64 v[42:43], v51
	s_wait_dscnt 0x0
	v_pk_mul_f32 v[44:45], v[42:43], v[40:41] op_sel:[1,1] op_sel_hi:[0,1]
	s_delay_alu instid0(VALU_DEP_1) | instskip(SKIP_1) | instid1(VALU_DEP_2)
	v_pk_fma_f32 v[98:99], v[42:43], v[40:41], v[44:45] op_sel_hi:[1,0,1]
	v_pk_fma_f32 v[40:41], v[42:43], v[40:41], v[44:45] neg_lo:[0,0,1] neg_hi:[0,0,1]
	v_mov_b32_e32 v41, v99
	s_delay_alu instid0(VALU_DEP_1)
	v_pk_add_f32 v[38:39], v[38:39], v[40:41] neg_lo:[0,1] neg_hi:[0,1]
.LBB161_117:                            ;   in Loop: Header=BB161_3 Depth=1
	s_or_b32 exec_lo, exec_lo, s10
	s_barrier_signal -1
	s_barrier_wait -1
	s_and_saveexec_b32 s10, s100
	s_cbranch_execz .LBB161_119
; %bb.118:                              ;   in Loop: Header=BB161_3 Depth=1
	ds_load_b64 v[40:41], v1 offset:29640
	s_wait_dscnt 0x0
	v_pk_mul_f32 v[42:43], v[38:39], v[40:41] op_sel:[1,1] op_sel_hi:[1,0]
	s_delay_alu instid0(VALU_DEP_1) | instskip(SKIP_1) | instid1(VALU_DEP_2)
	v_pk_fma_f32 v[44:45], v[38:39], v[40:41], v[42:43] op_sel_hi:[0,1,1]
	v_pk_fma_f32 v[38:39], v[38:39], v[40:41], v[42:43] neg_lo:[0,0,1] neg_hi:[0,0,1]
	v_mov_b32_e32 v39, v45
	s_delay_alu instid0(VALU_DEP_1)
	v_pk_add_f32 v[40:41], v[38:39], 0 neg_lo:[1,1] neg_hi:[1,1]
	ds_store_b64 v51, v[40:41]
.LBB161_119:                            ;   in Loop: Header=BB161_3 Depth=1
	s_or_b32 exec_lo, exec_lo, s10
	s_wait_dscnt 0x0
	;; [unrolled: 35-line block ×3, first 2 shown]
	s_barrier_signal -1
	s_barrier_wait -1
	s_barrier_signal -1
	s_barrier_wait -1
	s_and_saveexec_b32 s10, s5
; %bb.124:                              ;   in Loop: Header=BB161_3 Depth=1
	ds_store_b64 v55, v[38:39] offset:32704
; %bb.125:                              ;   in Loop: Header=BB161_3 Depth=1
	s_or_b32 exec_lo, exec_lo, s10
	s_wait_dscnt 0x0
	s_barrier_signal -1
	s_barrier_wait -1
	s_barrier_signal -1
	s_barrier_wait -1
	s_and_saveexec_b32 s10, s102
	s_cbranch_execz .LBB161_127
; %bb.126:                              ;   in Loop: Header=BB161_3 Depth=1
	ds_load_b64 v[38:39], v71 offset:31168
	s_wait_dscnt 0x0
	ds_store_b64 v72, v[38:39] offset:29152
	ds_load_b64 v[38:39], v71 offset:31176
	s_wait_dscnt 0x0
	ds_store_b64 v72, v[38:39] offset:29664
	;; [unrolled: 3-line block ×4, first 2 shown]
.LBB161_127:                            ;   in Loop: Header=BB161_3 Depth=1
	s_or_b32 exec_lo, exec_lo, s10
	s_wait_dscnt 0x0
	s_barrier_signal -1
	s_barrier_wait -1
	s_and_saveexec_b32 s10, s14
	s_cbranch_execz .LBB161_129
; %bb.128:                              ;   in Loop: Header=BB161_3 Depth=1
	v_add_nc_u32_e64 v0, 0x1d0, 0
	ds_load_b64 v[42:43], v1 offset:30680
	ds_load_2addr_stride64_b64 v[38:41], v0 offset0:58 offset1:59
	s_wait_dscnt 0x0
	v_dual_mul_f32 v44, v43, v39 :: v_dual_mul_f32 v0, v42, v39
	s_delay_alu instid0(VALU_DEP_1) | instskip(NEXT) | instid1(VALU_DEP_2)
	v_xor_b32_e32 v44, 0x80000000, v44
	v_fmac_f32_e32 v0, v43, v38
	s_delay_alu instid0(VALU_DEP_2) | instskip(NEXT) | instid1(VALU_DEP_2)
	v_fmac_f32_e32 v44, v42, v38
	v_pk_mul_f32 v[38:39], v[0:1], v[40:41] op_sel:[0,1] op_sel_hi:[0,0]
	v_add_nc_u32_e64 v0, 0x7000, 0
	s_delay_alu instid0(VALU_DEP_2) | instskip(SKIP_1) | instid1(VALU_DEP_2)
	v_pk_fma_f32 v[42:43], v[44:45], v[40:41], v[38:39] op_sel_hi:[0,1,1]
	v_pk_fma_f32 v[38:39], v[44:45], v[40:41], v[38:39] neg_lo:[0,0,1] neg_hi:[0,0,1]
	v_mov_b32_e32 v39, v43
	ds_store_2addr_b64 v0, v[38:39], v[38:39] offset0:187 offset1:250
.LBB161_129:                            ;   in Loop: Header=BB161_3 Depth=1
	s_or_b32 exec_lo, exec_lo, s10
	v_dual_mov_b32 v38, 0 :: v_dual_mov_b32 v39, 0
	s_wait_dscnt 0x0
	s_barrier_signal -1
	s_barrier_wait -1
	global_wb scope:SCOPE_DEV
	s_wait_storecnt 0x0
	global_inv scope:SCOPE_DEV
	s_and_saveexec_b32 s16, s3
	s_cbranch_execz .LBB161_133
; %bb.130:                              ;   in Loop: Header=BB161_3 Depth=1
	ds_load_b64 v[38:39], v48 offset:30144
	ds_load_b64 v[40:41], v49 offset:30672
	s_wait_dscnt 0x0
	v_pk_mul_f32 v[42:43], v[40:41], v[38:39] op_sel:[1,1] op_sel_hi:[0,1]
	s_delay_alu instid0(VALU_DEP_1) | instskip(SKIP_1) | instid1(VALU_DEP_2)
	v_pk_fma_f32 v[44:45], v[40:41], v[38:39], v[42:43] op_sel_hi:[1,0,1]
	v_pk_fma_f32 v[38:39], v[40:41], v[38:39], v[42:43] neg_lo:[0,0,1] neg_hi:[0,0,1]
	v_mov_b32_e32 v39, v45
	s_delay_alu instid0(VALU_DEP_1)
	v_pk_add_f32 v[38:39], v[38:39], 0 op_sel_hi:[1,0]
	s_and_saveexec_b32 s10, s18
	s_cbranch_execz .LBB161_132
; %bb.131:                              ;   in Loop: Header=BB161_3 Depth=1
	ds_load_b64 v[40:41], v72 offset:30656
	ds_load_b64 v[42:43], v1 offset:30680
	s_wait_dscnt 0x0
	v_pk_mul_f32 v[44:45], v[42:43], v[40:41] op_sel:[1,1] op_sel_hi:[0,1]
	s_delay_alu instid0(VALU_DEP_1) | instskip(SKIP_1) | instid1(VALU_DEP_2)
	v_pk_fma_f32 v[98:99], v[42:43], v[40:41], v[44:45] op_sel_hi:[1,0,1]
	v_pk_fma_f32 v[40:41], v[42:43], v[40:41], v[44:45] neg_lo:[0,0,1] neg_hi:[0,0,1]
	v_mov_b32_e32 v41, v99
	s_delay_alu instid0(VALU_DEP_1)
	v_pk_add_f32 v[38:39], v[38:39], v[40:41]
.LBB161_132:                            ;   in Loop: Header=BB161_3 Depth=1
	s_or_b32 exec_lo, exec_lo, s10
.LBB161_133:                            ;   in Loop: Header=BB161_3 Depth=1
	s_delay_alu instid0(SALU_CYCLE_1)
	s_or_b32 exec_lo, exec_lo, s16
	s_and_saveexec_b32 s10, s93
	s_cbranch_execz .LBB161_135
; %bb.134:                              ;   in Loop: Header=BB161_3 Depth=1
	ds_load_b64 v[40:41], v1 offset:29640
	s_wait_dscnt 0x0
	v_pk_mul_f32 v[42:43], v[38:39], v[40:41] op_sel:[1,1] op_sel_hi:[1,0]
	s_delay_alu instid0(VALU_DEP_1) | instskip(SKIP_1) | instid1(VALU_DEP_2)
	v_pk_fma_f32 v[44:45], v[38:39], v[40:41], v[42:43] op_sel_hi:[0,1,1]
	v_pk_fma_f32 v[38:39], v[38:39], v[40:41], v[42:43] neg_lo:[0,0,1] neg_hi:[0,0,1]
	v_mov_b32_e32 v39, v45
	s_delay_alu instid0(VALU_DEP_1)
	v_pk_add_f32 v[40:41], v[38:39], 0 neg_lo:[1,1] neg_hi:[1,1]
	ds_store_b64 v3, v[40:41]
.LBB161_135:                            ;   in Loop: Header=BB161_3 Depth=1
	s_or_b32 exec_lo, exec_lo, s10
	s_wait_loadcnt_dscnt 0x0
	s_barrier_signal -1
	s_barrier_wait -1
	s_and_saveexec_b32 s10, s94
	s_cbranch_execz .LBB161_137
; %bb.136:                              ;   in Loop: Header=BB161_3 Depth=1
	ds_load_b64 v[40:41], v1 offset:29632
	ds_load_b64 v[42:43], v3
	s_wait_dscnt 0x0
	v_pk_mul_f32 v[44:45], v[42:43], v[40:41] op_sel:[1,1] op_sel_hi:[0,1]
	s_delay_alu instid0(VALU_DEP_1) | instskip(SKIP_1) | instid1(VALU_DEP_2)
	v_pk_fma_f32 v[98:99], v[42:43], v[40:41], v[44:45] op_sel_hi:[1,0,1]
	v_pk_fma_f32 v[40:41], v[42:43], v[40:41], v[44:45] neg_lo:[0,0,1] neg_hi:[0,0,1]
	v_mov_b32_e32 v41, v99
	s_delay_alu instid0(VALU_DEP_1)
	v_pk_add_f32 v[38:39], v[38:39], v[40:41] neg_lo:[0,1] neg_hi:[0,1]
.LBB161_137:                            ;   in Loop: Header=BB161_3 Depth=1
	s_or_b32 exec_lo, exec_lo, s10
	s_barrier_signal -1
	s_barrier_wait -1
	s_and_saveexec_b32 s10, s94
	s_cbranch_execz .LBB161_139
; %bb.138:                              ;   in Loop: Header=BB161_3 Depth=1
	ds_load_b64 v[40:41], v1 offset:29120
	s_wait_dscnt 0x0
	v_pk_mul_f32 v[42:43], v[38:39], v[40:41] op_sel:[1,1] op_sel_hi:[1,0]
	s_delay_alu instid0(VALU_DEP_1) | instskip(SKIP_1) | instid1(VALU_DEP_2)
	v_pk_fma_f32 v[44:45], v[38:39], v[40:41], v[42:43] op_sel_hi:[0,1,1]
	v_pk_fma_f32 v[38:39], v[38:39], v[40:41], v[42:43] neg_lo:[0,0,1] neg_hi:[0,0,1]
	v_mov_b32_e32 v39, v45
	s_delay_alu instid0(VALU_DEP_1)
	v_pk_add_f32 v[40:41], v[38:39], 0 neg_lo:[1,1] neg_hi:[1,1]
	ds_store_b64 v3, v[40:41]
.LBB161_139:                            ;   in Loop: Header=BB161_3 Depth=1
	s_or_b32 exec_lo, exec_lo, s10
	s_wait_dscnt 0x0
	s_barrier_signal -1
	s_barrier_wait -1
	s_barrier_signal -1
	s_barrier_wait -1
	s_and_saveexec_b32 s10, s3
; %bb.140:                              ;   in Loop: Header=BB161_3 Depth=1
	ds_store_b64 v50, v[38:39] offset:30656
; %bb.141:                              ;   in Loop: Header=BB161_3 Depth=1
	s_or_b32 exec_lo, exec_lo, s10
	s_wait_dscnt 0x0
	s_barrier_signal -1
	s_barrier_wait -1
	s_barrier_signal -1
	s_barrier_wait -1
	s_and_saveexec_b32 s10, s95
	s_cbranch_execz .LBB161_143
; %bb.142:                              ;   in Loop: Header=BB161_3 Depth=1
	ds_load_b64 v[38:39], v73 offset:30144
	s_wait_dscnt 0x0
	ds_store_b64 v72, v[38:39] offset:29136
	ds_load_b64 v[38:39], v73 offset:30152
	s_wait_dscnt 0x0
	ds_store_b64 v72, v[38:39] offset:29648
.LBB161_143:                            ;   in Loop: Header=BB161_3 Depth=1
	s_or_b32 exec_lo, exec_lo, s10
	s_wait_dscnt 0x0
	s_barrier_signal -1
	s_barrier_wait -1
	s_and_saveexec_b32 s10, s14
	s_cbranch_execz .LBB161_145
; %bb.144:                              ;   in Loop: Header=BB161_3 Depth=1
	v_add_nc_u32_e64 v0, 0x1c0, 0
	ds_load_b64 v[42:43], v1 offset:29640
	ds_load_2addr_stride64_b64 v[38:41], v0 offset0:56 offset1:57
	s_wait_dscnt 0x0
	v_dual_mul_f32 v44, v43, v39 :: v_dual_mul_f32 v0, v42, v39
	s_delay_alu instid0(VALU_DEP_1) | instskip(NEXT) | instid1(VALU_DEP_2)
	v_xor_b32_e32 v44, 0x80000000, v44
	v_fmac_f32_e32 v0, v43, v38
	s_delay_alu instid0(VALU_DEP_2) | instskip(NEXT) | instid1(VALU_DEP_2)
	v_fmac_f32_e32 v44, v42, v38
	v_pk_mul_f32 v[38:39], v[0:1], v[40:41] op_sel:[0,1] op_sel_hi:[0,0]
	v_add_nc_u32_e64 v0, 0x7000, 0
	s_delay_alu instid0(VALU_DEP_2) | instskip(SKIP_1) | instid1(VALU_DEP_2)
	v_pk_fma_f32 v[42:43], v[44:45], v[40:41], v[38:39] op_sel_hi:[0,1,1]
	v_pk_fma_f32 v[38:39], v[44:45], v[40:41], v[38:39] neg_lo:[0,0,1] neg_hi:[0,0,1]
	v_mov_b32_e32 v39, v43
	ds_store_2addr_b64 v0, v[38:39], v[38:39] offset0:57 offset1:120
.LBB161_145:                            ;   in Loop: Header=BB161_3 Depth=1
	s_or_b32 exec_lo, exec_lo, s10
	v_mov_b64_e32 v[38:39], 0
	s_wait_dscnt 0x0
	s_barrier_signal -1
	s_barrier_wait -1
	global_wb scope:SCOPE_DEV
	s_wait_storecnt 0x0
	global_inv scope:SCOPE_DEV
	s_and_saveexec_b32 s16, s6
	s_cbranch_execz .LBB161_155
; %bb.146:                              ;   in Loop: Header=BB161_3 Depth=1
	ds_load_b64 v[38:39], v57 offset:29056
	ds_load_b64 v[40:41], v58 offset:32704
	s_wait_dscnt 0x0
	v_dual_mul_f32 v0, v41, v39 :: v_dual_mul_f32 v39, v40, v39
	s_delay_alu instid0(VALU_DEP_1) | instskip(NEXT) | instid1(VALU_DEP_1)
	v_dual_fma_f32 v0, v40, v38, -v0 :: v_dual_fmac_f32 v39, v41, v38
	v_dual_add_f32 v38, 0, v0 :: v_dual_add_f32 v39, 0, v39
	s_and_saveexec_b32 s10, s21
	s_cbranch_execnz .LBB161_1111
; %bb.147:                              ;   in Loop: Header=BB161_3 Depth=1
	s_or_b32 exec_lo, exec_lo, s10
	s_and_saveexec_b32 s10, s22
	s_cbranch_execnz .LBB161_1112
.LBB161_148:                            ;   in Loop: Header=BB161_3 Depth=1
	s_or_b32 exec_lo, exec_lo, s10
	s_and_saveexec_b32 s10, s23
	s_cbranch_execnz .LBB161_1113
.LBB161_149:                            ;   in Loop: Header=BB161_3 Depth=1
	s_or_b32 exec_lo, exec_lo, s10
	s_and_saveexec_b32 s10, s24
	s_cbranch_execnz .LBB161_1114
.LBB161_150:                            ;   in Loop: Header=BB161_3 Depth=1
	s_or_b32 exec_lo, exec_lo, s10
	s_and_saveexec_b32 s10, s25
	s_cbranch_execnz .LBB161_1115
.LBB161_151:                            ;   in Loop: Header=BB161_3 Depth=1
	s_or_b32 exec_lo, exec_lo, s10
	s_and_saveexec_b32 s10, s5
	s_cbranch_execnz .LBB161_1116
.LBB161_152:                            ;   in Loop: Header=BB161_3 Depth=1
	s_or_b32 exec_lo, exec_lo, s10
	s_and_saveexec_b32 s10, s20
	s_cbranch_execz .LBB161_154
.LBB161_153:                            ;   in Loop: Header=BB161_3 Depth=1
	ds_load_b64 v[40:41], v75 offset:32640
	ds_load_b64 v[42:43], v1 offset:32760
	s_wait_dscnt 0x0
	v_dual_mul_f32 v0, v43, v41 :: v_dual_mul_f32 v45, v42, v41
	s_delay_alu instid0(VALU_DEP_1) | instskip(NEXT) | instid1(VALU_DEP_1)
	v_dual_fma_f32 v44, v42, v40, -v0 :: v_dual_fmac_f32 v45, v43, v40
	v_pk_add_f32 v[38:39], v[38:39], v[44:45]
.LBB161_154:                            ;   in Loop: Header=BB161_3 Depth=1
	s_or_b32 exec_lo, exec_lo, s10
.LBB161_155:                            ;   in Loop: Header=BB161_3 Depth=1
	s_delay_alu instid0(SALU_CYCLE_1)
	s_or_b32 exec_lo, exec_lo, s16
	s_and_saveexec_b32 s10, s103
	s_cbranch_execz .LBB161_157
; %bb.156:                              ;   in Loop: Header=BB161_3 Depth=1
	ds_load_b64 v[40:41], v1 offset:28600
	s_wait_dscnt 0x0
	v_pk_mul_f32 v[42:43], v[38:39], v[40:41] op_sel:[1,1] op_sel_hi:[1,0]
	s_delay_alu instid0(VALU_DEP_1) | instskip(SKIP_1) | instid1(VALU_DEP_2)
	v_pk_fma_f32 v[44:45], v[38:39], v[40:41], v[42:43] op_sel_hi:[0,1,1]
	v_pk_fma_f32 v[38:39], v[38:39], v[40:41], v[42:43] neg_lo:[0,0,1] neg_hi:[0,0,1]
	v_mov_b32_e32 v39, v45
	s_delay_alu instid0(VALU_DEP_1)
	v_pk_add_f32 v[40:41], v[38:39], 0 neg_lo:[1,1] neg_hi:[1,1]
	ds_store_b64 v56, v[40:41]
.LBB161_157:                            ;   in Loop: Header=BB161_3 Depth=1
	s_or_b32 exec_lo, exec_lo, s10
	s_wait_loadcnt_dscnt 0x0
	s_barrier_signal -1
	s_barrier_wait -1
	s_and_saveexec_b32 s10, s104
	s_cbranch_execz .LBB161_159
; %bb.158:                              ;   in Loop: Header=BB161_3 Depth=1
	ds_load_b64 v[40:41], v57 offset:28544
	ds_load_b64 v[42:43], v56
	s_wait_dscnt 0x0
	v_pk_mul_f32 v[44:45], v[42:43], v[40:41] op_sel:[1,1] op_sel_hi:[0,1]
	s_delay_alu instid0(VALU_DEP_1) | instskip(SKIP_1) | instid1(VALU_DEP_2)
	v_pk_fma_f32 v[98:99], v[42:43], v[40:41], v[44:45] op_sel_hi:[1,0,1]
	v_pk_fma_f32 v[40:41], v[42:43], v[40:41], v[44:45] neg_lo:[0,0,1] neg_hi:[0,0,1]
	v_mov_b32_e32 v41, v99
	s_delay_alu instid0(VALU_DEP_1)
	v_pk_add_f32 v[38:39], v[38:39], v[40:41] neg_lo:[0,1] neg_hi:[0,1]
.LBB161_159:                            ;   in Loop: Header=BB161_3 Depth=1
	s_or_b32 exec_lo, exec_lo, s10
	s_barrier_signal -1
	s_barrier_wait -1
	s_and_saveexec_b32 s10, vcc_hi
	s_cbranch_execz .LBB161_161
; %bb.160:                              ;   in Loop: Header=BB161_3 Depth=1
	ds_load_b64 v[40:41], v1 offset:28080
	s_wait_dscnt 0x0
	v_pk_mul_f32 v[42:43], v[38:39], v[40:41] op_sel:[1,1] op_sel_hi:[1,0]
	s_delay_alu instid0(VALU_DEP_1) | instskip(SKIP_1) | instid1(VALU_DEP_2)
	v_pk_fma_f32 v[44:45], v[38:39], v[40:41], v[42:43] op_sel_hi:[0,1,1]
	v_pk_fma_f32 v[38:39], v[38:39], v[40:41], v[42:43] neg_lo:[0,0,1] neg_hi:[0,0,1]
	v_mov_b32_e32 v39, v45
	s_delay_alu instid0(VALU_DEP_1)
	v_pk_add_f32 v[40:41], v[38:39], 0 neg_lo:[1,1] neg_hi:[1,1]
	ds_store_b64 v56, v[40:41]
.LBB161_161:                            ;   in Loop: Header=BB161_3 Depth=1
	s_or_b32 exec_lo, exec_lo, s10
	s_wait_dscnt 0x0
	s_barrier_signal -1
	s_barrier_wait -1
	s_and_saveexec_b32 s10, s41
	s_cbranch_execz .LBB161_163
; %bb.162:                              ;   in Loop: Header=BB161_3 Depth=1
	ds_load_b64 v[40:41], v57 offset:28032
	ds_load_b64 v[42:43], v56
	s_wait_dscnt 0x0
	v_pk_mul_f32 v[44:45], v[42:43], v[40:41] op_sel:[1,1] op_sel_hi:[0,1]
	s_delay_alu instid0(VALU_DEP_1) | instskip(SKIP_1) | instid1(VALU_DEP_2)
	v_pk_fma_f32 v[98:99], v[42:43], v[40:41], v[44:45] op_sel_hi:[1,0,1]
	v_pk_fma_f32 v[40:41], v[42:43], v[40:41], v[44:45] neg_lo:[0,0,1] neg_hi:[0,0,1]
	v_mov_b32_e32 v41, v99
	s_delay_alu instid0(VALU_DEP_1)
	v_pk_add_f32 v[38:39], v[38:39], v[40:41] neg_lo:[0,1] neg_hi:[0,1]
.LBB161_163:                            ;   in Loop: Header=BB161_3 Depth=1
	s_or_b32 exec_lo, exec_lo, s10
	s_barrier_signal -1
	s_barrier_wait -1
	s_and_saveexec_b32 s10, s42
	s_cbranch_execz .LBB161_165
; %bb.164:                              ;   in Loop: Header=BB161_3 Depth=1
	ds_load_b64 v[40:41], v1 offset:27560
	s_wait_dscnt 0x0
	v_pk_mul_f32 v[42:43], v[38:39], v[40:41] op_sel:[1,1] op_sel_hi:[1,0]
	s_delay_alu instid0(VALU_DEP_1) | instskip(SKIP_1) | instid1(VALU_DEP_2)
	v_pk_fma_f32 v[44:45], v[38:39], v[40:41], v[42:43] op_sel_hi:[0,1,1]
	v_pk_fma_f32 v[38:39], v[38:39], v[40:41], v[42:43] neg_lo:[0,0,1] neg_hi:[0,0,1]
	v_mov_b32_e32 v39, v45
	s_delay_alu instid0(VALU_DEP_1)
	v_pk_add_f32 v[40:41], v[38:39], 0 neg_lo:[1,1] neg_hi:[1,1]
	ds_store_b64 v56, v[40:41]
.LBB161_165:                            ;   in Loop: Header=BB161_3 Depth=1
	s_or_b32 exec_lo, exec_lo, s10
	s_wait_dscnt 0x0
	s_barrier_signal -1
	s_barrier_wait -1
	s_and_saveexec_b32 s10, s43
	s_cbranch_execz .LBB161_167
; %bb.166:                              ;   in Loop: Header=BB161_3 Depth=1
	ds_load_b64 v[40:41], v57 offset:27520
	ds_load_b64 v[42:43], v56
	s_wait_dscnt 0x0
	v_pk_mul_f32 v[44:45], v[42:43], v[40:41] op_sel:[1,1] op_sel_hi:[0,1]
	s_delay_alu instid0(VALU_DEP_1) | instskip(SKIP_1) | instid1(VALU_DEP_2)
	v_pk_fma_f32 v[98:99], v[42:43], v[40:41], v[44:45] op_sel_hi:[1,0,1]
	v_pk_fma_f32 v[40:41], v[42:43], v[40:41], v[44:45] neg_lo:[0,0,1] neg_hi:[0,0,1]
	v_mov_b32_e32 v41, v99
	s_delay_alu instid0(VALU_DEP_1)
	v_pk_add_f32 v[38:39], v[38:39], v[40:41] neg_lo:[0,1] neg_hi:[0,1]
.LBB161_167:                            ;   in Loop: Header=BB161_3 Depth=1
	s_or_b32 exec_lo, exec_lo, s10
	s_barrier_signal -1
	s_barrier_wait -1
	s_and_saveexec_b32 s10, s44
	s_cbranch_execz .LBB161_169
; %bb.168:                              ;   in Loop: Header=BB161_3 Depth=1
	ds_load_b64 v[40:41], v1 offset:27040
	s_wait_dscnt 0x0
	v_pk_mul_f32 v[42:43], v[38:39], v[40:41]
	v_pk_mul_f32 v[38:39], v[38:39], v[40:41] op_sel:[1,0] op_sel_hi:[0,1]
	s_delay_alu instid0(VALU_DEP_1) | instskip(NEXT) | instid1(VALU_DEP_3)
	v_dual_mov_b32 v40, v42 :: v_dual_mov_b32 v41, v38
	v_mov_b32_e32 v38, v43
	s_delay_alu instid0(VALU_DEP_1) | instskip(SKIP_1) | instid1(VALU_DEP_2)
	v_pk_add_f32 v[42:43], v[40:41], v[38:39]
	v_pk_add_f32 v[38:39], v[40:41], v[38:39] neg_lo:[0,1] neg_hi:[0,1]
	v_mov_b32_e32 v39, v43
	s_delay_alu instid0(VALU_DEP_1)
	v_pk_add_f32 v[40:41], v[38:39], 0 neg_lo:[1,1] neg_hi:[1,1]
	ds_store_b64 v56, v[40:41]
.LBB161_169:                            ;   in Loop: Header=BB161_3 Depth=1
	s_or_b32 exec_lo, exec_lo, s10
	s_wait_dscnt 0x0
	s_barrier_signal -1
	s_barrier_wait -1
	s_and_saveexec_b32 s10, s45
	s_cbranch_execz .LBB161_171
; %bb.170:                              ;   in Loop: Header=BB161_3 Depth=1
	ds_load_b64 v[40:41], v57 offset:27008
	ds_load_b64 v[42:43], v56
	s_wait_dscnt 0x0
	v_dual_mul_f32 v0, v43, v41 :: v_dual_mul_f32 v41, v42, v41
	s_delay_alu instid0(VALU_DEP_1) | instskip(NEXT) | instid1(VALU_DEP_1)
	v_dual_fma_f32 v0, v42, v40, -v0 :: v_dual_fmac_f32 v41, v43, v40
	v_dual_sub_f32 v38, v38, v0 :: v_dual_sub_f32 v39, v39, v41
.LBB161_171:                            ;   in Loop: Header=BB161_3 Depth=1
	s_or_b32 exec_lo, exec_lo, s10
	s_barrier_signal -1
	s_barrier_wait -1
	s_and_saveexec_b32 s10, s46
	s_cbranch_execz .LBB161_173
; %bb.172:                              ;   in Loop: Header=BB161_3 Depth=1
	ds_load_b64 v[40:41], v1 offset:26520
	s_wait_dscnt 0x0
	v_dual_mul_f32 v0, v39, v40 :: v_dual_mul_f32 v42, v39, v41
	s_delay_alu instid0(VALU_DEP_1) | instskip(NEXT) | instid1(VALU_DEP_2)
	v_pk_fma_f32 v[44:45], v[38:39], v[40:41], v[0:1] op_sel:[1,0,0] op_sel_hi:[0,1,0]
	v_pk_fma_f32 v[38:39], v[38:39], v[40:41], v[42:43] op_sel_hi:[1,1,0] neg_lo:[0,0,1] neg_hi:[0,0,1]
	s_delay_alu instid0(VALU_DEP_2) | instskip(NEXT) | instid1(VALU_DEP_1)
	v_mov_b32_e32 v39, v45
	v_pk_add_f32 v[40:41], v[38:39], 0 neg_lo:[1,1] neg_hi:[1,1]
	ds_store_b64 v56, v[40:41]
.LBB161_173:                            ;   in Loop: Header=BB161_3 Depth=1
	s_or_b32 exec_lo, exec_lo, s10
	s_wait_dscnt 0x0
	s_barrier_signal -1
	s_barrier_wait -1
	s_and_saveexec_b32 s10, s47
	s_cbranch_execz .LBB161_175
; %bb.174:                              ;   in Loop: Header=BB161_3 Depth=1
	ds_load_b64 v[40:41], v57 offset:26496
	ds_load_b64 v[42:43], v56
	s_wait_dscnt 0x0
	v_pk_mul_f32 v[44:45], v[42:43], v[40:41] op_sel:[1,1] op_sel_hi:[0,1]
	s_delay_alu instid0(VALU_DEP_1) | instskip(SKIP_1) | instid1(VALU_DEP_2)
	v_pk_fma_f32 v[98:99], v[42:43], v[40:41], v[44:45] op_sel_hi:[1,0,1]
	v_pk_fma_f32 v[40:41], v[42:43], v[40:41], v[44:45] neg_lo:[0,0,1] neg_hi:[0,0,1]
	v_mov_b32_e32 v41, v99
	s_delay_alu instid0(VALU_DEP_1)
	v_pk_add_f32 v[38:39], v[38:39], v[40:41] neg_lo:[0,1] neg_hi:[0,1]
.LBB161_175:                            ;   in Loop: Header=BB161_3 Depth=1
	s_or_b32 exec_lo, exec_lo, s10
	s_barrier_signal -1
	s_barrier_wait -1
	s_and_saveexec_b32 s10, s48
	s_cbranch_execz .LBB161_177
; %bb.176:                              ;   in Loop: Header=BB161_3 Depth=1
	ds_load_b64 v[40:41], v1 offset:26000
	s_wait_dscnt 0x0
	v_pk_mul_f32 v[42:43], v[38:39], v[40:41] op_sel:[1,1] op_sel_hi:[1,0]
	s_delay_alu instid0(VALU_DEP_1) | instskip(SKIP_1) | instid1(VALU_DEP_2)
	v_pk_fma_f32 v[44:45], v[38:39], v[40:41], v[42:43] op_sel_hi:[0,1,1]
	v_pk_fma_f32 v[38:39], v[38:39], v[40:41], v[42:43] neg_lo:[0,0,1] neg_hi:[0,0,1]
	v_mov_b32_e32 v39, v45
	s_delay_alu instid0(VALU_DEP_1)
	v_pk_add_f32 v[40:41], v[38:39], 0 neg_lo:[1,1] neg_hi:[1,1]
	ds_store_b64 v56, v[40:41]
.LBB161_177:                            ;   in Loop: Header=BB161_3 Depth=1
	s_or_b32 exec_lo, exec_lo, s10
	s_wait_dscnt 0x0
	s_barrier_signal -1
	s_barrier_wait -1
	s_and_saveexec_b32 s10, s49
	s_cbranch_execz .LBB161_179
; %bb.178:                              ;   in Loop: Header=BB161_3 Depth=1
	ds_load_b64 v[40:41], v57 offset:25984
	ds_load_b64 v[42:43], v56
	s_wait_dscnt 0x0
	v_pk_mul_f32 v[44:45], v[42:43], v[40:41] op_sel:[1,1] op_sel_hi:[0,1]
	s_delay_alu instid0(VALU_DEP_1) | instskip(SKIP_1) | instid1(VALU_DEP_2)
	v_pk_fma_f32 v[98:99], v[42:43], v[40:41], v[44:45] op_sel_hi:[1,0,1]
	v_pk_fma_f32 v[40:41], v[42:43], v[40:41], v[44:45] neg_lo:[0,0,1] neg_hi:[0,0,1]
	v_mov_b32_e32 v41, v99
	s_delay_alu instid0(VALU_DEP_1)
	v_pk_add_f32 v[38:39], v[38:39], v[40:41] neg_lo:[0,1] neg_hi:[0,1]
.LBB161_179:                            ;   in Loop: Header=BB161_3 Depth=1
	s_or_b32 exec_lo, exec_lo, s10
	s_barrier_signal -1
	s_barrier_wait -1
	s_and_saveexec_b32 s10, s50
	s_cbranch_execz .LBB161_181
; %bb.180:                              ;   in Loop: Header=BB161_3 Depth=1
	ds_load_b64 v[40:41], v1 offset:25480
	s_wait_dscnt 0x0
	v_pk_mul_f32 v[42:43], v[38:39], v[40:41] op_sel:[1,1] op_sel_hi:[1,0]
	s_delay_alu instid0(VALU_DEP_1) | instskip(SKIP_1) | instid1(VALU_DEP_2)
	v_pk_fma_f32 v[44:45], v[38:39], v[40:41], v[42:43] op_sel_hi:[0,1,1]
	v_pk_fma_f32 v[38:39], v[38:39], v[40:41], v[42:43] neg_lo:[0,0,1] neg_hi:[0,0,1]
	v_mov_b32_e32 v39, v45
	s_delay_alu instid0(VALU_DEP_1)
	v_pk_add_f32 v[40:41], v[38:39], 0 neg_lo:[1,1] neg_hi:[1,1]
	ds_store_b64 v56, v[40:41]
.LBB161_181:                            ;   in Loop: Header=BB161_3 Depth=1
	;; [unrolled: 35-line block ×3, first 2 shown]
	s_or_b32 exec_lo, exec_lo, s10
	s_wait_dscnt 0x0
	s_barrier_signal -1
	s_barrier_wait -1
	s_barrier_signal -1
	s_barrier_wait -1
	s_and_saveexec_b32 s10, s6
; %bb.186:                              ;   in Loop: Header=BB161_3 Depth=1
	ds_store_b64 v59, v[38:39] offset:32640
; %bb.187:                              ;   in Loop: Header=BB161_3 Depth=1
	s_or_b32 exec_lo, exec_lo, s10
	s_wait_dscnt 0x0
	s_barrier_signal -1
	s_barrier_wait -1
	s_barrier_signal -1
	s_barrier_wait -1
	s_and_saveexec_b32 s10, s52
	s_cbranch_execz .LBB161_189
; %bb.188:                              ;   in Loop: Header=BB161_3 Depth=1
	ds_load_b64 v[38:39], v77 offset:29056
	s_wait_dscnt 0x0
	ds_store_b64 v78, v[38:39] offset:25024
	ds_load_b64 v[38:39], v77 offset:29064
	s_wait_dscnt 0x0
	ds_store_b64 v78, v[38:39] offset:25536
	;; [unrolled: 3-line block ×8, first 2 shown]
.LBB161_189:                            ;   in Loop: Header=BB161_3 Depth=1
	s_or_b32 exec_lo, exec_lo, s10
	s_wait_dscnt 0x0
	s_barrier_signal -1
	s_barrier_wait -1
	s_and_saveexec_b32 s10, s14
	s_cbranch_execz .LBB161_191
; %bb.190:                              ;   in Loop: Header=BB161_3 Depth=1
	v_add_nc_u32_e64 v0, 0x1b0, 0
	ds_load_b64 v[42:43], v1 offset:28600
	ds_load_2addr_stride64_b64 v[38:41], v0 offset0:54 offset1:55
	s_wait_dscnt 0x0
	v_dual_mul_f32 v44, v43, v39 :: v_dual_mul_f32 v0, v42, v39
	s_delay_alu instid0(VALU_DEP_1) | instskip(NEXT) | instid1(VALU_DEP_2)
	v_xor_b32_e32 v44, 0x80000000, v44
	v_fmac_f32_e32 v0, v43, v38
	s_delay_alu instid0(VALU_DEP_2) | instskip(NEXT) | instid1(VALU_DEP_2)
	v_fmac_f32_e32 v44, v42, v38
	v_pk_mul_f32 v[38:39], v[0:1], v[40:41] op_sel:[0,1] op_sel_hi:[0,0]
	v_add_nc_u32_e64 v0, 0x6800, 0
	s_delay_alu instid0(VALU_DEP_2) | instskip(SKIP_1) | instid1(VALU_DEP_2)
	v_pk_fma_f32 v[42:43], v[44:45], v[40:41], v[38:39] op_sel_hi:[0,1,1]
	v_pk_fma_f32 v[38:39], v[44:45], v[40:41], v[38:39] neg_lo:[0,0,1] neg_hi:[0,0,1]
	v_mov_b32_e32 v39, v43
	ds_store_2addr_b64 v0, v[38:39], v[38:39] offset0:183 offset1:246
.LBB161_191:                            ;   in Loop: Header=BB161_3 Depth=1
	s_or_b32 exec_lo, exec_lo, s10
	v_dual_mov_b32 v38, 0 :: v_dual_mov_b32 v39, 0
	s_wait_dscnt 0x0
	s_barrier_signal -1
	s_barrier_wait -1
	global_wb scope:SCOPE_DEV
	s_wait_storecnt 0x0
	global_inv scope:SCOPE_DEV
	s_and_saveexec_b32 s16, s3
	s_cbranch_execz .LBB161_195
; %bb.192:                              ;   in Loop: Header=BB161_3 Depth=1
	ds_load_b64 v[38:39], v48 offset:28064
	ds_load_b64 v[40:41], v49 offset:28592
	s_wait_dscnt 0x0
	v_pk_mul_f32 v[42:43], v[40:41], v[38:39] op_sel:[1,1] op_sel_hi:[0,1]
	s_delay_alu instid0(VALU_DEP_1) | instskip(SKIP_1) | instid1(VALU_DEP_2)
	v_pk_fma_f32 v[44:45], v[40:41], v[38:39], v[42:43] op_sel_hi:[1,0,1]
	v_pk_fma_f32 v[38:39], v[40:41], v[38:39], v[42:43] neg_lo:[0,0,1] neg_hi:[0,0,1]
	v_mov_b32_e32 v39, v45
	s_delay_alu instid0(VALU_DEP_1)
	v_pk_add_f32 v[38:39], v[38:39], 0 op_sel_hi:[1,0]
	s_and_saveexec_b32 s10, s18
	s_cbranch_execz .LBB161_194
; %bb.193:                              ;   in Loop: Header=BB161_3 Depth=1
	ds_load_b64 v[40:41], v78 offset:28576
	ds_load_b64 v[42:43], v1 offset:28600
	s_wait_dscnt 0x0
	v_pk_mul_f32 v[44:45], v[42:43], v[40:41] op_sel:[1,1] op_sel_hi:[0,1]
	s_delay_alu instid0(VALU_DEP_1) | instskip(SKIP_1) | instid1(VALU_DEP_2)
	v_pk_fma_f32 v[98:99], v[42:43], v[40:41], v[44:45] op_sel_hi:[1,0,1]
	v_pk_fma_f32 v[40:41], v[42:43], v[40:41], v[44:45] neg_lo:[0,0,1] neg_hi:[0,0,1]
	v_mov_b32_e32 v41, v99
	s_delay_alu instid0(VALU_DEP_1)
	v_pk_add_f32 v[38:39], v[38:39], v[40:41]
.LBB161_194:                            ;   in Loop: Header=BB161_3 Depth=1
	s_or_b32 exec_lo, exec_lo, s10
.LBB161_195:                            ;   in Loop: Header=BB161_3 Depth=1
	s_delay_alu instid0(SALU_CYCLE_1)
	s_or_b32 exec_lo, exec_lo, s16
	s_and_saveexec_b32 s10, s93
	s_cbranch_execz .LBB161_197
; %bb.196:                              ;   in Loop: Header=BB161_3 Depth=1
	ds_load_b64 v[40:41], v1 offset:27560
	s_wait_dscnt 0x0
	v_pk_mul_f32 v[42:43], v[38:39], v[40:41] op_sel:[1,1] op_sel_hi:[1,0]
	s_delay_alu instid0(VALU_DEP_1) | instskip(SKIP_1) | instid1(VALU_DEP_2)
	v_pk_fma_f32 v[44:45], v[38:39], v[40:41], v[42:43] op_sel_hi:[0,1,1]
	v_pk_fma_f32 v[38:39], v[38:39], v[40:41], v[42:43] neg_lo:[0,0,1] neg_hi:[0,0,1]
	v_mov_b32_e32 v39, v45
	s_delay_alu instid0(VALU_DEP_1)
	v_pk_add_f32 v[40:41], v[38:39], 0 neg_lo:[1,1] neg_hi:[1,1]
	ds_store_b64 v3, v[40:41]
.LBB161_197:                            ;   in Loop: Header=BB161_3 Depth=1
	s_or_b32 exec_lo, exec_lo, s10
	s_wait_loadcnt_dscnt 0x0
	s_barrier_signal -1
	s_barrier_wait -1
	s_and_saveexec_b32 s10, s94
	s_cbranch_execz .LBB161_199
; %bb.198:                              ;   in Loop: Header=BB161_3 Depth=1
	ds_load_b64 v[40:41], v1 offset:27552
	ds_load_b64 v[42:43], v3
	s_wait_dscnt 0x0
	v_pk_mul_f32 v[44:45], v[42:43], v[40:41] op_sel:[1,1] op_sel_hi:[0,1]
	s_delay_alu instid0(VALU_DEP_1) | instskip(SKIP_1) | instid1(VALU_DEP_2)
	v_pk_fma_f32 v[98:99], v[42:43], v[40:41], v[44:45] op_sel_hi:[1,0,1]
	v_pk_fma_f32 v[40:41], v[42:43], v[40:41], v[44:45] neg_lo:[0,0,1] neg_hi:[0,0,1]
	v_mov_b32_e32 v41, v99
	s_delay_alu instid0(VALU_DEP_1)
	v_pk_add_f32 v[38:39], v[38:39], v[40:41] neg_lo:[0,1] neg_hi:[0,1]
.LBB161_199:                            ;   in Loop: Header=BB161_3 Depth=1
	s_or_b32 exec_lo, exec_lo, s10
	s_barrier_signal -1
	s_barrier_wait -1
	s_and_saveexec_b32 s10, s94
	s_cbranch_execz .LBB161_201
; %bb.200:                              ;   in Loop: Header=BB161_3 Depth=1
	ds_load_b64 v[40:41], v1 offset:27040
	s_wait_dscnt 0x0
	v_pk_mul_f32 v[42:43], v[38:39], v[40:41] op_sel:[1,1] op_sel_hi:[1,0]
	s_delay_alu instid0(VALU_DEP_1) | instskip(SKIP_1) | instid1(VALU_DEP_2)
	v_pk_fma_f32 v[44:45], v[38:39], v[40:41], v[42:43] op_sel_hi:[0,1,1]
	v_pk_fma_f32 v[38:39], v[38:39], v[40:41], v[42:43] neg_lo:[0,0,1] neg_hi:[0,0,1]
	v_mov_b32_e32 v39, v45
	s_delay_alu instid0(VALU_DEP_1)
	v_pk_add_f32 v[40:41], v[38:39], 0 neg_lo:[1,1] neg_hi:[1,1]
	ds_store_b64 v3, v[40:41]
.LBB161_201:                            ;   in Loop: Header=BB161_3 Depth=1
	s_or_b32 exec_lo, exec_lo, s10
	s_wait_dscnt 0x0
	s_barrier_signal -1
	s_barrier_wait -1
	s_barrier_signal -1
	s_barrier_wait -1
	s_and_saveexec_b32 s10, s3
; %bb.202:                              ;   in Loop: Header=BB161_3 Depth=1
	ds_store_b64 v50, v[38:39] offset:28576
; %bb.203:                              ;   in Loop: Header=BB161_3 Depth=1
	s_or_b32 exec_lo, exec_lo, s10
	s_wait_dscnt 0x0
	s_barrier_signal -1
	s_barrier_wait -1
	s_barrier_signal -1
	s_barrier_wait -1
	s_and_saveexec_b32 s10, s95
	s_cbranch_execz .LBB161_205
; %bb.204:                              ;   in Loop: Header=BB161_3 Depth=1
	ds_load_b64 v[38:39], v80 offset:28064
	s_wait_dscnt 0x0
	ds_store_b64 v78, v[38:39] offset:27056
	ds_load_b64 v[38:39], v80 offset:28072
	s_wait_dscnt 0x0
	ds_store_b64 v78, v[38:39] offset:27568
.LBB161_205:                            ;   in Loop: Header=BB161_3 Depth=1
	s_or_b32 exec_lo, exec_lo, s10
	s_wait_dscnt 0x0
	s_barrier_signal -1
	s_barrier_wait -1
	s_and_saveexec_b32 s10, s14
	s_cbranch_execz .LBB161_207
; %bb.206:                              ;   in Loop: Header=BB161_3 Depth=1
	v_add_nc_u32_e64 v0, 0x1a0, 0
	ds_load_b64 v[42:43], v1 offset:27560
	ds_load_2addr_stride64_b64 v[38:41], v0 offset0:52 offset1:53
	s_wait_dscnt 0x0
	v_dual_mul_f32 v44, v43, v39 :: v_dual_mul_f32 v0, v42, v39
	s_delay_alu instid0(VALU_DEP_1) | instskip(NEXT) | instid1(VALU_DEP_2)
	v_xor_b32_e32 v44, 0x80000000, v44
	v_fmac_f32_e32 v0, v43, v38
	s_delay_alu instid0(VALU_DEP_2) | instskip(NEXT) | instid1(VALU_DEP_2)
	v_fmac_f32_e32 v44, v42, v38
	v_pk_mul_f32 v[38:39], v[0:1], v[40:41] op_sel:[0,1] op_sel_hi:[0,0]
	v_add_nc_u32_e64 v0, 0x6800, 0
	s_delay_alu instid0(VALU_DEP_2) | instskip(SKIP_1) | instid1(VALU_DEP_2)
	v_pk_fma_f32 v[42:43], v[44:45], v[40:41], v[38:39] op_sel_hi:[0,1,1]
	v_pk_fma_f32 v[38:39], v[44:45], v[40:41], v[38:39] neg_lo:[0,0,1] neg_hi:[0,0,1]
	v_mov_b32_e32 v39, v43
	ds_store_2addr_b64 v0, v[38:39], v[38:39] offset0:53 offset1:116
.LBB161_207:                            ;   in Loop: Header=BB161_3 Depth=1
	s_or_b32 exec_lo, exec_lo, s10
	v_mov_b64_e32 v[38:39], 0
	s_wait_dscnt 0x0
	s_barrier_signal -1
	s_barrier_wait -1
	global_wb scope:SCOPE_DEV
	s_wait_storecnt 0x0
	global_inv scope:SCOPE_DEV
	s_and_saveexec_b32 s16, s5
	s_cbranch_execz .LBB161_213
; %bb.208:                              ;   in Loop: Header=BB161_3 Depth=1
	ds_load_b64 v[38:39], v52 offset:27008
	ds_load_b64 v[40:41], v53 offset:28576
	s_wait_dscnt 0x0
	v_dual_mul_f32 v0, v41, v39 :: v_dual_mul_f32 v39, v40, v39
	s_delay_alu instid0(VALU_DEP_1) | instskip(NEXT) | instid1(VALU_DEP_1)
	v_dual_fma_f32 v0, v40, v38, -v0 :: v_dual_fmac_f32 v39, v41, v38
	v_dual_add_f32 v38, 0, v0 :: v_dual_add_f32 v39, 0, v39
	s_and_saveexec_b32 s10, s19
	s_cbranch_execnz .LBB161_1117
; %bb.209:                              ;   in Loop: Header=BB161_3 Depth=1
	s_or_b32 exec_lo, exec_lo, s10
	s_and_saveexec_b32 s10, s20
	s_cbranch_execnz .LBB161_1118
.LBB161_210:                            ;   in Loop: Header=BB161_3 Depth=1
	s_or_b32 exec_lo, exec_lo, s10
	s_and_saveexec_b32 s10, s3
	s_cbranch_execz .LBB161_212
.LBB161_211:                            ;   in Loop: Header=BB161_3 Depth=1
	ds_load_b64 v[40:41], v81 offset:28544
	ds_load_b64 v[42:43], v1 offset:28600
	s_wait_dscnt 0x0
	v_dual_mul_f32 v0, v43, v41 :: v_dual_mul_f32 v41, v42, v41
	s_delay_alu instid0(VALU_DEP_1) | instskip(NEXT) | instid1(VALU_DEP_1)
	v_dual_fma_f32 v0, v42, v40, -v0 :: v_dual_fmac_f32 v41, v43, v40
	v_dual_add_f32 v38, v38, v0 :: v_dual_add_f32 v39, v39, v41
.LBB161_212:                            ;   in Loop: Header=BB161_3 Depth=1
	s_or_b32 exec_lo, exec_lo, s10
.LBB161_213:                            ;   in Loop: Header=BB161_3 Depth=1
	s_delay_alu instid0(SALU_CYCLE_1)
	s_or_b32 exec_lo, exec_lo, s16
	s_and_saveexec_b32 s10, s96
	s_cbranch_execz .LBB161_215
; %bb.214:                              ;   in Loop: Header=BB161_3 Depth=1
	ds_load_b64 v[40:41], v1 offset:26520
	s_wait_dscnt 0x0
	v_dual_mul_f32 v0, v39, v40 :: v_dual_mul_f32 v42, v39, v41
	s_delay_alu instid0(VALU_DEP_1) | instskip(NEXT) | instid1(VALU_DEP_2)
	v_pk_fma_f32 v[44:45], v[38:39], v[40:41], v[0:1] op_sel:[1,0,0] op_sel_hi:[0,1,0]
	v_pk_fma_f32 v[38:39], v[38:39], v[40:41], v[42:43] op_sel_hi:[1,1,0] neg_lo:[0,0,1] neg_hi:[0,0,1]
	s_delay_alu instid0(VALU_DEP_2) | instskip(NEXT) | instid1(VALU_DEP_1)
	v_mov_b32_e32 v39, v45
	v_pk_add_f32 v[40:41], v[38:39], 0 neg_lo:[1,1] neg_hi:[1,1]
	ds_store_b64 v51, v[40:41]
.LBB161_215:                            ;   in Loop: Header=BB161_3 Depth=1
	s_or_b32 exec_lo, exec_lo, s10
	s_wait_loadcnt_dscnt 0x0
	s_barrier_signal -1
	s_barrier_wait -1
	s_and_saveexec_b32 s10, s97
	s_cbranch_execz .LBB161_217
; %bb.216:                              ;   in Loop: Header=BB161_3 Depth=1
	ds_load_b64 v[40:41], v52 offset:26496
	ds_load_b64 v[42:43], v51
	s_wait_dscnt 0x0
	v_pk_mul_f32 v[44:45], v[42:43], v[40:41] op_sel:[1,1] op_sel_hi:[0,1]
	s_delay_alu instid0(VALU_DEP_1) | instskip(SKIP_1) | instid1(VALU_DEP_2)
	v_pk_fma_f32 v[98:99], v[42:43], v[40:41], v[44:45] op_sel_hi:[1,0,1]
	v_pk_fma_f32 v[40:41], v[42:43], v[40:41], v[44:45] neg_lo:[0,0,1] neg_hi:[0,0,1]
	v_mov_b32_e32 v41, v99
	s_delay_alu instid0(VALU_DEP_1)
	v_pk_add_f32 v[38:39], v[38:39], v[40:41] neg_lo:[0,1] neg_hi:[0,1]
.LBB161_217:                            ;   in Loop: Header=BB161_3 Depth=1
	s_or_b32 exec_lo, exec_lo, s10
	s_barrier_signal -1
	s_barrier_wait -1
	s_and_saveexec_b32 s10, s98
	s_cbranch_execz .LBB161_219
; %bb.218:                              ;   in Loop: Header=BB161_3 Depth=1
	ds_load_b64 v[40:41], v1 offset:26000
	s_wait_dscnt 0x0
	v_pk_mul_f32 v[42:43], v[38:39], v[40:41] op_sel:[1,1] op_sel_hi:[1,0]
	s_delay_alu instid0(VALU_DEP_1) | instskip(SKIP_1) | instid1(VALU_DEP_2)
	v_pk_fma_f32 v[44:45], v[38:39], v[40:41], v[42:43] op_sel_hi:[0,1,1]
	v_pk_fma_f32 v[38:39], v[38:39], v[40:41], v[42:43] neg_lo:[0,0,1] neg_hi:[0,0,1]
	v_mov_b32_e32 v39, v45
	s_delay_alu instid0(VALU_DEP_1)
	v_pk_add_f32 v[40:41], v[38:39], 0 neg_lo:[1,1] neg_hi:[1,1]
	ds_store_b64 v51, v[40:41]
.LBB161_219:                            ;   in Loop: Header=BB161_3 Depth=1
	s_or_b32 exec_lo, exec_lo, s10
	s_wait_dscnt 0x0
	s_barrier_signal -1
	s_barrier_wait -1
	s_and_saveexec_b32 s10, s99
	s_cbranch_execz .LBB161_221
; %bb.220:                              ;   in Loop: Header=BB161_3 Depth=1
	ds_load_b64 v[40:41], v52 offset:25984
	ds_load_b64 v[42:43], v51
	s_wait_dscnt 0x0
	v_pk_mul_f32 v[44:45], v[42:43], v[40:41] op_sel:[1,1] op_sel_hi:[0,1]
	s_delay_alu instid0(VALU_DEP_1) | instskip(SKIP_1) | instid1(VALU_DEP_2)
	v_pk_fma_f32 v[98:99], v[42:43], v[40:41], v[44:45] op_sel_hi:[1,0,1]
	v_pk_fma_f32 v[40:41], v[42:43], v[40:41], v[44:45] neg_lo:[0,0,1] neg_hi:[0,0,1]
	v_mov_b32_e32 v41, v99
	s_delay_alu instid0(VALU_DEP_1)
	v_pk_add_f32 v[38:39], v[38:39], v[40:41] neg_lo:[0,1] neg_hi:[0,1]
.LBB161_221:                            ;   in Loop: Header=BB161_3 Depth=1
	s_or_b32 exec_lo, exec_lo, s10
	s_barrier_signal -1
	s_barrier_wait -1
	s_and_saveexec_b32 s10, s100
	s_cbranch_execz .LBB161_223
; %bb.222:                              ;   in Loop: Header=BB161_3 Depth=1
	ds_load_b64 v[40:41], v1 offset:25480
	s_wait_dscnt 0x0
	v_pk_mul_f32 v[42:43], v[38:39], v[40:41] op_sel:[1,1] op_sel_hi:[1,0]
	s_delay_alu instid0(VALU_DEP_1) | instskip(SKIP_1) | instid1(VALU_DEP_2)
	v_pk_fma_f32 v[44:45], v[38:39], v[40:41], v[42:43] op_sel_hi:[0,1,1]
	v_pk_fma_f32 v[38:39], v[38:39], v[40:41], v[42:43] neg_lo:[0,0,1] neg_hi:[0,0,1]
	v_mov_b32_e32 v39, v45
	s_delay_alu instid0(VALU_DEP_1)
	v_pk_add_f32 v[40:41], v[38:39], 0 neg_lo:[1,1] neg_hi:[1,1]
	ds_store_b64 v51, v[40:41]
.LBB161_223:                            ;   in Loop: Header=BB161_3 Depth=1
	s_or_b32 exec_lo, exec_lo, s10
	s_wait_dscnt 0x0
	;; [unrolled: 35-line block ×3, first 2 shown]
	s_barrier_signal -1
	s_barrier_wait -1
	s_barrier_signal -1
	s_barrier_wait -1
	s_and_saveexec_b32 s10, s5
; %bb.228:                              ;   in Loop: Header=BB161_3 Depth=1
	ds_store_b64 v55, v[38:39] offset:28544
; %bb.229:                              ;   in Loop: Header=BB161_3 Depth=1
	s_or_b32 exec_lo, exec_lo, s10
	s_wait_dscnt 0x0
	s_barrier_signal -1
	s_barrier_wait -1
	s_barrier_signal -1
	s_barrier_wait -1
	s_and_saveexec_b32 s10, s102
	s_cbranch_execz .LBB161_231
; %bb.230:                              ;   in Loop: Header=BB161_3 Depth=1
	ds_load_b64 v[38:39], v82 offset:27008
	s_wait_dscnt 0x0
	ds_store_b64 v83, v[38:39] offset:24992
	ds_load_b64 v[38:39], v82 offset:27016
	s_wait_dscnt 0x0
	ds_store_b64 v83, v[38:39] offset:25504
	;; [unrolled: 3-line block ×4, first 2 shown]
.LBB161_231:                            ;   in Loop: Header=BB161_3 Depth=1
	s_or_b32 exec_lo, exec_lo, s10
	s_wait_dscnt 0x0
	s_barrier_signal -1
	s_barrier_wait -1
	s_and_saveexec_b32 s10, s14
	s_cbranch_execz .LBB161_233
; %bb.232:                              ;   in Loop: Header=BB161_3 Depth=1
	v_add_nc_u32_e64 v0, 0x190, 0
	ds_load_b64 v[42:43], v1 offset:26520
	ds_load_2addr_stride64_b64 v[38:41], v0 offset0:50 offset1:51
	s_wait_dscnt 0x0
	v_dual_mul_f32 v44, v43, v39 :: v_dual_mul_f32 v0, v42, v39
	s_delay_alu instid0(VALU_DEP_1) | instskip(NEXT) | instid1(VALU_DEP_2)
	v_xor_b32_e32 v44, 0x80000000, v44
	v_fmac_f32_e32 v0, v43, v38
	s_delay_alu instid0(VALU_DEP_2) | instskip(NEXT) | instid1(VALU_DEP_2)
	v_fmac_f32_e32 v44, v42, v38
	v_pk_mul_f32 v[38:39], v[0:1], v[40:41] op_sel:[0,1] op_sel_hi:[0,0]
	v_add_nc_u32_e64 v0, 0x6000, 0
	s_delay_alu instid0(VALU_DEP_2) | instskip(SKIP_1) | instid1(VALU_DEP_2)
	v_pk_fma_f32 v[42:43], v[44:45], v[40:41], v[38:39] op_sel_hi:[0,1,1]
	v_pk_fma_f32 v[38:39], v[44:45], v[40:41], v[38:39] neg_lo:[0,0,1] neg_hi:[0,0,1]
	v_mov_b32_e32 v39, v43
	ds_store_2addr_b64 v0, v[38:39], v[38:39] offset0:179 offset1:242
.LBB161_233:                            ;   in Loop: Header=BB161_3 Depth=1
	s_or_b32 exec_lo, exec_lo, s10
	v_dual_mov_b32 v38, 0 :: v_dual_mov_b32 v39, 0
	s_wait_dscnt 0x0
	s_barrier_signal -1
	s_barrier_wait -1
	global_wb scope:SCOPE_DEV
	s_wait_storecnt 0x0
	global_inv scope:SCOPE_DEV
	s_and_saveexec_b32 s16, s3
	s_cbranch_execz .LBB161_237
; %bb.234:                              ;   in Loop: Header=BB161_3 Depth=1
	ds_load_b64 v[38:39], v48 offset:25984
	ds_load_b64 v[40:41], v49 offset:26512
	s_wait_dscnt 0x0
	v_pk_mul_f32 v[42:43], v[40:41], v[38:39] op_sel:[1,1] op_sel_hi:[0,1]
	s_delay_alu instid0(VALU_DEP_1) | instskip(SKIP_1) | instid1(VALU_DEP_2)
	v_pk_fma_f32 v[44:45], v[40:41], v[38:39], v[42:43] op_sel_hi:[1,0,1]
	v_pk_fma_f32 v[38:39], v[40:41], v[38:39], v[42:43] neg_lo:[0,0,1] neg_hi:[0,0,1]
	v_mov_b32_e32 v39, v45
	s_delay_alu instid0(VALU_DEP_1)
	v_pk_add_f32 v[38:39], v[38:39], 0 op_sel_hi:[1,0]
	s_and_saveexec_b32 s10, s18
	s_cbranch_execz .LBB161_236
; %bb.235:                              ;   in Loop: Header=BB161_3 Depth=1
	ds_load_b64 v[40:41], v83 offset:26496
	ds_load_b64 v[42:43], v1 offset:26520
	s_wait_dscnt 0x0
	v_pk_mul_f32 v[44:45], v[42:43], v[40:41] op_sel:[1,1] op_sel_hi:[0,1]
	s_delay_alu instid0(VALU_DEP_1) | instskip(SKIP_1) | instid1(VALU_DEP_2)
	v_pk_fma_f32 v[98:99], v[42:43], v[40:41], v[44:45] op_sel_hi:[1,0,1]
	v_pk_fma_f32 v[40:41], v[42:43], v[40:41], v[44:45] neg_lo:[0,0,1] neg_hi:[0,0,1]
	v_mov_b32_e32 v41, v99
	s_delay_alu instid0(VALU_DEP_1)
	v_pk_add_f32 v[38:39], v[38:39], v[40:41]
.LBB161_236:                            ;   in Loop: Header=BB161_3 Depth=1
	s_or_b32 exec_lo, exec_lo, s10
.LBB161_237:                            ;   in Loop: Header=BB161_3 Depth=1
	s_delay_alu instid0(SALU_CYCLE_1)
	s_or_b32 exec_lo, exec_lo, s16
	s_and_saveexec_b32 s10, s93
	s_cbranch_execz .LBB161_239
; %bb.238:                              ;   in Loop: Header=BB161_3 Depth=1
	ds_load_b64 v[40:41], v1 offset:25480
	s_wait_dscnt 0x0
	v_pk_mul_f32 v[42:43], v[38:39], v[40:41] op_sel:[1,1] op_sel_hi:[1,0]
	s_delay_alu instid0(VALU_DEP_1) | instskip(SKIP_1) | instid1(VALU_DEP_2)
	v_pk_fma_f32 v[44:45], v[38:39], v[40:41], v[42:43] op_sel_hi:[0,1,1]
	v_pk_fma_f32 v[38:39], v[38:39], v[40:41], v[42:43] neg_lo:[0,0,1] neg_hi:[0,0,1]
	v_mov_b32_e32 v39, v45
	s_delay_alu instid0(VALU_DEP_1)
	v_pk_add_f32 v[40:41], v[38:39], 0 neg_lo:[1,1] neg_hi:[1,1]
	ds_store_b64 v3, v[40:41]
.LBB161_239:                            ;   in Loop: Header=BB161_3 Depth=1
	s_or_b32 exec_lo, exec_lo, s10
	s_wait_loadcnt_dscnt 0x0
	s_barrier_signal -1
	s_barrier_wait -1
	s_and_saveexec_b32 s10, s94
	s_cbranch_execz .LBB161_241
; %bb.240:                              ;   in Loop: Header=BB161_3 Depth=1
	ds_load_b64 v[40:41], v1 offset:25472
	ds_load_b64 v[42:43], v3
	s_wait_dscnt 0x0
	v_pk_mul_f32 v[44:45], v[42:43], v[40:41] op_sel:[1,1] op_sel_hi:[0,1]
	s_delay_alu instid0(VALU_DEP_1) | instskip(SKIP_1) | instid1(VALU_DEP_2)
	v_pk_fma_f32 v[98:99], v[42:43], v[40:41], v[44:45] op_sel_hi:[1,0,1]
	v_pk_fma_f32 v[40:41], v[42:43], v[40:41], v[44:45] neg_lo:[0,0,1] neg_hi:[0,0,1]
	v_mov_b32_e32 v41, v99
	s_delay_alu instid0(VALU_DEP_1)
	v_pk_add_f32 v[38:39], v[38:39], v[40:41] neg_lo:[0,1] neg_hi:[0,1]
.LBB161_241:                            ;   in Loop: Header=BB161_3 Depth=1
	s_or_b32 exec_lo, exec_lo, s10
	s_barrier_signal -1
	s_barrier_wait -1
	s_and_saveexec_b32 s10, s94
	s_cbranch_execz .LBB161_243
; %bb.242:                              ;   in Loop: Header=BB161_3 Depth=1
	ds_load_b64 v[40:41], v1 offset:24960
	s_wait_dscnt 0x0
	v_pk_mul_f32 v[42:43], v[38:39], v[40:41] op_sel:[1,1] op_sel_hi:[1,0]
	s_delay_alu instid0(VALU_DEP_1) | instskip(SKIP_1) | instid1(VALU_DEP_2)
	v_pk_fma_f32 v[44:45], v[38:39], v[40:41], v[42:43] op_sel_hi:[0,1,1]
	v_pk_fma_f32 v[38:39], v[38:39], v[40:41], v[42:43] neg_lo:[0,0,1] neg_hi:[0,0,1]
	v_mov_b32_e32 v39, v45
	s_delay_alu instid0(VALU_DEP_1)
	v_pk_add_f32 v[40:41], v[38:39], 0 neg_lo:[1,1] neg_hi:[1,1]
	ds_store_b64 v3, v[40:41]
.LBB161_243:                            ;   in Loop: Header=BB161_3 Depth=1
	s_or_b32 exec_lo, exec_lo, s10
	s_wait_dscnt 0x0
	s_barrier_signal -1
	s_barrier_wait -1
	s_barrier_signal -1
	s_barrier_wait -1
	s_and_saveexec_b32 s10, s3
; %bb.244:                              ;   in Loop: Header=BB161_3 Depth=1
	ds_store_b64 v50, v[38:39] offset:26496
; %bb.245:                              ;   in Loop: Header=BB161_3 Depth=1
	s_or_b32 exec_lo, exec_lo, s10
	s_wait_dscnt 0x0
	s_barrier_signal -1
	s_barrier_wait -1
	s_barrier_signal -1
	s_barrier_wait -1
	s_and_saveexec_b32 s10, s95
	s_cbranch_execz .LBB161_247
; %bb.246:                              ;   in Loop: Header=BB161_3 Depth=1
	ds_load_b64 v[38:39], v85 offset:25984
	s_wait_dscnt 0x0
	ds_store_b64 v83, v[38:39] offset:24976
	ds_load_b64 v[38:39], v85 offset:25992
	s_wait_dscnt 0x0
	ds_store_b64 v83, v[38:39] offset:25488
.LBB161_247:                            ;   in Loop: Header=BB161_3 Depth=1
	s_or_b32 exec_lo, exec_lo, s10
	s_wait_dscnt 0x0
	s_barrier_signal -1
	s_barrier_wait -1
	s_and_saveexec_b32 s10, s14
	s_cbranch_execz .LBB161_249
; %bb.248:                              ;   in Loop: Header=BB161_3 Depth=1
	v_add_nc_u32_e64 v0, 0x180, 0
	ds_load_b64 v[42:43], v1 offset:25480
	ds_load_2addr_stride64_b64 v[38:41], v0 offset0:48 offset1:49
	s_wait_dscnt 0x0
	v_dual_mul_f32 v44, v43, v39 :: v_dual_mul_f32 v0, v42, v39
	s_delay_alu instid0(VALU_DEP_1) | instskip(NEXT) | instid1(VALU_DEP_2)
	v_xor_b32_e32 v44, 0x80000000, v44
	v_fmac_f32_e32 v0, v43, v38
	s_delay_alu instid0(VALU_DEP_2) | instskip(NEXT) | instid1(VALU_DEP_2)
	v_fmac_f32_e32 v44, v42, v38
	v_pk_mul_f32 v[38:39], v[0:1], v[40:41] op_sel:[0,1] op_sel_hi:[0,0]
	v_add_nc_u32_e64 v0, 0x6000, 0
	s_delay_alu instid0(VALU_DEP_2) | instskip(SKIP_1) | instid1(VALU_DEP_2)
	v_pk_fma_f32 v[42:43], v[44:45], v[40:41], v[38:39] op_sel_hi:[0,1,1]
	v_pk_fma_f32 v[38:39], v[44:45], v[40:41], v[38:39] neg_lo:[0,0,1] neg_hi:[0,0,1]
	v_mov_b32_e32 v39, v43
	ds_store_2addr_b64 v0, v[38:39], v[38:39] offset0:49 offset1:112
.LBB161_249:                            ;   in Loop: Header=BB161_3 Depth=1
	s_or_b32 exec_lo, exec_lo, s10
	v_mov_b64_e32 v[38:39], 0
	s_wait_dscnt 0x0
	s_barrier_signal -1
	s_barrier_wait -1
	global_wb scope:SCOPE_DEV
	s_wait_storecnt 0x0
	global_inv scope:SCOPE_DEV
	s_and_saveexec_b32 s66, s7
	s_cbranch_execz .LBB161_277
; %bb.250:                              ;   in Loop: Header=BB161_3 Depth=1
	ds_load_b64 v[38:39], v61 offset:24832
	ds_load_b64 v[40:41], v62 offset:32640
	v_readlane_b32 s11, v106, 29
	s_wait_dscnt 0x0
	v_dual_mul_f32 v0, v41, v39 :: v_dual_mul_f32 v39, v40, v39
	s_delay_alu instid0(VALU_DEP_1) | instskip(NEXT) | instid1(VALU_DEP_1)
	v_dual_fma_f32 v0, v40, v38, -v0 :: v_dual_fmac_f32 v39, v41, v38
	v_dual_add_f32 v38, 0, v0 :: v_dual_add_f32 v39, 0, v39
	s_and_saveexec_b32 s10, s11
	s_cbranch_execz .LBB161_252
; %bb.251:                              ;   in Loop: Header=BB161_3 Depth=1
	ds_load_b64 v[40:41], v61 offset:25344
	ds_load_b64 v[42:43], v62 offset:32648
	s_wait_dscnt 0x0
	v_dual_mul_f32 v0, v43, v41 :: v_dual_mul_f32 v41, v42, v41
	s_delay_alu instid0(VALU_DEP_1) | instskip(NEXT) | instid1(VALU_DEP_1)
	v_dual_fma_f32 v0, v42, v40, -v0 :: v_dual_fmac_f32 v41, v43, v40
	v_dual_add_f32 v38, v38, v0 :: v_dual_add_f32 v39, v39, v41
.LBB161_252:                            ;   in Loop: Header=BB161_3 Depth=1
	s_or_b32 exec_lo, exec_lo, s10
	v_readlane_b32 s11, v106, 30
	s_and_saveexec_b32 s10, s11
	s_cbranch_execz .LBB161_254
; %bb.253:                              ;   in Loop: Header=BB161_3 Depth=1
	ds_load_b64 v[40:41], v61 offset:25856
	ds_load_b64 v[42:43], v62 offset:32656
	s_wait_dscnt 0x0
	v_dual_mul_f32 v0, v43, v41 :: v_dual_mul_f32 v41, v42, v41
	s_delay_alu instid0(VALU_DEP_1) | instskip(NEXT) | instid1(VALU_DEP_1)
	v_dual_fma_f32 v0, v42, v40, -v0 :: v_dual_fmac_f32 v41, v43, v40
	v_dual_add_f32 v38, v38, v0 :: v_dual_add_f32 v39, v39, v41
.LBB161_254:                            ;   in Loop: Header=BB161_3 Depth=1
	s_or_b32 exec_lo, exec_lo, s10
	v_readlane_b32 s11, v106, 31
	;; [unrolled: 13-line block ×8, first 2 shown]
	s_and_saveexec_b32 s10, s11
	s_cbranch_execz .LBB161_268
; %bb.267:                              ;   in Loop: Header=BB161_3 Depth=1
	ds_load_b64 v[40:41], v61 offset:29440
	ds_load_b64 v[42:43], v62 offset:32712
	s_wait_dscnt 0x0
	v_dual_mul_f32 v0, v43, v41 :: v_dual_mul_f32 v41, v42, v41
	s_delay_alu instid0(VALU_DEP_1) | instskip(NEXT) | instid1(VALU_DEP_1)
	v_dual_fma_f32 v0, v42, v40, -v0 :: v_dual_fmac_f32 v41, v43, v40
	v_dual_add_f32 v38, v38, v0 :: v_dual_add_f32 v39, v39, v41
.LBB161_268:                            ;   in Loop: Header=BB161_3 Depth=1
	s_or_b32 exec_lo, exec_lo, s10
	s_and_saveexec_b32 s10, s13
	s_cbranch_execz .LBB161_270
; %bb.269:                              ;   in Loop: Header=BB161_3 Depth=1
	ds_load_b64 v[40:41], v61 offset:29952
	ds_load_b64 v[42:43], v62 offset:32720
	s_wait_dscnt 0x0
	v_dual_mul_f32 v0, v43, v41 :: v_dual_mul_f32 v41, v42, v41
	s_delay_alu instid0(VALU_DEP_1) | instskip(NEXT) | instid1(VALU_DEP_1)
	v_dual_fma_f32 v0, v42, v40, -v0 :: v_dual_fmac_f32 v41, v43, v40
	v_dual_add_f32 v38, v38, v0 :: v_dual_add_f32 v39, v39, v41
.LBB161_270:                            ;   in Loop: Header=BB161_3 Depth=1
	s_or_b32 exec_lo, exec_lo, s10
	v_readlane_b32 s11, v97, 6
	s_and_saveexec_b32 s10, s11
	s_cbranch_execnz .LBB161_1119
; %bb.271:                              ;   in Loop: Header=BB161_3 Depth=1
	s_or_b32 exec_lo, exec_lo, s10
	s_and_saveexec_b32 s10, s6
	s_cbranch_execnz .LBB161_1120
.LBB161_272:                            ;   in Loop: Header=BB161_3 Depth=1
	s_or_b32 exec_lo, exec_lo, s10
	s_and_saveexec_b32 s10, s22
	s_cbranch_execnz .LBB161_1121
.LBB161_273:                            ;   in Loop: Header=BB161_3 Depth=1
	s_or_b32 exec_lo, exec_lo, s10
	s_and_saveexec_b32 s10, s24
	s_cbranch_execnz .LBB161_1122
.LBB161_274:                            ;   in Loop: Header=BB161_3 Depth=1
	s_or_b32 exec_lo, exec_lo, s10
	s_and_saveexec_b32 s10, s5
	s_cbranch_execz .LBB161_276
.LBB161_275:                            ;   in Loop: Header=BB161_3 Depth=1
	ds_load_b64 v[40:41], v69 offset:32512
	ds_load_b64 v[42:43], v1 offset:32760
	s_wait_dscnt 0x0
	v_dual_mul_f32 v0, v43, v41 :: v_dual_mul_f32 v45, v42, v41
	s_delay_alu instid0(VALU_DEP_1) | instskip(NEXT) | instid1(VALU_DEP_1)
	v_dual_fma_f32 v44, v42, v40, -v0 :: v_dual_fmac_f32 v45, v43, v40
	v_pk_add_f32 v[38:39], v[38:39], v[44:45]
.LBB161_276:                            ;   in Loop: Header=BB161_3 Depth=1
	s_or_b32 exec_lo, exec_lo, s10
.LBB161_277:                            ;   in Loop: Header=BB161_3 Depth=1
	s_delay_alu instid0(SALU_CYCLE_1)
	s_or_b32 exec_lo, exec_lo, s66
	v_readlane_b32 s11, v106, 1
	s_and_saveexec_b32 s10, s11
	s_cbranch_execz .LBB161_279
; %bb.278:                              ;   in Loop: Header=BB161_3 Depth=1
	ds_load_b64 v[40:41], v1 offset:24440
	s_wait_dscnt 0x0
	v_pk_mul_f32 v[42:43], v[38:39], v[40:41] op_sel:[1,1] op_sel_hi:[1,0]
	s_delay_alu instid0(VALU_DEP_1) | instskip(SKIP_1) | instid1(VALU_DEP_2)
	v_pk_fma_f32 v[44:45], v[38:39], v[40:41], v[42:43] op_sel_hi:[0,1,1]
	v_pk_fma_f32 v[38:39], v[38:39], v[40:41], v[42:43] neg_lo:[0,0,1] neg_hi:[0,0,1]
	v_mov_b32_e32 v39, v45
	s_delay_alu instid0(VALU_DEP_1)
	v_pk_add_f32 v[40:41], v[38:39], 0 neg_lo:[1,1] neg_hi:[1,1]
	ds_store_b64 v60, v[40:41]
.LBB161_279:                            ;   in Loop: Header=BB161_3 Depth=1
	s_or_b32 exec_lo, exec_lo, s10
	v_readlane_b32 s11, v106, 2
	s_wait_loadcnt_dscnt 0x0
	s_barrier_signal -1
	s_barrier_wait -1
	s_and_saveexec_b32 s10, s11
	s_cbranch_execz .LBB161_281
; %bb.280:                              ;   in Loop: Header=BB161_3 Depth=1
	ds_load_b64 v[40:41], v61 offset:24320
	ds_load_b64 v[42:43], v60
	s_wait_dscnt 0x0
	v_pk_mul_f32 v[44:45], v[42:43], v[40:41] op_sel:[1,1] op_sel_hi:[0,1]
	s_delay_alu instid0(VALU_DEP_1) | instskip(SKIP_1) | instid1(VALU_DEP_2)
	v_pk_fma_f32 v[98:99], v[42:43], v[40:41], v[44:45] op_sel_hi:[1,0,1]
	v_pk_fma_f32 v[40:41], v[42:43], v[40:41], v[44:45] neg_lo:[0,0,1] neg_hi:[0,0,1]
	v_mov_b32_e32 v41, v99
	s_delay_alu instid0(VALU_DEP_1)
	v_pk_add_f32 v[38:39], v[38:39], v[40:41] neg_lo:[0,1] neg_hi:[0,1]
.LBB161_281:                            ;   in Loop: Header=BB161_3 Depth=1
	s_or_b32 exec_lo, exec_lo, s10
	v_readlane_b32 s11, v106, 3
	s_barrier_signal -1
	s_barrier_wait -1
	s_and_saveexec_b32 s10, s11
	s_cbranch_execz .LBB161_283
; %bb.282:                              ;   in Loop: Header=BB161_3 Depth=1
	ds_load_b64 v[40:41], v1 offset:23920
	s_wait_dscnt 0x0
	v_pk_mul_f32 v[42:43], v[38:39], v[40:41] op_sel:[1,1] op_sel_hi:[1,0]
	s_delay_alu instid0(VALU_DEP_1) | instskip(SKIP_1) | instid1(VALU_DEP_2)
	v_pk_fma_f32 v[44:45], v[38:39], v[40:41], v[42:43] op_sel_hi:[0,1,1]
	v_pk_fma_f32 v[38:39], v[38:39], v[40:41], v[42:43] neg_lo:[0,0,1] neg_hi:[0,0,1]
	v_mov_b32_e32 v39, v45
	s_delay_alu instid0(VALU_DEP_1)
	v_pk_add_f32 v[40:41], v[38:39], 0 neg_lo:[1,1] neg_hi:[1,1]
	ds_store_b64 v60, v[40:41]
.LBB161_283:                            ;   in Loop: Header=BB161_3 Depth=1
	s_or_b32 exec_lo, exec_lo, s10
	v_readlane_b32 s11, v106, 4
	s_wait_dscnt 0x0
	s_barrier_signal -1
	s_barrier_wait -1
	s_and_saveexec_b32 s10, s11
	s_cbranch_execz .LBB161_285
; %bb.284:                              ;   in Loop: Header=BB161_3 Depth=1
	ds_load_b64 v[40:41], v61 offset:23808
	ds_load_b64 v[42:43], v60
	s_wait_dscnt 0x0
	v_pk_mul_f32 v[44:45], v[42:43], v[40:41] op_sel:[1,1] op_sel_hi:[0,1]
	s_delay_alu instid0(VALU_DEP_1) | instskip(SKIP_1) | instid1(VALU_DEP_2)
	v_pk_fma_f32 v[98:99], v[42:43], v[40:41], v[44:45] op_sel_hi:[1,0,1]
	v_pk_fma_f32 v[40:41], v[42:43], v[40:41], v[44:45] neg_lo:[0,0,1] neg_hi:[0,0,1]
	v_mov_b32_e32 v41, v99
	s_delay_alu instid0(VALU_DEP_1)
	v_pk_add_f32 v[38:39], v[38:39], v[40:41] neg_lo:[0,1] neg_hi:[0,1]
.LBB161_285:                            ;   in Loop: Header=BB161_3 Depth=1
	s_or_b32 exec_lo, exec_lo, s10
	s_barrier_signal -1
	s_barrier_wait -1
	s_and_saveexec_b32 s10, s57
	s_cbranch_execz .LBB161_287
; %bb.286:                              ;   in Loop: Header=BB161_3 Depth=1
	ds_load_b64 v[40:41], v1 offset:23400
	s_wait_dscnt 0x0
	v_pk_mul_f32 v[42:43], v[38:39], v[40:41] op_sel:[1,1] op_sel_hi:[1,0]
	s_delay_alu instid0(VALU_DEP_1) | instskip(SKIP_1) | instid1(VALU_DEP_2)
	v_pk_fma_f32 v[44:45], v[38:39], v[40:41], v[42:43] op_sel_hi:[0,1,1]
	v_pk_fma_f32 v[38:39], v[38:39], v[40:41], v[42:43] neg_lo:[0,0,1] neg_hi:[0,0,1]
	v_mov_b32_e32 v39, v45
	s_delay_alu instid0(VALU_DEP_1)
	v_pk_add_f32 v[40:41], v[38:39], 0 neg_lo:[1,1] neg_hi:[1,1]
	ds_store_b64 v60, v[40:41]
.LBB161_287:                            ;   in Loop: Header=BB161_3 Depth=1
	s_or_b32 exec_lo, exec_lo, s10
	s_wait_dscnt 0x0
	s_barrier_signal -1
	s_barrier_wait -1
	s_and_saveexec_b32 s10, s58
	s_cbranch_execz .LBB161_289
; %bb.288:                              ;   in Loop: Header=BB161_3 Depth=1
	ds_load_b64 v[40:41], v61 offset:23296
	ds_load_b64 v[42:43], v60
	s_wait_dscnt 0x0
	v_pk_mul_f32 v[44:45], v[42:43], v[40:41] op_sel:[1,1] op_sel_hi:[0,1]
	s_delay_alu instid0(VALU_DEP_1) | instskip(SKIP_1) | instid1(VALU_DEP_2)
	v_pk_fma_f32 v[98:99], v[42:43], v[40:41], v[44:45] op_sel_hi:[1,0,1]
	v_pk_fma_f32 v[40:41], v[42:43], v[40:41], v[44:45] neg_lo:[0,0,1] neg_hi:[0,0,1]
	v_mov_b32_e32 v41, v99
	s_delay_alu instid0(VALU_DEP_1)
	v_pk_add_f32 v[38:39], v[38:39], v[40:41] neg_lo:[0,1] neg_hi:[0,1]
.LBB161_289:                            ;   in Loop: Header=BB161_3 Depth=1
	s_or_b32 exec_lo, exec_lo, s10
	s_delay_alu instid0(VALU_DEP_1)
	v_dual_mov_b32 v40, v39 :: v_dual_mov_b32 v41, v38
	s_barrier_signal -1
	s_barrier_wait -1
	s_and_saveexec_b32 s10, s59
	s_cbranch_execz .LBB161_291
; %bb.290:                              ;   in Loop: Header=BB161_3 Depth=1
	ds_load_b64 v[42:43], v1 offset:22880
	s_wait_dscnt 0x0
	v_dual_mul_f32 v0, v41, v43 :: v_dual_mul_f32 v44, v39, v43
	s_delay_alu instid0(VALU_DEP_1) | instskip(NEXT) | instid1(VALU_DEP_2)
	v_pk_fma_f32 v[40:41], v[40:41], v[42:43], v[0:1] op_sel_hi:[1,1,0]
	v_pk_fma_f32 v[38:39], v[38:39], v[42:43], v[44:45] op_sel_hi:[1,1,0] neg_lo:[0,0,1] neg_hi:[0,0,1]
	s_delay_alu instid0(VALU_DEP_1) | instskip(NEXT) | instid1(VALU_DEP_1)
	v_dual_mov_b32 v39, v40 :: v_dual_mov_b32 v41, v38
	v_pk_add_f32 v[42:43], v[38:39], 0 neg_lo:[1,1] neg_hi:[1,1]
	ds_store_b64 v60, v[42:43]
.LBB161_291:                            ;   in Loop: Header=BB161_3 Depth=1
	s_or_b32 exec_lo, exec_lo, s10
	s_wait_dscnt 0x0
	s_barrier_signal -1
	s_barrier_wait -1
	s_and_saveexec_b32 s10, s60
	s_cbranch_execz .LBB161_293
; %bb.292:                              ;   in Loop: Header=BB161_3 Depth=1
	ds_load_b64 v[38:39], v61 offset:22784
	ds_load_b64 v[42:43], v60
	s_wait_dscnt 0x0
	v_dual_mul_f32 v0, v43, v39 :: v_dual_mul_f32 v44, v42, v39
	s_delay_alu instid0(VALU_DEP_1) | instskip(NEXT) | instid1(VALU_DEP_2)
	v_fma_f32 v45, v42, v38, -v0
	v_fmac_f32_e32 v44, v43, v38
	s_delay_alu instid0(VALU_DEP_1)
	v_pk_add_f32 v[40:41], v[40:41], v[44:45] neg_lo:[0,1] neg_hi:[0,1]
.LBB161_293:                            ;   in Loop: Header=BB161_3 Depth=1
	s_or_b32 exec_lo, exec_lo, s10
	s_barrier_signal -1
	s_barrier_wait -1
	s_and_saveexec_b32 s10, s61
	s_cbranch_execz .LBB161_295
; %bb.294:                              ;   in Loop: Header=BB161_3 Depth=1
	ds_load_b64 v[38:39], v1 offset:22360
	s_wait_dscnt 0x0
	v_pk_mul_f32 v[42:43], v[40:41], v[38:39] op_sel_hi:[0,1]
	s_delay_alu instid0(VALU_DEP_1) | instskip(SKIP_1) | instid1(VALU_DEP_2)
	v_pk_fma_f32 v[44:45], v[40:41], v[38:39], v[42:43] op_sel:[1,1,0] op_sel_hi:[1,0,1] neg_lo:[0,0,1] neg_hi:[0,0,1]
	v_pk_fma_f32 v[40:41], v[40:41], v[38:39], v[42:43] op_sel:[1,1,0] op_sel_hi:[1,0,1]
	v_mov_b32_e32 v41, v45
	s_delay_alu instid0(VALU_DEP_2)
	v_xor_b32_e32 v39, 0x80000000, v40
	v_xor_b32_e32 v38, 0x80000000, v45
	ds_store_b64 v60, v[38:39]
.LBB161_295:                            ;   in Loop: Header=BB161_3 Depth=1
	s_or_b32 exec_lo, exec_lo, s10
	s_wait_dscnt 0x0
	s_barrier_signal -1
	s_barrier_wait -1
	s_and_saveexec_b32 s10, s62
	s_cbranch_execz .LBB161_297
; %bb.296:                              ;   in Loop: Header=BB161_3 Depth=1
	ds_load_b64 v[38:39], v61 offset:22272
	ds_load_b64 v[42:43], v60
	s_wait_dscnt 0x0
	v_pk_mul_f32 v[44:45], v[42:43], v[38:39] op_sel:[0,1]
	s_delay_alu instid0(VALU_DEP_1) | instskip(SKIP_1) | instid1(VALU_DEP_2)
	v_pk_fma_f32 v[98:99], v[42:43], v[38:39], v[44:45] op_sel:[1,0,0] op_sel_hi:[0,0,1] neg_lo:[0,0,1] neg_hi:[0,0,1]
	v_pk_fma_f32 v[38:39], v[42:43], v[38:39], v[44:45] op_sel:[1,0,0] op_sel_hi:[0,1,1]
	v_mov_b32_e32 v39, v99
	s_delay_alu instid0(VALU_DEP_1)
	v_pk_add_f32 v[40:41], v[40:41], v[38:39] neg_lo:[0,1] neg_hi:[0,1]
.LBB161_297:                            ;   in Loop: Header=BB161_3 Depth=1
	s_or_b32 exec_lo, exec_lo, s10
	s_barrier_signal -1
	s_barrier_wait -1
	s_and_saveexec_b32 s10, s63
	s_cbranch_execz .LBB161_299
; %bb.298:                              ;   in Loop: Header=BB161_3 Depth=1
	ds_load_b64 v[38:39], v1 offset:21840
	s_wait_dscnt 0x0
	v_pk_mul_f32 v[42:43], v[40:41], v[38:39] op_sel_hi:[0,1]
	s_delay_alu instid0(VALU_DEP_1) | instskip(SKIP_1) | instid1(VALU_DEP_2)
	v_pk_fma_f32 v[44:45], v[40:41], v[38:39], v[42:43] op_sel:[1,1,0] op_sel_hi:[1,0,1] neg_lo:[0,0,1] neg_hi:[0,0,1]
	v_pk_fma_f32 v[40:41], v[40:41], v[38:39], v[42:43] op_sel:[1,1,0] op_sel_hi:[1,0,1]
	v_mov_b32_e32 v41, v45
	s_delay_alu instid0(VALU_DEP_2)
	v_xor_b32_e32 v39, 0x80000000, v40
	v_xor_b32_e32 v38, 0x80000000, v45
	ds_store_b64 v60, v[38:39]
.LBB161_299:                            ;   in Loop: Header=BB161_3 Depth=1
	s_or_b32 exec_lo, exec_lo, s10
	s_wait_dscnt 0x0
	s_barrier_signal -1
	s_barrier_wait -1
	s_and_saveexec_b32 s10, s64
	s_cbranch_execz .LBB161_301
; %bb.300:                              ;   in Loop: Header=BB161_3 Depth=1
	ds_load_b64 v[38:39], v61 offset:21760
	ds_load_b64 v[42:43], v60
	s_wait_dscnt 0x0
	v_pk_mul_f32 v[44:45], v[42:43], v[38:39] op_sel:[0,1]
	s_delay_alu instid0(VALU_DEP_1) | instskip(SKIP_1) | instid1(VALU_DEP_2)
	v_pk_fma_f32 v[98:99], v[42:43], v[38:39], v[44:45] op_sel:[1,0,0] op_sel_hi:[0,0,1] neg_lo:[0,0,1] neg_hi:[0,0,1]
	v_pk_fma_f32 v[38:39], v[42:43], v[38:39], v[44:45] op_sel:[1,0,0] op_sel_hi:[0,1,1]
	v_mov_b32_e32 v39, v99
	s_delay_alu instid0(VALU_DEP_1)
	v_pk_add_f32 v[40:41], v[40:41], v[38:39] neg_lo:[0,1] neg_hi:[0,1]
.LBB161_301:                            ;   in Loop: Header=BB161_3 Depth=1
	;; [unrolled: 36-line block ×3, first 2 shown]
	s_or_b32 exec_lo, exec_lo, s10
	s_delay_alu instid0(VALU_DEP_1)
	v_dual_mov_b32 v38, v41 :: v_dual_mov_b32 v39, v40
	s_barrier_signal -1
	s_barrier_wait -1
	s_and_saveexec_b32 s10, s26
	s_cbranch_execz .LBB161_307
; %bb.306:                              ;   in Loop: Header=BB161_3 Depth=1
	ds_load_b64 v[42:43], v1 offset:20800
	s_wait_dscnt 0x0
	v_dual_mul_f32 v0, v40, v42 :: v_dual_mul_f32 v44, v39, v43
	s_delay_alu instid0(VALU_DEP_1) | instskip(NEXT) | instid1(VALU_DEP_2)
	v_pk_fma_f32 v[40:41], v[40:41], v[42:43], v[0:1] op_sel_hi:[1,1,0]
	v_pk_fma_f32 v[38:39], v[38:39], v[42:43], v[44:45] op_sel_hi:[1,1,0] neg_lo:[0,0,1] neg_hi:[0,0,1]
	s_delay_alu instid0(VALU_DEP_2) | instskip(NEXT) | instid1(VALU_DEP_1)
	v_mov_b32_e32 v39, v41
	v_pk_add_f32 v[40:41], v[38:39], 0 neg_lo:[1,1] neg_hi:[1,1]
	ds_store_b64 v60, v[40:41]
.LBB161_307:                            ;   in Loop: Header=BB161_3 Depth=1
	s_or_b32 exec_lo, exec_lo, s10
	s_wait_dscnt 0x0
	s_barrier_signal -1
	s_barrier_wait -1
	s_and_saveexec_b32 s10, s28
	s_cbranch_execz .LBB161_309
; %bb.308:                              ;   in Loop: Header=BB161_3 Depth=1
	ds_load_b64 v[40:41], v61 offset:20736
	ds_load_b64 v[42:43], v60
	s_wait_dscnt 0x0
	v_dual_mul_f32 v0, v43, v41 :: v_dual_mul_f32 v45, v42, v41
	s_delay_alu instid0(VALU_DEP_1) | instskip(NEXT) | instid1(VALU_DEP_1)
	v_dual_fma_f32 v44, v42, v40, -v0 :: v_dual_fmac_f32 v45, v43, v40
	v_pk_add_f32 v[38:39], v[38:39], v[44:45] neg_lo:[0,1] neg_hi:[0,1]
.LBB161_309:                            ;   in Loop: Header=BB161_3 Depth=1
	s_or_b32 exec_lo, exec_lo, s10
	s_barrier_signal -1
	s_barrier_wait -1
	s_and_saveexec_b32 s10, s30
	s_cbranch_execz .LBB161_311
; %bb.310:                              ;   in Loop: Header=BB161_3 Depth=1
	ds_load_b64 v[40:41], v1 offset:20280
	s_wait_dscnt 0x0
	v_pk_mul_f32 v[42:43], v[38:39], v[40:41] op_sel:[1,1] op_sel_hi:[1,0]
	s_delay_alu instid0(VALU_DEP_1) | instskip(SKIP_1) | instid1(VALU_DEP_2)
	v_pk_fma_f32 v[44:45], v[38:39], v[40:41], v[42:43] op_sel_hi:[0,1,1]
	v_pk_fma_f32 v[38:39], v[38:39], v[40:41], v[42:43] neg_lo:[0,0,1] neg_hi:[0,0,1]
	v_mov_b32_e32 v39, v45
	s_delay_alu instid0(VALU_DEP_1)
	v_pk_add_f32 v[40:41], v[38:39], 0 neg_lo:[1,1] neg_hi:[1,1]
	ds_store_b64 v60, v[40:41]
.LBB161_311:                            ;   in Loop: Header=BB161_3 Depth=1
	s_or_b32 exec_lo, exec_lo, s10
	s_wait_dscnt 0x0
	s_barrier_signal -1
	s_barrier_wait -1
	s_and_saveexec_b32 s10, s33
	s_cbranch_execz .LBB161_313
; %bb.312:                              ;   in Loop: Header=BB161_3 Depth=1
	ds_load_b64 v[40:41], v61 offset:20224
	ds_load_b64 v[42:43], v60
	s_wait_dscnt 0x0
	v_pk_mul_f32 v[44:45], v[42:43], v[40:41] op_sel:[1,1] op_sel_hi:[0,1]
	s_delay_alu instid0(VALU_DEP_1) | instskip(SKIP_1) | instid1(VALU_DEP_2)
	v_pk_fma_f32 v[98:99], v[42:43], v[40:41], v[44:45] op_sel_hi:[1,0,1]
	v_pk_fma_f32 v[40:41], v[42:43], v[40:41], v[44:45] neg_lo:[0,0,1] neg_hi:[0,0,1]
	v_mov_b32_e32 v41, v99
	s_delay_alu instid0(VALU_DEP_1)
	v_pk_add_f32 v[38:39], v[38:39], v[40:41] neg_lo:[0,1] neg_hi:[0,1]
.LBB161_313:                            ;   in Loop: Header=BB161_3 Depth=1
	s_or_b32 exec_lo, exec_lo, s10
	s_barrier_signal -1
	s_barrier_wait -1
	s_and_saveexec_b32 s10, s35
	s_cbranch_execz .LBB161_315
; %bb.314:                              ;   in Loop: Header=BB161_3 Depth=1
	ds_load_b64 v[40:41], v1 offset:19760
	s_wait_dscnt 0x0
	v_pk_mul_f32 v[42:43], v[38:39], v[40:41] op_sel:[1,1] op_sel_hi:[1,0]
	s_delay_alu instid0(VALU_DEP_1) | instskip(SKIP_1) | instid1(VALU_DEP_2)
	v_pk_fma_f32 v[44:45], v[38:39], v[40:41], v[42:43] op_sel_hi:[0,1,1]
	v_pk_fma_f32 v[38:39], v[38:39], v[40:41], v[42:43] neg_lo:[0,0,1] neg_hi:[0,0,1]
	v_mov_b32_e32 v39, v45
	s_delay_alu instid0(VALU_DEP_1)
	v_pk_add_f32 v[40:41], v[38:39], 0 neg_lo:[1,1] neg_hi:[1,1]
	ds_store_b64 v60, v[40:41]
.LBB161_315:                            ;   in Loop: Header=BB161_3 Depth=1
	s_or_b32 exec_lo, exec_lo, s10
	s_wait_dscnt 0x0
	s_barrier_signal -1
	s_barrier_wait -1
	s_and_saveexec_b32 s10, s37
	s_cbranch_execz .LBB161_317
; %bb.316:                              ;   in Loop: Header=BB161_3 Depth=1
	ds_load_b64 v[40:41], v61 offset:19712
	ds_load_b64 v[42:43], v60
	s_wait_dscnt 0x0
	v_pk_mul_f32 v[44:45], v[42:43], v[40:41] op_sel:[1,1] op_sel_hi:[0,1]
	s_delay_alu instid0(VALU_DEP_1) | instskip(SKIP_1) | instid1(VALU_DEP_2)
	v_pk_fma_f32 v[98:99], v[42:43], v[40:41], v[44:45] op_sel_hi:[1,0,1]
	v_pk_fma_f32 v[40:41], v[42:43], v[40:41], v[44:45] neg_lo:[0,0,1] neg_hi:[0,0,1]
	v_mov_b32_e32 v41, v99
	s_delay_alu instid0(VALU_DEP_1)
	v_pk_add_f32 v[38:39], v[38:39], v[40:41] neg_lo:[0,1] neg_hi:[0,1]
.LBB161_317:                            ;   in Loop: Header=BB161_3 Depth=1
	;; [unrolled: 35-line block ×3, first 2 shown]
	s_or_b32 exec_lo, exec_lo, s10
	s_barrier_signal -1
	s_barrier_wait -1
	s_and_saveexec_b32 s10, s78
	s_cbranch_execz .LBB161_323
; %bb.322:                              ;   in Loop: Header=BB161_3 Depth=1
	ds_load_b64 v[40:41], v1 offset:18720
	s_wait_dscnt 0x0
	v_pk_mul_f32 v[42:43], v[38:39], v[40:41]
	v_pk_mul_f32 v[38:39], v[38:39], v[40:41] op_sel:[1,0] op_sel_hi:[0,1]
	s_delay_alu instid0(VALU_DEP_1) | instskip(NEXT) | instid1(VALU_DEP_3)
	v_dual_mov_b32 v40, v42 :: v_dual_mov_b32 v41, v38
	v_mov_b32_e32 v38, v43
	s_delay_alu instid0(VALU_DEP_1) | instskip(SKIP_1) | instid1(VALU_DEP_2)
	v_pk_add_f32 v[42:43], v[40:41], v[38:39]
	v_pk_add_f32 v[38:39], v[40:41], v[38:39] neg_lo:[0,1] neg_hi:[0,1]
	v_mov_b32_e32 v39, v43
	s_delay_alu instid0(VALU_DEP_1)
	v_pk_add_f32 v[40:41], v[38:39], 0 neg_lo:[1,1] neg_hi:[1,1]
	ds_store_b64 v60, v[40:41]
.LBB161_323:                            ;   in Loop: Header=BB161_3 Depth=1
	s_or_b32 exec_lo, exec_lo, s10
	s_wait_dscnt 0x0
	s_barrier_signal -1
	s_barrier_wait -1
	s_and_saveexec_b32 s10, s79
	s_cbranch_execz .LBB161_325
; %bb.324:                              ;   in Loop: Header=BB161_3 Depth=1
	ds_load_b64 v[40:41], v61 offset:18688
	ds_load_b64 v[42:43], v60
	s_wait_dscnt 0x0
	v_dual_mul_f32 v0, v43, v41 :: v_dual_mul_f32 v41, v42, v41
	s_delay_alu instid0(VALU_DEP_1) | instskip(NEXT) | instid1(VALU_DEP_1)
	v_dual_fma_f32 v0, v42, v40, -v0 :: v_dual_fmac_f32 v41, v43, v40
	v_dual_sub_f32 v38, v38, v0 :: v_dual_sub_f32 v39, v39, v41
.LBB161_325:                            ;   in Loop: Header=BB161_3 Depth=1
	s_or_b32 exec_lo, exec_lo, s10
	s_barrier_signal -1
	s_barrier_wait -1
	s_and_saveexec_b32 s10, s27
	s_cbranch_execz .LBB161_327
; %bb.326:                              ;   in Loop: Header=BB161_3 Depth=1
	ds_load_b64 v[40:41], v1 offset:18200
	s_wait_dscnt 0x0
	v_dual_mul_f32 v0, v39, v40 :: v_dual_mul_f32 v42, v39, v41
	s_delay_alu instid0(VALU_DEP_1) | instskip(NEXT) | instid1(VALU_DEP_2)
	v_pk_fma_f32 v[44:45], v[38:39], v[40:41], v[0:1] op_sel:[1,0,0] op_sel_hi:[0,1,0]
	v_pk_fma_f32 v[38:39], v[38:39], v[40:41], v[42:43] op_sel_hi:[1,1,0] neg_lo:[0,0,1] neg_hi:[0,0,1]
	s_delay_alu instid0(VALU_DEP_2) | instskip(NEXT) | instid1(VALU_DEP_1)
	v_mov_b32_e32 v39, v45
	v_pk_add_f32 v[40:41], v[38:39], 0 neg_lo:[1,1] neg_hi:[1,1]
	ds_store_b64 v60, v[40:41]
.LBB161_327:                            ;   in Loop: Header=BB161_3 Depth=1
	s_or_b32 exec_lo, exec_lo, s10
	s_wait_dscnt 0x0
	s_barrier_signal -1
	s_barrier_wait -1
	s_and_saveexec_b32 s10, s29
	s_cbranch_execz .LBB161_329
; %bb.328:                              ;   in Loop: Header=BB161_3 Depth=1
	ds_load_b64 v[40:41], v61 offset:18176
	ds_load_b64 v[42:43], v60
	s_wait_dscnt 0x0
	v_pk_mul_f32 v[44:45], v[42:43], v[40:41] op_sel:[1,1] op_sel_hi:[0,1]
	s_delay_alu instid0(VALU_DEP_1) | instskip(SKIP_1) | instid1(VALU_DEP_2)
	v_pk_fma_f32 v[98:99], v[42:43], v[40:41], v[44:45] op_sel_hi:[1,0,1]
	v_pk_fma_f32 v[40:41], v[42:43], v[40:41], v[44:45] neg_lo:[0,0,1] neg_hi:[0,0,1]
	v_mov_b32_e32 v41, v99
	s_delay_alu instid0(VALU_DEP_1)
	v_pk_add_f32 v[38:39], v[38:39], v[40:41] neg_lo:[0,1] neg_hi:[0,1]
.LBB161_329:                            ;   in Loop: Header=BB161_3 Depth=1
	s_or_b32 exec_lo, exec_lo, s10
	s_barrier_signal -1
	s_barrier_wait -1
	s_and_saveexec_b32 s10, s31
	s_cbranch_execz .LBB161_331
; %bb.330:                              ;   in Loop: Header=BB161_3 Depth=1
	ds_load_b64 v[40:41], v1 offset:17680
	s_wait_dscnt 0x0
	v_pk_mul_f32 v[42:43], v[38:39], v[40:41] op_sel:[1,1] op_sel_hi:[1,0]
	s_delay_alu instid0(VALU_DEP_1) | instskip(SKIP_1) | instid1(VALU_DEP_2)
	v_pk_fma_f32 v[44:45], v[38:39], v[40:41], v[42:43] op_sel_hi:[0,1,1]
	v_pk_fma_f32 v[38:39], v[38:39], v[40:41], v[42:43] neg_lo:[0,0,1] neg_hi:[0,0,1]
	v_mov_b32_e32 v39, v45
	s_delay_alu instid0(VALU_DEP_1)
	v_pk_add_f32 v[40:41], v[38:39], 0 neg_lo:[1,1] neg_hi:[1,1]
	ds_store_b64 v60, v[40:41]
.LBB161_331:                            ;   in Loop: Header=BB161_3 Depth=1
	s_or_b32 exec_lo, exec_lo, s10
	s_wait_dscnt 0x0
	s_barrier_signal -1
	s_barrier_wait -1
	s_and_saveexec_b32 s10, s34
	s_cbranch_execz .LBB161_333
; %bb.332:                              ;   in Loop: Header=BB161_3 Depth=1
	ds_load_b64 v[40:41], v61 offset:17664
	ds_load_b64 v[42:43], v60
	s_wait_dscnt 0x0
	v_pk_mul_f32 v[44:45], v[42:43], v[40:41] op_sel:[1,1] op_sel_hi:[0,1]
	s_delay_alu instid0(VALU_DEP_1) | instskip(SKIP_1) | instid1(VALU_DEP_2)
	v_pk_fma_f32 v[98:99], v[42:43], v[40:41], v[44:45] op_sel_hi:[1,0,1]
	v_pk_fma_f32 v[40:41], v[42:43], v[40:41], v[44:45] neg_lo:[0,0,1] neg_hi:[0,0,1]
	v_mov_b32_e32 v41, v99
	s_delay_alu instid0(VALU_DEP_1)
	v_pk_add_f32 v[38:39], v[38:39], v[40:41] neg_lo:[0,1] neg_hi:[0,1]
.LBB161_333:                            ;   in Loop: Header=BB161_3 Depth=1
	s_or_b32 exec_lo, exec_lo, s10
	s_barrier_signal -1
	s_barrier_wait -1
	s_and_saveexec_b32 s10, s36
	s_cbranch_execz .LBB161_335
; %bb.334:                              ;   in Loop: Header=BB161_3 Depth=1
	ds_load_b64 v[40:41], v1 offset:17160
	s_wait_dscnt 0x0
	v_pk_mul_f32 v[42:43], v[38:39], v[40:41] op_sel:[1,1] op_sel_hi:[1,0]
	s_delay_alu instid0(VALU_DEP_1) | instskip(SKIP_1) | instid1(VALU_DEP_2)
	v_pk_fma_f32 v[44:45], v[38:39], v[40:41], v[42:43] op_sel_hi:[0,1,1]
	v_pk_fma_f32 v[38:39], v[38:39], v[40:41], v[42:43] neg_lo:[0,0,1] neg_hi:[0,0,1]
	v_mov_b32_e32 v39, v45
	s_delay_alu instid0(VALU_DEP_1)
	v_pk_add_f32 v[40:41], v[38:39], 0 neg_lo:[1,1] neg_hi:[1,1]
	ds_store_b64 v60, v[40:41]
.LBB161_335:                            ;   in Loop: Header=BB161_3 Depth=1
	;; [unrolled: 35-line block ×3, first 2 shown]
	s_or_b32 exec_lo, exec_lo, s10
	s_wait_dscnt 0x0
	s_barrier_signal -1
	s_barrier_wait -1
	s_barrier_signal -1
	s_barrier_wait -1
	s_and_saveexec_b32 s10, s7
; %bb.340:                              ;   in Loop: Header=BB161_3 Depth=1
	ds_store_b64 v64, v[38:39] offset:32512
; %bb.341:                              ;   in Loop: Header=BB161_3 Depth=1
	s_or_b32 exec_lo, exec_lo, s10
	s_wait_dscnt 0x0
	s_barrier_signal -1
	s_barrier_wait -1
	s_barrier_signal -1
	s_barrier_wait -1
	s_and_saveexec_b32 s16, s53
	s_cbranch_execz .LBB161_343
; %bb.342:                              ;   in Loop: Header=BB161_3 Depth=1
	ds_load_b64 v[38:39], v70 offset:24832
	s_wait_dscnt 0x0
	ds_store_b64 v5, v[38:39] offset:16768
	ds_load_b64 v[38:39], v70 offset:24840
	s_wait_dscnt 0x0
	ds_store_b64 v5, v[38:39] offset:17280
	;; [unrolled: 3-line block ×16, first 2 shown]
.LBB161_343:                            ;   in Loop: Header=BB161_3 Depth=1
	s_or_b32 exec_lo, exec_lo, s16
	s_wait_dscnt 0x0
	s_barrier_signal -1
	s_barrier_wait -1
	s_and_saveexec_b32 s10, s14
	s_cbranch_execz .LBB161_345
; %bb.344:                              ;   in Loop: Header=BB161_3 Depth=1
	v_add_nc_u32_e64 v0, 0x170, 0
	ds_load_b64 v[42:43], v1 offset:24440
	ds_load_2addr_stride64_b64 v[38:41], v0 offset0:46 offset1:47
	s_wait_dscnt 0x0
	v_dual_mul_f32 v44, v43, v39 :: v_dual_mul_f32 v0, v42, v39
	s_delay_alu instid0(VALU_DEP_1) | instskip(NEXT) | instid1(VALU_DEP_2)
	v_xor_b32_e32 v44, 0x80000000, v44
	v_fmac_f32_e32 v0, v43, v38
	s_delay_alu instid0(VALU_DEP_2) | instskip(NEXT) | instid1(VALU_DEP_2)
	v_fmac_f32_e32 v44, v42, v38
	v_pk_mul_f32 v[38:39], v[0:1], v[40:41] op_sel:[0,1] op_sel_hi:[0,0]
	v_add_nc_u32_e64 v0, 0x5800, 0
	s_delay_alu instid0(VALU_DEP_2) | instskip(SKIP_1) | instid1(VALU_DEP_2)
	v_pk_fma_f32 v[42:43], v[44:45], v[40:41], v[38:39] op_sel_hi:[0,1,1]
	v_pk_fma_f32 v[38:39], v[44:45], v[40:41], v[38:39] neg_lo:[0,0,1] neg_hi:[0,0,1]
	v_mov_b32_e32 v39, v43
	ds_store_2addr_b64 v0, v[38:39], v[38:39] offset0:175 offset1:238
.LBB161_345:                            ;   in Loop: Header=BB161_3 Depth=1
	s_or_b32 exec_lo, exec_lo, s10
	v_dual_mov_b32 v38, 0 :: v_dual_mov_b32 v39, 0
	s_wait_dscnt 0x0
	s_barrier_signal -1
	s_barrier_wait -1
	global_wb scope:SCOPE_DEV
	s_wait_storecnt 0x0
	global_inv scope:SCOPE_DEV
	s_and_saveexec_b32 s16, s3
	s_cbranch_execz .LBB161_349
; %bb.346:                              ;   in Loop: Header=BB161_3 Depth=1
	ds_load_b64 v[38:39], v48 offset:23904
	ds_load_b64 v[40:41], v49 offset:24432
	s_wait_dscnt 0x0
	v_pk_mul_f32 v[42:43], v[40:41], v[38:39] op_sel:[1,1] op_sel_hi:[0,1]
	s_delay_alu instid0(VALU_DEP_1) | instskip(SKIP_1) | instid1(VALU_DEP_2)
	v_pk_fma_f32 v[44:45], v[40:41], v[38:39], v[42:43] op_sel_hi:[1,0,1]
	v_pk_fma_f32 v[38:39], v[40:41], v[38:39], v[42:43] neg_lo:[0,0,1] neg_hi:[0,0,1]
	v_mov_b32_e32 v39, v45
	s_delay_alu instid0(VALU_DEP_1)
	v_pk_add_f32 v[38:39], v[38:39], 0 op_sel_hi:[1,0]
	s_and_saveexec_b32 s10, s18
	s_cbranch_execz .LBB161_348
; %bb.347:                              ;   in Loop: Header=BB161_3 Depth=1
	ds_load_b64 v[40:41], v69 offset:24416
	ds_load_b64 v[42:43], v1 offset:24440
	s_wait_dscnt 0x0
	v_pk_mul_f32 v[44:45], v[42:43], v[40:41] op_sel:[1,1] op_sel_hi:[0,1]
	s_delay_alu instid0(VALU_DEP_1) | instskip(SKIP_1) | instid1(VALU_DEP_2)
	v_pk_fma_f32 v[98:99], v[42:43], v[40:41], v[44:45] op_sel_hi:[1,0,1]
	v_pk_fma_f32 v[40:41], v[42:43], v[40:41], v[44:45] neg_lo:[0,0,1] neg_hi:[0,0,1]
	v_mov_b32_e32 v41, v99
	s_delay_alu instid0(VALU_DEP_1)
	v_pk_add_f32 v[38:39], v[38:39], v[40:41]
.LBB161_348:                            ;   in Loop: Header=BB161_3 Depth=1
	s_or_b32 exec_lo, exec_lo, s10
.LBB161_349:                            ;   in Loop: Header=BB161_3 Depth=1
	s_delay_alu instid0(SALU_CYCLE_1)
	s_or_b32 exec_lo, exec_lo, s16
	s_and_saveexec_b32 s10, s93
	s_cbranch_execz .LBB161_351
; %bb.350:                              ;   in Loop: Header=BB161_3 Depth=1
	ds_load_b64 v[40:41], v1 offset:23400
	s_wait_dscnt 0x0
	v_pk_mul_f32 v[42:43], v[38:39], v[40:41] op_sel:[1,1] op_sel_hi:[1,0]
	s_delay_alu instid0(VALU_DEP_1) | instskip(SKIP_1) | instid1(VALU_DEP_2)
	v_pk_fma_f32 v[44:45], v[38:39], v[40:41], v[42:43] op_sel_hi:[0,1,1]
	v_pk_fma_f32 v[38:39], v[38:39], v[40:41], v[42:43] neg_lo:[0,0,1] neg_hi:[0,0,1]
	v_mov_b32_e32 v39, v45
	s_delay_alu instid0(VALU_DEP_1)
	v_pk_add_f32 v[40:41], v[38:39], 0 neg_lo:[1,1] neg_hi:[1,1]
	ds_store_b64 v3, v[40:41]
.LBB161_351:                            ;   in Loop: Header=BB161_3 Depth=1
	s_or_b32 exec_lo, exec_lo, s10
	s_wait_loadcnt_dscnt 0x0
	s_barrier_signal -1
	s_barrier_wait -1
	s_and_saveexec_b32 s10, s94
	s_cbranch_execz .LBB161_353
; %bb.352:                              ;   in Loop: Header=BB161_3 Depth=1
	ds_load_b64 v[40:41], v1 offset:23392
	ds_load_b64 v[42:43], v3
	s_wait_dscnt 0x0
	v_pk_mul_f32 v[44:45], v[42:43], v[40:41] op_sel:[1,1] op_sel_hi:[0,1]
	s_delay_alu instid0(VALU_DEP_1) | instskip(SKIP_1) | instid1(VALU_DEP_2)
	v_pk_fma_f32 v[98:99], v[42:43], v[40:41], v[44:45] op_sel_hi:[1,0,1]
	v_pk_fma_f32 v[40:41], v[42:43], v[40:41], v[44:45] neg_lo:[0,0,1] neg_hi:[0,0,1]
	v_mov_b32_e32 v41, v99
	s_delay_alu instid0(VALU_DEP_1)
	v_pk_add_f32 v[38:39], v[38:39], v[40:41] neg_lo:[0,1] neg_hi:[0,1]
.LBB161_353:                            ;   in Loop: Header=BB161_3 Depth=1
	s_or_b32 exec_lo, exec_lo, s10
	s_barrier_signal -1
	s_barrier_wait -1
	s_and_saveexec_b32 s10, s94
	s_cbranch_execz .LBB161_355
; %bb.354:                              ;   in Loop: Header=BB161_3 Depth=1
	ds_load_b64 v[40:41], v1 offset:22880
	s_wait_dscnt 0x0
	v_pk_mul_f32 v[42:43], v[38:39], v[40:41] op_sel:[1,1] op_sel_hi:[1,0]
	s_delay_alu instid0(VALU_DEP_1) | instskip(SKIP_1) | instid1(VALU_DEP_2)
	v_pk_fma_f32 v[44:45], v[38:39], v[40:41], v[42:43] op_sel_hi:[0,1,1]
	v_pk_fma_f32 v[38:39], v[38:39], v[40:41], v[42:43] neg_lo:[0,0,1] neg_hi:[0,0,1]
	v_mov_b32_e32 v39, v45
	s_delay_alu instid0(VALU_DEP_1)
	v_pk_add_f32 v[40:41], v[38:39], 0 neg_lo:[1,1] neg_hi:[1,1]
	ds_store_b64 v3, v[40:41]
.LBB161_355:                            ;   in Loop: Header=BB161_3 Depth=1
	s_or_b32 exec_lo, exec_lo, s10
	s_wait_dscnt 0x0
	s_barrier_signal -1
	s_barrier_wait -1
	s_barrier_signal -1
	s_barrier_wait -1
	s_and_saveexec_b32 s10, s3
; %bb.356:                              ;   in Loop: Header=BB161_3 Depth=1
	ds_store_b64 v50, v[38:39] offset:24416
; %bb.357:                              ;   in Loop: Header=BB161_3 Depth=1
	s_or_b32 exec_lo, exec_lo, s10
	s_wait_dscnt 0x0
	s_barrier_signal -1
	s_barrier_wait -1
	s_barrier_signal -1
	s_barrier_wait -1
	s_and_saveexec_b32 s10, s95
	s_cbranch_execz .LBB161_359
; %bb.358:                              ;   in Loop: Header=BB161_3 Depth=1
	ds_load_b64 v[38:39], v70 offset:23904
	s_wait_dscnt 0x0
	ds_store_b64 v69, v[38:39] offset:22896
	ds_load_b64 v[38:39], v70 offset:23912
	s_wait_dscnt 0x0
	ds_store_b64 v69, v[38:39] offset:23408
.LBB161_359:                            ;   in Loop: Header=BB161_3 Depth=1
	s_or_b32 exec_lo, exec_lo, s10
	s_wait_dscnt 0x0
	s_barrier_signal -1
	s_barrier_wait -1
	s_and_saveexec_b32 s10, s14
	s_cbranch_execz .LBB161_361
; %bb.360:                              ;   in Loop: Header=BB161_3 Depth=1
	v_add_nc_u32_e64 v0, 0x160, 0
	ds_load_b64 v[42:43], v1 offset:23400
	ds_load_2addr_stride64_b64 v[38:41], v0 offset0:44 offset1:45
	s_wait_dscnt 0x0
	v_dual_mul_f32 v44, v43, v39 :: v_dual_mul_f32 v0, v42, v39
	s_delay_alu instid0(VALU_DEP_1) | instskip(NEXT) | instid1(VALU_DEP_2)
	v_xor_b32_e32 v44, 0x80000000, v44
	v_fmac_f32_e32 v0, v43, v38
	s_delay_alu instid0(VALU_DEP_2) | instskip(NEXT) | instid1(VALU_DEP_2)
	v_fmac_f32_e32 v44, v42, v38
	v_pk_mul_f32 v[38:39], v[0:1], v[40:41] op_sel:[0,1] op_sel_hi:[0,0]
	v_add_nc_u32_e64 v0, 0x5800, 0
	s_delay_alu instid0(VALU_DEP_2) | instskip(SKIP_1) | instid1(VALU_DEP_2)
	v_pk_fma_f32 v[42:43], v[44:45], v[40:41], v[38:39] op_sel_hi:[0,1,1]
	v_pk_fma_f32 v[38:39], v[44:45], v[40:41], v[38:39] neg_lo:[0,0,1] neg_hi:[0,0,1]
	v_mov_b32_e32 v39, v43
	ds_store_2addr_b64 v0, v[38:39], v[38:39] offset0:45 offset1:108
.LBB161_361:                            ;   in Loop: Header=BB161_3 Depth=1
	s_or_b32 exec_lo, exec_lo, s10
	v_mov_b64_e32 v[38:39], 0
	s_wait_dscnt 0x0
	s_barrier_signal -1
	s_barrier_wait -1
	global_wb scope:SCOPE_DEV
	s_wait_storecnt 0x0
	global_inv scope:SCOPE_DEV
	s_and_saveexec_b32 s16, s5
	s_cbranch_execz .LBB161_367
; %bb.362:                              ;   in Loop: Header=BB161_3 Depth=1
	ds_load_b64 v[38:39], v52 offset:22848
	ds_load_b64 v[40:41], v53 offset:24416
	s_wait_dscnt 0x0
	v_dual_mul_f32 v0, v41, v39 :: v_dual_mul_f32 v39, v40, v39
	s_delay_alu instid0(VALU_DEP_1) | instskip(NEXT) | instid1(VALU_DEP_1)
	v_dual_fma_f32 v0, v40, v38, -v0 :: v_dual_fmac_f32 v39, v41, v38
	v_dual_add_f32 v38, 0, v0 :: v_dual_add_f32 v39, 0, v39
	s_and_saveexec_b32 s10, s19
	s_cbranch_execnz .LBB161_1123
; %bb.363:                              ;   in Loop: Header=BB161_3 Depth=1
	s_or_b32 exec_lo, exec_lo, s10
	s_and_saveexec_b32 s10, s20
	s_cbranch_execnz .LBB161_1124
.LBB161_364:                            ;   in Loop: Header=BB161_3 Depth=1
	s_or_b32 exec_lo, exec_lo, s10
	s_and_saveexec_b32 s10, s3
	s_cbranch_execz .LBB161_366
.LBB161_365:                            ;   in Loop: Header=BB161_3 Depth=1
	ds_load_b64 v[40:41], v5 offset:24384
	ds_load_b64 v[42:43], v1 offset:24440
	s_wait_dscnt 0x0
	v_dual_mul_f32 v0, v43, v41 :: v_dual_mul_f32 v41, v42, v41
	s_delay_alu instid0(VALU_DEP_1) | instskip(NEXT) | instid1(VALU_DEP_1)
	v_dual_fma_f32 v0, v42, v40, -v0 :: v_dual_fmac_f32 v41, v43, v40
	v_dual_add_f32 v38, v38, v0 :: v_dual_add_f32 v39, v39, v41
.LBB161_366:                            ;   in Loop: Header=BB161_3 Depth=1
	s_or_b32 exec_lo, exec_lo, s10
.LBB161_367:                            ;   in Loop: Header=BB161_3 Depth=1
	s_delay_alu instid0(SALU_CYCLE_1)
	s_or_b32 exec_lo, exec_lo, s16
	s_and_saveexec_b32 s10, s96
	s_cbranch_execz .LBB161_369
; %bb.368:                              ;   in Loop: Header=BB161_3 Depth=1
	ds_load_b64 v[40:41], v1 offset:22360
	s_wait_dscnt 0x0
	v_dual_mul_f32 v0, v39, v40 :: v_dual_mul_f32 v42, v39, v41
	s_delay_alu instid0(VALU_DEP_1) | instskip(NEXT) | instid1(VALU_DEP_2)
	v_pk_fma_f32 v[44:45], v[38:39], v[40:41], v[0:1] op_sel:[1,0,0] op_sel_hi:[0,1,0]
	v_pk_fma_f32 v[38:39], v[38:39], v[40:41], v[42:43] op_sel_hi:[1,1,0] neg_lo:[0,0,1] neg_hi:[0,0,1]
	s_delay_alu instid0(VALU_DEP_2) | instskip(NEXT) | instid1(VALU_DEP_1)
	v_mov_b32_e32 v39, v45
	v_pk_add_f32 v[40:41], v[38:39], 0 neg_lo:[1,1] neg_hi:[1,1]
	ds_store_b64 v51, v[40:41]
.LBB161_369:                            ;   in Loop: Header=BB161_3 Depth=1
	s_or_b32 exec_lo, exec_lo, s10
	s_wait_loadcnt_dscnt 0x0
	s_barrier_signal -1
	s_barrier_wait -1
	s_and_saveexec_b32 s10, s97
	s_cbranch_execz .LBB161_371
; %bb.370:                              ;   in Loop: Header=BB161_3 Depth=1
	ds_load_b64 v[40:41], v52 offset:22336
	ds_load_b64 v[42:43], v51
	s_wait_dscnt 0x0
	v_pk_mul_f32 v[44:45], v[42:43], v[40:41] op_sel:[1,1] op_sel_hi:[0,1]
	s_delay_alu instid0(VALU_DEP_1) | instskip(SKIP_1) | instid1(VALU_DEP_2)
	v_pk_fma_f32 v[98:99], v[42:43], v[40:41], v[44:45] op_sel_hi:[1,0,1]
	v_pk_fma_f32 v[40:41], v[42:43], v[40:41], v[44:45] neg_lo:[0,0,1] neg_hi:[0,0,1]
	v_mov_b32_e32 v41, v99
	s_delay_alu instid0(VALU_DEP_1)
	v_pk_add_f32 v[38:39], v[38:39], v[40:41] neg_lo:[0,1] neg_hi:[0,1]
.LBB161_371:                            ;   in Loop: Header=BB161_3 Depth=1
	s_or_b32 exec_lo, exec_lo, s10
	s_barrier_signal -1
	s_barrier_wait -1
	s_and_saveexec_b32 s10, s98
	s_cbranch_execz .LBB161_373
; %bb.372:                              ;   in Loop: Header=BB161_3 Depth=1
	ds_load_b64 v[40:41], v1 offset:21840
	s_wait_dscnt 0x0
	v_pk_mul_f32 v[42:43], v[38:39], v[40:41] op_sel:[1,1] op_sel_hi:[1,0]
	s_delay_alu instid0(VALU_DEP_1) | instskip(SKIP_1) | instid1(VALU_DEP_2)
	v_pk_fma_f32 v[44:45], v[38:39], v[40:41], v[42:43] op_sel_hi:[0,1,1]
	v_pk_fma_f32 v[38:39], v[38:39], v[40:41], v[42:43] neg_lo:[0,0,1] neg_hi:[0,0,1]
	v_mov_b32_e32 v39, v45
	s_delay_alu instid0(VALU_DEP_1)
	v_pk_add_f32 v[40:41], v[38:39], 0 neg_lo:[1,1] neg_hi:[1,1]
	ds_store_b64 v51, v[40:41]
.LBB161_373:                            ;   in Loop: Header=BB161_3 Depth=1
	s_or_b32 exec_lo, exec_lo, s10
	s_wait_dscnt 0x0
	s_barrier_signal -1
	s_barrier_wait -1
	s_and_saveexec_b32 s10, s99
	s_cbranch_execz .LBB161_375
; %bb.374:                              ;   in Loop: Header=BB161_3 Depth=1
	ds_load_b64 v[40:41], v52 offset:21824
	ds_load_b64 v[42:43], v51
	s_wait_dscnt 0x0
	v_pk_mul_f32 v[44:45], v[42:43], v[40:41] op_sel:[1,1] op_sel_hi:[0,1]
	s_delay_alu instid0(VALU_DEP_1) | instskip(SKIP_1) | instid1(VALU_DEP_2)
	v_pk_fma_f32 v[98:99], v[42:43], v[40:41], v[44:45] op_sel_hi:[1,0,1]
	v_pk_fma_f32 v[40:41], v[42:43], v[40:41], v[44:45] neg_lo:[0,0,1] neg_hi:[0,0,1]
	v_mov_b32_e32 v41, v99
	s_delay_alu instid0(VALU_DEP_1)
	v_pk_add_f32 v[38:39], v[38:39], v[40:41] neg_lo:[0,1] neg_hi:[0,1]
.LBB161_375:                            ;   in Loop: Header=BB161_3 Depth=1
	s_or_b32 exec_lo, exec_lo, s10
	s_barrier_signal -1
	s_barrier_wait -1
	s_and_saveexec_b32 s10, s100
	s_cbranch_execz .LBB161_377
; %bb.376:                              ;   in Loop: Header=BB161_3 Depth=1
	ds_load_b64 v[40:41], v1 offset:21320
	s_wait_dscnt 0x0
	v_pk_mul_f32 v[42:43], v[38:39], v[40:41] op_sel:[1,1] op_sel_hi:[1,0]
	s_delay_alu instid0(VALU_DEP_1) | instskip(SKIP_1) | instid1(VALU_DEP_2)
	v_pk_fma_f32 v[44:45], v[38:39], v[40:41], v[42:43] op_sel_hi:[0,1,1]
	v_pk_fma_f32 v[38:39], v[38:39], v[40:41], v[42:43] neg_lo:[0,0,1] neg_hi:[0,0,1]
	v_mov_b32_e32 v39, v45
	s_delay_alu instid0(VALU_DEP_1)
	v_pk_add_f32 v[40:41], v[38:39], 0 neg_lo:[1,1] neg_hi:[1,1]
	ds_store_b64 v51, v[40:41]
.LBB161_377:                            ;   in Loop: Header=BB161_3 Depth=1
	s_or_b32 exec_lo, exec_lo, s10
	s_wait_dscnt 0x0
	;; [unrolled: 35-line block ×3, first 2 shown]
	s_barrier_signal -1
	s_barrier_wait -1
	s_barrier_signal -1
	s_barrier_wait -1
	s_and_saveexec_b32 s10, s5
; %bb.382:                              ;   in Loop: Header=BB161_3 Depth=1
	ds_store_b64 v55, v[38:39] offset:24384
; %bb.383:                              ;   in Loop: Header=BB161_3 Depth=1
	s_or_b32 exec_lo, exec_lo, s10
	s_wait_dscnt 0x0
	s_barrier_signal -1
	s_barrier_wait -1
	s_barrier_signal -1
	s_barrier_wait -1
	s_and_saveexec_b32 s10, s102
	s_cbranch_execz .LBB161_385
; %bb.384:                              ;   in Loop: Header=BB161_3 Depth=1
	ds_load_b64 v[38:39], v71 offset:22848
	s_wait_dscnt 0x0
	ds_store_b64 v72, v[38:39] offset:20832
	ds_load_b64 v[38:39], v71 offset:22856
	s_wait_dscnt 0x0
	ds_store_b64 v72, v[38:39] offset:21344
	;; [unrolled: 3-line block ×4, first 2 shown]
.LBB161_385:                            ;   in Loop: Header=BB161_3 Depth=1
	s_or_b32 exec_lo, exec_lo, s10
	s_wait_dscnt 0x0
	s_barrier_signal -1
	s_barrier_wait -1
	s_and_saveexec_b32 s10, s14
	s_cbranch_execz .LBB161_387
; %bb.386:                              ;   in Loop: Header=BB161_3 Depth=1
	v_add_nc_u32_e64 v0, 0x150, 0
	ds_load_b64 v[42:43], v1 offset:22360
	ds_load_2addr_stride64_b64 v[38:41], v0 offset0:42 offset1:43
	s_wait_dscnt 0x0
	v_dual_mul_f32 v44, v43, v39 :: v_dual_mul_f32 v0, v42, v39
	s_delay_alu instid0(VALU_DEP_1) | instskip(NEXT) | instid1(VALU_DEP_2)
	v_xor_b32_e32 v44, 0x80000000, v44
	v_fmac_f32_e32 v0, v43, v38
	s_delay_alu instid0(VALU_DEP_2) | instskip(NEXT) | instid1(VALU_DEP_2)
	v_fmac_f32_e32 v44, v42, v38
	v_pk_mul_f32 v[38:39], v[0:1], v[40:41] op_sel:[0,1] op_sel_hi:[0,0]
	v_add_nc_u32_e64 v0, 0x5000, 0
	s_delay_alu instid0(VALU_DEP_2) | instskip(SKIP_1) | instid1(VALU_DEP_2)
	v_pk_fma_f32 v[42:43], v[44:45], v[40:41], v[38:39] op_sel_hi:[0,1,1]
	v_pk_fma_f32 v[38:39], v[44:45], v[40:41], v[38:39] neg_lo:[0,0,1] neg_hi:[0,0,1]
	v_mov_b32_e32 v39, v43
	ds_store_2addr_b64 v0, v[38:39], v[38:39] offset0:171 offset1:234
.LBB161_387:                            ;   in Loop: Header=BB161_3 Depth=1
	s_or_b32 exec_lo, exec_lo, s10
	v_dual_mov_b32 v38, 0 :: v_dual_mov_b32 v39, 0
	s_wait_dscnt 0x0
	s_barrier_signal -1
	s_barrier_wait -1
	global_wb scope:SCOPE_DEV
	s_wait_storecnt 0x0
	global_inv scope:SCOPE_DEV
	s_and_saveexec_b32 s16, s3
	s_cbranch_execz .LBB161_391
; %bb.388:                              ;   in Loop: Header=BB161_3 Depth=1
	ds_load_b64 v[38:39], v48 offset:21824
	ds_load_b64 v[40:41], v49 offset:22352
	s_wait_dscnt 0x0
	v_pk_mul_f32 v[42:43], v[40:41], v[38:39] op_sel:[1,1] op_sel_hi:[0,1]
	s_delay_alu instid0(VALU_DEP_1) | instskip(SKIP_1) | instid1(VALU_DEP_2)
	v_pk_fma_f32 v[44:45], v[40:41], v[38:39], v[42:43] op_sel_hi:[1,0,1]
	v_pk_fma_f32 v[38:39], v[40:41], v[38:39], v[42:43] neg_lo:[0,0,1] neg_hi:[0,0,1]
	v_mov_b32_e32 v39, v45
	s_delay_alu instid0(VALU_DEP_1)
	v_pk_add_f32 v[38:39], v[38:39], 0 op_sel_hi:[1,0]
	s_and_saveexec_b32 s10, s18
	s_cbranch_execz .LBB161_390
; %bb.389:                              ;   in Loop: Header=BB161_3 Depth=1
	ds_load_b64 v[40:41], v72 offset:22336
	ds_load_b64 v[42:43], v1 offset:22360
	s_wait_dscnt 0x0
	v_pk_mul_f32 v[44:45], v[42:43], v[40:41] op_sel:[1,1] op_sel_hi:[0,1]
	s_delay_alu instid0(VALU_DEP_1) | instskip(SKIP_1) | instid1(VALU_DEP_2)
	v_pk_fma_f32 v[98:99], v[42:43], v[40:41], v[44:45] op_sel_hi:[1,0,1]
	v_pk_fma_f32 v[40:41], v[42:43], v[40:41], v[44:45] neg_lo:[0,0,1] neg_hi:[0,0,1]
	v_mov_b32_e32 v41, v99
	s_delay_alu instid0(VALU_DEP_1)
	v_pk_add_f32 v[38:39], v[38:39], v[40:41]
.LBB161_390:                            ;   in Loop: Header=BB161_3 Depth=1
	s_or_b32 exec_lo, exec_lo, s10
.LBB161_391:                            ;   in Loop: Header=BB161_3 Depth=1
	s_delay_alu instid0(SALU_CYCLE_1)
	s_or_b32 exec_lo, exec_lo, s16
	s_and_saveexec_b32 s10, s93
	s_cbranch_execz .LBB161_393
; %bb.392:                              ;   in Loop: Header=BB161_3 Depth=1
	ds_load_b64 v[40:41], v1 offset:21320
	s_wait_dscnt 0x0
	v_pk_mul_f32 v[42:43], v[38:39], v[40:41] op_sel:[1,1] op_sel_hi:[1,0]
	s_delay_alu instid0(VALU_DEP_1) | instskip(SKIP_1) | instid1(VALU_DEP_2)
	v_pk_fma_f32 v[44:45], v[38:39], v[40:41], v[42:43] op_sel_hi:[0,1,1]
	v_pk_fma_f32 v[38:39], v[38:39], v[40:41], v[42:43] neg_lo:[0,0,1] neg_hi:[0,0,1]
	v_mov_b32_e32 v39, v45
	s_delay_alu instid0(VALU_DEP_1)
	v_pk_add_f32 v[40:41], v[38:39], 0 neg_lo:[1,1] neg_hi:[1,1]
	ds_store_b64 v3, v[40:41]
.LBB161_393:                            ;   in Loop: Header=BB161_3 Depth=1
	s_or_b32 exec_lo, exec_lo, s10
	s_wait_loadcnt_dscnt 0x0
	s_barrier_signal -1
	s_barrier_wait -1
	s_and_saveexec_b32 s10, s94
	s_cbranch_execz .LBB161_395
; %bb.394:                              ;   in Loop: Header=BB161_3 Depth=1
	ds_load_b64 v[40:41], v1 offset:21312
	ds_load_b64 v[42:43], v3
	s_wait_dscnt 0x0
	v_pk_mul_f32 v[44:45], v[42:43], v[40:41] op_sel:[1,1] op_sel_hi:[0,1]
	s_delay_alu instid0(VALU_DEP_1) | instskip(SKIP_1) | instid1(VALU_DEP_2)
	v_pk_fma_f32 v[98:99], v[42:43], v[40:41], v[44:45] op_sel_hi:[1,0,1]
	v_pk_fma_f32 v[40:41], v[42:43], v[40:41], v[44:45] neg_lo:[0,0,1] neg_hi:[0,0,1]
	v_mov_b32_e32 v41, v99
	s_delay_alu instid0(VALU_DEP_1)
	v_pk_add_f32 v[38:39], v[38:39], v[40:41] neg_lo:[0,1] neg_hi:[0,1]
.LBB161_395:                            ;   in Loop: Header=BB161_3 Depth=1
	s_or_b32 exec_lo, exec_lo, s10
	s_barrier_signal -1
	s_barrier_wait -1
	s_and_saveexec_b32 s10, s94
	s_cbranch_execz .LBB161_397
; %bb.396:                              ;   in Loop: Header=BB161_3 Depth=1
	ds_load_b64 v[40:41], v1 offset:20800
	s_wait_dscnt 0x0
	v_pk_mul_f32 v[42:43], v[38:39], v[40:41] op_sel:[1,1] op_sel_hi:[1,0]
	s_delay_alu instid0(VALU_DEP_1) | instskip(SKIP_1) | instid1(VALU_DEP_2)
	v_pk_fma_f32 v[44:45], v[38:39], v[40:41], v[42:43] op_sel_hi:[0,1,1]
	v_pk_fma_f32 v[38:39], v[38:39], v[40:41], v[42:43] neg_lo:[0,0,1] neg_hi:[0,0,1]
	v_mov_b32_e32 v39, v45
	s_delay_alu instid0(VALU_DEP_1)
	v_pk_add_f32 v[40:41], v[38:39], 0 neg_lo:[1,1] neg_hi:[1,1]
	ds_store_b64 v3, v[40:41]
.LBB161_397:                            ;   in Loop: Header=BB161_3 Depth=1
	s_or_b32 exec_lo, exec_lo, s10
	s_wait_dscnt 0x0
	s_barrier_signal -1
	s_barrier_wait -1
	s_barrier_signal -1
	s_barrier_wait -1
	s_and_saveexec_b32 s10, s3
; %bb.398:                              ;   in Loop: Header=BB161_3 Depth=1
	ds_store_b64 v50, v[38:39] offset:22336
; %bb.399:                              ;   in Loop: Header=BB161_3 Depth=1
	s_or_b32 exec_lo, exec_lo, s10
	s_wait_dscnt 0x0
	s_barrier_signal -1
	s_barrier_wait -1
	s_barrier_signal -1
	s_barrier_wait -1
	s_and_saveexec_b32 s10, s95
	s_cbranch_execz .LBB161_401
; %bb.400:                              ;   in Loop: Header=BB161_3 Depth=1
	ds_load_b64 v[38:39], v73 offset:21824
	s_wait_dscnt 0x0
	ds_store_b64 v72, v[38:39] offset:20816
	ds_load_b64 v[38:39], v73 offset:21832
	s_wait_dscnt 0x0
	ds_store_b64 v72, v[38:39] offset:21328
.LBB161_401:                            ;   in Loop: Header=BB161_3 Depth=1
	s_or_b32 exec_lo, exec_lo, s10
	s_wait_dscnt 0x0
	s_barrier_signal -1
	s_barrier_wait -1
	s_and_saveexec_b32 s10, s14
	s_cbranch_execz .LBB161_403
; %bb.402:                              ;   in Loop: Header=BB161_3 Depth=1
	v_add_nc_u32_e64 v0, 0x140, 0
	ds_load_b64 v[42:43], v1 offset:21320
	ds_load_2addr_stride64_b64 v[38:41], v0 offset0:40 offset1:41
	s_wait_dscnt 0x0
	v_dual_mul_f32 v44, v43, v39 :: v_dual_mul_f32 v0, v42, v39
	s_delay_alu instid0(VALU_DEP_1) | instskip(NEXT) | instid1(VALU_DEP_2)
	v_xor_b32_e32 v44, 0x80000000, v44
	v_fmac_f32_e32 v0, v43, v38
	s_delay_alu instid0(VALU_DEP_2) | instskip(NEXT) | instid1(VALU_DEP_2)
	v_fmac_f32_e32 v44, v42, v38
	v_pk_mul_f32 v[38:39], v[0:1], v[40:41] op_sel:[0,1] op_sel_hi:[0,0]
	v_add_nc_u32_e64 v0, 0x5000, 0
	s_delay_alu instid0(VALU_DEP_2) | instskip(SKIP_1) | instid1(VALU_DEP_2)
	v_pk_fma_f32 v[42:43], v[44:45], v[40:41], v[38:39] op_sel_hi:[0,1,1]
	v_pk_fma_f32 v[38:39], v[44:45], v[40:41], v[38:39] neg_lo:[0,0,1] neg_hi:[0,0,1]
	v_mov_b32_e32 v39, v43
	ds_store_2addr_b64 v0, v[38:39], v[38:39] offset0:41 offset1:104
.LBB161_403:                            ;   in Loop: Header=BB161_3 Depth=1
	s_or_b32 exec_lo, exec_lo, s10
	v_mov_b64_e32 v[38:39], 0
	s_wait_dscnt 0x0
	s_barrier_signal -1
	s_barrier_wait -1
	global_wb scope:SCOPE_DEV
	s_wait_storecnt 0x0
	global_inv scope:SCOPE_DEV
	s_and_saveexec_b32 s16, s6
	s_cbranch_execz .LBB161_413
; %bb.404:                              ;   in Loop: Header=BB161_3 Depth=1
	ds_load_b64 v[38:39], v57 offset:20736
	ds_load_b64 v[40:41], v58 offset:24384
	s_wait_dscnt 0x0
	v_dual_mul_f32 v0, v41, v39 :: v_dual_mul_f32 v39, v40, v39
	s_delay_alu instid0(VALU_DEP_1) | instskip(NEXT) | instid1(VALU_DEP_1)
	v_dual_fma_f32 v0, v40, v38, -v0 :: v_dual_fmac_f32 v39, v41, v38
	v_dual_add_f32 v38, 0, v0 :: v_dual_add_f32 v39, 0, v39
	s_and_saveexec_b32 s10, s21
	s_cbranch_execnz .LBB161_1125
; %bb.405:                              ;   in Loop: Header=BB161_3 Depth=1
	s_or_b32 exec_lo, exec_lo, s10
	s_and_saveexec_b32 s10, s22
	s_cbranch_execnz .LBB161_1126
.LBB161_406:                            ;   in Loop: Header=BB161_3 Depth=1
	s_or_b32 exec_lo, exec_lo, s10
	s_and_saveexec_b32 s10, s23
	s_cbranch_execnz .LBB161_1127
.LBB161_407:                            ;   in Loop: Header=BB161_3 Depth=1
	s_or_b32 exec_lo, exec_lo, s10
	s_and_saveexec_b32 s10, s24
	s_cbranch_execnz .LBB161_1128
.LBB161_408:                            ;   in Loop: Header=BB161_3 Depth=1
	s_or_b32 exec_lo, exec_lo, s10
	s_and_saveexec_b32 s10, s25
	s_cbranch_execnz .LBB161_1129
.LBB161_409:                            ;   in Loop: Header=BB161_3 Depth=1
	s_or_b32 exec_lo, exec_lo, s10
	s_and_saveexec_b32 s10, s5
	s_cbranch_execnz .LBB161_1130
.LBB161_410:                            ;   in Loop: Header=BB161_3 Depth=1
	s_or_b32 exec_lo, exec_lo, s10
	s_and_saveexec_b32 s10, s20
	s_cbranch_execz .LBB161_412
.LBB161_411:                            ;   in Loop: Header=BB161_3 Depth=1
	ds_load_b64 v[40:41], v75 offset:24320
	ds_load_b64 v[42:43], v1 offset:24440
	s_wait_dscnt 0x0
	v_dual_mul_f32 v0, v43, v41 :: v_dual_mul_f32 v45, v42, v41
	s_delay_alu instid0(VALU_DEP_1) | instskip(NEXT) | instid1(VALU_DEP_1)
	v_dual_fma_f32 v44, v42, v40, -v0 :: v_dual_fmac_f32 v45, v43, v40
	v_pk_add_f32 v[38:39], v[38:39], v[44:45]
.LBB161_412:                            ;   in Loop: Header=BB161_3 Depth=1
	s_or_b32 exec_lo, exec_lo, s10
.LBB161_413:                            ;   in Loop: Header=BB161_3 Depth=1
	s_delay_alu instid0(SALU_CYCLE_1)
	s_or_b32 exec_lo, exec_lo, s16
	s_and_saveexec_b32 s10, s103
	s_cbranch_execz .LBB161_415
; %bb.414:                              ;   in Loop: Header=BB161_3 Depth=1
	ds_load_b64 v[40:41], v1 offset:20280
	s_wait_dscnt 0x0
	v_pk_mul_f32 v[42:43], v[38:39], v[40:41] op_sel:[1,1] op_sel_hi:[1,0]
	s_delay_alu instid0(VALU_DEP_1) | instskip(SKIP_1) | instid1(VALU_DEP_2)
	v_pk_fma_f32 v[44:45], v[38:39], v[40:41], v[42:43] op_sel_hi:[0,1,1]
	v_pk_fma_f32 v[38:39], v[38:39], v[40:41], v[42:43] neg_lo:[0,0,1] neg_hi:[0,0,1]
	v_mov_b32_e32 v39, v45
	s_delay_alu instid0(VALU_DEP_1)
	v_pk_add_f32 v[40:41], v[38:39], 0 neg_lo:[1,1] neg_hi:[1,1]
	ds_store_b64 v56, v[40:41]
.LBB161_415:                            ;   in Loop: Header=BB161_3 Depth=1
	s_or_b32 exec_lo, exec_lo, s10
	s_wait_loadcnt_dscnt 0x0
	s_barrier_signal -1
	s_barrier_wait -1
	s_and_saveexec_b32 s10, s104
	s_cbranch_execz .LBB161_417
; %bb.416:                              ;   in Loop: Header=BB161_3 Depth=1
	ds_load_b64 v[40:41], v57 offset:20224
	ds_load_b64 v[42:43], v56
	s_wait_dscnt 0x0
	v_pk_mul_f32 v[44:45], v[42:43], v[40:41] op_sel:[1,1] op_sel_hi:[0,1]
	s_delay_alu instid0(VALU_DEP_1) | instskip(SKIP_1) | instid1(VALU_DEP_2)
	v_pk_fma_f32 v[98:99], v[42:43], v[40:41], v[44:45] op_sel_hi:[1,0,1]
	v_pk_fma_f32 v[40:41], v[42:43], v[40:41], v[44:45] neg_lo:[0,0,1] neg_hi:[0,0,1]
	v_mov_b32_e32 v41, v99
	s_delay_alu instid0(VALU_DEP_1)
	v_pk_add_f32 v[38:39], v[38:39], v[40:41] neg_lo:[0,1] neg_hi:[0,1]
.LBB161_417:                            ;   in Loop: Header=BB161_3 Depth=1
	s_or_b32 exec_lo, exec_lo, s10
	s_barrier_signal -1
	s_barrier_wait -1
	s_and_saveexec_b32 s10, vcc_hi
	s_cbranch_execz .LBB161_419
; %bb.418:                              ;   in Loop: Header=BB161_3 Depth=1
	ds_load_b64 v[40:41], v1 offset:19760
	s_wait_dscnt 0x0
	v_pk_mul_f32 v[42:43], v[38:39], v[40:41] op_sel:[1,1] op_sel_hi:[1,0]
	s_delay_alu instid0(VALU_DEP_1) | instskip(SKIP_1) | instid1(VALU_DEP_2)
	v_pk_fma_f32 v[44:45], v[38:39], v[40:41], v[42:43] op_sel_hi:[0,1,1]
	v_pk_fma_f32 v[38:39], v[38:39], v[40:41], v[42:43] neg_lo:[0,0,1] neg_hi:[0,0,1]
	v_mov_b32_e32 v39, v45
	s_delay_alu instid0(VALU_DEP_1)
	v_pk_add_f32 v[40:41], v[38:39], 0 neg_lo:[1,1] neg_hi:[1,1]
	ds_store_b64 v56, v[40:41]
.LBB161_419:                            ;   in Loop: Header=BB161_3 Depth=1
	s_or_b32 exec_lo, exec_lo, s10
	s_wait_dscnt 0x0
	s_barrier_signal -1
	s_barrier_wait -1
	s_and_saveexec_b32 s10, s41
	s_cbranch_execz .LBB161_421
; %bb.420:                              ;   in Loop: Header=BB161_3 Depth=1
	ds_load_b64 v[40:41], v57 offset:19712
	ds_load_b64 v[42:43], v56
	s_wait_dscnt 0x0
	v_pk_mul_f32 v[44:45], v[42:43], v[40:41] op_sel:[1,1] op_sel_hi:[0,1]
	s_delay_alu instid0(VALU_DEP_1) | instskip(SKIP_1) | instid1(VALU_DEP_2)
	v_pk_fma_f32 v[98:99], v[42:43], v[40:41], v[44:45] op_sel_hi:[1,0,1]
	v_pk_fma_f32 v[40:41], v[42:43], v[40:41], v[44:45] neg_lo:[0,0,1] neg_hi:[0,0,1]
	v_mov_b32_e32 v41, v99
	s_delay_alu instid0(VALU_DEP_1)
	v_pk_add_f32 v[38:39], v[38:39], v[40:41] neg_lo:[0,1] neg_hi:[0,1]
.LBB161_421:                            ;   in Loop: Header=BB161_3 Depth=1
	s_or_b32 exec_lo, exec_lo, s10
	s_barrier_signal -1
	s_barrier_wait -1
	s_and_saveexec_b32 s10, s42
	s_cbranch_execz .LBB161_423
; %bb.422:                              ;   in Loop: Header=BB161_3 Depth=1
	ds_load_b64 v[40:41], v1 offset:19240
	s_wait_dscnt 0x0
	v_pk_mul_f32 v[42:43], v[38:39], v[40:41] op_sel:[1,1] op_sel_hi:[1,0]
	s_delay_alu instid0(VALU_DEP_1) | instskip(SKIP_1) | instid1(VALU_DEP_2)
	v_pk_fma_f32 v[44:45], v[38:39], v[40:41], v[42:43] op_sel_hi:[0,1,1]
	v_pk_fma_f32 v[38:39], v[38:39], v[40:41], v[42:43] neg_lo:[0,0,1] neg_hi:[0,0,1]
	v_mov_b32_e32 v39, v45
	s_delay_alu instid0(VALU_DEP_1)
	v_pk_add_f32 v[40:41], v[38:39], 0 neg_lo:[1,1] neg_hi:[1,1]
	ds_store_b64 v56, v[40:41]
.LBB161_423:                            ;   in Loop: Header=BB161_3 Depth=1
	s_or_b32 exec_lo, exec_lo, s10
	s_wait_dscnt 0x0
	s_barrier_signal -1
	s_barrier_wait -1
	s_and_saveexec_b32 s10, s43
	s_cbranch_execz .LBB161_425
; %bb.424:                              ;   in Loop: Header=BB161_3 Depth=1
	ds_load_b64 v[40:41], v57 offset:19200
	ds_load_b64 v[42:43], v56
	s_wait_dscnt 0x0
	v_pk_mul_f32 v[44:45], v[42:43], v[40:41] op_sel:[1,1] op_sel_hi:[0,1]
	s_delay_alu instid0(VALU_DEP_1) | instskip(SKIP_1) | instid1(VALU_DEP_2)
	v_pk_fma_f32 v[98:99], v[42:43], v[40:41], v[44:45] op_sel_hi:[1,0,1]
	v_pk_fma_f32 v[40:41], v[42:43], v[40:41], v[44:45] neg_lo:[0,0,1] neg_hi:[0,0,1]
	v_mov_b32_e32 v41, v99
	s_delay_alu instid0(VALU_DEP_1)
	v_pk_add_f32 v[38:39], v[38:39], v[40:41] neg_lo:[0,1] neg_hi:[0,1]
.LBB161_425:                            ;   in Loop: Header=BB161_3 Depth=1
	s_or_b32 exec_lo, exec_lo, s10
	s_barrier_signal -1
	s_barrier_wait -1
	s_and_saveexec_b32 s10, s44
	s_cbranch_execz .LBB161_427
; %bb.426:                              ;   in Loop: Header=BB161_3 Depth=1
	ds_load_b64 v[40:41], v1 offset:18720
	s_wait_dscnt 0x0
	v_pk_mul_f32 v[42:43], v[38:39], v[40:41]
	v_pk_mul_f32 v[38:39], v[38:39], v[40:41] op_sel:[1,0] op_sel_hi:[0,1]
	s_delay_alu instid0(VALU_DEP_1) | instskip(NEXT) | instid1(VALU_DEP_3)
	v_dual_mov_b32 v40, v42 :: v_dual_mov_b32 v41, v38
	v_mov_b32_e32 v38, v43
	s_delay_alu instid0(VALU_DEP_1) | instskip(SKIP_1) | instid1(VALU_DEP_2)
	v_pk_add_f32 v[42:43], v[40:41], v[38:39]
	v_pk_add_f32 v[38:39], v[40:41], v[38:39] neg_lo:[0,1] neg_hi:[0,1]
	v_mov_b32_e32 v39, v43
	s_delay_alu instid0(VALU_DEP_1)
	v_pk_add_f32 v[40:41], v[38:39], 0 neg_lo:[1,1] neg_hi:[1,1]
	ds_store_b64 v56, v[40:41]
.LBB161_427:                            ;   in Loop: Header=BB161_3 Depth=1
	s_or_b32 exec_lo, exec_lo, s10
	s_wait_dscnt 0x0
	s_barrier_signal -1
	s_barrier_wait -1
	s_and_saveexec_b32 s10, s45
	s_cbranch_execz .LBB161_429
; %bb.428:                              ;   in Loop: Header=BB161_3 Depth=1
	ds_load_b64 v[40:41], v57 offset:18688
	ds_load_b64 v[42:43], v56
	s_wait_dscnt 0x0
	v_dual_mul_f32 v0, v43, v41 :: v_dual_mul_f32 v41, v42, v41
	s_delay_alu instid0(VALU_DEP_1) | instskip(NEXT) | instid1(VALU_DEP_1)
	v_dual_fma_f32 v0, v42, v40, -v0 :: v_dual_fmac_f32 v41, v43, v40
	v_dual_sub_f32 v38, v38, v0 :: v_dual_sub_f32 v39, v39, v41
.LBB161_429:                            ;   in Loop: Header=BB161_3 Depth=1
	s_or_b32 exec_lo, exec_lo, s10
	s_barrier_signal -1
	s_barrier_wait -1
	s_and_saveexec_b32 s10, s46
	s_cbranch_execz .LBB161_431
; %bb.430:                              ;   in Loop: Header=BB161_3 Depth=1
	ds_load_b64 v[40:41], v1 offset:18200
	s_wait_dscnt 0x0
	v_dual_mul_f32 v0, v39, v40 :: v_dual_mul_f32 v42, v39, v41
	s_delay_alu instid0(VALU_DEP_1) | instskip(NEXT) | instid1(VALU_DEP_2)
	v_pk_fma_f32 v[44:45], v[38:39], v[40:41], v[0:1] op_sel:[1,0,0] op_sel_hi:[0,1,0]
	v_pk_fma_f32 v[38:39], v[38:39], v[40:41], v[42:43] op_sel_hi:[1,1,0] neg_lo:[0,0,1] neg_hi:[0,0,1]
	s_delay_alu instid0(VALU_DEP_2) | instskip(NEXT) | instid1(VALU_DEP_1)
	v_mov_b32_e32 v39, v45
	v_pk_add_f32 v[40:41], v[38:39], 0 neg_lo:[1,1] neg_hi:[1,1]
	ds_store_b64 v56, v[40:41]
.LBB161_431:                            ;   in Loop: Header=BB161_3 Depth=1
	s_or_b32 exec_lo, exec_lo, s10
	s_wait_dscnt 0x0
	s_barrier_signal -1
	s_barrier_wait -1
	s_and_saveexec_b32 s10, s47
	s_cbranch_execz .LBB161_433
; %bb.432:                              ;   in Loop: Header=BB161_3 Depth=1
	ds_load_b64 v[40:41], v57 offset:18176
	ds_load_b64 v[42:43], v56
	s_wait_dscnt 0x0
	v_pk_mul_f32 v[44:45], v[42:43], v[40:41] op_sel:[1,1] op_sel_hi:[0,1]
	s_delay_alu instid0(VALU_DEP_1) | instskip(SKIP_1) | instid1(VALU_DEP_2)
	v_pk_fma_f32 v[98:99], v[42:43], v[40:41], v[44:45] op_sel_hi:[1,0,1]
	v_pk_fma_f32 v[40:41], v[42:43], v[40:41], v[44:45] neg_lo:[0,0,1] neg_hi:[0,0,1]
	v_mov_b32_e32 v41, v99
	s_delay_alu instid0(VALU_DEP_1)
	v_pk_add_f32 v[38:39], v[38:39], v[40:41] neg_lo:[0,1] neg_hi:[0,1]
.LBB161_433:                            ;   in Loop: Header=BB161_3 Depth=1
	s_or_b32 exec_lo, exec_lo, s10
	s_barrier_signal -1
	s_barrier_wait -1
	s_and_saveexec_b32 s10, s48
	s_cbranch_execz .LBB161_435
; %bb.434:                              ;   in Loop: Header=BB161_3 Depth=1
	ds_load_b64 v[40:41], v1 offset:17680
	s_wait_dscnt 0x0
	v_pk_mul_f32 v[42:43], v[38:39], v[40:41] op_sel:[1,1] op_sel_hi:[1,0]
	s_delay_alu instid0(VALU_DEP_1) | instskip(SKIP_1) | instid1(VALU_DEP_2)
	v_pk_fma_f32 v[44:45], v[38:39], v[40:41], v[42:43] op_sel_hi:[0,1,1]
	v_pk_fma_f32 v[38:39], v[38:39], v[40:41], v[42:43] neg_lo:[0,0,1] neg_hi:[0,0,1]
	v_mov_b32_e32 v39, v45
	s_delay_alu instid0(VALU_DEP_1)
	v_pk_add_f32 v[40:41], v[38:39], 0 neg_lo:[1,1] neg_hi:[1,1]
	ds_store_b64 v56, v[40:41]
.LBB161_435:                            ;   in Loop: Header=BB161_3 Depth=1
	s_or_b32 exec_lo, exec_lo, s10
	s_wait_dscnt 0x0
	s_barrier_signal -1
	s_barrier_wait -1
	s_and_saveexec_b32 s10, s49
	s_cbranch_execz .LBB161_437
; %bb.436:                              ;   in Loop: Header=BB161_3 Depth=1
	ds_load_b64 v[40:41], v57 offset:17664
	ds_load_b64 v[42:43], v56
	s_wait_dscnt 0x0
	v_pk_mul_f32 v[44:45], v[42:43], v[40:41] op_sel:[1,1] op_sel_hi:[0,1]
	s_delay_alu instid0(VALU_DEP_1) | instskip(SKIP_1) | instid1(VALU_DEP_2)
	v_pk_fma_f32 v[98:99], v[42:43], v[40:41], v[44:45] op_sel_hi:[1,0,1]
	v_pk_fma_f32 v[40:41], v[42:43], v[40:41], v[44:45] neg_lo:[0,0,1] neg_hi:[0,0,1]
	v_mov_b32_e32 v41, v99
	s_delay_alu instid0(VALU_DEP_1)
	v_pk_add_f32 v[38:39], v[38:39], v[40:41] neg_lo:[0,1] neg_hi:[0,1]
.LBB161_437:                            ;   in Loop: Header=BB161_3 Depth=1
	s_or_b32 exec_lo, exec_lo, s10
	s_barrier_signal -1
	s_barrier_wait -1
	s_and_saveexec_b32 s10, s50
	s_cbranch_execz .LBB161_439
; %bb.438:                              ;   in Loop: Header=BB161_3 Depth=1
	ds_load_b64 v[40:41], v1 offset:17160
	s_wait_dscnt 0x0
	v_pk_mul_f32 v[42:43], v[38:39], v[40:41] op_sel:[1,1] op_sel_hi:[1,0]
	s_delay_alu instid0(VALU_DEP_1) | instskip(SKIP_1) | instid1(VALU_DEP_2)
	v_pk_fma_f32 v[44:45], v[38:39], v[40:41], v[42:43] op_sel_hi:[0,1,1]
	v_pk_fma_f32 v[38:39], v[38:39], v[40:41], v[42:43] neg_lo:[0,0,1] neg_hi:[0,0,1]
	v_mov_b32_e32 v39, v45
	s_delay_alu instid0(VALU_DEP_1)
	v_pk_add_f32 v[40:41], v[38:39], 0 neg_lo:[1,1] neg_hi:[1,1]
	ds_store_b64 v56, v[40:41]
.LBB161_439:                            ;   in Loop: Header=BB161_3 Depth=1
	;; [unrolled: 35-line block ×3, first 2 shown]
	s_or_b32 exec_lo, exec_lo, s10
	s_wait_dscnt 0x0
	s_barrier_signal -1
	s_barrier_wait -1
	s_barrier_signal -1
	s_barrier_wait -1
	s_and_saveexec_b32 s10, s6
; %bb.444:                              ;   in Loop: Header=BB161_3 Depth=1
	ds_store_b64 v59, v[38:39] offset:24320
; %bb.445:                              ;   in Loop: Header=BB161_3 Depth=1
	s_or_b32 exec_lo, exec_lo, s10
	s_wait_dscnt 0x0
	s_barrier_signal -1
	s_barrier_wait -1
	s_barrier_signal -1
	s_barrier_wait -1
	s_and_saveexec_b32 s10, s52
	s_cbranch_execz .LBB161_447
; %bb.446:                              ;   in Loop: Header=BB161_3 Depth=1
	ds_load_b64 v[38:39], v77 offset:20736
	s_wait_dscnt 0x0
	ds_store_b64 v78, v[38:39] offset:16704
	ds_load_b64 v[38:39], v77 offset:20744
	s_wait_dscnt 0x0
	ds_store_b64 v78, v[38:39] offset:17216
	;; [unrolled: 3-line block ×8, first 2 shown]
.LBB161_447:                            ;   in Loop: Header=BB161_3 Depth=1
	s_or_b32 exec_lo, exec_lo, s10
	s_wait_dscnt 0x0
	s_barrier_signal -1
	s_barrier_wait -1
	s_and_saveexec_b32 s10, s14
	s_cbranch_execz .LBB161_449
; %bb.448:                              ;   in Loop: Header=BB161_3 Depth=1
	v_add_nc_u32_e64 v0, 0x130, 0
	ds_load_b64 v[42:43], v1 offset:20280
	ds_load_2addr_stride64_b64 v[38:41], v0 offset0:38 offset1:39
	s_wait_dscnt 0x0
	v_dual_mul_f32 v44, v43, v39 :: v_dual_mul_f32 v0, v42, v39
	s_delay_alu instid0(VALU_DEP_1) | instskip(NEXT) | instid1(VALU_DEP_2)
	v_xor_b32_e32 v44, 0x80000000, v44
	v_fmac_f32_e32 v0, v43, v38
	s_delay_alu instid0(VALU_DEP_2) | instskip(NEXT) | instid1(VALU_DEP_2)
	v_fmac_f32_e32 v44, v42, v38
	v_pk_mul_f32 v[38:39], v[0:1], v[40:41] op_sel:[0,1] op_sel_hi:[0,0]
	v_add_nc_u32_e64 v0, 0x4800, 0
	s_delay_alu instid0(VALU_DEP_2) | instskip(SKIP_1) | instid1(VALU_DEP_2)
	v_pk_fma_f32 v[42:43], v[44:45], v[40:41], v[38:39] op_sel_hi:[0,1,1]
	v_pk_fma_f32 v[38:39], v[44:45], v[40:41], v[38:39] neg_lo:[0,0,1] neg_hi:[0,0,1]
	v_mov_b32_e32 v39, v43
	ds_store_2addr_b64 v0, v[38:39], v[38:39] offset0:167 offset1:230
.LBB161_449:                            ;   in Loop: Header=BB161_3 Depth=1
	s_or_b32 exec_lo, exec_lo, s10
	v_dual_mov_b32 v38, 0 :: v_dual_mov_b32 v39, 0
	s_wait_dscnt 0x0
	s_barrier_signal -1
	s_barrier_wait -1
	global_wb scope:SCOPE_DEV
	s_wait_storecnt 0x0
	global_inv scope:SCOPE_DEV
	s_and_saveexec_b32 s16, s3
	s_cbranch_execz .LBB161_453
; %bb.450:                              ;   in Loop: Header=BB161_3 Depth=1
	ds_load_b64 v[38:39], v48 offset:19744
	ds_load_b64 v[40:41], v49 offset:20272
	s_wait_dscnt 0x0
	v_pk_mul_f32 v[42:43], v[40:41], v[38:39] op_sel:[1,1] op_sel_hi:[0,1]
	s_delay_alu instid0(VALU_DEP_1) | instskip(SKIP_1) | instid1(VALU_DEP_2)
	v_pk_fma_f32 v[44:45], v[40:41], v[38:39], v[42:43] op_sel_hi:[1,0,1]
	v_pk_fma_f32 v[38:39], v[40:41], v[38:39], v[42:43] neg_lo:[0,0,1] neg_hi:[0,0,1]
	v_mov_b32_e32 v39, v45
	s_delay_alu instid0(VALU_DEP_1)
	v_pk_add_f32 v[38:39], v[38:39], 0 op_sel_hi:[1,0]
	s_and_saveexec_b32 s10, s18
	s_cbranch_execz .LBB161_452
; %bb.451:                              ;   in Loop: Header=BB161_3 Depth=1
	ds_load_b64 v[40:41], v78 offset:20256
	ds_load_b64 v[42:43], v1 offset:20280
	s_wait_dscnt 0x0
	v_pk_mul_f32 v[44:45], v[42:43], v[40:41] op_sel:[1,1] op_sel_hi:[0,1]
	s_delay_alu instid0(VALU_DEP_1) | instskip(SKIP_1) | instid1(VALU_DEP_2)
	v_pk_fma_f32 v[98:99], v[42:43], v[40:41], v[44:45] op_sel_hi:[1,0,1]
	v_pk_fma_f32 v[40:41], v[42:43], v[40:41], v[44:45] neg_lo:[0,0,1] neg_hi:[0,0,1]
	v_mov_b32_e32 v41, v99
	s_delay_alu instid0(VALU_DEP_1)
	v_pk_add_f32 v[38:39], v[38:39], v[40:41]
.LBB161_452:                            ;   in Loop: Header=BB161_3 Depth=1
	s_or_b32 exec_lo, exec_lo, s10
.LBB161_453:                            ;   in Loop: Header=BB161_3 Depth=1
	s_delay_alu instid0(SALU_CYCLE_1)
	s_or_b32 exec_lo, exec_lo, s16
	s_and_saveexec_b32 s10, s93
	s_cbranch_execz .LBB161_455
; %bb.454:                              ;   in Loop: Header=BB161_3 Depth=1
	ds_load_b64 v[40:41], v1 offset:19240
	s_wait_dscnt 0x0
	v_pk_mul_f32 v[42:43], v[38:39], v[40:41] op_sel:[1,1] op_sel_hi:[1,0]
	s_delay_alu instid0(VALU_DEP_1) | instskip(SKIP_1) | instid1(VALU_DEP_2)
	v_pk_fma_f32 v[44:45], v[38:39], v[40:41], v[42:43] op_sel_hi:[0,1,1]
	v_pk_fma_f32 v[38:39], v[38:39], v[40:41], v[42:43] neg_lo:[0,0,1] neg_hi:[0,0,1]
	v_mov_b32_e32 v39, v45
	s_delay_alu instid0(VALU_DEP_1)
	v_pk_add_f32 v[40:41], v[38:39], 0 neg_lo:[1,1] neg_hi:[1,1]
	ds_store_b64 v3, v[40:41]
.LBB161_455:                            ;   in Loop: Header=BB161_3 Depth=1
	s_or_b32 exec_lo, exec_lo, s10
	s_wait_loadcnt_dscnt 0x0
	s_barrier_signal -1
	s_barrier_wait -1
	s_and_saveexec_b32 s10, s94
	s_cbranch_execz .LBB161_457
; %bb.456:                              ;   in Loop: Header=BB161_3 Depth=1
	ds_load_b64 v[40:41], v1 offset:19232
	ds_load_b64 v[42:43], v3
	s_wait_dscnt 0x0
	v_pk_mul_f32 v[44:45], v[42:43], v[40:41] op_sel:[1,1] op_sel_hi:[0,1]
	s_delay_alu instid0(VALU_DEP_1) | instskip(SKIP_1) | instid1(VALU_DEP_2)
	v_pk_fma_f32 v[98:99], v[42:43], v[40:41], v[44:45] op_sel_hi:[1,0,1]
	v_pk_fma_f32 v[40:41], v[42:43], v[40:41], v[44:45] neg_lo:[0,0,1] neg_hi:[0,0,1]
	v_mov_b32_e32 v41, v99
	s_delay_alu instid0(VALU_DEP_1)
	v_pk_add_f32 v[38:39], v[38:39], v[40:41] neg_lo:[0,1] neg_hi:[0,1]
.LBB161_457:                            ;   in Loop: Header=BB161_3 Depth=1
	s_or_b32 exec_lo, exec_lo, s10
	s_barrier_signal -1
	s_barrier_wait -1
	s_and_saveexec_b32 s10, s94
	s_cbranch_execz .LBB161_459
; %bb.458:                              ;   in Loop: Header=BB161_3 Depth=1
	ds_load_b64 v[40:41], v1 offset:18720
	s_wait_dscnt 0x0
	v_pk_mul_f32 v[42:43], v[38:39], v[40:41] op_sel:[1,1] op_sel_hi:[1,0]
	s_delay_alu instid0(VALU_DEP_1) | instskip(SKIP_1) | instid1(VALU_DEP_2)
	v_pk_fma_f32 v[44:45], v[38:39], v[40:41], v[42:43] op_sel_hi:[0,1,1]
	v_pk_fma_f32 v[38:39], v[38:39], v[40:41], v[42:43] neg_lo:[0,0,1] neg_hi:[0,0,1]
	v_mov_b32_e32 v39, v45
	s_delay_alu instid0(VALU_DEP_1)
	v_pk_add_f32 v[40:41], v[38:39], 0 neg_lo:[1,1] neg_hi:[1,1]
	ds_store_b64 v3, v[40:41]
.LBB161_459:                            ;   in Loop: Header=BB161_3 Depth=1
	s_or_b32 exec_lo, exec_lo, s10
	s_wait_dscnt 0x0
	s_barrier_signal -1
	s_barrier_wait -1
	s_barrier_signal -1
	s_barrier_wait -1
	s_and_saveexec_b32 s10, s3
; %bb.460:                              ;   in Loop: Header=BB161_3 Depth=1
	ds_store_b64 v50, v[38:39] offset:20256
; %bb.461:                              ;   in Loop: Header=BB161_3 Depth=1
	s_or_b32 exec_lo, exec_lo, s10
	s_wait_dscnt 0x0
	s_barrier_signal -1
	s_barrier_wait -1
	s_barrier_signal -1
	s_barrier_wait -1
	s_and_saveexec_b32 s10, s95
	s_cbranch_execz .LBB161_463
; %bb.462:                              ;   in Loop: Header=BB161_3 Depth=1
	ds_load_b64 v[38:39], v80 offset:19744
	s_wait_dscnt 0x0
	ds_store_b64 v78, v[38:39] offset:18736
	ds_load_b64 v[38:39], v80 offset:19752
	s_wait_dscnt 0x0
	ds_store_b64 v78, v[38:39] offset:19248
.LBB161_463:                            ;   in Loop: Header=BB161_3 Depth=1
	s_or_b32 exec_lo, exec_lo, s10
	s_wait_dscnt 0x0
	s_barrier_signal -1
	s_barrier_wait -1
	s_and_saveexec_b32 s10, s14
	s_cbranch_execz .LBB161_465
; %bb.464:                              ;   in Loop: Header=BB161_3 Depth=1
	v_add_nc_u32_e64 v0, 0x120, 0
	ds_load_b64 v[42:43], v1 offset:19240
	ds_load_2addr_stride64_b64 v[38:41], v0 offset0:36 offset1:37
	s_wait_dscnt 0x0
	v_dual_mul_f32 v44, v43, v39 :: v_dual_mul_f32 v0, v42, v39
	s_delay_alu instid0(VALU_DEP_1) | instskip(NEXT) | instid1(VALU_DEP_2)
	v_xor_b32_e32 v44, 0x80000000, v44
	v_fmac_f32_e32 v0, v43, v38
	s_delay_alu instid0(VALU_DEP_2) | instskip(NEXT) | instid1(VALU_DEP_2)
	v_fmac_f32_e32 v44, v42, v38
	v_pk_mul_f32 v[38:39], v[0:1], v[40:41] op_sel:[0,1] op_sel_hi:[0,0]
	v_add_nc_u32_e64 v0, 0x4800, 0
	s_delay_alu instid0(VALU_DEP_2) | instskip(SKIP_1) | instid1(VALU_DEP_2)
	v_pk_fma_f32 v[42:43], v[44:45], v[40:41], v[38:39] op_sel_hi:[0,1,1]
	v_pk_fma_f32 v[38:39], v[44:45], v[40:41], v[38:39] neg_lo:[0,0,1] neg_hi:[0,0,1]
	v_mov_b32_e32 v39, v43
	ds_store_2addr_b64 v0, v[38:39], v[38:39] offset0:37 offset1:100
.LBB161_465:                            ;   in Loop: Header=BB161_3 Depth=1
	s_or_b32 exec_lo, exec_lo, s10
	v_mov_b64_e32 v[38:39], 0
	s_wait_dscnt 0x0
	s_barrier_signal -1
	s_barrier_wait -1
	global_wb scope:SCOPE_DEV
	s_wait_storecnt 0x0
	global_inv scope:SCOPE_DEV
	s_and_saveexec_b32 s16, s5
	s_cbranch_execz .LBB161_471
; %bb.466:                              ;   in Loop: Header=BB161_3 Depth=1
	ds_load_b64 v[38:39], v52 offset:18688
	ds_load_b64 v[40:41], v53 offset:20256
	s_wait_dscnt 0x0
	v_dual_mul_f32 v0, v41, v39 :: v_dual_mul_f32 v39, v40, v39
	s_delay_alu instid0(VALU_DEP_1) | instskip(NEXT) | instid1(VALU_DEP_1)
	v_dual_fma_f32 v0, v40, v38, -v0 :: v_dual_fmac_f32 v39, v41, v38
	v_dual_add_f32 v38, 0, v0 :: v_dual_add_f32 v39, 0, v39
	s_and_saveexec_b32 s10, s19
	s_cbranch_execnz .LBB161_1131
; %bb.467:                              ;   in Loop: Header=BB161_3 Depth=1
	s_or_b32 exec_lo, exec_lo, s10
	s_and_saveexec_b32 s10, s20
	s_cbranch_execnz .LBB161_1132
.LBB161_468:                            ;   in Loop: Header=BB161_3 Depth=1
	s_or_b32 exec_lo, exec_lo, s10
	s_and_saveexec_b32 s10, s3
	s_cbranch_execz .LBB161_470
.LBB161_469:                            ;   in Loop: Header=BB161_3 Depth=1
	ds_load_b64 v[40:41], v81 offset:20224
	ds_load_b64 v[42:43], v1 offset:20280
	s_wait_dscnt 0x0
	v_dual_mul_f32 v0, v43, v41 :: v_dual_mul_f32 v41, v42, v41
	s_delay_alu instid0(VALU_DEP_1) | instskip(NEXT) | instid1(VALU_DEP_1)
	v_dual_fma_f32 v0, v42, v40, -v0 :: v_dual_fmac_f32 v41, v43, v40
	v_dual_add_f32 v38, v38, v0 :: v_dual_add_f32 v39, v39, v41
.LBB161_470:                            ;   in Loop: Header=BB161_3 Depth=1
	s_or_b32 exec_lo, exec_lo, s10
.LBB161_471:                            ;   in Loop: Header=BB161_3 Depth=1
	s_delay_alu instid0(SALU_CYCLE_1)
	s_or_b32 exec_lo, exec_lo, s16
	s_and_saveexec_b32 s10, s96
	s_cbranch_execz .LBB161_473
; %bb.472:                              ;   in Loop: Header=BB161_3 Depth=1
	ds_load_b64 v[40:41], v1 offset:18200
	s_wait_dscnt 0x0
	v_dual_mul_f32 v0, v39, v40 :: v_dual_mul_f32 v42, v39, v41
	s_delay_alu instid0(VALU_DEP_1) | instskip(NEXT) | instid1(VALU_DEP_2)
	v_pk_fma_f32 v[44:45], v[38:39], v[40:41], v[0:1] op_sel:[1,0,0] op_sel_hi:[0,1,0]
	v_pk_fma_f32 v[38:39], v[38:39], v[40:41], v[42:43] op_sel_hi:[1,1,0] neg_lo:[0,0,1] neg_hi:[0,0,1]
	s_delay_alu instid0(VALU_DEP_2) | instskip(NEXT) | instid1(VALU_DEP_1)
	v_mov_b32_e32 v39, v45
	v_pk_add_f32 v[40:41], v[38:39], 0 neg_lo:[1,1] neg_hi:[1,1]
	ds_store_b64 v51, v[40:41]
.LBB161_473:                            ;   in Loop: Header=BB161_3 Depth=1
	s_or_b32 exec_lo, exec_lo, s10
	s_wait_loadcnt_dscnt 0x0
	s_barrier_signal -1
	s_barrier_wait -1
	s_and_saveexec_b32 s10, s97
	s_cbranch_execz .LBB161_475
; %bb.474:                              ;   in Loop: Header=BB161_3 Depth=1
	ds_load_b64 v[40:41], v52 offset:18176
	ds_load_b64 v[42:43], v51
	s_wait_dscnt 0x0
	v_pk_mul_f32 v[44:45], v[42:43], v[40:41] op_sel:[1,1] op_sel_hi:[0,1]
	s_delay_alu instid0(VALU_DEP_1) | instskip(SKIP_1) | instid1(VALU_DEP_2)
	v_pk_fma_f32 v[98:99], v[42:43], v[40:41], v[44:45] op_sel_hi:[1,0,1]
	v_pk_fma_f32 v[40:41], v[42:43], v[40:41], v[44:45] neg_lo:[0,0,1] neg_hi:[0,0,1]
	v_mov_b32_e32 v41, v99
	s_delay_alu instid0(VALU_DEP_1)
	v_pk_add_f32 v[38:39], v[38:39], v[40:41] neg_lo:[0,1] neg_hi:[0,1]
.LBB161_475:                            ;   in Loop: Header=BB161_3 Depth=1
	s_or_b32 exec_lo, exec_lo, s10
	s_barrier_signal -1
	s_barrier_wait -1
	s_and_saveexec_b32 s10, s98
	s_cbranch_execz .LBB161_477
; %bb.476:                              ;   in Loop: Header=BB161_3 Depth=1
	ds_load_b64 v[40:41], v1 offset:17680
	s_wait_dscnt 0x0
	v_pk_mul_f32 v[42:43], v[38:39], v[40:41] op_sel:[1,1] op_sel_hi:[1,0]
	s_delay_alu instid0(VALU_DEP_1) | instskip(SKIP_1) | instid1(VALU_DEP_2)
	v_pk_fma_f32 v[44:45], v[38:39], v[40:41], v[42:43] op_sel_hi:[0,1,1]
	v_pk_fma_f32 v[38:39], v[38:39], v[40:41], v[42:43] neg_lo:[0,0,1] neg_hi:[0,0,1]
	v_mov_b32_e32 v39, v45
	s_delay_alu instid0(VALU_DEP_1)
	v_pk_add_f32 v[40:41], v[38:39], 0 neg_lo:[1,1] neg_hi:[1,1]
	ds_store_b64 v51, v[40:41]
.LBB161_477:                            ;   in Loop: Header=BB161_3 Depth=1
	s_or_b32 exec_lo, exec_lo, s10
	s_wait_dscnt 0x0
	s_barrier_signal -1
	s_barrier_wait -1
	s_and_saveexec_b32 s10, s99
	s_cbranch_execz .LBB161_479
; %bb.478:                              ;   in Loop: Header=BB161_3 Depth=1
	ds_load_b64 v[40:41], v52 offset:17664
	ds_load_b64 v[42:43], v51
	s_wait_dscnt 0x0
	v_pk_mul_f32 v[44:45], v[42:43], v[40:41] op_sel:[1,1] op_sel_hi:[0,1]
	s_delay_alu instid0(VALU_DEP_1) | instskip(SKIP_1) | instid1(VALU_DEP_2)
	v_pk_fma_f32 v[98:99], v[42:43], v[40:41], v[44:45] op_sel_hi:[1,0,1]
	v_pk_fma_f32 v[40:41], v[42:43], v[40:41], v[44:45] neg_lo:[0,0,1] neg_hi:[0,0,1]
	v_mov_b32_e32 v41, v99
	s_delay_alu instid0(VALU_DEP_1)
	v_pk_add_f32 v[38:39], v[38:39], v[40:41] neg_lo:[0,1] neg_hi:[0,1]
.LBB161_479:                            ;   in Loop: Header=BB161_3 Depth=1
	s_or_b32 exec_lo, exec_lo, s10
	s_barrier_signal -1
	s_barrier_wait -1
	s_and_saveexec_b32 s10, s100
	s_cbranch_execz .LBB161_481
; %bb.480:                              ;   in Loop: Header=BB161_3 Depth=1
	ds_load_b64 v[40:41], v1 offset:17160
	s_wait_dscnt 0x0
	v_pk_mul_f32 v[42:43], v[38:39], v[40:41] op_sel:[1,1] op_sel_hi:[1,0]
	s_delay_alu instid0(VALU_DEP_1) | instskip(SKIP_1) | instid1(VALU_DEP_2)
	v_pk_fma_f32 v[44:45], v[38:39], v[40:41], v[42:43] op_sel_hi:[0,1,1]
	v_pk_fma_f32 v[38:39], v[38:39], v[40:41], v[42:43] neg_lo:[0,0,1] neg_hi:[0,0,1]
	v_mov_b32_e32 v39, v45
	s_delay_alu instid0(VALU_DEP_1)
	v_pk_add_f32 v[40:41], v[38:39], 0 neg_lo:[1,1] neg_hi:[1,1]
	ds_store_b64 v51, v[40:41]
.LBB161_481:                            ;   in Loop: Header=BB161_3 Depth=1
	s_or_b32 exec_lo, exec_lo, s10
	s_wait_dscnt 0x0
	;; [unrolled: 35-line block ×3, first 2 shown]
	s_barrier_signal -1
	s_barrier_wait -1
	s_barrier_signal -1
	s_barrier_wait -1
	s_and_saveexec_b32 s10, s5
; %bb.486:                              ;   in Loop: Header=BB161_3 Depth=1
	ds_store_b64 v55, v[38:39] offset:20224
; %bb.487:                              ;   in Loop: Header=BB161_3 Depth=1
	s_or_b32 exec_lo, exec_lo, s10
	s_wait_dscnt 0x0
	s_barrier_signal -1
	s_barrier_wait -1
	s_barrier_signal -1
	s_barrier_wait -1
	s_and_saveexec_b32 s10, s102
	s_cbranch_execz .LBB161_489
; %bb.488:                              ;   in Loop: Header=BB161_3 Depth=1
	ds_load_b64 v[38:39], v82 offset:18688
	s_wait_dscnt 0x0
	ds_store_b64 v83, v[38:39] offset:16672
	ds_load_b64 v[38:39], v82 offset:18696
	s_wait_dscnt 0x0
	ds_store_b64 v83, v[38:39] offset:17184
	;; [unrolled: 3-line block ×4, first 2 shown]
.LBB161_489:                            ;   in Loop: Header=BB161_3 Depth=1
	s_or_b32 exec_lo, exec_lo, s10
	s_wait_dscnt 0x0
	s_barrier_signal -1
	s_barrier_wait -1
	s_and_saveexec_b32 s10, s14
	s_cbranch_execz .LBB161_491
; %bb.490:                              ;   in Loop: Header=BB161_3 Depth=1
	v_add_nc_u32_e64 v0, 0x110, 0
	ds_load_b64 v[42:43], v1 offset:18200
	ds_load_2addr_stride64_b64 v[38:41], v0 offset0:34 offset1:35
	s_wait_dscnt 0x0
	v_dual_mul_f32 v44, v43, v39 :: v_dual_mul_f32 v0, v42, v39
	s_delay_alu instid0(VALU_DEP_1) | instskip(NEXT) | instid1(VALU_DEP_2)
	v_xor_b32_e32 v44, 0x80000000, v44
	v_fmac_f32_e32 v0, v43, v38
	s_delay_alu instid0(VALU_DEP_2) | instskip(NEXT) | instid1(VALU_DEP_2)
	v_fmac_f32_e32 v44, v42, v38
	v_pk_mul_f32 v[38:39], v[0:1], v[40:41] op_sel:[0,1] op_sel_hi:[0,0]
	v_add_nc_u32_e64 v0, 0x4000, 0
	s_delay_alu instid0(VALU_DEP_2) | instskip(SKIP_1) | instid1(VALU_DEP_2)
	v_pk_fma_f32 v[42:43], v[44:45], v[40:41], v[38:39] op_sel_hi:[0,1,1]
	v_pk_fma_f32 v[38:39], v[44:45], v[40:41], v[38:39] neg_lo:[0,0,1] neg_hi:[0,0,1]
	v_mov_b32_e32 v39, v43
	ds_store_2addr_b64 v0, v[38:39], v[38:39] offset0:163 offset1:226
.LBB161_491:                            ;   in Loop: Header=BB161_3 Depth=1
	s_or_b32 exec_lo, exec_lo, s10
	v_dual_mov_b32 v38, 0 :: v_dual_mov_b32 v39, 0
	s_wait_dscnt 0x0
	s_barrier_signal -1
	s_barrier_wait -1
	global_wb scope:SCOPE_DEV
	s_wait_storecnt 0x0
	global_inv scope:SCOPE_DEV
	s_and_saveexec_b32 s16, s3
	s_cbranch_execz .LBB161_495
; %bb.492:                              ;   in Loop: Header=BB161_3 Depth=1
	ds_load_b64 v[38:39], v48 offset:17664
	ds_load_b64 v[40:41], v49 offset:18192
	s_wait_dscnt 0x0
	v_pk_mul_f32 v[42:43], v[40:41], v[38:39] op_sel:[1,1] op_sel_hi:[0,1]
	s_delay_alu instid0(VALU_DEP_1) | instskip(SKIP_1) | instid1(VALU_DEP_2)
	v_pk_fma_f32 v[44:45], v[40:41], v[38:39], v[42:43] op_sel_hi:[1,0,1]
	v_pk_fma_f32 v[38:39], v[40:41], v[38:39], v[42:43] neg_lo:[0,0,1] neg_hi:[0,0,1]
	v_mov_b32_e32 v39, v45
	s_delay_alu instid0(VALU_DEP_1)
	v_pk_add_f32 v[38:39], v[38:39], 0 op_sel_hi:[1,0]
	s_and_saveexec_b32 s10, s18
	s_cbranch_execz .LBB161_494
; %bb.493:                              ;   in Loop: Header=BB161_3 Depth=1
	ds_load_b64 v[40:41], v83 offset:18176
	ds_load_b64 v[42:43], v1 offset:18200
	s_wait_dscnt 0x0
	v_pk_mul_f32 v[44:45], v[42:43], v[40:41] op_sel:[1,1] op_sel_hi:[0,1]
	s_delay_alu instid0(VALU_DEP_1) | instskip(SKIP_1) | instid1(VALU_DEP_2)
	v_pk_fma_f32 v[98:99], v[42:43], v[40:41], v[44:45] op_sel_hi:[1,0,1]
	v_pk_fma_f32 v[40:41], v[42:43], v[40:41], v[44:45] neg_lo:[0,0,1] neg_hi:[0,0,1]
	v_mov_b32_e32 v41, v99
	s_delay_alu instid0(VALU_DEP_1)
	v_pk_add_f32 v[38:39], v[38:39], v[40:41]
.LBB161_494:                            ;   in Loop: Header=BB161_3 Depth=1
	s_or_b32 exec_lo, exec_lo, s10
.LBB161_495:                            ;   in Loop: Header=BB161_3 Depth=1
	s_delay_alu instid0(SALU_CYCLE_1)
	s_or_b32 exec_lo, exec_lo, s16
	s_and_saveexec_b32 s10, s93
	s_cbranch_execz .LBB161_497
; %bb.496:                              ;   in Loop: Header=BB161_3 Depth=1
	ds_load_b64 v[40:41], v1 offset:17160
	s_wait_dscnt 0x0
	v_pk_mul_f32 v[42:43], v[38:39], v[40:41] op_sel:[1,1] op_sel_hi:[1,0]
	s_delay_alu instid0(VALU_DEP_1) | instskip(SKIP_1) | instid1(VALU_DEP_2)
	v_pk_fma_f32 v[44:45], v[38:39], v[40:41], v[42:43] op_sel_hi:[0,1,1]
	v_pk_fma_f32 v[38:39], v[38:39], v[40:41], v[42:43] neg_lo:[0,0,1] neg_hi:[0,0,1]
	v_mov_b32_e32 v39, v45
	s_delay_alu instid0(VALU_DEP_1)
	v_pk_add_f32 v[40:41], v[38:39], 0 neg_lo:[1,1] neg_hi:[1,1]
	ds_store_b64 v3, v[40:41]
.LBB161_497:                            ;   in Loop: Header=BB161_3 Depth=1
	s_or_b32 exec_lo, exec_lo, s10
	s_wait_loadcnt_dscnt 0x0
	s_barrier_signal -1
	s_barrier_wait -1
	s_and_saveexec_b32 s10, s94
	s_cbranch_execz .LBB161_499
; %bb.498:                              ;   in Loop: Header=BB161_3 Depth=1
	ds_load_b64 v[40:41], v1 offset:17152
	ds_load_b64 v[42:43], v3
	s_wait_dscnt 0x0
	v_pk_mul_f32 v[44:45], v[42:43], v[40:41] op_sel:[1,1] op_sel_hi:[0,1]
	s_delay_alu instid0(VALU_DEP_1) | instskip(SKIP_1) | instid1(VALU_DEP_2)
	v_pk_fma_f32 v[98:99], v[42:43], v[40:41], v[44:45] op_sel_hi:[1,0,1]
	v_pk_fma_f32 v[40:41], v[42:43], v[40:41], v[44:45] neg_lo:[0,0,1] neg_hi:[0,0,1]
	v_mov_b32_e32 v41, v99
	s_delay_alu instid0(VALU_DEP_1)
	v_pk_add_f32 v[38:39], v[38:39], v[40:41] neg_lo:[0,1] neg_hi:[0,1]
.LBB161_499:                            ;   in Loop: Header=BB161_3 Depth=1
	s_or_b32 exec_lo, exec_lo, s10
	s_barrier_signal -1
	s_barrier_wait -1
	s_and_saveexec_b32 s10, s94
	s_cbranch_execz .LBB161_501
; %bb.500:                              ;   in Loop: Header=BB161_3 Depth=1
	ds_load_b64 v[40:41], v1 offset:16640
	s_wait_dscnt 0x0
	v_pk_mul_f32 v[42:43], v[38:39], v[40:41] op_sel:[1,1] op_sel_hi:[1,0]
	s_delay_alu instid0(VALU_DEP_1) | instskip(SKIP_1) | instid1(VALU_DEP_2)
	v_pk_fma_f32 v[44:45], v[38:39], v[40:41], v[42:43] op_sel_hi:[0,1,1]
	v_pk_fma_f32 v[38:39], v[38:39], v[40:41], v[42:43] neg_lo:[0,0,1] neg_hi:[0,0,1]
	v_mov_b32_e32 v39, v45
	s_delay_alu instid0(VALU_DEP_1)
	v_pk_add_f32 v[40:41], v[38:39], 0 neg_lo:[1,1] neg_hi:[1,1]
	ds_store_b64 v3, v[40:41]
.LBB161_501:                            ;   in Loop: Header=BB161_3 Depth=1
	s_or_b32 exec_lo, exec_lo, s10
	s_wait_dscnt 0x0
	s_barrier_signal -1
	s_barrier_wait -1
	s_barrier_signal -1
	s_barrier_wait -1
	s_and_saveexec_b32 s10, s3
; %bb.502:                              ;   in Loop: Header=BB161_3 Depth=1
	ds_store_b64 v50, v[38:39] offset:18176
; %bb.503:                              ;   in Loop: Header=BB161_3 Depth=1
	s_or_b32 exec_lo, exec_lo, s10
	s_wait_dscnt 0x0
	s_barrier_signal -1
	s_barrier_wait -1
	s_barrier_signal -1
	s_barrier_wait -1
	s_and_saveexec_b32 s10, s95
	s_cbranch_execz .LBB161_505
; %bb.504:                              ;   in Loop: Header=BB161_3 Depth=1
	ds_load_b64 v[38:39], v85 offset:17664
	s_wait_dscnt 0x0
	ds_store_b64 v83, v[38:39] offset:16656
	ds_load_b64 v[38:39], v85 offset:17672
	s_wait_dscnt 0x0
	ds_store_b64 v83, v[38:39] offset:17168
.LBB161_505:                            ;   in Loop: Header=BB161_3 Depth=1
	s_or_b32 exec_lo, exec_lo, s10
	s_wait_dscnt 0x0
	s_barrier_signal -1
	s_barrier_wait -1
	s_and_saveexec_b32 s10, s14
	s_cbranch_execz .LBB161_507
; %bb.506:                              ;   in Loop: Header=BB161_3 Depth=1
	v_add_nc_u32_e64 v0, 0x100, 0
	ds_load_b64 v[42:43], v1 offset:17160
	ds_load_2addr_stride64_b64 v[38:41], v0 offset0:32 offset1:33
	s_wait_dscnt 0x0
	v_dual_mul_f32 v44, v43, v39 :: v_dual_mul_f32 v0, v42, v39
	s_delay_alu instid0(VALU_DEP_1) | instskip(NEXT) | instid1(VALU_DEP_2)
	v_xor_b32_e32 v44, 0x80000000, v44
	v_fmac_f32_e32 v0, v43, v38
	s_delay_alu instid0(VALU_DEP_2) | instskip(NEXT) | instid1(VALU_DEP_2)
	v_fmac_f32_e32 v44, v42, v38
	v_pk_mul_f32 v[38:39], v[0:1], v[40:41] op_sel:[0,1] op_sel_hi:[0,0]
	v_add_nc_u32_e64 v0, 0x4000, 0
	s_delay_alu instid0(VALU_DEP_2) | instskip(SKIP_1) | instid1(VALU_DEP_2)
	v_pk_fma_f32 v[42:43], v[44:45], v[40:41], v[38:39] op_sel_hi:[0,1,1]
	v_pk_fma_f32 v[38:39], v[44:45], v[40:41], v[38:39] neg_lo:[0,0,1] neg_hi:[0,0,1]
	v_mov_b32_e32 v39, v43
	ds_store_2addr_b64 v0, v[38:39], v[38:39] offset0:33 offset1:96
.LBB161_507:                            ;   in Loop: Header=BB161_3 Depth=1
	s_or_b32 exec_lo, exec_lo, s10
	v_mov_b64_e32 v[38:39], 0
	s_wait_dscnt 0x0
	s_barrier_signal -1
	s_barrier_wait -1
	global_wb scope:SCOPE_DEV
	s_wait_storecnt 0x0
	global_inv scope:SCOPE_DEV
	s_and_saveexec_b32 s66, s38
	s_cbranch_execz .LBB161_568
; %bb.508:                              ;   in Loop: Header=BB161_3 Depth=1
	ds_load_b64 v[38:39], v65 offset:16384
	ds_load_b64 v[40:41], v67 offset:32512
	v_readlane_b32 s11, v97, 9
	s_wait_dscnt 0x0
	v_dual_mul_f32 v0, v41, v39 :: v_dual_mul_f32 v39, v40, v39
	s_delay_alu instid0(VALU_DEP_1) | instskip(NEXT) | instid1(VALU_DEP_1)
	v_dual_fma_f32 v0, v40, v38, -v0 :: v_dual_fmac_f32 v39, v41, v38
	v_dual_add_f32 v38, 0, v0 :: v_dual_add_f32 v39, 0, v39
	s_and_saveexec_b32 s10, s11
	s_cbranch_execz .LBB161_510
; %bb.509:                              ;   in Loop: Header=BB161_3 Depth=1
	ds_load_b64 v[40:41], v65 offset:16896
	ds_load_b64 v[42:43], v67 offset:32520
	s_wait_dscnt 0x0
	v_dual_mul_f32 v0, v43, v41 :: v_dual_mul_f32 v41, v42, v41
	s_delay_alu instid0(VALU_DEP_1) | instskip(NEXT) | instid1(VALU_DEP_1)
	v_dual_fma_f32 v0, v42, v40, -v0 :: v_dual_fmac_f32 v41, v43, v40
	v_dual_add_f32 v38, v38, v0 :: v_dual_add_f32 v39, v39, v41
.LBB161_510:                            ;   in Loop: Header=BB161_3 Depth=1
	s_or_b32 exec_lo, exec_lo, s10
	v_readlane_b32 s11, v97, 10
	s_and_saveexec_b32 s10, s11
	s_cbranch_execz .LBB161_512
; %bb.511:                              ;   in Loop: Header=BB161_3 Depth=1
	ds_load_b64 v[40:41], v65 offset:17408
	ds_load_b64 v[42:43], v67 offset:32528
	s_wait_dscnt 0x0
	v_dual_mul_f32 v0, v43, v41 :: v_dual_mul_f32 v41, v42, v41
	s_delay_alu instid0(VALU_DEP_1) | instskip(NEXT) | instid1(VALU_DEP_1)
	v_dual_fma_f32 v0, v42, v40, -v0 :: v_dual_fmac_f32 v41, v43, v40
	v_dual_add_f32 v38, v38, v0 :: v_dual_add_f32 v39, v39, v41
.LBB161_512:                            ;   in Loop: Header=BB161_3 Depth=1
	s_or_b32 exec_lo, exec_lo, s10
	v_readlane_b32 s11, v97, 11
	s_and_saveexec_b32 s10, s11
	s_cbranch_execz .LBB161_514
; %bb.513:                              ;   in Loop: Header=BB161_3 Depth=1
	ds_load_b64 v[40:41], v65 offset:17920
	ds_load_b64 v[42:43], v67 offset:32536
	s_wait_dscnt 0x0
	v_dual_mul_f32 v0, v43, v41 :: v_dual_mul_f32 v41, v42, v41
	s_delay_alu instid0(VALU_DEP_1) | instskip(NEXT) | instid1(VALU_DEP_1)
	v_dual_fma_f32 v0, v42, v40, -v0 :: v_dual_fmac_f32 v41, v43, v40
	v_dual_add_f32 v38, v38, v0 :: v_dual_add_f32 v39, v39, v41
.LBB161_514:                            ;   in Loop: Header=BB161_3 Depth=1
	s_or_b32 exec_lo, exec_lo, s10
	v_readlane_b32 s11, v97, 12
	s_and_saveexec_b32 s10, s11
	s_cbranch_execz .LBB161_516
; %bb.515:                              ;   in Loop: Header=BB161_3 Depth=1
	ds_load_b64 v[40:41], v65 offset:18432
	ds_load_b64 v[42:43], v67 offset:32544
	s_wait_dscnt 0x0
	v_dual_mul_f32 v0, v43, v41 :: v_dual_mul_f32 v41, v42, v41
	s_delay_alu instid0(VALU_DEP_1) | instskip(NEXT) | instid1(VALU_DEP_1)
	v_dual_fma_f32 v0, v42, v40, -v0 :: v_dual_fmac_f32 v41, v43, v40
	v_dual_add_f32 v38, v38, v0 :: v_dual_add_f32 v39, v39, v41
.LBB161_516:                            ;   in Loop: Header=BB161_3 Depth=1
	s_or_b32 exec_lo, exec_lo, s10
	v_readlane_b32 s11, v97, 13
	s_and_saveexec_b32 s10, s11
	s_cbranch_execz .LBB161_518
; %bb.517:                              ;   in Loop: Header=BB161_3 Depth=1
	ds_load_b64 v[40:41], v65 offset:18944
	ds_load_b64 v[42:43], v67 offset:32552
	s_wait_dscnt 0x0
	v_dual_mul_f32 v0, v43, v41 :: v_dual_mul_f32 v41, v42, v41
	s_delay_alu instid0(VALU_DEP_1) | instskip(NEXT) | instid1(VALU_DEP_1)
	v_dual_fma_f32 v0, v42, v40, -v0 :: v_dual_fmac_f32 v41, v43, v40
	v_dual_add_f32 v38, v38, v0 :: v_dual_add_f32 v39, v39, v41
.LBB161_518:                            ;   in Loop: Header=BB161_3 Depth=1
	s_or_b32 exec_lo, exec_lo, s10
	v_readlane_b32 s11, v97, 14
	s_and_saveexec_b32 s10, s11
	s_cbranch_execz .LBB161_520
; %bb.519:                              ;   in Loop: Header=BB161_3 Depth=1
	ds_load_b64 v[40:41], v65 offset:19456
	ds_load_b64 v[42:43], v67 offset:32560
	s_wait_dscnt 0x0
	v_dual_mul_f32 v0, v43, v41 :: v_dual_mul_f32 v41, v42, v41
	s_delay_alu instid0(VALU_DEP_1) | instskip(NEXT) | instid1(VALU_DEP_1)
	v_dual_fma_f32 v0, v42, v40, -v0 :: v_dual_fmac_f32 v41, v43, v40
	v_dual_add_f32 v38, v38, v0 :: v_dual_add_f32 v39, v39, v41
.LBB161_520:                            ;   in Loop: Header=BB161_3 Depth=1
	s_or_b32 exec_lo, exec_lo, s10
	v_readlane_b32 s11, v97, 15
	s_and_saveexec_b32 s10, s11
	s_cbranch_execz .LBB161_522
; %bb.521:                              ;   in Loop: Header=BB161_3 Depth=1
	ds_load_b64 v[40:41], v65 offset:19968
	ds_load_b64 v[42:43], v67 offset:32568
	s_wait_dscnt 0x0
	v_dual_mul_f32 v0, v43, v41 :: v_dual_mul_f32 v41, v42, v41
	s_delay_alu instid0(VALU_DEP_1) | instskip(NEXT) | instid1(VALU_DEP_1)
	v_dual_fma_f32 v0, v42, v40, -v0 :: v_dual_fmac_f32 v41, v43, v40
	v_dual_add_f32 v38, v38, v0 :: v_dual_add_f32 v39, v39, v41
.LBB161_522:                            ;   in Loop: Header=BB161_3 Depth=1
	s_or_b32 exec_lo, exec_lo, s10
	v_readlane_b32 s11, v97, 16
	s_and_saveexec_b32 s10, s11
	s_cbranch_execz .LBB161_524
; %bb.523:                              ;   in Loop: Header=BB161_3 Depth=1
	ds_load_b64 v[40:41], v65 offset:20480
	ds_load_b64 v[42:43], v67 offset:32576
	s_wait_dscnt 0x0
	v_dual_mul_f32 v0, v43, v41 :: v_dual_mul_f32 v41, v42, v41
	s_delay_alu instid0(VALU_DEP_1) | instskip(NEXT) | instid1(VALU_DEP_1)
	v_dual_fma_f32 v0, v42, v40, -v0 :: v_dual_fmac_f32 v41, v43, v40
	v_dual_add_f32 v38, v38, v0 :: v_dual_add_f32 v39, v39, v41
.LBB161_524:                            ;   in Loop: Header=BB161_3 Depth=1
	s_or_b32 exec_lo, exec_lo, s10
	v_readlane_b32 s11, v97, 17
	s_and_saveexec_b32 s10, s11
	s_cbranch_execz .LBB161_526
; %bb.525:                              ;   in Loop: Header=BB161_3 Depth=1
	ds_load_b64 v[40:41], v65 offset:20992
	ds_load_b64 v[42:43], v67 offset:32584
	s_wait_dscnt 0x0
	v_dual_mul_f32 v0, v43, v41 :: v_dual_mul_f32 v41, v42, v41
	s_delay_alu instid0(VALU_DEP_1) | instskip(NEXT) | instid1(VALU_DEP_1)
	v_dual_fma_f32 v0, v42, v40, -v0 :: v_dual_fmac_f32 v41, v43, v40
	v_dual_add_f32 v38, v38, v0 :: v_dual_add_f32 v39, v39, v41
.LBB161_526:                            ;   in Loop: Header=BB161_3 Depth=1
	s_or_b32 exec_lo, exec_lo, s10
	v_readlane_b32 s11, v97, 18
	s_and_saveexec_b32 s10, s11
	s_cbranch_execz .LBB161_528
; %bb.527:                              ;   in Loop: Header=BB161_3 Depth=1
	ds_load_b64 v[40:41], v65 offset:21504
	ds_load_b64 v[42:43], v67 offset:32592
	s_wait_dscnt 0x0
	v_dual_mul_f32 v0, v43, v41 :: v_dual_mul_f32 v41, v42, v41
	s_delay_alu instid0(VALU_DEP_1) | instskip(NEXT) | instid1(VALU_DEP_1)
	v_dual_fma_f32 v0, v42, v40, -v0 :: v_dual_fmac_f32 v41, v43, v40
	v_dual_add_f32 v38, v38, v0 :: v_dual_add_f32 v39, v39, v41
.LBB161_528:                            ;   in Loop: Header=BB161_3 Depth=1
	s_or_b32 exec_lo, exec_lo, s10
	v_readlane_b32 s11, v97, 19
	s_and_saveexec_b32 s10, s11
	s_cbranch_execz .LBB161_530
; %bb.529:                              ;   in Loop: Header=BB161_3 Depth=1
	ds_load_b64 v[40:41], v65 offset:22016
	ds_load_b64 v[42:43], v67 offset:32600
	s_wait_dscnt 0x0
	v_dual_mul_f32 v0, v43, v41 :: v_dual_mul_f32 v41, v42, v41
	s_delay_alu instid0(VALU_DEP_1) | instskip(NEXT) | instid1(VALU_DEP_1)
	v_dual_fma_f32 v0, v42, v40, -v0 :: v_dual_fmac_f32 v41, v43, v40
	v_dual_add_f32 v38, v38, v0 :: v_dual_add_f32 v39, v39, v41
.LBB161_530:                            ;   in Loop: Header=BB161_3 Depth=1
	s_or_b32 exec_lo, exec_lo, s10
	v_readlane_b32 s11, v97, 20
	s_and_saveexec_b32 s10, s11
	s_cbranch_execz .LBB161_532
; %bb.531:                              ;   in Loop: Header=BB161_3 Depth=1
	ds_load_b64 v[40:41], v65 offset:22528
	ds_load_b64 v[42:43], v67 offset:32608
	s_wait_dscnt 0x0
	v_dual_mul_f32 v0, v43, v41 :: v_dual_mul_f32 v41, v42, v41
	s_delay_alu instid0(VALU_DEP_1) | instskip(NEXT) | instid1(VALU_DEP_1)
	v_dual_fma_f32 v0, v42, v40, -v0 :: v_dual_fmac_f32 v41, v43, v40
	v_dual_add_f32 v38, v38, v0 :: v_dual_add_f32 v39, v39, v41
.LBB161_532:                            ;   in Loop: Header=BB161_3 Depth=1
	s_or_b32 exec_lo, exec_lo, s10
	v_readlane_b32 s11, v97, 21
	s_and_saveexec_b32 s10, s11
	s_cbranch_execz .LBB161_534
; %bb.533:                              ;   in Loop: Header=BB161_3 Depth=1
	ds_load_b64 v[40:41], v65 offset:23040
	ds_load_b64 v[42:43], v67 offset:32616
	s_wait_dscnt 0x0
	v_dual_mul_f32 v0, v43, v41 :: v_dual_mul_f32 v41, v42, v41
	s_delay_alu instid0(VALU_DEP_1) | instskip(NEXT) | instid1(VALU_DEP_1)
	v_dual_fma_f32 v0, v42, v40, -v0 :: v_dual_fmac_f32 v41, v43, v40
	v_dual_add_f32 v38, v38, v0 :: v_dual_add_f32 v39, v39, v41
.LBB161_534:                            ;   in Loop: Header=BB161_3 Depth=1
	s_or_b32 exec_lo, exec_lo, s10
	v_readlane_b32 s11, v97, 22
	s_and_saveexec_b32 s10, s11
	s_cbranch_execz .LBB161_536
; %bb.535:                              ;   in Loop: Header=BB161_3 Depth=1
	ds_load_b64 v[40:41], v65 offset:23552
	ds_load_b64 v[42:43], v67 offset:32624
	s_wait_dscnt 0x0
	v_dual_mul_f32 v0, v43, v41 :: v_dual_mul_f32 v41, v42, v41
	s_delay_alu instid0(VALU_DEP_1) | instskip(NEXT) | instid1(VALU_DEP_1)
	v_dual_fma_f32 v0, v42, v40, -v0 :: v_dual_fmac_f32 v41, v43, v40
	v_dual_add_f32 v38, v38, v0 :: v_dual_add_f32 v39, v39, v41
.LBB161_536:                            ;   in Loop: Header=BB161_3 Depth=1
	s_or_b32 exec_lo, exec_lo, s10
	v_readlane_b32 s11, v97, 23
	s_and_saveexec_b32 s10, s11
	s_cbranch_execz .LBB161_538
; %bb.537:                              ;   in Loop: Header=BB161_3 Depth=1
	ds_load_b64 v[40:41], v65 offset:24064
	ds_load_b64 v[42:43], v67 offset:32632
	s_wait_dscnt 0x0
	v_dual_mul_f32 v0, v43, v41 :: v_dual_mul_f32 v41, v42, v41
	s_delay_alu instid0(VALU_DEP_1) | instskip(NEXT) | instid1(VALU_DEP_1)
	v_dual_fma_f32 v0, v42, v40, -v0 :: v_dual_fmac_f32 v41, v43, v40
	v_dual_add_f32 v38, v38, v0 :: v_dual_add_f32 v39, v39, v41
.LBB161_538:                            ;   in Loop: Header=BB161_3 Depth=1
	s_or_b32 exec_lo, exec_lo, s10
	v_readlane_b32 s11, v97, 24
	s_and_saveexec_b32 s10, s11
	s_cbranch_execz .LBB161_540
; %bb.539:                              ;   in Loop: Header=BB161_3 Depth=1
	ds_load_b64 v[40:41], v65 offset:24576
	ds_load_b64 v[42:43], v67 offset:32640
	s_wait_dscnt 0x0
	v_dual_mul_f32 v0, v43, v41 :: v_dual_mul_f32 v41, v42, v41
	s_delay_alu instid0(VALU_DEP_1) | instskip(NEXT) | instid1(VALU_DEP_1)
	v_dual_fma_f32 v0, v42, v40, -v0 :: v_dual_fmac_f32 v41, v43, v40
	v_dual_add_f32 v38, v38, v0 :: v_dual_add_f32 v39, v39, v41
.LBB161_540:                            ;   in Loop: Header=BB161_3 Depth=1
	s_or_b32 exec_lo, exec_lo, s10
	v_readlane_b32 s11, v97, 25
	s_and_saveexec_b32 s10, s11
	s_cbranch_execz .LBB161_542
; %bb.541:                              ;   in Loop: Header=BB161_3 Depth=1
	ds_load_b64 v[40:41], v65 offset:25088
	ds_load_b64 v[42:43], v67 offset:32648
	s_wait_dscnt 0x0
	v_dual_mul_f32 v0, v43, v41 :: v_dual_mul_f32 v41, v42, v41
	s_delay_alu instid0(VALU_DEP_1) | instskip(NEXT) | instid1(VALU_DEP_1)
	v_dual_fma_f32 v0, v42, v40, -v0 :: v_dual_fmac_f32 v41, v43, v40
	v_dual_add_f32 v38, v38, v0 :: v_dual_add_f32 v39, v39, v41
.LBB161_542:                            ;   in Loop: Header=BB161_3 Depth=1
	s_or_b32 exec_lo, exec_lo, s10
	v_readlane_b32 s11, v97, 26
	s_and_saveexec_b32 s10, s11
	s_cbranch_execz .LBB161_544
; %bb.543:                              ;   in Loop: Header=BB161_3 Depth=1
	ds_load_b64 v[40:41], v65 offset:25600
	ds_load_b64 v[42:43], v67 offset:32656
	s_wait_dscnt 0x0
	v_dual_mul_f32 v0, v43, v41 :: v_dual_mul_f32 v41, v42, v41
	s_delay_alu instid0(VALU_DEP_1) | instskip(NEXT) | instid1(VALU_DEP_1)
	v_dual_fma_f32 v0, v42, v40, -v0 :: v_dual_fmac_f32 v41, v43, v40
	v_dual_add_f32 v38, v38, v0 :: v_dual_add_f32 v39, v39, v41
.LBB161_544:                            ;   in Loop: Header=BB161_3 Depth=1
	s_or_b32 exec_lo, exec_lo, s10
	v_readlane_b32 s11, v97, 27
	s_and_saveexec_b32 s10, s11
	s_cbranch_execz .LBB161_546
; %bb.545:                              ;   in Loop: Header=BB161_3 Depth=1
	ds_load_b64 v[40:41], v65 offset:26112
	ds_load_b64 v[42:43], v67 offset:32664
	s_wait_dscnt 0x0
	v_dual_mul_f32 v0, v43, v41 :: v_dual_mul_f32 v41, v42, v41
	s_delay_alu instid0(VALU_DEP_1) | instskip(NEXT) | instid1(VALU_DEP_1)
	v_dual_fma_f32 v0, v42, v40, -v0 :: v_dual_fmac_f32 v41, v43, v40
	v_dual_add_f32 v38, v38, v0 :: v_dual_add_f32 v39, v39, v41
.LBB161_546:                            ;   in Loop: Header=BB161_3 Depth=1
	s_or_b32 exec_lo, exec_lo, s10
	v_readlane_b32 s11, v97, 28
	s_and_saveexec_b32 s10, s11
	s_cbranch_execz .LBB161_548
; %bb.547:                              ;   in Loop: Header=BB161_3 Depth=1
	ds_load_b64 v[40:41], v65 offset:26624
	ds_load_b64 v[42:43], v67 offset:32672
	s_wait_dscnt 0x0
	v_dual_mul_f32 v0, v43, v41 :: v_dual_mul_f32 v41, v42, v41
	s_delay_alu instid0(VALU_DEP_1) | instskip(NEXT) | instid1(VALU_DEP_1)
	v_dual_fma_f32 v0, v42, v40, -v0 :: v_dual_fmac_f32 v41, v43, v40
	v_dual_add_f32 v38, v38, v0 :: v_dual_add_f32 v39, v39, v41
.LBB161_548:                            ;   in Loop: Header=BB161_3 Depth=1
	s_or_b32 exec_lo, exec_lo, s10
	v_readlane_b32 s11, v97, 29
	s_and_saveexec_b32 s10, s11
	s_cbranch_execz .LBB161_550
; %bb.549:                              ;   in Loop: Header=BB161_3 Depth=1
	ds_load_b64 v[40:41], v65 offset:27136
	ds_load_b64 v[42:43], v67 offset:32680
	s_wait_dscnt 0x0
	v_dual_mul_f32 v0, v43, v41 :: v_dual_mul_f32 v41, v42, v41
	s_delay_alu instid0(VALU_DEP_1) | instskip(NEXT) | instid1(VALU_DEP_1)
	v_dual_fma_f32 v0, v42, v40, -v0 :: v_dual_fmac_f32 v41, v43, v40
	v_dual_add_f32 v38, v38, v0 :: v_dual_add_f32 v39, v39, v41
.LBB161_550:                            ;   in Loop: Header=BB161_3 Depth=1
	s_or_b32 exec_lo, exec_lo, s10
	v_readlane_b32 s11, v97, 30
	s_and_saveexec_b32 s10, s11
	s_cbranch_execz .LBB161_552
; %bb.551:                              ;   in Loop: Header=BB161_3 Depth=1
	ds_load_b64 v[40:41], v65 offset:27648
	ds_load_b64 v[42:43], v67 offset:32688
	s_wait_dscnt 0x0
	v_dual_mul_f32 v0, v43, v41 :: v_dual_mul_f32 v41, v42, v41
	s_delay_alu instid0(VALU_DEP_1) | instskip(NEXT) | instid1(VALU_DEP_1)
	v_dual_fma_f32 v0, v42, v40, -v0 :: v_dual_fmac_f32 v41, v43, v40
	v_dual_add_f32 v38, v38, v0 :: v_dual_add_f32 v39, v39, v41
.LBB161_552:                            ;   in Loop: Header=BB161_3 Depth=1
	s_or_b32 exec_lo, exec_lo, s10
	v_readlane_b32 s11, v97, 31
	s_and_saveexec_b32 s10, s11
	s_cbranch_execz .LBB161_554
; %bb.553:                              ;   in Loop: Header=BB161_3 Depth=1
	ds_load_b64 v[40:41], v65 offset:28160
	ds_load_b64 v[42:43], v67 offset:32696
	s_wait_dscnt 0x0
	v_dual_mul_f32 v0, v43, v41 :: v_dual_mul_f32 v41, v42, v41
	s_delay_alu instid0(VALU_DEP_1) | instskip(NEXT) | instid1(VALU_DEP_1)
	v_dual_fma_f32 v0, v42, v40, -v0 :: v_dual_fmac_f32 v41, v43, v40
	v_dual_add_f32 v38, v38, v0 :: v_dual_add_f32 v39, v39, v41
.LBB161_554:                            ;   in Loop: Header=BB161_3 Depth=1
	s_or_b32 exec_lo, exec_lo, s10
	s_and_saveexec_b32 s10, s7
	s_cbranch_execz .LBB161_556
; %bb.555:                              ;   in Loop: Header=BB161_3 Depth=1
	ds_load_b64 v[40:41], v65 offset:28672
	ds_load_b64 v[42:43], v67 offset:32704
	s_wait_dscnt 0x0
	v_dual_mul_f32 v0, v43, v41 :: v_dual_mul_f32 v41, v42, v41
	s_delay_alu instid0(VALU_DEP_1) | instskip(NEXT) | instid1(VALU_DEP_1)
	v_dual_fma_f32 v0, v42, v40, -v0 :: v_dual_fmac_f32 v41, v43, v40
	v_dual_add_f32 v38, v38, v0 :: v_dual_add_f32 v39, v39, v41
.LBB161_556:                            ;   in Loop: Header=BB161_3 Depth=1
	s_or_b32 exec_lo, exec_lo, s10
	v_readlane_b32 s11, v106, 30
	s_and_saveexec_b32 s10, s11
	s_cbranch_execz .LBB161_558
; %bb.557:                              ;   in Loop: Header=BB161_3 Depth=1
	ds_load_b64 v[40:41], v65 offset:29184
	ds_load_b64 v[42:43], v67 offset:32712
	s_wait_dscnt 0x0
	v_dual_mul_f32 v0, v43, v41 :: v_dual_mul_f32 v41, v42, v41
	s_delay_alu instid0(VALU_DEP_1) | instskip(NEXT) | instid1(VALU_DEP_1)
	v_dual_fma_f32 v0, v42, v40, -v0 :: v_dual_fmac_f32 v41, v43, v40
	v_dual_add_f32 v38, v38, v0 :: v_dual_add_f32 v39, v39, v41
.LBB161_558:                            ;   in Loop: Header=BB161_3 Depth=1
	s_or_b32 exec_lo, exec_lo, s10
	v_readlane_b32 s11, v97, 0
	;; [unrolled: 13-line block ×4, first 2 shown]
	s_and_saveexec_b32 s10, s11
	s_cbranch_execnz .LBB161_1133
; %bb.563:                              ;   in Loop: Header=BB161_3 Depth=1
	s_or_b32 exec_lo, exec_lo, s10
	s_and_saveexec_b32 s10, s13
	s_cbranch_execnz .LBB161_1134
.LBB161_564:                            ;   in Loop: Header=BB161_3 Depth=1
	s_or_b32 exec_lo, exec_lo, s10
	s_and_saveexec_b32 s10, s6
	s_cbranch_execnz .LBB161_1135
.LBB161_565:                            ;   in Loop: Header=BB161_3 Depth=1
	s_or_b32 exec_lo, exec_lo, s10
	s_and_saveexec_b32 s10, s24
	s_delay_alu instid0(SALU_CYCLE_1)
	s_xor_b32 s10, exec_lo, s10
	s_cbranch_execz .LBB161_567
.LBB161_566:                            ;   in Loop: Header=BB161_3 Depth=1
	ds_load_b64 v[40:41], v65 offset:32256
	ds_load_b64 v[42:43], v67 offset:32760
	s_wait_dscnt 0x0
	v_pk_mul_f32 v[44:45], v[42:43], v[40:41] op_sel:[1,1] op_sel_hi:[0,1]
	s_delay_alu instid0(VALU_DEP_1) | instskip(SKIP_1) | instid1(VALU_DEP_2)
	v_pk_fma_f32 v[98:99], v[42:43], v[40:41], v[44:45] op_sel_hi:[1,0,1]
	v_pk_fma_f32 v[40:41], v[42:43], v[40:41], v[44:45] neg_lo:[0,0,1] neg_hi:[0,0,1]
	v_mov_b32_e32 v41, v99
	s_delay_alu instid0(VALU_DEP_1)
	v_pk_add_f32 v[38:39], v[38:39], v[40:41]
.LBB161_567:                            ;   in Loop: Header=BB161_3 Depth=1
	s_or_b32 exec_lo, exec_lo, s10
.LBB161_568:                            ;   in Loop: Header=BB161_3 Depth=1
	s_delay_alu instid0(SALU_CYCLE_1)
	s_or_b32 exec_lo, exec_lo, s66
	v_dual_mov_b32 v0, v96 :: v_dual_mov_b32 v40, v94
	s_mov_b32 s16, 31
	s_branch .LBB161_570
.LBB161_569:                            ;   in Loop: Header=BB161_570 Depth=2
	s_or_b32 exec_lo, exec_lo, s10
	v_add_nc_u32_e32 v40, 0xfffffc00, v40
	v_add_nc_u32_e32 v0, 2, v0
	s_add_co_i32 s16, s16, -2
	s_cmp_eq_u32 s66, 0
	s_barrier_signal -1
	s_barrier_wait -1
	s_cbranch_scc1 .LBB161_578
.LBB161_570:                            ;   Parent Loop BB161_3 Depth=1
                                        ; =>  This Inner Loop Header: Depth=2
	s_delay_alu instid0(VALU_DEP_1) | instskip(SKIP_1) | instid1(SALU_CYCLE_1)
	v_cmp_eq_u32_e32 vcc_lo, 0, v0
	s_and_b32 s66, s17, vcc_lo
	s_and_saveexec_b32 s10, s66
	s_cbranch_execz .LBB161_572
; %bb.571:                              ;   in Loop: Header=BB161_570 Depth=2
	ds_load_b64 v[42:43], v95
	s_wait_dscnt 0x0
	v_pk_mul_f32 v[44:45], v[38:39], v[42:43] op_sel:[1,1] op_sel_hi:[1,0]
	s_delay_alu instid0(VALU_DEP_1) | instskip(SKIP_1) | instid1(VALU_DEP_2)
	v_pk_fma_f32 v[98:99], v[38:39], v[42:43], v[44:45] op_sel_hi:[0,1,1]
	v_pk_fma_f32 v[38:39], v[38:39], v[42:43], v[44:45] neg_lo:[0,0,1] neg_hi:[0,0,1]
	v_mov_b32_e32 v39, v99
	s_delay_alu instid0(VALU_DEP_1)
	v_pk_add_f32 v[42:43], v[38:39], 0 neg_lo:[1,1] neg_hi:[1,1]
	ds_store_b64 v66, v[42:43]
.LBB161_572:                            ;   in Loop: Header=BB161_570 Depth=2
	s_or_b32 exec_lo, exec_lo, s10
	v_cmp_gt_u32_e32 vcc_lo, s16, v63
	s_wait_loadcnt_dscnt 0x0
	s_barrier_signal -1
	s_barrier_wait -1
	s_and_b32 s66, s17, vcc_lo
	s_delay_alu instid0(SALU_CYCLE_1)
	s_and_saveexec_b32 s10, s66
	s_cbranch_execz .LBB161_574
; %bb.573:                              ;   in Loop: Header=BB161_570 Depth=2
	ds_load_b64 v[42:43], v40 offset:512
	ds_load_b64 v[44:45], v66
	s_wait_dscnt 0x0
	v_pk_mul_f32 v[98:99], v[44:45], v[42:43] op_sel:[1,1] op_sel_hi:[0,1]
	s_delay_alu instid0(VALU_DEP_1) | instskip(SKIP_1) | instid1(VALU_DEP_2)
	v_pk_fma_f32 v[100:101], v[44:45], v[42:43], v[98:99] op_sel_hi:[1,0,1]
	v_pk_fma_f32 v[42:43], v[44:45], v[42:43], v[98:99] neg_lo:[0,0,1] neg_hi:[0,0,1]
	v_mov_b32_e32 v43, v101
	s_delay_alu instid0(VALU_DEP_1)
	v_pk_add_f32 v[38:39], v[38:39], v[42:43] neg_lo:[0,1] neg_hi:[0,1]
.LBB161_574:                            ;   in Loop: Header=BB161_570 Depth=2
	s_or_b32 exec_lo, exec_lo, s10
	s_add_co_i32 s66, s16, -1
	s_delay_alu instid0(SALU_CYCLE_1) | instskip(SKIP_3) | instid1(SALU_CYCLE_1)
	v_cmp_eq_u32_e32 vcc_lo, s66, v63
	s_barrier_signal -1
	s_barrier_wait -1
	s_and_b32 s86, s17, vcc_lo
	s_and_saveexec_b32 s10, s86
	s_cbranch_execz .LBB161_576
; %bb.575:                              ;   in Loop: Header=BB161_570 Depth=2
	ds_load_b64 v[42:43], v95
	s_wait_dscnt 0x0
	v_pk_mul_f32 v[44:45], v[38:39], v[42:43] op_sel:[1,1] op_sel_hi:[1,0]
	s_delay_alu instid0(VALU_DEP_1) | instskip(SKIP_1) | instid1(VALU_DEP_2)
	v_pk_fma_f32 v[98:99], v[38:39], v[42:43], v[44:45] op_sel_hi:[0,1,1]
	v_pk_fma_f32 v[38:39], v[38:39], v[42:43], v[44:45] neg_lo:[0,0,1] neg_hi:[0,0,1]
	v_mov_b32_e32 v39, v99
	s_delay_alu instid0(VALU_DEP_1)
	v_pk_add_f32 v[42:43], v[38:39], 0 neg_lo:[1,1] neg_hi:[1,1]
	ds_store_b64 v66, v[42:43]
.LBB161_576:                            ;   in Loop: Header=BB161_570 Depth=2
	s_or_b32 exec_lo, exec_lo, s10
	v_cmp_gt_u32_e32 vcc_lo, s66, v63
	s_wait_dscnt 0x0
	s_barrier_signal -1
	s_barrier_wait -1
	s_and_b32 s86, s17, vcc_lo
	s_delay_alu instid0(SALU_CYCLE_1)
	s_and_saveexec_b32 s10, s86
	s_cbranch_execz .LBB161_569
; %bb.577:                              ;   in Loop: Header=BB161_570 Depth=2
	ds_load_b64 v[42:43], v40
	ds_load_b64 v[44:45], v66
	s_wait_dscnt 0x0
	v_pk_mul_f32 v[98:99], v[44:45], v[42:43] op_sel:[1,1] op_sel_hi:[0,1]
	s_delay_alu instid0(VALU_DEP_1) | instskip(SKIP_1) | instid1(VALU_DEP_2)
	v_pk_fma_f32 v[100:101], v[44:45], v[42:43], v[98:99] op_sel_hi:[1,0,1]
	v_pk_fma_f32 v[42:43], v[44:45], v[42:43], v[98:99] neg_lo:[0,0,1] neg_hi:[0,0,1]
	v_mov_b32_e32 v43, v101
	s_delay_alu instid0(VALU_DEP_1)
	v_pk_add_f32 v[38:39], v[38:39], v[42:43] neg_lo:[0,1] neg_hi:[0,1]
	s_branch .LBB161_569
.LBB161_578:                            ;   in Loop: Header=BB161_3 Depth=1
	s_and_saveexec_b32 s10, s38
; %bb.579:                              ;   in Loop: Header=BB161_3 Depth=1
	ds_store_b64 v68, v[38:39] offset:32256
; %bb.580:                              ;   in Loop: Header=BB161_3 Depth=1
	s_or_b32 exec_lo, exec_lo, s10
	s_wait_dscnt 0x0
	s_barrier_signal -1
	s_barrier_wait -1
	s_barrier_signal -1
	s_barrier_wait -1
	s_mov_b32 s16, exec_lo
	v_readlane_b32 s10, v106, 5
	s_and_b32 s10, s16, s10
	s_delay_alu instid0(SALU_CYCLE_1)
	s_mov_b32 exec_lo, s10
	s_cbranch_execz .LBB161_582
; %bb.581:                              ;   in Loop: Header=BB161_3 Depth=1
	ds_load_b64 v[38:39], v85 offset:16384
	v_add_nc_u32_e32 v0, v85, v54
	s_wait_dscnt 0x0
	ds_store_b64 v0, v[38:39] offset:256
	ds_load_b64 v[38:39], v85 offset:16392
	s_wait_dscnt 0x0
	ds_store_b64 v0, v[38:39] offset:768
	ds_load_b64 v[38:39], v85 offset:16400
	;; [unrolled: 3-line block ×31, first 2 shown]
	s_wait_dscnt 0x0
	ds_store_b64 v0, v[38:39] offset:16128
.LBB161_582:                            ;   in Loop: Header=BB161_3 Depth=1
	s_or_b32 exec_lo, exec_lo, s16
	s_wait_dscnt 0x0
	s_barrier_signal -1
	s_barrier_wait -1
	s_and_saveexec_b32 s10, s14
	s_cbranch_execz .LBB161_584
; %bb.583:                              ;   in Loop: Header=BB161_3 Depth=1
	v_add_nc_u32_e64 v0, 0xf0, 0
	ds_load_b64 v[42:43], v1 offset:16120
	ds_load_2addr_stride64_b64 v[38:41], v0 offset0:30 offset1:31
	s_wait_dscnt 0x0
	v_dual_mul_f32 v44, v43, v39 :: v_dual_mul_f32 v0, v42, v39
	s_delay_alu instid0(VALU_DEP_1) | instskip(NEXT) | instid1(VALU_DEP_2)
	v_xor_b32_e32 v44, 0x80000000, v44
	v_fmac_f32_e32 v0, v43, v38
	s_delay_alu instid0(VALU_DEP_2) | instskip(NEXT) | instid1(VALU_DEP_2)
	v_fmac_f32_e32 v44, v42, v38
	v_pk_mul_f32 v[38:39], v[0:1], v[40:41] op_sel:[0,1] op_sel_hi:[0,0]
	v_add_nc_u32_e64 v0, 0x3800, 0
	s_delay_alu instid0(VALU_DEP_2) | instskip(SKIP_1) | instid1(VALU_DEP_2)
	v_pk_fma_f32 v[42:43], v[44:45], v[40:41], v[38:39] op_sel_hi:[0,1,1]
	v_pk_fma_f32 v[38:39], v[44:45], v[40:41], v[38:39] neg_lo:[0,0,1] neg_hi:[0,0,1]
	v_mov_b32_e32 v39, v43
	ds_store_2addr_b64 v0, v[38:39], v[38:39] offset0:159 offset1:222
.LBB161_584:                            ;   in Loop: Header=BB161_3 Depth=1
	s_or_b32 exec_lo, exec_lo, s10
	v_dual_mov_b32 v38, 0 :: v_dual_mov_b32 v39, 0
	s_wait_dscnt 0x0
	s_barrier_signal -1
	s_barrier_wait -1
	global_wb scope:SCOPE_DEV
	s_wait_storecnt 0x0
	global_inv scope:SCOPE_DEV
	s_and_saveexec_b32 s16, s3
	s_cbranch_execz .LBB161_588
; %bb.585:                              ;   in Loop: Header=BB161_3 Depth=1
	ds_load_b64 v[38:39], v48 offset:15584
	ds_load_b64 v[40:41], v49 offset:16112
	s_wait_dscnt 0x0
	v_pk_mul_f32 v[42:43], v[40:41], v[38:39] op_sel:[1,1] op_sel_hi:[0,1]
	s_delay_alu instid0(VALU_DEP_1) | instskip(SKIP_1) | instid1(VALU_DEP_2)
	v_pk_fma_f32 v[44:45], v[40:41], v[38:39], v[42:43] op_sel_hi:[1,0,1]
	v_pk_fma_f32 v[38:39], v[40:41], v[38:39], v[42:43] neg_lo:[0,0,1] neg_hi:[0,0,1]
	v_mov_b32_e32 v39, v45
	s_delay_alu instid0(VALU_DEP_1)
	v_pk_add_f32 v[38:39], v[38:39], 0 op_sel_hi:[1,0]
	s_and_saveexec_b32 s10, s18
	s_cbranch_execz .LBB161_587
; %bb.586:                              ;   in Loop: Header=BB161_3 Depth=1
	ds_load_b64 v[40:41], v69 offset:16096
	ds_load_b64 v[42:43], v1 offset:16120
	s_wait_dscnt 0x0
	v_pk_mul_f32 v[44:45], v[42:43], v[40:41] op_sel:[1,1] op_sel_hi:[0,1]
	s_delay_alu instid0(VALU_DEP_1) | instskip(SKIP_1) | instid1(VALU_DEP_2)
	v_pk_fma_f32 v[98:99], v[42:43], v[40:41], v[44:45] op_sel_hi:[1,0,1]
	v_pk_fma_f32 v[40:41], v[42:43], v[40:41], v[44:45] neg_lo:[0,0,1] neg_hi:[0,0,1]
	v_mov_b32_e32 v41, v99
	s_delay_alu instid0(VALU_DEP_1)
	v_pk_add_f32 v[38:39], v[38:39], v[40:41]
.LBB161_587:                            ;   in Loop: Header=BB161_3 Depth=1
	s_or_b32 exec_lo, exec_lo, s10
.LBB161_588:                            ;   in Loop: Header=BB161_3 Depth=1
	s_delay_alu instid0(SALU_CYCLE_1)
	s_or_b32 exec_lo, exec_lo, s16
	s_and_saveexec_b32 s10, s93
	s_cbranch_execz .LBB161_590
; %bb.589:                              ;   in Loop: Header=BB161_3 Depth=1
	ds_load_b64 v[40:41], v1 offset:15080
	s_wait_dscnt 0x0
	v_pk_mul_f32 v[42:43], v[38:39], v[40:41] op_sel:[1,1] op_sel_hi:[1,0]
	s_delay_alu instid0(VALU_DEP_1) | instskip(SKIP_1) | instid1(VALU_DEP_2)
	v_pk_fma_f32 v[44:45], v[38:39], v[40:41], v[42:43] op_sel_hi:[0,1,1]
	v_pk_fma_f32 v[38:39], v[38:39], v[40:41], v[42:43] neg_lo:[0,0,1] neg_hi:[0,0,1]
	v_mov_b32_e32 v39, v45
	s_delay_alu instid0(VALU_DEP_1)
	v_pk_add_f32 v[40:41], v[38:39], 0 neg_lo:[1,1] neg_hi:[1,1]
	ds_store_b64 v3, v[40:41]
.LBB161_590:                            ;   in Loop: Header=BB161_3 Depth=1
	s_or_b32 exec_lo, exec_lo, s10
	s_wait_loadcnt_dscnt 0x0
	s_barrier_signal -1
	s_barrier_wait -1
	s_and_saveexec_b32 s10, s94
	s_cbranch_execz .LBB161_592
; %bb.591:                              ;   in Loop: Header=BB161_3 Depth=1
	ds_load_b64 v[40:41], v1 offset:15072
	ds_load_b64 v[42:43], v3
	s_wait_dscnt 0x0
	v_pk_mul_f32 v[44:45], v[42:43], v[40:41] op_sel:[1,1] op_sel_hi:[0,1]
	s_delay_alu instid0(VALU_DEP_1) | instskip(SKIP_1) | instid1(VALU_DEP_2)
	v_pk_fma_f32 v[98:99], v[42:43], v[40:41], v[44:45] op_sel_hi:[1,0,1]
	v_pk_fma_f32 v[40:41], v[42:43], v[40:41], v[44:45] neg_lo:[0,0,1] neg_hi:[0,0,1]
	v_mov_b32_e32 v41, v99
	s_delay_alu instid0(VALU_DEP_1)
	v_pk_add_f32 v[38:39], v[38:39], v[40:41] neg_lo:[0,1] neg_hi:[0,1]
.LBB161_592:                            ;   in Loop: Header=BB161_3 Depth=1
	s_or_b32 exec_lo, exec_lo, s10
	s_barrier_signal -1
	s_barrier_wait -1
	s_and_saveexec_b32 s10, s94
	s_cbranch_execz .LBB161_594
; %bb.593:                              ;   in Loop: Header=BB161_3 Depth=1
	ds_load_b64 v[40:41], v1 offset:14560
	s_wait_dscnt 0x0
	v_pk_mul_f32 v[42:43], v[38:39], v[40:41] op_sel:[1,1] op_sel_hi:[1,0]
	s_delay_alu instid0(VALU_DEP_1) | instskip(SKIP_1) | instid1(VALU_DEP_2)
	v_pk_fma_f32 v[44:45], v[38:39], v[40:41], v[42:43] op_sel_hi:[0,1,1]
	v_pk_fma_f32 v[38:39], v[38:39], v[40:41], v[42:43] neg_lo:[0,0,1] neg_hi:[0,0,1]
	v_mov_b32_e32 v39, v45
	s_delay_alu instid0(VALU_DEP_1)
	v_pk_add_f32 v[40:41], v[38:39], 0 neg_lo:[1,1] neg_hi:[1,1]
	ds_store_b64 v3, v[40:41]
.LBB161_594:                            ;   in Loop: Header=BB161_3 Depth=1
	s_or_b32 exec_lo, exec_lo, s10
	s_wait_dscnt 0x0
	s_barrier_signal -1
	s_barrier_wait -1
	s_barrier_signal -1
	s_barrier_wait -1
	s_and_saveexec_b32 s10, s3
; %bb.595:                              ;   in Loop: Header=BB161_3 Depth=1
	ds_store_b64 v50, v[38:39] offset:16096
; %bb.596:                              ;   in Loop: Header=BB161_3 Depth=1
	s_or_b32 exec_lo, exec_lo, s10
	s_wait_dscnt 0x0
	s_barrier_signal -1
	s_barrier_wait -1
	s_barrier_signal -1
	s_barrier_wait -1
	s_and_saveexec_b32 s10, s95
	s_cbranch_execz .LBB161_598
; %bb.597:                              ;   in Loop: Header=BB161_3 Depth=1
	ds_load_b64 v[38:39], v70 offset:15584
	s_wait_dscnt 0x0
	ds_store_b64 v69, v[38:39] offset:14576
	ds_load_b64 v[38:39], v70 offset:15592
	s_wait_dscnt 0x0
	ds_store_b64 v69, v[38:39] offset:15088
.LBB161_598:                            ;   in Loop: Header=BB161_3 Depth=1
	s_or_b32 exec_lo, exec_lo, s10
	s_wait_dscnt 0x0
	s_barrier_signal -1
	s_barrier_wait -1
	s_and_saveexec_b32 s10, s14
	s_cbranch_execz .LBB161_600
; %bb.599:                              ;   in Loop: Header=BB161_3 Depth=1
	v_add_nc_u32_e64 v0, 0xe0, 0
	ds_load_b64 v[42:43], v1 offset:15080
	ds_load_2addr_stride64_b64 v[38:41], v0 offset0:28 offset1:29
	s_wait_dscnt 0x0
	v_dual_mul_f32 v44, v43, v39 :: v_dual_mul_f32 v0, v42, v39
	s_delay_alu instid0(VALU_DEP_1) | instskip(NEXT) | instid1(VALU_DEP_2)
	v_xor_b32_e32 v44, 0x80000000, v44
	v_fmac_f32_e32 v0, v43, v38
	s_delay_alu instid0(VALU_DEP_2) | instskip(NEXT) | instid1(VALU_DEP_2)
	v_fmac_f32_e32 v44, v42, v38
	v_pk_mul_f32 v[38:39], v[0:1], v[40:41] op_sel:[0,1] op_sel_hi:[0,0]
	v_add_nc_u32_e64 v0, 0x3800, 0
	s_delay_alu instid0(VALU_DEP_2) | instskip(SKIP_1) | instid1(VALU_DEP_2)
	v_pk_fma_f32 v[42:43], v[44:45], v[40:41], v[38:39] op_sel_hi:[0,1,1]
	v_pk_fma_f32 v[38:39], v[44:45], v[40:41], v[38:39] neg_lo:[0,0,1] neg_hi:[0,0,1]
	v_mov_b32_e32 v39, v43
	ds_store_2addr_b64 v0, v[38:39], v[38:39] offset0:29 offset1:92
.LBB161_600:                            ;   in Loop: Header=BB161_3 Depth=1
	s_or_b32 exec_lo, exec_lo, s10
	v_mov_b64_e32 v[38:39], 0
	s_wait_dscnt 0x0
	s_barrier_signal -1
	s_barrier_wait -1
	global_wb scope:SCOPE_DEV
	s_wait_storecnt 0x0
	global_inv scope:SCOPE_DEV
	s_and_saveexec_b32 s16, s5
	s_cbranch_execz .LBB161_606
; %bb.601:                              ;   in Loop: Header=BB161_3 Depth=1
	ds_load_b64 v[38:39], v52 offset:14528
	ds_load_b64 v[40:41], v53 offset:16096
	s_wait_dscnt 0x0
	v_dual_mul_f32 v0, v41, v39 :: v_dual_mul_f32 v39, v40, v39
	s_delay_alu instid0(VALU_DEP_1) | instskip(NEXT) | instid1(VALU_DEP_1)
	v_dual_fma_f32 v0, v40, v38, -v0 :: v_dual_fmac_f32 v39, v41, v38
	v_dual_add_f32 v38, 0, v0 :: v_dual_add_f32 v39, 0, v39
	s_and_saveexec_b32 s10, s19
	s_cbranch_execnz .LBB161_1136
; %bb.602:                              ;   in Loop: Header=BB161_3 Depth=1
	s_or_b32 exec_lo, exec_lo, s10
	s_and_saveexec_b32 s10, s20
	s_cbranch_execnz .LBB161_1137
.LBB161_603:                            ;   in Loop: Header=BB161_3 Depth=1
	s_or_b32 exec_lo, exec_lo, s10
	s_and_saveexec_b32 s10, s3
	s_cbranch_execz .LBB161_605
.LBB161_604:                            ;   in Loop: Header=BB161_3 Depth=1
	ds_load_b64 v[40:41], v5 offset:16064
	ds_load_b64 v[42:43], v1 offset:16120
	s_wait_dscnt 0x0
	v_dual_mul_f32 v0, v43, v41 :: v_dual_mul_f32 v41, v42, v41
	s_delay_alu instid0(VALU_DEP_1) | instskip(NEXT) | instid1(VALU_DEP_1)
	v_dual_fma_f32 v0, v42, v40, -v0 :: v_dual_fmac_f32 v41, v43, v40
	v_dual_add_f32 v38, v38, v0 :: v_dual_add_f32 v39, v39, v41
.LBB161_605:                            ;   in Loop: Header=BB161_3 Depth=1
	s_or_b32 exec_lo, exec_lo, s10
.LBB161_606:                            ;   in Loop: Header=BB161_3 Depth=1
	s_delay_alu instid0(SALU_CYCLE_1)
	s_or_b32 exec_lo, exec_lo, s16
	s_and_saveexec_b32 s10, s96
	s_cbranch_execz .LBB161_608
; %bb.607:                              ;   in Loop: Header=BB161_3 Depth=1
	ds_load_b64 v[40:41], v1 offset:14040
	s_wait_dscnt 0x0
	v_dual_mul_f32 v0, v39, v40 :: v_dual_mul_f32 v42, v39, v41
	s_delay_alu instid0(VALU_DEP_1) | instskip(NEXT) | instid1(VALU_DEP_2)
	v_pk_fma_f32 v[44:45], v[38:39], v[40:41], v[0:1] op_sel:[1,0,0] op_sel_hi:[0,1,0]
	v_pk_fma_f32 v[38:39], v[38:39], v[40:41], v[42:43] op_sel_hi:[1,1,0] neg_lo:[0,0,1] neg_hi:[0,0,1]
	s_delay_alu instid0(VALU_DEP_2) | instskip(NEXT) | instid1(VALU_DEP_1)
	v_mov_b32_e32 v39, v45
	v_pk_add_f32 v[40:41], v[38:39], 0 neg_lo:[1,1] neg_hi:[1,1]
	ds_store_b64 v51, v[40:41]
.LBB161_608:                            ;   in Loop: Header=BB161_3 Depth=1
	s_or_b32 exec_lo, exec_lo, s10
	s_wait_loadcnt_dscnt 0x0
	s_barrier_signal -1
	s_barrier_wait -1
	s_and_saveexec_b32 s10, s97
	s_cbranch_execz .LBB161_610
; %bb.609:                              ;   in Loop: Header=BB161_3 Depth=1
	ds_load_b64 v[40:41], v52 offset:14016
	ds_load_b64 v[42:43], v51
	s_wait_dscnt 0x0
	v_pk_mul_f32 v[44:45], v[42:43], v[40:41] op_sel:[1,1] op_sel_hi:[0,1]
	s_delay_alu instid0(VALU_DEP_1) | instskip(SKIP_1) | instid1(VALU_DEP_2)
	v_pk_fma_f32 v[98:99], v[42:43], v[40:41], v[44:45] op_sel_hi:[1,0,1]
	v_pk_fma_f32 v[40:41], v[42:43], v[40:41], v[44:45] neg_lo:[0,0,1] neg_hi:[0,0,1]
	v_mov_b32_e32 v41, v99
	s_delay_alu instid0(VALU_DEP_1)
	v_pk_add_f32 v[38:39], v[38:39], v[40:41] neg_lo:[0,1] neg_hi:[0,1]
.LBB161_610:                            ;   in Loop: Header=BB161_3 Depth=1
	s_or_b32 exec_lo, exec_lo, s10
	s_barrier_signal -1
	s_barrier_wait -1
	s_and_saveexec_b32 s10, s98
	s_cbranch_execz .LBB161_612
; %bb.611:                              ;   in Loop: Header=BB161_3 Depth=1
	ds_load_b64 v[40:41], v1 offset:13520
	s_wait_dscnt 0x0
	v_pk_mul_f32 v[42:43], v[38:39], v[40:41] op_sel:[1,1] op_sel_hi:[1,0]
	s_delay_alu instid0(VALU_DEP_1) | instskip(SKIP_1) | instid1(VALU_DEP_2)
	v_pk_fma_f32 v[44:45], v[38:39], v[40:41], v[42:43] op_sel_hi:[0,1,1]
	v_pk_fma_f32 v[38:39], v[38:39], v[40:41], v[42:43] neg_lo:[0,0,1] neg_hi:[0,0,1]
	v_mov_b32_e32 v39, v45
	s_delay_alu instid0(VALU_DEP_1)
	v_pk_add_f32 v[40:41], v[38:39], 0 neg_lo:[1,1] neg_hi:[1,1]
	ds_store_b64 v51, v[40:41]
.LBB161_612:                            ;   in Loop: Header=BB161_3 Depth=1
	s_or_b32 exec_lo, exec_lo, s10
	s_wait_dscnt 0x0
	s_barrier_signal -1
	s_barrier_wait -1
	s_and_saveexec_b32 s10, s99
	s_cbranch_execz .LBB161_614
; %bb.613:                              ;   in Loop: Header=BB161_3 Depth=1
	ds_load_b64 v[40:41], v52 offset:13504
	ds_load_b64 v[42:43], v51
	s_wait_dscnt 0x0
	v_pk_mul_f32 v[44:45], v[42:43], v[40:41] op_sel:[1,1] op_sel_hi:[0,1]
	s_delay_alu instid0(VALU_DEP_1) | instskip(SKIP_1) | instid1(VALU_DEP_2)
	v_pk_fma_f32 v[98:99], v[42:43], v[40:41], v[44:45] op_sel_hi:[1,0,1]
	v_pk_fma_f32 v[40:41], v[42:43], v[40:41], v[44:45] neg_lo:[0,0,1] neg_hi:[0,0,1]
	v_mov_b32_e32 v41, v99
	s_delay_alu instid0(VALU_DEP_1)
	v_pk_add_f32 v[38:39], v[38:39], v[40:41] neg_lo:[0,1] neg_hi:[0,1]
.LBB161_614:                            ;   in Loop: Header=BB161_3 Depth=1
	s_or_b32 exec_lo, exec_lo, s10
	s_barrier_signal -1
	s_barrier_wait -1
	s_and_saveexec_b32 s10, s100
	s_cbranch_execz .LBB161_616
; %bb.615:                              ;   in Loop: Header=BB161_3 Depth=1
	ds_load_b64 v[40:41], v1 offset:13000
	s_wait_dscnt 0x0
	v_pk_mul_f32 v[42:43], v[38:39], v[40:41] op_sel:[1,1] op_sel_hi:[1,0]
	s_delay_alu instid0(VALU_DEP_1) | instskip(SKIP_1) | instid1(VALU_DEP_2)
	v_pk_fma_f32 v[44:45], v[38:39], v[40:41], v[42:43] op_sel_hi:[0,1,1]
	v_pk_fma_f32 v[38:39], v[38:39], v[40:41], v[42:43] neg_lo:[0,0,1] neg_hi:[0,0,1]
	v_mov_b32_e32 v39, v45
	s_delay_alu instid0(VALU_DEP_1)
	v_pk_add_f32 v[40:41], v[38:39], 0 neg_lo:[1,1] neg_hi:[1,1]
	ds_store_b64 v51, v[40:41]
.LBB161_616:                            ;   in Loop: Header=BB161_3 Depth=1
	s_or_b32 exec_lo, exec_lo, s10
	s_wait_dscnt 0x0
	;; [unrolled: 35-line block ×3, first 2 shown]
	s_barrier_signal -1
	s_barrier_wait -1
	s_barrier_signal -1
	s_barrier_wait -1
	s_and_saveexec_b32 s10, s5
; %bb.621:                              ;   in Loop: Header=BB161_3 Depth=1
	ds_store_b64 v55, v[38:39] offset:16064
; %bb.622:                              ;   in Loop: Header=BB161_3 Depth=1
	s_or_b32 exec_lo, exec_lo, s10
	s_wait_dscnt 0x0
	s_barrier_signal -1
	s_barrier_wait -1
	s_barrier_signal -1
	s_barrier_wait -1
	s_and_saveexec_b32 s10, s102
	s_cbranch_execz .LBB161_624
; %bb.623:                              ;   in Loop: Header=BB161_3 Depth=1
	ds_load_b64 v[38:39], v71 offset:14528
	s_wait_dscnt 0x0
	ds_store_b64 v72, v[38:39] offset:12512
	ds_load_b64 v[38:39], v71 offset:14536
	s_wait_dscnt 0x0
	ds_store_b64 v72, v[38:39] offset:13024
	ds_load_b64 v[38:39], v71 offset:14544
	s_wait_dscnt 0x0
	ds_store_b64 v72, v[38:39] offset:13536
	ds_load_b64 v[38:39], v71 offset:14552
	s_wait_dscnt 0x0
	ds_store_b64 v72, v[38:39] offset:14048
.LBB161_624:                            ;   in Loop: Header=BB161_3 Depth=1
	s_or_b32 exec_lo, exec_lo, s10
	s_wait_dscnt 0x0
	s_barrier_signal -1
	s_barrier_wait -1
	s_and_saveexec_b32 s10, s14
	s_cbranch_execz .LBB161_626
; %bb.625:                              ;   in Loop: Header=BB161_3 Depth=1
	v_add_nc_u32_e64 v0, 0xd0, 0
	ds_load_b64 v[42:43], v1 offset:14040
	ds_load_2addr_stride64_b64 v[38:41], v0 offset0:26 offset1:27
	s_wait_dscnt 0x0
	v_dual_mul_f32 v44, v43, v39 :: v_dual_mul_f32 v0, v42, v39
	s_delay_alu instid0(VALU_DEP_1) | instskip(NEXT) | instid1(VALU_DEP_2)
	v_xor_b32_e32 v44, 0x80000000, v44
	v_fmac_f32_e32 v0, v43, v38
	s_delay_alu instid0(VALU_DEP_2) | instskip(NEXT) | instid1(VALU_DEP_2)
	v_fmac_f32_e32 v44, v42, v38
	v_pk_mul_f32 v[38:39], v[0:1], v[40:41] op_sel:[0,1] op_sel_hi:[0,0]
	v_add_nc_u32_e64 v0, 0x3000, 0
	s_delay_alu instid0(VALU_DEP_2) | instskip(SKIP_1) | instid1(VALU_DEP_2)
	v_pk_fma_f32 v[42:43], v[44:45], v[40:41], v[38:39] op_sel_hi:[0,1,1]
	v_pk_fma_f32 v[38:39], v[44:45], v[40:41], v[38:39] neg_lo:[0,0,1] neg_hi:[0,0,1]
	v_mov_b32_e32 v39, v43
	ds_store_2addr_b64 v0, v[38:39], v[38:39] offset0:155 offset1:218
.LBB161_626:                            ;   in Loop: Header=BB161_3 Depth=1
	s_or_b32 exec_lo, exec_lo, s10
	v_dual_mov_b32 v38, 0 :: v_dual_mov_b32 v39, 0
	s_wait_dscnt 0x0
	s_barrier_signal -1
	s_barrier_wait -1
	global_wb scope:SCOPE_DEV
	s_wait_storecnt 0x0
	global_inv scope:SCOPE_DEV
	s_and_saveexec_b32 s16, s3
	s_cbranch_execz .LBB161_630
; %bb.627:                              ;   in Loop: Header=BB161_3 Depth=1
	ds_load_b64 v[38:39], v48 offset:13504
	ds_load_b64 v[40:41], v49 offset:14032
	s_wait_dscnt 0x0
	v_pk_mul_f32 v[42:43], v[40:41], v[38:39] op_sel:[1,1] op_sel_hi:[0,1]
	s_delay_alu instid0(VALU_DEP_1) | instskip(SKIP_1) | instid1(VALU_DEP_2)
	v_pk_fma_f32 v[44:45], v[40:41], v[38:39], v[42:43] op_sel_hi:[1,0,1]
	v_pk_fma_f32 v[38:39], v[40:41], v[38:39], v[42:43] neg_lo:[0,0,1] neg_hi:[0,0,1]
	v_mov_b32_e32 v39, v45
	s_delay_alu instid0(VALU_DEP_1)
	v_pk_add_f32 v[38:39], v[38:39], 0 op_sel_hi:[1,0]
	s_and_saveexec_b32 s10, s18
	s_cbranch_execz .LBB161_629
; %bb.628:                              ;   in Loop: Header=BB161_3 Depth=1
	ds_load_b64 v[40:41], v72 offset:14016
	ds_load_b64 v[42:43], v1 offset:14040
	s_wait_dscnt 0x0
	v_pk_mul_f32 v[44:45], v[42:43], v[40:41] op_sel:[1,1] op_sel_hi:[0,1]
	s_delay_alu instid0(VALU_DEP_1) | instskip(SKIP_1) | instid1(VALU_DEP_2)
	v_pk_fma_f32 v[98:99], v[42:43], v[40:41], v[44:45] op_sel_hi:[1,0,1]
	v_pk_fma_f32 v[40:41], v[42:43], v[40:41], v[44:45] neg_lo:[0,0,1] neg_hi:[0,0,1]
	v_mov_b32_e32 v41, v99
	s_delay_alu instid0(VALU_DEP_1)
	v_pk_add_f32 v[38:39], v[38:39], v[40:41]
.LBB161_629:                            ;   in Loop: Header=BB161_3 Depth=1
	s_or_b32 exec_lo, exec_lo, s10
.LBB161_630:                            ;   in Loop: Header=BB161_3 Depth=1
	s_delay_alu instid0(SALU_CYCLE_1)
	s_or_b32 exec_lo, exec_lo, s16
	s_and_saveexec_b32 s10, s93
	s_cbranch_execz .LBB161_632
; %bb.631:                              ;   in Loop: Header=BB161_3 Depth=1
	ds_load_b64 v[40:41], v1 offset:13000
	s_wait_dscnt 0x0
	v_pk_mul_f32 v[42:43], v[38:39], v[40:41] op_sel:[1,1] op_sel_hi:[1,0]
	s_delay_alu instid0(VALU_DEP_1) | instskip(SKIP_1) | instid1(VALU_DEP_2)
	v_pk_fma_f32 v[44:45], v[38:39], v[40:41], v[42:43] op_sel_hi:[0,1,1]
	v_pk_fma_f32 v[38:39], v[38:39], v[40:41], v[42:43] neg_lo:[0,0,1] neg_hi:[0,0,1]
	v_mov_b32_e32 v39, v45
	s_delay_alu instid0(VALU_DEP_1)
	v_pk_add_f32 v[40:41], v[38:39], 0 neg_lo:[1,1] neg_hi:[1,1]
	ds_store_b64 v3, v[40:41]
.LBB161_632:                            ;   in Loop: Header=BB161_3 Depth=1
	s_or_b32 exec_lo, exec_lo, s10
	s_wait_loadcnt_dscnt 0x0
	s_barrier_signal -1
	s_barrier_wait -1
	s_and_saveexec_b32 s10, s94
	s_cbranch_execz .LBB161_634
; %bb.633:                              ;   in Loop: Header=BB161_3 Depth=1
	ds_load_b64 v[40:41], v1 offset:12992
	ds_load_b64 v[42:43], v3
	s_wait_dscnt 0x0
	v_pk_mul_f32 v[44:45], v[42:43], v[40:41] op_sel:[1,1] op_sel_hi:[0,1]
	s_delay_alu instid0(VALU_DEP_1) | instskip(SKIP_1) | instid1(VALU_DEP_2)
	v_pk_fma_f32 v[98:99], v[42:43], v[40:41], v[44:45] op_sel_hi:[1,0,1]
	v_pk_fma_f32 v[40:41], v[42:43], v[40:41], v[44:45] neg_lo:[0,0,1] neg_hi:[0,0,1]
	v_mov_b32_e32 v41, v99
	s_delay_alu instid0(VALU_DEP_1)
	v_pk_add_f32 v[38:39], v[38:39], v[40:41] neg_lo:[0,1] neg_hi:[0,1]
.LBB161_634:                            ;   in Loop: Header=BB161_3 Depth=1
	s_or_b32 exec_lo, exec_lo, s10
	s_barrier_signal -1
	s_barrier_wait -1
	s_and_saveexec_b32 s10, s94
	s_cbranch_execz .LBB161_636
; %bb.635:                              ;   in Loop: Header=BB161_3 Depth=1
	ds_load_b64 v[40:41], v1 offset:12480
	s_wait_dscnt 0x0
	v_pk_mul_f32 v[42:43], v[38:39], v[40:41] op_sel:[1,1] op_sel_hi:[1,0]
	s_delay_alu instid0(VALU_DEP_1) | instskip(SKIP_1) | instid1(VALU_DEP_2)
	v_pk_fma_f32 v[44:45], v[38:39], v[40:41], v[42:43] op_sel_hi:[0,1,1]
	v_pk_fma_f32 v[38:39], v[38:39], v[40:41], v[42:43] neg_lo:[0,0,1] neg_hi:[0,0,1]
	v_mov_b32_e32 v39, v45
	s_delay_alu instid0(VALU_DEP_1)
	v_pk_add_f32 v[40:41], v[38:39], 0 neg_lo:[1,1] neg_hi:[1,1]
	ds_store_b64 v3, v[40:41]
.LBB161_636:                            ;   in Loop: Header=BB161_3 Depth=1
	s_or_b32 exec_lo, exec_lo, s10
	s_wait_dscnt 0x0
	s_barrier_signal -1
	s_barrier_wait -1
	s_barrier_signal -1
	s_barrier_wait -1
	s_and_saveexec_b32 s10, s3
; %bb.637:                              ;   in Loop: Header=BB161_3 Depth=1
	ds_store_b64 v50, v[38:39] offset:14016
; %bb.638:                              ;   in Loop: Header=BB161_3 Depth=1
	s_or_b32 exec_lo, exec_lo, s10
	s_wait_dscnt 0x0
	s_barrier_signal -1
	s_barrier_wait -1
	s_barrier_signal -1
	s_barrier_wait -1
	s_and_saveexec_b32 s10, s95
	s_cbranch_execz .LBB161_640
; %bb.639:                              ;   in Loop: Header=BB161_3 Depth=1
	ds_load_b64 v[38:39], v73 offset:13504
	s_wait_dscnt 0x0
	ds_store_b64 v72, v[38:39] offset:12496
	ds_load_b64 v[38:39], v73 offset:13512
	s_wait_dscnt 0x0
	ds_store_b64 v72, v[38:39] offset:13008
.LBB161_640:                            ;   in Loop: Header=BB161_3 Depth=1
	s_or_b32 exec_lo, exec_lo, s10
	s_wait_dscnt 0x0
	s_barrier_signal -1
	s_barrier_wait -1
	s_and_saveexec_b32 s10, s14
	s_cbranch_execz .LBB161_642
; %bb.641:                              ;   in Loop: Header=BB161_3 Depth=1
	v_add_nc_u32_e64 v0, 0xc0, 0
	ds_load_b64 v[42:43], v1 offset:13000
	ds_load_2addr_stride64_b64 v[38:41], v0 offset0:24 offset1:25
	s_wait_dscnt 0x0
	v_dual_mul_f32 v44, v43, v39 :: v_dual_mul_f32 v0, v42, v39
	s_delay_alu instid0(VALU_DEP_1) | instskip(NEXT) | instid1(VALU_DEP_2)
	v_xor_b32_e32 v44, 0x80000000, v44
	v_fmac_f32_e32 v0, v43, v38
	s_delay_alu instid0(VALU_DEP_2) | instskip(NEXT) | instid1(VALU_DEP_2)
	v_fmac_f32_e32 v44, v42, v38
	v_pk_mul_f32 v[38:39], v[0:1], v[40:41] op_sel:[0,1] op_sel_hi:[0,0]
	v_add_nc_u32_e64 v0, 0x3000, 0
	s_delay_alu instid0(VALU_DEP_2) | instskip(SKIP_1) | instid1(VALU_DEP_2)
	v_pk_fma_f32 v[42:43], v[44:45], v[40:41], v[38:39] op_sel_hi:[0,1,1]
	v_pk_fma_f32 v[38:39], v[44:45], v[40:41], v[38:39] neg_lo:[0,0,1] neg_hi:[0,0,1]
	v_mov_b32_e32 v39, v43
	ds_store_2addr_b64 v0, v[38:39], v[38:39] offset0:25 offset1:88
.LBB161_642:                            ;   in Loop: Header=BB161_3 Depth=1
	s_or_b32 exec_lo, exec_lo, s10
	v_mov_b64_e32 v[38:39], 0
	s_wait_dscnt 0x0
	s_barrier_signal -1
	s_barrier_wait -1
	global_wb scope:SCOPE_DEV
	s_wait_storecnt 0x0
	global_inv scope:SCOPE_DEV
	s_and_saveexec_b32 s16, s6
	s_cbranch_execz .LBB161_652
; %bb.643:                              ;   in Loop: Header=BB161_3 Depth=1
	ds_load_b64 v[38:39], v57 offset:12416
	ds_load_b64 v[40:41], v58 offset:16064
	s_wait_dscnt 0x0
	v_dual_mul_f32 v0, v41, v39 :: v_dual_mul_f32 v39, v40, v39
	s_delay_alu instid0(VALU_DEP_1) | instskip(NEXT) | instid1(VALU_DEP_1)
	v_dual_fma_f32 v0, v40, v38, -v0 :: v_dual_fmac_f32 v39, v41, v38
	v_dual_add_f32 v38, 0, v0 :: v_dual_add_f32 v39, 0, v39
	s_and_saveexec_b32 s10, s21
	s_cbranch_execnz .LBB161_1138
; %bb.644:                              ;   in Loop: Header=BB161_3 Depth=1
	s_or_b32 exec_lo, exec_lo, s10
	s_and_saveexec_b32 s10, s22
	s_cbranch_execnz .LBB161_1139
.LBB161_645:                            ;   in Loop: Header=BB161_3 Depth=1
	s_or_b32 exec_lo, exec_lo, s10
	s_and_saveexec_b32 s10, s23
	s_cbranch_execnz .LBB161_1140
.LBB161_646:                            ;   in Loop: Header=BB161_3 Depth=1
	s_or_b32 exec_lo, exec_lo, s10
	s_and_saveexec_b32 s10, s24
	s_cbranch_execnz .LBB161_1141
.LBB161_647:                            ;   in Loop: Header=BB161_3 Depth=1
	s_or_b32 exec_lo, exec_lo, s10
	s_and_saveexec_b32 s10, s25
	s_cbranch_execnz .LBB161_1142
.LBB161_648:                            ;   in Loop: Header=BB161_3 Depth=1
	s_or_b32 exec_lo, exec_lo, s10
	s_and_saveexec_b32 s10, s5
	s_cbranch_execnz .LBB161_1143
.LBB161_649:                            ;   in Loop: Header=BB161_3 Depth=1
	s_or_b32 exec_lo, exec_lo, s10
	s_and_saveexec_b32 s10, s20
	s_cbranch_execz .LBB161_651
.LBB161_650:                            ;   in Loop: Header=BB161_3 Depth=1
	ds_load_b64 v[40:41], v75 offset:16000
	ds_load_b64 v[42:43], v1 offset:16120
	s_wait_dscnt 0x0
	v_dual_mul_f32 v0, v43, v41 :: v_dual_mul_f32 v45, v42, v41
	s_delay_alu instid0(VALU_DEP_1) | instskip(NEXT) | instid1(VALU_DEP_1)
	v_dual_fma_f32 v44, v42, v40, -v0 :: v_dual_fmac_f32 v45, v43, v40
	v_pk_add_f32 v[38:39], v[38:39], v[44:45]
.LBB161_651:                            ;   in Loop: Header=BB161_3 Depth=1
	s_or_b32 exec_lo, exec_lo, s10
.LBB161_652:                            ;   in Loop: Header=BB161_3 Depth=1
	s_delay_alu instid0(SALU_CYCLE_1)
	s_or_b32 exec_lo, exec_lo, s16
	s_and_saveexec_b32 s10, s103
	s_cbranch_execz .LBB161_654
; %bb.653:                              ;   in Loop: Header=BB161_3 Depth=1
	ds_load_b64 v[40:41], v1 offset:11960
	s_wait_dscnt 0x0
	v_pk_mul_f32 v[42:43], v[38:39], v[40:41] op_sel:[1,1] op_sel_hi:[1,0]
	s_delay_alu instid0(VALU_DEP_1) | instskip(SKIP_1) | instid1(VALU_DEP_2)
	v_pk_fma_f32 v[44:45], v[38:39], v[40:41], v[42:43] op_sel_hi:[0,1,1]
	v_pk_fma_f32 v[38:39], v[38:39], v[40:41], v[42:43] neg_lo:[0,0,1] neg_hi:[0,0,1]
	v_mov_b32_e32 v39, v45
	s_delay_alu instid0(VALU_DEP_1)
	v_pk_add_f32 v[40:41], v[38:39], 0 neg_lo:[1,1] neg_hi:[1,1]
	ds_store_b64 v56, v[40:41]
.LBB161_654:                            ;   in Loop: Header=BB161_3 Depth=1
	s_or_b32 exec_lo, exec_lo, s10
	s_wait_loadcnt_dscnt 0x0
	s_barrier_signal -1
	s_barrier_wait -1
	s_and_saveexec_b32 s10, s104
	s_cbranch_execz .LBB161_656
; %bb.655:                              ;   in Loop: Header=BB161_3 Depth=1
	ds_load_b64 v[40:41], v57 offset:11904
	ds_load_b64 v[42:43], v56
	s_wait_dscnt 0x0
	v_pk_mul_f32 v[44:45], v[42:43], v[40:41] op_sel:[1,1] op_sel_hi:[0,1]
	s_delay_alu instid0(VALU_DEP_1) | instskip(SKIP_1) | instid1(VALU_DEP_2)
	v_pk_fma_f32 v[98:99], v[42:43], v[40:41], v[44:45] op_sel_hi:[1,0,1]
	v_pk_fma_f32 v[40:41], v[42:43], v[40:41], v[44:45] neg_lo:[0,0,1] neg_hi:[0,0,1]
	v_mov_b32_e32 v41, v99
	s_delay_alu instid0(VALU_DEP_1)
	v_pk_add_f32 v[38:39], v[38:39], v[40:41] neg_lo:[0,1] neg_hi:[0,1]
.LBB161_656:                            ;   in Loop: Header=BB161_3 Depth=1
	s_or_b32 exec_lo, exec_lo, s10
	s_barrier_signal -1
	s_barrier_wait -1
	s_and_saveexec_b32 s10, vcc_hi
	s_cbranch_execz .LBB161_658
; %bb.657:                              ;   in Loop: Header=BB161_3 Depth=1
	ds_load_b64 v[40:41], v1 offset:11440
	s_wait_dscnt 0x0
	v_pk_mul_f32 v[42:43], v[38:39], v[40:41] op_sel:[1,1] op_sel_hi:[1,0]
	s_delay_alu instid0(VALU_DEP_1) | instskip(SKIP_1) | instid1(VALU_DEP_2)
	v_pk_fma_f32 v[44:45], v[38:39], v[40:41], v[42:43] op_sel_hi:[0,1,1]
	v_pk_fma_f32 v[38:39], v[38:39], v[40:41], v[42:43] neg_lo:[0,0,1] neg_hi:[0,0,1]
	v_mov_b32_e32 v39, v45
	s_delay_alu instid0(VALU_DEP_1)
	v_pk_add_f32 v[40:41], v[38:39], 0 neg_lo:[1,1] neg_hi:[1,1]
	ds_store_b64 v56, v[40:41]
.LBB161_658:                            ;   in Loop: Header=BB161_3 Depth=1
	s_or_b32 exec_lo, exec_lo, s10
	s_wait_dscnt 0x0
	s_barrier_signal -1
	s_barrier_wait -1
	s_and_saveexec_b32 s10, s41
	s_cbranch_execz .LBB161_660
; %bb.659:                              ;   in Loop: Header=BB161_3 Depth=1
	ds_load_b64 v[40:41], v57 offset:11392
	ds_load_b64 v[42:43], v56
	s_wait_dscnt 0x0
	v_pk_mul_f32 v[44:45], v[42:43], v[40:41] op_sel:[1,1] op_sel_hi:[0,1]
	s_delay_alu instid0(VALU_DEP_1) | instskip(SKIP_1) | instid1(VALU_DEP_2)
	v_pk_fma_f32 v[98:99], v[42:43], v[40:41], v[44:45] op_sel_hi:[1,0,1]
	v_pk_fma_f32 v[40:41], v[42:43], v[40:41], v[44:45] neg_lo:[0,0,1] neg_hi:[0,0,1]
	v_mov_b32_e32 v41, v99
	s_delay_alu instid0(VALU_DEP_1)
	v_pk_add_f32 v[38:39], v[38:39], v[40:41] neg_lo:[0,1] neg_hi:[0,1]
.LBB161_660:                            ;   in Loop: Header=BB161_3 Depth=1
	s_or_b32 exec_lo, exec_lo, s10
	s_barrier_signal -1
	s_barrier_wait -1
	s_and_saveexec_b32 s10, s42
	s_cbranch_execz .LBB161_662
; %bb.661:                              ;   in Loop: Header=BB161_3 Depth=1
	ds_load_b64 v[40:41], v1 offset:10920
	s_wait_dscnt 0x0
	v_pk_mul_f32 v[42:43], v[38:39], v[40:41] op_sel:[1,1] op_sel_hi:[1,0]
	s_delay_alu instid0(VALU_DEP_1) | instskip(SKIP_1) | instid1(VALU_DEP_2)
	v_pk_fma_f32 v[44:45], v[38:39], v[40:41], v[42:43] op_sel_hi:[0,1,1]
	v_pk_fma_f32 v[38:39], v[38:39], v[40:41], v[42:43] neg_lo:[0,0,1] neg_hi:[0,0,1]
	v_mov_b32_e32 v39, v45
	s_delay_alu instid0(VALU_DEP_1)
	v_pk_add_f32 v[40:41], v[38:39], 0 neg_lo:[1,1] neg_hi:[1,1]
	ds_store_b64 v56, v[40:41]
.LBB161_662:                            ;   in Loop: Header=BB161_3 Depth=1
	s_or_b32 exec_lo, exec_lo, s10
	s_wait_dscnt 0x0
	s_barrier_signal -1
	s_barrier_wait -1
	s_and_saveexec_b32 s10, s43
	s_cbranch_execz .LBB161_664
; %bb.663:                              ;   in Loop: Header=BB161_3 Depth=1
	ds_load_b64 v[40:41], v57 offset:10880
	ds_load_b64 v[42:43], v56
	s_wait_dscnt 0x0
	v_pk_mul_f32 v[44:45], v[42:43], v[40:41] op_sel:[1,1] op_sel_hi:[0,1]
	s_delay_alu instid0(VALU_DEP_1) | instskip(SKIP_1) | instid1(VALU_DEP_2)
	v_pk_fma_f32 v[98:99], v[42:43], v[40:41], v[44:45] op_sel_hi:[1,0,1]
	v_pk_fma_f32 v[40:41], v[42:43], v[40:41], v[44:45] neg_lo:[0,0,1] neg_hi:[0,0,1]
	v_mov_b32_e32 v41, v99
	s_delay_alu instid0(VALU_DEP_1)
	v_pk_add_f32 v[38:39], v[38:39], v[40:41] neg_lo:[0,1] neg_hi:[0,1]
.LBB161_664:                            ;   in Loop: Header=BB161_3 Depth=1
	s_or_b32 exec_lo, exec_lo, s10
	s_barrier_signal -1
	s_barrier_wait -1
	s_and_saveexec_b32 s10, s44
	s_cbranch_execz .LBB161_666
; %bb.665:                              ;   in Loop: Header=BB161_3 Depth=1
	ds_load_b64 v[40:41], v1 offset:10400
	s_wait_dscnt 0x0
	v_pk_mul_f32 v[42:43], v[38:39], v[40:41]
	v_pk_mul_f32 v[38:39], v[38:39], v[40:41] op_sel:[1,0] op_sel_hi:[0,1]
	s_delay_alu instid0(VALU_DEP_1) | instskip(NEXT) | instid1(VALU_DEP_3)
	v_dual_mov_b32 v40, v42 :: v_dual_mov_b32 v41, v38
	v_mov_b32_e32 v38, v43
	s_delay_alu instid0(VALU_DEP_1) | instskip(SKIP_1) | instid1(VALU_DEP_2)
	v_pk_add_f32 v[42:43], v[40:41], v[38:39]
	v_pk_add_f32 v[38:39], v[40:41], v[38:39] neg_lo:[0,1] neg_hi:[0,1]
	v_mov_b32_e32 v39, v43
	s_delay_alu instid0(VALU_DEP_1)
	v_pk_add_f32 v[40:41], v[38:39], 0 neg_lo:[1,1] neg_hi:[1,1]
	ds_store_b64 v56, v[40:41]
.LBB161_666:                            ;   in Loop: Header=BB161_3 Depth=1
	s_or_b32 exec_lo, exec_lo, s10
	s_wait_dscnt 0x0
	s_barrier_signal -1
	s_barrier_wait -1
	s_and_saveexec_b32 s10, s45
	s_cbranch_execz .LBB161_668
; %bb.667:                              ;   in Loop: Header=BB161_3 Depth=1
	ds_load_b64 v[40:41], v57 offset:10368
	ds_load_b64 v[42:43], v56
	s_wait_dscnt 0x0
	v_dual_mul_f32 v0, v43, v41 :: v_dual_mul_f32 v41, v42, v41
	s_delay_alu instid0(VALU_DEP_1) | instskip(NEXT) | instid1(VALU_DEP_1)
	v_dual_fma_f32 v0, v42, v40, -v0 :: v_dual_fmac_f32 v41, v43, v40
	v_dual_sub_f32 v38, v38, v0 :: v_dual_sub_f32 v39, v39, v41
.LBB161_668:                            ;   in Loop: Header=BB161_3 Depth=1
	s_or_b32 exec_lo, exec_lo, s10
	s_barrier_signal -1
	s_barrier_wait -1
	s_and_saveexec_b32 s10, s46
	s_cbranch_execz .LBB161_670
; %bb.669:                              ;   in Loop: Header=BB161_3 Depth=1
	ds_load_b64 v[40:41], v1 offset:9880
	s_wait_dscnt 0x0
	v_dual_mul_f32 v0, v39, v40 :: v_dual_mul_f32 v42, v39, v41
	s_delay_alu instid0(VALU_DEP_1) | instskip(NEXT) | instid1(VALU_DEP_2)
	v_pk_fma_f32 v[44:45], v[38:39], v[40:41], v[0:1] op_sel:[1,0,0] op_sel_hi:[0,1,0]
	v_pk_fma_f32 v[38:39], v[38:39], v[40:41], v[42:43] op_sel_hi:[1,1,0] neg_lo:[0,0,1] neg_hi:[0,0,1]
	s_delay_alu instid0(VALU_DEP_2) | instskip(NEXT) | instid1(VALU_DEP_1)
	v_mov_b32_e32 v39, v45
	v_pk_add_f32 v[40:41], v[38:39], 0 neg_lo:[1,1] neg_hi:[1,1]
	ds_store_b64 v56, v[40:41]
.LBB161_670:                            ;   in Loop: Header=BB161_3 Depth=1
	s_or_b32 exec_lo, exec_lo, s10
	s_wait_dscnt 0x0
	s_barrier_signal -1
	s_barrier_wait -1
	s_and_saveexec_b32 s10, s47
	s_cbranch_execz .LBB161_672
; %bb.671:                              ;   in Loop: Header=BB161_3 Depth=1
	ds_load_b64 v[40:41], v57 offset:9856
	ds_load_b64 v[42:43], v56
	s_wait_dscnt 0x0
	v_pk_mul_f32 v[44:45], v[42:43], v[40:41] op_sel:[1,1] op_sel_hi:[0,1]
	s_delay_alu instid0(VALU_DEP_1) | instskip(SKIP_1) | instid1(VALU_DEP_2)
	v_pk_fma_f32 v[98:99], v[42:43], v[40:41], v[44:45] op_sel_hi:[1,0,1]
	v_pk_fma_f32 v[40:41], v[42:43], v[40:41], v[44:45] neg_lo:[0,0,1] neg_hi:[0,0,1]
	v_mov_b32_e32 v41, v99
	s_delay_alu instid0(VALU_DEP_1)
	v_pk_add_f32 v[38:39], v[38:39], v[40:41] neg_lo:[0,1] neg_hi:[0,1]
.LBB161_672:                            ;   in Loop: Header=BB161_3 Depth=1
	s_or_b32 exec_lo, exec_lo, s10
	s_barrier_signal -1
	s_barrier_wait -1
	s_and_saveexec_b32 s10, s48
	s_cbranch_execz .LBB161_674
; %bb.673:                              ;   in Loop: Header=BB161_3 Depth=1
	ds_load_b64 v[40:41], v1 offset:9360
	s_wait_dscnt 0x0
	v_pk_mul_f32 v[42:43], v[38:39], v[40:41] op_sel:[1,1] op_sel_hi:[1,0]
	s_delay_alu instid0(VALU_DEP_1) | instskip(SKIP_1) | instid1(VALU_DEP_2)
	v_pk_fma_f32 v[44:45], v[38:39], v[40:41], v[42:43] op_sel_hi:[0,1,1]
	v_pk_fma_f32 v[38:39], v[38:39], v[40:41], v[42:43] neg_lo:[0,0,1] neg_hi:[0,0,1]
	v_mov_b32_e32 v39, v45
	s_delay_alu instid0(VALU_DEP_1)
	v_pk_add_f32 v[40:41], v[38:39], 0 neg_lo:[1,1] neg_hi:[1,1]
	ds_store_b64 v56, v[40:41]
.LBB161_674:                            ;   in Loop: Header=BB161_3 Depth=1
	s_or_b32 exec_lo, exec_lo, s10
	s_wait_dscnt 0x0
	s_barrier_signal -1
	s_barrier_wait -1
	s_and_saveexec_b32 s10, s49
	s_cbranch_execz .LBB161_676
; %bb.675:                              ;   in Loop: Header=BB161_3 Depth=1
	ds_load_b64 v[40:41], v57 offset:9344
	ds_load_b64 v[42:43], v56
	s_wait_dscnt 0x0
	v_pk_mul_f32 v[44:45], v[42:43], v[40:41] op_sel:[1,1] op_sel_hi:[0,1]
	s_delay_alu instid0(VALU_DEP_1) | instskip(SKIP_1) | instid1(VALU_DEP_2)
	v_pk_fma_f32 v[98:99], v[42:43], v[40:41], v[44:45] op_sel_hi:[1,0,1]
	v_pk_fma_f32 v[40:41], v[42:43], v[40:41], v[44:45] neg_lo:[0,0,1] neg_hi:[0,0,1]
	v_mov_b32_e32 v41, v99
	s_delay_alu instid0(VALU_DEP_1)
	v_pk_add_f32 v[38:39], v[38:39], v[40:41] neg_lo:[0,1] neg_hi:[0,1]
.LBB161_676:                            ;   in Loop: Header=BB161_3 Depth=1
	s_or_b32 exec_lo, exec_lo, s10
	s_barrier_signal -1
	s_barrier_wait -1
	s_and_saveexec_b32 s10, s50
	s_cbranch_execz .LBB161_678
; %bb.677:                              ;   in Loop: Header=BB161_3 Depth=1
	ds_load_b64 v[40:41], v1 offset:8840
	s_wait_dscnt 0x0
	v_pk_mul_f32 v[42:43], v[38:39], v[40:41] op_sel:[1,1] op_sel_hi:[1,0]
	s_delay_alu instid0(VALU_DEP_1) | instskip(SKIP_1) | instid1(VALU_DEP_2)
	v_pk_fma_f32 v[44:45], v[38:39], v[40:41], v[42:43] op_sel_hi:[0,1,1]
	v_pk_fma_f32 v[38:39], v[38:39], v[40:41], v[42:43] neg_lo:[0,0,1] neg_hi:[0,0,1]
	v_mov_b32_e32 v39, v45
	s_delay_alu instid0(VALU_DEP_1)
	v_pk_add_f32 v[40:41], v[38:39], 0 neg_lo:[1,1] neg_hi:[1,1]
	ds_store_b64 v56, v[40:41]
.LBB161_678:                            ;   in Loop: Header=BB161_3 Depth=1
	;; [unrolled: 35-line block ×3, first 2 shown]
	s_or_b32 exec_lo, exec_lo, s10
	s_wait_dscnt 0x0
	s_barrier_signal -1
	s_barrier_wait -1
	s_barrier_signal -1
	s_barrier_wait -1
	s_and_saveexec_b32 s10, s6
; %bb.683:                              ;   in Loop: Header=BB161_3 Depth=1
	ds_store_b64 v59, v[38:39] offset:16000
; %bb.684:                              ;   in Loop: Header=BB161_3 Depth=1
	s_or_b32 exec_lo, exec_lo, s10
	s_wait_dscnt 0x0
	s_barrier_signal -1
	s_barrier_wait -1
	s_barrier_signal -1
	s_barrier_wait -1
	s_and_saveexec_b32 s10, s52
	s_cbranch_execz .LBB161_686
; %bb.685:                              ;   in Loop: Header=BB161_3 Depth=1
	ds_load_b64 v[38:39], v77 offset:12416
	s_wait_dscnt 0x0
	ds_store_b64 v78, v[38:39] offset:8384
	ds_load_b64 v[38:39], v77 offset:12424
	s_wait_dscnt 0x0
	ds_store_b64 v78, v[38:39] offset:8896
	;; [unrolled: 3-line block ×8, first 2 shown]
.LBB161_686:                            ;   in Loop: Header=BB161_3 Depth=1
	s_or_b32 exec_lo, exec_lo, s10
	s_wait_dscnt 0x0
	s_barrier_signal -1
	s_barrier_wait -1
	s_and_saveexec_b32 s10, s14
	s_cbranch_execz .LBB161_688
; %bb.687:                              ;   in Loop: Header=BB161_3 Depth=1
	v_add_nc_u32_e64 v0, 0xb0, 0
	ds_load_b64 v[42:43], v1 offset:11960
	ds_load_2addr_stride64_b64 v[38:41], v0 offset0:22 offset1:23
	s_wait_dscnt 0x0
	v_dual_mul_f32 v44, v43, v39 :: v_dual_mul_f32 v0, v42, v39
	s_delay_alu instid0(VALU_DEP_1) | instskip(NEXT) | instid1(VALU_DEP_2)
	v_xor_b32_e32 v44, 0x80000000, v44
	v_fmac_f32_e32 v0, v43, v38
	s_delay_alu instid0(VALU_DEP_2) | instskip(NEXT) | instid1(VALU_DEP_2)
	v_fmac_f32_e32 v44, v42, v38
	v_pk_mul_f32 v[38:39], v[0:1], v[40:41] op_sel:[0,1] op_sel_hi:[0,0]
	v_add_nc_u32_e64 v0, 0x2800, 0
	s_delay_alu instid0(VALU_DEP_2) | instskip(SKIP_1) | instid1(VALU_DEP_2)
	v_pk_fma_f32 v[42:43], v[44:45], v[40:41], v[38:39] op_sel_hi:[0,1,1]
	v_pk_fma_f32 v[38:39], v[44:45], v[40:41], v[38:39] neg_lo:[0,0,1] neg_hi:[0,0,1]
	v_mov_b32_e32 v39, v43
	ds_store_2addr_b64 v0, v[38:39], v[38:39] offset0:151 offset1:214
.LBB161_688:                            ;   in Loop: Header=BB161_3 Depth=1
	s_or_b32 exec_lo, exec_lo, s10
	v_dual_mov_b32 v38, 0 :: v_dual_mov_b32 v39, 0
	s_wait_dscnt 0x0
	s_barrier_signal -1
	s_barrier_wait -1
	global_wb scope:SCOPE_DEV
	s_wait_storecnt 0x0
	global_inv scope:SCOPE_DEV
	s_and_saveexec_b32 s16, s3
	s_cbranch_execz .LBB161_692
; %bb.689:                              ;   in Loop: Header=BB161_3 Depth=1
	ds_load_b64 v[38:39], v48 offset:11424
	ds_load_b64 v[40:41], v49 offset:11952
	s_wait_dscnt 0x0
	v_pk_mul_f32 v[42:43], v[40:41], v[38:39] op_sel:[1,1] op_sel_hi:[0,1]
	s_delay_alu instid0(VALU_DEP_1) | instskip(SKIP_1) | instid1(VALU_DEP_2)
	v_pk_fma_f32 v[44:45], v[40:41], v[38:39], v[42:43] op_sel_hi:[1,0,1]
	v_pk_fma_f32 v[38:39], v[40:41], v[38:39], v[42:43] neg_lo:[0,0,1] neg_hi:[0,0,1]
	v_mov_b32_e32 v39, v45
	s_delay_alu instid0(VALU_DEP_1)
	v_pk_add_f32 v[38:39], v[38:39], 0 op_sel_hi:[1,0]
	s_and_saveexec_b32 s10, s18
	s_cbranch_execz .LBB161_691
; %bb.690:                              ;   in Loop: Header=BB161_3 Depth=1
	ds_load_b64 v[40:41], v78 offset:11936
	ds_load_b64 v[42:43], v1 offset:11960
	s_wait_dscnt 0x0
	v_pk_mul_f32 v[44:45], v[42:43], v[40:41] op_sel:[1,1] op_sel_hi:[0,1]
	s_delay_alu instid0(VALU_DEP_1) | instskip(SKIP_1) | instid1(VALU_DEP_2)
	v_pk_fma_f32 v[98:99], v[42:43], v[40:41], v[44:45] op_sel_hi:[1,0,1]
	v_pk_fma_f32 v[40:41], v[42:43], v[40:41], v[44:45] neg_lo:[0,0,1] neg_hi:[0,0,1]
	v_mov_b32_e32 v41, v99
	s_delay_alu instid0(VALU_DEP_1)
	v_pk_add_f32 v[38:39], v[38:39], v[40:41]
.LBB161_691:                            ;   in Loop: Header=BB161_3 Depth=1
	s_or_b32 exec_lo, exec_lo, s10
.LBB161_692:                            ;   in Loop: Header=BB161_3 Depth=1
	s_delay_alu instid0(SALU_CYCLE_1)
	s_or_b32 exec_lo, exec_lo, s16
	s_and_saveexec_b32 s10, s93
	s_cbranch_execz .LBB161_694
; %bb.693:                              ;   in Loop: Header=BB161_3 Depth=1
	ds_load_b64 v[40:41], v1 offset:10920
	s_wait_dscnt 0x0
	v_pk_mul_f32 v[42:43], v[38:39], v[40:41] op_sel:[1,1] op_sel_hi:[1,0]
	s_delay_alu instid0(VALU_DEP_1) | instskip(SKIP_1) | instid1(VALU_DEP_2)
	v_pk_fma_f32 v[44:45], v[38:39], v[40:41], v[42:43] op_sel_hi:[0,1,1]
	v_pk_fma_f32 v[38:39], v[38:39], v[40:41], v[42:43] neg_lo:[0,0,1] neg_hi:[0,0,1]
	v_mov_b32_e32 v39, v45
	s_delay_alu instid0(VALU_DEP_1)
	v_pk_add_f32 v[40:41], v[38:39], 0 neg_lo:[1,1] neg_hi:[1,1]
	ds_store_b64 v3, v[40:41]
.LBB161_694:                            ;   in Loop: Header=BB161_3 Depth=1
	s_or_b32 exec_lo, exec_lo, s10
	s_wait_loadcnt_dscnt 0x0
	s_barrier_signal -1
	s_barrier_wait -1
	s_and_saveexec_b32 s10, s94
	s_cbranch_execz .LBB161_696
; %bb.695:                              ;   in Loop: Header=BB161_3 Depth=1
	ds_load_b64 v[40:41], v1 offset:10912
	ds_load_b64 v[42:43], v3
	s_wait_dscnt 0x0
	v_pk_mul_f32 v[44:45], v[42:43], v[40:41] op_sel:[1,1] op_sel_hi:[0,1]
	s_delay_alu instid0(VALU_DEP_1) | instskip(SKIP_1) | instid1(VALU_DEP_2)
	v_pk_fma_f32 v[98:99], v[42:43], v[40:41], v[44:45] op_sel_hi:[1,0,1]
	v_pk_fma_f32 v[40:41], v[42:43], v[40:41], v[44:45] neg_lo:[0,0,1] neg_hi:[0,0,1]
	v_mov_b32_e32 v41, v99
	s_delay_alu instid0(VALU_DEP_1)
	v_pk_add_f32 v[38:39], v[38:39], v[40:41] neg_lo:[0,1] neg_hi:[0,1]
.LBB161_696:                            ;   in Loop: Header=BB161_3 Depth=1
	s_or_b32 exec_lo, exec_lo, s10
	s_barrier_signal -1
	s_barrier_wait -1
	s_and_saveexec_b32 s10, s94
	s_cbranch_execz .LBB161_698
; %bb.697:                              ;   in Loop: Header=BB161_3 Depth=1
	ds_load_b64 v[40:41], v1 offset:10400
	s_wait_dscnt 0x0
	v_pk_mul_f32 v[42:43], v[38:39], v[40:41] op_sel:[1,1] op_sel_hi:[1,0]
	s_delay_alu instid0(VALU_DEP_1) | instskip(SKIP_1) | instid1(VALU_DEP_2)
	v_pk_fma_f32 v[44:45], v[38:39], v[40:41], v[42:43] op_sel_hi:[0,1,1]
	v_pk_fma_f32 v[38:39], v[38:39], v[40:41], v[42:43] neg_lo:[0,0,1] neg_hi:[0,0,1]
	v_mov_b32_e32 v39, v45
	s_delay_alu instid0(VALU_DEP_1)
	v_pk_add_f32 v[40:41], v[38:39], 0 neg_lo:[1,1] neg_hi:[1,1]
	ds_store_b64 v3, v[40:41]
.LBB161_698:                            ;   in Loop: Header=BB161_3 Depth=1
	s_or_b32 exec_lo, exec_lo, s10
	s_wait_dscnt 0x0
	s_barrier_signal -1
	s_barrier_wait -1
	s_barrier_signal -1
	s_barrier_wait -1
	s_and_saveexec_b32 s10, s3
; %bb.699:                              ;   in Loop: Header=BB161_3 Depth=1
	ds_store_b64 v50, v[38:39] offset:11936
; %bb.700:                              ;   in Loop: Header=BB161_3 Depth=1
	s_or_b32 exec_lo, exec_lo, s10
	s_wait_dscnt 0x0
	s_barrier_signal -1
	s_barrier_wait -1
	s_barrier_signal -1
	s_barrier_wait -1
	s_and_saveexec_b32 s10, s95
	s_cbranch_execz .LBB161_702
; %bb.701:                              ;   in Loop: Header=BB161_3 Depth=1
	ds_load_b64 v[38:39], v80 offset:11424
	s_wait_dscnt 0x0
	ds_store_b64 v78, v[38:39] offset:10416
	ds_load_b64 v[38:39], v80 offset:11432
	s_wait_dscnt 0x0
	ds_store_b64 v78, v[38:39] offset:10928
.LBB161_702:                            ;   in Loop: Header=BB161_3 Depth=1
	s_or_b32 exec_lo, exec_lo, s10
	s_wait_dscnt 0x0
	s_barrier_signal -1
	s_barrier_wait -1
	s_and_saveexec_b32 s10, s14
	s_cbranch_execz .LBB161_704
; %bb.703:                              ;   in Loop: Header=BB161_3 Depth=1
	v_add_nc_u32_e64 v0, 0xa0, 0
	ds_load_b64 v[42:43], v1 offset:10920
	ds_load_2addr_stride64_b64 v[38:41], v0 offset0:20 offset1:21
	s_wait_dscnt 0x0
	v_dual_mul_f32 v44, v43, v39 :: v_dual_mul_f32 v0, v42, v39
	s_delay_alu instid0(VALU_DEP_1) | instskip(NEXT) | instid1(VALU_DEP_2)
	v_xor_b32_e32 v44, 0x80000000, v44
	v_fmac_f32_e32 v0, v43, v38
	s_delay_alu instid0(VALU_DEP_2) | instskip(NEXT) | instid1(VALU_DEP_2)
	v_fmac_f32_e32 v44, v42, v38
	v_pk_mul_f32 v[38:39], v[0:1], v[40:41] op_sel:[0,1] op_sel_hi:[0,0]
	v_add_nc_u32_e64 v0, 0x2800, 0
	s_delay_alu instid0(VALU_DEP_2) | instskip(SKIP_1) | instid1(VALU_DEP_2)
	v_pk_fma_f32 v[42:43], v[44:45], v[40:41], v[38:39] op_sel_hi:[0,1,1]
	v_pk_fma_f32 v[38:39], v[44:45], v[40:41], v[38:39] neg_lo:[0,0,1] neg_hi:[0,0,1]
	v_mov_b32_e32 v39, v43
	ds_store_2addr_b64 v0, v[38:39], v[38:39] offset0:21 offset1:84
.LBB161_704:                            ;   in Loop: Header=BB161_3 Depth=1
	s_or_b32 exec_lo, exec_lo, s10
	v_mov_b64_e32 v[38:39], 0
	s_wait_dscnt 0x0
	s_barrier_signal -1
	s_barrier_wait -1
	global_wb scope:SCOPE_DEV
	s_wait_storecnt 0x0
	global_inv scope:SCOPE_DEV
	s_and_saveexec_b32 s16, s5
	s_cbranch_execz .LBB161_710
; %bb.705:                              ;   in Loop: Header=BB161_3 Depth=1
	ds_load_b64 v[38:39], v52 offset:10368
	ds_load_b64 v[40:41], v53 offset:11936
	s_wait_dscnt 0x0
	v_dual_mul_f32 v0, v41, v39 :: v_dual_mul_f32 v39, v40, v39
	s_delay_alu instid0(VALU_DEP_1) | instskip(NEXT) | instid1(VALU_DEP_1)
	v_dual_fma_f32 v0, v40, v38, -v0 :: v_dual_fmac_f32 v39, v41, v38
	v_dual_add_f32 v38, 0, v0 :: v_dual_add_f32 v39, 0, v39
	s_and_saveexec_b32 s10, s19
	s_cbranch_execnz .LBB161_1144
; %bb.706:                              ;   in Loop: Header=BB161_3 Depth=1
	s_or_b32 exec_lo, exec_lo, s10
	s_and_saveexec_b32 s10, s20
	s_cbranch_execnz .LBB161_1145
.LBB161_707:                            ;   in Loop: Header=BB161_3 Depth=1
	s_or_b32 exec_lo, exec_lo, s10
	s_and_saveexec_b32 s10, s3
	s_cbranch_execz .LBB161_709
.LBB161_708:                            ;   in Loop: Header=BB161_3 Depth=1
	ds_load_b64 v[40:41], v81 offset:11904
	ds_load_b64 v[42:43], v1 offset:11960
	s_wait_dscnt 0x0
	v_dual_mul_f32 v0, v43, v41 :: v_dual_mul_f32 v41, v42, v41
	s_delay_alu instid0(VALU_DEP_1) | instskip(NEXT) | instid1(VALU_DEP_1)
	v_dual_fma_f32 v0, v42, v40, -v0 :: v_dual_fmac_f32 v41, v43, v40
	v_dual_add_f32 v38, v38, v0 :: v_dual_add_f32 v39, v39, v41
.LBB161_709:                            ;   in Loop: Header=BB161_3 Depth=1
	s_or_b32 exec_lo, exec_lo, s10
.LBB161_710:                            ;   in Loop: Header=BB161_3 Depth=1
	s_delay_alu instid0(SALU_CYCLE_1)
	s_or_b32 exec_lo, exec_lo, s16
	s_and_saveexec_b32 s10, s96
	s_cbranch_execz .LBB161_712
; %bb.711:                              ;   in Loop: Header=BB161_3 Depth=1
	ds_load_b64 v[40:41], v1 offset:9880
	s_wait_dscnt 0x0
	v_dual_mul_f32 v0, v39, v40 :: v_dual_mul_f32 v42, v39, v41
	s_delay_alu instid0(VALU_DEP_1) | instskip(NEXT) | instid1(VALU_DEP_2)
	v_pk_fma_f32 v[44:45], v[38:39], v[40:41], v[0:1] op_sel:[1,0,0] op_sel_hi:[0,1,0]
	v_pk_fma_f32 v[38:39], v[38:39], v[40:41], v[42:43] op_sel_hi:[1,1,0] neg_lo:[0,0,1] neg_hi:[0,0,1]
	s_delay_alu instid0(VALU_DEP_2) | instskip(NEXT) | instid1(VALU_DEP_1)
	v_mov_b32_e32 v39, v45
	v_pk_add_f32 v[40:41], v[38:39], 0 neg_lo:[1,1] neg_hi:[1,1]
	ds_store_b64 v51, v[40:41]
.LBB161_712:                            ;   in Loop: Header=BB161_3 Depth=1
	s_or_b32 exec_lo, exec_lo, s10
	s_wait_loadcnt_dscnt 0x0
	s_barrier_signal -1
	s_barrier_wait -1
	s_and_saveexec_b32 s10, s97
	s_cbranch_execz .LBB161_714
; %bb.713:                              ;   in Loop: Header=BB161_3 Depth=1
	ds_load_b64 v[40:41], v52 offset:9856
	ds_load_b64 v[42:43], v51
	s_wait_dscnt 0x0
	v_pk_mul_f32 v[44:45], v[42:43], v[40:41] op_sel:[1,1] op_sel_hi:[0,1]
	s_delay_alu instid0(VALU_DEP_1) | instskip(SKIP_1) | instid1(VALU_DEP_2)
	v_pk_fma_f32 v[98:99], v[42:43], v[40:41], v[44:45] op_sel_hi:[1,0,1]
	v_pk_fma_f32 v[40:41], v[42:43], v[40:41], v[44:45] neg_lo:[0,0,1] neg_hi:[0,0,1]
	v_mov_b32_e32 v41, v99
	s_delay_alu instid0(VALU_DEP_1)
	v_pk_add_f32 v[38:39], v[38:39], v[40:41] neg_lo:[0,1] neg_hi:[0,1]
.LBB161_714:                            ;   in Loop: Header=BB161_3 Depth=1
	s_or_b32 exec_lo, exec_lo, s10
	s_barrier_signal -1
	s_barrier_wait -1
	s_and_saveexec_b32 s10, s98
	s_cbranch_execz .LBB161_716
; %bb.715:                              ;   in Loop: Header=BB161_3 Depth=1
	ds_load_b64 v[40:41], v1 offset:9360
	s_wait_dscnt 0x0
	v_pk_mul_f32 v[42:43], v[38:39], v[40:41] op_sel:[1,1] op_sel_hi:[1,0]
	s_delay_alu instid0(VALU_DEP_1) | instskip(SKIP_1) | instid1(VALU_DEP_2)
	v_pk_fma_f32 v[44:45], v[38:39], v[40:41], v[42:43] op_sel_hi:[0,1,1]
	v_pk_fma_f32 v[38:39], v[38:39], v[40:41], v[42:43] neg_lo:[0,0,1] neg_hi:[0,0,1]
	v_mov_b32_e32 v39, v45
	s_delay_alu instid0(VALU_DEP_1)
	v_pk_add_f32 v[40:41], v[38:39], 0 neg_lo:[1,1] neg_hi:[1,1]
	ds_store_b64 v51, v[40:41]
.LBB161_716:                            ;   in Loop: Header=BB161_3 Depth=1
	s_or_b32 exec_lo, exec_lo, s10
	s_wait_dscnt 0x0
	s_barrier_signal -1
	s_barrier_wait -1
	s_and_saveexec_b32 s10, s99
	s_cbranch_execz .LBB161_718
; %bb.717:                              ;   in Loop: Header=BB161_3 Depth=1
	ds_load_b64 v[40:41], v52 offset:9344
	ds_load_b64 v[42:43], v51
	s_wait_dscnt 0x0
	v_pk_mul_f32 v[44:45], v[42:43], v[40:41] op_sel:[1,1] op_sel_hi:[0,1]
	s_delay_alu instid0(VALU_DEP_1) | instskip(SKIP_1) | instid1(VALU_DEP_2)
	v_pk_fma_f32 v[98:99], v[42:43], v[40:41], v[44:45] op_sel_hi:[1,0,1]
	v_pk_fma_f32 v[40:41], v[42:43], v[40:41], v[44:45] neg_lo:[0,0,1] neg_hi:[0,0,1]
	v_mov_b32_e32 v41, v99
	s_delay_alu instid0(VALU_DEP_1)
	v_pk_add_f32 v[38:39], v[38:39], v[40:41] neg_lo:[0,1] neg_hi:[0,1]
.LBB161_718:                            ;   in Loop: Header=BB161_3 Depth=1
	s_or_b32 exec_lo, exec_lo, s10
	s_barrier_signal -1
	s_barrier_wait -1
	s_and_saveexec_b32 s10, s100
	s_cbranch_execz .LBB161_720
; %bb.719:                              ;   in Loop: Header=BB161_3 Depth=1
	ds_load_b64 v[40:41], v1 offset:8840
	s_wait_dscnt 0x0
	v_pk_mul_f32 v[42:43], v[38:39], v[40:41] op_sel:[1,1] op_sel_hi:[1,0]
	s_delay_alu instid0(VALU_DEP_1) | instskip(SKIP_1) | instid1(VALU_DEP_2)
	v_pk_fma_f32 v[44:45], v[38:39], v[40:41], v[42:43] op_sel_hi:[0,1,1]
	v_pk_fma_f32 v[38:39], v[38:39], v[40:41], v[42:43] neg_lo:[0,0,1] neg_hi:[0,0,1]
	v_mov_b32_e32 v39, v45
	s_delay_alu instid0(VALU_DEP_1)
	v_pk_add_f32 v[40:41], v[38:39], 0 neg_lo:[1,1] neg_hi:[1,1]
	ds_store_b64 v51, v[40:41]
.LBB161_720:                            ;   in Loop: Header=BB161_3 Depth=1
	s_or_b32 exec_lo, exec_lo, s10
	s_wait_dscnt 0x0
	;; [unrolled: 35-line block ×3, first 2 shown]
	s_barrier_signal -1
	s_barrier_wait -1
	s_barrier_signal -1
	s_barrier_wait -1
	s_and_saveexec_b32 s10, s5
; %bb.725:                              ;   in Loop: Header=BB161_3 Depth=1
	ds_store_b64 v55, v[38:39] offset:11904
; %bb.726:                              ;   in Loop: Header=BB161_3 Depth=1
	s_or_b32 exec_lo, exec_lo, s10
	s_wait_dscnt 0x0
	s_barrier_signal -1
	s_barrier_wait -1
	s_barrier_signal -1
	s_barrier_wait -1
	s_and_saveexec_b32 s10, s102
	s_cbranch_execz .LBB161_728
; %bb.727:                              ;   in Loop: Header=BB161_3 Depth=1
	ds_load_b64 v[38:39], v82 offset:10368
	s_wait_dscnt 0x0
	ds_store_b64 v83, v[38:39] offset:8352
	ds_load_b64 v[38:39], v82 offset:10376
	s_wait_dscnt 0x0
	ds_store_b64 v83, v[38:39] offset:8864
	;; [unrolled: 3-line block ×4, first 2 shown]
.LBB161_728:                            ;   in Loop: Header=BB161_3 Depth=1
	s_or_b32 exec_lo, exec_lo, s10
	s_wait_dscnt 0x0
	s_barrier_signal -1
	s_barrier_wait -1
	s_and_saveexec_b32 s10, s14
	s_cbranch_execz .LBB161_730
; %bb.729:                              ;   in Loop: Header=BB161_3 Depth=1
	v_add_nc_u32_e64 v0, 0x90, 0
	ds_load_b64 v[42:43], v1 offset:9880
	ds_load_2addr_stride64_b64 v[38:41], v0 offset0:18 offset1:19
	s_wait_dscnt 0x0
	v_dual_mul_f32 v44, v43, v39 :: v_dual_mul_f32 v0, v42, v39
	s_delay_alu instid0(VALU_DEP_1) | instskip(NEXT) | instid1(VALU_DEP_2)
	v_xor_b32_e32 v44, 0x80000000, v44
	v_fmac_f32_e32 v0, v43, v38
	s_delay_alu instid0(VALU_DEP_2) | instskip(NEXT) | instid1(VALU_DEP_2)
	v_fmac_f32_e32 v44, v42, v38
	v_pk_mul_f32 v[38:39], v[0:1], v[40:41] op_sel:[0,1] op_sel_hi:[0,0]
	v_add_nc_u32_e64 v0, 0x2000, 0
	s_delay_alu instid0(VALU_DEP_2) | instskip(SKIP_1) | instid1(VALU_DEP_2)
	v_pk_fma_f32 v[42:43], v[44:45], v[40:41], v[38:39] op_sel_hi:[0,1,1]
	v_pk_fma_f32 v[38:39], v[44:45], v[40:41], v[38:39] neg_lo:[0,0,1] neg_hi:[0,0,1]
	v_mov_b32_e32 v39, v43
	ds_store_2addr_b64 v0, v[38:39], v[38:39] offset0:147 offset1:210
.LBB161_730:                            ;   in Loop: Header=BB161_3 Depth=1
	s_or_b32 exec_lo, exec_lo, s10
	v_dual_mov_b32 v38, 0 :: v_dual_mov_b32 v39, 0
	s_wait_dscnt 0x0
	s_barrier_signal -1
	s_barrier_wait -1
	global_wb scope:SCOPE_DEV
	s_wait_storecnt 0x0
	global_inv scope:SCOPE_DEV
	s_and_saveexec_b32 s16, s3
	s_cbranch_execz .LBB161_734
; %bb.731:                              ;   in Loop: Header=BB161_3 Depth=1
	ds_load_b64 v[38:39], v48 offset:9344
	ds_load_b64 v[40:41], v49 offset:9872
	s_wait_dscnt 0x0
	v_pk_mul_f32 v[42:43], v[40:41], v[38:39] op_sel:[1,1] op_sel_hi:[0,1]
	s_delay_alu instid0(VALU_DEP_1) | instskip(SKIP_1) | instid1(VALU_DEP_2)
	v_pk_fma_f32 v[44:45], v[40:41], v[38:39], v[42:43] op_sel_hi:[1,0,1]
	v_pk_fma_f32 v[38:39], v[40:41], v[38:39], v[42:43] neg_lo:[0,0,1] neg_hi:[0,0,1]
	v_mov_b32_e32 v39, v45
	s_delay_alu instid0(VALU_DEP_1)
	v_pk_add_f32 v[38:39], v[38:39], 0 op_sel_hi:[1,0]
	s_and_saveexec_b32 s10, s18
	s_cbranch_execz .LBB161_733
; %bb.732:                              ;   in Loop: Header=BB161_3 Depth=1
	ds_load_b64 v[40:41], v83 offset:9856
	ds_load_b64 v[42:43], v1 offset:9880
	s_wait_dscnt 0x0
	v_pk_mul_f32 v[44:45], v[42:43], v[40:41] op_sel:[1,1] op_sel_hi:[0,1]
	s_delay_alu instid0(VALU_DEP_1) | instskip(SKIP_1) | instid1(VALU_DEP_2)
	v_pk_fma_f32 v[98:99], v[42:43], v[40:41], v[44:45] op_sel_hi:[1,0,1]
	v_pk_fma_f32 v[40:41], v[42:43], v[40:41], v[44:45] neg_lo:[0,0,1] neg_hi:[0,0,1]
	v_mov_b32_e32 v41, v99
	s_delay_alu instid0(VALU_DEP_1)
	v_pk_add_f32 v[38:39], v[38:39], v[40:41]
.LBB161_733:                            ;   in Loop: Header=BB161_3 Depth=1
	s_or_b32 exec_lo, exec_lo, s10
.LBB161_734:                            ;   in Loop: Header=BB161_3 Depth=1
	s_delay_alu instid0(SALU_CYCLE_1)
	s_or_b32 exec_lo, exec_lo, s16
	s_and_saveexec_b32 s10, s93
	s_cbranch_execz .LBB161_736
; %bb.735:                              ;   in Loop: Header=BB161_3 Depth=1
	ds_load_b64 v[40:41], v1 offset:8840
	s_wait_dscnt 0x0
	v_pk_mul_f32 v[42:43], v[38:39], v[40:41] op_sel:[1,1] op_sel_hi:[1,0]
	s_delay_alu instid0(VALU_DEP_1) | instskip(SKIP_1) | instid1(VALU_DEP_2)
	v_pk_fma_f32 v[44:45], v[38:39], v[40:41], v[42:43] op_sel_hi:[0,1,1]
	v_pk_fma_f32 v[38:39], v[38:39], v[40:41], v[42:43] neg_lo:[0,0,1] neg_hi:[0,0,1]
	v_mov_b32_e32 v39, v45
	s_delay_alu instid0(VALU_DEP_1)
	v_pk_add_f32 v[40:41], v[38:39], 0 neg_lo:[1,1] neg_hi:[1,1]
	ds_store_b64 v3, v[40:41]
.LBB161_736:                            ;   in Loop: Header=BB161_3 Depth=1
	s_or_b32 exec_lo, exec_lo, s10
	s_wait_loadcnt_dscnt 0x0
	s_barrier_signal -1
	s_barrier_wait -1
	s_and_saveexec_b32 s10, s94
	s_cbranch_execz .LBB161_738
; %bb.737:                              ;   in Loop: Header=BB161_3 Depth=1
	ds_load_b64 v[40:41], v1 offset:8832
	ds_load_b64 v[42:43], v3
	s_wait_dscnt 0x0
	v_pk_mul_f32 v[44:45], v[42:43], v[40:41] op_sel:[1,1] op_sel_hi:[0,1]
	s_delay_alu instid0(VALU_DEP_1) | instskip(SKIP_1) | instid1(VALU_DEP_2)
	v_pk_fma_f32 v[98:99], v[42:43], v[40:41], v[44:45] op_sel_hi:[1,0,1]
	v_pk_fma_f32 v[40:41], v[42:43], v[40:41], v[44:45] neg_lo:[0,0,1] neg_hi:[0,0,1]
	v_mov_b32_e32 v41, v99
	s_delay_alu instid0(VALU_DEP_1)
	v_pk_add_f32 v[38:39], v[38:39], v[40:41] neg_lo:[0,1] neg_hi:[0,1]
.LBB161_738:                            ;   in Loop: Header=BB161_3 Depth=1
	s_or_b32 exec_lo, exec_lo, s10
	s_barrier_signal -1
	s_barrier_wait -1
	s_and_saveexec_b32 s10, s94
	s_cbranch_execz .LBB161_740
; %bb.739:                              ;   in Loop: Header=BB161_3 Depth=1
	ds_load_b64 v[40:41], v1 offset:8320
	s_wait_dscnt 0x0
	v_pk_mul_f32 v[42:43], v[38:39], v[40:41] op_sel:[1,1] op_sel_hi:[1,0]
	s_delay_alu instid0(VALU_DEP_1) | instskip(SKIP_1) | instid1(VALU_DEP_2)
	v_pk_fma_f32 v[44:45], v[38:39], v[40:41], v[42:43] op_sel_hi:[0,1,1]
	v_pk_fma_f32 v[38:39], v[38:39], v[40:41], v[42:43] neg_lo:[0,0,1] neg_hi:[0,0,1]
	v_mov_b32_e32 v39, v45
	s_delay_alu instid0(VALU_DEP_1)
	v_pk_add_f32 v[40:41], v[38:39], 0 neg_lo:[1,1] neg_hi:[1,1]
	ds_store_b64 v3, v[40:41]
.LBB161_740:                            ;   in Loop: Header=BB161_3 Depth=1
	s_or_b32 exec_lo, exec_lo, s10
	s_wait_dscnt 0x0
	s_barrier_signal -1
	s_barrier_wait -1
	s_barrier_signal -1
	s_barrier_wait -1
	s_and_saveexec_b32 s10, s3
; %bb.741:                              ;   in Loop: Header=BB161_3 Depth=1
	ds_store_b64 v50, v[38:39] offset:9856
; %bb.742:                              ;   in Loop: Header=BB161_3 Depth=1
	s_or_b32 exec_lo, exec_lo, s10
	s_wait_dscnt 0x0
	s_barrier_signal -1
	s_barrier_wait -1
	s_barrier_signal -1
	s_barrier_wait -1
	s_and_saveexec_b32 s10, s95
	s_cbranch_execz .LBB161_744
; %bb.743:                              ;   in Loop: Header=BB161_3 Depth=1
	ds_load_b64 v[38:39], v85 offset:9344
	s_wait_dscnt 0x0
	ds_store_b64 v83, v[38:39] offset:8336
	ds_load_b64 v[38:39], v85 offset:9352
	s_wait_dscnt 0x0
	ds_store_b64 v83, v[38:39] offset:8848
.LBB161_744:                            ;   in Loop: Header=BB161_3 Depth=1
	s_or_b32 exec_lo, exec_lo, s10
	s_wait_dscnt 0x0
	s_barrier_signal -1
	s_barrier_wait -1
	s_and_saveexec_b32 s10, s14
	s_cbranch_execz .LBB161_746
; %bb.745:                              ;   in Loop: Header=BB161_3 Depth=1
	v_add_nc_u32_e64 v0, 0x80, 0
	ds_load_b64 v[42:43], v1 offset:8840
	ds_load_2addr_stride64_b64 v[38:41], v0 offset0:16 offset1:17
	s_wait_dscnt 0x0
	v_dual_mul_f32 v44, v43, v39 :: v_dual_mul_f32 v0, v42, v39
	s_delay_alu instid0(VALU_DEP_1) | instskip(NEXT) | instid1(VALU_DEP_2)
	v_xor_b32_e32 v44, 0x80000000, v44
	v_fmac_f32_e32 v0, v43, v38
	s_delay_alu instid0(VALU_DEP_2) | instskip(NEXT) | instid1(VALU_DEP_2)
	v_fmac_f32_e32 v44, v42, v38
	v_pk_mul_f32 v[38:39], v[0:1], v[40:41] op_sel:[0,1] op_sel_hi:[0,0]
	v_add_nc_u32_e64 v0, 0x2000, 0
	s_delay_alu instid0(VALU_DEP_2) | instskip(SKIP_1) | instid1(VALU_DEP_2)
	v_pk_fma_f32 v[42:43], v[44:45], v[40:41], v[38:39] op_sel_hi:[0,1,1]
	v_pk_fma_f32 v[38:39], v[44:45], v[40:41], v[38:39] neg_lo:[0,0,1] neg_hi:[0,0,1]
	v_mov_b32_e32 v39, v43
	ds_store_2addr_b64 v0, v[38:39], v[38:39] offset0:17 offset1:80
.LBB161_746:                            ;   in Loop: Header=BB161_3 Depth=1
	s_or_b32 exec_lo, exec_lo, s10
	v_mov_b64_e32 v[38:39], 0
	s_wait_dscnt 0x0
	s_barrier_signal -1
	s_barrier_wait -1
	global_wb scope:SCOPE_DEV
	s_wait_storecnt 0x0
	global_inv scope:SCOPE_DEV
	s_and_saveexec_b32 s66, s7
	s_cbranch_execz .LBB161_774
; %bb.747:                              ;   in Loop: Header=BB161_3 Depth=1
	ds_load_b64 v[38:39], v61 offset:8192
	ds_load_b64 v[40:41], v62 offset:16000
	v_readlane_b32 s11, v106, 29
	s_wait_dscnt 0x0
	v_dual_mul_f32 v0, v41, v39 :: v_dual_mul_f32 v39, v40, v39
	s_delay_alu instid0(VALU_DEP_1) | instskip(NEXT) | instid1(VALU_DEP_1)
	v_dual_fma_f32 v0, v40, v38, -v0 :: v_dual_fmac_f32 v39, v41, v38
	v_dual_add_f32 v38, 0, v0 :: v_dual_add_f32 v39, 0, v39
	s_and_saveexec_b32 s10, s11
	s_cbranch_execz .LBB161_749
; %bb.748:                              ;   in Loop: Header=BB161_3 Depth=1
	ds_load_b64 v[40:41], v61 offset:8704
	ds_load_b64 v[42:43], v62 offset:16008
	s_wait_dscnt 0x0
	v_dual_mul_f32 v0, v43, v41 :: v_dual_mul_f32 v41, v42, v41
	s_delay_alu instid0(VALU_DEP_1) | instskip(NEXT) | instid1(VALU_DEP_1)
	v_dual_fma_f32 v0, v42, v40, -v0 :: v_dual_fmac_f32 v41, v43, v40
	v_dual_add_f32 v38, v38, v0 :: v_dual_add_f32 v39, v39, v41
.LBB161_749:                            ;   in Loop: Header=BB161_3 Depth=1
	s_or_b32 exec_lo, exec_lo, s10
	v_readlane_b32 s11, v106, 30
	s_and_saveexec_b32 s10, s11
	s_cbranch_execz .LBB161_751
; %bb.750:                              ;   in Loop: Header=BB161_3 Depth=1
	ds_load_b64 v[40:41], v61 offset:9216
	ds_load_b64 v[42:43], v62 offset:16016
	s_wait_dscnt 0x0
	v_dual_mul_f32 v0, v43, v41 :: v_dual_mul_f32 v41, v42, v41
	s_delay_alu instid0(VALU_DEP_1) | instskip(NEXT) | instid1(VALU_DEP_1)
	v_dual_fma_f32 v0, v42, v40, -v0 :: v_dual_fmac_f32 v41, v43, v40
	v_dual_add_f32 v38, v38, v0 :: v_dual_add_f32 v39, v39, v41
.LBB161_751:                            ;   in Loop: Header=BB161_3 Depth=1
	s_or_b32 exec_lo, exec_lo, s10
	v_readlane_b32 s11, v106, 31
	;; [unrolled: 13-line block ×8, first 2 shown]
	s_and_saveexec_b32 s10, s11
	s_cbranch_execz .LBB161_765
; %bb.764:                              ;   in Loop: Header=BB161_3 Depth=1
	ds_load_b64 v[40:41], v61 offset:12800
	ds_load_b64 v[42:43], v62 offset:16072
	s_wait_dscnt 0x0
	v_dual_mul_f32 v0, v43, v41 :: v_dual_mul_f32 v41, v42, v41
	s_delay_alu instid0(VALU_DEP_1) | instskip(NEXT) | instid1(VALU_DEP_1)
	v_dual_fma_f32 v0, v42, v40, -v0 :: v_dual_fmac_f32 v41, v43, v40
	v_dual_add_f32 v38, v38, v0 :: v_dual_add_f32 v39, v39, v41
.LBB161_765:                            ;   in Loop: Header=BB161_3 Depth=1
	s_or_b32 exec_lo, exec_lo, s10
	s_and_saveexec_b32 s10, s13
	s_cbranch_execz .LBB161_767
; %bb.766:                              ;   in Loop: Header=BB161_3 Depth=1
	ds_load_b64 v[40:41], v61 offset:13312
	ds_load_b64 v[42:43], v62 offset:16080
	s_wait_dscnt 0x0
	v_dual_mul_f32 v0, v43, v41 :: v_dual_mul_f32 v41, v42, v41
	s_delay_alu instid0(VALU_DEP_1) | instskip(NEXT) | instid1(VALU_DEP_1)
	v_dual_fma_f32 v0, v42, v40, -v0 :: v_dual_fmac_f32 v41, v43, v40
	v_dual_add_f32 v38, v38, v0 :: v_dual_add_f32 v39, v39, v41
.LBB161_767:                            ;   in Loop: Header=BB161_3 Depth=1
	s_or_b32 exec_lo, exec_lo, s10
	v_readlane_b32 s11, v97, 6
	s_and_saveexec_b32 s10, s11
	s_cbranch_execnz .LBB161_1146
; %bb.768:                              ;   in Loop: Header=BB161_3 Depth=1
	s_or_b32 exec_lo, exec_lo, s10
	s_and_saveexec_b32 s10, s6
	s_cbranch_execnz .LBB161_1147
.LBB161_769:                            ;   in Loop: Header=BB161_3 Depth=1
	s_or_b32 exec_lo, exec_lo, s10
	s_and_saveexec_b32 s10, s22
	s_cbranch_execnz .LBB161_1148
.LBB161_770:                            ;   in Loop: Header=BB161_3 Depth=1
	s_or_b32 exec_lo, exec_lo, s10
	s_and_saveexec_b32 s10, s24
	s_cbranch_execnz .LBB161_1149
.LBB161_771:                            ;   in Loop: Header=BB161_3 Depth=1
	s_or_b32 exec_lo, exec_lo, s10
	s_and_saveexec_b32 s10, s5
	s_cbranch_execz .LBB161_773
.LBB161_772:                            ;   in Loop: Header=BB161_3 Depth=1
	ds_load_b64 v[40:41], v69 offset:15872
	ds_load_b64 v[42:43], v1 offset:16120
	s_wait_dscnt 0x0
	v_dual_mul_f32 v0, v43, v41 :: v_dual_mul_f32 v45, v42, v41
	s_delay_alu instid0(VALU_DEP_1) | instskip(NEXT) | instid1(VALU_DEP_1)
	v_dual_fma_f32 v44, v42, v40, -v0 :: v_dual_fmac_f32 v45, v43, v40
	v_pk_add_f32 v[38:39], v[38:39], v[44:45]
.LBB161_773:                            ;   in Loop: Header=BB161_3 Depth=1
	s_or_b32 exec_lo, exec_lo, s10
.LBB161_774:                            ;   in Loop: Header=BB161_3 Depth=1
	s_delay_alu instid0(SALU_CYCLE_1)
	s_or_b32 exec_lo, exec_lo, s66
	v_readlane_b32 s11, v106, 1
	s_and_saveexec_b32 s10, s11
	s_cbranch_execz .LBB161_776
; %bb.775:                              ;   in Loop: Header=BB161_3 Depth=1
	ds_load_b64 v[40:41], v1 offset:7800
	s_wait_dscnt 0x0
	v_pk_mul_f32 v[42:43], v[38:39], v[40:41] op_sel:[1,1] op_sel_hi:[1,0]
	s_delay_alu instid0(VALU_DEP_1) | instskip(SKIP_1) | instid1(VALU_DEP_2)
	v_pk_fma_f32 v[44:45], v[38:39], v[40:41], v[42:43] op_sel_hi:[0,1,1]
	v_pk_fma_f32 v[38:39], v[38:39], v[40:41], v[42:43] neg_lo:[0,0,1] neg_hi:[0,0,1]
	v_mov_b32_e32 v39, v45
	s_delay_alu instid0(VALU_DEP_1)
	v_pk_add_f32 v[40:41], v[38:39], 0 neg_lo:[1,1] neg_hi:[1,1]
	ds_store_b64 v60, v[40:41]
.LBB161_776:                            ;   in Loop: Header=BB161_3 Depth=1
	s_or_b32 exec_lo, exec_lo, s10
	v_readlane_b32 s11, v106, 2
	s_wait_loadcnt_dscnt 0x0
	s_barrier_signal -1
	s_barrier_wait -1
	s_and_saveexec_b32 s10, s11
	s_cbranch_execz .LBB161_778
; %bb.777:                              ;   in Loop: Header=BB161_3 Depth=1
	ds_load_b64 v[40:41], v61 offset:7680
	ds_load_b64 v[42:43], v60
	s_wait_dscnt 0x0
	v_pk_mul_f32 v[44:45], v[42:43], v[40:41] op_sel:[1,1] op_sel_hi:[0,1]
	s_delay_alu instid0(VALU_DEP_1) | instskip(SKIP_1) | instid1(VALU_DEP_2)
	v_pk_fma_f32 v[98:99], v[42:43], v[40:41], v[44:45] op_sel_hi:[1,0,1]
	v_pk_fma_f32 v[40:41], v[42:43], v[40:41], v[44:45] neg_lo:[0,0,1] neg_hi:[0,0,1]
	v_mov_b32_e32 v41, v99
	s_delay_alu instid0(VALU_DEP_1)
	v_pk_add_f32 v[38:39], v[38:39], v[40:41] neg_lo:[0,1] neg_hi:[0,1]
.LBB161_778:                            ;   in Loop: Header=BB161_3 Depth=1
	s_or_b32 exec_lo, exec_lo, s10
	v_readlane_b32 s11, v106, 3
	s_barrier_signal -1
	s_barrier_wait -1
	s_and_saveexec_b32 s10, s11
	s_cbranch_execz .LBB161_780
; %bb.779:                              ;   in Loop: Header=BB161_3 Depth=1
	ds_load_b64 v[40:41], v1 offset:7280
	s_wait_dscnt 0x0
	v_pk_mul_f32 v[42:43], v[38:39], v[40:41] op_sel:[1,1] op_sel_hi:[1,0]
	s_delay_alu instid0(VALU_DEP_1) | instskip(SKIP_1) | instid1(VALU_DEP_2)
	v_pk_fma_f32 v[44:45], v[38:39], v[40:41], v[42:43] op_sel_hi:[0,1,1]
	v_pk_fma_f32 v[38:39], v[38:39], v[40:41], v[42:43] neg_lo:[0,0,1] neg_hi:[0,0,1]
	v_mov_b32_e32 v39, v45
	s_delay_alu instid0(VALU_DEP_1)
	v_pk_add_f32 v[40:41], v[38:39], 0 neg_lo:[1,1] neg_hi:[1,1]
	ds_store_b64 v60, v[40:41]
.LBB161_780:                            ;   in Loop: Header=BB161_3 Depth=1
	s_or_b32 exec_lo, exec_lo, s10
	v_readlane_b32 s11, v106, 4
	s_wait_dscnt 0x0
	s_barrier_signal -1
	s_barrier_wait -1
	s_and_saveexec_b32 s10, s11
	s_cbranch_execz .LBB161_782
; %bb.781:                              ;   in Loop: Header=BB161_3 Depth=1
	ds_load_b64 v[40:41], v61 offset:7168
	ds_load_b64 v[42:43], v60
	s_wait_dscnt 0x0
	v_pk_mul_f32 v[44:45], v[42:43], v[40:41] op_sel:[1,1] op_sel_hi:[0,1]
	s_delay_alu instid0(VALU_DEP_1) | instskip(SKIP_1) | instid1(VALU_DEP_2)
	v_pk_fma_f32 v[98:99], v[42:43], v[40:41], v[44:45] op_sel_hi:[1,0,1]
	v_pk_fma_f32 v[40:41], v[42:43], v[40:41], v[44:45] neg_lo:[0,0,1] neg_hi:[0,0,1]
	v_mov_b32_e32 v41, v99
	s_delay_alu instid0(VALU_DEP_1)
	v_pk_add_f32 v[38:39], v[38:39], v[40:41] neg_lo:[0,1] neg_hi:[0,1]
.LBB161_782:                            ;   in Loop: Header=BB161_3 Depth=1
	s_or_b32 exec_lo, exec_lo, s10
	s_barrier_signal -1
	s_barrier_wait -1
	s_and_saveexec_b32 s10, s57
	s_cbranch_execz .LBB161_784
; %bb.783:                              ;   in Loop: Header=BB161_3 Depth=1
	ds_load_b64 v[40:41], v1 offset:6760
	s_wait_dscnt 0x0
	v_pk_mul_f32 v[42:43], v[38:39], v[40:41] op_sel:[1,1] op_sel_hi:[1,0]
	s_delay_alu instid0(VALU_DEP_1) | instskip(SKIP_1) | instid1(VALU_DEP_2)
	v_pk_fma_f32 v[44:45], v[38:39], v[40:41], v[42:43] op_sel_hi:[0,1,1]
	v_pk_fma_f32 v[38:39], v[38:39], v[40:41], v[42:43] neg_lo:[0,0,1] neg_hi:[0,0,1]
	v_mov_b32_e32 v39, v45
	s_delay_alu instid0(VALU_DEP_1)
	v_pk_add_f32 v[40:41], v[38:39], 0 neg_lo:[1,1] neg_hi:[1,1]
	ds_store_b64 v60, v[40:41]
.LBB161_784:                            ;   in Loop: Header=BB161_3 Depth=1
	s_or_b32 exec_lo, exec_lo, s10
	s_wait_dscnt 0x0
	s_barrier_signal -1
	s_barrier_wait -1
	s_and_saveexec_b32 s10, s58
	s_cbranch_execz .LBB161_786
; %bb.785:                              ;   in Loop: Header=BB161_3 Depth=1
	ds_load_b64 v[40:41], v61 offset:6656
	ds_load_b64 v[42:43], v60
	s_wait_dscnt 0x0
	v_pk_mul_f32 v[44:45], v[42:43], v[40:41] op_sel:[1,1] op_sel_hi:[0,1]
	s_delay_alu instid0(VALU_DEP_1) | instskip(SKIP_1) | instid1(VALU_DEP_2)
	v_pk_fma_f32 v[98:99], v[42:43], v[40:41], v[44:45] op_sel_hi:[1,0,1]
	v_pk_fma_f32 v[40:41], v[42:43], v[40:41], v[44:45] neg_lo:[0,0,1] neg_hi:[0,0,1]
	v_mov_b32_e32 v41, v99
	s_delay_alu instid0(VALU_DEP_1)
	v_pk_add_f32 v[38:39], v[38:39], v[40:41] neg_lo:[0,1] neg_hi:[0,1]
.LBB161_786:                            ;   in Loop: Header=BB161_3 Depth=1
	s_or_b32 exec_lo, exec_lo, s10
	s_delay_alu instid0(VALU_DEP_1)
	v_dual_mov_b32 v40, v39 :: v_dual_mov_b32 v41, v38
	s_barrier_signal -1
	s_barrier_wait -1
	s_and_saveexec_b32 s10, s59
	s_cbranch_execz .LBB161_788
; %bb.787:                              ;   in Loop: Header=BB161_3 Depth=1
	ds_load_b64 v[42:43], v1 offset:6240
	s_wait_dscnt 0x0
	v_dual_mul_f32 v0, v41, v43 :: v_dual_mul_f32 v44, v39, v43
	s_delay_alu instid0(VALU_DEP_1) | instskip(NEXT) | instid1(VALU_DEP_2)
	v_pk_fma_f32 v[40:41], v[40:41], v[42:43], v[0:1] op_sel_hi:[1,1,0]
	v_pk_fma_f32 v[38:39], v[38:39], v[42:43], v[44:45] op_sel_hi:[1,1,0] neg_lo:[0,0,1] neg_hi:[0,0,1]
	s_delay_alu instid0(VALU_DEP_1) | instskip(NEXT) | instid1(VALU_DEP_1)
	v_dual_mov_b32 v39, v40 :: v_dual_mov_b32 v41, v38
	v_pk_add_f32 v[42:43], v[38:39], 0 neg_lo:[1,1] neg_hi:[1,1]
	ds_store_b64 v60, v[42:43]
.LBB161_788:                            ;   in Loop: Header=BB161_3 Depth=1
	s_or_b32 exec_lo, exec_lo, s10
	s_wait_dscnt 0x0
	s_barrier_signal -1
	s_barrier_wait -1
	s_and_saveexec_b32 s10, s60
	s_cbranch_execz .LBB161_790
; %bb.789:                              ;   in Loop: Header=BB161_3 Depth=1
	ds_load_b64 v[38:39], v61 offset:6144
	ds_load_b64 v[42:43], v60
	s_wait_dscnt 0x0
	v_dual_mul_f32 v0, v43, v39 :: v_dual_mul_f32 v44, v42, v39
	s_delay_alu instid0(VALU_DEP_1) | instskip(NEXT) | instid1(VALU_DEP_2)
	v_fma_f32 v45, v42, v38, -v0
	v_fmac_f32_e32 v44, v43, v38
	s_delay_alu instid0(VALU_DEP_1)
	v_pk_add_f32 v[40:41], v[40:41], v[44:45] neg_lo:[0,1] neg_hi:[0,1]
.LBB161_790:                            ;   in Loop: Header=BB161_3 Depth=1
	s_or_b32 exec_lo, exec_lo, s10
	s_barrier_signal -1
	s_barrier_wait -1
	s_and_saveexec_b32 s10, s61
	s_cbranch_execz .LBB161_792
; %bb.791:                              ;   in Loop: Header=BB161_3 Depth=1
	ds_load_b64 v[38:39], v1 offset:5720
	s_wait_dscnt 0x0
	v_pk_mul_f32 v[42:43], v[40:41], v[38:39] op_sel_hi:[0,1]
	s_delay_alu instid0(VALU_DEP_1) | instskip(SKIP_1) | instid1(VALU_DEP_2)
	v_pk_fma_f32 v[44:45], v[40:41], v[38:39], v[42:43] op_sel:[1,1,0] op_sel_hi:[1,0,1] neg_lo:[0,0,1] neg_hi:[0,0,1]
	v_pk_fma_f32 v[40:41], v[40:41], v[38:39], v[42:43] op_sel:[1,1,0] op_sel_hi:[1,0,1]
	v_mov_b32_e32 v41, v45
	s_delay_alu instid0(VALU_DEP_2)
	v_xor_b32_e32 v39, 0x80000000, v40
	v_xor_b32_e32 v38, 0x80000000, v45
	ds_store_b64 v60, v[38:39]
.LBB161_792:                            ;   in Loop: Header=BB161_3 Depth=1
	s_or_b32 exec_lo, exec_lo, s10
	s_wait_dscnt 0x0
	s_barrier_signal -1
	s_barrier_wait -1
	s_and_saveexec_b32 s10, s62
	s_cbranch_execz .LBB161_794
; %bb.793:                              ;   in Loop: Header=BB161_3 Depth=1
	ds_load_b64 v[38:39], v61 offset:5632
	ds_load_b64 v[42:43], v60
	s_wait_dscnt 0x0
	v_pk_mul_f32 v[44:45], v[42:43], v[38:39] op_sel:[0,1]
	s_delay_alu instid0(VALU_DEP_1) | instskip(SKIP_1) | instid1(VALU_DEP_2)
	v_pk_fma_f32 v[98:99], v[42:43], v[38:39], v[44:45] op_sel:[1,0,0] op_sel_hi:[0,0,1] neg_lo:[0,0,1] neg_hi:[0,0,1]
	v_pk_fma_f32 v[38:39], v[42:43], v[38:39], v[44:45] op_sel:[1,0,0] op_sel_hi:[0,1,1]
	v_mov_b32_e32 v39, v99
	s_delay_alu instid0(VALU_DEP_1)
	v_pk_add_f32 v[40:41], v[40:41], v[38:39] neg_lo:[0,1] neg_hi:[0,1]
.LBB161_794:                            ;   in Loop: Header=BB161_3 Depth=1
	s_or_b32 exec_lo, exec_lo, s10
	s_barrier_signal -1
	s_barrier_wait -1
	s_and_saveexec_b32 s10, s63
	s_cbranch_execz .LBB161_796
; %bb.795:                              ;   in Loop: Header=BB161_3 Depth=1
	ds_load_b64 v[38:39], v1 offset:5200
	s_wait_dscnt 0x0
	v_pk_mul_f32 v[42:43], v[40:41], v[38:39] op_sel_hi:[0,1]
	s_delay_alu instid0(VALU_DEP_1) | instskip(SKIP_1) | instid1(VALU_DEP_2)
	v_pk_fma_f32 v[44:45], v[40:41], v[38:39], v[42:43] op_sel:[1,1,0] op_sel_hi:[1,0,1] neg_lo:[0,0,1] neg_hi:[0,0,1]
	v_pk_fma_f32 v[40:41], v[40:41], v[38:39], v[42:43] op_sel:[1,1,0] op_sel_hi:[1,0,1]
	v_mov_b32_e32 v41, v45
	s_delay_alu instid0(VALU_DEP_2)
	v_xor_b32_e32 v39, 0x80000000, v40
	v_xor_b32_e32 v38, 0x80000000, v45
	ds_store_b64 v60, v[38:39]
.LBB161_796:                            ;   in Loop: Header=BB161_3 Depth=1
	s_or_b32 exec_lo, exec_lo, s10
	s_wait_dscnt 0x0
	s_barrier_signal -1
	s_barrier_wait -1
	s_and_saveexec_b32 s10, s64
	s_cbranch_execz .LBB161_798
; %bb.797:                              ;   in Loop: Header=BB161_3 Depth=1
	ds_load_b64 v[38:39], v61 offset:5120
	ds_load_b64 v[42:43], v60
	s_wait_dscnt 0x0
	v_pk_mul_f32 v[44:45], v[42:43], v[38:39] op_sel:[0,1]
	s_delay_alu instid0(VALU_DEP_1) | instskip(SKIP_1) | instid1(VALU_DEP_2)
	v_pk_fma_f32 v[98:99], v[42:43], v[38:39], v[44:45] op_sel:[1,0,0] op_sel_hi:[0,0,1] neg_lo:[0,0,1] neg_hi:[0,0,1]
	v_pk_fma_f32 v[38:39], v[42:43], v[38:39], v[44:45] op_sel:[1,0,0] op_sel_hi:[0,1,1]
	v_mov_b32_e32 v39, v99
	s_delay_alu instid0(VALU_DEP_1)
	v_pk_add_f32 v[40:41], v[40:41], v[38:39] neg_lo:[0,1] neg_hi:[0,1]
.LBB161_798:                            ;   in Loop: Header=BB161_3 Depth=1
	;; [unrolled: 36-line block ×3, first 2 shown]
	s_or_b32 exec_lo, exec_lo, s10
	s_delay_alu instid0(VALU_DEP_1)
	v_dual_mov_b32 v38, v41 :: v_dual_mov_b32 v39, v40
	s_barrier_signal -1
	s_barrier_wait -1
	s_and_saveexec_b32 s10, s26
	s_cbranch_execz .LBB161_804
; %bb.803:                              ;   in Loop: Header=BB161_3 Depth=1
	ds_load_b64 v[42:43], v1 offset:4160
	s_wait_dscnt 0x0
	v_dual_mul_f32 v0, v40, v42 :: v_dual_mul_f32 v44, v39, v43
	s_delay_alu instid0(VALU_DEP_1) | instskip(NEXT) | instid1(VALU_DEP_2)
	v_pk_fma_f32 v[40:41], v[40:41], v[42:43], v[0:1] op_sel_hi:[1,1,0]
	v_pk_fma_f32 v[38:39], v[38:39], v[42:43], v[44:45] op_sel_hi:[1,1,0] neg_lo:[0,0,1] neg_hi:[0,0,1]
	s_delay_alu instid0(VALU_DEP_2) | instskip(NEXT) | instid1(VALU_DEP_1)
	v_mov_b32_e32 v39, v41
	v_pk_add_f32 v[40:41], v[38:39], 0 neg_lo:[1,1] neg_hi:[1,1]
	ds_store_b64 v60, v[40:41]
.LBB161_804:                            ;   in Loop: Header=BB161_3 Depth=1
	s_or_b32 exec_lo, exec_lo, s10
	s_wait_dscnt 0x0
	s_barrier_signal -1
	s_barrier_wait -1
	s_and_saveexec_b32 s10, s28
	s_cbranch_execz .LBB161_806
; %bb.805:                              ;   in Loop: Header=BB161_3 Depth=1
	ds_load_b64 v[40:41], v61 offset:4096
	ds_load_b64 v[42:43], v60
	s_wait_dscnt 0x0
	v_dual_mul_f32 v0, v43, v41 :: v_dual_mul_f32 v45, v42, v41
	s_delay_alu instid0(VALU_DEP_1) | instskip(NEXT) | instid1(VALU_DEP_1)
	v_dual_fma_f32 v44, v42, v40, -v0 :: v_dual_fmac_f32 v45, v43, v40
	v_pk_add_f32 v[38:39], v[38:39], v[44:45] neg_lo:[0,1] neg_hi:[0,1]
.LBB161_806:                            ;   in Loop: Header=BB161_3 Depth=1
	s_or_b32 exec_lo, exec_lo, s10
	s_barrier_signal -1
	s_barrier_wait -1
	s_and_saveexec_b32 s10, s30
	s_cbranch_execz .LBB161_808
; %bb.807:                              ;   in Loop: Header=BB161_3 Depth=1
	ds_load_b64 v[40:41], v1 offset:3640
	s_wait_dscnt 0x0
	v_pk_mul_f32 v[42:43], v[38:39], v[40:41] op_sel:[1,1] op_sel_hi:[1,0]
	s_delay_alu instid0(VALU_DEP_1) | instskip(SKIP_1) | instid1(VALU_DEP_2)
	v_pk_fma_f32 v[44:45], v[38:39], v[40:41], v[42:43] op_sel_hi:[0,1,1]
	v_pk_fma_f32 v[38:39], v[38:39], v[40:41], v[42:43] neg_lo:[0,0,1] neg_hi:[0,0,1]
	v_mov_b32_e32 v39, v45
	s_delay_alu instid0(VALU_DEP_1)
	v_pk_add_f32 v[40:41], v[38:39], 0 neg_lo:[1,1] neg_hi:[1,1]
	ds_store_b64 v60, v[40:41]
.LBB161_808:                            ;   in Loop: Header=BB161_3 Depth=1
	s_or_b32 exec_lo, exec_lo, s10
	s_wait_dscnt 0x0
	s_barrier_signal -1
	s_barrier_wait -1
	s_and_saveexec_b32 s10, s33
	s_cbranch_execz .LBB161_810
; %bb.809:                              ;   in Loop: Header=BB161_3 Depth=1
	ds_load_b64 v[40:41], v61 offset:3584
	ds_load_b64 v[42:43], v60
	s_wait_dscnt 0x0
	v_pk_mul_f32 v[44:45], v[42:43], v[40:41] op_sel:[1,1] op_sel_hi:[0,1]
	s_delay_alu instid0(VALU_DEP_1) | instskip(SKIP_1) | instid1(VALU_DEP_2)
	v_pk_fma_f32 v[98:99], v[42:43], v[40:41], v[44:45] op_sel_hi:[1,0,1]
	v_pk_fma_f32 v[40:41], v[42:43], v[40:41], v[44:45] neg_lo:[0,0,1] neg_hi:[0,0,1]
	v_mov_b32_e32 v41, v99
	s_delay_alu instid0(VALU_DEP_1)
	v_pk_add_f32 v[38:39], v[38:39], v[40:41] neg_lo:[0,1] neg_hi:[0,1]
.LBB161_810:                            ;   in Loop: Header=BB161_3 Depth=1
	s_or_b32 exec_lo, exec_lo, s10
	s_barrier_signal -1
	s_barrier_wait -1
	s_and_saveexec_b32 s10, s35
	s_cbranch_execz .LBB161_812
; %bb.811:                              ;   in Loop: Header=BB161_3 Depth=1
	ds_load_b64 v[40:41], v1 offset:3120
	s_wait_dscnt 0x0
	v_pk_mul_f32 v[42:43], v[38:39], v[40:41] op_sel:[1,1] op_sel_hi:[1,0]
	s_delay_alu instid0(VALU_DEP_1) | instskip(SKIP_1) | instid1(VALU_DEP_2)
	v_pk_fma_f32 v[44:45], v[38:39], v[40:41], v[42:43] op_sel_hi:[0,1,1]
	v_pk_fma_f32 v[38:39], v[38:39], v[40:41], v[42:43] neg_lo:[0,0,1] neg_hi:[0,0,1]
	v_mov_b32_e32 v39, v45
	s_delay_alu instid0(VALU_DEP_1)
	v_pk_add_f32 v[40:41], v[38:39], 0 neg_lo:[1,1] neg_hi:[1,1]
	ds_store_b64 v60, v[40:41]
.LBB161_812:                            ;   in Loop: Header=BB161_3 Depth=1
	s_or_b32 exec_lo, exec_lo, s10
	s_wait_dscnt 0x0
	s_barrier_signal -1
	s_barrier_wait -1
	s_and_saveexec_b32 s10, s37
	s_cbranch_execz .LBB161_814
; %bb.813:                              ;   in Loop: Header=BB161_3 Depth=1
	ds_load_b64 v[40:41], v61 offset:3072
	ds_load_b64 v[42:43], v60
	s_wait_dscnt 0x0
	v_pk_mul_f32 v[44:45], v[42:43], v[40:41] op_sel:[1,1] op_sel_hi:[0,1]
	s_delay_alu instid0(VALU_DEP_1) | instskip(SKIP_1) | instid1(VALU_DEP_2)
	v_pk_fma_f32 v[98:99], v[42:43], v[40:41], v[44:45] op_sel_hi:[1,0,1]
	v_pk_fma_f32 v[40:41], v[42:43], v[40:41], v[44:45] neg_lo:[0,0,1] neg_hi:[0,0,1]
	v_mov_b32_e32 v41, v99
	s_delay_alu instid0(VALU_DEP_1)
	v_pk_add_f32 v[38:39], v[38:39], v[40:41] neg_lo:[0,1] neg_hi:[0,1]
.LBB161_814:                            ;   in Loop: Header=BB161_3 Depth=1
	;; [unrolled: 35-line block ×3, first 2 shown]
	s_or_b32 exec_lo, exec_lo, s10
	s_barrier_signal -1
	s_barrier_wait -1
	s_and_saveexec_b32 s10, s78
	s_cbranch_execz .LBB161_820
; %bb.819:                              ;   in Loop: Header=BB161_3 Depth=1
	ds_load_b64 v[40:41], v1 offset:2080
	s_wait_dscnt 0x0
	v_pk_mul_f32 v[42:43], v[38:39], v[40:41]
	v_pk_mul_f32 v[38:39], v[38:39], v[40:41] op_sel:[1,0] op_sel_hi:[0,1]
	s_delay_alu instid0(VALU_DEP_1) | instskip(NEXT) | instid1(VALU_DEP_3)
	v_dual_mov_b32 v40, v42 :: v_dual_mov_b32 v41, v38
	v_mov_b32_e32 v38, v43
	s_delay_alu instid0(VALU_DEP_1) | instskip(SKIP_1) | instid1(VALU_DEP_2)
	v_pk_add_f32 v[42:43], v[40:41], v[38:39]
	v_pk_add_f32 v[38:39], v[40:41], v[38:39] neg_lo:[0,1] neg_hi:[0,1]
	v_mov_b32_e32 v39, v43
	s_delay_alu instid0(VALU_DEP_1)
	v_pk_add_f32 v[40:41], v[38:39], 0 neg_lo:[1,1] neg_hi:[1,1]
	ds_store_b64 v60, v[40:41]
.LBB161_820:                            ;   in Loop: Header=BB161_3 Depth=1
	s_or_b32 exec_lo, exec_lo, s10
	s_wait_dscnt 0x0
	s_barrier_signal -1
	s_barrier_wait -1
	s_and_saveexec_b32 s10, s79
	s_cbranch_execz .LBB161_822
; %bb.821:                              ;   in Loop: Header=BB161_3 Depth=1
	ds_load_b64 v[40:41], v61 offset:2048
	ds_load_b64 v[42:43], v60
	s_wait_dscnt 0x0
	v_dual_mul_f32 v0, v43, v41 :: v_dual_mul_f32 v41, v42, v41
	s_delay_alu instid0(VALU_DEP_1) | instskip(NEXT) | instid1(VALU_DEP_1)
	v_dual_fma_f32 v0, v42, v40, -v0 :: v_dual_fmac_f32 v41, v43, v40
	v_dual_sub_f32 v38, v38, v0 :: v_dual_sub_f32 v39, v39, v41
.LBB161_822:                            ;   in Loop: Header=BB161_3 Depth=1
	s_or_b32 exec_lo, exec_lo, s10
	s_barrier_signal -1
	s_barrier_wait -1
	s_and_saveexec_b32 s10, s27
	s_cbranch_execz .LBB161_824
; %bb.823:                              ;   in Loop: Header=BB161_3 Depth=1
	ds_load_b64 v[40:41], v1 offset:1560
	s_wait_dscnt 0x0
	v_dual_mul_f32 v0, v39, v40 :: v_dual_mul_f32 v42, v39, v41
	s_delay_alu instid0(VALU_DEP_1) | instskip(NEXT) | instid1(VALU_DEP_2)
	v_pk_fma_f32 v[44:45], v[38:39], v[40:41], v[0:1] op_sel:[1,0,0] op_sel_hi:[0,1,0]
	v_pk_fma_f32 v[38:39], v[38:39], v[40:41], v[42:43] op_sel_hi:[1,1,0] neg_lo:[0,0,1] neg_hi:[0,0,1]
	s_delay_alu instid0(VALU_DEP_2) | instskip(NEXT) | instid1(VALU_DEP_1)
	v_mov_b32_e32 v39, v45
	v_pk_add_f32 v[40:41], v[38:39], 0 neg_lo:[1,1] neg_hi:[1,1]
	ds_store_b64 v60, v[40:41]
.LBB161_824:                            ;   in Loop: Header=BB161_3 Depth=1
	s_or_b32 exec_lo, exec_lo, s10
	s_wait_dscnt 0x0
	s_barrier_signal -1
	s_barrier_wait -1
	s_and_saveexec_b32 s10, s29
	s_cbranch_execz .LBB161_826
; %bb.825:                              ;   in Loop: Header=BB161_3 Depth=1
	ds_load_b64 v[40:41], v61 offset:1536
	ds_load_b64 v[42:43], v60
	s_wait_dscnt 0x0
	v_pk_mul_f32 v[44:45], v[42:43], v[40:41] op_sel:[1,1] op_sel_hi:[0,1]
	s_delay_alu instid0(VALU_DEP_1) | instskip(SKIP_1) | instid1(VALU_DEP_2)
	v_pk_fma_f32 v[98:99], v[42:43], v[40:41], v[44:45] op_sel_hi:[1,0,1]
	v_pk_fma_f32 v[40:41], v[42:43], v[40:41], v[44:45] neg_lo:[0,0,1] neg_hi:[0,0,1]
	v_mov_b32_e32 v41, v99
	s_delay_alu instid0(VALU_DEP_1)
	v_pk_add_f32 v[38:39], v[38:39], v[40:41] neg_lo:[0,1] neg_hi:[0,1]
.LBB161_826:                            ;   in Loop: Header=BB161_3 Depth=1
	s_or_b32 exec_lo, exec_lo, s10
	s_barrier_signal -1
	s_barrier_wait -1
	s_and_saveexec_b32 s10, s31
	s_cbranch_execz .LBB161_828
; %bb.827:                              ;   in Loop: Header=BB161_3 Depth=1
	ds_load_b64 v[40:41], v1 offset:1040
	s_wait_dscnt 0x0
	v_pk_mul_f32 v[42:43], v[38:39], v[40:41] op_sel:[1,1] op_sel_hi:[1,0]
	s_delay_alu instid0(VALU_DEP_1) | instskip(SKIP_1) | instid1(VALU_DEP_2)
	v_pk_fma_f32 v[44:45], v[38:39], v[40:41], v[42:43] op_sel_hi:[0,1,1]
	v_pk_fma_f32 v[38:39], v[38:39], v[40:41], v[42:43] neg_lo:[0,0,1] neg_hi:[0,0,1]
	v_mov_b32_e32 v39, v45
	s_delay_alu instid0(VALU_DEP_1)
	v_pk_add_f32 v[40:41], v[38:39], 0 neg_lo:[1,1] neg_hi:[1,1]
	ds_store_b64 v60, v[40:41]
.LBB161_828:                            ;   in Loop: Header=BB161_3 Depth=1
	s_or_b32 exec_lo, exec_lo, s10
	s_wait_dscnt 0x0
	s_barrier_signal -1
	s_barrier_wait -1
	s_and_saveexec_b32 s10, s34
	s_cbranch_execz .LBB161_830
; %bb.829:                              ;   in Loop: Header=BB161_3 Depth=1
	ds_load_b64 v[40:41], v61 offset:1024
	ds_load_b64 v[42:43], v60
	s_wait_dscnt 0x0
	v_pk_mul_f32 v[44:45], v[42:43], v[40:41] op_sel:[1,1] op_sel_hi:[0,1]
	s_delay_alu instid0(VALU_DEP_1) | instskip(SKIP_1) | instid1(VALU_DEP_2)
	v_pk_fma_f32 v[98:99], v[42:43], v[40:41], v[44:45] op_sel_hi:[1,0,1]
	v_pk_fma_f32 v[40:41], v[42:43], v[40:41], v[44:45] neg_lo:[0,0,1] neg_hi:[0,0,1]
	v_mov_b32_e32 v41, v99
	s_delay_alu instid0(VALU_DEP_1)
	v_pk_add_f32 v[38:39], v[38:39], v[40:41] neg_lo:[0,1] neg_hi:[0,1]
.LBB161_830:                            ;   in Loop: Header=BB161_3 Depth=1
	s_or_b32 exec_lo, exec_lo, s10
	s_barrier_signal -1
	s_barrier_wait -1
	s_and_saveexec_b32 s10, s36
	s_cbranch_execz .LBB161_832
; %bb.831:                              ;   in Loop: Header=BB161_3 Depth=1
	ds_load_b64 v[40:41], v1 offset:520
	s_wait_dscnt 0x0
	v_pk_mul_f32 v[42:43], v[38:39], v[40:41] op_sel:[1,1] op_sel_hi:[1,0]
	s_delay_alu instid0(VALU_DEP_1) | instskip(SKIP_1) | instid1(VALU_DEP_2)
	v_pk_fma_f32 v[44:45], v[38:39], v[40:41], v[42:43] op_sel_hi:[0,1,1]
	v_pk_fma_f32 v[38:39], v[38:39], v[40:41], v[42:43] neg_lo:[0,0,1] neg_hi:[0,0,1]
	v_mov_b32_e32 v39, v45
	s_delay_alu instid0(VALU_DEP_1)
	v_pk_add_f32 v[40:41], v[38:39], 0 neg_lo:[1,1] neg_hi:[1,1]
	ds_store_b64 v60, v[40:41]
.LBB161_832:                            ;   in Loop: Header=BB161_3 Depth=1
	s_or_b32 exec_lo, exec_lo, s10
	s_wait_dscnt 0x0
	s_barrier_signal -1
	s_barrier_wait -1
	s_and_saveexec_b32 s10, s90
	s_cbranch_execz .LBB161_834
; %bb.833:                              ;   in Loop: Header=BB161_3 Depth=1
	ds_load_b64 v[40:41], v1 offset:512
	ds_load_b64 v[42:43], v60
	s_wait_dscnt 0x0
	v_pk_mul_f32 v[44:45], v[42:43], v[40:41] op_sel:[1,1] op_sel_hi:[0,1]
	s_delay_alu instid0(VALU_DEP_1) | instskip(SKIP_1) | instid1(VALU_DEP_2)
	v_pk_fma_f32 v[98:99], v[42:43], v[40:41], v[44:45] op_sel_hi:[1,0,1]
	v_pk_fma_f32 v[40:41], v[42:43], v[40:41], v[44:45] neg_lo:[0,0,1] neg_hi:[0,0,1]
	v_mov_b32_e32 v41, v99
	s_delay_alu instid0(VALU_DEP_1)
	v_pk_add_f32 v[38:39], v[38:39], v[40:41] neg_lo:[0,1] neg_hi:[0,1]
.LBB161_834:                            ;   in Loop: Header=BB161_3 Depth=1
	s_or_b32 exec_lo, exec_lo, s10
	s_barrier_signal -1
	s_barrier_wait -1
	s_and_saveexec_b32 s10, s90
	s_cbranch_execz .LBB161_836
; %bb.835:                              ;   in Loop: Header=BB161_3 Depth=1
	ds_load_b64 v[40:41], v1
	s_wait_dscnt 0x0
	v_pk_mul_f32 v[42:43], v[38:39], v[40:41] op_sel:[1,1] op_sel_hi:[1,0]
	s_delay_alu instid0(VALU_DEP_1) | instskip(SKIP_1) | instid1(VALU_DEP_2)
	v_pk_fma_f32 v[44:45], v[38:39], v[40:41], v[42:43] op_sel_hi:[0,1,1]
	v_pk_fma_f32 v[38:39], v[38:39], v[40:41], v[42:43] neg_lo:[0,0,1] neg_hi:[0,0,1]
	v_mov_b32_e32 v39, v45
	s_delay_alu instid0(VALU_DEP_1)
	v_pk_add_f32 v[40:41], v[38:39], 0 neg_lo:[1,1] neg_hi:[1,1]
	ds_store_b64 v60, v[40:41]
.LBB161_836:                            ;   in Loop: Header=BB161_3 Depth=1
	s_or_b32 exec_lo, exec_lo, s10
	s_wait_dscnt 0x0
	s_barrier_signal -1
	s_barrier_wait -1
	s_barrier_signal -1
	s_barrier_wait -1
	s_and_saveexec_b32 s10, s7
; %bb.837:                              ;   in Loop: Header=BB161_3 Depth=1
	ds_store_b64 v64, v[38:39] offset:15872
; %bb.838:                              ;   in Loop: Header=BB161_3 Depth=1
	s_or_b32 exec_lo, exec_lo, s10
	s_wait_dscnt 0x0
	s_barrier_signal -1
	s_barrier_wait -1
	s_barrier_signal -1
	s_barrier_wait -1
	s_and_saveexec_b32 s16, s53
	s_cbranch_execz .LBB161_840
; %bb.839:                              ;   in Loop: Header=BB161_3 Depth=1
	ds_load_b64 v[38:39], v70 offset:8192
	s_wait_dscnt 0x0
	ds_store_b64 v5, v[38:39] offset:128
	ds_load_b64 v[38:39], v70 offset:8200
	s_wait_dscnt 0x0
	ds_store_b64 v5, v[38:39] offset:640
	;; [unrolled: 3-line block ×16, first 2 shown]
.LBB161_840:                            ;   in Loop: Header=BB161_3 Depth=1
	s_or_b32 exec_lo, exec_lo, s16
	s_wait_dscnt 0x0
	s_barrier_signal -1
	s_barrier_wait -1
	s_and_saveexec_b32 s10, s14
	s_cbranch_execz .LBB161_842
; %bb.841:                              ;   in Loop: Header=BB161_3 Depth=1
	v_add_nc_u32_e64 v0, 0x70, 0
	ds_load_b64 v[42:43], v1 offset:7800
	ds_load_2addr_stride64_b64 v[38:41], v0 offset0:14 offset1:15
	s_wait_dscnt 0x0
	v_dual_mul_f32 v44, v43, v39 :: v_dual_mul_f32 v0, v42, v39
	s_delay_alu instid0(VALU_DEP_1) | instskip(NEXT) | instid1(VALU_DEP_2)
	v_xor_b32_e32 v44, 0x80000000, v44
	v_fmac_f32_e32 v0, v43, v38
	s_delay_alu instid0(VALU_DEP_2) | instskip(NEXT) | instid1(VALU_DEP_2)
	v_fmac_f32_e32 v44, v42, v38
	v_pk_mul_f32 v[38:39], v[0:1], v[40:41] op_sel:[0,1] op_sel_hi:[0,0]
	v_add_nc_u32_e64 v0, 0x1800, 0
	s_delay_alu instid0(VALU_DEP_2) | instskip(SKIP_1) | instid1(VALU_DEP_2)
	v_pk_fma_f32 v[42:43], v[44:45], v[40:41], v[38:39] op_sel_hi:[0,1,1]
	v_pk_fma_f32 v[38:39], v[44:45], v[40:41], v[38:39] neg_lo:[0,0,1] neg_hi:[0,0,1]
	v_mov_b32_e32 v39, v43
	ds_store_2addr_b64 v0, v[38:39], v[38:39] offset0:143 offset1:206
.LBB161_842:                            ;   in Loop: Header=BB161_3 Depth=1
	s_or_b32 exec_lo, exec_lo, s10
	v_dual_mov_b32 v38, 0 :: v_dual_mov_b32 v39, 0
	s_wait_dscnt 0x0
	s_barrier_signal -1
	s_barrier_wait -1
	global_wb scope:SCOPE_DEV
	s_wait_storecnt 0x0
	global_inv scope:SCOPE_DEV
	s_and_saveexec_b32 s16, s3
	s_cbranch_execz .LBB161_846
; %bb.843:                              ;   in Loop: Header=BB161_3 Depth=1
	ds_load_b64 v[38:39], v48 offset:7264
	ds_load_b64 v[40:41], v49 offset:7792
	s_wait_dscnt 0x0
	v_pk_mul_f32 v[42:43], v[40:41], v[38:39] op_sel:[1,1] op_sel_hi:[0,1]
	s_delay_alu instid0(VALU_DEP_1) | instskip(SKIP_1) | instid1(VALU_DEP_2)
	v_pk_fma_f32 v[44:45], v[40:41], v[38:39], v[42:43] op_sel_hi:[1,0,1]
	v_pk_fma_f32 v[38:39], v[40:41], v[38:39], v[42:43] neg_lo:[0,0,1] neg_hi:[0,0,1]
	v_mov_b32_e32 v39, v45
	s_delay_alu instid0(VALU_DEP_1)
	v_pk_add_f32 v[38:39], v[38:39], 0 op_sel_hi:[1,0]
	s_and_saveexec_b32 s10, s18
	s_cbranch_execz .LBB161_845
; %bb.844:                              ;   in Loop: Header=BB161_3 Depth=1
	ds_load_b64 v[40:41], v69 offset:7776
	ds_load_b64 v[42:43], v1 offset:7800
	s_wait_dscnt 0x0
	v_pk_mul_f32 v[44:45], v[42:43], v[40:41] op_sel:[1,1] op_sel_hi:[0,1]
	s_delay_alu instid0(VALU_DEP_1) | instskip(SKIP_1) | instid1(VALU_DEP_2)
	v_pk_fma_f32 v[98:99], v[42:43], v[40:41], v[44:45] op_sel_hi:[1,0,1]
	v_pk_fma_f32 v[40:41], v[42:43], v[40:41], v[44:45] neg_lo:[0,0,1] neg_hi:[0,0,1]
	v_mov_b32_e32 v41, v99
	s_delay_alu instid0(VALU_DEP_1)
	v_pk_add_f32 v[38:39], v[38:39], v[40:41]
.LBB161_845:                            ;   in Loop: Header=BB161_3 Depth=1
	s_or_b32 exec_lo, exec_lo, s10
.LBB161_846:                            ;   in Loop: Header=BB161_3 Depth=1
	s_delay_alu instid0(SALU_CYCLE_1)
	s_or_b32 exec_lo, exec_lo, s16
	s_and_saveexec_b32 s10, s93
	s_cbranch_execz .LBB161_848
; %bb.847:                              ;   in Loop: Header=BB161_3 Depth=1
	ds_load_b64 v[40:41], v1 offset:6760
	s_wait_dscnt 0x0
	v_pk_mul_f32 v[42:43], v[38:39], v[40:41] op_sel:[1,1] op_sel_hi:[1,0]
	s_delay_alu instid0(VALU_DEP_1) | instskip(SKIP_1) | instid1(VALU_DEP_2)
	v_pk_fma_f32 v[44:45], v[38:39], v[40:41], v[42:43] op_sel_hi:[0,1,1]
	v_pk_fma_f32 v[38:39], v[38:39], v[40:41], v[42:43] neg_lo:[0,0,1] neg_hi:[0,0,1]
	v_mov_b32_e32 v39, v45
	s_delay_alu instid0(VALU_DEP_1)
	v_pk_add_f32 v[40:41], v[38:39], 0 neg_lo:[1,1] neg_hi:[1,1]
	ds_store_b64 v3, v[40:41]
.LBB161_848:                            ;   in Loop: Header=BB161_3 Depth=1
	s_or_b32 exec_lo, exec_lo, s10
	s_wait_loadcnt_dscnt 0x0
	s_barrier_signal -1
	s_barrier_wait -1
	s_and_saveexec_b32 s10, s94
	s_cbranch_execz .LBB161_850
; %bb.849:                              ;   in Loop: Header=BB161_3 Depth=1
	ds_load_b64 v[40:41], v1 offset:6752
	ds_load_b64 v[42:43], v3
	s_wait_dscnt 0x0
	v_pk_mul_f32 v[44:45], v[42:43], v[40:41] op_sel:[1,1] op_sel_hi:[0,1]
	s_delay_alu instid0(VALU_DEP_1) | instskip(SKIP_1) | instid1(VALU_DEP_2)
	v_pk_fma_f32 v[98:99], v[42:43], v[40:41], v[44:45] op_sel_hi:[1,0,1]
	v_pk_fma_f32 v[40:41], v[42:43], v[40:41], v[44:45] neg_lo:[0,0,1] neg_hi:[0,0,1]
	v_mov_b32_e32 v41, v99
	s_delay_alu instid0(VALU_DEP_1)
	v_pk_add_f32 v[38:39], v[38:39], v[40:41] neg_lo:[0,1] neg_hi:[0,1]
.LBB161_850:                            ;   in Loop: Header=BB161_3 Depth=1
	s_or_b32 exec_lo, exec_lo, s10
	s_barrier_signal -1
	s_barrier_wait -1
	s_and_saveexec_b32 s10, s94
	s_cbranch_execz .LBB161_852
; %bb.851:                              ;   in Loop: Header=BB161_3 Depth=1
	ds_load_b64 v[40:41], v1 offset:6240
	s_wait_dscnt 0x0
	v_pk_mul_f32 v[42:43], v[38:39], v[40:41] op_sel:[1,1] op_sel_hi:[1,0]
	s_delay_alu instid0(VALU_DEP_1) | instskip(SKIP_1) | instid1(VALU_DEP_2)
	v_pk_fma_f32 v[44:45], v[38:39], v[40:41], v[42:43] op_sel_hi:[0,1,1]
	v_pk_fma_f32 v[38:39], v[38:39], v[40:41], v[42:43] neg_lo:[0,0,1] neg_hi:[0,0,1]
	v_mov_b32_e32 v39, v45
	s_delay_alu instid0(VALU_DEP_1)
	v_pk_add_f32 v[40:41], v[38:39], 0 neg_lo:[1,1] neg_hi:[1,1]
	ds_store_b64 v3, v[40:41]
.LBB161_852:                            ;   in Loop: Header=BB161_3 Depth=1
	s_or_b32 exec_lo, exec_lo, s10
	s_wait_dscnt 0x0
	s_barrier_signal -1
	s_barrier_wait -1
	s_barrier_signal -1
	s_barrier_wait -1
	s_and_saveexec_b32 s10, s3
; %bb.853:                              ;   in Loop: Header=BB161_3 Depth=1
	ds_store_b64 v50, v[38:39] offset:7776
; %bb.854:                              ;   in Loop: Header=BB161_3 Depth=1
	s_or_b32 exec_lo, exec_lo, s10
	s_wait_dscnt 0x0
	s_barrier_signal -1
	s_barrier_wait -1
	s_barrier_signal -1
	s_barrier_wait -1
	s_and_saveexec_b32 s10, s95
	s_cbranch_execz .LBB161_856
; %bb.855:                              ;   in Loop: Header=BB161_3 Depth=1
	ds_load_b64 v[38:39], v70 offset:7264
	s_wait_dscnt 0x0
	ds_store_b64 v69, v[38:39] offset:6256
	ds_load_b64 v[38:39], v70 offset:7272
	s_wait_dscnt 0x0
	ds_store_b64 v69, v[38:39] offset:6768
.LBB161_856:                            ;   in Loop: Header=BB161_3 Depth=1
	s_or_b32 exec_lo, exec_lo, s10
	s_wait_dscnt 0x0
	s_barrier_signal -1
	s_barrier_wait -1
	s_and_saveexec_b32 s10, s14
	s_cbranch_execz .LBB161_858
; %bb.857:                              ;   in Loop: Header=BB161_3 Depth=1
	v_add_nc_u32_e64 v0, 0x60, 0
	ds_load_b64 v[42:43], v1 offset:6760
	ds_load_2addr_stride64_b64 v[38:41], v0 offset0:12 offset1:13
	s_wait_dscnt 0x0
	v_dual_mul_f32 v44, v43, v39 :: v_dual_mul_f32 v0, v42, v39
	s_delay_alu instid0(VALU_DEP_1) | instskip(NEXT) | instid1(VALU_DEP_2)
	v_xor_b32_e32 v44, 0x80000000, v44
	v_fmac_f32_e32 v0, v43, v38
	s_delay_alu instid0(VALU_DEP_2) | instskip(NEXT) | instid1(VALU_DEP_2)
	v_fmac_f32_e32 v44, v42, v38
	v_pk_mul_f32 v[38:39], v[0:1], v[40:41] op_sel:[0,1] op_sel_hi:[0,0]
	v_add_nc_u32_e64 v0, 0x1800, 0
	s_delay_alu instid0(VALU_DEP_2) | instskip(SKIP_1) | instid1(VALU_DEP_2)
	v_pk_fma_f32 v[42:43], v[44:45], v[40:41], v[38:39] op_sel_hi:[0,1,1]
	v_pk_fma_f32 v[38:39], v[44:45], v[40:41], v[38:39] neg_lo:[0,0,1] neg_hi:[0,0,1]
	v_mov_b32_e32 v39, v43
	ds_store_2addr_b64 v0, v[38:39], v[38:39] offset0:13 offset1:76
.LBB161_858:                            ;   in Loop: Header=BB161_3 Depth=1
	s_or_b32 exec_lo, exec_lo, s10
	v_mov_b64_e32 v[38:39], 0
	s_wait_dscnt 0x0
	s_barrier_signal -1
	s_barrier_wait -1
	global_wb scope:SCOPE_DEV
	s_wait_storecnt 0x0
	global_inv scope:SCOPE_DEV
	s_and_saveexec_b32 s16, s5
	s_cbranch_execz .LBB161_864
; %bb.859:                              ;   in Loop: Header=BB161_3 Depth=1
	ds_load_b64 v[38:39], v52 offset:6208
	ds_load_b64 v[40:41], v53 offset:7776
	s_wait_dscnt 0x0
	v_dual_mul_f32 v0, v41, v39 :: v_dual_mul_f32 v39, v40, v39
	s_delay_alu instid0(VALU_DEP_1) | instskip(NEXT) | instid1(VALU_DEP_1)
	v_dual_fma_f32 v0, v40, v38, -v0 :: v_dual_fmac_f32 v39, v41, v38
	v_dual_add_f32 v38, 0, v0 :: v_dual_add_f32 v39, 0, v39
	s_and_saveexec_b32 s10, s19
	s_cbranch_execnz .LBB161_1150
; %bb.860:                              ;   in Loop: Header=BB161_3 Depth=1
	s_or_b32 exec_lo, exec_lo, s10
	s_and_saveexec_b32 s10, s20
	s_cbranch_execnz .LBB161_1151
.LBB161_861:                            ;   in Loop: Header=BB161_3 Depth=1
	s_or_b32 exec_lo, exec_lo, s10
	s_and_saveexec_b32 s10, s3
	s_cbranch_execz .LBB161_863
.LBB161_862:                            ;   in Loop: Header=BB161_3 Depth=1
	ds_load_b64 v[40:41], v5 offset:7744
	ds_load_b64 v[42:43], v1 offset:7800
	s_wait_dscnt 0x0
	v_dual_mul_f32 v0, v43, v41 :: v_dual_mul_f32 v41, v42, v41
	s_delay_alu instid0(VALU_DEP_1) | instskip(NEXT) | instid1(VALU_DEP_1)
	v_dual_fma_f32 v0, v42, v40, -v0 :: v_dual_fmac_f32 v41, v43, v40
	v_dual_add_f32 v38, v38, v0 :: v_dual_add_f32 v39, v39, v41
.LBB161_863:                            ;   in Loop: Header=BB161_3 Depth=1
	s_or_b32 exec_lo, exec_lo, s10
.LBB161_864:                            ;   in Loop: Header=BB161_3 Depth=1
	s_delay_alu instid0(SALU_CYCLE_1)
	s_or_b32 exec_lo, exec_lo, s16
	s_and_saveexec_b32 s10, s96
	s_cbranch_execz .LBB161_866
; %bb.865:                              ;   in Loop: Header=BB161_3 Depth=1
	ds_load_b64 v[40:41], v1 offset:5720
	s_wait_dscnt 0x0
	v_dual_mul_f32 v0, v39, v40 :: v_dual_mul_f32 v42, v39, v41
	s_delay_alu instid0(VALU_DEP_1) | instskip(NEXT) | instid1(VALU_DEP_2)
	v_pk_fma_f32 v[44:45], v[38:39], v[40:41], v[0:1] op_sel:[1,0,0] op_sel_hi:[0,1,0]
	v_pk_fma_f32 v[38:39], v[38:39], v[40:41], v[42:43] op_sel_hi:[1,1,0] neg_lo:[0,0,1] neg_hi:[0,0,1]
	s_delay_alu instid0(VALU_DEP_2) | instskip(NEXT) | instid1(VALU_DEP_1)
	v_mov_b32_e32 v39, v45
	v_pk_add_f32 v[40:41], v[38:39], 0 neg_lo:[1,1] neg_hi:[1,1]
	ds_store_b64 v51, v[40:41]
.LBB161_866:                            ;   in Loop: Header=BB161_3 Depth=1
	s_or_b32 exec_lo, exec_lo, s10
	s_wait_loadcnt_dscnt 0x0
	s_barrier_signal -1
	s_barrier_wait -1
	s_and_saveexec_b32 s10, s97
	s_cbranch_execz .LBB161_868
; %bb.867:                              ;   in Loop: Header=BB161_3 Depth=1
	ds_load_b64 v[40:41], v52 offset:5696
	ds_load_b64 v[42:43], v51
	s_wait_dscnt 0x0
	v_pk_mul_f32 v[44:45], v[42:43], v[40:41] op_sel:[1,1] op_sel_hi:[0,1]
	s_delay_alu instid0(VALU_DEP_1) | instskip(SKIP_1) | instid1(VALU_DEP_2)
	v_pk_fma_f32 v[98:99], v[42:43], v[40:41], v[44:45] op_sel_hi:[1,0,1]
	v_pk_fma_f32 v[40:41], v[42:43], v[40:41], v[44:45] neg_lo:[0,0,1] neg_hi:[0,0,1]
	v_mov_b32_e32 v41, v99
	s_delay_alu instid0(VALU_DEP_1)
	v_pk_add_f32 v[38:39], v[38:39], v[40:41] neg_lo:[0,1] neg_hi:[0,1]
.LBB161_868:                            ;   in Loop: Header=BB161_3 Depth=1
	s_or_b32 exec_lo, exec_lo, s10
	s_barrier_signal -1
	s_barrier_wait -1
	s_and_saveexec_b32 s10, s98
	s_cbranch_execz .LBB161_870
; %bb.869:                              ;   in Loop: Header=BB161_3 Depth=1
	ds_load_b64 v[40:41], v1 offset:5200
	s_wait_dscnt 0x0
	v_pk_mul_f32 v[42:43], v[38:39], v[40:41] op_sel:[1,1] op_sel_hi:[1,0]
	s_delay_alu instid0(VALU_DEP_1) | instskip(SKIP_1) | instid1(VALU_DEP_2)
	v_pk_fma_f32 v[44:45], v[38:39], v[40:41], v[42:43] op_sel_hi:[0,1,1]
	v_pk_fma_f32 v[38:39], v[38:39], v[40:41], v[42:43] neg_lo:[0,0,1] neg_hi:[0,0,1]
	v_mov_b32_e32 v39, v45
	s_delay_alu instid0(VALU_DEP_1)
	v_pk_add_f32 v[40:41], v[38:39], 0 neg_lo:[1,1] neg_hi:[1,1]
	ds_store_b64 v51, v[40:41]
.LBB161_870:                            ;   in Loop: Header=BB161_3 Depth=1
	s_or_b32 exec_lo, exec_lo, s10
	s_wait_dscnt 0x0
	s_barrier_signal -1
	s_barrier_wait -1
	s_and_saveexec_b32 s10, s99
	s_cbranch_execz .LBB161_872
; %bb.871:                              ;   in Loop: Header=BB161_3 Depth=1
	ds_load_b64 v[40:41], v52 offset:5184
	ds_load_b64 v[42:43], v51
	s_wait_dscnt 0x0
	v_pk_mul_f32 v[44:45], v[42:43], v[40:41] op_sel:[1,1] op_sel_hi:[0,1]
	s_delay_alu instid0(VALU_DEP_1) | instskip(SKIP_1) | instid1(VALU_DEP_2)
	v_pk_fma_f32 v[98:99], v[42:43], v[40:41], v[44:45] op_sel_hi:[1,0,1]
	v_pk_fma_f32 v[40:41], v[42:43], v[40:41], v[44:45] neg_lo:[0,0,1] neg_hi:[0,0,1]
	v_mov_b32_e32 v41, v99
	s_delay_alu instid0(VALU_DEP_1)
	v_pk_add_f32 v[38:39], v[38:39], v[40:41] neg_lo:[0,1] neg_hi:[0,1]
.LBB161_872:                            ;   in Loop: Header=BB161_3 Depth=1
	s_or_b32 exec_lo, exec_lo, s10
	s_barrier_signal -1
	s_barrier_wait -1
	s_and_saveexec_b32 s10, s100
	s_cbranch_execz .LBB161_874
; %bb.873:                              ;   in Loop: Header=BB161_3 Depth=1
	ds_load_b64 v[40:41], v1 offset:4680
	s_wait_dscnt 0x0
	v_pk_mul_f32 v[42:43], v[38:39], v[40:41] op_sel:[1,1] op_sel_hi:[1,0]
	s_delay_alu instid0(VALU_DEP_1) | instskip(SKIP_1) | instid1(VALU_DEP_2)
	v_pk_fma_f32 v[44:45], v[38:39], v[40:41], v[42:43] op_sel_hi:[0,1,1]
	v_pk_fma_f32 v[38:39], v[38:39], v[40:41], v[42:43] neg_lo:[0,0,1] neg_hi:[0,0,1]
	v_mov_b32_e32 v39, v45
	s_delay_alu instid0(VALU_DEP_1)
	v_pk_add_f32 v[40:41], v[38:39], 0 neg_lo:[1,1] neg_hi:[1,1]
	ds_store_b64 v51, v[40:41]
.LBB161_874:                            ;   in Loop: Header=BB161_3 Depth=1
	s_or_b32 exec_lo, exec_lo, s10
	s_wait_dscnt 0x0
	;; [unrolled: 35-line block ×3, first 2 shown]
	s_barrier_signal -1
	s_barrier_wait -1
	s_barrier_signal -1
	s_barrier_wait -1
	s_and_saveexec_b32 s10, s5
; %bb.879:                              ;   in Loop: Header=BB161_3 Depth=1
	ds_store_b64 v55, v[38:39] offset:7744
; %bb.880:                              ;   in Loop: Header=BB161_3 Depth=1
	s_or_b32 exec_lo, exec_lo, s10
	s_wait_dscnt 0x0
	s_barrier_signal -1
	s_barrier_wait -1
	s_barrier_signal -1
	s_barrier_wait -1
	s_and_saveexec_b32 s10, s102
	s_cbranch_execz .LBB161_882
; %bb.881:                              ;   in Loop: Header=BB161_3 Depth=1
	ds_load_b64 v[38:39], v71 offset:6208
	s_wait_dscnt 0x0
	ds_store_b64 v72, v[38:39] offset:4192
	ds_load_b64 v[38:39], v71 offset:6216
	s_wait_dscnt 0x0
	ds_store_b64 v72, v[38:39] offset:4704
	ds_load_b64 v[38:39], v71 offset:6224
	s_wait_dscnt 0x0
	ds_store_b64 v72, v[38:39] offset:5216
	ds_load_b64 v[38:39], v71 offset:6232
	s_wait_dscnt 0x0
	ds_store_b64 v72, v[38:39] offset:5728
.LBB161_882:                            ;   in Loop: Header=BB161_3 Depth=1
	s_or_b32 exec_lo, exec_lo, s10
	s_wait_dscnt 0x0
	s_barrier_signal -1
	s_barrier_wait -1
	s_and_saveexec_b32 s10, s14
	s_cbranch_execz .LBB161_884
; %bb.883:                              ;   in Loop: Header=BB161_3 Depth=1
	v_add_nc_u32_e64 v0, 0x50, 0
	ds_load_b64 v[42:43], v1 offset:5720
	ds_load_2addr_stride64_b64 v[38:41], v0 offset0:10 offset1:11
	s_wait_dscnt 0x0
	v_dual_mul_f32 v44, v43, v39 :: v_dual_mul_f32 v0, v42, v39
	s_delay_alu instid0(VALU_DEP_1) | instskip(NEXT) | instid1(VALU_DEP_2)
	v_xor_b32_e32 v44, 0x80000000, v44
	v_fmac_f32_e32 v0, v43, v38
	s_delay_alu instid0(VALU_DEP_2) | instskip(NEXT) | instid1(VALU_DEP_2)
	v_fmac_f32_e32 v44, v42, v38
	v_pk_mul_f32 v[38:39], v[0:1], v[40:41] op_sel:[0,1] op_sel_hi:[0,0]
	v_add_nc_u32_e64 v0, 0x1000, 0
	s_delay_alu instid0(VALU_DEP_2) | instskip(SKIP_1) | instid1(VALU_DEP_2)
	v_pk_fma_f32 v[42:43], v[44:45], v[40:41], v[38:39] op_sel_hi:[0,1,1]
	v_pk_fma_f32 v[38:39], v[44:45], v[40:41], v[38:39] neg_lo:[0,0,1] neg_hi:[0,0,1]
	v_mov_b32_e32 v39, v43
	ds_store_2addr_b64 v0, v[38:39], v[38:39] offset0:139 offset1:202
.LBB161_884:                            ;   in Loop: Header=BB161_3 Depth=1
	s_or_b32 exec_lo, exec_lo, s10
	v_dual_mov_b32 v38, 0 :: v_dual_mov_b32 v39, 0
	s_wait_dscnt 0x0
	s_barrier_signal -1
	s_barrier_wait -1
	global_wb scope:SCOPE_DEV
	s_wait_storecnt 0x0
	global_inv scope:SCOPE_DEV
	s_and_saveexec_b32 s16, s3
	s_cbranch_execz .LBB161_888
; %bb.885:                              ;   in Loop: Header=BB161_3 Depth=1
	ds_load_b64 v[38:39], v48 offset:5184
	ds_load_b64 v[40:41], v49 offset:5712
	s_wait_dscnt 0x0
	v_pk_mul_f32 v[42:43], v[40:41], v[38:39] op_sel:[1,1] op_sel_hi:[0,1]
	s_delay_alu instid0(VALU_DEP_1) | instskip(SKIP_1) | instid1(VALU_DEP_2)
	v_pk_fma_f32 v[44:45], v[40:41], v[38:39], v[42:43] op_sel_hi:[1,0,1]
	v_pk_fma_f32 v[38:39], v[40:41], v[38:39], v[42:43] neg_lo:[0,0,1] neg_hi:[0,0,1]
	v_mov_b32_e32 v39, v45
	s_delay_alu instid0(VALU_DEP_1)
	v_pk_add_f32 v[38:39], v[38:39], 0 op_sel_hi:[1,0]
	s_and_saveexec_b32 s10, s18
	s_cbranch_execz .LBB161_887
; %bb.886:                              ;   in Loop: Header=BB161_3 Depth=1
	ds_load_b64 v[40:41], v72 offset:5696
	ds_load_b64 v[42:43], v1 offset:5720
	s_wait_dscnt 0x0
	v_pk_mul_f32 v[44:45], v[42:43], v[40:41] op_sel:[1,1] op_sel_hi:[0,1]
	s_delay_alu instid0(VALU_DEP_1) | instskip(SKIP_1) | instid1(VALU_DEP_2)
	v_pk_fma_f32 v[98:99], v[42:43], v[40:41], v[44:45] op_sel_hi:[1,0,1]
	v_pk_fma_f32 v[40:41], v[42:43], v[40:41], v[44:45] neg_lo:[0,0,1] neg_hi:[0,0,1]
	v_mov_b32_e32 v41, v99
	s_delay_alu instid0(VALU_DEP_1)
	v_pk_add_f32 v[38:39], v[38:39], v[40:41]
.LBB161_887:                            ;   in Loop: Header=BB161_3 Depth=1
	s_or_b32 exec_lo, exec_lo, s10
.LBB161_888:                            ;   in Loop: Header=BB161_3 Depth=1
	s_delay_alu instid0(SALU_CYCLE_1)
	s_or_b32 exec_lo, exec_lo, s16
	s_and_saveexec_b32 s10, s93
	s_cbranch_execz .LBB161_890
; %bb.889:                              ;   in Loop: Header=BB161_3 Depth=1
	ds_load_b64 v[40:41], v1 offset:4680
	s_wait_dscnt 0x0
	v_pk_mul_f32 v[42:43], v[38:39], v[40:41] op_sel:[1,1] op_sel_hi:[1,0]
	s_delay_alu instid0(VALU_DEP_1) | instskip(SKIP_1) | instid1(VALU_DEP_2)
	v_pk_fma_f32 v[44:45], v[38:39], v[40:41], v[42:43] op_sel_hi:[0,1,1]
	v_pk_fma_f32 v[38:39], v[38:39], v[40:41], v[42:43] neg_lo:[0,0,1] neg_hi:[0,0,1]
	v_mov_b32_e32 v39, v45
	s_delay_alu instid0(VALU_DEP_1)
	v_pk_add_f32 v[40:41], v[38:39], 0 neg_lo:[1,1] neg_hi:[1,1]
	ds_store_b64 v3, v[40:41]
.LBB161_890:                            ;   in Loop: Header=BB161_3 Depth=1
	s_or_b32 exec_lo, exec_lo, s10
	s_wait_loadcnt_dscnt 0x0
	s_barrier_signal -1
	s_barrier_wait -1
	s_and_saveexec_b32 s10, s94
	s_cbranch_execz .LBB161_892
; %bb.891:                              ;   in Loop: Header=BB161_3 Depth=1
	ds_load_b64 v[40:41], v1 offset:4672
	ds_load_b64 v[42:43], v3
	s_wait_dscnt 0x0
	v_pk_mul_f32 v[44:45], v[42:43], v[40:41] op_sel:[1,1] op_sel_hi:[0,1]
	s_delay_alu instid0(VALU_DEP_1) | instskip(SKIP_1) | instid1(VALU_DEP_2)
	v_pk_fma_f32 v[98:99], v[42:43], v[40:41], v[44:45] op_sel_hi:[1,0,1]
	v_pk_fma_f32 v[40:41], v[42:43], v[40:41], v[44:45] neg_lo:[0,0,1] neg_hi:[0,0,1]
	v_mov_b32_e32 v41, v99
	s_delay_alu instid0(VALU_DEP_1)
	v_pk_add_f32 v[38:39], v[38:39], v[40:41] neg_lo:[0,1] neg_hi:[0,1]
.LBB161_892:                            ;   in Loop: Header=BB161_3 Depth=1
	s_or_b32 exec_lo, exec_lo, s10
	s_barrier_signal -1
	s_barrier_wait -1
	s_and_saveexec_b32 s10, s94
	s_cbranch_execz .LBB161_894
; %bb.893:                              ;   in Loop: Header=BB161_3 Depth=1
	ds_load_b64 v[40:41], v1 offset:4160
	s_wait_dscnt 0x0
	v_pk_mul_f32 v[42:43], v[38:39], v[40:41] op_sel:[1,1] op_sel_hi:[1,0]
	s_delay_alu instid0(VALU_DEP_1) | instskip(SKIP_1) | instid1(VALU_DEP_2)
	v_pk_fma_f32 v[44:45], v[38:39], v[40:41], v[42:43] op_sel_hi:[0,1,1]
	v_pk_fma_f32 v[38:39], v[38:39], v[40:41], v[42:43] neg_lo:[0,0,1] neg_hi:[0,0,1]
	v_mov_b32_e32 v39, v45
	s_delay_alu instid0(VALU_DEP_1)
	v_pk_add_f32 v[40:41], v[38:39], 0 neg_lo:[1,1] neg_hi:[1,1]
	ds_store_b64 v3, v[40:41]
.LBB161_894:                            ;   in Loop: Header=BB161_3 Depth=1
	s_or_b32 exec_lo, exec_lo, s10
	s_wait_dscnt 0x0
	s_barrier_signal -1
	s_barrier_wait -1
	s_barrier_signal -1
	s_barrier_wait -1
	s_and_saveexec_b32 s10, s3
; %bb.895:                              ;   in Loop: Header=BB161_3 Depth=1
	ds_store_b64 v50, v[38:39] offset:5696
; %bb.896:                              ;   in Loop: Header=BB161_3 Depth=1
	s_or_b32 exec_lo, exec_lo, s10
	s_wait_dscnt 0x0
	s_barrier_signal -1
	s_barrier_wait -1
	s_barrier_signal -1
	s_barrier_wait -1
	s_and_saveexec_b32 s10, s95
	s_cbranch_execz .LBB161_898
; %bb.897:                              ;   in Loop: Header=BB161_3 Depth=1
	ds_load_b64 v[38:39], v73 offset:5184
	s_wait_dscnt 0x0
	ds_store_b64 v72, v[38:39] offset:4176
	ds_load_b64 v[38:39], v73 offset:5192
	s_wait_dscnt 0x0
	ds_store_b64 v72, v[38:39] offset:4688
.LBB161_898:                            ;   in Loop: Header=BB161_3 Depth=1
	s_or_b32 exec_lo, exec_lo, s10
	s_wait_dscnt 0x0
	s_barrier_signal -1
	s_barrier_wait -1
	s_and_saveexec_b32 s10, s14
	s_cbranch_execz .LBB161_900
; %bb.899:                              ;   in Loop: Header=BB161_3 Depth=1
	v_add_nc_u32_e64 v0, 64, 0
	ds_load_b64 v[42:43], v1 offset:4680
	ds_load_2addr_stride64_b64 v[38:41], v0 offset0:8 offset1:9
	s_wait_dscnt 0x0
	v_dual_mul_f32 v44, v43, v39 :: v_dual_mul_f32 v0, v42, v39
	s_delay_alu instid0(VALU_DEP_1) | instskip(NEXT) | instid1(VALU_DEP_2)
	v_xor_b32_e32 v44, 0x80000000, v44
	v_fmac_f32_e32 v0, v43, v38
	s_delay_alu instid0(VALU_DEP_2) | instskip(NEXT) | instid1(VALU_DEP_2)
	v_fmac_f32_e32 v44, v42, v38
	v_pk_mul_f32 v[38:39], v[0:1], v[40:41] op_sel:[0,1] op_sel_hi:[0,0]
	v_add_nc_u32_e64 v0, 0x1000, 0
	s_delay_alu instid0(VALU_DEP_2) | instskip(SKIP_1) | instid1(VALU_DEP_2)
	v_pk_fma_f32 v[42:43], v[44:45], v[40:41], v[38:39] op_sel_hi:[0,1,1]
	v_pk_fma_f32 v[38:39], v[44:45], v[40:41], v[38:39] neg_lo:[0,0,1] neg_hi:[0,0,1]
	v_mov_b32_e32 v39, v43
	ds_store_2addr_b64 v0, v[38:39], v[38:39] offset0:9 offset1:72
.LBB161_900:                            ;   in Loop: Header=BB161_3 Depth=1
	s_or_b32 exec_lo, exec_lo, s10
	v_mov_b64_e32 v[38:39], 0
	s_wait_dscnt 0x0
	s_barrier_signal -1
	s_barrier_wait -1
	global_wb scope:SCOPE_DEV
	s_wait_storecnt 0x0
	global_inv scope:SCOPE_DEV
	s_and_saveexec_b32 s16, s6
	s_cbranch_execz .LBB161_910
; %bb.901:                              ;   in Loop: Header=BB161_3 Depth=1
	ds_load_b64 v[38:39], v57 offset:4096
	ds_load_b64 v[40:41], v58 offset:7744
	s_wait_dscnt 0x0
	v_dual_mul_f32 v0, v41, v39 :: v_dual_mul_f32 v39, v40, v39
	s_delay_alu instid0(VALU_DEP_1) | instskip(NEXT) | instid1(VALU_DEP_1)
	v_dual_fma_f32 v0, v40, v38, -v0 :: v_dual_fmac_f32 v39, v41, v38
	v_dual_add_f32 v38, 0, v0 :: v_dual_add_f32 v39, 0, v39
	s_and_saveexec_b32 s10, s21
	s_cbranch_execnz .LBB161_1152
; %bb.902:                              ;   in Loop: Header=BB161_3 Depth=1
	s_or_b32 exec_lo, exec_lo, s10
	s_and_saveexec_b32 s10, s22
	s_cbranch_execnz .LBB161_1153
.LBB161_903:                            ;   in Loop: Header=BB161_3 Depth=1
	s_or_b32 exec_lo, exec_lo, s10
	s_and_saveexec_b32 s10, s23
	s_cbranch_execnz .LBB161_1154
.LBB161_904:                            ;   in Loop: Header=BB161_3 Depth=1
	s_or_b32 exec_lo, exec_lo, s10
	s_and_saveexec_b32 s10, s24
	s_cbranch_execnz .LBB161_1155
.LBB161_905:                            ;   in Loop: Header=BB161_3 Depth=1
	s_or_b32 exec_lo, exec_lo, s10
	s_and_saveexec_b32 s10, s25
	s_cbranch_execnz .LBB161_1156
.LBB161_906:                            ;   in Loop: Header=BB161_3 Depth=1
	s_or_b32 exec_lo, exec_lo, s10
	s_and_saveexec_b32 s10, s5
	s_cbranch_execnz .LBB161_1157
.LBB161_907:                            ;   in Loop: Header=BB161_3 Depth=1
	s_or_b32 exec_lo, exec_lo, s10
	s_and_saveexec_b32 s10, s20
	s_cbranch_execz .LBB161_909
.LBB161_908:                            ;   in Loop: Header=BB161_3 Depth=1
	ds_load_b64 v[40:41], v75 offset:7680
	ds_load_b64 v[42:43], v1 offset:7800
	s_wait_dscnt 0x0
	v_dual_mul_f32 v0, v43, v41 :: v_dual_mul_f32 v45, v42, v41
	s_delay_alu instid0(VALU_DEP_1) | instskip(NEXT) | instid1(VALU_DEP_1)
	v_dual_fma_f32 v44, v42, v40, -v0 :: v_dual_fmac_f32 v45, v43, v40
	v_pk_add_f32 v[38:39], v[38:39], v[44:45]
.LBB161_909:                            ;   in Loop: Header=BB161_3 Depth=1
	s_or_b32 exec_lo, exec_lo, s10
.LBB161_910:                            ;   in Loop: Header=BB161_3 Depth=1
	s_delay_alu instid0(SALU_CYCLE_1)
	s_or_b32 exec_lo, exec_lo, s16
	s_and_saveexec_b32 s10, s103
	s_cbranch_execz .LBB161_912
; %bb.911:                              ;   in Loop: Header=BB161_3 Depth=1
	ds_load_b64 v[40:41], v1 offset:3640
	s_wait_dscnt 0x0
	v_pk_mul_f32 v[42:43], v[38:39], v[40:41] op_sel:[1,1] op_sel_hi:[1,0]
	s_delay_alu instid0(VALU_DEP_1) | instskip(SKIP_1) | instid1(VALU_DEP_2)
	v_pk_fma_f32 v[44:45], v[38:39], v[40:41], v[42:43] op_sel_hi:[0,1,1]
	v_pk_fma_f32 v[38:39], v[38:39], v[40:41], v[42:43] neg_lo:[0,0,1] neg_hi:[0,0,1]
	v_mov_b32_e32 v39, v45
	s_delay_alu instid0(VALU_DEP_1)
	v_pk_add_f32 v[40:41], v[38:39], 0 neg_lo:[1,1] neg_hi:[1,1]
	ds_store_b64 v56, v[40:41]
.LBB161_912:                            ;   in Loop: Header=BB161_3 Depth=1
	s_or_b32 exec_lo, exec_lo, s10
	s_wait_loadcnt_dscnt 0x0
	s_barrier_signal -1
	s_barrier_wait -1
	s_and_saveexec_b32 s10, s104
	s_cbranch_execz .LBB161_914
; %bb.913:                              ;   in Loop: Header=BB161_3 Depth=1
	ds_load_b64 v[40:41], v57 offset:3584
	ds_load_b64 v[42:43], v56
	s_wait_dscnt 0x0
	v_pk_mul_f32 v[44:45], v[42:43], v[40:41] op_sel:[1,1] op_sel_hi:[0,1]
	s_delay_alu instid0(VALU_DEP_1) | instskip(SKIP_1) | instid1(VALU_DEP_2)
	v_pk_fma_f32 v[98:99], v[42:43], v[40:41], v[44:45] op_sel_hi:[1,0,1]
	v_pk_fma_f32 v[40:41], v[42:43], v[40:41], v[44:45] neg_lo:[0,0,1] neg_hi:[0,0,1]
	v_mov_b32_e32 v41, v99
	s_delay_alu instid0(VALU_DEP_1)
	v_pk_add_f32 v[38:39], v[38:39], v[40:41] neg_lo:[0,1] neg_hi:[0,1]
.LBB161_914:                            ;   in Loop: Header=BB161_3 Depth=1
	s_or_b32 exec_lo, exec_lo, s10
	s_barrier_signal -1
	s_barrier_wait -1
	s_and_saveexec_b32 s10, vcc_hi
	s_cbranch_execz .LBB161_916
; %bb.915:                              ;   in Loop: Header=BB161_3 Depth=1
	ds_load_b64 v[40:41], v1 offset:3120
	s_wait_dscnt 0x0
	v_pk_mul_f32 v[42:43], v[38:39], v[40:41] op_sel:[1,1] op_sel_hi:[1,0]
	s_delay_alu instid0(VALU_DEP_1) | instskip(SKIP_1) | instid1(VALU_DEP_2)
	v_pk_fma_f32 v[44:45], v[38:39], v[40:41], v[42:43] op_sel_hi:[0,1,1]
	v_pk_fma_f32 v[38:39], v[38:39], v[40:41], v[42:43] neg_lo:[0,0,1] neg_hi:[0,0,1]
	v_mov_b32_e32 v39, v45
	s_delay_alu instid0(VALU_DEP_1)
	v_pk_add_f32 v[40:41], v[38:39], 0 neg_lo:[1,1] neg_hi:[1,1]
	ds_store_b64 v56, v[40:41]
.LBB161_916:                            ;   in Loop: Header=BB161_3 Depth=1
	s_or_b32 exec_lo, exec_lo, s10
	s_wait_dscnt 0x0
	s_barrier_signal -1
	s_barrier_wait -1
	s_and_saveexec_b32 s10, s41
	s_cbranch_execz .LBB161_918
; %bb.917:                              ;   in Loop: Header=BB161_3 Depth=1
	ds_load_b64 v[40:41], v57 offset:3072
	ds_load_b64 v[42:43], v56
	s_wait_dscnt 0x0
	v_pk_mul_f32 v[44:45], v[42:43], v[40:41] op_sel:[1,1] op_sel_hi:[0,1]
	s_delay_alu instid0(VALU_DEP_1) | instskip(SKIP_1) | instid1(VALU_DEP_2)
	v_pk_fma_f32 v[98:99], v[42:43], v[40:41], v[44:45] op_sel_hi:[1,0,1]
	v_pk_fma_f32 v[40:41], v[42:43], v[40:41], v[44:45] neg_lo:[0,0,1] neg_hi:[0,0,1]
	v_mov_b32_e32 v41, v99
	s_delay_alu instid0(VALU_DEP_1)
	v_pk_add_f32 v[38:39], v[38:39], v[40:41] neg_lo:[0,1] neg_hi:[0,1]
.LBB161_918:                            ;   in Loop: Header=BB161_3 Depth=1
	s_or_b32 exec_lo, exec_lo, s10
	s_barrier_signal -1
	s_barrier_wait -1
	s_and_saveexec_b32 s10, s42
	s_cbranch_execz .LBB161_920
; %bb.919:                              ;   in Loop: Header=BB161_3 Depth=1
	ds_load_b64 v[40:41], v1 offset:2600
	s_wait_dscnt 0x0
	v_pk_mul_f32 v[42:43], v[38:39], v[40:41] op_sel:[1,1] op_sel_hi:[1,0]
	s_delay_alu instid0(VALU_DEP_1) | instskip(SKIP_1) | instid1(VALU_DEP_2)
	v_pk_fma_f32 v[44:45], v[38:39], v[40:41], v[42:43] op_sel_hi:[0,1,1]
	v_pk_fma_f32 v[38:39], v[38:39], v[40:41], v[42:43] neg_lo:[0,0,1] neg_hi:[0,0,1]
	v_mov_b32_e32 v39, v45
	s_delay_alu instid0(VALU_DEP_1)
	v_pk_add_f32 v[40:41], v[38:39], 0 neg_lo:[1,1] neg_hi:[1,1]
	ds_store_b64 v56, v[40:41]
.LBB161_920:                            ;   in Loop: Header=BB161_3 Depth=1
	s_or_b32 exec_lo, exec_lo, s10
	s_wait_dscnt 0x0
	s_barrier_signal -1
	s_barrier_wait -1
	s_and_saveexec_b32 s10, s43
	s_cbranch_execz .LBB161_922
; %bb.921:                              ;   in Loop: Header=BB161_3 Depth=1
	ds_load_b64 v[40:41], v57 offset:2560
	ds_load_b64 v[42:43], v56
	s_wait_dscnt 0x0
	v_pk_mul_f32 v[44:45], v[42:43], v[40:41] op_sel:[1,1] op_sel_hi:[0,1]
	s_delay_alu instid0(VALU_DEP_1) | instskip(SKIP_1) | instid1(VALU_DEP_2)
	v_pk_fma_f32 v[98:99], v[42:43], v[40:41], v[44:45] op_sel_hi:[1,0,1]
	v_pk_fma_f32 v[40:41], v[42:43], v[40:41], v[44:45] neg_lo:[0,0,1] neg_hi:[0,0,1]
	v_mov_b32_e32 v41, v99
	s_delay_alu instid0(VALU_DEP_1)
	v_pk_add_f32 v[38:39], v[38:39], v[40:41] neg_lo:[0,1] neg_hi:[0,1]
.LBB161_922:                            ;   in Loop: Header=BB161_3 Depth=1
	s_or_b32 exec_lo, exec_lo, s10
	s_barrier_signal -1
	s_barrier_wait -1
	s_and_saveexec_b32 s10, s44
	s_cbranch_execz .LBB161_924
; %bb.923:                              ;   in Loop: Header=BB161_3 Depth=1
	ds_load_b64 v[40:41], v1 offset:2080
	s_wait_dscnt 0x0
	v_pk_mul_f32 v[42:43], v[38:39], v[40:41]
	v_pk_mul_f32 v[38:39], v[38:39], v[40:41] op_sel:[1,0] op_sel_hi:[0,1]
	s_delay_alu instid0(VALU_DEP_1) | instskip(NEXT) | instid1(VALU_DEP_3)
	v_dual_mov_b32 v40, v42 :: v_dual_mov_b32 v41, v38
	v_mov_b32_e32 v38, v43
	s_delay_alu instid0(VALU_DEP_1) | instskip(SKIP_1) | instid1(VALU_DEP_2)
	v_pk_add_f32 v[42:43], v[40:41], v[38:39]
	v_pk_add_f32 v[38:39], v[40:41], v[38:39] neg_lo:[0,1] neg_hi:[0,1]
	v_mov_b32_e32 v39, v43
	s_delay_alu instid0(VALU_DEP_1)
	v_pk_add_f32 v[40:41], v[38:39], 0 neg_lo:[1,1] neg_hi:[1,1]
	ds_store_b64 v56, v[40:41]
.LBB161_924:                            ;   in Loop: Header=BB161_3 Depth=1
	s_or_b32 exec_lo, exec_lo, s10
	s_wait_dscnt 0x0
	s_barrier_signal -1
	s_barrier_wait -1
	s_and_saveexec_b32 s10, s45
	s_cbranch_execz .LBB161_926
; %bb.925:                              ;   in Loop: Header=BB161_3 Depth=1
	ds_load_b64 v[40:41], v57 offset:2048
	ds_load_b64 v[42:43], v56
	s_wait_dscnt 0x0
	v_dual_mul_f32 v0, v43, v41 :: v_dual_mul_f32 v41, v42, v41
	s_delay_alu instid0(VALU_DEP_1) | instskip(NEXT) | instid1(VALU_DEP_1)
	v_dual_fma_f32 v0, v42, v40, -v0 :: v_dual_fmac_f32 v41, v43, v40
	v_dual_sub_f32 v38, v38, v0 :: v_dual_sub_f32 v39, v39, v41
.LBB161_926:                            ;   in Loop: Header=BB161_3 Depth=1
	s_or_b32 exec_lo, exec_lo, s10
	s_barrier_signal -1
	s_barrier_wait -1
	s_and_saveexec_b32 s10, s46
	s_cbranch_execz .LBB161_928
; %bb.927:                              ;   in Loop: Header=BB161_3 Depth=1
	ds_load_b64 v[40:41], v1 offset:1560
	s_wait_dscnt 0x0
	v_dual_mul_f32 v0, v39, v40 :: v_dual_mul_f32 v42, v39, v41
	s_delay_alu instid0(VALU_DEP_1) | instskip(NEXT) | instid1(VALU_DEP_2)
	v_pk_fma_f32 v[44:45], v[38:39], v[40:41], v[0:1] op_sel:[1,0,0] op_sel_hi:[0,1,0]
	v_pk_fma_f32 v[38:39], v[38:39], v[40:41], v[42:43] op_sel_hi:[1,1,0] neg_lo:[0,0,1] neg_hi:[0,0,1]
	s_delay_alu instid0(VALU_DEP_2) | instskip(NEXT) | instid1(VALU_DEP_1)
	v_mov_b32_e32 v39, v45
	v_pk_add_f32 v[40:41], v[38:39], 0 neg_lo:[1,1] neg_hi:[1,1]
	ds_store_b64 v56, v[40:41]
.LBB161_928:                            ;   in Loop: Header=BB161_3 Depth=1
	s_or_b32 exec_lo, exec_lo, s10
	s_wait_dscnt 0x0
	s_barrier_signal -1
	s_barrier_wait -1
	s_and_saveexec_b32 s10, s47
	s_cbranch_execz .LBB161_930
; %bb.929:                              ;   in Loop: Header=BB161_3 Depth=1
	ds_load_b64 v[40:41], v57 offset:1536
	ds_load_b64 v[42:43], v56
	s_wait_dscnt 0x0
	v_pk_mul_f32 v[44:45], v[42:43], v[40:41] op_sel:[1,1] op_sel_hi:[0,1]
	s_delay_alu instid0(VALU_DEP_1) | instskip(SKIP_1) | instid1(VALU_DEP_2)
	v_pk_fma_f32 v[98:99], v[42:43], v[40:41], v[44:45] op_sel_hi:[1,0,1]
	v_pk_fma_f32 v[40:41], v[42:43], v[40:41], v[44:45] neg_lo:[0,0,1] neg_hi:[0,0,1]
	v_mov_b32_e32 v41, v99
	s_delay_alu instid0(VALU_DEP_1)
	v_pk_add_f32 v[38:39], v[38:39], v[40:41] neg_lo:[0,1] neg_hi:[0,1]
.LBB161_930:                            ;   in Loop: Header=BB161_3 Depth=1
	s_or_b32 exec_lo, exec_lo, s10
	s_barrier_signal -1
	s_barrier_wait -1
	s_and_saveexec_b32 s10, s48
	s_cbranch_execz .LBB161_932
; %bb.931:                              ;   in Loop: Header=BB161_3 Depth=1
	ds_load_b64 v[40:41], v1 offset:1040
	s_wait_dscnt 0x0
	v_pk_mul_f32 v[42:43], v[38:39], v[40:41] op_sel:[1,1] op_sel_hi:[1,0]
	s_delay_alu instid0(VALU_DEP_1) | instskip(SKIP_1) | instid1(VALU_DEP_2)
	v_pk_fma_f32 v[44:45], v[38:39], v[40:41], v[42:43] op_sel_hi:[0,1,1]
	v_pk_fma_f32 v[38:39], v[38:39], v[40:41], v[42:43] neg_lo:[0,0,1] neg_hi:[0,0,1]
	v_mov_b32_e32 v39, v45
	s_delay_alu instid0(VALU_DEP_1)
	v_pk_add_f32 v[40:41], v[38:39], 0 neg_lo:[1,1] neg_hi:[1,1]
	ds_store_b64 v56, v[40:41]
.LBB161_932:                            ;   in Loop: Header=BB161_3 Depth=1
	s_or_b32 exec_lo, exec_lo, s10
	s_wait_dscnt 0x0
	s_barrier_signal -1
	s_barrier_wait -1
	s_and_saveexec_b32 s10, s49
	s_cbranch_execz .LBB161_934
; %bb.933:                              ;   in Loop: Header=BB161_3 Depth=1
	ds_load_b64 v[40:41], v57 offset:1024
	ds_load_b64 v[42:43], v56
	s_wait_dscnt 0x0
	v_pk_mul_f32 v[44:45], v[42:43], v[40:41] op_sel:[1,1] op_sel_hi:[0,1]
	s_delay_alu instid0(VALU_DEP_1) | instskip(SKIP_1) | instid1(VALU_DEP_2)
	v_pk_fma_f32 v[98:99], v[42:43], v[40:41], v[44:45] op_sel_hi:[1,0,1]
	v_pk_fma_f32 v[40:41], v[42:43], v[40:41], v[44:45] neg_lo:[0,0,1] neg_hi:[0,0,1]
	v_mov_b32_e32 v41, v99
	s_delay_alu instid0(VALU_DEP_1)
	v_pk_add_f32 v[38:39], v[38:39], v[40:41] neg_lo:[0,1] neg_hi:[0,1]
.LBB161_934:                            ;   in Loop: Header=BB161_3 Depth=1
	s_or_b32 exec_lo, exec_lo, s10
	s_barrier_signal -1
	s_barrier_wait -1
	s_and_saveexec_b32 s10, s50
	s_cbranch_execz .LBB161_936
; %bb.935:                              ;   in Loop: Header=BB161_3 Depth=1
	ds_load_b64 v[40:41], v1 offset:520
	s_wait_dscnt 0x0
	v_pk_mul_f32 v[42:43], v[38:39], v[40:41] op_sel:[1,1] op_sel_hi:[1,0]
	s_delay_alu instid0(VALU_DEP_1) | instskip(SKIP_1) | instid1(VALU_DEP_2)
	v_pk_fma_f32 v[44:45], v[38:39], v[40:41], v[42:43] op_sel_hi:[0,1,1]
	v_pk_fma_f32 v[38:39], v[38:39], v[40:41], v[42:43] neg_lo:[0,0,1] neg_hi:[0,0,1]
	v_mov_b32_e32 v39, v45
	s_delay_alu instid0(VALU_DEP_1)
	v_pk_add_f32 v[40:41], v[38:39], 0 neg_lo:[1,1] neg_hi:[1,1]
	ds_store_b64 v56, v[40:41]
.LBB161_936:                            ;   in Loop: Header=BB161_3 Depth=1
	s_or_b32 exec_lo, exec_lo, s10
	s_wait_dscnt 0x0
	s_barrier_signal -1
	s_barrier_wait -1
	s_and_saveexec_b32 s10, s51
	s_cbranch_execz .LBB161_938
; %bb.937:                              ;   in Loop: Header=BB161_3 Depth=1
	ds_load_b64 v[40:41], v1 offset:512
	ds_load_b64 v[42:43], v56
	s_wait_dscnt 0x0
	v_pk_mul_f32 v[44:45], v[42:43], v[40:41] op_sel:[1,1] op_sel_hi:[0,1]
	s_delay_alu instid0(VALU_DEP_1) | instskip(SKIP_1) | instid1(VALU_DEP_2)
	v_pk_fma_f32 v[98:99], v[42:43], v[40:41], v[44:45] op_sel_hi:[1,0,1]
	v_pk_fma_f32 v[40:41], v[42:43], v[40:41], v[44:45] neg_lo:[0,0,1] neg_hi:[0,0,1]
	v_mov_b32_e32 v41, v99
	s_delay_alu instid0(VALU_DEP_1)
	v_pk_add_f32 v[38:39], v[38:39], v[40:41] neg_lo:[0,1] neg_hi:[0,1]
.LBB161_938:                            ;   in Loop: Header=BB161_3 Depth=1
	s_or_b32 exec_lo, exec_lo, s10
	s_barrier_signal -1
	s_barrier_wait -1
	s_and_saveexec_b32 s10, s51
	s_cbranch_execz .LBB161_940
; %bb.939:                              ;   in Loop: Header=BB161_3 Depth=1
	ds_load_b64 v[40:41], v1
	s_wait_dscnt 0x0
	v_pk_mul_f32 v[42:43], v[38:39], v[40:41] op_sel:[1,1] op_sel_hi:[1,0]
	s_delay_alu instid0(VALU_DEP_1) | instskip(SKIP_1) | instid1(VALU_DEP_2)
	v_pk_fma_f32 v[44:45], v[38:39], v[40:41], v[42:43] op_sel_hi:[0,1,1]
	v_pk_fma_f32 v[38:39], v[38:39], v[40:41], v[42:43] neg_lo:[0,0,1] neg_hi:[0,0,1]
	v_mov_b32_e32 v39, v45
	s_delay_alu instid0(VALU_DEP_1)
	v_pk_add_f32 v[40:41], v[38:39], 0 neg_lo:[1,1] neg_hi:[1,1]
	ds_store_b64 v56, v[40:41]
.LBB161_940:                            ;   in Loop: Header=BB161_3 Depth=1
	s_or_b32 exec_lo, exec_lo, s10
	s_wait_dscnt 0x0
	s_barrier_signal -1
	s_barrier_wait -1
	s_barrier_signal -1
	s_barrier_wait -1
	s_and_saveexec_b32 s10, s6
; %bb.941:                              ;   in Loop: Header=BB161_3 Depth=1
	ds_store_b64 v59, v[38:39] offset:7680
; %bb.942:                              ;   in Loop: Header=BB161_3 Depth=1
	s_or_b32 exec_lo, exec_lo, s10
	s_wait_dscnt 0x0
	s_barrier_signal -1
	s_barrier_wait -1
	s_barrier_signal -1
	s_barrier_wait -1
	s_and_saveexec_b32 s10, s52
	s_cbranch_execz .LBB161_944
; %bb.943:                              ;   in Loop: Header=BB161_3 Depth=1
	ds_load_b64 v[38:39], v77 offset:4096
	s_wait_dscnt 0x0
	ds_store_b64 v78, v[38:39] offset:64
	ds_load_b64 v[38:39], v77 offset:4104
	s_wait_dscnt 0x0
	ds_store_b64 v78, v[38:39] offset:576
	;; [unrolled: 3-line block ×8, first 2 shown]
.LBB161_944:                            ;   in Loop: Header=BB161_3 Depth=1
	s_or_b32 exec_lo, exec_lo, s10
	s_wait_dscnt 0x0
	s_barrier_signal -1
	s_barrier_wait -1
	s_and_saveexec_b32 s10, s14
	s_cbranch_execz .LBB161_946
; %bb.945:                              ;   in Loop: Header=BB161_3 Depth=1
	v_add_nc_u32_e64 v0, 48, 0
	ds_load_b64 v[42:43], v1 offset:3640
	ds_load_2addr_stride64_b64 v[38:41], v0 offset0:6 offset1:7
	s_wait_dscnt 0x0
	v_dual_mul_f32 v44, v43, v39 :: v_dual_mul_f32 v0, v42, v39
	s_delay_alu instid0(VALU_DEP_1) | instskip(NEXT) | instid1(VALU_DEP_2)
	v_xor_b32_e32 v44, 0x80000000, v44
	v_fmac_f32_e32 v0, v43, v38
	s_delay_alu instid0(VALU_DEP_2) | instskip(NEXT) | instid1(VALU_DEP_2)
	v_fmac_f32_e32 v44, v42, v38
	v_pk_mul_f32 v[38:39], v[0:1], v[40:41] op_sel:[0,1] op_sel_hi:[0,0]
	v_add_nc_u32_e64 v0, 0x800, 0
	s_delay_alu instid0(VALU_DEP_2) | instskip(SKIP_1) | instid1(VALU_DEP_2)
	v_pk_fma_f32 v[42:43], v[44:45], v[40:41], v[38:39] op_sel_hi:[0,1,1]
	v_pk_fma_f32 v[38:39], v[44:45], v[40:41], v[38:39] neg_lo:[0,0,1] neg_hi:[0,0,1]
	v_mov_b32_e32 v39, v43
	ds_store_2addr_b64 v0, v[38:39], v[38:39] offset0:135 offset1:198
.LBB161_946:                            ;   in Loop: Header=BB161_3 Depth=1
	s_or_b32 exec_lo, exec_lo, s10
	v_dual_mov_b32 v38, 0 :: v_dual_mov_b32 v39, 0
	s_wait_dscnt 0x0
	s_barrier_signal -1
	s_barrier_wait -1
	global_wb scope:SCOPE_DEV
	s_wait_storecnt 0x0
	global_inv scope:SCOPE_DEV
	s_and_saveexec_b32 s16, s3
	s_cbranch_execz .LBB161_950
; %bb.947:                              ;   in Loop: Header=BB161_3 Depth=1
	ds_load_b64 v[38:39], v48 offset:3104
	ds_load_b64 v[40:41], v49 offset:3632
	s_wait_dscnt 0x0
	v_pk_mul_f32 v[42:43], v[40:41], v[38:39] op_sel:[1,1] op_sel_hi:[0,1]
	s_delay_alu instid0(VALU_DEP_1) | instskip(SKIP_1) | instid1(VALU_DEP_2)
	v_pk_fma_f32 v[44:45], v[40:41], v[38:39], v[42:43] op_sel_hi:[1,0,1]
	v_pk_fma_f32 v[38:39], v[40:41], v[38:39], v[42:43] neg_lo:[0,0,1] neg_hi:[0,0,1]
	v_mov_b32_e32 v39, v45
	s_delay_alu instid0(VALU_DEP_1)
	v_pk_add_f32 v[38:39], v[38:39], 0 op_sel_hi:[1,0]
	s_and_saveexec_b32 s10, s18
	s_cbranch_execz .LBB161_949
; %bb.948:                              ;   in Loop: Header=BB161_3 Depth=1
	ds_load_b64 v[40:41], v78 offset:3616
	ds_load_b64 v[42:43], v1 offset:3640
	s_wait_dscnt 0x0
	v_pk_mul_f32 v[44:45], v[42:43], v[40:41] op_sel:[1,1] op_sel_hi:[0,1]
	s_delay_alu instid0(VALU_DEP_1) | instskip(SKIP_1) | instid1(VALU_DEP_2)
	v_pk_fma_f32 v[98:99], v[42:43], v[40:41], v[44:45] op_sel_hi:[1,0,1]
	v_pk_fma_f32 v[40:41], v[42:43], v[40:41], v[44:45] neg_lo:[0,0,1] neg_hi:[0,0,1]
	v_mov_b32_e32 v41, v99
	s_delay_alu instid0(VALU_DEP_1)
	v_pk_add_f32 v[38:39], v[38:39], v[40:41]
.LBB161_949:                            ;   in Loop: Header=BB161_3 Depth=1
	s_or_b32 exec_lo, exec_lo, s10
.LBB161_950:                            ;   in Loop: Header=BB161_3 Depth=1
	s_delay_alu instid0(SALU_CYCLE_1)
	s_or_b32 exec_lo, exec_lo, s16
	s_and_saveexec_b32 s10, s93
	s_cbranch_execz .LBB161_952
; %bb.951:                              ;   in Loop: Header=BB161_3 Depth=1
	ds_load_b64 v[40:41], v1 offset:2600
	s_wait_dscnt 0x0
	v_pk_mul_f32 v[42:43], v[38:39], v[40:41] op_sel:[1,1] op_sel_hi:[1,0]
	s_delay_alu instid0(VALU_DEP_1) | instskip(SKIP_1) | instid1(VALU_DEP_2)
	v_pk_fma_f32 v[44:45], v[38:39], v[40:41], v[42:43] op_sel_hi:[0,1,1]
	v_pk_fma_f32 v[38:39], v[38:39], v[40:41], v[42:43] neg_lo:[0,0,1] neg_hi:[0,0,1]
	v_mov_b32_e32 v39, v45
	s_delay_alu instid0(VALU_DEP_1)
	v_pk_add_f32 v[40:41], v[38:39], 0 neg_lo:[1,1] neg_hi:[1,1]
	ds_store_b64 v3, v[40:41]
.LBB161_952:                            ;   in Loop: Header=BB161_3 Depth=1
	s_or_b32 exec_lo, exec_lo, s10
	s_wait_loadcnt_dscnt 0x0
	s_barrier_signal -1
	s_barrier_wait -1
	s_and_saveexec_b32 s10, s94
	s_cbranch_execz .LBB161_954
; %bb.953:                              ;   in Loop: Header=BB161_3 Depth=1
	ds_load_b64 v[40:41], v1 offset:2592
	ds_load_b64 v[42:43], v3
	s_wait_dscnt 0x0
	v_pk_mul_f32 v[44:45], v[42:43], v[40:41] op_sel:[1,1] op_sel_hi:[0,1]
	s_delay_alu instid0(VALU_DEP_1) | instskip(SKIP_1) | instid1(VALU_DEP_2)
	v_pk_fma_f32 v[98:99], v[42:43], v[40:41], v[44:45] op_sel_hi:[1,0,1]
	v_pk_fma_f32 v[40:41], v[42:43], v[40:41], v[44:45] neg_lo:[0,0,1] neg_hi:[0,0,1]
	v_mov_b32_e32 v41, v99
	s_delay_alu instid0(VALU_DEP_1)
	v_pk_add_f32 v[38:39], v[38:39], v[40:41] neg_lo:[0,1] neg_hi:[0,1]
.LBB161_954:                            ;   in Loop: Header=BB161_3 Depth=1
	s_or_b32 exec_lo, exec_lo, s10
	s_barrier_signal -1
	s_barrier_wait -1
	s_and_saveexec_b32 s10, s94
	s_cbranch_execz .LBB161_956
; %bb.955:                              ;   in Loop: Header=BB161_3 Depth=1
	ds_load_b64 v[40:41], v1 offset:2080
	s_wait_dscnt 0x0
	v_pk_mul_f32 v[42:43], v[38:39], v[40:41] op_sel:[1,1] op_sel_hi:[1,0]
	s_delay_alu instid0(VALU_DEP_1) | instskip(SKIP_1) | instid1(VALU_DEP_2)
	v_pk_fma_f32 v[44:45], v[38:39], v[40:41], v[42:43] op_sel_hi:[0,1,1]
	v_pk_fma_f32 v[38:39], v[38:39], v[40:41], v[42:43] neg_lo:[0,0,1] neg_hi:[0,0,1]
	v_mov_b32_e32 v39, v45
	s_delay_alu instid0(VALU_DEP_1)
	v_pk_add_f32 v[40:41], v[38:39], 0 neg_lo:[1,1] neg_hi:[1,1]
	ds_store_b64 v3, v[40:41]
.LBB161_956:                            ;   in Loop: Header=BB161_3 Depth=1
	s_or_b32 exec_lo, exec_lo, s10
	s_wait_dscnt 0x0
	s_barrier_signal -1
	s_barrier_wait -1
	s_barrier_signal -1
	s_barrier_wait -1
	s_and_saveexec_b32 s10, s3
; %bb.957:                              ;   in Loop: Header=BB161_3 Depth=1
	ds_store_b64 v50, v[38:39] offset:3616
; %bb.958:                              ;   in Loop: Header=BB161_3 Depth=1
	s_or_b32 exec_lo, exec_lo, s10
	s_wait_dscnt 0x0
	s_barrier_signal -1
	s_barrier_wait -1
	s_barrier_signal -1
	s_barrier_wait -1
	s_and_saveexec_b32 s10, s95
	s_cbranch_execz .LBB161_960
; %bb.959:                              ;   in Loop: Header=BB161_3 Depth=1
	ds_load_b64 v[38:39], v80 offset:3104
	s_wait_dscnt 0x0
	ds_store_b64 v78, v[38:39] offset:2096
	ds_load_b64 v[38:39], v80 offset:3112
	s_wait_dscnt 0x0
	ds_store_b64 v78, v[38:39] offset:2608
.LBB161_960:                            ;   in Loop: Header=BB161_3 Depth=1
	s_or_b32 exec_lo, exec_lo, s10
	s_wait_dscnt 0x0
	s_barrier_signal -1
	s_barrier_wait -1
	s_and_saveexec_b32 s10, s14
	s_cbranch_execz .LBB161_962
; %bb.961:                              ;   in Loop: Header=BB161_3 Depth=1
	v_add_nc_u32_e64 v0, 32, 0
	ds_load_b64 v[42:43], v1 offset:2600
	ds_load_2addr_stride64_b64 v[38:41], v0 offset0:4 offset1:5
	s_wait_dscnt 0x0
	v_dual_mul_f32 v44, v43, v39 :: v_dual_mul_f32 v0, v42, v39
	s_delay_alu instid0(VALU_DEP_1) | instskip(NEXT) | instid1(VALU_DEP_2)
	v_xor_b32_e32 v44, 0x80000000, v44
	v_fmac_f32_e32 v0, v43, v38
	s_delay_alu instid0(VALU_DEP_2) | instskip(NEXT) | instid1(VALU_DEP_2)
	v_fmac_f32_e32 v44, v42, v38
	v_pk_mul_f32 v[38:39], v[0:1], v[40:41] op_sel:[0,1] op_sel_hi:[0,0]
	v_add_nc_u32_e64 v0, 0x800, 0
	s_delay_alu instid0(VALU_DEP_2) | instskip(SKIP_1) | instid1(VALU_DEP_2)
	v_pk_fma_f32 v[42:43], v[44:45], v[40:41], v[38:39] op_sel_hi:[0,1,1]
	v_pk_fma_f32 v[38:39], v[44:45], v[40:41], v[38:39] neg_lo:[0,0,1] neg_hi:[0,0,1]
	v_mov_b32_e32 v39, v43
	ds_store_2addr_b64 v0, v[38:39], v[38:39] offset0:5 offset1:68
.LBB161_962:                            ;   in Loop: Header=BB161_3 Depth=1
	s_or_b32 exec_lo, exec_lo, s10
	v_mov_b64_e32 v[38:39], 0
	s_wait_dscnt 0x0
	s_barrier_signal -1
	s_barrier_wait -1
	global_wb scope:SCOPE_DEV
	s_wait_storecnt 0x0
	global_inv scope:SCOPE_DEV
	s_and_saveexec_b32 s16, s5
	s_cbranch_execz .LBB161_968
; %bb.963:                              ;   in Loop: Header=BB161_3 Depth=1
	ds_load_b64 v[38:39], v52 offset:2048
	ds_load_b64 v[40:41], v53 offset:3616
	s_wait_dscnt 0x0
	v_dual_mul_f32 v0, v41, v39 :: v_dual_mul_f32 v39, v40, v39
	s_delay_alu instid0(VALU_DEP_1) | instskip(NEXT) | instid1(VALU_DEP_1)
	v_dual_fma_f32 v0, v40, v38, -v0 :: v_dual_fmac_f32 v39, v41, v38
	v_dual_add_f32 v38, 0, v0 :: v_dual_add_f32 v39, 0, v39
	s_and_saveexec_b32 s10, s19
	s_cbranch_execnz .LBB161_1158
; %bb.964:                              ;   in Loop: Header=BB161_3 Depth=1
	s_or_b32 exec_lo, exec_lo, s10
	s_and_saveexec_b32 s10, s20
	s_cbranch_execnz .LBB161_1159
.LBB161_965:                            ;   in Loop: Header=BB161_3 Depth=1
	s_or_b32 exec_lo, exec_lo, s10
	s_and_saveexec_b32 s10, s3
	s_cbranch_execz .LBB161_967
.LBB161_966:                            ;   in Loop: Header=BB161_3 Depth=1
	ds_load_b64 v[40:41], v81 offset:3584
	ds_load_b64 v[42:43], v1 offset:3640
	s_wait_dscnt 0x0
	v_dual_mul_f32 v0, v43, v41 :: v_dual_mul_f32 v41, v42, v41
	s_delay_alu instid0(VALU_DEP_1) | instskip(NEXT) | instid1(VALU_DEP_1)
	v_dual_fma_f32 v0, v42, v40, -v0 :: v_dual_fmac_f32 v41, v43, v40
	v_dual_add_f32 v38, v38, v0 :: v_dual_add_f32 v39, v39, v41
.LBB161_967:                            ;   in Loop: Header=BB161_3 Depth=1
	s_or_b32 exec_lo, exec_lo, s10
.LBB161_968:                            ;   in Loop: Header=BB161_3 Depth=1
	s_delay_alu instid0(SALU_CYCLE_1)
	s_or_b32 exec_lo, exec_lo, s16
	s_and_saveexec_b32 s10, s96
	s_cbranch_execz .LBB161_970
; %bb.969:                              ;   in Loop: Header=BB161_3 Depth=1
	ds_load_b64 v[40:41], v1 offset:1560
	s_wait_dscnt 0x0
	v_dual_mul_f32 v0, v39, v40 :: v_dual_mul_f32 v42, v39, v41
	s_delay_alu instid0(VALU_DEP_1) | instskip(NEXT) | instid1(VALU_DEP_2)
	v_pk_fma_f32 v[44:45], v[38:39], v[40:41], v[0:1] op_sel:[1,0,0] op_sel_hi:[0,1,0]
	v_pk_fma_f32 v[38:39], v[38:39], v[40:41], v[42:43] op_sel_hi:[1,1,0] neg_lo:[0,0,1] neg_hi:[0,0,1]
	s_delay_alu instid0(VALU_DEP_2) | instskip(NEXT) | instid1(VALU_DEP_1)
	v_mov_b32_e32 v39, v45
	v_pk_add_f32 v[40:41], v[38:39], 0 neg_lo:[1,1] neg_hi:[1,1]
	ds_store_b64 v51, v[40:41]
.LBB161_970:                            ;   in Loop: Header=BB161_3 Depth=1
	s_or_b32 exec_lo, exec_lo, s10
	s_wait_loadcnt_dscnt 0x0
	s_barrier_signal -1
	s_barrier_wait -1
	s_and_saveexec_b32 s10, s97
	s_cbranch_execz .LBB161_972
; %bb.971:                              ;   in Loop: Header=BB161_3 Depth=1
	ds_load_b64 v[40:41], v52 offset:1536
	ds_load_b64 v[42:43], v51
	s_wait_dscnt 0x0
	v_pk_mul_f32 v[44:45], v[42:43], v[40:41] op_sel:[1,1] op_sel_hi:[0,1]
	s_delay_alu instid0(VALU_DEP_1) | instskip(SKIP_1) | instid1(VALU_DEP_2)
	v_pk_fma_f32 v[98:99], v[42:43], v[40:41], v[44:45] op_sel_hi:[1,0,1]
	v_pk_fma_f32 v[40:41], v[42:43], v[40:41], v[44:45] neg_lo:[0,0,1] neg_hi:[0,0,1]
	v_mov_b32_e32 v41, v99
	s_delay_alu instid0(VALU_DEP_1)
	v_pk_add_f32 v[38:39], v[38:39], v[40:41] neg_lo:[0,1] neg_hi:[0,1]
.LBB161_972:                            ;   in Loop: Header=BB161_3 Depth=1
	s_or_b32 exec_lo, exec_lo, s10
	s_barrier_signal -1
	s_barrier_wait -1
	s_and_saveexec_b32 s10, s98
	s_cbranch_execz .LBB161_974
; %bb.973:                              ;   in Loop: Header=BB161_3 Depth=1
	ds_load_b64 v[40:41], v1 offset:1040
	s_wait_dscnt 0x0
	v_pk_mul_f32 v[42:43], v[38:39], v[40:41] op_sel:[1,1] op_sel_hi:[1,0]
	s_delay_alu instid0(VALU_DEP_1) | instskip(SKIP_1) | instid1(VALU_DEP_2)
	v_pk_fma_f32 v[44:45], v[38:39], v[40:41], v[42:43] op_sel_hi:[0,1,1]
	v_pk_fma_f32 v[38:39], v[38:39], v[40:41], v[42:43] neg_lo:[0,0,1] neg_hi:[0,0,1]
	v_mov_b32_e32 v39, v45
	s_delay_alu instid0(VALU_DEP_1)
	v_pk_add_f32 v[40:41], v[38:39], 0 neg_lo:[1,1] neg_hi:[1,1]
	ds_store_b64 v51, v[40:41]
.LBB161_974:                            ;   in Loop: Header=BB161_3 Depth=1
	s_or_b32 exec_lo, exec_lo, s10
	s_wait_dscnt 0x0
	s_barrier_signal -1
	s_barrier_wait -1
	s_and_saveexec_b32 s10, s99
	s_cbranch_execz .LBB161_976
; %bb.975:                              ;   in Loop: Header=BB161_3 Depth=1
	ds_load_b64 v[40:41], v52 offset:1024
	ds_load_b64 v[42:43], v51
	s_wait_dscnt 0x0
	v_pk_mul_f32 v[44:45], v[42:43], v[40:41] op_sel:[1,1] op_sel_hi:[0,1]
	s_delay_alu instid0(VALU_DEP_1) | instskip(SKIP_1) | instid1(VALU_DEP_2)
	v_pk_fma_f32 v[98:99], v[42:43], v[40:41], v[44:45] op_sel_hi:[1,0,1]
	v_pk_fma_f32 v[40:41], v[42:43], v[40:41], v[44:45] neg_lo:[0,0,1] neg_hi:[0,0,1]
	v_mov_b32_e32 v41, v99
	s_delay_alu instid0(VALU_DEP_1)
	v_pk_add_f32 v[38:39], v[38:39], v[40:41] neg_lo:[0,1] neg_hi:[0,1]
.LBB161_976:                            ;   in Loop: Header=BB161_3 Depth=1
	s_or_b32 exec_lo, exec_lo, s10
	s_barrier_signal -1
	s_barrier_wait -1
	s_and_saveexec_b32 s10, s100
	s_cbranch_execz .LBB161_978
; %bb.977:                              ;   in Loop: Header=BB161_3 Depth=1
	ds_load_b64 v[40:41], v1 offset:520
	s_wait_dscnt 0x0
	v_pk_mul_f32 v[42:43], v[38:39], v[40:41] op_sel:[1,1] op_sel_hi:[1,0]
	s_delay_alu instid0(VALU_DEP_1) | instskip(SKIP_1) | instid1(VALU_DEP_2)
	v_pk_fma_f32 v[44:45], v[38:39], v[40:41], v[42:43] op_sel_hi:[0,1,1]
	v_pk_fma_f32 v[38:39], v[38:39], v[40:41], v[42:43] neg_lo:[0,0,1] neg_hi:[0,0,1]
	v_mov_b32_e32 v39, v45
	s_delay_alu instid0(VALU_DEP_1)
	v_pk_add_f32 v[40:41], v[38:39], 0 neg_lo:[1,1] neg_hi:[1,1]
	ds_store_b64 v51, v[40:41]
.LBB161_978:                            ;   in Loop: Header=BB161_3 Depth=1
	s_or_b32 exec_lo, exec_lo, s10
	s_wait_dscnt 0x0
	s_barrier_signal -1
	s_barrier_wait -1
	s_and_saveexec_b32 s10, s101
	s_cbranch_execz .LBB161_980
; %bb.979:                              ;   in Loop: Header=BB161_3 Depth=1
	ds_load_b64 v[40:41], v1 offset:512
	ds_load_b64 v[42:43], v51
	s_wait_dscnt 0x0
	v_pk_mul_f32 v[44:45], v[42:43], v[40:41] op_sel:[1,1] op_sel_hi:[0,1]
	s_delay_alu instid0(VALU_DEP_1) | instskip(SKIP_1) | instid1(VALU_DEP_2)
	v_pk_fma_f32 v[98:99], v[42:43], v[40:41], v[44:45] op_sel_hi:[1,0,1]
	v_pk_fma_f32 v[40:41], v[42:43], v[40:41], v[44:45] neg_lo:[0,0,1] neg_hi:[0,0,1]
	v_mov_b32_e32 v41, v99
	s_delay_alu instid0(VALU_DEP_1)
	v_pk_add_f32 v[38:39], v[38:39], v[40:41] neg_lo:[0,1] neg_hi:[0,1]
.LBB161_980:                            ;   in Loop: Header=BB161_3 Depth=1
	s_or_b32 exec_lo, exec_lo, s10
	s_barrier_signal -1
	s_barrier_wait -1
	s_and_saveexec_b32 s10, s101
	s_cbranch_execz .LBB161_982
; %bb.981:                              ;   in Loop: Header=BB161_3 Depth=1
	ds_load_b64 v[40:41], v1
	s_wait_dscnt 0x0
	v_pk_mul_f32 v[42:43], v[38:39], v[40:41] op_sel:[1,1] op_sel_hi:[1,0]
	s_delay_alu instid0(VALU_DEP_1) | instskip(SKIP_1) | instid1(VALU_DEP_2)
	v_pk_fma_f32 v[44:45], v[38:39], v[40:41], v[42:43] op_sel_hi:[0,1,1]
	v_pk_fma_f32 v[38:39], v[38:39], v[40:41], v[42:43] neg_lo:[0,0,1] neg_hi:[0,0,1]
	v_mov_b32_e32 v39, v45
	s_delay_alu instid0(VALU_DEP_1)
	v_pk_add_f32 v[40:41], v[38:39], 0 neg_lo:[1,1] neg_hi:[1,1]
	ds_store_b64 v51, v[40:41]
.LBB161_982:                            ;   in Loop: Header=BB161_3 Depth=1
	s_or_b32 exec_lo, exec_lo, s10
	s_wait_dscnt 0x0
	s_barrier_signal -1
	s_barrier_wait -1
	s_barrier_signal -1
	s_barrier_wait -1
	s_and_saveexec_b32 s10, s5
; %bb.983:                              ;   in Loop: Header=BB161_3 Depth=1
	ds_store_b64 v55, v[38:39] offset:3584
; %bb.984:                              ;   in Loop: Header=BB161_3 Depth=1
	s_or_b32 exec_lo, exec_lo, s10
	s_wait_dscnt 0x0
	s_barrier_signal -1
	s_barrier_wait -1
	s_barrier_signal -1
	s_barrier_wait -1
	s_and_saveexec_b32 s10, s102
	s_cbranch_execz .LBB161_986
; %bb.985:                              ;   in Loop: Header=BB161_3 Depth=1
	ds_load_b64 v[38:39], v82 offset:2048
	s_wait_dscnt 0x0
	ds_store_b64 v83, v[38:39] offset:32
	ds_load_b64 v[38:39], v82 offset:2056
	s_wait_dscnt 0x0
	ds_store_b64 v83, v[38:39] offset:544
	;; [unrolled: 3-line block ×4, first 2 shown]
.LBB161_986:                            ;   in Loop: Header=BB161_3 Depth=1
	s_or_b32 exec_lo, exec_lo, s10
	s_wait_dscnt 0x0
	s_barrier_signal -1
	s_barrier_wait -1
	s_and_saveexec_b32 s10, s14
	s_cbranch_execz .LBB161_988
; %bb.987:                              ;   in Loop: Header=BB161_3 Depth=1
	ds_load_2addr_b64 v[38:41], v1 offset0:130 offset1:194
	ds_load_b64 v[42:43], v1 offset:1560
	s_wait_dscnt 0x0
	v_dual_mul_f32 v44, v43, v39 :: v_dual_mul_f32 v0, v42, v39
	s_delay_alu instid0(VALU_DEP_1) | instskip(NEXT) | instid1(VALU_DEP_2)
	v_xor_b32_e32 v44, 0x80000000, v44
	v_fmac_f32_e32 v0, v43, v38
	s_delay_alu instid0(VALU_DEP_2) | instskip(NEXT) | instid1(VALU_DEP_2)
	v_fmac_f32_e32 v44, v42, v38
	v_pk_mul_f32 v[38:39], v[0:1], v[40:41] op_sel:[0,1] op_sel_hi:[0,0]
	s_delay_alu instid0(VALU_DEP_1) | instskip(SKIP_1) | instid1(VALU_DEP_2)
	v_pk_fma_f32 v[42:43], v[44:45], v[40:41], v[38:39] op_sel_hi:[0,1,1]
	v_pk_fma_f32 v[38:39], v[44:45], v[40:41], v[38:39] neg_lo:[0,0,1] neg_hi:[0,0,1]
	v_mov_b32_e32 v39, v43
	ds_store_2addr_b64 v1, v[38:39], v[38:39] offset0:131 offset1:194
.LBB161_988:                            ;   in Loop: Header=BB161_3 Depth=1
	s_or_b32 exec_lo, exec_lo, s10
	v_dual_mov_b32 v38, 0 :: v_dual_mov_b32 v39, 0
	s_wait_dscnt 0x0
	s_barrier_signal -1
	s_barrier_wait -1
	global_wb scope:SCOPE_DEV
	s_wait_storecnt 0x0
	global_inv scope:SCOPE_DEV
	s_and_saveexec_b32 s16, s3
	s_cbranch_execz .LBB161_992
; %bb.989:                              ;   in Loop: Header=BB161_3 Depth=1
	ds_load_b64 v[38:39], v48 offset:1024
	ds_load_b64 v[40:41], v49 offset:1552
	s_wait_dscnt 0x0
	v_pk_mul_f32 v[42:43], v[40:41], v[38:39] op_sel:[1,1] op_sel_hi:[0,1]
	s_delay_alu instid0(VALU_DEP_1) | instskip(SKIP_1) | instid1(VALU_DEP_2)
	v_pk_fma_f32 v[44:45], v[40:41], v[38:39], v[42:43] op_sel_hi:[1,0,1]
	v_pk_fma_f32 v[38:39], v[40:41], v[38:39], v[42:43] neg_lo:[0,0,1] neg_hi:[0,0,1]
	v_mov_b32_e32 v39, v45
	s_delay_alu instid0(VALU_DEP_1)
	v_pk_add_f32 v[38:39], v[38:39], 0 op_sel_hi:[1,0]
	s_and_saveexec_b32 s10, s18
	s_cbranch_execz .LBB161_991
; %bb.990:                              ;   in Loop: Header=BB161_3 Depth=1
	ds_load_b64 v[40:41], v83 offset:1536
	ds_load_b64 v[42:43], v1 offset:1560
	s_wait_dscnt 0x0
	v_pk_mul_f32 v[44:45], v[42:43], v[40:41] op_sel:[1,1] op_sel_hi:[0,1]
	s_delay_alu instid0(VALU_DEP_1) | instskip(SKIP_1) | instid1(VALU_DEP_2)
	v_pk_fma_f32 v[98:99], v[42:43], v[40:41], v[44:45] op_sel_hi:[1,0,1]
	v_pk_fma_f32 v[40:41], v[42:43], v[40:41], v[44:45] neg_lo:[0,0,1] neg_hi:[0,0,1]
	v_mov_b32_e32 v41, v99
	s_delay_alu instid0(VALU_DEP_1)
	v_pk_add_f32 v[38:39], v[38:39], v[40:41]
.LBB161_991:                            ;   in Loop: Header=BB161_3 Depth=1
	s_or_b32 exec_lo, exec_lo, s10
.LBB161_992:                            ;   in Loop: Header=BB161_3 Depth=1
	s_delay_alu instid0(SALU_CYCLE_1)
	s_or_b32 exec_lo, exec_lo, s16
	s_and_saveexec_b32 s10, s93
	s_cbranch_execz .LBB161_994
; %bb.993:                              ;   in Loop: Header=BB161_3 Depth=1
	ds_load_b64 v[40:41], v1 offset:520
	s_wait_dscnt 0x0
	v_pk_mul_f32 v[42:43], v[38:39], v[40:41] op_sel:[1,1] op_sel_hi:[1,0]
	s_delay_alu instid0(VALU_DEP_1) | instskip(SKIP_1) | instid1(VALU_DEP_2)
	v_pk_fma_f32 v[44:45], v[38:39], v[40:41], v[42:43] op_sel_hi:[0,1,1]
	v_pk_fma_f32 v[38:39], v[38:39], v[40:41], v[42:43] neg_lo:[0,0,1] neg_hi:[0,0,1]
	v_mov_b32_e32 v39, v45
	s_delay_alu instid0(VALU_DEP_1)
	v_pk_add_f32 v[40:41], v[38:39], 0 neg_lo:[1,1] neg_hi:[1,1]
	ds_store_b64 v3, v[40:41]
.LBB161_994:                            ;   in Loop: Header=BB161_3 Depth=1
	s_or_b32 exec_lo, exec_lo, s10
	s_wait_loadcnt_dscnt 0x0
	s_barrier_signal -1
	s_barrier_wait -1
	s_and_saveexec_b32 s10, s94
	s_cbranch_execz .LBB161_996
; %bb.995:                              ;   in Loop: Header=BB161_3 Depth=1
	ds_load_b64 v[40:41], v1 offset:512
	ds_load_b64 v[42:43], v3
	s_wait_dscnt 0x0
	v_pk_mul_f32 v[44:45], v[42:43], v[40:41] op_sel:[1,1] op_sel_hi:[0,1]
	s_delay_alu instid0(VALU_DEP_1) | instskip(SKIP_1) | instid1(VALU_DEP_2)
	v_pk_fma_f32 v[98:99], v[42:43], v[40:41], v[44:45] op_sel_hi:[1,0,1]
	v_pk_fma_f32 v[40:41], v[42:43], v[40:41], v[44:45] neg_lo:[0,0,1] neg_hi:[0,0,1]
	v_mov_b32_e32 v41, v99
	s_delay_alu instid0(VALU_DEP_1)
	v_pk_add_f32 v[38:39], v[38:39], v[40:41] neg_lo:[0,1] neg_hi:[0,1]
.LBB161_996:                            ;   in Loop: Header=BB161_3 Depth=1
	s_or_b32 exec_lo, exec_lo, s10
	s_barrier_signal -1
	s_barrier_wait -1
	s_and_saveexec_b32 s10, s94
	s_cbranch_execz .LBB161_998
; %bb.997:                              ;   in Loop: Header=BB161_3 Depth=1
	ds_load_b64 v[40:41], v1
	s_wait_dscnt 0x0
	v_pk_mul_f32 v[42:43], v[38:39], v[40:41] op_sel:[1,1] op_sel_hi:[1,0]
	s_delay_alu instid0(VALU_DEP_1) | instskip(SKIP_1) | instid1(VALU_DEP_2)
	v_pk_fma_f32 v[44:45], v[38:39], v[40:41], v[42:43] op_sel_hi:[0,1,1]
	v_pk_fma_f32 v[38:39], v[38:39], v[40:41], v[42:43] neg_lo:[0,0,1] neg_hi:[0,0,1]
	v_mov_b32_e32 v39, v45
	s_delay_alu instid0(VALU_DEP_1)
	v_pk_add_f32 v[40:41], v[38:39], 0 neg_lo:[1,1] neg_hi:[1,1]
	ds_store_b64 v3, v[40:41]
.LBB161_998:                            ;   in Loop: Header=BB161_3 Depth=1
	s_or_b32 exec_lo, exec_lo, s10
	s_wait_dscnt 0x0
	s_barrier_signal -1
	s_barrier_wait -1
	s_barrier_signal -1
	s_barrier_wait -1
	s_and_saveexec_b32 s10, s3
; %bb.999:                              ;   in Loop: Header=BB161_3 Depth=1
	ds_store_b64 v50, v[38:39] offset:1536
; %bb.1000:                             ;   in Loop: Header=BB161_3 Depth=1
	s_or_b32 exec_lo, exec_lo, s10
	s_wait_dscnt 0x0
	s_barrier_signal -1
	s_barrier_wait -1
	s_barrier_signal -1
	s_barrier_wait -1
	s_and_saveexec_b32 s10, s95
	s_cbranch_execz .LBB161_1002
; %bb.1001:                             ;   in Loop: Header=BB161_3 Depth=1
	ds_load_b64 v[38:39], v85 offset:1024
	s_wait_dscnt 0x0
	ds_store_b64 v83, v[38:39] offset:16
	ds_load_b64 v[38:39], v85 offset:1032
	s_wait_dscnt 0x0
	ds_store_b64 v83, v[38:39] offset:528
.LBB161_1002:                           ;   in Loop: Header=BB161_3 Depth=1
	s_or_b32 exec_lo, exec_lo, s10
	s_wait_dscnt 0x0
	s_barrier_signal -1
	s_barrier_wait -1
	s_and_saveexec_b32 s10, s14
	s_cbranch_execz .LBB161_1004
; %bb.1003:                             ;   in Loop: Header=BB161_3 Depth=1
	ds_load_2addr_stride64_b64 v[38:41], v1 offset1:1
	ds_load_b64 v[42:43], v1 offset:520
	s_wait_dscnt 0x0
	v_dual_mul_f32 v44, v43, v39 :: v_dual_mul_f32 v0, v42, v39
	s_delay_alu instid0(VALU_DEP_1) | instskip(NEXT) | instid1(VALU_DEP_2)
	v_xor_b32_e32 v44, 0x80000000, v44
	v_fmac_f32_e32 v0, v43, v38
	s_delay_alu instid0(VALU_DEP_2) | instskip(NEXT) | instid1(VALU_DEP_2)
	v_fmac_f32_e32 v44, v42, v38
	v_pk_mul_f32 v[38:39], v[0:1], v[40:41] op_sel:[0,1] op_sel_hi:[0,0]
	s_delay_alu instid0(VALU_DEP_1) | instskip(SKIP_1) | instid1(VALU_DEP_2)
	v_pk_fma_f32 v[42:43], v[44:45], v[40:41], v[38:39] op_sel_hi:[0,1,1]
	v_pk_fma_f32 v[38:39], v[44:45], v[40:41], v[38:39] neg_lo:[0,0,1] neg_hi:[0,0,1]
	v_mov_b32_e32 v39, v43
	ds_store_2addr_b64 v1, v[38:39], v[38:39] offset0:1 offset1:64
.LBB161_1004:                           ;   in Loop: Header=BB161_3 Depth=1
	s_or_b32 exec_lo, exec_lo, s10
.LBB161_1005:                           ;   in Loop: Header=BB161_3 Depth=1
	v_add_nc_u64_e32 v[36:37], s[74:75], v[36:37]
	v_mov_b64_e32 v[38:39], 0
	s_wait_dscnt 0x0
	s_barrier_signal -1
	s_barrier_wait -1
	s_wait_xcnt 0x0
	s_and_saveexec_b32 s10, s55
	s_cbranch_execz .LBB161_1007
; %bb.1006:                             ;   in Loop: Header=BB161_3 Depth=1
	v_lshl_add_u64 v[38:39], v[10:11], 3, v[36:37]
	v_readlane_b32 s86, v106, 22
	v_readlane_b32 s87, v106, 23
	flat_load_b64 v[38:39], v[38:39]
	v_mov_b64_e32 v[40:41], s[86:87]
	v_readlane_b32 s86, v106, 24
	v_readlane_b32 s87, v106, 25
	s_delay_alu instid0(VALU_DEP_1) | instskip(SKIP_1) | instid1(VALU_DEP_4)
	v_mov_b64_e32 v[42:43], s[86:87]
	s_wait_loadcnt_dscnt 0x0
	v_pk_mul_f32 v[40:41], v[40:41], v[38:39]
	s_delay_alu instid0(VALU_DEP_1)
	v_pk_fma_f32 v[38:39], v[42:43], v[38:39], v[40:41] op_sel:[0,0,1] op_sel_hi:[1,1,0] neg_lo:[1,0,0] neg_hi:[1,0,0]
.LBB161_1007:                           ;   in Loop: Header=BB161_3 Depth=1
	s_or_b32 exec_lo, exec_lo, s10
	s_delay_alu instid0(SALU_CYCLE_1)
	s_and_not1_b32 vcc_lo, exec_lo, s56
	s_cbranch_vccnz .LBB161_1026
; %bb.1008:                             ;   in Loop: Header=BB161_3 Depth=1
	v_mov_b32_e32 v42, -1
	s_lshl_b64 s[86:87], s[76:77], 2
	s_mov_b32 s16, 0
	s_add_nc_u64 s[86:87], s[82:83], s[86:87]
	s_branch .LBB161_1010
.LBB161_1009:                           ;   in Loop: Header=BB161_1010 Depth=2
	s_or_b32 exec_lo, exec_lo, s10
	s_add_co_i32 s16, s16, 1
	s_delay_alu instid0(SALU_CYCLE_1)
	s_cmp_eq_u32 s16, s89
	s_cbranch_scc1 .LBB161_1026
.LBB161_1010:                           ;   Parent Loop BB161_3 Depth=1
                                        ; =>  This Loop Header: Depth=2
                                        ;       Child Loop BB161_1012 Depth 3
	v_cmp_gt_i32_e32 vcc_lo, s16, v42
	s_and_b32 s66, s39, vcc_lo
	s_delay_alu instid0(SALU_CYCLE_1)
	s_and_saveexec_b32 s10, s66
	s_cbranch_execz .LBB161_1013
; %bb.1011:                             ;   in Loop: Header=BB161_1010 Depth=2
	global_load_b32 v42, v1, s[86:87]
	s_wait_loadcnt 0x0
	v_cmp_le_i32_e32 vcc_lo, s16, v42
	s_cbranch_vccnz .LBB161_1013
.LBB161_1012:                           ;   Parent Loop BB161_3 Depth=1
                                        ;     Parent Loop BB161_1010 Depth=2
                                        ; =>    This Inner Loop Header: Depth=3
	global_wb scope:SCOPE_DEV
	s_wait_storecnt 0x0
	global_inv scope:SCOPE_DEV
	global_load_b32 v42, v1, s[86:87]
	s_wait_loadcnt 0x0
	v_cmp_gt_i32_e32 vcc_lo, s16, v42
	s_cbranch_vccnz .LBB161_1012
.LBB161_1013:                           ;   in Loop: Header=BB161_1010 Depth=2
	s_or_b32 exec_lo, exec_lo, s10
	s_lshl_b32 s66, s16, 6
	global_wb scope:SCOPE_DEV
	s_wait_storecnt 0x0
	global_inv scope:SCOPE_DEV
	s_wait_loadcnt 0x0
	s_barrier_signal -1
	s_barrier_wait -1
	s_and_saveexec_b32 s10, s40
	s_cbranch_execz .LBB161_1018
; %bb.1014:                             ;   in Loop: Header=BB161_1010 Depth=2
	v_or_b32_e32 v0, s66, v4
	s_delay_alu instid0(VALU_DEP_1) | instskip(SKIP_1) | instid1(SALU_CYCLE_1)
	v_cmp_le_i32_e32 vcc_lo, s88, v0
	s_and_saveexec_b32 s11, vcc_lo
	s_xor_b32 vcc_lo, exec_lo, s11
; %bb.1015:                             ;   in Loop: Header=BB161_1010 Depth=2
	ds_store_b64 v89, v[30:31]
; %bb.1016:                             ;   in Loop: Header=BB161_1010 Depth=2
	s_and_not1_saveexec_b32 s11, vcc_lo
	s_cbranch_execz .LBB161_1018
; %bb.1017:                             ;   in Loop: Header=BB161_1010 Depth=2
	v_mul_u64_e32 v[40:41], s[80:81], v[0:1]
	s_delay_alu instid0(VALU_DEP_1)
	v_lshl_add_u64 v[40:41], v[40:41], 3, v[36:37]
	flat_load_b64 v[40:41], v[40:41]
	s_wait_loadcnt_dscnt 0x0
	ds_store_b64 v89, v[40:41]
.LBB161_1018:                           ;   in Loop: Header=BB161_1010 Depth=2
	s_or_b32 exec_lo, exec_lo, s10
	v_add_nc_u32_e32 v0, s66, v46
	s_wait_dscnt 0x0
	v_cmp_eq_u32_e32 vcc_lo, s16, v47
	s_barrier_signal -1
	s_barrier_wait -1
	v_cmp_gt_i32_e64 s66, s88, v0
	v_lshl_add_u64 v[40:41], v[0:1], 3, v[34:35]
	s_and_b32 s11, s66, s2
	s_delay_alu instid0(SALU_CYCLE_1)
	s_and_saveexec_b32 s10, s11
	s_cbranch_execz .LBB161_1020
; %bb.1019:                             ;   in Loop: Header=BB161_1010 Depth=2
	s_delay_alu instid0(VALU_DEP_1) | instskip(SKIP_4) | instid1(VALU_DEP_1)
	v_dual_cndmask_b32 v45, v41, v23 :: v_dual_cndmask_b32 v44, v40, v22
	ds_load_b64 v[98:99], v87
	flat_load_b64 v[44:45], v[44:45]
	s_wait_loadcnt_dscnt 0x0
	v_dual_mul_f32 v43, v99, v45 :: v_dual_mul_f32 v45, v98, v45
	v_dual_fma_f32 v43, v98, v44, -v43 :: v_dual_fmac_f32 v45, v99, v44
	s_delay_alu instid0(VALU_DEP_1)
	v_dual_add_f32 v38, v38, v43 :: v_dual_add_f32 v39, v39, v45
.LBB161_1020:                           ;   in Loop: Header=BB161_1010 Depth=2
	s_or_b32 exec_lo, exec_lo, s10
	v_add_nc_u32_e32 v43, 16, v0
	s_delay_alu instid0(VALU_DEP_1) | instskip(SKIP_1) | instid1(SALU_CYCLE_1)
	v_cmp_gt_i32_e64 s66, s88, v43
	s_and_b32 s11, s66, s2
	s_and_saveexec_b32 s10, s11
	s_cbranch_execz .LBB161_1022
; %bb.1021:                             ;   in Loop: Header=BB161_1010 Depth=2
	v_add_nc_u64_e32 v[44:45], 0x80, v[40:41]
	ds_load_b64 v[98:99], v87 offset:128
	v_dual_cndmask_b32 v45, v45, v25 :: v_dual_cndmask_b32 v44, v44, v24
	flat_load_b64 v[44:45], v[44:45]
	s_wait_loadcnt_dscnt 0x0
	v_dual_mul_f32 v43, v99, v45 :: v_dual_mul_f32 v45, v98, v45
	s_delay_alu instid0(VALU_DEP_1) | instskip(NEXT) | instid1(VALU_DEP_1)
	v_dual_fma_f32 v43, v98, v44, -v43 :: v_dual_fmac_f32 v45, v99, v44
	v_dual_add_f32 v38, v38, v43 :: v_dual_add_f32 v39, v39, v45
.LBB161_1022:                           ;   in Loop: Header=BB161_1010 Depth=2
	s_or_b32 exec_lo, exec_lo, s10
	v_add_nc_u32_e32 v43, 32, v0
	s_delay_alu instid0(VALU_DEP_1) | instskip(SKIP_1) | instid1(SALU_CYCLE_1)
	v_cmp_gt_i32_e64 s66, s88, v43
	s_and_b32 s11, s66, s2
	s_and_saveexec_b32 s10, s11
	s_cbranch_execz .LBB161_1024
; %bb.1023:                             ;   in Loop: Header=BB161_1010 Depth=2
	v_add_nc_u64_e32 v[44:45], 0x100, v[40:41]
	ds_load_b64 v[98:99], v87 offset:256
	v_dual_cndmask_b32 v45, v45, v27 :: v_dual_cndmask_b32 v44, v44, v26
	flat_load_b64 v[44:45], v[44:45]
	s_wait_loadcnt_dscnt 0x0
	v_dual_mul_f32 v43, v99, v45 :: v_dual_mul_f32 v101, v98, v45
	s_delay_alu instid0(VALU_DEP_1) | instskip(NEXT) | instid1(VALU_DEP_1)
	v_dual_fma_f32 v100, v98, v44, -v43 :: v_dual_fmac_f32 v101, v99, v44
	v_pk_add_f32 v[38:39], v[38:39], v[100:101]
.LBB161_1024:                           ;   in Loop: Header=BB161_1010 Depth=2
	s_or_b32 exec_lo, exec_lo, s10
	v_add_nc_u32_e32 v0, 48, v0
	s_delay_alu instid0(VALU_DEP_1) | instskip(SKIP_1) | instid1(SALU_CYCLE_1)
	v_cmp_gt_i32_e64 s66, s88, v0
	s_and_b32 s11, s66, s2
	s_and_saveexec_b32 s10, s11
	s_cbranch_execz .LBB161_1009
; %bb.1025:                             ;   in Loop: Header=BB161_1010 Depth=2
	v_add_nc_u64_e32 v[40:41], 0x180, v[40:41]
	ds_load_b64 v[44:45], v87 offset:384
	v_dual_cndmask_b32 v41, v41, v33 :: v_dual_cndmask_b32 v40, v40, v32
	flat_load_b64 v[40:41], v[40:41]
	s_wait_loadcnt_dscnt 0x0
	v_pk_mul_f32 v[98:99], v[44:45], v[40:41] op_sel:[1,1] op_sel_hi:[0,1]
	s_delay_alu instid0(VALU_DEP_1) | instskip(SKIP_1) | instid1(VALU_DEP_2)
	v_pk_fma_f32 v[100:101], v[44:45], v[40:41], v[98:99] op_sel_hi:[1,0,1]
	v_pk_fma_f32 v[40:41], v[44:45], v[40:41], v[98:99] neg_lo:[0,0,1] neg_hi:[0,0,1]
	v_mov_b32_e32 v41, v101
	s_delay_alu instid0(VALU_DEP_1)
	v_pk_add_f32 v[38:39], v[38:39], v[40:41]
	s_branch .LBB161_1009
.LBB161_1026:                           ;   in Loop: Header=BB161_3 Depth=1
	ds_store_b64 v90, v[38:39]
	s_wait_dscnt 0x0
	s_barrier_signal -1
	s_barrier_wait -1
	s_and_saveexec_b32 s16, s4
	s_cbranch_execz .LBB161_1028
; %bb.1027:                             ;   in Loop: Header=BB161_3 Depth=1
	ds_load_2addr_stride64_b64 v[40:43], v91 offset0:1 offset1:2
	ds_load_2addr_stride64_b64 v[98:101], v91 offset0:3 offset1:4
	;; [unrolled: 1-line block ×3, first 2 shown]
	s_wait_dscnt 0x2
	v_pk_add_f32 v[34:35], v[38:39], v[40:41]
	ds_load_2addr_stride64_b64 v[38:41], v91 offset0:7 offset1:8
	v_pk_add_f32 v[34:35], v[34:35], v[42:43]
	ds_load_2addr_stride64_b64 v[42:45], v91 offset0:9 offset1:10
	s_wait_dscnt 0x3
	v_pk_add_f32 v[34:35], v[34:35], v[98:99]
	s_delay_alu instid0(VALU_DEP_1) | instskip(SKIP_3) | instid1(VALU_DEP_1)
	v_pk_add_f32 v[34:35], v[34:35], v[100:101]
	ds_load_2addr_stride64_b64 v[98:101], v91 offset0:11 offset1:12
	s_wait_dscnt 0x3
	v_pk_add_f32 v[34:35], v[34:35], v[102:103]
	v_pk_add_f32 v[34:35], v[34:35], v[104:105]
	s_wait_dscnt 0x2
	s_delay_alu instid0(VALU_DEP_1) | instskip(NEXT) | instid1(VALU_DEP_1)
	v_pk_add_f32 v[34:35], v[34:35], v[38:39]
	v_pk_add_f32 v[34:35], v[34:35], v[40:41]
	ds_load_2addr_stride64_b64 v[38:41], v91 offset0:13 offset1:14
	s_wait_dscnt 0x2
	v_pk_add_f32 v[34:35], v[34:35], v[42:43]
	ds_load_b64 v[42:43], v91 offset:7680
	v_pk_add_f32 v[34:35], v[34:35], v[44:45]
	s_wait_dscnt 0x2
	s_delay_alu instid0(VALU_DEP_1) | instskip(NEXT) | instid1(VALU_DEP_1)
	v_pk_add_f32 v[34:35], v[34:35], v[98:99]
	v_pk_add_f32 v[34:35], v[34:35], v[100:101]
	s_wait_dscnt 0x1
	s_delay_alu instid0(VALU_DEP_1) | instskip(NEXT) | instid1(VALU_DEP_1)
	v_pk_add_f32 v[34:35], v[34:35], v[38:39]
	;; [unrolled: 4-line block ×3, first 2 shown]
	v_cndmask_b32_e64 v39, -v35, 0, s54
	s_delay_alu instid0(VALU_DEP_2)
	v_cndmask_b32_e64 v38, -v34, 0, s54
.LBB161_1028:                           ;   in Loop: Header=BB161_3 Depth=1
	s_or_b32 exec_lo, exec_lo, s16
	s_delay_alu instid0(SALU_CYCLE_1)
	s_and_not1_b32 vcc_lo, exec_lo, s92
	s_cbranch_vccnz .LBB161_1038
; %bb.1029:                             ;   in Loop: Header=BB161_3 Depth=1
	s_and_saveexec_b32 s10, s4
; %bb.1030:                             ;   in Loop: Header=BB161_3 Depth=1
	ds_store_b64 v93, v[38:39]
; %bb.1031:                             ;   in Loop: Header=BB161_3 Depth=1
	s_or_b32 exec_lo, exec_lo, s10
	v_mov_b64_e32 v[34:35], 0
	s_wait_dscnt 0x0
	s_barrier_signal -1
	s_barrier_wait -1
	s_and_saveexec_b32 s10, s0
	s_cbranch_execnz .LBB161_1101
; %bb.1032:                             ;   in Loop: Header=BB161_3 Depth=1
	s_or_b32 exec_lo, exec_lo, s10
	s_and_saveexec_b32 s10, s1
	s_cbranch_execnz .LBB161_1102
.LBB161_1033:                           ;   in Loop: Header=BB161_3 Depth=1
	s_or_b32 exec_lo, exec_lo, s10
	s_and_saveexec_b32 s10, s8
	s_cbranch_execnz .LBB161_1103
.LBB161_1034:                           ;   in Loop: Header=BB161_3 Depth=1
	s_or_b32 exec_lo, exec_lo, s10
	s_and_saveexec_b32 s10, s9
	s_cbranch_execz .LBB161_1036
.LBB161_1035:                           ;   in Loop: Header=BB161_3 Depth=1
	ds_load_b64 v[40:41], v92 offset:24576
	ds_load_b64 v[42:43], v87 offset:384
	s_wait_dscnt 0x0
	v_pk_mul_f32 v[44:45], v[42:43], v[40:41] op_sel:[1,1] op_sel_hi:[0,1]
	s_delay_alu instid0(VALU_DEP_1) | instskip(SKIP_1) | instid1(VALU_DEP_2)
	v_pk_fma_f32 v[98:99], v[42:43], v[40:41], v[44:45] op_sel_hi:[1,0,1]
	v_pk_fma_f32 v[40:41], v[42:43], v[40:41], v[44:45] neg_lo:[0,0,1] neg_hi:[0,0,1]
	v_mov_b32_e32 v41, v99
	s_delay_alu instid0(VALU_DEP_1)
	v_pk_add_f32 v[34:35], v[34:35], v[40:41]
.LBB161_1036:                           ;   in Loop: Header=BB161_3 Depth=1
	s_or_b32 exec_lo, exec_lo, s10
	s_mov_b32 s16, 0
	s_mov_b32 s66, 0
	ds_store_b64 v90, v[34:35]
	s_wait_dscnt 0x0
	s_barrier_signal -1
	s_barrier_wait -1
                                        ; implicit-def: $vgpr40_vgpr41
	s_and_saveexec_b32 s86, s4
	s_cbranch_execz .LBB161_1104
; %bb.1037:                             ;   in Loop: Header=BB161_3 Depth=1
	ds_load_2addr_stride64_b64 v[40:43], v91 offset0:1 offset1:2
	ds_load_2addr_stride64_b64 v[98:101], v91 offset0:3 offset1:4
	;; [unrolled: 1-line block ×3, first 2 shown]
	ds_load_b64 v[44:45], v91 offset:7680
	s_mov_b32 s66, exec_lo
	s_wait_dscnt 0x3
	v_pk_add_f32 v[34:35], v[34:35], v[40:41]
	s_delay_alu instid0(VALU_DEP_1) | instskip(SKIP_3) | instid1(VALU_DEP_1)
	v_pk_add_f32 v[34:35], v[34:35], v[42:43]
	ds_load_2addr_stride64_b64 v[40:43], v91 offset0:7 offset1:8
	s_wait_dscnt 0x3
	v_pk_add_f32 v[34:35], v[34:35], v[98:99]
	v_pk_add_f32 v[34:35], v[34:35], v[100:101]
	ds_load_2addr_stride64_b64 v[98:101], v91 offset0:9 offset1:10
	s_wait_dscnt 0x3
	v_pk_add_f32 v[34:35], v[34:35], v[102:103]
	s_delay_alu instid0(VALU_DEP_1) | instskip(SKIP_3) | instid1(VALU_DEP_1)
	v_pk_add_f32 v[34:35], v[34:35], v[104:105]
	ds_load_2addr_stride64_b64 v[102:105], v91 offset0:11 offset1:12
	s_wait_dscnt 0x2
	v_pk_add_f32 v[34:35], v[34:35], v[40:41]
	v_pk_add_f32 v[34:35], v[34:35], v[42:43]
	ds_load_2addr_stride64_b64 v[40:43], v91 offset0:13 offset1:14
	s_wait_dscnt 0x2
	v_pk_add_f32 v[34:35], v[34:35], v[98:99]
	s_delay_alu instid0(VALU_DEP_1) | instskip(SKIP_1) | instid1(VALU_DEP_1)
	v_pk_add_f32 v[34:35], v[34:35], v[100:101]
	s_wait_dscnt 0x1
	v_pk_add_f32 v[34:35], v[34:35], v[102:103]
	s_delay_alu instid0(VALU_DEP_1) | instskip(SKIP_1) | instid1(VALU_DEP_1)
	v_pk_add_f32 v[34:35], v[34:35], v[104:105]
	s_wait_dscnt 0x0
	v_pk_add_f32 v[34:35], v[34:35], v[40:41]
	s_delay_alu instid0(VALU_DEP_1) | instskip(NEXT) | instid1(VALU_DEP_1)
	v_pk_add_f32 v[34:35], v[34:35], v[42:43]
	v_pk_add_f32 v[40:41], v[34:35], v[44:45]
	s_or_b32 exec_lo, exec_lo, s86
	s_delay_alu instid0(SALU_CYCLE_1)
	s_and_b32 vcc_lo, exec_lo, s16
	s_cbranch_vccnz .LBB161_1039
	s_branch .LBB161_1105
.LBB161_1038:                           ;   in Loop: Header=BB161_3 Depth=1
	s_mov_b32 s66, 0
                                        ; implicit-def: $vgpr40_vgpr41
	s_cbranch_execz .LBB161_1105
.LBB161_1039:                           ;   in Loop: Header=BB161_3 Depth=1
	v_dual_mov_b32 v0, v2 :: v_dual_mov_b32 v34, v86
	s_mov_b32 s16, 0
	s_branch .LBB161_1041
.LBB161_1040:                           ;   in Loop: Header=BB161_1041 Depth=2
	s_or_b32 exec_lo, exec_lo, s10
	v_add_nc_u32_e32 v34, 0x400, v34
	v_add_nc_u32_e32 v0, -2, v0
	s_add_co_i32 s16, s16, 2
	s_delay_alu instid0(SALU_CYCLE_1)
	s_cmp_lg_u32 s16, 64
	s_barrier_signal -1
	s_barrier_wait -1
	s_cbranch_scc0 .LBB161_1049
.LBB161_1041:                           ;   Parent Loop BB161_3 Depth=1
                                        ; =>  This Inner Loop Header: Depth=2
	s_delay_alu instid0(VALU_DEP_1) | instskip(SKIP_2) | instid1(SALU_CYCLE_1)
	v_cmp_eq_u32_e32 vcc_lo, 0, v0
	v_add_nc_u32_e32 v35, v85, v69
	s_and_b32 s11, s4, vcc_lo
	s_and_saveexec_b32 s10, s11
	s_cbranch_execz .LBB161_1043
; %bb.1042:                             ;   in Loop: Header=BB161_1041 Depth=2
	ds_load_b64 v[40:41], v35
	s_wait_dscnt 0x0
	v_pk_mul_f32 v[42:43], v[38:39], v[40:41] op_sel:[1,1] op_sel_hi:[1,0]
	s_delay_alu instid0(VALU_DEP_1) | instskip(SKIP_1) | instid1(VALU_DEP_2)
	v_pk_fma_f32 v[44:45], v[38:39], v[40:41], v[42:43] op_sel_hi:[0,1,1]
	v_pk_fma_f32 v[40:41], v[38:39], v[40:41], v[42:43] neg_lo:[0,0,1] neg_hi:[0,0,1]
	v_mov_b32_e32 v41, v45
	s_delay_alu instid0(VALU_DEP_1)
	v_mov_b64_e32 v[38:39], v[40:41]
	ds_store_b64 v1, v[40:41] offset:41472
.LBB161_1043:                           ;   in Loop: Header=BB161_1041 Depth=2
	s_or_b32 exec_lo, exec_lo, s10
	v_cmp_lt_u32_e32 vcc_lo, s16, v2
	s_wait_dscnt 0x0
	s_barrier_signal -1
	s_barrier_wait -1
	s_and_b32 s11, s4, vcc_lo
	s_delay_alu instid0(SALU_CYCLE_1)
	s_and_saveexec_b32 s10, s11
	s_cbranch_execz .LBB161_1045
; %bb.1044:                             ;   in Loop: Header=BB161_1041 Depth=2
	ds_load_b64 v[40:41], v34
	ds_load_b64 v[42:43], v1 offset:41472
	s_wait_dscnt 0x0
	v_pk_mul_f32 v[44:45], v[42:43], v[40:41] op_sel:[1,1] op_sel_hi:[0,1]
	s_delay_alu instid0(VALU_DEP_1) | instskip(SKIP_1) | instid1(VALU_DEP_2)
	v_pk_fma_f32 v[98:99], v[42:43], v[40:41], v[44:45] op_sel_hi:[1,0,1]
	v_pk_fma_f32 v[40:41], v[42:43], v[40:41], v[44:45] neg_lo:[0,0,1] neg_hi:[0,0,1]
	v_mov_b32_e32 v41, v99
	s_delay_alu instid0(VALU_DEP_1)
	v_pk_add_f32 v[38:39], v[38:39], v[40:41]
.LBB161_1045:                           ;   in Loop: Header=BB161_1041 Depth=2
	s_or_b32 exec_lo, exec_lo, s10
	s_or_b32 s10, s16, 1
	s_delay_alu instid0(SALU_CYCLE_1) | instskip(SKIP_3) | instid1(SALU_CYCLE_1)
	v_cmp_eq_u32_e32 vcc_lo, s10, v2
	s_barrier_signal -1
	s_barrier_wait -1
	s_and_b32 s11, s4, vcc_lo
	s_and_saveexec_b32 s86, s11
	s_cbranch_execz .LBB161_1047
; %bb.1046:                             ;   in Loop: Header=BB161_1041 Depth=2
	ds_load_b64 v[40:41], v35
	s_wait_dscnt 0x0
	v_pk_mul_f32 v[42:43], v[38:39], v[40:41] op_sel:[1,1] op_sel_hi:[1,0]
	s_delay_alu instid0(VALU_DEP_1) | instskip(SKIP_1) | instid1(VALU_DEP_2)
	v_pk_fma_f32 v[44:45], v[38:39], v[40:41], v[42:43] op_sel_hi:[0,1,1]
	v_pk_fma_f32 v[40:41], v[38:39], v[40:41], v[42:43] neg_lo:[0,0,1] neg_hi:[0,0,1]
	v_mov_b32_e32 v41, v45
	s_delay_alu instid0(VALU_DEP_1)
	v_mov_b64_e32 v[38:39], v[40:41]
	ds_store_b64 v1, v[40:41] offset:41472
.LBB161_1047:                           ;   in Loop: Header=BB161_1041 Depth=2
	s_or_b32 exec_lo, exec_lo, s86
	v_cmp_lt_u32_e32 vcc_lo, s10, v2
	s_wait_dscnt 0x0
	s_barrier_signal -1
	s_barrier_wait -1
	s_and_b32 s11, s4, vcc_lo
	s_delay_alu instid0(SALU_CYCLE_1)
	s_and_saveexec_b32 s10, s11
	s_cbranch_execz .LBB161_1040
; %bb.1048:                             ;   in Loop: Header=BB161_1041 Depth=2
	ds_load_b64 v[40:41], v34 offset:512
	ds_load_b64 v[42:43], v1 offset:41472
	s_wait_dscnt 0x0
	v_pk_mul_f32 v[44:45], v[42:43], v[40:41] op_sel:[1,1] op_sel_hi:[0,1]
	s_delay_alu instid0(VALU_DEP_1) | instskip(SKIP_1) | instid1(VALU_DEP_2)
	v_pk_fma_f32 v[98:99], v[42:43], v[40:41], v[44:45] op_sel_hi:[1,0,1]
	v_pk_fma_f32 v[40:41], v[42:43], v[40:41], v[44:45] neg_lo:[0,0,1] neg_hi:[0,0,1]
	v_mov_b32_e32 v41, v99
	s_delay_alu instid0(VALU_DEP_1)
	v_pk_add_f32 v[38:39], v[38:39], v[40:41]
	s_branch .LBB161_1040
.LBB161_1049:                           ;   in Loop: Header=BB161_3 Depth=1
	s_and_b32 vcc_lo, exec_lo, s91
	s_mov_b32 s10, -1
	s_cbranch_vccz .LBB161_1051
; %bb.1050:                             ;   in Loop: Header=BB161_3 Depth=1
	s_and_not1_b32 s11, s66, exec_lo
	s_and_b32 s12, s4, exec_lo
	s_mov_b32 s10, 0
	s_or_b32 s66, s11, s12
.LBB161_1051:                           ;   in Loop: Header=BB161_3 Depth=1
	s_and_not1_b32 vcc_lo, exec_lo, s10
	s_cbranch_vccnz .LBB161_1053
; %bb.1052:                             ;   in Loop: Header=BB161_3 Depth=1
	v_readlane_b32 s11, v106, 6
	s_and_not1_b32 s10, s66, exec_lo
	s_and_b32 s11, s11, exec_lo
	s_delay_alu instid0(SALU_CYCLE_1)
	s_or_b32 s66, s10, s11
.LBB161_1053:                           ;   in Loop: Header=BB161_3 Depth=1
	v_mov_b64_e32 v[34:35], v[16:17]
	s_and_saveexec_b32 s10, s66
	s_cbranch_execnz .LBB161_1106
	s_branch .LBB161_1107
.LBB161_1054:                           ;   in Loop: Header=BB161_3 Depth=1
	v_readlane_b32 s11, v106, 14
	s_and_saveexec_b32 s10, s11
	s_delay_alu instid0(SALU_CYCLE_1)
	s_xor_b32 s10, exec_lo, s10
	s_cbranch_execz .LBB161_1058
; %bb.1055:                             ;   in Loop: Header=BB161_3 Depth=1
	v_readlane_b32 s11, v106, 27
	s_and_saveexec_b32 s66, s11
; %bb.1056:                             ;   in Loop: Header=BB161_3 Depth=1
	ds_store_b64 v74, v[30:31]
; %bb.1057:                             ;   in Loop: Header=BB161_3 Depth=1
	s_or_b32 exec_lo, exec_lo, s66
.LBB161_1058:                           ;   in Loop: Header=BB161_3 Depth=1
	s_and_not1_saveexec_b32 s66, s10
	s_cbranch_execz .LBB161_1064
; %bb.1059:                             ;   in Loop: Header=BB161_3 Depth=1
	v_lshl_add_u64 v[40:41], v[12:13], 3, v[38:39]
	s_mov_b32 s86, exec_lo
                                        ; implicit-def: $vgpr42_vgpr43
	flat_load_b64 v[40:41], v[40:41]
	s_wait_loadcnt_dscnt 0x0
	v_cmpx_ngt_f32_e64 |v40|, |v41|
	s_xor_b32 s86, exec_lo, s86
	s_cbranch_execz .LBB161_1061
; %bb.1060:                             ;   in Loop: Header=BB161_3 Depth=1
	v_div_scale_f32 v0, null, v41, v41, v40
	v_div_scale_f32 v44, vcc_lo, v40, v41, v40
	s_delay_alu instid0(VALU_DEP_2) | instskip(SKIP_1) | instid1(TRANS32_DEP_1)
	v_rcp_f32_e32 v42, v0
	v_nop
	v_fma_f32 v43, -v0, v42, 1.0
	s_delay_alu instid0(VALU_DEP_1) | instskip(NEXT) | instid1(VALU_DEP_1)
	v_fmac_f32_e32 v42, v43, v42
	v_mul_f32_e32 v43, v44, v42
	s_delay_alu instid0(VALU_DEP_1) | instskip(NEXT) | instid1(VALU_DEP_1)
	v_fma_f32 v45, -v0, v43, v44
	v_fmac_f32_e32 v43, v45, v42
	s_delay_alu instid0(VALU_DEP_1) | instskip(NEXT) | instid1(VALU_DEP_1)
	v_fma_f32 v0, -v0, v43, v44
	v_div_fmas_f32 v0, v0, v42, v43
	s_delay_alu instid0(VALU_DEP_1) | instskip(NEXT) | instid1(VALU_DEP_1)
	v_div_fixup_f32 v0, v0, v41, v40
	v_fmac_f32_e32 v41, v40, v0
	s_delay_alu instid0(VALU_DEP_1) | instskip(SKIP_1) | instid1(VALU_DEP_2)
	v_div_scale_f32 v40, null, v41, v41, 1.0
	v_div_scale_f32 v44, vcc_lo, 1.0, v41, 1.0
	v_rcp_f32_e32 v42, v40
	v_nop
	s_delay_alu instid0(TRANS32_DEP_1) | instskip(NEXT) | instid1(VALU_DEP_1)
	v_fma_f32 v43, -v40, v42, 1.0
	v_fmac_f32_e32 v42, v43, v42
	s_delay_alu instid0(VALU_DEP_1) | instskip(NEXT) | instid1(VALU_DEP_1)
	v_mul_f32_e32 v43, v44, v42
	v_fma_f32 v45, -v40, v43, v44
	s_delay_alu instid0(VALU_DEP_1) | instskip(NEXT) | instid1(VALU_DEP_1)
	v_fmac_f32_e32 v43, v45, v42
	v_fma_f32 v40, -v40, v43, v44
	s_delay_alu instid0(VALU_DEP_1) | instskip(NEXT) | instid1(VALU_DEP_1)
	v_div_fmas_f32 v40, v40, v42, v43
	v_div_fixup_f32 v40, v40, v41, 1.0
	s_delay_alu instid0(VALU_DEP_1)
	v_mul_f32_e32 v42, v0, v40
	v_xor_b32_e32 v43, 0x80000000, v40
                                        ; implicit-def: $vgpr40_vgpr41
.LBB161_1061:                           ;   in Loop: Header=BB161_3 Depth=1
	s_and_not1_saveexec_b32 s86, s86
	s_cbranch_execz .LBB161_1063
; %bb.1062:                             ;   in Loop: Header=BB161_3 Depth=1
	v_div_scale_f32 v0, null, v40, v40, v41
	v_div_scale_f32 v44, vcc_lo, v41, v40, v41
	s_delay_alu instid0(VALU_DEP_2) | instskip(SKIP_1) | instid1(TRANS32_DEP_1)
	v_rcp_f32_e32 v42, v0
	v_nop
	v_fma_f32 v43, -v0, v42, 1.0
	s_delay_alu instid0(VALU_DEP_1) | instskip(NEXT) | instid1(VALU_DEP_1)
	v_fmac_f32_e32 v42, v43, v42
	v_mul_f32_e32 v43, v44, v42
	s_delay_alu instid0(VALU_DEP_1) | instskip(NEXT) | instid1(VALU_DEP_1)
	v_fma_f32 v45, -v0, v43, v44
	v_fmac_f32_e32 v43, v45, v42
	s_delay_alu instid0(VALU_DEP_1) | instskip(NEXT) | instid1(VALU_DEP_1)
	v_fma_f32 v0, -v0, v43, v44
	v_div_fmas_f32 v0, v0, v42, v43
	s_delay_alu instid0(VALU_DEP_1) | instskip(NEXT) | instid1(VALU_DEP_1)
	v_div_fixup_f32 v0, v0, v40, v41
	v_fmac_f32_e32 v40, v41, v0
	s_delay_alu instid0(VALU_DEP_1) | instskip(NEXT) | instid1(VALU_DEP_1)
	v_div_scale_f32 v41, null, v40, v40, 1.0
	v_rcp_f32_e32 v42, v41
	v_nop
	s_delay_alu instid0(TRANS32_DEP_1) | instskip(NEXT) | instid1(VALU_DEP_1)
	v_fma_f32 v43, -v41, v42, 1.0
	v_fmac_f32_e32 v42, v43, v42
	v_div_scale_f32 v43, vcc_lo, 1.0, v40, 1.0
	s_delay_alu instid0(VALU_DEP_1) | instskip(NEXT) | instid1(VALU_DEP_1)
	v_mul_f32_e32 v44, v43, v42
	v_fma_f32 v45, -v41, v44, v43
	s_delay_alu instid0(VALU_DEP_1) | instskip(NEXT) | instid1(VALU_DEP_1)
	v_fmac_f32_e32 v44, v45, v42
	v_fma_f32 v41, -v41, v44, v43
	s_delay_alu instid0(VALU_DEP_1) | instskip(NEXT) | instid1(VALU_DEP_1)
	v_div_fmas_f32 v41, v41, v42, v44
	v_div_fixup_f32 v42, v41, v40, 1.0
	s_delay_alu instid0(VALU_DEP_1)
	v_mul_f32_e64 v43, v0, -v42
.LBB161_1063:                           ;   in Loop: Header=BB161_3 Depth=1
	s_or_b32 exec_lo, exec_lo, s86
	ds_store_b64 v74, v[42:43]
.LBB161_1064:                           ;   in Loop: Header=BB161_3 Depth=1
	s_or_b32 exec_lo, exec_lo, s66
	s_and_not1_saveexec_b32 s10, s16
	s_cbranch_execz .LBB161_19
.LBB161_1065:                           ;   in Loop: Header=BB161_3 Depth=1
	v_lshl_add_u64 v[40:41], v[12:13], 3, v[38:39]
	flat_load_b64 v[40:41], v[40:41]
	s_wait_loadcnt_dscnt 0x0
	v_pk_add_f32 v[40:41], v[40:41], 0 neg_lo:[1,1] neg_hi:[1,1]
	ds_store_b64 v74, v[40:41]
	s_or_b32 exec_lo, exec_lo, s10
	s_and_saveexec_b32 s10, s1
	s_delay_alu instid0(SALU_CYCLE_1)
	s_xor_b32 s16, exec_lo, s10
	s_cbranch_execz .LBB161_20
.LBB161_1066:                           ;   in Loop: Header=BB161_3 Depth=1
	v_readlane_b32 s11, v106, 16
	s_and_saveexec_b32 s10, s11
	s_delay_alu instid0(SALU_CYCLE_1)
	s_xor_b32 s10, exec_lo, s10
	s_cbranch_execz .LBB161_1070
; %bb.1067:                             ;   in Loop: Header=BB161_3 Depth=1
	v_readlane_b32 s11, v106, 28
	s_and_saveexec_b32 s66, s11
; %bb.1068:                             ;   in Loop: Header=BB161_3 Depth=1
	ds_store_b64 v76, v[30:31]
; %bb.1069:                             ;   in Loop: Header=BB161_3 Depth=1
	s_or_b32 exec_lo, exec_lo, s66
.LBB161_1070:                           ;   in Loop: Header=BB161_3 Depth=1
	s_and_not1_saveexec_b32 s66, s10
	s_cbranch_execz .LBB161_1076
; %bb.1071:                             ;   in Loop: Header=BB161_3 Depth=1
	v_lshl_add_u64 v[40:41], v[14:15], 3, v[38:39]
	s_mov_b32 s86, exec_lo
                                        ; implicit-def: $vgpr42_vgpr43
	flat_load_b64 v[40:41], v[40:41]
	s_wait_loadcnt_dscnt 0x0
	v_cmpx_ngt_f32_e64 |v40|, |v41|
	s_xor_b32 s86, exec_lo, s86
	s_cbranch_execz .LBB161_1073
; %bb.1072:                             ;   in Loop: Header=BB161_3 Depth=1
	v_div_scale_f32 v0, null, v41, v41, v40
	v_div_scale_f32 v44, vcc_lo, v40, v41, v40
	s_delay_alu instid0(VALU_DEP_2) | instskip(SKIP_1) | instid1(TRANS32_DEP_1)
	v_rcp_f32_e32 v42, v0
	v_nop
	v_fma_f32 v43, -v0, v42, 1.0
	s_delay_alu instid0(VALU_DEP_1) | instskip(NEXT) | instid1(VALU_DEP_1)
	v_fmac_f32_e32 v42, v43, v42
	v_mul_f32_e32 v43, v44, v42
	s_delay_alu instid0(VALU_DEP_1) | instskip(NEXT) | instid1(VALU_DEP_1)
	v_fma_f32 v45, -v0, v43, v44
	v_fmac_f32_e32 v43, v45, v42
	s_delay_alu instid0(VALU_DEP_1) | instskip(NEXT) | instid1(VALU_DEP_1)
	v_fma_f32 v0, -v0, v43, v44
	v_div_fmas_f32 v0, v0, v42, v43
	s_delay_alu instid0(VALU_DEP_1) | instskip(NEXT) | instid1(VALU_DEP_1)
	v_div_fixup_f32 v0, v0, v41, v40
	v_fmac_f32_e32 v41, v40, v0
	s_delay_alu instid0(VALU_DEP_1) | instskip(SKIP_1) | instid1(VALU_DEP_2)
	v_div_scale_f32 v40, null, v41, v41, 1.0
	v_div_scale_f32 v44, vcc_lo, 1.0, v41, 1.0
	v_rcp_f32_e32 v42, v40
	v_nop
	s_delay_alu instid0(TRANS32_DEP_1) | instskip(NEXT) | instid1(VALU_DEP_1)
	v_fma_f32 v43, -v40, v42, 1.0
	v_fmac_f32_e32 v42, v43, v42
	s_delay_alu instid0(VALU_DEP_1) | instskip(NEXT) | instid1(VALU_DEP_1)
	v_mul_f32_e32 v43, v44, v42
	v_fma_f32 v45, -v40, v43, v44
	s_delay_alu instid0(VALU_DEP_1) | instskip(NEXT) | instid1(VALU_DEP_1)
	v_fmac_f32_e32 v43, v45, v42
	v_fma_f32 v40, -v40, v43, v44
	s_delay_alu instid0(VALU_DEP_1) | instskip(NEXT) | instid1(VALU_DEP_1)
	v_div_fmas_f32 v40, v40, v42, v43
	v_div_fixup_f32 v40, v40, v41, 1.0
	s_delay_alu instid0(VALU_DEP_1)
	v_mul_f32_e32 v42, v0, v40
	v_xor_b32_e32 v43, 0x80000000, v40
                                        ; implicit-def: $vgpr40_vgpr41
.LBB161_1073:                           ;   in Loop: Header=BB161_3 Depth=1
	s_and_not1_saveexec_b32 s86, s86
	s_cbranch_execz .LBB161_1075
; %bb.1074:                             ;   in Loop: Header=BB161_3 Depth=1
	v_div_scale_f32 v0, null, v40, v40, v41
	v_div_scale_f32 v44, vcc_lo, v41, v40, v41
	s_delay_alu instid0(VALU_DEP_2) | instskip(SKIP_1) | instid1(TRANS32_DEP_1)
	v_rcp_f32_e32 v42, v0
	v_nop
	v_fma_f32 v43, -v0, v42, 1.0
	s_delay_alu instid0(VALU_DEP_1) | instskip(NEXT) | instid1(VALU_DEP_1)
	v_fmac_f32_e32 v42, v43, v42
	v_mul_f32_e32 v43, v44, v42
	s_delay_alu instid0(VALU_DEP_1) | instskip(NEXT) | instid1(VALU_DEP_1)
	v_fma_f32 v45, -v0, v43, v44
	v_fmac_f32_e32 v43, v45, v42
	s_delay_alu instid0(VALU_DEP_1) | instskip(NEXT) | instid1(VALU_DEP_1)
	v_fma_f32 v0, -v0, v43, v44
	v_div_fmas_f32 v0, v0, v42, v43
	s_delay_alu instid0(VALU_DEP_1) | instskip(NEXT) | instid1(VALU_DEP_1)
	v_div_fixup_f32 v0, v0, v40, v41
	v_fmac_f32_e32 v40, v41, v0
	s_delay_alu instid0(VALU_DEP_1) | instskip(NEXT) | instid1(VALU_DEP_1)
	v_div_scale_f32 v41, null, v40, v40, 1.0
	v_rcp_f32_e32 v42, v41
	v_nop
	s_delay_alu instid0(TRANS32_DEP_1) | instskip(NEXT) | instid1(VALU_DEP_1)
	v_fma_f32 v43, -v41, v42, 1.0
	v_fmac_f32_e32 v42, v43, v42
	v_div_scale_f32 v43, vcc_lo, 1.0, v40, 1.0
	s_delay_alu instid0(VALU_DEP_1) | instskip(NEXT) | instid1(VALU_DEP_1)
	v_mul_f32_e32 v44, v43, v42
	v_fma_f32 v45, -v41, v44, v43
	s_delay_alu instid0(VALU_DEP_1) | instskip(NEXT) | instid1(VALU_DEP_1)
	v_fmac_f32_e32 v44, v45, v42
	v_fma_f32 v41, -v41, v44, v43
	s_delay_alu instid0(VALU_DEP_1) | instskip(NEXT) | instid1(VALU_DEP_1)
	v_div_fmas_f32 v41, v41, v42, v44
	v_div_fixup_f32 v42, v41, v40, 1.0
	s_delay_alu instid0(VALU_DEP_1)
	v_mul_f32_e64 v43, v0, -v42
.LBB161_1075:                           ;   in Loop: Header=BB161_3 Depth=1
	s_or_b32 exec_lo, exec_lo, s86
	ds_store_b64 v76, v[42:43]
.LBB161_1076:                           ;   in Loop: Header=BB161_3 Depth=1
	s_or_b32 exec_lo, exec_lo, s66
	s_and_not1_saveexec_b32 s10, s16
	s_cbranch_execz .LBB161_21
.LBB161_1077:                           ;   in Loop: Header=BB161_3 Depth=1
	v_lshl_add_u64 v[40:41], v[14:15], 3, v[38:39]
	flat_load_b64 v[40:41], v[40:41]
	s_wait_loadcnt_dscnt 0x0
	v_pk_add_f32 v[40:41], v[40:41], 0 neg_lo:[1,1] neg_hi:[1,1]
	ds_store_b64 v76, v[40:41]
	s_or_b32 exec_lo, exec_lo, s10
	s_and_saveexec_b32 s10, s8
	s_delay_alu instid0(SALU_CYCLE_1)
	s_xor_b32 s16, exec_lo, s10
	s_cbranch_execz .LBB161_22
.LBB161_1078:                           ;   in Loop: Header=BB161_3 Depth=1
	v_readlane_b32 s11, v106, 18
	s_and_saveexec_b32 s10, s11
	s_delay_alu instid0(SALU_CYCLE_1)
	s_xor_b32 s10, exec_lo, s10
	s_cbranch_execz .LBB161_1082
; %bb.1079:                             ;   in Loop: Header=BB161_3 Depth=1
	v_readlane_b32 s11, v97, 7
	s_and_saveexec_b32 s66, s11
; %bb.1080:                             ;   in Loop: Header=BB161_3 Depth=1
	ds_store_b64 v79, v[30:31]
; %bb.1081:                             ;   in Loop: Header=BB161_3 Depth=1
	s_or_b32 exec_lo, exec_lo, s66
.LBB161_1082:                           ;   in Loop: Header=BB161_3 Depth=1
	s_and_not1_saveexec_b32 s66, s10
	s_cbranch_execz .LBB161_1088
; %bb.1083:                             ;   in Loop: Header=BB161_3 Depth=1
	v_lshl_add_u64 v[40:41], v[18:19], 3, v[38:39]
	s_mov_b32 s86, exec_lo
                                        ; implicit-def: $vgpr42_vgpr43
	flat_load_b64 v[40:41], v[40:41]
	s_wait_loadcnt_dscnt 0x0
	v_cmpx_ngt_f32_e64 |v40|, |v41|
	s_xor_b32 s86, exec_lo, s86
	s_cbranch_execz .LBB161_1085
; %bb.1084:                             ;   in Loop: Header=BB161_3 Depth=1
	v_div_scale_f32 v0, null, v41, v41, v40
	v_div_scale_f32 v44, vcc_lo, v40, v41, v40
	s_delay_alu instid0(VALU_DEP_2) | instskip(SKIP_1) | instid1(TRANS32_DEP_1)
	v_rcp_f32_e32 v42, v0
	v_nop
	v_fma_f32 v43, -v0, v42, 1.0
	s_delay_alu instid0(VALU_DEP_1) | instskip(NEXT) | instid1(VALU_DEP_1)
	v_fmac_f32_e32 v42, v43, v42
	v_mul_f32_e32 v43, v44, v42
	s_delay_alu instid0(VALU_DEP_1) | instskip(NEXT) | instid1(VALU_DEP_1)
	v_fma_f32 v45, -v0, v43, v44
	v_fmac_f32_e32 v43, v45, v42
	s_delay_alu instid0(VALU_DEP_1) | instskip(NEXT) | instid1(VALU_DEP_1)
	v_fma_f32 v0, -v0, v43, v44
	v_div_fmas_f32 v0, v0, v42, v43
	s_delay_alu instid0(VALU_DEP_1) | instskip(NEXT) | instid1(VALU_DEP_1)
	v_div_fixup_f32 v0, v0, v41, v40
	v_fmac_f32_e32 v41, v40, v0
	s_delay_alu instid0(VALU_DEP_1) | instskip(SKIP_1) | instid1(VALU_DEP_2)
	v_div_scale_f32 v40, null, v41, v41, 1.0
	v_div_scale_f32 v44, vcc_lo, 1.0, v41, 1.0
	v_rcp_f32_e32 v42, v40
	v_nop
	s_delay_alu instid0(TRANS32_DEP_1) | instskip(NEXT) | instid1(VALU_DEP_1)
	v_fma_f32 v43, -v40, v42, 1.0
	v_fmac_f32_e32 v42, v43, v42
	s_delay_alu instid0(VALU_DEP_1) | instskip(NEXT) | instid1(VALU_DEP_1)
	v_mul_f32_e32 v43, v44, v42
	v_fma_f32 v45, -v40, v43, v44
	s_delay_alu instid0(VALU_DEP_1) | instskip(NEXT) | instid1(VALU_DEP_1)
	v_fmac_f32_e32 v43, v45, v42
	v_fma_f32 v40, -v40, v43, v44
	s_delay_alu instid0(VALU_DEP_1) | instskip(NEXT) | instid1(VALU_DEP_1)
	v_div_fmas_f32 v40, v40, v42, v43
	v_div_fixup_f32 v40, v40, v41, 1.0
	s_delay_alu instid0(VALU_DEP_1)
	v_mul_f32_e32 v42, v0, v40
	v_xor_b32_e32 v43, 0x80000000, v40
                                        ; implicit-def: $vgpr40_vgpr41
.LBB161_1085:                           ;   in Loop: Header=BB161_3 Depth=1
	s_and_not1_saveexec_b32 s86, s86
	s_cbranch_execz .LBB161_1087
; %bb.1086:                             ;   in Loop: Header=BB161_3 Depth=1
	v_div_scale_f32 v0, null, v40, v40, v41
	v_div_scale_f32 v44, vcc_lo, v41, v40, v41
	s_delay_alu instid0(VALU_DEP_2) | instskip(SKIP_1) | instid1(TRANS32_DEP_1)
	v_rcp_f32_e32 v42, v0
	v_nop
	v_fma_f32 v43, -v0, v42, 1.0
	s_delay_alu instid0(VALU_DEP_1) | instskip(NEXT) | instid1(VALU_DEP_1)
	v_fmac_f32_e32 v42, v43, v42
	v_mul_f32_e32 v43, v44, v42
	s_delay_alu instid0(VALU_DEP_1) | instskip(NEXT) | instid1(VALU_DEP_1)
	v_fma_f32 v45, -v0, v43, v44
	v_fmac_f32_e32 v43, v45, v42
	s_delay_alu instid0(VALU_DEP_1) | instskip(NEXT) | instid1(VALU_DEP_1)
	v_fma_f32 v0, -v0, v43, v44
	v_div_fmas_f32 v0, v0, v42, v43
	s_delay_alu instid0(VALU_DEP_1) | instskip(NEXT) | instid1(VALU_DEP_1)
	v_div_fixup_f32 v0, v0, v40, v41
	v_fmac_f32_e32 v40, v41, v0
	s_delay_alu instid0(VALU_DEP_1) | instskip(NEXT) | instid1(VALU_DEP_1)
	v_div_scale_f32 v41, null, v40, v40, 1.0
	v_rcp_f32_e32 v42, v41
	v_nop
	s_delay_alu instid0(TRANS32_DEP_1) | instskip(NEXT) | instid1(VALU_DEP_1)
	v_fma_f32 v43, -v41, v42, 1.0
	v_fmac_f32_e32 v42, v43, v42
	v_div_scale_f32 v43, vcc_lo, 1.0, v40, 1.0
	s_delay_alu instid0(VALU_DEP_1) | instskip(NEXT) | instid1(VALU_DEP_1)
	v_mul_f32_e32 v44, v43, v42
	v_fma_f32 v45, -v41, v44, v43
	s_delay_alu instid0(VALU_DEP_1) | instskip(NEXT) | instid1(VALU_DEP_1)
	v_fmac_f32_e32 v44, v45, v42
	v_fma_f32 v41, -v41, v44, v43
	s_delay_alu instid0(VALU_DEP_1) | instskip(NEXT) | instid1(VALU_DEP_1)
	v_div_fmas_f32 v41, v41, v42, v44
	v_div_fixup_f32 v42, v41, v40, 1.0
	s_delay_alu instid0(VALU_DEP_1)
	v_mul_f32_e64 v43, v0, -v42
.LBB161_1087:                           ;   in Loop: Header=BB161_3 Depth=1
	s_or_b32 exec_lo, exec_lo, s86
	ds_store_b64 v79, v[42:43]
.LBB161_1088:                           ;   in Loop: Header=BB161_3 Depth=1
	s_or_b32 exec_lo, exec_lo, s66
	s_and_not1_saveexec_b32 s10, s16
	s_cbranch_execz .LBB161_23
.LBB161_1089:                           ;   in Loop: Header=BB161_3 Depth=1
	v_lshl_add_u64 v[40:41], v[18:19], 3, v[38:39]
	flat_load_b64 v[40:41], v[40:41]
	s_wait_loadcnt_dscnt 0x0
	v_pk_add_f32 v[40:41], v[40:41], 0 neg_lo:[1,1] neg_hi:[1,1]
	ds_store_b64 v79, v[40:41]
	s_or_b32 exec_lo, exec_lo, s10
	s_and_saveexec_b32 s10, s9
	s_delay_alu instid0(SALU_CYCLE_1)
	s_xor_b32 s16, exec_lo, s10
	s_cbranch_execz .LBB161_24
.LBB161_1090:                           ;   in Loop: Header=BB161_3 Depth=1
	v_readlane_b32 s11, v106, 20
	s_and_saveexec_b32 s10, s11
	s_delay_alu instid0(SALU_CYCLE_1)
	s_xor_b32 s10, exec_lo, s10
	s_cbranch_execz .LBB161_1094
; %bb.1091:                             ;   in Loop: Header=BB161_3 Depth=1
	v_readlane_b32 s11, v97, 8
	s_and_saveexec_b32 s66, s11
; %bb.1092:                             ;   in Loop: Header=BB161_3 Depth=1
	ds_store_b64 v84, v[30:31]
; %bb.1093:                             ;   in Loop: Header=BB161_3 Depth=1
	s_or_b32 exec_lo, exec_lo, s66
.LBB161_1094:                           ;   in Loop: Header=BB161_3 Depth=1
	s_and_not1_saveexec_b32 s66, s10
	s_cbranch_execz .LBB161_1100
; %bb.1095:                             ;   in Loop: Header=BB161_3 Depth=1
	v_lshl_add_u64 v[40:41], v[20:21], 3, v[38:39]
	s_mov_b32 s86, exec_lo
                                        ; implicit-def: $vgpr42_vgpr43
	flat_load_b64 v[40:41], v[40:41]
	s_wait_loadcnt_dscnt 0x0
	v_cmpx_ngt_f32_e64 |v40|, |v41|
	s_xor_b32 s86, exec_lo, s86
	s_cbranch_execz .LBB161_1097
; %bb.1096:                             ;   in Loop: Header=BB161_3 Depth=1
	v_div_scale_f32 v0, null, v41, v41, v40
	v_div_scale_f32 v44, vcc_lo, v40, v41, v40
	s_delay_alu instid0(VALU_DEP_2) | instskip(SKIP_1) | instid1(TRANS32_DEP_1)
	v_rcp_f32_e32 v42, v0
	v_nop
	v_fma_f32 v43, -v0, v42, 1.0
	s_delay_alu instid0(VALU_DEP_1) | instskip(NEXT) | instid1(VALU_DEP_1)
	v_fmac_f32_e32 v42, v43, v42
	v_mul_f32_e32 v43, v44, v42
	s_delay_alu instid0(VALU_DEP_1) | instskip(NEXT) | instid1(VALU_DEP_1)
	v_fma_f32 v45, -v0, v43, v44
	v_fmac_f32_e32 v43, v45, v42
	s_delay_alu instid0(VALU_DEP_1) | instskip(NEXT) | instid1(VALU_DEP_1)
	v_fma_f32 v0, -v0, v43, v44
	v_div_fmas_f32 v0, v0, v42, v43
	s_delay_alu instid0(VALU_DEP_1) | instskip(NEXT) | instid1(VALU_DEP_1)
	v_div_fixup_f32 v0, v0, v41, v40
	v_fmac_f32_e32 v41, v40, v0
	s_delay_alu instid0(VALU_DEP_1) | instskip(SKIP_1) | instid1(VALU_DEP_2)
	v_div_scale_f32 v40, null, v41, v41, 1.0
	v_div_scale_f32 v44, vcc_lo, 1.0, v41, 1.0
	v_rcp_f32_e32 v42, v40
	v_nop
	s_delay_alu instid0(TRANS32_DEP_1) | instskip(NEXT) | instid1(VALU_DEP_1)
	v_fma_f32 v43, -v40, v42, 1.0
	v_fmac_f32_e32 v42, v43, v42
	s_delay_alu instid0(VALU_DEP_1) | instskip(NEXT) | instid1(VALU_DEP_1)
	v_mul_f32_e32 v43, v44, v42
	v_fma_f32 v45, -v40, v43, v44
	s_delay_alu instid0(VALU_DEP_1) | instskip(NEXT) | instid1(VALU_DEP_1)
	v_fmac_f32_e32 v43, v45, v42
	v_fma_f32 v40, -v40, v43, v44
	s_delay_alu instid0(VALU_DEP_1) | instskip(NEXT) | instid1(VALU_DEP_1)
	v_div_fmas_f32 v40, v40, v42, v43
	v_div_fixup_f32 v40, v40, v41, 1.0
	s_delay_alu instid0(VALU_DEP_1)
	v_mul_f32_e32 v42, v0, v40
	v_xor_b32_e32 v43, 0x80000000, v40
                                        ; implicit-def: $vgpr40_vgpr41
.LBB161_1097:                           ;   in Loop: Header=BB161_3 Depth=1
	s_and_not1_saveexec_b32 s86, s86
	s_cbranch_execz .LBB161_1099
; %bb.1098:                             ;   in Loop: Header=BB161_3 Depth=1
	v_div_scale_f32 v0, null, v40, v40, v41
	v_div_scale_f32 v44, vcc_lo, v41, v40, v41
	s_delay_alu instid0(VALU_DEP_2) | instskip(SKIP_1) | instid1(TRANS32_DEP_1)
	v_rcp_f32_e32 v42, v0
	v_nop
	v_fma_f32 v43, -v0, v42, 1.0
	s_delay_alu instid0(VALU_DEP_1) | instskip(NEXT) | instid1(VALU_DEP_1)
	v_fmac_f32_e32 v42, v43, v42
	v_mul_f32_e32 v43, v44, v42
	s_delay_alu instid0(VALU_DEP_1) | instskip(NEXT) | instid1(VALU_DEP_1)
	v_fma_f32 v45, -v0, v43, v44
	v_fmac_f32_e32 v43, v45, v42
	s_delay_alu instid0(VALU_DEP_1) | instskip(NEXT) | instid1(VALU_DEP_1)
	v_fma_f32 v0, -v0, v43, v44
	v_div_fmas_f32 v0, v0, v42, v43
	s_delay_alu instid0(VALU_DEP_1) | instskip(NEXT) | instid1(VALU_DEP_1)
	v_div_fixup_f32 v0, v0, v40, v41
	v_fmac_f32_e32 v40, v41, v0
	s_delay_alu instid0(VALU_DEP_1) | instskip(NEXT) | instid1(VALU_DEP_1)
	v_div_scale_f32 v41, null, v40, v40, 1.0
	v_rcp_f32_e32 v42, v41
	v_nop
	s_delay_alu instid0(TRANS32_DEP_1) | instskip(NEXT) | instid1(VALU_DEP_1)
	v_fma_f32 v43, -v41, v42, 1.0
	v_fmac_f32_e32 v42, v43, v42
	v_div_scale_f32 v43, vcc_lo, 1.0, v40, 1.0
	s_delay_alu instid0(VALU_DEP_1) | instskip(NEXT) | instid1(VALU_DEP_1)
	v_mul_f32_e32 v44, v43, v42
	v_fma_f32 v45, -v41, v44, v43
	s_delay_alu instid0(VALU_DEP_1) | instskip(NEXT) | instid1(VALU_DEP_1)
	v_fmac_f32_e32 v44, v45, v42
	v_fma_f32 v41, -v41, v44, v43
	s_delay_alu instid0(VALU_DEP_1) | instskip(NEXT) | instid1(VALU_DEP_1)
	v_div_fmas_f32 v41, v41, v42, v44
	v_div_fixup_f32 v42, v41, v40, 1.0
	s_delay_alu instid0(VALU_DEP_1)
	v_mul_f32_e64 v43, v0, -v42
.LBB161_1099:                           ;   in Loop: Header=BB161_3 Depth=1
	s_or_b32 exec_lo, exec_lo, s86
	ds_store_b64 v84, v[42:43]
.LBB161_1100:                           ;   in Loop: Header=BB161_3 Depth=1
	s_or_b32 exec_lo, exec_lo, s66
	s_and_not1_saveexec_b32 s10, s16
	s_cbranch_execnz .LBB161_25
	s_branch .LBB161_26
.LBB161_1101:                           ;   in Loop: Header=BB161_3 Depth=1
	ds_load_b64 v[34:35], v92
	ds_load_b64 v[40:41], v87
	s_wait_dscnt 0x0
	v_dual_mul_f32 v0, v41, v35 :: v_dual_mul_f32 v35, v40, v35
	s_delay_alu instid0(VALU_DEP_1) | instskip(NEXT) | instid1(VALU_DEP_1)
	v_dual_fma_f32 v0, v40, v34, -v0 :: v_dual_fmac_f32 v35, v41, v34
	v_dual_add_f32 v34, 0, v0 :: v_dual_add_f32 v35, 0, v35
	s_or_b32 exec_lo, exec_lo, s10
	s_and_saveexec_b32 s10, s1
	s_cbranch_execz .LBB161_1033
.LBB161_1102:                           ;   in Loop: Header=BB161_3 Depth=1
	ds_load_b64 v[40:41], v92 offset:8192
	ds_load_b64 v[42:43], v87 offset:128
	s_wait_dscnt 0x0
	v_dual_mul_f32 v0, v43, v41 :: v_dual_mul_f32 v45, v42, v41
	s_delay_alu instid0(VALU_DEP_1) | instskip(NEXT) | instid1(VALU_DEP_1)
	v_dual_fma_f32 v44, v42, v40, -v0 :: v_dual_fmac_f32 v45, v43, v40
	v_pk_add_f32 v[34:35], v[34:35], v[44:45]
	s_or_b32 exec_lo, exec_lo, s10
	s_and_saveexec_b32 s10, s8
	s_cbranch_execz .LBB161_1034
.LBB161_1103:                           ;   in Loop: Header=BB161_3 Depth=1
	ds_load_b64 v[40:41], v92 offset:16384
	ds_load_b64 v[42:43], v87 offset:256
	s_wait_dscnt 0x0
	v_pk_mul_f32 v[44:45], v[42:43], v[40:41] op_sel:[1,1] op_sel_hi:[0,1]
	s_delay_alu instid0(VALU_DEP_1) | instskip(SKIP_1) | instid1(VALU_DEP_2)
	v_pk_fma_f32 v[98:99], v[42:43], v[40:41], v[44:45] op_sel_hi:[1,0,1]
	v_pk_fma_f32 v[40:41], v[42:43], v[40:41], v[44:45] neg_lo:[0,0,1] neg_hi:[0,0,1]
	v_mov_b32_e32 v41, v99
	s_delay_alu instid0(VALU_DEP_1)
	v_pk_add_f32 v[34:35], v[34:35], v[40:41]
	s_or_b32 exec_lo, exec_lo, s10
	s_and_saveexec_b32 s10, s9
	s_cbranch_execnz .LBB161_1035
	s_branch .LBB161_1036
.LBB161_1104:                           ;   in Loop: Header=BB161_3 Depth=1
	s_or_b32 exec_lo, exec_lo, s86
	s_delay_alu instid0(SALU_CYCLE_1)
	s_and_b32 vcc_lo, exec_lo, s16
	s_cbranch_vccnz .LBB161_1039
.LBB161_1105:                           ;   in Loop: Header=BB161_3 Depth=1
	v_mov_b64_e32 v[38:39], v[40:41]
	v_mov_b64_e32 v[34:35], v[28:29]
	s_and_saveexec_b32 s10, s66
	s_cbranch_execz .LBB161_1107
.LBB161_1106:                           ;   in Loop: Header=BB161_3 Depth=1
	s_delay_alu instid0(VALU_DEP_1)
	v_lshl_add_u64 v[34:35], v[34:35], 3, v[36:37]
	flat_store_b64 v[34:35], v[38:39]
.LBB161_1107:                           ;   in Loop: Header=BB161_3 Depth=1
	s_wait_xcnt 0x0
	s_or_b32 exec_lo, exec_lo, s10
	global_wb scope:SCOPE_DEV
	s_wait_storecnt_dscnt 0x0
	global_inv scope:SCOPE_DEV
	s_wait_loadcnt 0x0
	s_barrier_signal -1
	s_barrier_wait -1
	s_and_saveexec_b32 s10, s39
	s_cbranch_execz .LBB161_2
; %bb.1108:                             ;   in Loop: Header=BB161_3 Depth=1
	s_lshl_b64 s[86:87], s[76:77], 2
	s_delay_alu instid0(SALU_CYCLE_1)
	s_add_nc_u64 s[86:87], s[82:83], s[86:87]
	global_load_b32 v0, v1, s[86:87]
	s_wait_loadcnt 0x0
	v_add_nc_u32_e32 v0, 1, v0
	global_store_b32 v1, v0, s[86:87]
	s_branch .LBB161_2
.LBB161_1109:                           ;   in Loop: Header=BB161_3 Depth=1
	ds_load_b64 v[40:41], v52 offset:31680
	ds_load_b64 v[42:43], v53 offset:32744
	s_wait_dscnt 0x0
	v_dual_mul_f32 v0, v43, v41 :: v_dual_mul_f32 v41, v42, v41
	s_delay_alu instid0(VALU_DEP_1) | instskip(NEXT) | instid1(VALU_DEP_1)
	v_dual_fma_f32 v0, v42, v40, -v0 :: v_dual_fmac_f32 v41, v43, v40
	v_dual_add_f32 v38, v38, v0 :: v_dual_add_f32 v39, v39, v41
	s_or_b32 exec_lo, exec_lo, s10
	s_and_saveexec_b32 s10, s20
	s_cbranch_execz .LBB161_106
.LBB161_1110:                           ;   in Loop: Header=BB161_3 Depth=1
	ds_load_b64 v[40:41], v52 offset:32192
	ds_load_b64 v[42:43], v53 offset:32752
	s_wait_dscnt 0x0
	v_dual_mul_f32 v0, v43, v41 :: v_dual_mul_f32 v41, v42, v41
	s_delay_alu instid0(VALU_DEP_1) | instskip(NEXT) | instid1(VALU_DEP_1)
	v_dual_fma_f32 v0, v42, v40, -v0 :: v_dual_fmac_f32 v41, v43, v40
	v_dual_add_f32 v38, v38, v0 :: v_dual_add_f32 v39, v39, v41
	s_or_b32 exec_lo, exec_lo, s10
	s_and_saveexec_b32 s10, s3
	s_cbranch_execnz .LBB161_107
	s_branch .LBB161_108
.LBB161_1111:                           ;   in Loop: Header=BB161_3 Depth=1
	ds_load_b64 v[40:41], v57 offset:29568
	ds_load_b64 v[42:43], v58 offset:32712
	s_wait_dscnt 0x0
	v_dual_mul_f32 v0, v43, v41 :: v_dual_mul_f32 v41, v42, v41
	s_delay_alu instid0(VALU_DEP_1) | instskip(NEXT) | instid1(VALU_DEP_1)
	v_dual_fma_f32 v0, v42, v40, -v0 :: v_dual_fmac_f32 v41, v43, v40
	v_dual_add_f32 v38, v38, v0 :: v_dual_add_f32 v39, v39, v41
	s_or_b32 exec_lo, exec_lo, s10
	s_and_saveexec_b32 s10, s22
	s_cbranch_execz .LBB161_148
.LBB161_1112:                           ;   in Loop: Header=BB161_3 Depth=1
	ds_load_b64 v[40:41], v57 offset:30080
	ds_load_b64 v[42:43], v58 offset:32720
	s_wait_dscnt 0x0
	v_dual_mul_f32 v0, v43, v41 :: v_dual_mul_f32 v41, v42, v41
	s_delay_alu instid0(VALU_DEP_1) | instskip(NEXT) | instid1(VALU_DEP_1)
	v_dual_fma_f32 v0, v42, v40, -v0 :: v_dual_fmac_f32 v41, v43, v40
	v_dual_add_f32 v38, v38, v0 :: v_dual_add_f32 v39, v39, v41
	s_or_b32 exec_lo, exec_lo, s10
	s_and_saveexec_b32 s10, s23
	s_cbranch_execz .LBB161_149
.LBB161_1113:                           ;   in Loop: Header=BB161_3 Depth=1
	ds_load_b64 v[40:41], v57 offset:30592
	ds_load_b64 v[42:43], v58 offset:32728
	s_wait_dscnt 0x0
	v_dual_mul_f32 v0, v43, v41 :: v_dual_mul_f32 v41, v42, v41
	s_delay_alu instid0(VALU_DEP_1) | instskip(NEXT) | instid1(VALU_DEP_1)
	v_dual_fma_f32 v0, v42, v40, -v0 :: v_dual_fmac_f32 v41, v43, v40
	v_dual_add_f32 v38, v38, v0 :: v_dual_add_f32 v39, v39, v41
	s_or_b32 exec_lo, exec_lo, s10
	s_and_saveexec_b32 s10, s24
	s_cbranch_execz .LBB161_150
.LBB161_1114:                           ;   in Loop: Header=BB161_3 Depth=1
	ds_load_b64 v[40:41], v57 offset:31104
	ds_load_b64 v[42:43], v58 offset:32736
	s_wait_dscnt 0x0
	v_dual_mul_f32 v0, v43, v41 :: v_dual_mul_f32 v41, v42, v41
	s_delay_alu instid0(VALU_DEP_1) | instskip(NEXT) | instid1(VALU_DEP_1)
	v_dual_fma_f32 v0, v42, v40, -v0 :: v_dual_fmac_f32 v41, v43, v40
	v_dual_add_f32 v38, v38, v0 :: v_dual_add_f32 v39, v39, v41
	s_or_b32 exec_lo, exec_lo, s10
	s_and_saveexec_b32 s10, s25
	s_cbranch_execz .LBB161_151
.LBB161_1115:                           ;   in Loop: Header=BB161_3 Depth=1
	ds_load_b64 v[40:41], v57 offset:31616
	ds_load_b64 v[42:43], v58 offset:32744
	s_wait_dscnt 0x0
	v_dual_mul_f32 v0, v43, v41 :: v_dual_mul_f32 v41, v42, v41
	s_delay_alu instid0(VALU_DEP_1) | instskip(NEXT) | instid1(VALU_DEP_1)
	v_dual_fma_f32 v0, v42, v40, -v0 :: v_dual_fmac_f32 v41, v43, v40
	v_dual_add_f32 v38, v38, v0 :: v_dual_add_f32 v39, v39, v41
	s_or_b32 exec_lo, exec_lo, s10
	s_and_saveexec_b32 s10, s5
	s_cbranch_execz .LBB161_152
.LBB161_1116:                           ;   in Loop: Header=BB161_3 Depth=1
	ds_load_b64 v[40:41], v57 offset:32128
	ds_load_b64 v[42:43], v58 offset:32752
	s_wait_dscnt 0x0
	v_dual_mul_f32 v0, v43, v41 :: v_dual_mul_f32 v41, v42, v41
	s_delay_alu instid0(VALU_DEP_1) | instskip(NEXT) | instid1(VALU_DEP_1)
	v_dual_fma_f32 v0, v42, v40, -v0 :: v_dual_fmac_f32 v41, v43, v40
	v_dual_add_f32 v38, v38, v0 :: v_dual_add_f32 v39, v39, v41
	s_or_b32 exec_lo, exec_lo, s10
	s_and_saveexec_b32 s10, s20
	s_cbranch_execnz .LBB161_153
	s_branch .LBB161_154
.LBB161_1117:                           ;   in Loop: Header=BB161_3 Depth=1
	ds_load_b64 v[40:41], v52 offset:27520
	ds_load_b64 v[42:43], v53 offset:28584
	s_wait_dscnt 0x0
	v_dual_mul_f32 v0, v43, v41 :: v_dual_mul_f32 v41, v42, v41
	s_delay_alu instid0(VALU_DEP_1) | instskip(NEXT) | instid1(VALU_DEP_1)
	v_dual_fma_f32 v0, v42, v40, -v0 :: v_dual_fmac_f32 v41, v43, v40
	v_dual_add_f32 v38, v38, v0 :: v_dual_add_f32 v39, v39, v41
	s_or_b32 exec_lo, exec_lo, s10
	s_and_saveexec_b32 s10, s20
	s_cbranch_execz .LBB161_210
.LBB161_1118:                           ;   in Loop: Header=BB161_3 Depth=1
	ds_load_b64 v[40:41], v52 offset:28032
	ds_load_b64 v[42:43], v53 offset:28592
	s_wait_dscnt 0x0
	v_dual_mul_f32 v0, v43, v41 :: v_dual_mul_f32 v41, v42, v41
	s_delay_alu instid0(VALU_DEP_1) | instskip(NEXT) | instid1(VALU_DEP_1)
	v_dual_fma_f32 v0, v42, v40, -v0 :: v_dual_fmac_f32 v41, v43, v40
	v_dual_add_f32 v38, v38, v0 :: v_dual_add_f32 v39, v39, v41
	s_or_b32 exec_lo, exec_lo, s10
	s_and_saveexec_b32 s10, s3
	s_cbranch_execnz .LBB161_211
	s_branch .LBB161_212
.LBB161_1119:                           ;   in Loop: Header=BB161_3 Depth=1
	ds_load_b64 v[40:41], v61 offset:30464
	ds_load_b64 v[42:43], v62 offset:32728
	s_wait_dscnt 0x0
	v_dual_mul_f32 v0, v43, v41 :: v_dual_mul_f32 v41, v42, v41
	s_delay_alu instid0(VALU_DEP_1) | instskip(NEXT) | instid1(VALU_DEP_1)
	v_dual_fma_f32 v0, v42, v40, -v0 :: v_dual_fmac_f32 v41, v43, v40
	v_dual_add_f32 v38, v38, v0 :: v_dual_add_f32 v39, v39, v41
	s_or_b32 exec_lo, exec_lo, s10
	s_and_saveexec_b32 s10, s6
	s_cbranch_execz .LBB161_272
.LBB161_1120:                           ;   in Loop: Header=BB161_3 Depth=1
	ds_load_b64 v[40:41], v61 offset:30976
	ds_load_b64 v[42:43], v62 offset:32736
	s_wait_dscnt 0x0
	v_dual_mul_f32 v0, v43, v41 :: v_dual_mul_f32 v41, v42, v41
	s_delay_alu instid0(VALU_DEP_1) | instskip(NEXT) | instid1(VALU_DEP_1)
	v_dual_fma_f32 v0, v42, v40, -v0 :: v_dual_fmac_f32 v41, v43, v40
	v_dual_add_f32 v38, v38, v0 :: v_dual_add_f32 v39, v39, v41
	s_or_b32 exec_lo, exec_lo, s10
	s_and_saveexec_b32 s10, s22
	s_cbranch_execz .LBB161_273
.LBB161_1121:                           ;   in Loop: Header=BB161_3 Depth=1
	ds_load_b64 v[40:41], v61 offset:31488
	ds_load_b64 v[42:43], v62 offset:32744
	s_wait_dscnt 0x0
	v_dual_mul_f32 v0, v43, v41 :: v_dual_mul_f32 v41, v42, v41
	s_delay_alu instid0(VALU_DEP_1) | instskip(NEXT) | instid1(VALU_DEP_1)
	v_dual_fma_f32 v0, v42, v40, -v0 :: v_dual_fmac_f32 v41, v43, v40
	v_dual_add_f32 v38, v38, v0 :: v_dual_add_f32 v39, v39, v41
	s_or_b32 exec_lo, exec_lo, s10
	s_and_saveexec_b32 s10, s24
	s_cbranch_execz .LBB161_274
.LBB161_1122:                           ;   in Loop: Header=BB161_3 Depth=1
	ds_load_b64 v[40:41], v61 offset:32000
	ds_load_b64 v[42:43], v62 offset:32752
	s_wait_dscnt 0x0
	v_dual_mul_f32 v0, v43, v41 :: v_dual_mul_f32 v41, v42, v41
	s_delay_alu instid0(VALU_DEP_1) | instskip(NEXT) | instid1(VALU_DEP_1)
	v_dual_fma_f32 v0, v42, v40, -v0 :: v_dual_fmac_f32 v41, v43, v40
	v_dual_add_f32 v38, v38, v0 :: v_dual_add_f32 v39, v39, v41
	s_or_b32 exec_lo, exec_lo, s10
	s_and_saveexec_b32 s10, s5
	s_cbranch_execnz .LBB161_275
	s_branch .LBB161_276
.LBB161_1123:                           ;   in Loop: Header=BB161_3 Depth=1
	ds_load_b64 v[40:41], v52 offset:23360
	ds_load_b64 v[42:43], v53 offset:24424
	s_wait_dscnt 0x0
	v_dual_mul_f32 v0, v43, v41 :: v_dual_mul_f32 v41, v42, v41
	s_delay_alu instid0(VALU_DEP_1) | instskip(NEXT) | instid1(VALU_DEP_1)
	v_dual_fma_f32 v0, v42, v40, -v0 :: v_dual_fmac_f32 v41, v43, v40
	v_dual_add_f32 v38, v38, v0 :: v_dual_add_f32 v39, v39, v41
	s_or_b32 exec_lo, exec_lo, s10
	s_and_saveexec_b32 s10, s20
	s_cbranch_execz .LBB161_364
.LBB161_1124:                           ;   in Loop: Header=BB161_3 Depth=1
	ds_load_b64 v[40:41], v52 offset:23872
	ds_load_b64 v[42:43], v53 offset:24432
	s_wait_dscnt 0x0
	v_dual_mul_f32 v0, v43, v41 :: v_dual_mul_f32 v41, v42, v41
	s_delay_alu instid0(VALU_DEP_1) | instskip(NEXT) | instid1(VALU_DEP_1)
	v_dual_fma_f32 v0, v42, v40, -v0 :: v_dual_fmac_f32 v41, v43, v40
	v_dual_add_f32 v38, v38, v0 :: v_dual_add_f32 v39, v39, v41
	s_or_b32 exec_lo, exec_lo, s10
	s_and_saveexec_b32 s10, s3
	s_cbranch_execnz .LBB161_365
	s_branch .LBB161_366
.LBB161_1125:                           ;   in Loop: Header=BB161_3 Depth=1
	ds_load_b64 v[40:41], v57 offset:21248
	ds_load_b64 v[42:43], v58 offset:24392
	s_wait_dscnt 0x0
	v_dual_mul_f32 v0, v43, v41 :: v_dual_mul_f32 v41, v42, v41
	s_delay_alu instid0(VALU_DEP_1) | instskip(NEXT) | instid1(VALU_DEP_1)
	v_dual_fma_f32 v0, v42, v40, -v0 :: v_dual_fmac_f32 v41, v43, v40
	v_dual_add_f32 v38, v38, v0 :: v_dual_add_f32 v39, v39, v41
	s_or_b32 exec_lo, exec_lo, s10
	s_and_saveexec_b32 s10, s22
	s_cbranch_execz .LBB161_406
.LBB161_1126:                           ;   in Loop: Header=BB161_3 Depth=1
	ds_load_b64 v[40:41], v57 offset:21760
	ds_load_b64 v[42:43], v58 offset:24400
	s_wait_dscnt 0x0
	v_dual_mul_f32 v0, v43, v41 :: v_dual_mul_f32 v41, v42, v41
	s_delay_alu instid0(VALU_DEP_1) | instskip(NEXT) | instid1(VALU_DEP_1)
	v_dual_fma_f32 v0, v42, v40, -v0 :: v_dual_fmac_f32 v41, v43, v40
	v_dual_add_f32 v38, v38, v0 :: v_dual_add_f32 v39, v39, v41
	s_or_b32 exec_lo, exec_lo, s10
	s_and_saveexec_b32 s10, s23
	s_cbranch_execz .LBB161_407
.LBB161_1127:                           ;   in Loop: Header=BB161_3 Depth=1
	ds_load_b64 v[40:41], v57 offset:22272
	ds_load_b64 v[42:43], v58 offset:24408
	s_wait_dscnt 0x0
	v_dual_mul_f32 v0, v43, v41 :: v_dual_mul_f32 v41, v42, v41
	s_delay_alu instid0(VALU_DEP_1) | instskip(NEXT) | instid1(VALU_DEP_1)
	v_dual_fma_f32 v0, v42, v40, -v0 :: v_dual_fmac_f32 v41, v43, v40
	v_dual_add_f32 v38, v38, v0 :: v_dual_add_f32 v39, v39, v41
	s_or_b32 exec_lo, exec_lo, s10
	s_and_saveexec_b32 s10, s24
	s_cbranch_execz .LBB161_408
.LBB161_1128:                           ;   in Loop: Header=BB161_3 Depth=1
	ds_load_b64 v[40:41], v57 offset:22784
	ds_load_b64 v[42:43], v58 offset:24416
	s_wait_dscnt 0x0
	v_dual_mul_f32 v0, v43, v41 :: v_dual_mul_f32 v41, v42, v41
	s_delay_alu instid0(VALU_DEP_1) | instskip(NEXT) | instid1(VALU_DEP_1)
	v_dual_fma_f32 v0, v42, v40, -v0 :: v_dual_fmac_f32 v41, v43, v40
	v_dual_add_f32 v38, v38, v0 :: v_dual_add_f32 v39, v39, v41
	s_or_b32 exec_lo, exec_lo, s10
	s_and_saveexec_b32 s10, s25
	s_cbranch_execz .LBB161_409
.LBB161_1129:                           ;   in Loop: Header=BB161_3 Depth=1
	ds_load_b64 v[40:41], v57 offset:23296
	ds_load_b64 v[42:43], v58 offset:24424
	s_wait_dscnt 0x0
	v_dual_mul_f32 v0, v43, v41 :: v_dual_mul_f32 v41, v42, v41
	s_delay_alu instid0(VALU_DEP_1) | instskip(NEXT) | instid1(VALU_DEP_1)
	v_dual_fma_f32 v0, v42, v40, -v0 :: v_dual_fmac_f32 v41, v43, v40
	v_dual_add_f32 v38, v38, v0 :: v_dual_add_f32 v39, v39, v41
	s_or_b32 exec_lo, exec_lo, s10
	s_and_saveexec_b32 s10, s5
	s_cbranch_execz .LBB161_410
.LBB161_1130:                           ;   in Loop: Header=BB161_3 Depth=1
	ds_load_b64 v[40:41], v57 offset:23808
	ds_load_b64 v[42:43], v58 offset:24432
	s_wait_dscnt 0x0
	v_dual_mul_f32 v0, v43, v41 :: v_dual_mul_f32 v41, v42, v41
	s_delay_alu instid0(VALU_DEP_1) | instskip(NEXT) | instid1(VALU_DEP_1)
	v_dual_fma_f32 v0, v42, v40, -v0 :: v_dual_fmac_f32 v41, v43, v40
	v_dual_add_f32 v38, v38, v0 :: v_dual_add_f32 v39, v39, v41
	s_or_b32 exec_lo, exec_lo, s10
	s_and_saveexec_b32 s10, s20
	s_cbranch_execnz .LBB161_411
	s_branch .LBB161_412
.LBB161_1131:                           ;   in Loop: Header=BB161_3 Depth=1
	ds_load_b64 v[40:41], v52 offset:19200
	ds_load_b64 v[42:43], v53 offset:20264
	s_wait_dscnt 0x0
	v_dual_mul_f32 v0, v43, v41 :: v_dual_mul_f32 v41, v42, v41
	s_delay_alu instid0(VALU_DEP_1) | instskip(NEXT) | instid1(VALU_DEP_1)
	v_dual_fma_f32 v0, v42, v40, -v0 :: v_dual_fmac_f32 v41, v43, v40
	v_dual_add_f32 v38, v38, v0 :: v_dual_add_f32 v39, v39, v41
	s_or_b32 exec_lo, exec_lo, s10
	s_and_saveexec_b32 s10, s20
	s_cbranch_execz .LBB161_468
.LBB161_1132:                           ;   in Loop: Header=BB161_3 Depth=1
	ds_load_b64 v[40:41], v52 offset:19712
	ds_load_b64 v[42:43], v53 offset:20272
	s_wait_dscnt 0x0
	v_dual_mul_f32 v0, v43, v41 :: v_dual_mul_f32 v41, v42, v41
	s_delay_alu instid0(VALU_DEP_1) | instskip(NEXT) | instid1(VALU_DEP_1)
	v_dual_fma_f32 v0, v42, v40, -v0 :: v_dual_fmac_f32 v41, v43, v40
	v_dual_add_f32 v38, v38, v0 :: v_dual_add_f32 v39, v39, v41
	s_or_b32 exec_lo, exec_lo, s10
	s_and_saveexec_b32 s10, s3
	s_cbranch_execnz .LBB161_469
	s_branch .LBB161_470
.LBB161_1133:                           ;   in Loop: Header=BB161_3 Depth=1
	ds_load_b64 v[40:41], v65 offset:30720
	ds_load_b64 v[42:43], v67 offset:32736
	s_wait_dscnt 0x0
	v_dual_mul_f32 v0, v43, v41 :: v_dual_mul_f32 v45, v42, v41
	s_delay_alu instid0(VALU_DEP_1) | instskip(NEXT) | instid1(VALU_DEP_1)
	v_dual_fma_f32 v44, v42, v40, -v0 :: v_dual_fmac_f32 v45, v43, v40
	v_pk_add_f32 v[38:39], v[38:39], v[44:45]
	s_or_b32 exec_lo, exec_lo, s10
	s_and_saveexec_b32 s10, s13
	s_cbranch_execz .LBB161_564
.LBB161_1134:                           ;   in Loop: Header=BB161_3 Depth=1
	ds_load_b64 v[40:41], v65 offset:31232
	ds_load_b64 v[42:43], v67 offset:32744
	s_wait_dscnt 0x0
	v_pk_mul_f32 v[44:45], v[42:43], v[40:41] op_sel:[1,1] op_sel_hi:[0,1]
	s_delay_alu instid0(VALU_DEP_1) | instskip(SKIP_1) | instid1(VALU_DEP_2)
	v_pk_fma_f32 v[98:99], v[42:43], v[40:41], v[44:45] op_sel_hi:[1,0,1]
	v_pk_fma_f32 v[40:41], v[42:43], v[40:41], v[44:45] neg_lo:[0,0,1] neg_hi:[0,0,1]
	v_mov_b32_e32 v41, v99
	s_delay_alu instid0(VALU_DEP_1)
	v_pk_add_f32 v[38:39], v[38:39], v[40:41]
	s_or_b32 exec_lo, exec_lo, s10
	s_and_saveexec_b32 s10, s6
	s_cbranch_execz .LBB161_565
.LBB161_1135:                           ;   in Loop: Header=BB161_3 Depth=1
	ds_load_b64 v[40:41], v65 offset:31744
	ds_load_b64 v[42:43], v67 offset:32752
	s_wait_dscnt 0x0
	v_pk_mul_f32 v[44:45], v[42:43], v[40:41] op_sel:[1,1] op_sel_hi:[0,1]
	s_delay_alu instid0(VALU_DEP_1) | instskip(SKIP_1) | instid1(VALU_DEP_2)
	v_pk_fma_f32 v[98:99], v[42:43], v[40:41], v[44:45] op_sel_hi:[1,0,1]
	v_pk_fma_f32 v[40:41], v[42:43], v[40:41], v[44:45] neg_lo:[0,0,1] neg_hi:[0,0,1]
	v_mov_b32_e32 v41, v99
	s_delay_alu instid0(VALU_DEP_1) | instskip(SKIP_2) | instid1(SALU_CYCLE_1)
	v_pk_add_f32 v[38:39], v[38:39], v[40:41]
	s_or_b32 exec_lo, exec_lo, s10
	s_and_saveexec_b32 s10, s24
	s_xor_b32 s10, exec_lo, s10
	s_cbranch_execnz .LBB161_566
	s_branch .LBB161_567
.LBB161_1136:                           ;   in Loop: Header=BB161_3 Depth=1
	ds_load_b64 v[40:41], v52 offset:15040
	ds_load_b64 v[42:43], v53 offset:16104
	s_wait_dscnt 0x0
	v_dual_mul_f32 v0, v43, v41 :: v_dual_mul_f32 v41, v42, v41
	s_delay_alu instid0(VALU_DEP_1) | instskip(NEXT) | instid1(VALU_DEP_1)
	v_dual_fma_f32 v0, v42, v40, -v0 :: v_dual_fmac_f32 v41, v43, v40
	v_dual_add_f32 v38, v38, v0 :: v_dual_add_f32 v39, v39, v41
	s_or_b32 exec_lo, exec_lo, s10
	s_and_saveexec_b32 s10, s20
	s_cbranch_execz .LBB161_603
.LBB161_1137:                           ;   in Loop: Header=BB161_3 Depth=1
	ds_load_b64 v[40:41], v52 offset:15552
	ds_load_b64 v[42:43], v53 offset:16112
	s_wait_dscnt 0x0
	v_dual_mul_f32 v0, v43, v41 :: v_dual_mul_f32 v41, v42, v41
	s_delay_alu instid0(VALU_DEP_1) | instskip(NEXT) | instid1(VALU_DEP_1)
	v_dual_fma_f32 v0, v42, v40, -v0 :: v_dual_fmac_f32 v41, v43, v40
	v_dual_add_f32 v38, v38, v0 :: v_dual_add_f32 v39, v39, v41
	s_or_b32 exec_lo, exec_lo, s10
	s_and_saveexec_b32 s10, s3
	s_cbranch_execnz .LBB161_604
	s_branch .LBB161_605
.LBB161_1138:                           ;   in Loop: Header=BB161_3 Depth=1
	ds_load_b64 v[40:41], v57 offset:12928
	ds_load_b64 v[42:43], v58 offset:16072
	s_wait_dscnt 0x0
	v_dual_mul_f32 v0, v43, v41 :: v_dual_mul_f32 v41, v42, v41
	s_delay_alu instid0(VALU_DEP_1) | instskip(NEXT) | instid1(VALU_DEP_1)
	v_dual_fma_f32 v0, v42, v40, -v0 :: v_dual_fmac_f32 v41, v43, v40
	v_dual_add_f32 v38, v38, v0 :: v_dual_add_f32 v39, v39, v41
	s_or_b32 exec_lo, exec_lo, s10
	s_and_saveexec_b32 s10, s22
	s_cbranch_execz .LBB161_645
.LBB161_1139:                           ;   in Loop: Header=BB161_3 Depth=1
	ds_load_b64 v[40:41], v57 offset:13440
	ds_load_b64 v[42:43], v58 offset:16080
	s_wait_dscnt 0x0
	v_dual_mul_f32 v0, v43, v41 :: v_dual_mul_f32 v41, v42, v41
	s_delay_alu instid0(VALU_DEP_1) | instskip(NEXT) | instid1(VALU_DEP_1)
	v_dual_fma_f32 v0, v42, v40, -v0 :: v_dual_fmac_f32 v41, v43, v40
	v_dual_add_f32 v38, v38, v0 :: v_dual_add_f32 v39, v39, v41
	s_or_b32 exec_lo, exec_lo, s10
	s_and_saveexec_b32 s10, s23
	s_cbranch_execz .LBB161_646
.LBB161_1140:                           ;   in Loop: Header=BB161_3 Depth=1
	ds_load_b64 v[40:41], v57 offset:13952
	ds_load_b64 v[42:43], v58 offset:16088
	s_wait_dscnt 0x0
	v_dual_mul_f32 v0, v43, v41 :: v_dual_mul_f32 v41, v42, v41
	s_delay_alu instid0(VALU_DEP_1) | instskip(NEXT) | instid1(VALU_DEP_1)
	v_dual_fma_f32 v0, v42, v40, -v0 :: v_dual_fmac_f32 v41, v43, v40
	v_dual_add_f32 v38, v38, v0 :: v_dual_add_f32 v39, v39, v41
	s_or_b32 exec_lo, exec_lo, s10
	s_and_saveexec_b32 s10, s24
	s_cbranch_execz .LBB161_647
.LBB161_1141:                           ;   in Loop: Header=BB161_3 Depth=1
	ds_load_b64 v[40:41], v57 offset:14464
	ds_load_b64 v[42:43], v58 offset:16096
	s_wait_dscnt 0x0
	v_dual_mul_f32 v0, v43, v41 :: v_dual_mul_f32 v41, v42, v41
	s_delay_alu instid0(VALU_DEP_1) | instskip(NEXT) | instid1(VALU_DEP_1)
	v_dual_fma_f32 v0, v42, v40, -v0 :: v_dual_fmac_f32 v41, v43, v40
	v_dual_add_f32 v38, v38, v0 :: v_dual_add_f32 v39, v39, v41
	s_or_b32 exec_lo, exec_lo, s10
	s_and_saveexec_b32 s10, s25
	s_cbranch_execz .LBB161_648
.LBB161_1142:                           ;   in Loop: Header=BB161_3 Depth=1
	ds_load_b64 v[40:41], v57 offset:14976
	ds_load_b64 v[42:43], v58 offset:16104
	s_wait_dscnt 0x0
	v_dual_mul_f32 v0, v43, v41 :: v_dual_mul_f32 v41, v42, v41
	s_delay_alu instid0(VALU_DEP_1) | instskip(NEXT) | instid1(VALU_DEP_1)
	v_dual_fma_f32 v0, v42, v40, -v0 :: v_dual_fmac_f32 v41, v43, v40
	v_dual_add_f32 v38, v38, v0 :: v_dual_add_f32 v39, v39, v41
	s_or_b32 exec_lo, exec_lo, s10
	s_and_saveexec_b32 s10, s5
	s_cbranch_execz .LBB161_649
.LBB161_1143:                           ;   in Loop: Header=BB161_3 Depth=1
	ds_load_b64 v[40:41], v57 offset:15488
	ds_load_b64 v[42:43], v58 offset:16112
	s_wait_dscnt 0x0
	v_dual_mul_f32 v0, v43, v41 :: v_dual_mul_f32 v41, v42, v41
	s_delay_alu instid0(VALU_DEP_1) | instskip(NEXT) | instid1(VALU_DEP_1)
	v_dual_fma_f32 v0, v42, v40, -v0 :: v_dual_fmac_f32 v41, v43, v40
	v_dual_add_f32 v38, v38, v0 :: v_dual_add_f32 v39, v39, v41
	s_or_b32 exec_lo, exec_lo, s10
	s_and_saveexec_b32 s10, s20
	s_cbranch_execnz .LBB161_650
	s_branch .LBB161_651
.LBB161_1144:                           ;   in Loop: Header=BB161_3 Depth=1
	ds_load_b64 v[40:41], v52 offset:10880
	ds_load_b64 v[42:43], v53 offset:11944
	s_wait_dscnt 0x0
	v_dual_mul_f32 v0, v43, v41 :: v_dual_mul_f32 v41, v42, v41
	s_delay_alu instid0(VALU_DEP_1) | instskip(NEXT) | instid1(VALU_DEP_1)
	v_dual_fma_f32 v0, v42, v40, -v0 :: v_dual_fmac_f32 v41, v43, v40
	v_dual_add_f32 v38, v38, v0 :: v_dual_add_f32 v39, v39, v41
	s_or_b32 exec_lo, exec_lo, s10
	s_and_saveexec_b32 s10, s20
	s_cbranch_execz .LBB161_707
.LBB161_1145:                           ;   in Loop: Header=BB161_3 Depth=1
	ds_load_b64 v[40:41], v52 offset:11392
	ds_load_b64 v[42:43], v53 offset:11952
	s_wait_dscnt 0x0
	v_dual_mul_f32 v0, v43, v41 :: v_dual_mul_f32 v41, v42, v41
	s_delay_alu instid0(VALU_DEP_1) | instskip(NEXT) | instid1(VALU_DEP_1)
	v_dual_fma_f32 v0, v42, v40, -v0 :: v_dual_fmac_f32 v41, v43, v40
	v_dual_add_f32 v38, v38, v0 :: v_dual_add_f32 v39, v39, v41
	s_or_b32 exec_lo, exec_lo, s10
	s_and_saveexec_b32 s10, s3
	s_cbranch_execnz .LBB161_708
	s_branch .LBB161_709
.LBB161_1146:                           ;   in Loop: Header=BB161_3 Depth=1
	ds_load_b64 v[40:41], v61 offset:13824
	ds_load_b64 v[42:43], v62 offset:16088
	s_wait_dscnt 0x0
	v_dual_mul_f32 v0, v43, v41 :: v_dual_mul_f32 v41, v42, v41
	s_delay_alu instid0(VALU_DEP_1) | instskip(NEXT) | instid1(VALU_DEP_1)
	v_dual_fma_f32 v0, v42, v40, -v0 :: v_dual_fmac_f32 v41, v43, v40
	v_dual_add_f32 v38, v38, v0 :: v_dual_add_f32 v39, v39, v41
	s_or_b32 exec_lo, exec_lo, s10
	s_and_saveexec_b32 s10, s6
	s_cbranch_execz .LBB161_769
.LBB161_1147:                           ;   in Loop: Header=BB161_3 Depth=1
	ds_load_b64 v[40:41], v61 offset:14336
	ds_load_b64 v[42:43], v62 offset:16096
	s_wait_dscnt 0x0
	v_dual_mul_f32 v0, v43, v41 :: v_dual_mul_f32 v41, v42, v41
	s_delay_alu instid0(VALU_DEP_1) | instskip(NEXT) | instid1(VALU_DEP_1)
	v_dual_fma_f32 v0, v42, v40, -v0 :: v_dual_fmac_f32 v41, v43, v40
	v_dual_add_f32 v38, v38, v0 :: v_dual_add_f32 v39, v39, v41
	s_or_b32 exec_lo, exec_lo, s10
	s_and_saveexec_b32 s10, s22
	s_cbranch_execz .LBB161_770
.LBB161_1148:                           ;   in Loop: Header=BB161_3 Depth=1
	ds_load_b64 v[40:41], v61 offset:14848
	ds_load_b64 v[42:43], v62 offset:16104
	s_wait_dscnt 0x0
	v_dual_mul_f32 v0, v43, v41 :: v_dual_mul_f32 v41, v42, v41
	s_delay_alu instid0(VALU_DEP_1) | instskip(NEXT) | instid1(VALU_DEP_1)
	v_dual_fma_f32 v0, v42, v40, -v0 :: v_dual_fmac_f32 v41, v43, v40
	v_dual_add_f32 v38, v38, v0 :: v_dual_add_f32 v39, v39, v41
	s_or_b32 exec_lo, exec_lo, s10
	s_and_saveexec_b32 s10, s24
	s_cbranch_execz .LBB161_771
.LBB161_1149:                           ;   in Loop: Header=BB161_3 Depth=1
	ds_load_b64 v[40:41], v61 offset:15360
	ds_load_b64 v[42:43], v62 offset:16112
	s_wait_dscnt 0x0
	v_dual_mul_f32 v0, v43, v41 :: v_dual_mul_f32 v41, v42, v41
	s_delay_alu instid0(VALU_DEP_1) | instskip(NEXT) | instid1(VALU_DEP_1)
	v_dual_fma_f32 v0, v42, v40, -v0 :: v_dual_fmac_f32 v41, v43, v40
	v_dual_add_f32 v38, v38, v0 :: v_dual_add_f32 v39, v39, v41
	s_or_b32 exec_lo, exec_lo, s10
	s_and_saveexec_b32 s10, s5
	s_cbranch_execnz .LBB161_772
	s_branch .LBB161_773
.LBB161_1150:                           ;   in Loop: Header=BB161_3 Depth=1
	ds_load_b64 v[40:41], v52 offset:6720
	ds_load_b64 v[42:43], v53 offset:7784
	s_wait_dscnt 0x0
	v_dual_mul_f32 v0, v43, v41 :: v_dual_mul_f32 v41, v42, v41
	s_delay_alu instid0(VALU_DEP_1) | instskip(NEXT) | instid1(VALU_DEP_1)
	v_dual_fma_f32 v0, v42, v40, -v0 :: v_dual_fmac_f32 v41, v43, v40
	v_dual_add_f32 v38, v38, v0 :: v_dual_add_f32 v39, v39, v41
	s_or_b32 exec_lo, exec_lo, s10
	s_and_saveexec_b32 s10, s20
	s_cbranch_execz .LBB161_861
.LBB161_1151:                           ;   in Loop: Header=BB161_3 Depth=1
	ds_load_b64 v[40:41], v52 offset:7232
	ds_load_b64 v[42:43], v53 offset:7792
	s_wait_dscnt 0x0
	v_dual_mul_f32 v0, v43, v41 :: v_dual_mul_f32 v41, v42, v41
	s_delay_alu instid0(VALU_DEP_1) | instskip(NEXT) | instid1(VALU_DEP_1)
	v_dual_fma_f32 v0, v42, v40, -v0 :: v_dual_fmac_f32 v41, v43, v40
	v_dual_add_f32 v38, v38, v0 :: v_dual_add_f32 v39, v39, v41
	s_or_b32 exec_lo, exec_lo, s10
	s_and_saveexec_b32 s10, s3
	s_cbranch_execnz .LBB161_862
	s_branch .LBB161_863
.LBB161_1152:                           ;   in Loop: Header=BB161_3 Depth=1
	ds_load_b64 v[40:41], v57 offset:4608
	ds_load_b64 v[42:43], v58 offset:7752
	s_wait_dscnt 0x0
	v_dual_mul_f32 v0, v43, v41 :: v_dual_mul_f32 v41, v42, v41
	s_delay_alu instid0(VALU_DEP_1) | instskip(NEXT) | instid1(VALU_DEP_1)
	v_dual_fma_f32 v0, v42, v40, -v0 :: v_dual_fmac_f32 v41, v43, v40
	v_dual_add_f32 v38, v38, v0 :: v_dual_add_f32 v39, v39, v41
	s_or_b32 exec_lo, exec_lo, s10
	s_and_saveexec_b32 s10, s22
	s_cbranch_execz .LBB161_903
.LBB161_1153:                           ;   in Loop: Header=BB161_3 Depth=1
	ds_load_b64 v[40:41], v57 offset:5120
	ds_load_b64 v[42:43], v58 offset:7760
	s_wait_dscnt 0x0
	v_dual_mul_f32 v0, v43, v41 :: v_dual_mul_f32 v41, v42, v41
	s_delay_alu instid0(VALU_DEP_1) | instskip(NEXT) | instid1(VALU_DEP_1)
	v_dual_fma_f32 v0, v42, v40, -v0 :: v_dual_fmac_f32 v41, v43, v40
	v_dual_add_f32 v38, v38, v0 :: v_dual_add_f32 v39, v39, v41
	s_or_b32 exec_lo, exec_lo, s10
	s_and_saveexec_b32 s10, s23
	s_cbranch_execz .LBB161_904
.LBB161_1154:                           ;   in Loop: Header=BB161_3 Depth=1
	ds_load_b64 v[40:41], v57 offset:5632
	ds_load_b64 v[42:43], v58 offset:7768
	s_wait_dscnt 0x0
	v_dual_mul_f32 v0, v43, v41 :: v_dual_mul_f32 v41, v42, v41
	s_delay_alu instid0(VALU_DEP_1) | instskip(NEXT) | instid1(VALU_DEP_1)
	v_dual_fma_f32 v0, v42, v40, -v0 :: v_dual_fmac_f32 v41, v43, v40
	v_dual_add_f32 v38, v38, v0 :: v_dual_add_f32 v39, v39, v41
	s_or_b32 exec_lo, exec_lo, s10
	s_and_saveexec_b32 s10, s24
	s_cbranch_execz .LBB161_905
.LBB161_1155:                           ;   in Loop: Header=BB161_3 Depth=1
	ds_load_b64 v[40:41], v57 offset:6144
	ds_load_b64 v[42:43], v58 offset:7776
	s_wait_dscnt 0x0
	v_dual_mul_f32 v0, v43, v41 :: v_dual_mul_f32 v41, v42, v41
	s_delay_alu instid0(VALU_DEP_1) | instskip(NEXT) | instid1(VALU_DEP_1)
	v_dual_fma_f32 v0, v42, v40, -v0 :: v_dual_fmac_f32 v41, v43, v40
	v_dual_add_f32 v38, v38, v0 :: v_dual_add_f32 v39, v39, v41
	s_or_b32 exec_lo, exec_lo, s10
	s_and_saveexec_b32 s10, s25
	s_cbranch_execz .LBB161_906
.LBB161_1156:                           ;   in Loop: Header=BB161_3 Depth=1
	ds_load_b64 v[40:41], v57 offset:6656
	ds_load_b64 v[42:43], v58 offset:7784
	s_wait_dscnt 0x0
	v_dual_mul_f32 v0, v43, v41 :: v_dual_mul_f32 v41, v42, v41
	s_delay_alu instid0(VALU_DEP_1) | instskip(NEXT) | instid1(VALU_DEP_1)
	v_dual_fma_f32 v0, v42, v40, -v0 :: v_dual_fmac_f32 v41, v43, v40
	v_dual_add_f32 v38, v38, v0 :: v_dual_add_f32 v39, v39, v41
	s_or_b32 exec_lo, exec_lo, s10
	s_and_saveexec_b32 s10, s5
	s_cbranch_execz .LBB161_907
.LBB161_1157:                           ;   in Loop: Header=BB161_3 Depth=1
	ds_load_b64 v[40:41], v57 offset:7168
	ds_load_b64 v[42:43], v58 offset:7792
	s_wait_dscnt 0x0
	v_dual_mul_f32 v0, v43, v41 :: v_dual_mul_f32 v41, v42, v41
	s_delay_alu instid0(VALU_DEP_1) | instskip(NEXT) | instid1(VALU_DEP_1)
	v_dual_fma_f32 v0, v42, v40, -v0 :: v_dual_fmac_f32 v41, v43, v40
	v_dual_add_f32 v38, v38, v0 :: v_dual_add_f32 v39, v39, v41
	s_or_b32 exec_lo, exec_lo, s10
	s_and_saveexec_b32 s10, s20
	s_cbranch_execnz .LBB161_908
	s_branch .LBB161_909
.LBB161_1158:                           ;   in Loop: Header=BB161_3 Depth=1
	ds_load_b64 v[40:41], v52 offset:2560
	ds_load_b64 v[42:43], v53 offset:3624
	s_wait_dscnt 0x0
	v_dual_mul_f32 v0, v43, v41 :: v_dual_mul_f32 v41, v42, v41
	s_delay_alu instid0(VALU_DEP_1) | instskip(NEXT) | instid1(VALU_DEP_1)
	v_dual_fma_f32 v0, v42, v40, -v0 :: v_dual_fmac_f32 v41, v43, v40
	v_dual_add_f32 v38, v38, v0 :: v_dual_add_f32 v39, v39, v41
	s_or_b32 exec_lo, exec_lo, s10
	s_and_saveexec_b32 s10, s20
	s_cbranch_execz .LBB161_965
.LBB161_1159:                           ;   in Loop: Header=BB161_3 Depth=1
	ds_load_b64 v[40:41], v52 offset:3072
	ds_load_b64 v[42:43], v53 offset:3632
	s_wait_dscnt 0x0
	v_dual_mul_f32 v0, v43, v41 :: v_dual_mul_f32 v41, v42, v41
	s_delay_alu instid0(VALU_DEP_1) | instskip(NEXT) | instid1(VALU_DEP_1)
	v_dual_fma_f32 v0, v42, v40, -v0 :: v_dual_fmac_f32 v41, v43, v40
	v_dual_add_f32 v38, v38, v0 :: v_dual_add_f32 v39, v39, v41
	s_or_b32 exec_lo, exec_lo, s10
	s_and_saveexec_b32 s10, s3
	s_cbranch_execnz .LBB161_966
	s_branch .LBB161_967
.LBB161_1160:
	s_endpgm
	.section	.rodata,"a",@progbits
	.p2align	6, 0x0
	.amdhsa_kernel _ZL19rocblas_trsv_deviceILi64ELi16ELb0ELb1ELb0ELb0E19rocblas_complex_numIfES1_PKPKS1_PKPS1_EviT7_lllT6_T8_lllPii
		.amdhsa_group_segment_fixed_size 41480
		.amdhsa_private_segment_fixed_size 48
		.amdhsa_kernarg_size 352
		.amdhsa_user_sgpr_count 2
		.amdhsa_user_sgpr_dispatch_ptr 0
		.amdhsa_user_sgpr_queue_ptr 0
		.amdhsa_user_sgpr_kernarg_segment_ptr 1
		.amdhsa_user_sgpr_dispatch_id 0
		.amdhsa_user_sgpr_kernarg_preload_length 0
		.amdhsa_user_sgpr_kernarg_preload_offset 0
		.amdhsa_user_sgpr_private_segment_size 0
		.amdhsa_wavefront_size32 1
		.amdhsa_uses_dynamic_stack 0
		.amdhsa_enable_private_segment 1
		.amdhsa_system_sgpr_workgroup_id_x 1
		.amdhsa_system_sgpr_workgroup_id_y 0
		.amdhsa_system_sgpr_workgroup_id_z 1
		.amdhsa_system_sgpr_workgroup_info 0
		.amdhsa_system_vgpr_workitem_id 1
		.amdhsa_next_free_vgpr 107
		.amdhsa_next_free_sgpr 105
		.amdhsa_named_barrier_count 0
		.amdhsa_reserve_vcc 1
		.amdhsa_float_round_mode_32 0
		.amdhsa_float_round_mode_16_64 0
		.amdhsa_float_denorm_mode_32 3
		.amdhsa_float_denorm_mode_16_64 3
		.amdhsa_fp16_overflow 0
		.amdhsa_memory_ordered 1
		.amdhsa_forward_progress 1
		.amdhsa_inst_pref_size 255
		.amdhsa_round_robin_scheduling 0
		.amdhsa_exception_fp_ieee_invalid_op 0
		.amdhsa_exception_fp_denorm_src 0
		.amdhsa_exception_fp_ieee_div_zero 0
		.amdhsa_exception_fp_ieee_overflow 0
		.amdhsa_exception_fp_ieee_underflow 0
		.amdhsa_exception_fp_ieee_inexact 0
		.amdhsa_exception_int_div_zero 0
	.end_amdhsa_kernel
	.section	.text._ZL19rocblas_trsv_deviceILi64ELi16ELb0ELb1ELb0ELb0E19rocblas_complex_numIfES1_PKPKS1_PKPS1_EviT7_lllT6_T8_lllPii,"axG",@progbits,_ZL19rocblas_trsv_deviceILi64ELi16ELb0ELb1ELb0ELb0E19rocblas_complex_numIfES1_PKPKS1_PKPS1_EviT7_lllT6_T8_lllPii,comdat
.Lfunc_end161:
	.size	_ZL19rocblas_trsv_deviceILi64ELi16ELb0ELb1ELb0ELb0E19rocblas_complex_numIfES1_PKPKS1_PKPS1_EviT7_lllT6_T8_lllPii, .Lfunc_end161-_ZL19rocblas_trsv_deviceILi64ELi16ELb0ELb1ELb0ELb0E19rocblas_complex_numIfES1_PKPKS1_PKPS1_EviT7_lllT6_T8_lllPii
                                        ; -- End function
	.set _ZL19rocblas_trsv_deviceILi64ELi16ELb0ELb1ELb0ELb0E19rocblas_complex_numIfES1_PKPKS1_PKPS1_EviT7_lllT6_T8_lllPii.num_vgpr, 107
	.set _ZL19rocblas_trsv_deviceILi64ELi16ELb0ELb1ELb0ELb0E19rocblas_complex_numIfES1_PKPKS1_PKPS1_EviT7_lllT6_T8_lllPii.num_agpr, 0
	.set _ZL19rocblas_trsv_deviceILi64ELi16ELb0ELb1ELb0ELb0E19rocblas_complex_numIfES1_PKPKS1_PKPS1_EviT7_lllT6_T8_lllPii.numbered_sgpr, 105
	.set _ZL19rocblas_trsv_deviceILi64ELi16ELb0ELb1ELb0ELb0E19rocblas_complex_numIfES1_PKPKS1_PKPS1_EviT7_lllT6_T8_lllPii.num_named_barrier, 0
	.set _ZL19rocblas_trsv_deviceILi64ELi16ELb0ELb1ELb0ELb0E19rocblas_complex_numIfES1_PKPKS1_PKPS1_EviT7_lllT6_T8_lllPii.private_seg_size, 48
	.set _ZL19rocblas_trsv_deviceILi64ELi16ELb0ELb1ELb0ELb0E19rocblas_complex_numIfES1_PKPKS1_PKPS1_EviT7_lllT6_T8_lllPii.uses_vcc, 1
	.set _ZL19rocblas_trsv_deviceILi64ELi16ELb0ELb1ELb0ELb0E19rocblas_complex_numIfES1_PKPKS1_PKPS1_EviT7_lllT6_T8_lllPii.uses_flat_scratch, 0
	.set _ZL19rocblas_trsv_deviceILi64ELi16ELb0ELb1ELb0ELb0E19rocblas_complex_numIfES1_PKPKS1_PKPS1_EviT7_lllT6_T8_lllPii.has_dyn_sized_stack, 0
	.set _ZL19rocblas_trsv_deviceILi64ELi16ELb0ELb1ELb0ELb0E19rocblas_complex_numIfES1_PKPKS1_PKPS1_EviT7_lllT6_T8_lllPii.has_recursion, 0
	.set _ZL19rocblas_trsv_deviceILi64ELi16ELb0ELb1ELb0ELb0E19rocblas_complex_numIfES1_PKPKS1_PKPS1_EviT7_lllT6_T8_lllPii.has_indirect_call, 0
	.section	.AMDGPU.csdata,"",@progbits
; Kernel info:
; codeLenInByte = 54412
; TotalNumSgprs: 107
; NumVgprs: 107
; ScratchSize: 48
; MemoryBound: 0
; FloatMode: 240
; IeeeMode: 1
; LDSByteSize: 41480 bytes/workgroup (compile time only)
; SGPRBlocks: 0
; VGPRBlocks: 6
; NumSGPRsForWavesPerEU: 107
; NumVGPRsForWavesPerEU: 107
; NamedBarCnt: 0
; Occupancy: 9
; WaveLimiterHint : 1
; COMPUTE_PGM_RSRC2:SCRATCH_EN: 1
; COMPUTE_PGM_RSRC2:USER_SGPR: 2
; COMPUTE_PGM_RSRC2:TRAP_HANDLER: 0
; COMPUTE_PGM_RSRC2:TGID_X_EN: 1
; COMPUTE_PGM_RSRC2:TGID_Y_EN: 0
; COMPUTE_PGM_RSRC2:TGID_Z_EN: 1
; COMPUTE_PGM_RSRC2:TIDIG_COMP_CNT: 1
	.section	.text._ZL19rocblas_trsv_deviceILi64ELi16ELb0ELb1ELb1ELb0E19rocblas_complex_numIfES1_PKPKS1_PKPS1_EviT7_lllT6_T8_lllPii,"axG",@progbits,_ZL19rocblas_trsv_deviceILi64ELi16ELb0ELb1ELb1ELb0E19rocblas_complex_numIfES1_PKPKS1_PKPS1_EviT7_lllT6_T8_lllPii,comdat
	.globl	_ZL19rocblas_trsv_deviceILi64ELi16ELb0ELb1ELb1ELb0E19rocblas_complex_numIfES1_PKPKS1_PKPS1_EviT7_lllT6_T8_lllPii ; -- Begin function _ZL19rocblas_trsv_deviceILi64ELi16ELb0ELb1ELb1ELb0E19rocblas_complex_numIfES1_PKPKS1_PKPS1_EviT7_lllT6_T8_lllPii
	.p2align	8
	.type	_ZL19rocblas_trsv_deviceILi64ELi16ELb0ELb1ELb1ELb0E19rocblas_complex_numIfES1_PKPKS1_PKPS1_EviT7_lllT6_T8_lllPii,@function
_ZL19rocblas_trsv_deviceILi64ELi16ELb0ELb1ELb1ELb0E19rocblas_complex_numIfES1_PKPKS1_PKPS1_EviT7_lllT6_T8_lllPii: ; @_ZL19rocblas_trsv_deviceILi64ELi16ELb0ELb1ELb1ELb0E19rocblas_complex_numIfES1_PKPKS1_PKPS1_EviT7_lllT6_T8_lllPii
; %bb.0:
	s_load_b32 s86, s[0:1], 0x58
	s_bfe_u32 s2, ttmp6, 0x40014
	s_lshr_b32 s3, ttmp7, 16
	s_add_co_i32 s2, s2, 1
	s_bfe_u32 s5, ttmp6, 0x40008
	s_mul_i32 s4, s3, s2
	s_getreg_b32 s2, hwreg(HW_REG_IB_STS2, 6, 4)
	s_add_co_i32 s5, s5, s4
	s_cmp_eq_u32 s2, 0
	s_mov_b32 s67, 0
	s_cselect_b32 s66, s3, s5
	s_wait_kmcnt 0x0
	s_cmp_ge_u32 s66, s86
	s_cbranch_scc1 .LBB162_1174
; %bb.1:
	s_clause 0x3
	s_load_b32 s3, s[0:1], 0x6c
	s_load_b32 s87, s[0:1], 0x0
	s_load_b64 s[16:17], s[0:1], 0x18
	s_load_b64 s[22:23], s[0:1], 0x28
	s_bfe_u32 s5, ttmp6, 0x4000c
	s_and_b32 s4, ttmp6, 15
	s_add_co_i32 s5, s5, 1
	v_and_b32_e32 v2, 0x3ff, v0
	s_mul_i32 s5, ttmp9, s5
	v_bfe_u32 v45, v0, 10, 10
	s_add_co_i32 s4, s4, s5
	s_cmp_eq_u32 s2, 0
	v_dual_mov_b32 v1, 0 :: v_dual_lshlrev_b32 v14, 6, v2
	s_cselect_b32 s88, ttmp9, s4
	v_lshl_add_u32 v27, v45, 6, v2
	v_cmp_gt_u32_e64 s7, 2, v2
	s_delay_alu instid0(VALU_DEP_3)
	v_dual_mov_b32 v5, v1 :: v_dual_mov_b32 v3, v1
                                        ; implicit-def: $vgpr105 : SGPR spill to VGPR lane
	v_mul_i32_i24_e32 v55, 0xfffffe08, v2
	s_wait_kmcnt 0x0
	s_and_b32 s2, s3, 0xffff
	s_add_co_i32 s3, s87, -1
	s_ashr_i32 s4, s87, 31
	s_ashr_i32 s5, s3, 31
	s_lshr_b32 s4, s4, 26
	s_lshr_b32 s5, s5, 26
	s_add_co_i32 s4, s87, s4
	s_add_co_i32 s3, s3, s5
	s_and_not1_b32 s4, s4, 63
	s_ashr_i32 s3, s3, 6
	s_sub_co_i32 s20, s87, s4
	s_cmp_eq_u32 s3, s88
	v_sub_co_u32 v46, s5, s88, 1
	s_cselect_b32 s3, -1, 0
	s_cmp_lg_u32 s20, 0
	v_mad_u32_u24 v4, v45, s2, v2
	s_cselect_b32 s4, -1, 0
	s_lshl_b32 s18, s88, 6
	s_and_b32 s21, s4, s3
	v_dual_add_nc_u32 v10, s18, v2 :: v_dual_add_nc_u32 v15, s18, v45
	v_add_nc_u32_e32 v31, 16, v45
	s_xor_b32 s2, s5, -1
	s_add_nc_u64 s[4:5], s[16:17], 1
	s_delay_alu instid0(VALU_DEP_2)
	v_ashrrev_i32_e32 v11, 31, v10
	v_subrev_nc_u32_e32 v6, 64, v15
	s_xor_b32 s90, s21, -1
	v_mad_nc_u64_u32 v[20:21], s4, s18, v[2:3]
	v_dual_add_nc_u32 v3, v45, v14 :: v_dual_add_nc_u32 v12, v31, v14
	s_cmp_lt_i32 s88, 5
	v_lshl_add_u32 v13, v31, 6, v2
	s_cselect_b32 vcc_lo, -1, 0
	s_delay_alu instid0(VALU_DEP_2)
	v_dual_cndmask_b32 v22, v27, v3 :: v_dual_ashrrev_i32 v7, 31, v6
	s_or_b32 vcc_lo, vcc_lo, s21
	s_delay_alu instid0(VALU_DEP_2) | instid1(SALU_CYCLE_1)
	v_dual_lshrrev_b32 v3, 1, v27 :: v_dual_cndmask_b32 v23, v13, v12, vcc_lo
	v_dual_lshrrev_b32 v12, 10, v0 :: v_dual_bitop2_b32 v13, 1, v0 bitop3:0x40
	s_ashr_i32 s19, s18, 31
	s_delay_alu instid0(VALU_DEP_2) | instskip(SKIP_1) | instid1(VALU_DEP_2)
	v_lshlrev_b32_e32 v16, 9, v3
	s_mul_i32 s3, s4, s19
	v_bitop3_b32 v29, v0, v12, 0x3ff bitop3:0xa8
	v_dual_lshlrev_b32 v47, 3, v13 :: v_dual_lshrrev_b32 v12, 2, v27
	s_mul_i32 s4, s5, s18
	v_cmp_eq_u32_e64 s5, 1, v13
	v_add3_u32 v21, s3, s4, v21
	s_delay_alu instid0(VALU_DEP_3)
	v_sub_nc_u32_e32 v50, v47, v16
	v_cmp_gt_u32_e64 s3, 4, v27
	v_cmp_eq_u32_e64 s6, 0, v13
	v_lshlrev_b32_e32 v17, 9, v12
	v_and_b32_e32 v13, 3, v0
	v_cmp_eq_u32_e64 s4, 0, v45
	s_and_b32 s92, s5, s3
	s_and_b32 s93, s6, s3
	v_cmp_gt_u32_e64 s5, 16, v27
	v_sub_nc_u32_e32 v54, 0, v17
	v_cmp_eq_u32_e64 s6, 3, v13
	s_and_b32 s94, s4, s7
	v_lshlrev_b32_e32 v53, 3, v13
	v_cmp_ne_u32_e64 s7, 3, v13
	v_cmp_gt_u32_e64 s8, 2, v13
	s_and_b32 s95, s6, s5
	v_cmp_eq_u32_e64 s6, 2, v13
	v_cmp_eq_u32_e64 s9, 0, v13
	s_and_b32 s96, s7, s5
	v_cmp_eq_u32_e64 s7, 1, v13
	v_sub_nc_u32_e32 v57, v53, v17
	s_and_b32 s97, s6, s5
	v_cmp_gt_u32_e64 s6, 4, v2
	v_dual_lshlrev_b32 v13, 6, v27 :: v_dual_bitop2_b32 v17, 7, v0 bitop3:0x40
	s_and_b32 s98, s8, s5
	s_and_b32 s99, s7, s5
	;; [unrolled: 1-line block ×3, first 2 shown]
	v_cmp_gt_u32_e64 s6, 64, v27
	v_cmp_eq_u32_e64 s7, 7, v17
	v_cmp_ne_u32_e64 s8, 7, v17
	v_lshl_add_u32 v52, v12, 3, 0x8000
	v_dual_add_nc_u32 v33, 32, v45 :: v_dual_bitop2_b32 v12, -8, v27 bitop3:0x40
	s_and_b32 s102, s7, s6
	v_cmp_gt_u32_e64 s7, 6, v17
	s_and_b32 s103, s8, s6
	v_cmp_eq_u32_e64 s8, 5, v17
	s_and_b32 s100, s9, s5
	v_cmp_eq_u32_e64 s9, 6, v17
	s_and_b32 vcc_hi, s7, s6
	v_cmp_eq_u32_e64 s7, 4, v17
	s_and_b32 s15, s8, s6
	v_cmp_eq_u32_e64 s8, 3, v17
	v_lshl_add_u32 v24, v33, 6, v2
	v_add_nc_u32_e32 v59, 0x8000, v12
	v_and_b32_e32 v12, 0xfffffe00, v13
	v_lshlrev_b32_e32 v60, 3, v17
	s_and_b32 s42, s7, s6
	v_cmp_gt_u32_e64 s7, 3, v17
	s_and_b32 s44, s8, s6
	v_cmp_gt_u32_e64 s8, 2, v17
	v_sub_nc_u32_e32 v61, 0, v12
	s_and_b32 s104, s9, s6
	v_cmp_gt_u32_e64 s9, 5, v17
	s_and_b32 s45, s7, s6
	v_cmp_eq_u32_e64 s7, 0, v17
	s_and_b32 s47, s8, s6
	v_cmp_gt_u32_e64 s8, 8, v2
	v_dual_lshrrev_b32 v13, 4, v27 :: v_dual_sub_nc_u32 v62, v60, v12
	v_and_b32_e32 v12, 15, v0
	s_and_b32 s41, s9, s6
	v_cmp_eq_u32_e64 s9, 2, v17
	s_and_b32 s49, s7, s6
	s_and_b32 s50, s4, s8
	v_lshl_add_u32 v63, v13, 3, 0x8000
	v_lshlrev_b32_e32 v13, 9, v13
	v_cmp_gt_u32_e64 s7, 0x100, v27
	v_cmp_eq_u32_e64 s8, 15, v12
	v_writelane_b32 v105, s2, 0
	v_cmp_gt_u32_e64 s11, 4, v17
	s_and_b32 s46, s9, s6
	v_cmp_ne_u32_e64 s9, 15, v12
	s_and_b32 s8, s8, s7
	v_cmp_gt_u32_e64 s12, 14, v12
	v_writelane_b32 v105, s8, 1
	s_and_b32 s43, s11, s6
	v_cmp_eq_u32_e64 s11, 1, v17
	s_and_b32 s8, s9, s7
	s_and_b32 s54, s12, s7
	v_writelane_b32 v105, s8, 2
	v_cmp_eq_u32_e64 s8, 13, v12
	s_and_b32 s48, s11, s6
	v_cmp_eq_u32_e64 s11, 14, v12
	v_cmp_eq_u32_e64 s12, 11, v12
	v_cmp_le_i32_e64 s14, s20, v2
	s_and_b32 s55, s8, s7
	v_cmp_gt_u32_e64 s8, 12, v12
	s_and_b32 s9, s11, s7
	v_cmp_eq_u32_e64 s11, 12, v12
	v_writelane_b32 v105, s9, 3
	v_cmp_gt_u32_e64 s9, 13, v12
	s_and_b32 s58, s8, s7
	v_cmp_eq_u32_e64 s8, 10, v12
	s_and_b32 s57, s11, s7
	s_and_b32 s59, s12, s7
	;; [unrolled: 1-line block ×3, first 2 shown]
	v_cmp_gt_u32_e64 s9, 11, v12
	s_and_b32 s61, s8, s7
	v_cmp_eq_u32_e64 s8, 8, v12
	v_cmp_gt_u32_e64 s11, 10, v12
	v_cmp_gt_u32_e64 s12, 9, v12
	s_and_b32 s60, s9, s7
	v_cmp_eq_u32_e64 s9, 9, v12
	s_and_b32 s13, s8, s7
	v_cmp_gt_u32_e64 s8, 7, v12
	s_and_b32 s62, s11, s7
	s_and_b32 s64, s12, s7
	;; [unrolled: 1-line block ×3, first 2 shown]
	v_cmp_gt_u32_e64 s9, 8, v12
	s_and_b32 s30, s8, s7
	v_cmp_eq_u32_e64 s8, 5, v12
	v_cmp_eq_u32_e64 s11, 7, v12
	;; [unrolled: 1-line block ×3, first 2 shown]
	s_and_b32 s26, s9, s7
	v_cmp_gt_u32_e64 s9, 6, v12
	s_and_b32 s37, s8, s7
	v_cmp_eq_u32_e64 s8, 3, v12
	s_and_b32 s28, s11, s7
	s_and_b32 s33, s12, s7
	s_and_b32 s35, s9, s7
	v_cmp_eq_u32_e64 s9, 4, v12
	s_and_b32 s77, s8, s7
	v_cmp_gt_u32_e64 s8, 2, v12
	v_cmp_gt_u32_e64 s11, 5, v12
	;; [unrolled: 1-line block ×3, first 2 shown]
	s_and_b32 s83, s9, s7
	v_cmp_gt_u32_e64 s9, 3, v12
	s_and_b32 s31, s8, s7
	v_cmp_gt_u32_e64 s8, 16, v2
	s_and_b32 s82, s11, s7
	s_and_b32 s76, s12, s7
	;; [unrolled: 1-line block ×3, first 2 shown]
	v_cmp_eq_u32_e64 s9, 0, v12
	s_and_b32 s89, s4, s8
	v_cmp_gt_u32_e64 s8, 32, v2
	v_cmp_eq_u32_e64 s11, 2, v12
	v_cmp_eq_u32_e64 s12, 1, v12
	s_and_b32 s51, s14, s21
	v_cmp_gt_i32_e64 s10, s20, v2
	s_and_b32 s36, s9, s7
	s_xor_b32 s9, s51, -1
	s_and_b32 s8, s4, s8
	s_xor_b32 s91, vcc_lo, -1
	v_dual_lshlrev_b32 v64, 3, v12 :: v_dual_sub_nc_u32 v65, 0, v13
	s_and_b32 s29, s11, s7
	s_and_b32 s34, s12, s7
	v_dual_lshrrev_b32 v12, 5, v27 :: v_dual_bitop2_b32 v66, 31, v0 bitop3:0x40
	v_writelane_b32 v105, s8, 4
	s_and_b32 s52, s4, s9
	s_xor_b32 s24, s23, 0x80000000
	s_cmp_gt_i32 s88, 0
	v_cmp_gt_i32_e64 s2, s87, v10
	s_cselect_b32 s53, -1, 0
	s_and_b32 s10, s4, s10
	v_dual_sub_nc_u32 v67, v64, v13 :: v_dual_lshlrev_b32 v0, 9, v12
	v_lshlrev_b32_e32 v68, 3, v66
	v_subrev_nc_u32_e32 v18, 48, v15
	v_writelane_b32 v105, s10, 5
	v_cmp_gt_i32_e64 s10, s87, v6
	v_mul_lo_u32 v17, v55, 6
	v_dual_sub_nc_u32 v70, 0, v0 :: v_dual_sub_nc_u32 v71, v68, v0
	v_add_nc_u32_e32 v34, 48, v45
	v_subrev_nc_u32_e32 v19, 32, v15
	v_cmp_gt_i32_e64 s11, s87, v18
	s_and_b32 s10, s10, s2
	v_dual_sub_nc_u32 v48, 0, v16 :: v_dual_lshlrev_b32 v49, 3, v2
	v_writelane_b32 v105, s10, 6
	v_mul_u32_u24_e32 v16, 0x1f8, v2
	v_dual_add_nc_u32 v0, s18, v4 :: v_dual_add_nc_u32 v15, -16, v15
	v_dual_add_nc_u32 v18, v33, v14 :: v_dual_add_nc_u32 v14, v34, v14
	v_lshlrev_b32_e32 v80, 3, v23
	v_lshl_add_u32 v25, v34, 6, v2
	v_cmp_gt_i32_e64 s12, s87, v19
	s_and_b32 s10, s11, s2
	v_mad_u32 v26, v16, 7, v17
	v_writelane_b32 v105, s10, 7
	v_cndmask_b32_e32 v24, v24, v18, vcc_lo
	v_mul_u32_u24_e32 v28, 0x1f0, v2
	v_cndmask_b32_e32 v25, v25, v14, vcc_lo
	v_cmp_gt_i32_e32 vcc_lo, s87, v15
	s_and_b32 s10, s12, s2
	v_cmp_le_i32_e64 s11, s20, v45
	v_writelane_b32 v105, s10, 8
	s_clause 0x3
	s_load_b64 s[78:79], s[0:1], 0x40
	s_load_b64 s[80:81], s[0:1], 0x50
	s_load_b128 s[68:71], s[0:1], 0x8
	s_load_b128 s[72:75], s[0:1], 0x30
	s_wait_xcnt 0x0
	v_cmp_ge_u32_e64 s0, v2, v45
	s_and_b32 s10, vcc_lo, s2
	v_cmp_le_i32_e32 vcc_lo, s20, v31
	v_writelane_b32 v105, s10, 9
	s_or_b32 s11, s11, s14
	v_cmp_ge_u32_e64 s1, v2, v31
	s_or_b32 s11, s11, s0
	v_cmp_le_i32_e64 s10, s20, v33
	v_writelane_b32 v105, s11, 10
	s_or_b32 s11, vcc_lo, s14
	v_cmp_ge_u32_e64 s8, v2, v33
	s_or_b32 s11, s11, s1
	v_cmp_le_i32_e64 s12, s20, v34
	v_writelane_b32 v105, s11, 11
	s_or_b32 s10, s10, s14
	v_cmp_ge_u32_e64 s9, v2, v34
	s_or_b32 s10, s10, s8
	s_or_b32 s11, s12, s14
	v_writelane_b32 v105, s10, 12
	v_cmp_ne_u32_e64 s12, v2, v33
	s_or_b32 s10, s11, s9
	v_cmp_ne_u32_e64 s11, v2, v31
	v_mul_u64_e32 v[8:9], s[16:17], v[10:11]
	v_writelane_b32 v105, s10, 13
	v_cmp_ne_u32_e64 s10, v2, v45
	v_mad_nc_u64_u32 v[14:15], s16, v45, v[20:21]
	v_mad_nc_u64_u32 v[16:17], s16, v31, v[20:21]
	;; [unrolled: 1-line block ×4, first 2 shown]
	v_writelane_b32 v105, s10, 14
	s_or_b32 s10, s14, s10
	v_cmp_ne_u32_e64 s16, v2, v34
	s_mov_b32 s25, s23
	s_mov_b32 s23, s22
	v_writelane_b32 v105, s10, 15
	s_or_b32 s10, s14, s11
	v_dual_sub_nc_u32 v76, v26, v28 :: v_dual_bitop2_b32 v35, v31, v2 bitop3:0x54
	v_dual_lshlrev_b32 v78, 3, v22 :: v_dual_lshlrev_b32 v82, 3, v24
	v_writelane_b32 v105, s11, 16
	v_cmp_gt_u32_e64 s11, 64, v29
	v_dual_lshlrev_b32 v85, 3, v25 :: v_dual_bitop2_b32 v36, v33, v2 bitop3:0x54
	v_lshlrev_b32_e32 v22, 3, v45
	v_writelane_b32 v105, s10, 17
	s_or_b32 s10, s14, s12
                                        ; implicit-def: $vgpr104 : SGPR spill to VGPR lane
	v_or_b32_e32 v37, v34, v2
	v_mad_u32_u24 v51, 0x1f8, v2, v49
	v_lshl_add_u32 v69, v12, 3, 0x8000
	v_writelane_b32 v105, s12, 18
	v_add_nc_u64_e32 v[12:13], s[18:19], v[4:5]
	s_wait_kmcnt 0x0
	v_mul_u64_e32 v[10:11], s[78:79], v[10:11]
	v_mad_i32_i24 v56, 0xfffffe08, v2, v51
	v_or_b32_e32 v86, 0xa000, v22
	v_writelane_b32 v105, s10, 19
	s_or_b32 s10, s14, s16
	v_mad_u32 v15, s17, v45, v15
	v_mad_u32_u24 v58, 0x1f8, v2, v56
	v_mul_u64_e32 v[12:13], s[78:79], v[12:13]
	v_writelane_b32 v105, s16, 20
	v_mad_u32 v17, s17, v31, v17
	v_mad_u32 v19, s17, v33, v19
	v_mad_i32_i24 v5, 0xfffffe08, v2, v58
	v_mad_u32 v21, s17, v34, v21
	v_writelane_b32 v105, s10, 21
	v_lshlrev_b32_e32 v38, 9, v66
	v_mov_b64_e32 v[24:25], 0
	v_mad_u32_u24 v72, 0x1f8, v2, v5
	v_cmp_lt_u32_e32 vcc_lo, 0x3ff, v27
	v_writelane_b32 v105, s24, 22
	v_lshl_add_u32 v3, v3, 3, 0x8000
	v_lshl_add_u32 v88, v4, 3, 0xa000
	v_mad_i32_i24 v73, 0xfffffe08, v2, v72
	v_lshl_add_u32 v89, v27, 3, 0x8000
	v_writelane_b32 v105, s25, 23
	v_add_nc_u32_e32 v90, 0x8000, v49
	v_add_nc_u32_e32 v92, v86, v49
	v_mad_u32_u24 v74, 0x1f8, v2, v73
	v_or_b32_e32 v93, 0x3c00, v68
	v_writelane_b32 v105, s22, 24
	v_add_nc_u32_e32 v94, v68, v38
	v_subrev_nc_u32_e32 v95, 31, v66
	v_mad_i32_i24 v75, 0xfffffe08, v2, v74
	v_cmp_eq_u32_e64 s14, 0, v29
	v_writelane_b32 v105, s23, 25
	v_cmp_gt_u32_e64 s18, 2, v27
	v_cmp_gt_u32_e64 s19, 12, v27
	v_mad_u32_u24 v77, 0x1f8, v2, v75
	v_cmp_gt_u32_e64 s20, 8, v27
	v_writelane_b32 v105, s11, 26
	v_cmp_gt_u32_e64 s11, 64, v35
	v_cmp_gt_u32_e64 s21, 56, v27
	v_mad_i32_i24 v79, 0xfffffe08, v2, v77
	v_cmp_gt_u32_e64 s22, 48, v27
	v_cmp_gt_u32_e64 s23, 40, v27
	v_writelane_b32 v105, s11, 27
	v_cmp_gt_u32_e64 s11, 64, v36
	v_mad_u32_u24 v81, 0x1f8, v2, v79
	v_lshl_add_u32 v91, v45, 9, v79
	v_cmp_gt_u32_e64 s24, 32, v27
	v_cmp_gt_u32_e64 s25, 24, v27
	v_writelane_b32 v105, s11, 28
	v_cmp_gt_u32_e64 s11, 0xf0, v27
	v_mad_i32_i24 v83, 0xfffffe08, v2, v81
	v_cmp_gt_u32_e64 s38, 0x400, v27
	v_cmp_eq_u32_e64 s39, 0, v4
	v_cmp_gt_u32_e64 s40, 64, v4
	v_writelane_b32 v105, s11, 29
	v_cmp_gt_u32_e64 s11, 0xe0, v27
	v_mad_u32_u24 v84, 0x1f8, v2, v83
	s_xor_b32 s10, vcc_lo, -1
	s_lshl_b64 s[70:71], s[70:71], 3
	s_lshl_b64 s[74:75], s[74:75], 3
	v_writelane_b32 v105, s11, 30
	v_cmp_gt_u32_e64 s11, 0xd0, v27
	v_add_nc_u32_e32 v87, v84, v22
	v_mul_u64_e32 v[22:23], s[78:79], v[0:1]
                                        ; implicit-def: $vgpr26
                                        ; implicit-def: $vgpr28
                                        ; implicit-def: $vgpr30
                                        ; implicit-def: $vgpr32
	s_delay_alu instid0(VALU_DEP_3) | instskip(SKIP_1) | instid1(VALU_DEP_1)
	v_writelane_b32 v105, s11, 31
	v_cmp_gt_u32_e64 s11, 0xc0, v27
	v_writelane_b32 v104, s11, 0
	v_cmp_gt_u32_e64 s11, 0xb0, v27
	s_delay_alu instid0(VALU_DEP_1) | instskip(SKIP_1) | instid1(VALU_DEP_1)
	v_writelane_b32 v104, s11, 1
	v_cmp_gt_u32_e64 s11, 0xa0, v27
	v_writelane_b32 v104, s11, 2
	v_cmp_gt_u32_e64 s11, 0x90, v27
	s_delay_alu instid0(VALU_DEP_1) | instskip(SKIP_1) | instid1(VALU_DEP_1)
	;; [unrolled: 5-line block ×15, first 2 shown]
	v_writelane_b32 v104, s11, 29
	v_cmp_gt_u32_e64 s11, 0x140, v27
	v_writelane_b32 v104, s11, 30
	v_cmp_gt_u32_e64 s11, 0x120, v27
	s_delay_alu instid0(VALU_DEP_1)
	v_writelane_b32 v104, s11, 31
	s_branch .LBB162_3
.LBB162_2:                              ;   in Loop: Header=BB162_3 Depth=1
	s_wait_xcnt 0x0
	s_or_b32 exec_lo, exec_lo, s11
	s_add_co_i32 s66, s66, 0x10000
	global_wb scope:SCOPE_DEV
	s_wait_storecnt 0x0
	global_inv scope:SCOPE_DEV
	s_cmp_lt_u32 s66, s86
	s_cbranch_scc0 .LBB162_1174
.LBB162_3:                              ; =>This Loop Header: Depth=1
                                        ;     Child Loop BB162_569 Depth 2
                                        ;     Child Loop BB162_1010 Depth 2
                                        ;       Child Loop BB162_1012 Depth 3
                                        ;     Child Loop BB162_1056 Depth 2
	v_mov_b32_e32 v0, s66
	v_readlane_b32 s11, v105, 0
	s_clause 0x1
	global_load_b64 v[34:35], v0, s[68:69] scale_offset
	global_load_b64 v[36:37], v0, s[72:73] scale_offset
	s_and_not1_b32 vcc_lo, exec_lo, s11
	s_wait_loadcnt 0x1
	v_add_nc_u64_e32 v[38:39], s[70:71], v[34:35]
	s_delay_alu instid0(VALU_DEP_1)
	v_lshl_add_u64 v[34:35], v[8:9], 3, v[38:39]
	s_cbranch_vccz .LBB162_6
; %bb.4:                                ;   in Loop: Header=BB162_3 Depth=1
	s_and_not1_b32 vcc_lo, exec_lo, s90
	s_mov_b32 s11, -1
	s_cbranch_vccz .LBB162_15
.LBB162_5:                              ;   in Loop: Header=BB162_3 Depth=1
	s_and_b32 vcc_lo, exec_lo, s11
	s_cbranch_vccnz .LBB162_25
	s_branch .LBB162_82
.LBB162_6:                              ;   in Loop: Header=BB162_3 Depth=1
	s_delay_alu instid0(VALU_DEP_1)
	v_lshl_add_u64 v[40:41], v[6:7], 3, v[34:35]
	v_dual_mov_b32 v28, 0 :: v_dual_mov_b32 v26, 0
	v_mov_b32_e32 v27, 0
	s_wait_loadcnt 0x0
	s_barrier_signal -1
	s_barrier_wait -1
	s_wait_xcnt 0x0
	s_mov_b32 s11, exec_lo
	v_readlane_b32 s12, v105, 6
	s_and_b32 s12, s11, s12
	s_delay_alu instid0(SALU_CYCLE_1)
	s_mov_b32 exec_lo, s12
	s_cbranch_execz .LBB162_8
; %bb.7:                                ;   in Loop: Header=BB162_3 Depth=1
	flat_load_b64 v[26:27], v[40:41]
.LBB162_8:                              ;   in Loop: Header=BB162_3 Depth=1
	s_wait_xcnt 0x0
	s_or_b32 exec_lo, exec_lo, s11
	v_mov_b32_e32 v29, 0
	s_wait_loadcnt_dscnt 0x0
	s_barrier_signal -1
	s_barrier_wait -1
	s_mov_b32 s11, exec_lo
	v_readlane_b32 s12, v105, 7
	s_and_b32 s12, s11, s12
	s_delay_alu instid0(SALU_CYCLE_1)
	s_mov_b32 exec_lo, s12
	s_cbranch_execz .LBB162_10
; %bb.9:                                ;   in Loop: Header=BB162_3 Depth=1
	flat_load_b64 v[28:29], v[40:41] offset:128
.LBB162_10:                             ;   in Loop: Header=BB162_3 Depth=1
	s_wait_xcnt 0x0
	s_or_b32 exec_lo, exec_lo, s11
	v_dual_mov_b32 v33, 0 :: v_dual_mov_b32 v30, 0
	v_mov_b32_e32 v31, 0
	s_wait_loadcnt_dscnt 0x0
	s_barrier_signal -1
	s_barrier_wait -1
	s_mov_b32 s11, exec_lo
	v_readlane_b32 s12, v105, 8
	s_and_b32 s12, s11, s12
	s_delay_alu instid0(SALU_CYCLE_1)
	s_mov_b32 exec_lo, s12
	s_cbranch_execz .LBB162_12
; %bb.11:                               ;   in Loop: Header=BB162_3 Depth=1
	flat_load_b64 v[30:31], v[40:41] offset:256
.LBB162_12:                             ;   in Loop: Header=BB162_3 Depth=1
	s_wait_xcnt 0x0
	s_or_b32 exec_lo, exec_lo, s11
	v_mov_b32_e32 v32, 0
	s_wait_loadcnt_dscnt 0x0
	s_barrier_signal -1
	s_barrier_wait -1
	s_mov_b32 s11, exec_lo
	v_readlane_b32 s12, v105, 9
	s_and_b32 s12, s11, s12
	s_delay_alu instid0(SALU_CYCLE_1)
	s_mov_b32 exec_lo, s12
	s_cbranch_execz .LBB162_14
; %bb.13:                               ;   in Loop: Header=BB162_3 Depth=1
	flat_load_b64 v[32:33], v[40:41] offset:384
.LBB162_14:                             ;   in Loop: Header=BB162_3 Depth=1
	s_wait_xcnt 0x0
	s_or_b32 exec_lo, exec_lo, s11
	s_delay_alu instid0(SALU_CYCLE_1)
	s_and_not1_b32 vcc_lo, exec_lo, s90
	s_mov_b32 s11, -1
	s_cbranch_vccnz .LBB162_5
.LBB162_15:                             ;   in Loop: Header=BB162_3 Depth=1
	s_wait_xcnt 0x0
	s_and_saveexec_b32 s11, s0
	s_delay_alu instid0(SALU_CYCLE_1)
	s_xor_b32 s11, exec_lo, s11
	s_cbranch_execnz .LBB162_1069
; %bb.16:                               ;   in Loop: Header=BB162_3 Depth=1
	s_and_not1_saveexec_b32 s11, s11
	s_cbranch_execnz .LBB162_1080
.LBB162_17:                             ;   in Loop: Header=BB162_3 Depth=1
	s_or_b32 exec_lo, exec_lo, s11
	s_and_saveexec_b32 s11, s1
	s_delay_alu instid0(SALU_CYCLE_1)
	s_xor_b32 s11, exec_lo, s11
	s_cbranch_execnz .LBB162_1081
.LBB162_18:                             ;   in Loop: Header=BB162_3 Depth=1
	s_and_not1_saveexec_b32 s11, s11
	s_cbranch_execnz .LBB162_1092
.LBB162_19:                             ;   in Loop: Header=BB162_3 Depth=1
	s_or_b32 exec_lo, exec_lo, s11
	s_and_saveexec_b32 s11, s8
	s_delay_alu instid0(SALU_CYCLE_1)
	s_xor_b32 s11, exec_lo, s11
	s_cbranch_execnz .LBB162_1093
.LBB162_20:                             ;   in Loop: Header=BB162_3 Depth=1
	s_and_not1_saveexec_b32 s11, s11
	s_cbranch_execnz .LBB162_1104
.LBB162_21:                             ;   in Loop: Header=BB162_3 Depth=1
	s_or_b32 exec_lo, exec_lo, s11
	s_and_saveexec_b32 s11, s9
	s_delay_alu instid0(SALU_CYCLE_1)
	s_xor_b32 s11, exec_lo, s11
	s_cbranch_execnz .LBB162_1105
.LBB162_22:                             ;   in Loop: Header=BB162_3 Depth=1
	s_and_not1_saveexec_b32 s11, s11
	s_cbranch_execz .LBB162_24
.LBB162_23:                             ;   in Loop: Header=BB162_3 Depth=1
	v_lshl_add_u64 v[40:41], v[20:21], 3, v[38:39]
	flat_load_b64 v[40:41], v[40:41]
	s_wait_loadcnt_dscnt 0x0
	v_xor_b32_e32 v40, 0x80000000, v40
	ds_store_b64 v85, v[40:41]
.LBB162_24:                             ;   in Loop: Header=BB162_3 Depth=1
	s_or_b32 exec_lo, exec_lo, s11
	s_branch .LBB162_82
.LBB162_25:                             ;   in Loop: Header=BB162_3 Depth=1
	s_wait_xcnt 0x0
	s_mov_b32 s11, exec_lo
	v_readlane_b32 s12, v105, 10
	s_and_b32 s12, s11, s12
	s_delay_alu instid0(SALU_CYCLE_1)
	s_xor_b32 s11, s12, s11
	s_mov_b32 exec_lo, s12
	s_cbranch_execz .LBB162_37
; %bb.26:                               ;   in Loop: Header=BB162_3 Depth=1
	v_readlane_b32 s16, v105, 15
	s_and_saveexec_b32 s12, s16
	s_delay_alu instid0(SALU_CYCLE_1)
	s_xor_b32 s12, exec_lo, s12
	s_cbranch_execz .LBB162_30
; %bb.27:                               ;   in Loop: Header=BB162_3 Depth=1
	v_readlane_b32 s16, v105, 26
	s_and_saveexec_b32 s65, s16
; %bb.28:                               ;   in Loop: Header=BB162_3 Depth=1
	ds_store_b64 v87, v[24:25]
; %bb.29:                               ;   in Loop: Header=BB162_3 Depth=1
	s_or_b32 exec_lo, exec_lo, s65
.LBB162_30:                             ;   in Loop: Header=BB162_3 Depth=1
	s_and_not1_saveexec_b32 s65, s12
	s_cbranch_execz .LBB162_36
; %bb.31:                               ;   in Loop: Header=BB162_3 Depth=1
	v_lshl_add_u64 v[40:41], v[14:15], 3, v[38:39]
	s_mov_b32 s84, exec_lo
                                        ; implicit-def: $vgpr42_vgpr43
	flat_load_b64 v[40:41], v[40:41]
	s_wait_loadcnt_dscnt 0x0
	v_cmpx_ngt_f32_e64 |v40|, |v41|
	s_xor_b32 s84, exec_lo, s84
	s_cbranch_execz .LBB162_33
; %bb.32:                               ;   in Loop: Header=BB162_3 Depth=1
	v_div_scale_f32 v0, null, -v41, -v41, v40
	v_div_scale_f32 v44, vcc_lo, v40, -v41, v40
	s_delay_alu instid0(VALU_DEP_2) | instskip(SKIP_1) | instid1(TRANS32_DEP_1)
	v_rcp_f32_e32 v42, v0
	v_nop
	v_fma_f32 v43, -v0, v42, 1.0
	s_delay_alu instid0(VALU_DEP_1) | instskip(NEXT) | instid1(VALU_DEP_1)
	v_fmac_f32_e32 v42, v43, v42
	v_mul_f32_e32 v43, v44, v42
	s_delay_alu instid0(VALU_DEP_1) | instskip(NEXT) | instid1(VALU_DEP_1)
	v_fma_f32 v96, -v0, v43, v44
	v_fmac_f32_e32 v43, v96, v42
	s_delay_alu instid0(VALU_DEP_1) | instskip(NEXT) | instid1(VALU_DEP_1)
	v_fma_f32 v0, -v0, v43, v44
	v_div_fmas_f32 v0, v0, v42, v43
	s_delay_alu instid0(VALU_DEP_1) | instskip(NEXT) | instid1(VALU_DEP_1)
	v_div_fixup_f32 v0, v0, -v41, v40
	v_fma_f32 v40, v40, v0, -v41
	s_delay_alu instid0(VALU_DEP_1) | instskip(SKIP_1) | instid1(VALU_DEP_2)
	v_div_scale_f32 v41, null, v40, v40, 1.0
	v_div_scale_f32 v44, vcc_lo, 1.0, v40, 1.0
	v_rcp_f32_e32 v42, v41
	v_nop
	s_delay_alu instid0(TRANS32_DEP_1) | instskip(NEXT) | instid1(VALU_DEP_1)
	v_fma_f32 v43, -v41, v42, 1.0
	v_fmac_f32_e32 v42, v43, v42
	s_delay_alu instid0(VALU_DEP_1) | instskip(NEXT) | instid1(VALU_DEP_1)
	v_mul_f32_e32 v43, v44, v42
	v_fma_f32 v96, -v41, v43, v44
	s_delay_alu instid0(VALU_DEP_1) | instskip(NEXT) | instid1(VALU_DEP_1)
	v_fmac_f32_e32 v43, v96, v42
	v_fma_f32 v41, -v41, v43, v44
	s_delay_alu instid0(VALU_DEP_1) | instskip(NEXT) | instid1(VALU_DEP_1)
	v_div_fmas_f32 v41, v41, v42, v43
	v_div_fixup_f32 v40, v41, v40, 1.0
	s_delay_alu instid0(VALU_DEP_1)
	v_mul_f32_e32 v42, v0, v40
	v_xor_b32_e32 v43, 0x80000000, v40
                                        ; implicit-def: $vgpr40_vgpr41
.LBB162_33:                             ;   in Loop: Header=BB162_3 Depth=1
	s_and_not1_saveexec_b32 s84, s84
	s_cbranch_execz .LBB162_35
; %bb.34:                               ;   in Loop: Header=BB162_3 Depth=1
	v_div_scale_f32 v0, null, v40, v40, -v41
	v_div_scale_f32 v44, vcc_lo, -v41, v40, -v41
	s_delay_alu instid0(VALU_DEP_2) | instskip(SKIP_1) | instid1(TRANS32_DEP_1)
	v_rcp_f32_e32 v42, v0
	v_nop
	v_fma_f32 v43, -v0, v42, 1.0
	s_delay_alu instid0(VALU_DEP_1) | instskip(NEXT) | instid1(VALU_DEP_1)
	v_fmac_f32_e32 v42, v43, v42
	v_mul_f32_e32 v43, v44, v42
	s_delay_alu instid0(VALU_DEP_1) | instskip(NEXT) | instid1(VALU_DEP_1)
	v_fma_f32 v96, -v0, v43, v44
	v_fmac_f32_e32 v43, v96, v42
	s_delay_alu instid0(VALU_DEP_1) | instskip(NEXT) | instid1(VALU_DEP_1)
	v_fma_f32 v0, -v0, v43, v44
	v_div_fmas_f32 v0, v0, v42, v43
	s_delay_alu instid0(VALU_DEP_1) | instskip(NEXT) | instid1(VALU_DEP_1)
	v_div_fixup_f32 v0, v0, v40, -v41
	v_fma_f32 v40, -v41, v0, v40
	s_delay_alu instid0(VALU_DEP_1) | instskip(NEXT) | instid1(VALU_DEP_1)
	v_div_scale_f32 v41, null, v40, v40, 1.0
	v_rcp_f32_e32 v42, v41
	v_nop
	s_delay_alu instid0(TRANS32_DEP_1) | instskip(NEXT) | instid1(VALU_DEP_1)
	v_fma_f32 v43, -v41, v42, 1.0
	v_fmac_f32_e32 v42, v43, v42
	v_div_scale_f32 v43, vcc_lo, 1.0, v40, 1.0
	s_delay_alu instid0(VALU_DEP_1) | instskip(NEXT) | instid1(VALU_DEP_1)
	v_mul_f32_e32 v44, v43, v42
	v_fma_f32 v96, -v41, v44, v43
	s_delay_alu instid0(VALU_DEP_1) | instskip(NEXT) | instid1(VALU_DEP_1)
	v_fmac_f32_e32 v44, v96, v42
	v_fma_f32 v41, -v41, v44, v43
	s_delay_alu instid0(VALU_DEP_1) | instskip(NEXT) | instid1(VALU_DEP_1)
	v_div_fmas_f32 v41, v41, v42, v44
	v_div_fixup_f32 v42, v41, v40, 1.0
	s_delay_alu instid0(VALU_DEP_1)
	v_mul_f32_e64 v43, v0, -v42
.LBB162_35:                             ;   in Loop: Header=BB162_3 Depth=1
	s_or_b32 exec_lo, exec_lo, s84
	ds_store_b64 v87, v[42:43]
.LBB162_36:                             ;   in Loop: Header=BB162_3 Depth=1
	s_or_b32 exec_lo, exec_lo, s65
.LBB162_37:                             ;   in Loop: Header=BB162_3 Depth=1
	s_and_not1_saveexec_b32 s11, s11
	s_cbranch_execz .LBB162_39
; %bb.38:                               ;   in Loop: Header=BB162_3 Depth=1
	v_lshl_add_u64 v[40:41], v[14:15], 3, v[38:39]
	flat_load_b64 v[40:41], v[40:41]
	s_wait_loadcnt_dscnt 0x0
	v_xor_b32_e32 v40, 0x80000000, v40
	ds_store_b64 v87, v[40:41]
.LBB162_39:                             ;   in Loop: Header=BB162_3 Depth=1
	s_or_b32 exec_lo, exec_lo, s11
	s_delay_alu instid0(SALU_CYCLE_1) | instskip(SKIP_2) | instid1(SALU_CYCLE_1)
	s_mov_b32 s11, exec_lo
	v_readlane_b32 s12, v105, 11
	s_and_b32 s12, s11, s12
	s_xor_b32 s11, s12, s11
	s_mov_b32 exec_lo, s12
	s_cbranch_execz .LBB162_51
; %bb.40:                               ;   in Loop: Header=BB162_3 Depth=1
	v_readlane_b32 s16, v105, 17
	s_and_saveexec_b32 s12, s16
	s_delay_alu instid0(SALU_CYCLE_1)
	s_xor_b32 s12, exec_lo, s12
	s_cbranch_execz .LBB162_44
; %bb.41:                               ;   in Loop: Header=BB162_3 Depth=1
	v_readlane_b32 s16, v105, 27
	s_and_saveexec_b32 s65, s16
; %bb.42:                               ;   in Loop: Header=BB162_3 Depth=1
	ds_store_b64 v80, v[24:25]
; %bb.43:                               ;   in Loop: Header=BB162_3 Depth=1
	s_or_b32 exec_lo, exec_lo, s65
.LBB162_44:                             ;   in Loop: Header=BB162_3 Depth=1
	s_and_not1_saveexec_b32 s65, s12
	s_cbranch_execz .LBB162_50
; %bb.45:                               ;   in Loop: Header=BB162_3 Depth=1
	v_lshl_add_u64 v[40:41], v[16:17], 3, v[38:39]
	s_mov_b32 s84, exec_lo
                                        ; implicit-def: $vgpr42_vgpr43
	flat_load_b64 v[40:41], v[40:41]
	s_wait_loadcnt_dscnt 0x0
	v_cmpx_ngt_f32_e64 |v40|, |v41|
	s_xor_b32 s84, exec_lo, s84
	s_cbranch_execz .LBB162_47
; %bb.46:                               ;   in Loop: Header=BB162_3 Depth=1
	v_div_scale_f32 v0, null, -v41, -v41, v40
	v_div_scale_f32 v44, vcc_lo, v40, -v41, v40
	s_delay_alu instid0(VALU_DEP_2) | instskip(SKIP_1) | instid1(TRANS32_DEP_1)
	v_rcp_f32_e32 v42, v0
	v_nop
	v_fma_f32 v43, -v0, v42, 1.0
	s_delay_alu instid0(VALU_DEP_1) | instskip(NEXT) | instid1(VALU_DEP_1)
	v_fmac_f32_e32 v42, v43, v42
	v_mul_f32_e32 v43, v44, v42
	s_delay_alu instid0(VALU_DEP_1) | instskip(NEXT) | instid1(VALU_DEP_1)
	v_fma_f32 v96, -v0, v43, v44
	v_fmac_f32_e32 v43, v96, v42
	s_delay_alu instid0(VALU_DEP_1) | instskip(NEXT) | instid1(VALU_DEP_1)
	v_fma_f32 v0, -v0, v43, v44
	v_div_fmas_f32 v0, v0, v42, v43
	s_delay_alu instid0(VALU_DEP_1) | instskip(NEXT) | instid1(VALU_DEP_1)
	v_div_fixup_f32 v0, v0, -v41, v40
	v_fma_f32 v40, v40, v0, -v41
	s_delay_alu instid0(VALU_DEP_1) | instskip(SKIP_1) | instid1(VALU_DEP_2)
	v_div_scale_f32 v41, null, v40, v40, 1.0
	v_div_scale_f32 v44, vcc_lo, 1.0, v40, 1.0
	v_rcp_f32_e32 v42, v41
	v_nop
	s_delay_alu instid0(TRANS32_DEP_1) | instskip(NEXT) | instid1(VALU_DEP_1)
	v_fma_f32 v43, -v41, v42, 1.0
	v_fmac_f32_e32 v42, v43, v42
	s_delay_alu instid0(VALU_DEP_1) | instskip(NEXT) | instid1(VALU_DEP_1)
	v_mul_f32_e32 v43, v44, v42
	v_fma_f32 v96, -v41, v43, v44
	s_delay_alu instid0(VALU_DEP_1) | instskip(NEXT) | instid1(VALU_DEP_1)
	v_fmac_f32_e32 v43, v96, v42
	v_fma_f32 v41, -v41, v43, v44
	s_delay_alu instid0(VALU_DEP_1) | instskip(NEXT) | instid1(VALU_DEP_1)
	v_div_fmas_f32 v41, v41, v42, v43
	v_div_fixup_f32 v40, v41, v40, 1.0
	s_delay_alu instid0(VALU_DEP_1)
	v_mul_f32_e32 v42, v0, v40
	v_xor_b32_e32 v43, 0x80000000, v40
                                        ; implicit-def: $vgpr40_vgpr41
.LBB162_47:                             ;   in Loop: Header=BB162_3 Depth=1
	s_and_not1_saveexec_b32 s84, s84
	s_cbranch_execz .LBB162_49
; %bb.48:                               ;   in Loop: Header=BB162_3 Depth=1
	v_div_scale_f32 v0, null, v40, v40, -v41
	v_div_scale_f32 v44, vcc_lo, -v41, v40, -v41
	s_delay_alu instid0(VALU_DEP_2) | instskip(SKIP_1) | instid1(TRANS32_DEP_1)
	v_rcp_f32_e32 v42, v0
	v_nop
	v_fma_f32 v43, -v0, v42, 1.0
	s_delay_alu instid0(VALU_DEP_1) | instskip(NEXT) | instid1(VALU_DEP_1)
	v_fmac_f32_e32 v42, v43, v42
	v_mul_f32_e32 v43, v44, v42
	s_delay_alu instid0(VALU_DEP_1) | instskip(NEXT) | instid1(VALU_DEP_1)
	v_fma_f32 v96, -v0, v43, v44
	v_fmac_f32_e32 v43, v96, v42
	s_delay_alu instid0(VALU_DEP_1) | instskip(NEXT) | instid1(VALU_DEP_1)
	v_fma_f32 v0, -v0, v43, v44
	v_div_fmas_f32 v0, v0, v42, v43
	s_delay_alu instid0(VALU_DEP_1) | instskip(NEXT) | instid1(VALU_DEP_1)
	v_div_fixup_f32 v0, v0, v40, -v41
	v_fma_f32 v40, -v41, v0, v40
	s_delay_alu instid0(VALU_DEP_1) | instskip(NEXT) | instid1(VALU_DEP_1)
	v_div_scale_f32 v41, null, v40, v40, 1.0
	v_rcp_f32_e32 v42, v41
	v_nop
	s_delay_alu instid0(TRANS32_DEP_1) | instskip(NEXT) | instid1(VALU_DEP_1)
	v_fma_f32 v43, -v41, v42, 1.0
	v_fmac_f32_e32 v42, v43, v42
	v_div_scale_f32 v43, vcc_lo, 1.0, v40, 1.0
	s_delay_alu instid0(VALU_DEP_1) | instskip(NEXT) | instid1(VALU_DEP_1)
	v_mul_f32_e32 v44, v43, v42
	v_fma_f32 v96, -v41, v44, v43
	s_delay_alu instid0(VALU_DEP_1) | instskip(NEXT) | instid1(VALU_DEP_1)
	v_fmac_f32_e32 v44, v96, v42
	v_fma_f32 v41, -v41, v44, v43
	s_delay_alu instid0(VALU_DEP_1) | instskip(NEXT) | instid1(VALU_DEP_1)
	v_div_fmas_f32 v41, v41, v42, v44
	v_div_fixup_f32 v42, v41, v40, 1.0
	s_delay_alu instid0(VALU_DEP_1)
	v_mul_f32_e64 v43, v0, -v42
.LBB162_49:                             ;   in Loop: Header=BB162_3 Depth=1
	s_or_b32 exec_lo, exec_lo, s84
	ds_store_b64 v80, v[42:43]
.LBB162_50:                             ;   in Loop: Header=BB162_3 Depth=1
	s_or_b32 exec_lo, exec_lo, s65
.LBB162_51:                             ;   in Loop: Header=BB162_3 Depth=1
	s_and_not1_saveexec_b32 s11, s11
	s_cbranch_execz .LBB162_53
; %bb.52:                               ;   in Loop: Header=BB162_3 Depth=1
	v_lshl_add_u64 v[40:41], v[16:17], 3, v[38:39]
	flat_load_b64 v[40:41], v[40:41]
	s_wait_loadcnt_dscnt 0x0
	v_xor_b32_e32 v40, 0x80000000, v40
	ds_store_b64 v80, v[40:41]
.LBB162_53:                             ;   in Loop: Header=BB162_3 Depth=1
	s_or_b32 exec_lo, exec_lo, s11
	s_delay_alu instid0(SALU_CYCLE_1) | instskip(SKIP_2) | instid1(SALU_CYCLE_1)
	s_mov_b32 s11, exec_lo
	v_readlane_b32 s12, v105, 12
	s_and_b32 s12, s11, s12
	s_xor_b32 s11, s12, s11
	s_mov_b32 exec_lo, s12
	s_cbranch_execz .LBB162_65
; %bb.54:                               ;   in Loop: Header=BB162_3 Depth=1
	v_readlane_b32 s16, v105, 19
	s_and_saveexec_b32 s12, s16
	s_delay_alu instid0(SALU_CYCLE_1)
	s_xor_b32 s12, exec_lo, s12
	s_cbranch_execz .LBB162_58
; %bb.55:                               ;   in Loop: Header=BB162_3 Depth=1
	v_readlane_b32 s16, v105, 28
	s_and_saveexec_b32 s65, s16
; %bb.56:                               ;   in Loop: Header=BB162_3 Depth=1
	ds_store_b64 v82, v[24:25]
; %bb.57:                               ;   in Loop: Header=BB162_3 Depth=1
	s_or_b32 exec_lo, exec_lo, s65
.LBB162_58:                             ;   in Loop: Header=BB162_3 Depth=1
	s_and_not1_saveexec_b32 s65, s12
	s_cbranch_execz .LBB162_64
; %bb.59:                               ;   in Loop: Header=BB162_3 Depth=1
	v_lshl_add_u64 v[40:41], v[18:19], 3, v[38:39]
	s_mov_b32 s84, exec_lo
                                        ; implicit-def: $vgpr42_vgpr43
	flat_load_b64 v[40:41], v[40:41]
	s_wait_loadcnt_dscnt 0x0
	v_cmpx_ngt_f32_e64 |v40|, |v41|
	s_xor_b32 s84, exec_lo, s84
	s_cbranch_execz .LBB162_61
; %bb.60:                               ;   in Loop: Header=BB162_3 Depth=1
	v_div_scale_f32 v0, null, -v41, -v41, v40
	v_div_scale_f32 v44, vcc_lo, v40, -v41, v40
	s_delay_alu instid0(VALU_DEP_2) | instskip(SKIP_1) | instid1(TRANS32_DEP_1)
	v_rcp_f32_e32 v42, v0
	v_nop
	v_fma_f32 v43, -v0, v42, 1.0
	s_delay_alu instid0(VALU_DEP_1) | instskip(NEXT) | instid1(VALU_DEP_1)
	v_fmac_f32_e32 v42, v43, v42
	v_mul_f32_e32 v43, v44, v42
	s_delay_alu instid0(VALU_DEP_1) | instskip(NEXT) | instid1(VALU_DEP_1)
	v_fma_f32 v96, -v0, v43, v44
	v_fmac_f32_e32 v43, v96, v42
	s_delay_alu instid0(VALU_DEP_1) | instskip(NEXT) | instid1(VALU_DEP_1)
	v_fma_f32 v0, -v0, v43, v44
	v_div_fmas_f32 v0, v0, v42, v43
	s_delay_alu instid0(VALU_DEP_1) | instskip(NEXT) | instid1(VALU_DEP_1)
	v_div_fixup_f32 v0, v0, -v41, v40
	v_fma_f32 v40, v40, v0, -v41
	s_delay_alu instid0(VALU_DEP_1) | instskip(SKIP_1) | instid1(VALU_DEP_2)
	v_div_scale_f32 v41, null, v40, v40, 1.0
	v_div_scale_f32 v44, vcc_lo, 1.0, v40, 1.0
	v_rcp_f32_e32 v42, v41
	v_nop
	s_delay_alu instid0(TRANS32_DEP_1) | instskip(NEXT) | instid1(VALU_DEP_1)
	v_fma_f32 v43, -v41, v42, 1.0
	v_fmac_f32_e32 v42, v43, v42
	s_delay_alu instid0(VALU_DEP_1) | instskip(NEXT) | instid1(VALU_DEP_1)
	v_mul_f32_e32 v43, v44, v42
	v_fma_f32 v96, -v41, v43, v44
	s_delay_alu instid0(VALU_DEP_1) | instskip(NEXT) | instid1(VALU_DEP_1)
	v_fmac_f32_e32 v43, v96, v42
	v_fma_f32 v41, -v41, v43, v44
	s_delay_alu instid0(VALU_DEP_1) | instskip(NEXT) | instid1(VALU_DEP_1)
	v_div_fmas_f32 v41, v41, v42, v43
	v_div_fixup_f32 v40, v41, v40, 1.0
	s_delay_alu instid0(VALU_DEP_1)
	v_mul_f32_e32 v42, v0, v40
	v_xor_b32_e32 v43, 0x80000000, v40
                                        ; implicit-def: $vgpr40_vgpr41
.LBB162_61:                             ;   in Loop: Header=BB162_3 Depth=1
	s_and_not1_saveexec_b32 s84, s84
	s_cbranch_execz .LBB162_63
; %bb.62:                               ;   in Loop: Header=BB162_3 Depth=1
	v_div_scale_f32 v0, null, v40, v40, -v41
	v_div_scale_f32 v44, vcc_lo, -v41, v40, -v41
	s_delay_alu instid0(VALU_DEP_2) | instskip(SKIP_1) | instid1(TRANS32_DEP_1)
	v_rcp_f32_e32 v42, v0
	v_nop
	v_fma_f32 v43, -v0, v42, 1.0
	s_delay_alu instid0(VALU_DEP_1) | instskip(NEXT) | instid1(VALU_DEP_1)
	v_fmac_f32_e32 v42, v43, v42
	v_mul_f32_e32 v43, v44, v42
	s_delay_alu instid0(VALU_DEP_1) | instskip(NEXT) | instid1(VALU_DEP_1)
	v_fma_f32 v96, -v0, v43, v44
	v_fmac_f32_e32 v43, v96, v42
	s_delay_alu instid0(VALU_DEP_1) | instskip(NEXT) | instid1(VALU_DEP_1)
	v_fma_f32 v0, -v0, v43, v44
	v_div_fmas_f32 v0, v0, v42, v43
	s_delay_alu instid0(VALU_DEP_1) | instskip(NEXT) | instid1(VALU_DEP_1)
	v_div_fixup_f32 v0, v0, v40, -v41
	v_fma_f32 v40, -v41, v0, v40
	s_delay_alu instid0(VALU_DEP_1) | instskip(NEXT) | instid1(VALU_DEP_1)
	v_div_scale_f32 v41, null, v40, v40, 1.0
	v_rcp_f32_e32 v42, v41
	v_nop
	s_delay_alu instid0(TRANS32_DEP_1) | instskip(NEXT) | instid1(VALU_DEP_1)
	v_fma_f32 v43, -v41, v42, 1.0
	v_fmac_f32_e32 v42, v43, v42
	v_div_scale_f32 v43, vcc_lo, 1.0, v40, 1.0
	s_delay_alu instid0(VALU_DEP_1) | instskip(NEXT) | instid1(VALU_DEP_1)
	v_mul_f32_e32 v44, v43, v42
	v_fma_f32 v96, -v41, v44, v43
	s_delay_alu instid0(VALU_DEP_1) | instskip(NEXT) | instid1(VALU_DEP_1)
	v_fmac_f32_e32 v44, v96, v42
	v_fma_f32 v41, -v41, v44, v43
	s_delay_alu instid0(VALU_DEP_1) | instskip(NEXT) | instid1(VALU_DEP_1)
	v_div_fmas_f32 v41, v41, v42, v44
	v_div_fixup_f32 v42, v41, v40, 1.0
	s_delay_alu instid0(VALU_DEP_1)
	v_mul_f32_e64 v43, v0, -v42
.LBB162_63:                             ;   in Loop: Header=BB162_3 Depth=1
	s_or_b32 exec_lo, exec_lo, s84
	ds_store_b64 v82, v[42:43]
.LBB162_64:                             ;   in Loop: Header=BB162_3 Depth=1
	s_or_b32 exec_lo, exec_lo, s65
.LBB162_65:                             ;   in Loop: Header=BB162_3 Depth=1
	s_and_not1_saveexec_b32 s11, s11
	s_cbranch_execz .LBB162_67
; %bb.66:                               ;   in Loop: Header=BB162_3 Depth=1
	v_lshl_add_u64 v[40:41], v[18:19], 3, v[38:39]
	flat_load_b64 v[40:41], v[40:41]
	s_wait_loadcnt_dscnt 0x0
	v_xor_b32_e32 v40, 0x80000000, v40
	ds_store_b64 v82, v[40:41]
.LBB162_67:                             ;   in Loop: Header=BB162_3 Depth=1
	s_or_b32 exec_lo, exec_lo, s11
	s_delay_alu instid0(SALU_CYCLE_1) | instskip(SKIP_2) | instid1(SALU_CYCLE_1)
	s_mov_b32 s11, exec_lo
	v_readlane_b32 s12, v105, 13
	s_and_b32 s12, s11, s12
	s_xor_b32 s11, s12, s11
	s_mov_b32 exec_lo, s12
	s_cbranch_execz .LBB162_79
; %bb.68:                               ;   in Loop: Header=BB162_3 Depth=1
	v_readlane_b32 s16, v105, 21
	s_and_saveexec_b32 s12, s16
	s_delay_alu instid0(SALU_CYCLE_1)
	s_xor_b32 s12, exec_lo, s12
	s_cbranch_execz .LBB162_72
; %bb.69:                               ;   in Loop: Header=BB162_3 Depth=1
	v_readlane_b32 s16, v104, 8
	s_and_saveexec_b32 s65, s16
; %bb.70:                               ;   in Loop: Header=BB162_3 Depth=1
	ds_store_b64 v85, v[24:25]
; %bb.71:                               ;   in Loop: Header=BB162_3 Depth=1
	s_or_b32 exec_lo, exec_lo, s65
                                        ; implicit-def: $vgpr38_vgpr39
.LBB162_72:                             ;   in Loop: Header=BB162_3 Depth=1
	s_and_not1_saveexec_b32 s65, s12
	s_cbranch_execz .LBB162_78
; %bb.73:                               ;   in Loop: Header=BB162_3 Depth=1
	v_lshl_add_u64 v[38:39], v[20:21], 3, v[38:39]
	s_mov_b32 s84, exec_lo
                                        ; implicit-def: $vgpr40_vgpr41
	flat_load_b64 v[38:39], v[38:39]
	s_wait_loadcnt_dscnt 0x0
	v_cmpx_ngt_f32_e64 |v38|, |v39|
	s_xor_b32 s84, exec_lo, s84
	s_cbranch_execz .LBB162_75
; %bb.74:                               ;   in Loop: Header=BB162_3 Depth=1
	v_div_scale_f32 v0, null, -v39, -v39, v38
	v_div_scale_f32 v42, vcc_lo, v38, -v39, v38
	s_delay_alu instid0(VALU_DEP_2) | instskip(SKIP_1) | instid1(TRANS32_DEP_1)
	v_rcp_f32_e32 v40, v0
	v_nop
	v_fma_f32 v41, -v0, v40, 1.0
	s_delay_alu instid0(VALU_DEP_1) | instskip(NEXT) | instid1(VALU_DEP_1)
	v_fmac_f32_e32 v40, v41, v40
	v_mul_f32_e32 v41, v42, v40
	s_delay_alu instid0(VALU_DEP_1) | instskip(NEXT) | instid1(VALU_DEP_1)
	v_fma_f32 v43, -v0, v41, v42
	v_fmac_f32_e32 v41, v43, v40
	s_delay_alu instid0(VALU_DEP_1) | instskip(NEXT) | instid1(VALU_DEP_1)
	v_fma_f32 v0, -v0, v41, v42
	v_div_fmas_f32 v0, v0, v40, v41
	s_delay_alu instid0(VALU_DEP_1) | instskip(NEXT) | instid1(VALU_DEP_1)
	v_div_fixup_f32 v0, v0, -v39, v38
	v_fma_f32 v38, v38, v0, -v39
	s_delay_alu instid0(VALU_DEP_1) | instskip(SKIP_1) | instid1(VALU_DEP_2)
	v_div_scale_f32 v39, null, v38, v38, 1.0
	v_div_scale_f32 v42, vcc_lo, 1.0, v38, 1.0
	v_rcp_f32_e32 v40, v39
	v_nop
	s_delay_alu instid0(TRANS32_DEP_1) | instskip(NEXT) | instid1(VALU_DEP_1)
	v_fma_f32 v41, -v39, v40, 1.0
	v_fmac_f32_e32 v40, v41, v40
	s_delay_alu instid0(VALU_DEP_1) | instskip(NEXT) | instid1(VALU_DEP_1)
	v_mul_f32_e32 v41, v42, v40
	v_fma_f32 v43, -v39, v41, v42
	s_delay_alu instid0(VALU_DEP_1) | instskip(NEXT) | instid1(VALU_DEP_1)
	v_fmac_f32_e32 v41, v43, v40
	v_fma_f32 v39, -v39, v41, v42
	s_delay_alu instid0(VALU_DEP_1) | instskip(NEXT) | instid1(VALU_DEP_1)
	v_div_fmas_f32 v39, v39, v40, v41
	v_div_fixup_f32 v38, v39, v38, 1.0
	s_delay_alu instid0(VALU_DEP_1)
	v_mul_f32_e32 v40, v0, v38
	v_xor_b32_e32 v41, 0x80000000, v38
                                        ; implicit-def: $vgpr38_vgpr39
.LBB162_75:                             ;   in Loop: Header=BB162_3 Depth=1
	s_and_not1_saveexec_b32 s84, s84
	s_cbranch_execz .LBB162_77
; %bb.76:                               ;   in Loop: Header=BB162_3 Depth=1
	v_div_scale_f32 v0, null, v38, v38, -v39
	v_div_scale_f32 v42, vcc_lo, -v39, v38, -v39
	s_delay_alu instid0(VALU_DEP_2) | instskip(SKIP_1) | instid1(TRANS32_DEP_1)
	v_rcp_f32_e32 v40, v0
	v_nop
	v_fma_f32 v41, -v0, v40, 1.0
	s_delay_alu instid0(VALU_DEP_1) | instskip(NEXT) | instid1(VALU_DEP_1)
	v_fmac_f32_e32 v40, v41, v40
	v_mul_f32_e32 v41, v42, v40
	s_delay_alu instid0(VALU_DEP_1) | instskip(NEXT) | instid1(VALU_DEP_1)
	v_fma_f32 v43, -v0, v41, v42
	v_fmac_f32_e32 v41, v43, v40
	s_delay_alu instid0(VALU_DEP_1) | instskip(NEXT) | instid1(VALU_DEP_1)
	v_fma_f32 v0, -v0, v41, v42
	v_div_fmas_f32 v0, v0, v40, v41
	s_delay_alu instid0(VALU_DEP_1) | instskip(NEXT) | instid1(VALU_DEP_1)
	v_div_fixup_f32 v0, v0, v38, -v39
	v_fma_f32 v38, -v39, v0, v38
	s_delay_alu instid0(VALU_DEP_1) | instskip(NEXT) | instid1(VALU_DEP_1)
	v_div_scale_f32 v39, null, v38, v38, 1.0
	v_rcp_f32_e32 v40, v39
	v_nop
	s_delay_alu instid0(TRANS32_DEP_1) | instskip(NEXT) | instid1(VALU_DEP_1)
	v_fma_f32 v41, -v39, v40, 1.0
	v_fmac_f32_e32 v40, v41, v40
	v_div_scale_f32 v41, vcc_lo, 1.0, v38, 1.0
	s_delay_alu instid0(VALU_DEP_1) | instskip(NEXT) | instid1(VALU_DEP_1)
	v_mul_f32_e32 v42, v41, v40
	v_fma_f32 v43, -v39, v42, v41
	s_delay_alu instid0(VALU_DEP_1) | instskip(NEXT) | instid1(VALU_DEP_1)
	v_fmac_f32_e32 v42, v43, v40
	v_fma_f32 v39, -v39, v42, v41
	s_delay_alu instid0(VALU_DEP_1) | instskip(NEXT) | instid1(VALU_DEP_1)
	v_div_fmas_f32 v39, v39, v40, v42
	v_div_fixup_f32 v40, v39, v38, 1.0
	s_delay_alu instid0(VALU_DEP_1)
	v_mul_f32_e64 v41, v0, -v40
.LBB162_77:                             ;   in Loop: Header=BB162_3 Depth=1
	s_or_b32 exec_lo, exec_lo, s84
	ds_store_b64 v85, v[40:41]
.LBB162_78:                             ;   in Loop: Header=BB162_3 Depth=1
	s_or_b32 exec_lo, exec_lo, s65
                                        ; implicit-def: $vgpr38_vgpr39
.LBB162_79:                             ;   in Loop: Header=BB162_3 Depth=1
	s_and_not1_saveexec_b32 s11, s11
	s_cbranch_execz .LBB162_81
; %bb.80:                               ;   in Loop: Header=BB162_3 Depth=1
	v_lshl_add_u64 v[38:39], v[20:21], 3, v[38:39]
	flat_load_b64 v[38:39], v[38:39]
	s_wait_loadcnt_dscnt 0x0
	v_xor_b32_e32 v38, 0x80000000, v38
	ds_store_b64 v85, v[38:39]
.LBB162_81:                             ;   in Loop: Header=BB162_3 Depth=1
	s_or_b32 exec_lo, exec_lo, s11
.LBB162_82:                             ;   in Loop: Header=BB162_3 Depth=1
	s_delay_alu instid0(SALU_CYCLE_1)
	s_and_not1_b32 vcc_lo, exec_lo, s91
	s_wait_loadcnt_dscnt 0x0
	s_barrier_signal -1
	s_barrier_wait -1
	s_cbranch_vccnz .LBB162_1004
; %bb.83:                               ;   in Loop: Header=BB162_3 Depth=1
	s_wait_xcnt 0x0
	s_and_saveexec_b32 s11, s14
	s_cbranch_execz .LBB162_85
; %bb.84:                               ;   in Loop: Header=BB162_3 Depth=1
	v_add_nc_u32_e64 v0, 0x1f0, 0
	ds_load_b64 v[42:43], v1 offset:32760
	ds_load_2addr_stride64_b64 v[38:41], v0 offset0:62 offset1:63
	s_wait_dscnt 0x0
	v_dual_mul_f32 v44, v43, v39 :: v_dual_mul_f32 v0, v42, v39
	s_delay_alu instid0(VALU_DEP_1) | instskip(NEXT) | instid1(VALU_DEP_2)
	v_xor_b32_e32 v44, 0x80000000, v44
	v_fmac_f32_e32 v0, v43, v38
	s_delay_alu instid0(VALU_DEP_2) | instskip(NEXT) | instid1(VALU_DEP_2)
	v_fmac_f32_e32 v44, v42, v38
	v_pk_mul_f32 v[38:39], v[0:1], v[40:41] op_sel:[0,1] op_sel_hi:[0,0]
	v_add_nc_u32_e64 v0, 0x7800, 0
	s_delay_alu instid0(VALU_DEP_2) | instskip(SKIP_1) | instid1(VALU_DEP_2)
	v_pk_fma_f32 v[42:43], v[44:45], v[40:41], v[38:39] op_sel_hi:[0,1,1]
	v_pk_fma_f32 v[38:39], v[44:45], v[40:41], v[38:39] neg_lo:[0,0,1] neg_hi:[0,0,1]
	v_mov_b32_e32 v39, v43
	ds_store_2addr_b64 v0, v[38:39], v[38:39] offset0:191 offset1:254
.LBB162_85:                             ;   in Loop: Header=BB162_3 Depth=1
	s_or_b32 exec_lo, exec_lo, s11
	v_dual_mov_b32 v38, 0 :: v_dual_mov_b32 v39, 0
	s_wait_dscnt 0x0
	s_barrier_signal -1
	s_barrier_wait -1
	global_wb scope:SCOPE_DEV
	s_wait_storecnt 0x0
	global_inv scope:SCOPE_DEV
	s_and_saveexec_b32 s11, s3
	s_cbranch_execz .LBB162_89
; %bb.86:                               ;   in Loop: Header=BB162_3 Depth=1
	ds_load_b64 v[38:39], v47 offset:32224
	ds_load_b64 v[40:41], v48 offset:32752
	s_wait_dscnt 0x0
	v_pk_mul_f32 v[42:43], v[40:41], v[38:39] op_sel:[1,1] op_sel_hi:[0,1]
	s_delay_alu instid0(VALU_DEP_1) | instskip(SKIP_1) | instid1(VALU_DEP_2)
	v_pk_fma_f32 v[96:97], v[40:41], v[38:39], v[42:43] op_sel_hi:[1,0,1]
	v_pk_fma_f32 v[38:39], v[40:41], v[38:39], v[42:43] neg_lo:[0,0,1] neg_hi:[0,0,1]
	v_mov_b32_e32 v39, v97
	s_delay_alu instid0(VALU_DEP_1)
	v_pk_add_f32 v[38:39], v[38:39], 0 op_sel_hi:[1,0]
	s_and_saveexec_b32 s12, s18
	s_cbranch_execz .LBB162_88
; %bb.87:                               ;   in Loop: Header=BB162_3 Depth=1
	ds_load_b64 v[40:41], v49 offset:32736
	ds_load_b64 v[42:43], v1 offset:32760
	s_wait_dscnt 0x0
	v_pk_mul_f32 v[96:97], v[42:43], v[40:41] op_sel:[1,1] op_sel_hi:[0,1]
	s_delay_alu instid0(VALU_DEP_1) | instskip(SKIP_1) | instid1(VALU_DEP_2)
	v_pk_fma_f32 v[98:99], v[42:43], v[40:41], v[96:97] op_sel_hi:[1,0,1]
	v_pk_fma_f32 v[40:41], v[42:43], v[40:41], v[96:97] neg_lo:[0,0,1] neg_hi:[0,0,1]
	v_mov_b32_e32 v41, v99
	s_delay_alu instid0(VALU_DEP_1)
	v_pk_add_f32 v[38:39], v[38:39], v[40:41]
.LBB162_88:                             ;   in Loop: Header=BB162_3 Depth=1
	s_or_b32 exec_lo, exec_lo, s12
.LBB162_89:                             ;   in Loop: Header=BB162_3 Depth=1
	s_delay_alu instid0(SALU_CYCLE_1)
	s_or_b32 exec_lo, exec_lo, s11
	s_and_saveexec_b32 s11, s92
	s_cbranch_execz .LBB162_91
; %bb.90:                               ;   in Loop: Header=BB162_3 Depth=1
	ds_load_b64 v[40:41], v1 offset:31720
	s_wait_dscnt 0x0
	v_pk_mul_f32 v[42:43], v[38:39], v[40:41] op_sel:[1,1] op_sel_hi:[1,0]
	s_delay_alu instid0(VALU_DEP_1) | instskip(SKIP_1) | instid1(VALU_DEP_2)
	v_pk_fma_f32 v[96:97], v[38:39], v[40:41], v[42:43] op_sel_hi:[0,1,1]
	v_pk_fma_f32 v[38:39], v[38:39], v[40:41], v[42:43] neg_lo:[0,0,1] neg_hi:[0,0,1]
	v_mov_b32_e32 v39, v97
	s_delay_alu instid0(VALU_DEP_1)
	v_pk_add_f32 v[40:41], v[38:39], 0 neg_lo:[1,1] neg_hi:[1,1]
	ds_store_b64 v3, v[40:41]
.LBB162_91:                             ;   in Loop: Header=BB162_3 Depth=1
	s_or_b32 exec_lo, exec_lo, s11
	s_wait_loadcnt_dscnt 0x0
	s_barrier_signal -1
	s_barrier_wait -1
	s_and_saveexec_b32 s11, s93
	s_cbranch_execz .LBB162_93
; %bb.92:                               ;   in Loop: Header=BB162_3 Depth=1
	ds_load_b64 v[40:41], v1 offset:31712
	ds_load_b64 v[42:43], v3
	s_wait_dscnt 0x0
	v_pk_mul_f32 v[96:97], v[42:43], v[40:41] op_sel:[1,1] op_sel_hi:[0,1]
	s_delay_alu instid0(VALU_DEP_1) | instskip(SKIP_1) | instid1(VALU_DEP_2)
	v_pk_fma_f32 v[98:99], v[42:43], v[40:41], v[96:97] op_sel_hi:[1,0,1]
	v_pk_fma_f32 v[40:41], v[42:43], v[40:41], v[96:97] neg_lo:[0,0,1] neg_hi:[0,0,1]
	v_mov_b32_e32 v41, v99
	s_delay_alu instid0(VALU_DEP_1)
	v_pk_add_f32 v[38:39], v[38:39], v[40:41] neg_lo:[0,1] neg_hi:[0,1]
.LBB162_93:                             ;   in Loop: Header=BB162_3 Depth=1
	s_or_b32 exec_lo, exec_lo, s11
	s_barrier_signal -1
	s_barrier_wait -1
	s_and_saveexec_b32 s11, s93
	s_cbranch_execz .LBB162_95
; %bb.94:                               ;   in Loop: Header=BB162_3 Depth=1
	ds_load_b64 v[40:41], v1 offset:31200
	s_wait_dscnt 0x0
	v_pk_mul_f32 v[42:43], v[38:39], v[40:41] op_sel:[1,1] op_sel_hi:[1,0]
	s_delay_alu instid0(VALU_DEP_1) | instskip(SKIP_1) | instid1(VALU_DEP_2)
	v_pk_fma_f32 v[96:97], v[38:39], v[40:41], v[42:43] op_sel_hi:[0,1,1]
	v_pk_fma_f32 v[38:39], v[38:39], v[40:41], v[42:43] neg_lo:[0,0,1] neg_hi:[0,0,1]
	v_mov_b32_e32 v39, v97
	s_delay_alu instid0(VALU_DEP_1)
	v_pk_add_f32 v[40:41], v[38:39], 0 neg_lo:[1,1] neg_hi:[1,1]
	ds_store_b64 v3, v[40:41]
.LBB162_95:                             ;   in Loop: Header=BB162_3 Depth=1
	s_or_b32 exec_lo, exec_lo, s11
	s_wait_dscnt 0x0
	s_barrier_signal -1
	s_barrier_wait -1
	s_barrier_signal -1
	s_barrier_wait -1
	s_and_saveexec_b32 s11, s3
; %bb.96:                               ;   in Loop: Header=BB162_3 Depth=1
	ds_store_b64 v50, v[38:39] offset:32736
; %bb.97:                               ;   in Loop: Header=BB162_3 Depth=1
	s_or_b32 exec_lo, exec_lo, s11
	s_wait_dscnt 0x0
	s_barrier_signal -1
	s_barrier_wait -1
	s_barrier_signal -1
	s_barrier_wait -1
	s_and_saveexec_b32 s11, s94
	s_cbranch_execz .LBB162_99
; %bb.98:                               ;   in Loop: Header=BB162_3 Depth=1
	ds_load_b64 v[38:39], v51 offset:32224
	s_wait_dscnt 0x0
	ds_store_b64 v49, v[38:39] offset:31216
	ds_load_b64 v[38:39], v51 offset:32232
	s_wait_dscnt 0x0
	ds_store_b64 v49, v[38:39] offset:31728
.LBB162_99:                             ;   in Loop: Header=BB162_3 Depth=1
	s_or_b32 exec_lo, exec_lo, s11
	s_wait_dscnt 0x0
	s_barrier_signal -1
	s_barrier_wait -1
	s_and_saveexec_b32 s11, s14
	s_cbranch_execz .LBB162_101
; %bb.100:                              ;   in Loop: Header=BB162_3 Depth=1
	v_add_nc_u32_e64 v0, 0x1e0, 0
	ds_load_b64 v[42:43], v1 offset:31720
	ds_load_2addr_stride64_b64 v[38:41], v0 offset0:60 offset1:61
	s_wait_dscnt 0x0
	v_dual_mul_f32 v44, v43, v39 :: v_dual_mul_f32 v0, v42, v39
	s_delay_alu instid0(VALU_DEP_1) | instskip(NEXT) | instid1(VALU_DEP_2)
	v_xor_b32_e32 v44, 0x80000000, v44
	v_fmac_f32_e32 v0, v43, v38
	s_delay_alu instid0(VALU_DEP_2) | instskip(NEXT) | instid1(VALU_DEP_2)
	v_fmac_f32_e32 v44, v42, v38
	v_pk_mul_f32 v[38:39], v[0:1], v[40:41] op_sel:[0,1] op_sel_hi:[0,0]
	v_add_nc_u32_e64 v0, 0x7800, 0
	s_delay_alu instid0(VALU_DEP_2) | instskip(SKIP_1) | instid1(VALU_DEP_2)
	v_pk_fma_f32 v[42:43], v[44:45], v[40:41], v[38:39] op_sel_hi:[0,1,1]
	v_pk_fma_f32 v[38:39], v[44:45], v[40:41], v[38:39] neg_lo:[0,0,1] neg_hi:[0,0,1]
	v_mov_b32_e32 v39, v43
	ds_store_2addr_b64 v0, v[38:39], v[38:39] offset0:61 offset1:124
.LBB162_101:                            ;   in Loop: Header=BB162_3 Depth=1
	s_or_b32 exec_lo, exec_lo, s11
	v_mov_b64_e32 v[38:39], 0
	s_wait_dscnt 0x0
	s_barrier_signal -1
	s_barrier_wait -1
	global_wb scope:SCOPE_DEV
	s_wait_storecnt 0x0
	global_inv scope:SCOPE_DEV
	s_and_saveexec_b32 s11, s5
	s_cbranch_execz .LBB162_107
; %bb.102:                              ;   in Loop: Header=BB162_3 Depth=1
	ds_load_b64 v[38:39], v53 offset:31168
	ds_load_b64 v[40:41], v54 offset:32736
	s_wait_dscnt 0x0
	v_dual_mul_f32 v0, v41, v39 :: v_dual_mul_f32 v39, v40, v39
	s_delay_alu instid0(VALU_DEP_1) | instskip(NEXT) | instid1(VALU_DEP_1)
	v_dual_fma_f32 v0, v40, v38, -v0 :: v_dual_fmac_f32 v39, v41, v38
	v_dual_add_f32 v38, 0, v0 :: v_dual_add_f32 v39, 0, v39
	s_and_saveexec_b32 s12, s19
	s_cbranch_execnz .LBB162_1124
; %bb.103:                              ;   in Loop: Header=BB162_3 Depth=1
	s_or_b32 exec_lo, exec_lo, s12
	s_and_saveexec_b32 s12, s20
	s_cbranch_execnz .LBB162_1125
.LBB162_104:                            ;   in Loop: Header=BB162_3 Depth=1
	s_or_b32 exec_lo, exec_lo, s12
	s_and_saveexec_b32 s12, s3
	s_cbranch_execz .LBB162_106
.LBB162_105:                            ;   in Loop: Header=BB162_3 Depth=1
	ds_load_b64 v[40:41], v56 offset:32704
	ds_load_b64 v[42:43], v1 offset:32760
	s_wait_dscnt 0x0
	v_dual_mul_f32 v0, v43, v41 :: v_dual_mul_f32 v41, v42, v41
	s_delay_alu instid0(VALU_DEP_1) | instskip(NEXT) | instid1(VALU_DEP_1)
	v_dual_fma_f32 v0, v42, v40, -v0 :: v_dual_fmac_f32 v41, v43, v40
	v_dual_add_f32 v38, v38, v0 :: v_dual_add_f32 v39, v39, v41
.LBB162_106:                            ;   in Loop: Header=BB162_3 Depth=1
	s_or_b32 exec_lo, exec_lo, s12
.LBB162_107:                            ;   in Loop: Header=BB162_3 Depth=1
	s_delay_alu instid0(SALU_CYCLE_1)
	s_or_b32 exec_lo, exec_lo, s11
	s_and_saveexec_b32 s11, s95
	s_cbranch_execz .LBB162_109
; %bb.108:                              ;   in Loop: Header=BB162_3 Depth=1
	ds_load_b64 v[40:41], v1 offset:30680
	s_wait_dscnt 0x0
	v_dual_mul_f32 v0, v39, v40 :: v_dual_mul_f32 v42, v39, v41
	s_delay_alu instid0(VALU_DEP_1) | instskip(NEXT) | instid1(VALU_DEP_2)
	v_pk_fma_f32 v[96:97], v[38:39], v[40:41], v[0:1] op_sel:[1,0,0] op_sel_hi:[0,1,0]
	v_pk_fma_f32 v[38:39], v[38:39], v[40:41], v[42:43] op_sel_hi:[1,1,0] neg_lo:[0,0,1] neg_hi:[0,0,1]
	s_delay_alu instid0(VALU_DEP_2) | instskip(NEXT) | instid1(VALU_DEP_1)
	v_mov_b32_e32 v39, v97
	v_pk_add_f32 v[40:41], v[38:39], 0 neg_lo:[1,1] neg_hi:[1,1]
	ds_store_b64 v52, v[40:41]
.LBB162_109:                            ;   in Loop: Header=BB162_3 Depth=1
	s_or_b32 exec_lo, exec_lo, s11
	s_wait_loadcnt_dscnt 0x0
	s_barrier_signal -1
	s_barrier_wait -1
	s_and_saveexec_b32 s11, s96
	s_cbranch_execz .LBB162_111
; %bb.110:                              ;   in Loop: Header=BB162_3 Depth=1
	ds_load_b64 v[40:41], v53 offset:30656
	ds_load_b64 v[42:43], v52
	s_wait_dscnt 0x0
	v_pk_mul_f32 v[96:97], v[42:43], v[40:41] op_sel:[1,1] op_sel_hi:[0,1]
	s_delay_alu instid0(VALU_DEP_1) | instskip(SKIP_1) | instid1(VALU_DEP_2)
	v_pk_fma_f32 v[98:99], v[42:43], v[40:41], v[96:97] op_sel_hi:[1,0,1]
	v_pk_fma_f32 v[40:41], v[42:43], v[40:41], v[96:97] neg_lo:[0,0,1] neg_hi:[0,0,1]
	v_mov_b32_e32 v41, v99
	s_delay_alu instid0(VALU_DEP_1)
	v_pk_add_f32 v[38:39], v[38:39], v[40:41] neg_lo:[0,1] neg_hi:[0,1]
.LBB162_111:                            ;   in Loop: Header=BB162_3 Depth=1
	s_or_b32 exec_lo, exec_lo, s11
	s_barrier_signal -1
	s_barrier_wait -1
	s_and_saveexec_b32 s11, s97
	s_cbranch_execz .LBB162_113
; %bb.112:                              ;   in Loop: Header=BB162_3 Depth=1
	ds_load_b64 v[40:41], v1 offset:30160
	s_wait_dscnt 0x0
	v_pk_mul_f32 v[42:43], v[38:39], v[40:41] op_sel:[1,1] op_sel_hi:[1,0]
	s_delay_alu instid0(VALU_DEP_1) | instskip(SKIP_1) | instid1(VALU_DEP_2)
	v_pk_fma_f32 v[96:97], v[38:39], v[40:41], v[42:43] op_sel_hi:[0,1,1]
	v_pk_fma_f32 v[38:39], v[38:39], v[40:41], v[42:43] neg_lo:[0,0,1] neg_hi:[0,0,1]
	v_mov_b32_e32 v39, v97
	s_delay_alu instid0(VALU_DEP_1)
	v_pk_add_f32 v[40:41], v[38:39], 0 neg_lo:[1,1] neg_hi:[1,1]
	ds_store_b64 v52, v[40:41]
.LBB162_113:                            ;   in Loop: Header=BB162_3 Depth=1
	s_or_b32 exec_lo, exec_lo, s11
	s_wait_dscnt 0x0
	s_barrier_signal -1
	s_barrier_wait -1
	s_and_saveexec_b32 s11, s98
	s_cbranch_execz .LBB162_115
; %bb.114:                              ;   in Loop: Header=BB162_3 Depth=1
	ds_load_b64 v[40:41], v53 offset:30144
	ds_load_b64 v[42:43], v52
	s_wait_dscnt 0x0
	v_pk_mul_f32 v[96:97], v[42:43], v[40:41] op_sel:[1,1] op_sel_hi:[0,1]
	s_delay_alu instid0(VALU_DEP_1) | instskip(SKIP_1) | instid1(VALU_DEP_2)
	v_pk_fma_f32 v[98:99], v[42:43], v[40:41], v[96:97] op_sel_hi:[1,0,1]
	v_pk_fma_f32 v[40:41], v[42:43], v[40:41], v[96:97] neg_lo:[0,0,1] neg_hi:[0,0,1]
	v_mov_b32_e32 v41, v99
	s_delay_alu instid0(VALU_DEP_1)
	v_pk_add_f32 v[38:39], v[38:39], v[40:41] neg_lo:[0,1] neg_hi:[0,1]
.LBB162_115:                            ;   in Loop: Header=BB162_3 Depth=1
	s_or_b32 exec_lo, exec_lo, s11
	s_barrier_signal -1
	s_barrier_wait -1
	s_and_saveexec_b32 s11, s99
	s_cbranch_execz .LBB162_117
; %bb.116:                              ;   in Loop: Header=BB162_3 Depth=1
	ds_load_b64 v[40:41], v1 offset:29640
	s_wait_dscnt 0x0
	v_pk_mul_f32 v[42:43], v[38:39], v[40:41] op_sel:[1,1] op_sel_hi:[1,0]
	s_delay_alu instid0(VALU_DEP_1) | instskip(SKIP_1) | instid1(VALU_DEP_2)
	v_pk_fma_f32 v[96:97], v[38:39], v[40:41], v[42:43] op_sel_hi:[0,1,1]
	v_pk_fma_f32 v[38:39], v[38:39], v[40:41], v[42:43] neg_lo:[0,0,1] neg_hi:[0,0,1]
	v_mov_b32_e32 v39, v97
	s_delay_alu instid0(VALU_DEP_1)
	v_pk_add_f32 v[40:41], v[38:39], 0 neg_lo:[1,1] neg_hi:[1,1]
	ds_store_b64 v52, v[40:41]
.LBB162_117:                            ;   in Loop: Header=BB162_3 Depth=1
	s_or_b32 exec_lo, exec_lo, s11
	s_wait_dscnt 0x0
	;; [unrolled: 35-line block ×3, first 2 shown]
	s_barrier_signal -1
	s_barrier_wait -1
	s_barrier_signal -1
	s_barrier_wait -1
	s_and_saveexec_b32 s11, s5
; %bb.122:                              ;   in Loop: Header=BB162_3 Depth=1
	ds_store_b64 v57, v[38:39] offset:32704
; %bb.123:                              ;   in Loop: Header=BB162_3 Depth=1
	s_or_b32 exec_lo, exec_lo, s11
	s_wait_dscnt 0x0
	s_barrier_signal -1
	s_barrier_wait -1
	s_barrier_signal -1
	s_barrier_wait -1
	s_and_saveexec_b32 s11, s101
	s_cbranch_execz .LBB162_125
; %bb.124:                              ;   in Loop: Header=BB162_3 Depth=1
	ds_load_b64 v[38:39], v58 offset:31168
	s_wait_dscnt 0x0
	ds_store_b64 v5, v[38:39] offset:29152
	ds_load_b64 v[38:39], v58 offset:31176
	s_wait_dscnt 0x0
	ds_store_b64 v5, v[38:39] offset:29664
	;; [unrolled: 3-line block ×4, first 2 shown]
.LBB162_125:                            ;   in Loop: Header=BB162_3 Depth=1
	s_or_b32 exec_lo, exec_lo, s11
	s_wait_dscnt 0x0
	s_barrier_signal -1
	s_barrier_wait -1
	s_and_saveexec_b32 s11, s14
	s_cbranch_execz .LBB162_127
; %bb.126:                              ;   in Loop: Header=BB162_3 Depth=1
	v_add_nc_u32_e64 v0, 0x1d0, 0
	ds_load_b64 v[42:43], v1 offset:30680
	ds_load_2addr_stride64_b64 v[38:41], v0 offset0:58 offset1:59
	s_wait_dscnt 0x0
	v_dual_mul_f32 v44, v43, v39 :: v_dual_mul_f32 v0, v42, v39
	s_delay_alu instid0(VALU_DEP_1) | instskip(NEXT) | instid1(VALU_DEP_2)
	v_xor_b32_e32 v44, 0x80000000, v44
	v_fmac_f32_e32 v0, v43, v38
	s_delay_alu instid0(VALU_DEP_2) | instskip(NEXT) | instid1(VALU_DEP_2)
	v_fmac_f32_e32 v44, v42, v38
	v_pk_mul_f32 v[38:39], v[0:1], v[40:41] op_sel:[0,1] op_sel_hi:[0,0]
	v_add_nc_u32_e64 v0, 0x7000, 0
	s_delay_alu instid0(VALU_DEP_2) | instskip(SKIP_1) | instid1(VALU_DEP_2)
	v_pk_fma_f32 v[42:43], v[44:45], v[40:41], v[38:39] op_sel_hi:[0,1,1]
	v_pk_fma_f32 v[38:39], v[44:45], v[40:41], v[38:39] neg_lo:[0,0,1] neg_hi:[0,0,1]
	v_mov_b32_e32 v39, v43
	ds_store_2addr_b64 v0, v[38:39], v[38:39] offset0:187 offset1:250
.LBB162_127:                            ;   in Loop: Header=BB162_3 Depth=1
	s_or_b32 exec_lo, exec_lo, s11
	v_dual_mov_b32 v38, 0 :: v_dual_mov_b32 v39, 0
	s_wait_dscnt 0x0
	s_barrier_signal -1
	s_barrier_wait -1
	global_wb scope:SCOPE_DEV
	s_wait_storecnt 0x0
	global_inv scope:SCOPE_DEV
	s_and_saveexec_b32 s11, s3
	s_cbranch_execz .LBB162_131
; %bb.128:                              ;   in Loop: Header=BB162_3 Depth=1
	ds_load_b64 v[38:39], v47 offset:30144
	ds_load_b64 v[40:41], v48 offset:30672
	s_wait_dscnt 0x0
	v_pk_mul_f32 v[42:43], v[40:41], v[38:39] op_sel:[1,1] op_sel_hi:[0,1]
	s_delay_alu instid0(VALU_DEP_1) | instskip(SKIP_1) | instid1(VALU_DEP_2)
	v_pk_fma_f32 v[96:97], v[40:41], v[38:39], v[42:43] op_sel_hi:[1,0,1]
	v_pk_fma_f32 v[38:39], v[40:41], v[38:39], v[42:43] neg_lo:[0,0,1] neg_hi:[0,0,1]
	v_mov_b32_e32 v39, v97
	s_delay_alu instid0(VALU_DEP_1)
	v_pk_add_f32 v[38:39], v[38:39], 0 op_sel_hi:[1,0]
	s_and_saveexec_b32 s12, s18
	s_cbranch_execz .LBB162_130
; %bb.129:                              ;   in Loop: Header=BB162_3 Depth=1
	ds_load_b64 v[40:41], v5 offset:30656
	ds_load_b64 v[42:43], v1 offset:30680
	s_wait_dscnt 0x0
	v_pk_mul_f32 v[96:97], v[42:43], v[40:41] op_sel:[1,1] op_sel_hi:[0,1]
	s_delay_alu instid0(VALU_DEP_1) | instskip(SKIP_1) | instid1(VALU_DEP_2)
	v_pk_fma_f32 v[98:99], v[42:43], v[40:41], v[96:97] op_sel_hi:[1,0,1]
	v_pk_fma_f32 v[40:41], v[42:43], v[40:41], v[96:97] neg_lo:[0,0,1] neg_hi:[0,0,1]
	v_mov_b32_e32 v41, v99
	s_delay_alu instid0(VALU_DEP_1)
	v_pk_add_f32 v[38:39], v[38:39], v[40:41]
.LBB162_130:                            ;   in Loop: Header=BB162_3 Depth=1
	s_or_b32 exec_lo, exec_lo, s12
.LBB162_131:                            ;   in Loop: Header=BB162_3 Depth=1
	s_delay_alu instid0(SALU_CYCLE_1)
	s_or_b32 exec_lo, exec_lo, s11
	s_and_saveexec_b32 s11, s92
	s_cbranch_execz .LBB162_133
; %bb.132:                              ;   in Loop: Header=BB162_3 Depth=1
	ds_load_b64 v[40:41], v1 offset:29640
	s_wait_dscnt 0x0
	v_pk_mul_f32 v[42:43], v[38:39], v[40:41] op_sel:[1,1] op_sel_hi:[1,0]
	s_delay_alu instid0(VALU_DEP_1) | instskip(SKIP_1) | instid1(VALU_DEP_2)
	v_pk_fma_f32 v[96:97], v[38:39], v[40:41], v[42:43] op_sel_hi:[0,1,1]
	v_pk_fma_f32 v[38:39], v[38:39], v[40:41], v[42:43] neg_lo:[0,0,1] neg_hi:[0,0,1]
	v_mov_b32_e32 v39, v97
	s_delay_alu instid0(VALU_DEP_1)
	v_pk_add_f32 v[40:41], v[38:39], 0 neg_lo:[1,1] neg_hi:[1,1]
	ds_store_b64 v3, v[40:41]
.LBB162_133:                            ;   in Loop: Header=BB162_3 Depth=1
	s_or_b32 exec_lo, exec_lo, s11
	s_wait_loadcnt_dscnt 0x0
	s_barrier_signal -1
	s_barrier_wait -1
	s_and_saveexec_b32 s11, s93
	s_cbranch_execz .LBB162_135
; %bb.134:                              ;   in Loop: Header=BB162_3 Depth=1
	ds_load_b64 v[40:41], v1 offset:29632
	ds_load_b64 v[42:43], v3
	s_wait_dscnt 0x0
	v_pk_mul_f32 v[96:97], v[42:43], v[40:41] op_sel:[1,1] op_sel_hi:[0,1]
	s_delay_alu instid0(VALU_DEP_1) | instskip(SKIP_1) | instid1(VALU_DEP_2)
	v_pk_fma_f32 v[98:99], v[42:43], v[40:41], v[96:97] op_sel_hi:[1,0,1]
	v_pk_fma_f32 v[40:41], v[42:43], v[40:41], v[96:97] neg_lo:[0,0,1] neg_hi:[0,0,1]
	v_mov_b32_e32 v41, v99
	s_delay_alu instid0(VALU_DEP_1)
	v_pk_add_f32 v[38:39], v[38:39], v[40:41] neg_lo:[0,1] neg_hi:[0,1]
.LBB162_135:                            ;   in Loop: Header=BB162_3 Depth=1
	s_or_b32 exec_lo, exec_lo, s11
	s_barrier_signal -1
	s_barrier_wait -1
	s_and_saveexec_b32 s11, s93
	s_cbranch_execz .LBB162_137
; %bb.136:                              ;   in Loop: Header=BB162_3 Depth=1
	ds_load_b64 v[40:41], v1 offset:29120
	s_wait_dscnt 0x0
	v_pk_mul_f32 v[42:43], v[38:39], v[40:41] op_sel:[1,1] op_sel_hi:[1,0]
	s_delay_alu instid0(VALU_DEP_1) | instskip(SKIP_1) | instid1(VALU_DEP_2)
	v_pk_fma_f32 v[96:97], v[38:39], v[40:41], v[42:43] op_sel_hi:[0,1,1]
	v_pk_fma_f32 v[38:39], v[38:39], v[40:41], v[42:43] neg_lo:[0,0,1] neg_hi:[0,0,1]
	v_mov_b32_e32 v39, v97
	s_delay_alu instid0(VALU_DEP_1)
	v_pk_add_f32 v[40:41], v[38:39], 0 neg_lo:[1,1] neg_hi:[1,1]
	ds_store_b64 v3, v[40:41]
.LBB162_137:                            ;   in Loop: Header=BB162_3 Depth=1
	s_or_b32 exec_lo, exec_lo, s11
	s_wait_dscnt 0x0
	s_barrier_signal -1
	s_barrier_wait -1
	s_barrier_signal -1
	s_barrier_wait -1
	s_and_saveexec_b32 s11, s3
; %bb.138:                              ;   in Loop: Header=BB162_3 Depth=1
	ds_store_b64 v50, v[38:39] offset:30656
; %bb.139:                              ;   in Loop: Header=BB162_3 Depth=1
	s_or_b32 exec_lo, exec_lo, s11
	s_wait_dscnt 0x0
	s_barrier_signal -1
	s_barrier_wait -1
	s_barrier_signal -1
	s_barrier_wait -1
	s_and_saveexec_b32 s11, s94
	s_cbranch_execz .LBB162_141
; %bb.140:                              ;   in Loop: Header=BB162_3 Depth=1
	ds_load_b64 v[38:39], v72 offset:30144
	s_wait_dscnt 0x0
	ds_store_b64 v5, v[38:39] offset:29136
	ds_load_b64 v[38:39], v72 offset:30152
	s_wait_dscnt 0x0
	ds_store_b64 v5, v[38:39] offset:29648
.LBB162_141:                            ;   in Loop: Header=BB162_3 Depth=1
	s_or_b32 exec_lo, exec_lo, s11
	s_wait_dscnt 0x0
	s_barrier_signal -1
	s_barrier_wait -1
	s_and_saveexec_b32 s11, s14
	s_cbranch_execz .LBB162_143
; %bb.142:                              ;   in Loop: Header=BB162_3 Depth=1
	v_add_nc_u32_e64 v0, 0x1c0, 0
	ds_load_b64 v[42:43], v1 offset:29640
	ds_load_2addr_stride64_b64 v[38:41], v0 offset0:56 offset1:57
	s_wait_dscnt 0x0
	v_dual_mul_f32 v44, v43, v39 :: v_dual_mul_f32 v0, v42, v39
	s_delay_alu instid0(VALU_DEP_1) | instskip(NEXT) | instid1(VALU_DEP_2)
	v_xor_b32_e32 v44, 0x80000000, v44
	v_fmac_f32_e32 v0, v43, v38
	s_delay_alu instid0(VALU_DEP_2) | instskip(NEXT) | instid1(VALU_DEP_2)
	v_fmac_f32_e32 v44, v42, v38
	v_pk_mul_f32 v[38:39], v[0:1], v[40:41] op_sel:[0,1] op_sel_hi:[0,0]
	v_add_nc_u32_e64 v0, 0x7000, 0
	s_delay_alu instid0(VALU_DEP_2) | instskip(SKIP_1) | instid1(VALU_DEP_2)
	v_pk_fma_f32 v[42:43], v[44:45], v[40:41], v[38:39] op_sel_hi:[0,1,1]
	v_pk_fma_f32 v[38:39], v[44:45], v[40:41], v[38:39] neg_lo:[0,0,1] neg_hi:[0,0,1]
	v_mov_b32_e32 v39, v43
	ds_store_2addr_b64 v0, v[38:39], v[38:39] offset0:57 offset1:120
.LBB162_143:                            ;   in Loop: Header=BB162_3 Depth=1
	s_or_b32 exec_lo, exec_lo, s11
	v_mov_b64_e32 v[38:39], 0
	s_wait_dscnt 0x0
	s_barrier_signal -1
	s_barrier_wait -1
	global_wb scope:SCOPE_DEV
	s_wait_storecnt 0x0
	global_inv scope:SCOPE_DEV
	s_and_saveexec_b32 s11, s6
	s_cbranch_execz .LBB162_153
; %bb.144:                              ;   in Loop: Header=BB162_3 Depth=1
	ds_load_b64 v[38:39], v60 offset:29056
	ds_load_b64 v[40:41], v61 offset:32704
	s_wait_dscnt 0x0
	v_dual_mul_f32 v0, v41, v39 :: v_dual_mul_f32 v39, v40, v39
	s_delay_alu instid0(VALU_DEP_1) | instskip(NEXT) | instid1(VALU_DEP_1)
	v_dual_fma_f32 v0, v40, v38, -v0 :: v_dual_fmac_f32 v39, v41, v38
	v_dual_add_f32 v38, 0, v0 :: v_dual_add_f32 v39, 0, v39
	s_and_saveexec_b32 s12, s21
	s_cbranch_execnz .LBB162_1126
; %bb.145:                              ;   in Loop: Header=BB162_3 Depth=1
	s_or_b32 exec_lo, exec_lo, s12
	s_and_saveexec_b32 s12, s22
	s_cbranch_execnz .LBB162_1127
.LBB162_146:                            ;   in Loop: Header=BB162_3 Depth=1
	s_or_b32 exec_lo, exec_lo, s12
	s_and_saveexec_b32 s12, s23
	s_cbranch_execnz .LBB162_1128
.LBB162_147:                            ;   in Loop: Header=BB162_3 Depth=1
	s_or_b32 exec_lo, exec_lo, s12
	s_and_saveexec_b32 s12, s24
	s_cbranch_execnz .LBB162_1129
.LBB162_148:                            ;   in Loop: Header=BB162_3 Depth=1
	s_or_b32 exec_lo, exec_lo, s12
	s_and_saveexec_b32 s12, s25
	s_cbranch_execnz .LBB162_1130
.LBB162_149:                            ;   in Loop: Header=BB162_3 Depth=1
	s_or_b32 exec_lo, exec_lo, s12
	s_and_saveexec_b32 s12, s5
	s_cbranch_execnz .LBB162_1131
.LBB162_150:                            ;   in Loop: Header=BB162_3 Depth=1
	s_or_b32 exec_lo, exec_lo, s12
	s_and_saveexec_b32 s12, s20
	s_cbranch_execz .LBB162_152
.LBB162_151:                            ;   in Loop: Header=BB162_3 Depth=1
	ds_load_b64 v[40:41], v73 offset:32640
	ds_load_b64 v[42:43], v1 offset:32760
	s_wait_dscnt 0x0
	v_dual_mul_f32 v0, v43, v41 :: v_dual_mul_f32 v97, v42, v41
	s_delay_alu instid0(VALU_DEP_1) | instskip(NEXT) | instid1(VALU_DEP_1)
	v_dual_fma_f32 v96, v42, v40, -v0 :: v_dual_fmac_f32 v97, v43, v40
	v_pk_add_f32 v[38:39], v[38:39], v[96:97]
.LBB162_152:                            ;   in Loop: Header=BB162_3 Depth=1
	s_or_b32 exec_lo, exec_lo, s12
.LBB162_153:                            ;   in Loop: Header=BB162_3 Depth=1
	s_delay_alu instid0(SALU_CYCLE_1)
	s_or_b32 exec_lo, exec_lo, s11
	s_and_saveexec_b32 s11, s102
	s_cbranch_execz .LBB162_155
; %bb.154:                              ;   in Loop: Header=BB162_3 Depth=1
	ds_load_b64 v[40:41], v1 offset:28600
	s_wait_dscnt 0x0
	v_pk_mul_f32 v[42:43], v[38:39], v[40:41] op_sel:[1,1] op_sel_hi:[1,0]
	s_delay_alu instid0(VALU_DEP_1) | instskip(SKIP_1) | instid1(VALU_DEP_2)
	v_pk_fma_f32 v[96:97], v[38:39], v[40:41], v[42:43] op_sel_hi:[0,1,1]
	v_pk_fma_f32 v[38:39], v[38:39], v[40:41], v[42:43] neg_lo:[0,0,1] neg_hi:[0,0,1]
	v_mov_b32_e32 v39, v97
	s_delay_alu instid0(VALU_DEP_1)
	v_pk_add_f32 v[40:41], v[38:39], 0 neg_lo:[1,1] neg_hi:[1,1]
	ds_store_b64 v59, v[40:41]
.LBB162_155:                            ;   in Loop: Header=BB162_3 Depth=1
	s_or_b32 exec_lo, exec_lo, s11
	s_wait_loadcnt_dscnt 0x0
	s_barrier_signal -1
	s_barrier_wait -1
	s_and_saveexec_b32 s11, s103
	s_cbranch_execz .LBB162_157
; %bb.156:                              ;   in Loop: Header=BB162_3 Depth=1
	ds_load_b64 v[40:41], v60 offset:28544
	ds_load_b64 v[42:43], v59
	s_wait_dscnt 0x0
	v_pk_mul_f32 v[96:97], v[42:43], v[40:41] op_sel:[1,1] op_sel_hi:[0,1]
	s_delay_alu instid0(VALU_DEP_1) | instskip(SKIP_1) | instid1(VALU_DEP_2)
	v_pk_fma_f32 v[98:99], v[42:43], v[40:41], v[96:97] op_sel_hi:[1,0,1]
	v_pk_fma_f32 v[40:41], v[42:43], v[40:41], v[96:97] neg_lo:[0,0,1] neg_hi:[0,0,1]
	v_mov_b32_e32 v41, v99
	s_delay_alu instid0(VALU_DEP_1)
	v_pk_add_f32 v[38:39], v[38:39], v[40:41] neg_lo:[0,1] neg_hi:[0,1]
.LBB162_157:                            ;   in Loop: Header=BB162_3 Depth=1
	s_or_b32 exec_lo, exec_lo, s11
	s_barrier_signal -1
	s_barrier_wait -1
	s_and_saveexec_b32 s11, s104
	s_cbranch_execz .LBB162_159
; %bb.158:                              ;   in Loop: Header=BB162_3 Depth=1
	ds_load_b64 v[40:41], v1 offset:28080
	s_wait_dscnt 0x0
	v_pk_mul_f32 v[42:43], v[38:39], v[40:41] op_sel:[1,1] op_sel_hi:[1,0]
	s_delay_alu instid0(VALU_DEP_1) | instskip(SKIP_1) | instid1(VALU_DEP_2)
	v_pk_fma_f32 v[96:97], v[38:39], v[40:41], v[42:43] op_sel_hi:[0,1,1]
	v_pk_fma_f32 v[38:39], v[38:39], v[40:41], v[42:43] neg_lo:[0,0,1] neg_hi:[0,0,1]
	v_mov_b32_e32 v39, v97
	s_delay_alu instid0(VALU_DEP_1)
	v_pk_add_f32 v[40:41], v[38:39], 0 neg_lo:[1,1] neg_hi:[1,1]
	ds_store_b64 v59, v[40:41]
.LBB162_159:                            ;   in Loop: Header=BB162_3 Depth=1
	s_or_b32 exec_lo, exec_lo, s11
	s_wait_dscnt 0x0
	s_barrier_signal -1
	s_barrier_wait -1
	s_and_saveexec_b32 s11, vcc_hi
	s_cbranch_execz .LBB162_161
; %bb.160:                              ;   in Loop: Header=BB162_3 Depth=1
	ds_load_b64 v[40:41], v60 offset:28032
	ds_load_b64 v[42:43], v59
	s_wait_dscnt 0x0
	v_pk_mul_f32 v[96:97], v[42:43], v[40:41] op_sel:[1,1] op_sel_hi:[0,1]
	s_delay_alu instid0(VALU_DEP_1) | instskip(SKIP_1) | instid1(VALU_DEP_2)
	v_pk_fma_f32 v[98:99], v[42:43], v[40:41], v[96:97] op_sel_hi:[1,0,1]
	v_pk_fma_f32 v[40:41], v[42:43], v[40:41], v[96:97] neg_lo:[0,0,1] neg_hi:[0,0,1]
	v_mov_b32_e32 v41, v99
	s_delay_alu instid0(VALU_DEP_1)
	v_pk_add_f32 v[38:39], v[38:39], v[40:41] neg_lo:[0,1] neg_hi:[0,1]
.LBB162_161:                            ;   in Loop: Header=BB162_3 Depth=1
	s_or_b32 exec_lo, exec_lo, s11
	s_barrier_signal -1
	s_barrier_wait -1
	s_and_saveexec_b32 s11, s15
	s_cbranch_execz .LBB162_163
; %bb.162:                              ;   in Loop: Header=BB162_3 Depth=1
	ds_load_b64 v[40:41], v1 offset:27560
	s_wait_dscnt 0x0
	v_pk_mul_f32 v[42:43], v[38:39], v[40:41] op_sel:[1,1] op_sel_hi:[1,0]
	s_delay_alu instid0(VALU_DEP_1) | instskip(SKIP_1) | instid1(VALU_DEP_2)
	v_pk_fma_f32 v[96:97], v[38:39], v[40:41], v[42:43] op_sel_hi:[0,1,1]
	v_pk_fma_f32 v[38:39], v[38:39], v[40:41], v[42:43] neg_lo:[0,0,1] neg_hi:[0,0,1]
	v_mov_b32_e32 v39, v97
	s_delay_alu instid0(VALU_DEP_1)
	v_pk_add_f32 v[40:41], v[38:39], 0 neg_lo:[1,1] neg_hi:[1,1]
	ds_store_b64 v59, v[40:41]
.LBB162_163:                            ;   in Loop: Header=BB162_3 Depth=1
	s_or_b32 exec_lo, exec_lo, s11
	s_wait_dscnt 0x0
	s_barrier_signal -1
	s_barrier_wait -1
	s_and_saveexec_b32 s11, s41
	s_cbranch_execz .LBB162_165
; %bb.164:                              ;   in Loop: Header=BB162_3 Depth=1
	ds_load_b64 v[40:41], v60 offset:27520
	ds_load_b64 v[42:43], v59
	s_wait_dscnt 0x0
	v_pk_mul_f32 v[96:97], v[42:43], v[40:41] op_sel:[1,1] op_sel_hi:[0,1]
	s_delay_alu instid0(VALU_DEP_1) | instskip(SKIP_1) | instid1(VALU_DEP_2)
	v_pk_fma_f32 v[98:99], v[42:43], v[40:41], v[96:97] op_sel_hi:[1,0,1]
	v_pk_fma_f32 v[40:41], v[42:43], v[40:41], v[96:97] neg_lo:[0,0,1] neg_hi:[0,0,1]
	v_mov_b32_e32 v41, v99
	s_delay_alu instid0(VALU_DEP_1)
	v_pk_add_f32 v[38:39], v[38:39], v[40:41] neg_lo:[0,1] neg_hi:[0,1]
.LBB162_165:                            ;   in Loop: Header=BB162_3 Depth=1
	s_or_b32 exec_lo, exec_lo, s11
	s_barrier_signal -1
	s_barrier_wait -1
	s_and_saveexec_b32 s11, s42
	s_cbranch_execz .LBB162_167
; %bb.166:                              ;   in Loop: Header=BB162_3 Depth=1
	ds_load_b64 v[40:41], v1 offset:27040
	s_wait_dscnt 0x0
	v_pk_mul_f32 v[42:43], v[38:39], v[40:41]
	v_pk_mul_f32 v[38:39], v[38:39], v[40:41] op_sel:[1,0] op_sel_hi:[0,1]
	s_delay_alu instid0(VALU_DEP_1) | instskip(NEXT) | instid1(VALU_DEP_3)
	v_dual_mov_b32 v40, v42 :: v_dual_mov_b32 v41, v38
	v_mov_b32_e32 v38, v43
	s_delay_alu instid0(VALU_DEP_1) | instskip(SKIP_1) | instid1(VALU_DEP_2)
	v_pk_add_f32 v[42:43], v[40:41], v[38:39]
	v_pk_add_f32 v[38:39], v[40:41], v[38:39] neg_lo:[0,1] neg_hi:[0,1]
	v_mov_b32_e32 v39, v43
	s_delay_alu instid0(VALU_DEP_1)
	v_pk_add_f32 v[40:41], v[38:39], 0 neg_lo:[1,1] neg_hi:[1,1]
	ds_store_b64 v59, v[40:41]
.LBB162_167:                            ;   in Loop: Header=BB162_3 Depth=1
	s_or_b32 exec_lo, exec_lo, s11
	s_wait_dscnt 0x0
	s_barrier_signal -1
	s_barrier_wait -1
	s_and_saveexec_b32 s11, s43
	s_cbranch_execz .LBB162_169
; %bb.168:                              ;   in Loop: Header=BB162_3 Depth=1
	ds_load_b64 v[40:41], v60 offset:27008
	ds_load_b64 v[42:43], v59
	s_wait_dscnt 0x0
	v_dual_mul_f32 v0, v43, v41 :: v_dual_mul_f32 v41, v42, v41
	s_delay_alu instid0(VALU_DEP_1) | instskip(NEXT) | instid1(VALU_DEP_1)
	v_dual_fma_f32 v0, v42, v40, -v0 :: v_dual_fmac_f32 v41, v43, v40
	v_dual_sub_f32 v38, v38, v0 :: v_dual_sub_f32 v39, v39, v41
.LBB162_169:                            ;   in Loop: Header=BB162_3 Depth=1
	s_or_b32 exec_lo, exec_lo, s11
	s_barrier_signal -1
	s_barrier_wait -1
	s_and_saveexec_b32 s11, s44
	s_cbranch_execz .LBB162_171
; %bb.170:                              ;   in Loop: Header=BB162_3 Depth=1
	ds_load_b64 v[40:41], v1 offset:26520
	s_wait_dscnt 0x0
	v_dual_mul_f32 v0, v39, v40 :: v_dual_mul_f32 v42, v39, v41
	s_delay_alu instid0(VALU_DEP_1) | instskip(NEXT) | instid1(VALU_DEP_2)
	v_pk_fma_f32 v[96:97], v[38:39], v[40:41], v[0:1] op_sel:[1,0,0] op_sel_hi:[0,1,0]
	v_pk_fma_f32 v[38:39], v[38:39], v[40:41], v[42:43] op_sel_hi:[1,1,0] neg_lo:[0,0,1] neg_hi:[0,0,1]
	s_delay_alu instid0(VALU_DEP_2) | instskip(NEXT) | instid1(VALU_DEP_1)
	v_mov_b32_e32 v39, v97
	v_pk_add_f32 v[40:41], v[38:39], 0 neg_lo:[1,1] neg_hi:[1,1]
	ds_store_b64 v59, v[40:41]
.LBB162_171:                            ;   in Loop: Header=BB162_3 Depth=1
	s_or_b32 exec_lo, exec_lo, s11
	s_wait_dscnt 0x0
	s_barrier_signal -1
	s_barrier_wait -1
	s_and_saveexec_b32 s11, s45
	s_cbranch_execz .LBB162_173
; %bb.172:                              ;   in Loop: Header=BB162_3 Depth=1
	ds_load_b64 v[40:41], v60 offset:26496
	ds_load_b64 v[42:43], v59
	s_wait_dscnt 0x0
	v_pk_mul_f32 v[96:97], v[42:43], v[40:41] op_sel:[1,1] op_sel_hi:[0,1]
	s_delay_alu instid0(VALU_DEP_1) | instskip(SKIP_1) | instid1(VALU_DEP_2)
	v_pk_fma_f32 v[98:99], v[42:43], v[40:41], v[96:97] op_sel_hi:[1,0,1]
	v_pk_fma_f32 v[40:41], v[42:43], v[40:41], v[96:97] neg_lo:[0,0,1] neg_hi:[0,0,1]
	v_mov_b32_e32 v41, v99
	s_delay_alu instid0(VALU_DEP_1)
	v_pk_add_f32 v[38:39], v[38:39], v[40:41] neg_lo:[0,1] neg_hi:[0,1]
.LBB162_173:                            ;   in Loop: Header=BB162_3 Depth=1
	s_or_b32 exec_lo, exec_lo, s11
	s_barrier_signal -1
	s_barrier_wait -1
	s_and_saveexec_b32 s11, s46
	s_cbranch_execz .LBB162_175
; %bb.174:                              ;   in Loop: Header=BB162_3 Depth=1
	ds_load_b64 v[40:41], v1 offset:26000
	s_wait_dscnt 0x0
	v_pk_mul_f32 v[42:43], v[38:39], v[40:41] op_sel:[1,1] op_sel_hi:[1,0]
	s_delay_alu instid0(VALU_DEP_1) | instskip(SKIP_1) | instid1(VALU_DEP_2)
	v_pk_fma_f32 v[96:97], v[38:39], v[40:41], v[42:43] op_sel_hi:[0,1,1]
	v_pk_fma_f32 v[38:39], v[38:39], v[40:41], v[42:43] neg_lo:[0,0,1] neg_hi:[0,0,1]
	v_mov_b32_e32 v39, v97
	s_delay_alu instid0(VALU_DEP_1)
	v_pk_add_f32 v[40:41], v[38:39], 0 neg_lo:[1,1] neg_hi:[1,1]
	ds_store_b64 v59, v[40:41]
.LBB162_175:                            ;   in Loop: Header=BB162_3 Depth=1
	s_or_b32 exec_lo, exec_lo, s11
	s_wait_dscnt 0x0
	s_barrier_signal -1
	s_barrier_wait -1
	s_and_saveexec_b32 s11, s47
	s_cbranch_execz .LBB162_177
; %bb.176:                              ;   in Loop: Header=BB162_3 Depth=1
	ds_load_b64 v[40:41], v60 offset:25984
	ds_load_b64 v[42:43], v59
	s_wait_dscnt 0x0
	v_pk_mul_f32 v[96:97], v[42:43], v[40:41] op_sel:[1,1] op_sel_hi:[0,1]
	s_delay_alu instid0(VALU_DEP_1) | instskip(SKIP_1) | instid1(VALU_DEP_2)
	v_pk_fma_f32 v[98:99], v[42:43], v[40:41], v[96:97] op_sel_hi:[1,0,1]
	v_pk_fma_f32 v[40:41], v[42:43], v[40:41], v[96:97] neg_lo:[0,0,1] neg_hi:[0,0,1]
	v_mov_b32_e32 v41, v99
	s_delay_alu instid0(VALU_DEP_1)
	v_pk_add_f32 v[38:39], v[38:39], v[40:41] neg_lo:[0,1] neg_hi:[0,1]
.LBB162_177:                            ;   in Loop: Header=BB162_3 Depth=1
	s_or_b32 exec_lo, exec_lo, s11
	s_barrier_signal -1
	s_barrier_wait -1
	s_and_saveexec_b32 s11, s48
	s_cbranch_execz .LBB162_179
; %bb.178:                              ;   in Loop: Header=BB162_3 Depth=1
	ds_load_b64 v[40:41], v1 offset:25480
	s_wait_dscnt 0x0
	v_pk_mul_f32 v[42:43], v[38:39], v[40:41] op_sel:[1,1] op_sel_hi:[1,0]
	s_delay_alu instid0(VALU_DEP_1) | instskip(SKIP_1) | instid1(VALU_DEP_2)
	v_pk_fma_f32 v[96:97], v[38:39], v[40:41], v[42:43] op_sel_hi:[0,1,1]
	v_pk_fma_f32 v[38:39], v[38:39], v[40:41], v[42:43] neg_lo:[0,0,1] neg_hi:[0,0,1]
	v_mov_b32_e32 v39, v97
	s_delay_alu instid0(VALU_DEP_1)
	v_pk_add_f32 v[40:41], v[38:39], 0 neg_lo:[1,1] neg_hi:[1,1]
	ds_store_b64 v59, v[40:41]
.LBB162_179:                            ;   in Loop: Header=BB162_3 Depth=1
	;; [unrolled: 35-line block ×3, first 2 shown]
	s_or_b32 exec_lo, exec_lo, s11
	s_wait_dscnt 0x0
	s_barrier_signal -1
	s_barrier_wait -1
	s_barrier_signal -1
	s_barrier_wait -1
	s_and_saveexec_b32 s11, s6
; %bb.184:                              ;   in Loop: Header=BB162_3 Depth=1
	ds_store_b64 v62, v[38:39] offset:32640
; %bb.185:                              ;   in Loop: Header=BB162_3 Depth=1
	s_or_b32 exec_lo, exec_lo, s11
	s_wait_dscnt 0x0
	s_barrier_signal -1
	s_barrier_wait -1
	s_barrier_signal -1
	s_barrier_wait -1
	s_and_saveexec_b32 s11, s50
	s_cbranch_execz .LBB162_187
; %bb.186:                              ;   in Loop: Header=BB162_3 Depth=1
	ds_load_b64 v[38:39], v74 offset:29056
	s_wait_dscnt 0x0
	ds_store_b64 v75, v[38:39] offset:25024
	ds_load_b64 v[38:39], v74 offset:29064
	s_wait_dscnt 0x0
	ds_store_b64 v75, v[38:39] offset:25536
	;; [unrolled: 3-line block ×8, first 2 shown]
.LBB162_187:                            ;   in Loop: Header=BB162_3 Depth=1
	s_or_b32 exec_lo, exec_lo, s11
	s_wait_dscnt 0x0
	s_barrier_signal -1
	s_barrier_wait -1
	s_and_saveexec_b32 s11, s14
	s_cbranch_execz .LBB162_189
; %bb.188:                              ;   in Loop: Header=BB162_3 Depth=1
	v_add_nc_u32_e64 v0, 0x1b0, 0
	ds_load_b64 v[42:43], v1 offset:28600
	ds_load_2addr_stride64_b64 v[38:41], v0 offset0:54 offset1:55
	s_wait_dscnt 0x0
	v_dual_mul_f32 v44, v43, v39 :: v_dual_mul_f32 v0, v42, v39
	s_delay_alu instid0(VALU_DEP_1) | instskip(NEXT) | instid1(VALU_DEP_2)
	v_xor_b32_e32 v44, 0x80000000, v44
	v_fmac_f32_e32 v0, v43, v38
	s_delay_alu instid0(VALU_DEP_2) | instskip(NEXT) | instid1(VALU_DEP_2)
	v_fmac_f32_e32 v44, v42, v38
	v_pk_mul_f32 v[38:39], v[0:1], v[40:41] op_sel:[0,1] op_sel_hi:[0,0]
	v_add_nc_u32_e64 v0, 0x6800, 0
	s_delay_alu instid0(VALU_DEP_2) | instskip(SKIP_1) | instid1(VALU_DEP_2)
	v_pk_fma_f32 v[42:43], v[44:45], v[40:41], v[38:39] op_sel_hi:[0,1,1]
	v_pk_fma_f32 v[38:39], v[44:45], v[40:41], v[38:39] neg_lo:[0,0,1] neg_hi:[0,0,1]
	v_mov_b32_e32 v39, v43
	ds_store_2addr_b64 v0, v[38:39], v[38:39] offset0:183 offset1:246
.LBB162_189:                            ;   in Loop: Header=BB162_3 Depth=1
	s_or_b32 exec_lo, exec_lo, s11
	v_dual_mov_b32 v38, 0 :: v_dual_mov_b32 v39, 0
	s_wait_dscnt 0x0
	s_barrier_signal -1
	s_barrier_wait -1
	global_wb scope:SCOPE_DEV
	s_wait_storecnt 0x0
	global_inv scope:SCOPE_DEV
	s_and_saveexec_b32 s11, s3
	s_cbranch_execz .LBB162_193
; %bb.190:                              ;   in Loop: Header=BB162_3 Depth=1
	ds_load_b64 v[38:39], v47 offset:28064
	ds_load_b64 v[40:41], v48 offset:28592
	s_wait_dscnt 0x0
	v_pk_mul_f32 v[42:43], v[40:41], v[38:39] op_sel:[1,1] op_sel_hi:[0,1]
	s_delay_alu instid0(VALU_DEP_1) | instskip(SKIP_1) | instid1(VALU_DEP_2)
	v_pk_fma_f32 v[96:97], v[40:41], v[38:39], v[42:43] op_sel_hi:[1,0,1]
	v_pk_fma_f32 v[38:39], v[40:41], v[38:39], v[42:43] neg_lo:[0,0,1] neg_hi:[0,0,1]
	v_mov_b32_e32 v39, v97
	s_delay_alu instid0(VALU_DEP_1)
	v_pk_add_f32 v[38:39], v[38:39], 0 op_sel_hi:[1,0]
	s_and_saveexec_b32 s12, s18
	s_cbranch_execz .LBB162_192
; %bb.191:                              ;   in Loop: Header=BB162_3 Depth=1
	ds_load_b64 v[40:41], v75 offset:28576
	ds_load_b64 v[42:43], v1 offset:28600
	s_wait_dscnt 0x0
	v_pk_mul_f32 v[96:97], v[42:43], v[40:41] op_sel:[1,1] op_sel_hi:[0,1]
	s_delay_alu instid0(VALU_DEP_1) | instskip(SKIP_1) | instid1(VALU_DEP_2)
	v_pk_fma_f32 v[98:99], v[42:43], v[40:41], v[96:97] op_sel_hi:[1,0,1]
	v_pk_fma_f32 v[40:41], v[42:43], v[40:41], v[96:97] neg_lo:[0,0,1] neg_hi:[0,0,1]
	v_mov_b32_e32 v41, v99
	s_delay_alu instid0(VALU_DEP_1)
	v_pk_add_f32 v[38:39], v[38:39], v[40:41]
.LBB162_192:                            ;   in Loop: Header=BB162_3 Depth=1
	s_or_b32 exec_lo, exec_lo, s12
.LBB162_193:                            ;   in Loop: Header=BB162_3 Depth=1
	s_delay_alu instid0(SALU_CYCLE_1)
	s_or_b32 exec_lo, exec_lo, s11
	s_and_saveexec_b32 s11, s92
	s_cbranch_execz .LBB162_195
; %bb.194:                              ;   in Loop: Header=BB162_3 Depth=1
	ds_load_b64 v[40:41], v1 offset:27560
	s_wait_dscnt 0x0
	v_pk_mul_f32 v[42:43], v[38:39], v[40:41] op_sel:[1,1] op_sel_hi:[1,0]
	s_delay_alu instid0(VALU_DEP_1) | instskip(SKIP_1) | instid1(VALU_DEP_2)
	v_pk_fma_f32 v[96:97], v[38:39], v[40:41], v[42:43] op_sel_hi:[0,1,1]
	v_pk_fma_f32 v[38:39], v[38:39], v[40:41], v[42:43] neg_lo:[0,0,1] neg_hi:[0,0,1]
	v_mov_b32_e32 v39, v97
	s_delay_alu instid0(VALU_DEP_1)
	v_pk_add_f32 v[40:41], v[38:39], 0 neg_lo:[1,1] neg_hi:[1,1]
	ds_store_b64 v3, v[40:41]
.LBB162_195:                            ;   in Loop: Header=BB162_3 Depth=1
	s_or_b32 exec_lo, exec_lo, s11
	s_wait_loadcnt_dscnt 0x0
	s_barrier_signal -1
	s_barrier_wait -1
	s_and_saveexec_b32 s11, s93
	s_cbranch_execz .LBB162_197
; %bb.196:                              ;   in Loop: Header=BB162_3 Depth=1
	ds_load_b64 v[40:41], v1 offset:27552
	ds_load_b64 v[42:43], v3
	s_wait_dscnt 0x0
	v_pk_mul_f32 v[96:97], v[42:43], v[40:41] op_sel:[1,1] op_sel_hi:[0,1]
	s_delay_alu instid0(VALU_DEP_1) | instskip(SKIP_1) | instid1(VALU_DEP_2)
	v_pk_fma_f32 v[98:99], v[42:43], v[40:41], v[96:97] op_sel_hi:[1,0,1]
	v_pk_fma_f32 v[40:41], v[42:43], v[40:41], v[96:97] neg_lo:[0,0,1] neg_hi:[0,0,1]
	v_mov_b32_e32 v41, v99
	s_delay_alu instid0(VALU_DEP_1)
	v_pk_add_f32 v[38:39], v[38:39], v[40:41] neg_lo:[0,1] neg_hi:[0,1]
.LBB162_197:                            ;   in Loop: Header=BB162_3 Depth=1
	s_or_b32 exec_lo, exec_lo, s11
	s_barrier_signal -1
	s_barrier_wait -1
	s_and_saveexec_b32 s11, s93
	s_cbranch_execz .LBB162_199
; %bb.198:                              ;   in Loop: Header=BB162_3 Depth=1
	ds_load_b64 v[40:41], v1 offset:27040
	s_wait_dscnt 0x0
	v_pk_mul_f32 v[42:43], v[38:39], v[40:41] op_sel:[1,1] op_sel_hi:[1,0]
	s_delay_alu instid0(VALU_DEP_1) | instskip(SKIP_1) | instid1(VALU_DEP_2)
	v_pk_fma_f32 v[96:97], v[38:39], v[40:41], v[42:43] op_sel_hi:[0,1,1]
	v_pk_fma_f32 v[38:39], v[38:39], v[40:41], v[42:43] neg_lo:[0,0,1] neg_hi:[0,0,1]
	v_mov_b32_e32 v39, v97
	s_delay_alu instid0(VALU_DEP_1)
	v_pk_add_f32 v[40:41], v[38:39], 0 neg_lo:[1,1] neg_hi:[1,1]
	ds_store_b64 v3, v[40:41]
.LBB162_199:                            ;   in Loop: Header=BB162_3 Depth=1
	s_or_b32 exec_lo, exec_lo, s11
	s_wait_dscnt 0x0
	s_barrier_signal -1
	s_barrier_wait -1
	s_barrier_signal -1
	s_barrier_wait -1
	s_and_saveexec_b32 s11, s3
; %bb.200:                              ;   in Loop: Header=BB162_3 Depth=1
	ds_store_b64 v50, v[38:39] offset:28576
; %bb.201:                              ;   in Loop: Header=BB162_3 Depth=1
	s_or_b32 exec_lo, exec_lo, s11
	s_wait_dscnt 0x0
	s_barrier_signal -1
	s_barrier_wait -1
	s_barrier_signal -1
	s_barrier_wait -1
	s_and_saveexec_b32 s11, s94
	s_cbranch_execz .LBB162_203
; %bb.202:                              ;   in Loop: Header=BB162_3 Depth=1
	ds_load_b64 v[38:39], v77 offset:28064
	s_wait_dscnt 0x0
	ds_store_b64 v75, v[38:39] offset:27056
	ds_load_b64 v[38:39], v77 offset:28072
	s_wait_dscnt 0x0
	ds_store_b64 v75, v[38:39] offset:27568
.LBB162_203:                            ;   in Loop: Header=BB162_3 Depth=1
	s_or_b32 exec_lo, exec_lo, s11
	s_wait_dscnt 0x0
	s_barrier_signal -1
	s_barrier_wait -1
	s_and_saveexec_b32 s11, s14
	s_cbranch_execz .LBB162_205
; %bb.204:                              ;   in Loop: Header=BB162_3 Depth=1
	v_add_nc_u32_e64 v0, 0x1a0, 0
	ds_load_b64 v[42:43], v1 offset:27560
	ds_load_2addr_stride64_b64 v[38:41], v0 offset0:52 offset1:53
	s_wait_dscnt 0x0
	v_dual_mul_f32 v44, v43, v39 :: v_dual_mul_f32 v0, v42, v39
	s_delay_alu instid0(VALU_DEP_1) | instskip(NEXT) | instid1(VALU_DEP_2)
	v_xor_b32_e32 v44, 0x80000000, v44
	v_fmac_f32_e32 v0, v43, v38
	s_delay_alu instid0(VALU_DEP_2) | instskip(NEXT) | instid1(VALU_DEP_2)
	v_fmac_f32_e32 v44, v42, v38
	v_pk_mul_f32 v[38:39], v[0:1], v[40:41] op_sel:[0,1] op_sel_hi:[0,0]
	v_add_nc_u32_e64 v0, 0x6800, 0
	s_delay_alu instid0(VALU_DEP_2) | instskip(SKIP_1) | instid1(VALU_DEP_2)
	v_pk_fma_f32 v[42:43], v[44:45], v[40:41], v[38:39] op_sel_hi:[0,1,1]
	v_pk_fma_f32 v[38:39], v[44:45], v[40:41], v[38:39] neg_lo:[0,0,1] neg_hi:[0,0,1]
	v_mov_b32_e32 v39, v43
	ds_store_2addr_b64 v0, v[38:39], v[38:39] offset0:53 offset1:116
.LBB162_205:                            ;   in Loop: Header=BB162_3 Depth=1
	s_or_b32 exec_lo, exec_lo, s11
	v_mov_b64_e32 v[38:39], 0
	s_wait_dscnt 0x0
	s_barrier_signal -1
	s_barrier_wait -1
	global_wb scope:SCOPE_DEV
	s_wait_storecnt 0x0
	global_inv scope:SCOPE_DEV
	s_and_saveexec_b32 s11, s5
	s_cbranch_execz .LBB162_211
; %bb.206:                              ;   in Loop: Header=BB162_3 Depth=1
	ds_load_b64 v[38:39], v53 offset:27008
	ds_load_b64 v[40:41], v54 offset:28576
	s_wait_dscnt 0x0
	v_dual_mul_f32 v0, v41, v39 :: v_dual_mul_f32 v39, v40, v39
	s_delay_alu instid0(VALU_DEP_1) | instskip(NEXT) | instid1(VALU_DEP_1)
	v_dual_fma_f32 v0, v40, v38, -v0 :: v_dual_fmac_f32 v39, v41, v38
	v_dual_add_f32 v38, 0, v0 :: v_dual_add_f32 v39, 0, v39
	s_and_saveexec_b32 s12, s19
	s_cbranch_execnz .LBB162_1132
; %bb.207:                              ;   in Loop: Header=BB162_3 Depth=1
	s_or_b32 exec_lo, exec_lo, s12
	s_and_saveexec_b32 s12, s20
	s_cbranch_execnz .LBB162_1133
.LBB162_208:                            ;   in Loop: Header=BB162_3 Depth=1
	s_or_b32 exec_lo, exec_lo, s12
	s_and_saveexec_b32 s12, s3
	s_cbranch_execz .LBB162_210
.LBB162_209:                            ;   in Loop: Header=BB162_3 Depth=1
	ds_load_b64 v[40:41], v79 offset:28544
	ds_load_b64 v[42:43], v1 offset:28600
	s_wait_dscnt 0x0
	v_dual_mul_f32 v0, v43, v41 :: v_dual_mul_f32 v41, v42, v41
	s_delay_alu instid0(VALU_DEP_1) | instskip(NEXT) | instid1(VALU_DEP_1)
	v_dual_fma_f32 v0, v42, v40, -v0 :: v_dual_fmac_f32 v41, v43, v40
	v_dual_add_f32 v38, v38, v0 :: v_dual_add_f32 v39, v39, v41
.LBB162_210:                            ;   in Loop: Header=BB162_3 Depth=1
	s_or_b32 exec_lo, exec_lo, s12
.LBB162_211:                            ;   in Loop: Header=BB162_3 Depth=1
	s_delay_alu instid0(SALU_CYCLE_1)
	s_or_b32 exec_lo, exec_lo, s11
	s_and_saveexec_b32 s11, s95
	s_cbranch_execz .LBB162_213
; %bb.212:                              ;   in Loop: Header=BB162_3 Depth=1
	ds_load_b64 v[40:41], v1 offset:26520
	s_wait_dscnt 0x0
	v_dual_mul_f32 v0, v39, v40 :: v_dual_mul_f32 v42, v39, v41
	s_delay_alu instid0(VALU_DEP_1) | instskip(NEXT) | instid1(VALU_DEP_2)
	v_pk_fma_f32 v[96:97], v[38:39], v[40:41], v[0:1] op_sel:[1,0,0] op_sel_hi:[0,1,0]
	v_pk_fma_f32 v[38:39], v[38:39], v[40:41], v[42:43] op_sel_hi:[1,1,0] neg_lo:[0,0,1] neg_hi:[0,0,1]
	s_delay_alu instid0(VALU_DEP_2) | instskip(NEXT) | instid1(VALU_DEP_1)
	v_mov_b32_e32 v39, v97
	v_pk_add_f32 v[40:41], v[38:39], 0 neg_lo:[1,1] neg_hi:[1,1]
	ds_store_b64 v52, v[40:41]
.LBB162_213:                            ;   in Loop: Header=BB162_3 Depth=1
	s_or_b32 exec_lo, exec_lo, s11
	s_wait_loadcnt_dscnt 0x0
	s_barrier_signal -1
	s_barrier_wait -1
	s_and_saveexec_b32 s11, s96
	s_cbranch_execz .LBB162_215
; %bb.214:                              ;   in Loop: Header=BB162_3 Depth=1
	ds_load_b64 v[40:41], v53 offset:26496
	ds_load_b64 v[42:43], v52
	s_wait_dscnt 0x0
	v_pk_mul_f32 v[96:97], v[42:43], v[40:41] op_sel:[1,1] op_sel_hi:[0,1]
	s_delay_alu instid0(VALU_DEP_1) | instskip(SKIP_1) | instid1(VALU_DEP_2)
	v_pk_fma_f32 v[98:99], v[42:43], v[40:41], v[96:97] op_sel_hi:[1,0,1]
	v_pk_fma_f32 v[40:41], v[42:43], v[40:41], v[96:97] neg_lo:[0,0,1] neg_hi:[0,0,1]
	v_mov_b32_e32 v41, v99
	s_delay_alu instid0(VALU_DEP_1)
	v_pk_add_f32 v[38:39], v[38:39], v[40:41] neg_lo:[0,1] neg_hi:[0,1]
.LBB162_215:                            ;   in Loop: Header=BB162_3 Depth=1
	s_or_b32 exec_lo, exec_lo, s11
	s_barrier_signal -1
	s_barrier_wait -1
	s_and_saveexec_b32 s11, s97
	s_cbranch_execz .LBB162_217
; %bb.216:                              ;   in Loop: Header=BB162_3 Depth=1
	ds_load_b64 v[40:41], v1 offset:26000
	s_wait_dscnt 0x0
	v_pk_mul_f32 v[42:43], v[38:39], v[40:41] op_sel:[1,1] op_sel_hi:[1,0]
	s_delay_alu instid0(VALU_DEP_1) | instskip(SKIP_1) | instid1(VALU_DEP_2)
	v_pk_fma_f32 v[96:97], v[38:39], v[40:41], v[42:43] op_sel_hi:[0,1,1]
	v_pk_fma_f32 v[38:39], v[38:39], v[40:41], v[42:43] neg_lo:[0,0,1] neg_hi:[0,0,1]
	v_mov_b32_e32 v39, v97
	s_delay_alu instid0(VALU_DEP_1)
	v_pk_add_f32 v[40:41], v[38:39], 0 neg_lo:[1,1] neg_hi:[1,1]
	ds_store_b64 v52, v[40:41]
.LBB162_217:                            ;   in Loop: Header=BB162_3 Depth=1
	s_or_b32 exec_lo, exec_lo, s11
	s_wait_dscnt 0x0
	s_barrier_signal -1
	s_barrier_wait -1
	s_and_saveexec_b32 s11, s98
	s_cbranch_execz .LBB162_219
; %bb.218:                              ;   in Loop: Header=BB162_3 Depth=1
	ds_load_b64 v[40:41], v53 offset:25984
	ds_load_b64 v[42:43], v52
	s_wait_dscnt 0x0
	v_pk_mul_f32 v[96:97], v[42:43], v[40:41] op_sel:[1,1] op_sel_hi:[0,1]
	s_delay_alu instid0(VALU_DEP_1) | instskip(SKIP_1) | instid1(VALU_DEP_2)
	v_pk_fma_f32 v[98:99], v[42:43], v[40:41], v[96:97] op_sel_hi:[1,0,1]
	v_pk_fma_f32 v[40:41], v[42:43], v[40:41], v[96:97] neg_lo:[0,0,1] neg_hi:[0,0,1]
	v_mov_b32_e32 v41, v99
	s_delay_alu instid0(VALU_DEP_1)
	v_pk_add_f32 v[38:39], v[38:39], v[40:41] neg_lo:[0,1] neg_hi:[0,1]
.LBB162_219:                            ;   in Loop: Header=BB162_3 Depth=1
	s_or_b32 exec_lo, exec_lo, s11
	s_barrier_signal -1
	s_barrier_wait -1
	s_and_saveexec_b32 s11, s99
	s_cbranch_execz .LBB162_221
; %bb.220:                              ;   in Loop: Header=BB162_3 Depth=1
	ds_load_b64 v[40:41], v1 offset:25480
	s_wait_dscnt 0x0
	v_pk_mul_f32 v[42:43], v[38:39], v[40:41] op_sel:[1,1] op_sel_hi:[1,0]
	s_delay_alu instid0(VALU_DEP_1) | instskip(SKIP_1) | instid1(VALU_DEP_2)
	v_pk_fma_f32 v[96:97], v[38:39], v[40:41], v[42:43] op_sel_hi:[0,1,1]
	v_pk_fma_f32 v[38:39], v[38:39], v[40:41], v[42:43] neg_lo:[0,0,1] neg_hi:[0,0,1]
	v_mov_b32_e32 v39, v97
	s_delay_alu instid0(VALU_DEP_1)
	v_pk_add_f32 v[40:41], v[38:39], 0 neg_lo:[1,1] neg_hi:[1,1]
	ds_store_b64 v52, v[40:41]
.LBB162_221:                            ;   in Loop: Header=BB162_3 Depth=1
	s_or_b32 exec_lo, exec_lo, s11
	s_wait_dscnt 0x0
	;; [unrolled: 35-line block ×3, first 2 shown]
	s_barrier_signal -1
	s_barrier_wait -1
	s_barrier_signal -1
	s_barrier_wait -1
	s_and_saveexec_b32 s11, s5
; %bb.226:                              ;   in Loop: Header=BB162_3 Depth=1
	ds_store_b64 v57, v[38:39] offset:28544
; %bb.227:                              ;   in Loop: Header=BB162_3 Depth=1
	s_or_b32 exec_lo, exec_lo, s11
	s_wait_dscnt 0x0
	s_barrier_signal -1
	s_barrier_wait -1
	s_barrier_signal -1
	s_barrier_wait -1
	s_and_saveexec_b32 s11, s101
	s_cbranch_execz .LBB162_229
; %bb.228:                              ;   in Loop: Header=BB162_3 Depth=1
	ds_load_b64 v[38:39], v81 offset:27008
	s_wait_dscnt 0x0
	ds_store_b64 v83, v[38:39] offset:24992
	ds_load_b64 v[38:39], v81 offset:27016
	s_wait_dscnt 0x0
	ds_store_b64 v83, v[38:39] offset:25504
	;; [unrolled: 3-line block ×4, first 2 shown]
.LBB162_229:                            ;   in Loop: Header=BB162_3 Depth=1
	s_or_b32 exec_lo, exec_lo, s11
	s_wait_dscnt 0x0
	s_barrier_signal -1
	s_barrier_wait -1
	s_and_saveexec_b32 s11, s14
	s_cbranch_execz .LBB162_231
; %bb.230:                              ;   in Loop: Header=BB162_3 Depth=1
	v_add_nc_u32_e64 v0, 0x190, 0
	ds_load_b64 v[42:43], v1 offset:26520
	ds_load_2addr_stride64_b64 v[38:41], v0 offset0:50 offset1:51
	s_wait_dscnt 0x0
	v_dual_mul_f32 v44, v43, v39 :: v_dual_mul_f32 v0, v42, v39
	s_delay_alu instid0(VALU_DEP_1) | instskip(NEXT) | instid1(VALU_DEP_2)
	v_xor_b32_e32 v44, 0x80000000, v44
	v_fmac_f32_e32 v0, v43, v38
	s_delay_alu instid0(VALU_DEP_2) | instskip(NEXT) | instid1(VALU_DEP_2)
	v_fmac_f32_e32 v44, v42, v38
	v_pk_mul_f32 v[38:39], v[0:1], v[40:41] op_sel:[0,1] op_sel_hi:[0,0]
	v_add_nc_u32_e64 v0, 0x6000, 0
	s_delay_alu instid0(VALU_DEP_2) | instskip(SKIP_1) | instid1(VALU_DEP_2)
	v_pk_fma_f32 v[42:43], v[44:45], v[40:41], v[38:39] op_sel_hi:[0,1,1]
	v_pk_fma_f32 v[38:39], v[44:45], v[40:41], v[38:39] neg_lo:[0,0,1] neg_hi:[0,0,1]
	v_mov_b32_e32 v39, v43
	ds_store_2addr_b64 v0, v[38:39], v[38:39] offset0:179 offset1:242
.LBB162_231:                            ;   in Loop: Header=BB162_3 Depth=1
	s_or_b32 exec_lo, exec_lo, s11
	v_dual_mov_b32 v38, 0 :: v_dual_mov_b32 v39, 0
	s_wait_dscnt 0x0
	s_barrier_signal -1
	s_barrier_wait -1
	global_wb scope:SCOPE_DEV
	s_wait_storecnt 0x0
	global_inv scope:SCOPE_DEV
	s_and_saveexec_b32 s11, s3
	s_cbranch_execz .LBB162_235
; %bb.232:                              ;   in Loop: Header=BB162_3 Depth=1
	ds_load_b64 v[38:39], v47 offset:25984
	ds_load_b64 v[40:41], v48 offset:26512
	s_wait_dscnt 0x0
	v_pk_mul_f32 v[42:43], v[40:41], v[38:39] op_sel:[1,1] op_sel_hi:[0,1]
	s_delay_alu instid0(VALU_DEP_1) | instskip(SKIP_1) | instid1(VALU_DEP_2)
	v_pk_fma_f32 v[96:97], v[40:41], v[38:39], v[42:43] op_sel_hi:[1,0,1]
	v_pk_fma_f32 v[38:39], v[40:41], v[38:39], v[42:43] neg_lo:[0,0,1] neg_hi:[0,0,1]
	v_mov_b32_e32 v39, v97
	s_delay_alu instid0(VALU_DEP_1)
	v_pk_add_f32 v[38:39], v[38:39], 0 op_sel_hi:[1,0]
	s_and_saveexec_b32 s12, s18
	s_cbranch_execz .LBB162_234
; %bb.233:                              ;   in Loop: Header=BB162_3 Depth=1
	ds_load_b64 v[40:41], v83 offset:26496
	ds_load_b64 v[42:43], v1 offset:26520
	s_wait_dscnt 0x0
	v_pk_mul_f32 v[96:97], v[42:43], v[40:41] op_sel:[1,1] op_sel_hi:[0,1]
	s_delay_alu instid0(VALU_DEP_1) | instskip(SKIP_1) | instid1(VALU_DEP_2)
	v_pk_fma_f32 v[98:99], v[42:43], v[40:41], v[96:97] op_sel_hi:[1,0,1]
	v_pk_fma_f32 v[40:41], v[42:43], v[40:41], v[96:97] neg_lo:[0,0,1] neg_hi:[0,0,1]
	v_mov_b32_e32 v41, v99
	s_delay_alu instid0(VALU_DEP_1)
	v_pk_add_f32 v[38:39], v[38:39], v[40:41]
.LBB162_234:                            ;   in Loop: Header=BB162_3 Depth=1
	s_or_b32 exec_lo, exec_lo, s12
.LBB162_235:                            ;   in Loop: Header=BB162_3 Depth=1
	s_delay_alu instid0(SALU_CYCLE_1)
	s_or_b32 exec_lo, exec_lo, s11
	s_and_saveexec_b32 s11, s92
	s_cbranch_execz .LBB162_237
; %bb.236:                              ;   in Loop: Header=BB162_3 Depth=1
	ds_load_b64 v[40:41], v1 offset:25480
	s_wait_dscnt 0x0
	v_pk_mul_f32 v[42:43], v[38:39], v[40:41] op_sel:[1,1] op_sel_hi:[1,0]
	s_delay_alu instid0(VALU_DEP_1) | instskip(SKIP_1) | instid1(VALU_DEP_2)
	v_pk_fma_f32 v[96:97], v[38:39], v[40:41], v[42:43] op_sel_hi:[0,1,1]
	v_pk_fma_f32 v[38:39], v[38:39], v[40:41], v[42:43] neg_lo:[0,0,1] neg_hi:[0,0,1]
	v_mov_b32_e32 v39, v97
	s_delay_alu instid0(VALU_DEP_1)
	v_pk_add_f32 v[40:41], v[38:39], 0 neg_lo:[1,1] neg_hi:[1,1]
	ds_store_b64 v3, v[40:41]
.LBB162_237:                            ;   in Loop: Header=BB162_3 Depth=1
	s_or_b32 exec_lo, exec_lo, s11
	s_wait_loadcnt_dscnt 0x0
	s_barrier_signal -1
	s_barrier_wait -1
	s_and_saveexec_b32 s11, s93
	s_cbranch_execz .LBB162_239
; %bb.238:                              ;   in Loop: Header=BB162_3 Depth=1
	ds_load_b64 v[40:41], v1 offset:25472
	ds_load_b64 v[42:43], v3
	s_wait_dscnt 0x0
	v_pk_mul_f32 v[96:97], v[42:43], v[40:41] op_sel:[1,1] op_sel_hi:[0,1]
	s_delay_alu instid0(VALU_DEP_1) | instskip(SKIP_1) | instid1(VALU_DEP_2)
	v_pk_fma_f32 v[98:99], v[42:43], v[40:41], v[96:97] op_sel_hi:[1,0,1]
	v_pk_fma_f32 v[40:41], v[42:43], v[40:41], v[96:97] neg_lo:[0,0,1] neg_hi:[0,0,1]
	v_mov_b32_e32 v41, v99
	s_delay_alu instid0(VALU_DEP_1)
	v_pk_add_f32 v[38:39], v[38:39], v[40:41] neg_lo:[0,1] neg_hi:[0,1]
.LBB162_239:                            ;   in Loop: Header=BB162_3 Depth=1
	s_or_b32 exec_lo, exec_lo, s11
	s_barrier_signal -1
	s_barrier_wait -1
	s_and_saveexec_b32 s11, s93
	s_cbranch_execz .LBB162_241
; %bb.240:                              ;   in Loop: Header=BB162_3 Depth=1
	ds_load_b64 v[40:41], v1 offset:24960
	s_wait_dscnt 0x0
	v_pk_mul_f32 v[42:43], v[38:39], v[40:41] op_sel:[1,1] op_sel_hi:[1,0]
	s_delay_alu instid0(VALU_DEP_1) | instskip(SKIP_1) | instid1(VALU_DEP_2)
	v_pk_fma_f32 v[96:97], v[38:39], v[40:41], v[42:43] op_sel_hi:[0,1,1]
	v_pk_fma_f32 v[38:39], v[38:39], v[40:41], v[42:43] neg_lo:[0,0,1] neg_hi:[0,0,1]
	v_mov_b32_e32 v39, v97
	s_delay_alu instid0(VALU_DEP_1)
	v_pk_add_f32 v[40:41], v[38:39], 0 neg_lo:[1,1] neg_hi:[1,1]
	ds_store_b64 v3, v[40:41]
.LBB162_241:                            ;   in Loop: Header=BB162_3 Depth=1
	s_or_b32 exec_lo, exec_lo, s11
	s_wait_dscnt 0x0
	s_barrier_signal -1
	s_barrier_wait -1
	s_barrier_signal -1
	s_barrier_wait -1
	s_and_saveexec_b32 s11, s3
; %bb.242:                              ;   in Loop: Header=BB162_3 Depth=1
	ds_store_b64 v50, v[38:39] offset:26496
; %bb.243:                              ;   in Loop: Header=BB162_3 Depth=1
	s_or_b32 exec_lo, exec_lo, s11
	s_wait_dscnt 0x0
	s_barrier_signal -1
	s_barrier_wait -1
	s_barrier_signal -1
	s_barrier_wait -1
	s_and_saveexec_b32 s11, s94
	s_cbranch_execz .LBB162_245
; %bb.244:                              ;   in Loop: Header=BB162_3 Depth=1
	ds_load_b64 v[38:39], v84 offset:25984
	s_wait_dscnt 0x0
	ds_store_b64 v83, v[38:39] offset:24976
	ds_load_b64 v[38:39], v84 offset:25992
	s_wait_dscnt 0x0
	ds_store_b64 v83, v[38:39] offset:25488
.LBB162_245:                            ;   in Loop: Header=BB162_3 Depth=1
	s_or_b32 exec_lo, exec_lo, s11
	s_wait_dscnt 0x0
	s_barrier_signal -1
	s_barrier_wait -1
	s_and_saveexec_b32 s11, s14
	s_cbranch_execz .LBB162_247
; %bb.246:                              ;   in Loop: Header=BB162_3 Depth=1
	v_add_nc_u32_e64 v0, 0x180, 0
	ds_load_b64 v[42:43], v1 offset:25480
	ds_load_2addr_stride64_b64 v[38:41], v0 offset0:48 offset1:49
	s_wait_dscnt 0x0
	v_dual_mul_f32 v44, v43, v39 :: v_dual_mul_f32 v0, v42, v39
	s_delay_alu instid0(VALU_DEP_1) | instskip(NEXT) | instid1(VALU_DEP_2)
	v_xor_b32_e32 v44, 0x80000000, v44
	v_fmac_f32_e32 v0, v43, v38
	s_delay_alu instid0(VALU_DEP_2) | instskip(NEXT) | instid1(VALU_DEP_2)
	v_fmac_f32_e32 v44, v42, v38
	v_pk_mul_f32 v[38:39], v[0:1], v[40:41] op_sel:[0,1] op_sel_hi:[0,0]
	v_add_nc_u32_e64 v0, 0x6000, 0
	s_delay_alu instid0(VALU_DEP_2) | instskip(SKIP_1) | instid1(VALU_DEP_2)
	v_pk_fma_f32 v[42:43], v[44:45], v[40:41], v[38:39] op_sel_hi:[0,1,1]
	v_pk_fma_f32 v[38:39], v[44:45], v[40:41], v[38:39] neg_lo:[0,0,1] neg_hi:[0,0,1]
	v_mov_b32_e32 v39, v43
	ds_store_2addr_b64 v0, v[38:39], v[38:39] offset0:49 offset1:112
.LBB162_247:                            ;   in Loop: Header=BB162_3 Depth=1
	s_or_b32 exec_lo, exec_lo, s11
	v_mov_b64_e32 v[38:39], 0
	s_wait_dscnt 0x0
	s_barrier_signal -1
	s_barrier_wait -1
	global_wb scope:SCOPE_DEV
	s_wait_storecnt 0x0
	global_inv scope:SCOPE_DEV
	s_and_saveexec_b32 s65, s7
	s_cbranch_execz .LBB162_275
; %bb.248:                              ;   in Loop: Header=BB162_3 Depth=1
	ds_load_b64 v[38:39], v64 offset:24832
	ds_load_b64 v[40:41], v65 offset:32640
	s_wait_dscnt 0x0
	v_dual_mul_f32 v0, v41, v39 :: v_dual_mul_f32 v39, v40, v39
	s_delay_alu instid0(VALU_DEP_1) | instskip(NEXT) | instid1(VALU_DEP_1)
	v_dual_fma_f32 v0, v40, v38, -v0 :: v_dual_fmac_f32 v39, v41, v38
	v_dual_add_f32 v38, 0, v0 :: v_dual_add_f32 v39, 0, v39
	s_mov_b32 s11, exec_lo
	v_readlane_b32 s12, v105, 29
	s_and_b32 s12, s11, s12
	s_delay_alu instid0(SALU_CYCLE_1)
	s_mov_b32 exec_lo, s12
	s_cbranch_execz .LBB162_250
; %bb.249:                              ;   in Loop: Header=BB162_3 Depth=1
	ds_load_b64 v[40:41], v64 offset:25344
	ds_load_b64 v[42:43], v65 offset:32648
	s_wait_dscnt 0x0
	v_dual_mul_f32 v0, v43, v41 :: v_dual_mul_f32 v41, v42, v41
	s_delay_alu instid0(VALU_DEP_1) | instskip(NEXT) | instid1(VALU_DEP_1)
	v_dual_fma_f32 v0, v42, v40, -v0 :: v_dual_fmac_f32 v41, v43, v40
	v_dual_add_f32 v38, v38, v0 :: v_dual_add_f32 v39, v39, v41
.LBB162_250:                            ;   in Loop: Header=BB162_3 Depth=1
	s_or_b32 exec_lo, exec_lo, s11
	s_delay_alu instid0(SALU_CYCLE_1) | instskip(SKIP_2) | instid1(SALU_CYCLE_1)
	s_mov_b32 s11, exec_lo
	v_readlane_b32 s12, v105, 30
	s_and_b32 s12, s11, s12
	s_mov_b32 exec_lo, s12
	s_cbranch_execz .LBB162_252
; %bb.251:                              ;   in Loop: Header=BB162_3 Depth=1
	ds_load_b64 v[40:41], v64 offset:25856
	ds_load_b64 v[42:43], v65 offset:32656
	s_wait_dscnt 0x0
	v_dual_mul_f32 v0, v43, v41 :: v_dual_mul_f32 v41, v42, v41
	s_delay_alu instid0(VALU_DEP_1) | instskip(NEXT) | instid1(VALU_DEP_1)
	v_dual_fma_f32 v0, v42, v40, -v0 :: v_dual_fmac_f32 v41, v43, v40
	v_dual_add_f32 v38, v38, v0 :: v_dual_add_f32 v39, v39, v41
.LBB162_252:                            ;   in Loop: Header=BB162_3 Depth=1
	s_or_b32 exec_lo, exec_lo, s11
	s_delay_alu instid0(SALU_CYCLE_1) | instskip(SKIP_2) | instid1(SALU_CYCLE_1)
	s_mov_b32 s11, exec_lo
	v_readlane_b32 s12, v105, 31
	s_and_b32 s12, s11, s12
	;; [unrolled: 16-line block ×10, first 2 shown]
	s_mov_b32 exec_lo, s12
	s_cbranch_execnz .LBB162_1134
; %bb.269:                              ;   in Loop: Header=BB162_3 Depth=1
	s_or_b32 exec_lo, exec_lo, s11
	s_and_saveexec_b32 s11, s6
	s_cbranch_execnz .LBB162_1135
.LBB162_270:                            ;   in Loop: Header=BB162_3 Depth=1
	s_or_b32 exec_lo, exec_lo, s11
	s_and_saveexec_b32 s11, s22
	s_cbranch_execnz .LBB162_1136
.LBB162_271:                            ;   in Loop: Header=BB162_3 Depth=1
	s_or_b32 exec_lo, exec_lo, s11
	s_and_saveexec_b32 s11, s24
	s_cbranch_execnz .LBB162_1137
.LBB162_272:                            ;   in Loop: Header=BB162_3 Depth=1
	s_or_b32 exec_lo, exec_lo, s11
	s_and_saveexec_b32 s11, s5
	s_cbranch_execz .LBB162_274
.LBB162_273:                            ;   in Loop: Header=BB162_3 Depth=1
	ds_load_b64 v[40:41], v49 offset:32512
	ds_load_b64 v[42:43], v1 offset:32760
	s_wait_dscnt 0x0
	v_dual_mul_f32 v0, v43, v41 :: v_dual_mul_f32 v97, v42, v41
	s_delay_alu instid0(VALU_DEP_1) | instskip(NEXT) | instid1(VALU_DEP_1)
	v_dual_fma_f32 v96, v42, v40, -v0 :: v_dual_fmac_f32 v97, v43, v40
	v_pk_add_f32 v[38:39], v[38:39], v[96:97]
.LBB162_274:                            ;   in Loop: Header=BB162_3 Depth=1
	s_or_b32 exec_lo, exec_lo, s11
.LBB162_275:                            ;   in Loop: Header=BB162_3 Depth=1
	s_delay_alu instid0(SALU_CYCLE_1) | instskip(NEXT) | instid1(SALU_CYCLE_1)
	s_or_b32 exec_lo, exec_lo, s65
	s_mov_b32 s11, exec_lo
	v_readlane_b32 s12, v105, 1
	s_and_b32 s12, s11, s12
	s_delay_alu instid0(SALU_CYCLE_1)
	s_mov_b32 exec_lo, s12
	s_cbranch_execz .LBB162_277
; %bb.276:                              ;   in Loop: Header=BB162_3 Depth=1
	ds_load_b64 v[40:41], v1 offset:24440
	s_wait_dscnt 0x0
	v_pk_mul_f32 v[42:43], v[38:39], v[40:41] op_sel:[1,1] op_sel_hi:[1,0]
	s_delay_alu instid0(VALU_DEP_1) | instskip(SKIP_1) | instid1(VALU_DEP_2)
	v_pk_fma_f32 v[96:97], v[38:39], v[40:41], v[42:43] op_sel_hi:[0,1,1]
	v_pk_fma_f32 v[38:39], v[38:39], v[40:41], v[42:43] neg_lo:[0,0,1] neg_hi:[0,0,1]
	v_mov_b32_e32 v39, v97
	s_delay_alu instid0(VALU_DEP_1)
	v_pk_add_f32 v[40:41], v[38:39], 0 neg_lo:[1,1] neg_hi:[1,1]
	ds_store_b64 v63, v[40:41]
.LBB162_277:                            ;   in Loop: Header=BB162_3 Depth=1
	s_or_b32 exec_lo, exec_lo, s11
	s_wait_loadcnt_dscnt 0x0
	s_barrier_signal -1
	s_barrier_wait -1
	s_mov_b32 s11, exec_lo
	v_readlane_b32 s12, v105, 2
	s_and_b32 s12, s11, s12
	s_delay_alu instid0(SALU_CYCLE_1)
	s_mov_b32 exec_lo, s12
	s_cbranch_execz .LBB162_279
; %bb.278:                              ;   in Loop: Header=BB162_3 Depth=1
	ds_load_b64 v[40:41], v64 offset:24320
	ds_load_b64 v[42:43], v63
	s_wait_dscnt 0x0
	v_pk_mul_f32 v[96:97], v[42:43], v[40:41] op_sel:[1,1] op_sel_hi:[0,1]
	s_delay_alu instid0(VALU_DEP_1) | instskip(SKIP_1) | instid1(VALU_DEP_2)
	v_pk_fma_f32 v[98:99], v[42:43], v[40:41], v[96:97] op_sel_hi:[1,0,1]
	v_pk_fma_f32 v[40:41], v[42:43], v[40:41], v[96:97] neg_lo:[0,0,1] neg_hi:[0,0,1]
	v_mov_b32_e32 v41, v99
	s_delay_alu instid0(VALU_DEP_1)
	v_pk_add_f32 v[38:39], v[38:39], v[40:41] neg_lo:[0,1] neg_hi:[0,1]
.LBB162_279:                            ;   in Loop: Header=BB162_3 Depth=1
	s_or_b32 exec_lo, exec_lo, s11
	s_barrier_signal -1
	s_barrier_wait -1
	s_mov_b32 s11, exec_lo
	v_readlane_b32 s12, v105, 3
	s_and_b32 s12, s11, s12
	s_delay_alu instid0(SALU_CYCLE_1)
	s_mov_b32 exec_lo, s12
	s_cbranch_execz .LBB162_281
; %bb.280:                              ;   in Loop: Header=BB162_3 Depth=1
	ds_load_b64 v[40:41], v1 offset:23920
	s_wait_dscnt 0x0
	v_pk_mul_f32 v[42:43], v[38:39], v[40:41] op_sel:[1,1] op_sel_hi:[1,0]
	s_delay_alu instid0(VALU_DEP_1) | instskip(SKIP_1) | instid1(VALU_DEP_2)
	v_pk_fma_f32 v[96:97], v[38:39], v[40:41], v[42:43] op_sel_hi:[0,1,1]
	v_pk_fma_f32 v[38:39], v[38:39], v[40:41], v[42:43] neg_lo:[0,0,1] neg_hi:[0,0,1]
	v_mov_b32_e32 v39, v97
	s_delay_alu instid0(VALU_DEP_1)
	v_pk_add_f32 v[40:41], v[38:39], 0 neg_lo:[1,1] neg_hi:[1,1]
	ds_store_b64 v63, v[40:41]
.LBB162_281:                            ;   in Loop: Header=BB162_3 Depth=1
	s_or_b32 exec_lo, exec_lo, s11
	s_wait_dscnt 0x0
	s_barrier_signal -1
	s_barrier_wait -1
	s_and_saveexec_b32 s11, s54
	s_cbranch_execz .LBB162_283
; %bb.282:                              ;   in Loop: Header=BB162_3 Depth=1
	ds_load_b64 v[40:41], v64 offset:23808
	ds_load_b64 v[42:43], v63
	s_wait_dscnt 0x0
	v_pk_mul_f32 v[96:97], v[42:43], v[40:41] op_sel:[1,1] op_sel_hi:[0,1]
	s_delay_alu instid0(VALU_DEP_1) | instskip(SKIP_1) | instid1(VALU_DEP_2)
	v_pk_fma_f32 v[98:99], v[42:43], v[40:41], v[96:97] op_sel_hi:[1,0,1]
	v_pk_fma_f32 v[40:41], v[42:43], v[40:41], v[96:97] neg_lo:[0,0,1] neg_hi:[0,0,1]
	v_mov_b32_e32 v41, v99
	s_delay_alu instid0(VALU_DEP_1)
	v_pk_add_f32 v[38:39], v[38:39], v[40:41] neg_lo:[0,1] neg_hi:[0,1]
.LBB162_283:                            ;   in Loop: Header=BB162_3 Depth=1
	s_or_b32 exec_lo, exec_lo, s11
	s_barrier_signal -1
	s_barrier_wait -1
	s_and_saveexec_b32 s11, s55
	s_cbranch_execz .LBB162_285
; %bb.284:                              ;   in Loop: Header=BB162_3 Depth=1
	ds_load_b64 v[40:41], v1 offset:23400
	s_wait_dscnt 0x0
	v_pk_mul_f32 v[42:43], v[38:39], v[40:41] op_sel:[1,1] op_sel_hi:[1,0]
	s_delay_alu instid0(VALU_DEP_1) | instskip(SKIP_1) | instid1(VALU_DEP_2)
	v_pk_fma_f32 v[96:97], v[38:39], v[40:41], v[42:43] op_sel_hi:[0,1,1]
	v_pk_fma_f32 v[38:39], v[38:39], v[40:41], v[42:43] neg_lo:[0,0,1] neg_hi:[0,0,1]
	v_mov_b32_e32 v39, v97
	s_delay_alu instid0(VALU_DEP_1)
	v_pk_add_f32 v[40:41], v[38:39], 0 neg_lo:[1,1] neg_hi:[1,1]
	ds_store_b64 v63, v[40:41]
.LBB162_285:                            ;   in Loop: Header=BB162_3 Depth=1
	s_or_b32 exec_lo, exec_lo, s11
	s_wait_dscnt 0x0
	s_barrier_signal -1
	s_barrier_wait -1
	s_and_saveexec_b32 s11, s56
	s_cbranch_execz .LBB162_287
; %bb.286:                              ;   in Loop: Header=BB162_3 Depth=1
	ds_load_b64 v[40:41], v64 offset:23296
	ds_load_b64 v[42:43], v63
	s_wait_dscnt 0x0
	v_pk_mul_f32 v[96:97], v[42:43], v[40:41] op_sel:[1,1] op_sel_hi:[0,1]
	s_delay_alu instid0(VALU_DEP_1) | instskip(SKIP_1) | instid1(VALU_DEP_2)
	v_pk_fma_f32 v[98:99], v[42:43], v[40:41], v[96:97] op_sel_hi:[1,0,1]
	v_pk_fma_f32 v[40:41], v[42:43], v[40:41], v[96:97] neg_lo:[0,0,1] neg_hi:[0,0,1]
	v_mov_b32_e32 v41, v99
	s_delay_alu instid0(VALU_DEP_1)
	v_pk_add_f32 v[38:39], v[38:39], v[40:41] neg_lo:[0,1] neg_hi:[0,1]
.LBB162_287:                            ;   in Loop: Header=BB162_3 Depth=1
	s_or_b32 exec_lo, exec_lo, s11
	s_delay_alu instid0(VALU_DEP_1)
	v_dual_mov_b32 v40, v39 :: v_dual_mov_b32 v41, v38
	s_barrier_signal -1
	s_barrier_wait -1
	s_and_saveexec_b32 s11, s57
	s_cbranch_execz .LBB162_289
; %bb.288:                              ;   in Loop: Header=BB162_3 Depth=1
	ds_load_b64 v[42:43], v1 offset:22880
	s_wait_dscnt 0x0
	v_dual_mul_f32 v0, v41, v43 :: v_dual_mul_f32 v44, v39, v43
	s_delay_alu instid0(VALU_DEP_1) | instskip(NEXT) | instid1(VALU_DEP_2)
	v_pk_fma_f32 v[40:41], v[40:41], v[42:43], v[0:1] op_sel_hi:[1,1,0]
	v_pk_fma_f32 v[38:39], v[38:39], v[42:43], v[44:45] op_sel_hi:[1,1,0] neg_lo:[0,0,1] neg_hi:[0,0,1]
	s_delay_alu instid0(VALU_DEP_1) | instskip(NEXT) | instid1(VALU_DEP_1)
	v_dual_mov_b32 v39, v40 :: v_dual_mov_b32 v41, v38
	v_pk_add_f32 v[42:43], v[38:39], 0 neg_lo:[1,1] neg_hi:[1,1]
	ds_store_b64 v63, v[42:43]
.LBB162_289:                            ;   in Loop: Header=BB162_3 Depth=1
	s_or_b32 exec_lo, exec_lo, s11
	s_wait_dscnt 0x0
	s_barrier_signal -1
	s_barrier_wait -1
	s_and_saveexec_b32 s11, s58
	s_cbranch_execz .LBB162_291
; %bb.290:                              ;   in Loop: Header=BB162_3 Depth=1
	ds_load_b64 v[38:39], v64 offset:22784
	ds_load_b64 v[42:43], v63
	s_wait_dscnt 0x0
	v_dual_mul_f32 v0, v43, v39 :: v_dual_mul_f32 v96, v42, v39
	s_delay_alu instid0(VALU_DEP_1) | instskip(NEXT) | instid1(VALU_DEP_2)
	v_fma_f32 v97, v42, v38, -v0
	v_fmac_f32_e32 v96, v43, v38
	s_delay_alu instid0(VALU_DEP_1)
	v_pk_add_f32 v[40:41], v[40:41], v[96:97] neg_lo:[0,1] neg_hi:[0,1]
.LBB162_291:                            ;   in Loop: Header=BB162_3 Depth=1
	s_or_b32 exec_lo, exec_lo, s11
	s_barrier_signal -1
	s_barrier_wait -1
	s_and_saveexec_b32 s11, s59
	s_cbranch_execz .LBB162_293
; %bb.292:                              ;   in Loop: Header=BB162_3 Depth=1
	ds_load_b64 v[38:39], v1 offset:22360
	s_wait_dscnt 0x0
	v_pk_mul_f32 v[42:43], v[40:41], v[38:39] op_sel_hi:[0,1]
	s_delay_alu instid0(VALU_DEP_1) | instskip(SKIP_1) | instid1(VALU_DEP_2)
	v_pk_fma_f32 v[96:97], v[40:41], v[38:39], v[42:43] op_sel:[1,1,0] op_sel_hi:[1,0,1] neg_lo:[0,0,1] neg_hi:[0,0,1]
	v_pk_fma_f32 v[40:41], v[40:41], v[38:39], v[42:43] op_sel:[1,1,0] op_sel_hi:[1,0,1]
	v_mov_b32_e32 v41, v97
	s_delay_alu instid0(VALU_DEP_2)
	v_xor_b32_e32 v39, 0x80000000, v40
	v_xor_b32_e32 v38, 0x80000000, v97
	ds_store_b64 v63, v[38:39]
.LBB162_293:                            ;   in Loop: Header=BB162_3 Depth=1
	s_or_b32 exec_lo, exec_lo, s11
	s_wait_dscnt 0x0
	s_barrier_signal -1
	s_barrier_wait -1
	s_and_saveexec_b32 s11, s60
	s_cbranch_execz .LBB162_295
; %bb.294:                              ;   in Loop: Header=BB162_3 Depth=1
	ds_load_b64 v[38:39], v64 offset:22272
	ds_load_b64 v[42:43], v63
	s_wait_dscnt 0x0
	v_pk_mul_f32 v[96:97], v[42:43], v[38:39] op_sel:[0,1]
	s_delay_alu instid0(VALU_DEP_1) | instskip(SKIP_1) | instid1(VALU_DEP_2)
	v_pk_fma_f32 v[98:99], v[42:43], v[38:39], v[96:97] op_sel:[1,0,0] op_sel_hi:[0,0,1] neg_lo:[0,0,1] neg_hi:[0,0,1]
	v_pk_fma_f32 v[38:39], v[42:43], v[38:39], v[96:97] op_sel:[1,0,0] op_sel_hi:[0,1,1]
	v_mov_b32_e32 v39, v99
	s_delay_alu instid0(VALU_DEP_1)
	v_pk_add_f32 v[40:41], v[40:41], v[38:39] neg_lo:[0,1] neg_hi:[0,1]
.LBB162_295:                            ;   in Loop: Header=BB162_3 Depth=1
	s_or_b32 exec_lo, exec_lo, s11
	s_barrier_signal -1
	s_barrier_wait -1
	s_and_saveexec_b32 s11, s61
	s_cbranch_execz .LBB162_297
; %bb.296:                              ;   in Loop: Header=BB162_3 Depth=1
	ds_load_b64 v[38:39], v1 offset:21840
	s_wait_dscnt 0x0
	v_pk_mul_f32 v[42:43], v[40:41], v[38:39] op_sel_hi:[0,1]
	s_delay_alu instid0(VALU_DEP_1) | instskip(SKIP_1) | instid1(VALU_DEP_2)
	v_pk_fma_f32 v[96:97], v[40:41], v[38:39], v[42:43] op_sel:[1,1,0] op_sel_hi:[1,0,1] neg_lo:[0,0,1] neg_hi:[0,0,1]
	v_pk_fma_f32 v[40:41], v[40:41], v[38:39], v[42:43] op_sel:[1,1,0] op_sel_hi:[1,0,1]
	v_mov_b32_e32 v41, v97
	s_delay_alu instid0(VALU_DEP_2)
	v_xor_b32_e32 v39, 0x80000000, v40
	v_xor_b32_e32 v38, 0x80000000, v97
	ds_store_b64 v63, v[38:39]
.LBB162_297:                            ;   in Loop: Header=BB162_3 Depth=1
	s_or_b32 exec_lo, exec_lo, s11
	s_wait_dscnt 0x0
	s_barrier_signal -1
	s_barrier_wait -1
	s_and_saveexec_b32 s11, s62
	s_cbranch_execz .LBB162_299
; %bb.298:                              ;   in Loop: Header=BB162_3 Depth=1
	ds_load_b64 v[38:39], v64 offset:21760
	ds_load_b64 v[42:43], v63
	s_wait_dscnt 0x0
	v_pk_mul_f32 v[96:97], v[42:43], v[38:39] op_sel:[0,1]
	s_delay_alu instid0(VALU_DEP_1) | instskip(SKIP_1) | instid1(VALU_DEP_2)
	v_pk_fma_f32 v[98:99], v[42:43], v[38:39], v[96:97] op_sel:[1,0,0] op_sel_hi:[0,0,1] neg_lo:[0,0,1] neg_hi:[0,0,1]
	v_pk_fma_f32 v[38:39], v[42:43], v[38:39], v[96:97] op_sel:[1,0,0] op_sel_hi:[0,1,1]
	v_mov_b32_e32 v39, v99
	s_delay_alu instid0(VALU_DEP_1)
	v_pk_add_f32 v[40:41], v[40:41], v[38:39] neg_lo:[0,1] neg_hi:[0,1]
.LBB162_299:                            ;   in Loop: Header=BB162_3 Depth=1
	;; [unrolled: 36-line block ×3, first 2 shown]
	s_or_b32 exec_lo, exec_lo, s11
	s_delay_alu instid0(VALU_DEP_1)
	v_dual_mov_b32 v38, v41 :: v_dual_mov_b32 v39, v40
	s_barrier_signal -1
	s_barrier_wait -1
	s_and_saveexec_b32 s11, s13
	s_cbranch_execz .LBB162_305
; %bb.304:                              ;   in Loop: Header=BB162_3 Depth=1
	ds_load_b64 v[42:43], v1 offset:20800
	s_wait_dscnt 0x0
	v_dual_mul_f32 v0, v40, v42 :: v_dual_mul_f32 v44, v39, v43
	s_delay_alu instid0(VALU_DEP_1) | instskip(NEXT) | instid1(VALU_DEP_2)
	v_pk_fma_f32 v[40:41], v[40:41], v[42:43], v[0:1] op_sel_hi:[1,1,0]
	v_pk_fma_f32 v[38:39], v[38:39], v[42:43], v[44:45] op_sel_hi:[1,1,0] neg_lo:[0,0,1] neg_hi:[0,0,1]
	s_delay_alu instid0(VALU_DEP_2) | instskip(NEXT) | instid1(VALU_DEP_1)
	v_mov_b32_e32 v39, v41
	v_pk_add_f32 v[40:41], v[38:39], 0 neg_lo:[1,1] neg_hi:[1,1]
	ds_store_b64 v63, v[40:41]
.LBB162_305:                            ;   in Loop: Header=BB162_3 Depth=1
	s_or_b32 exec_lo, exec_lo, s11
	s_wait_dscnt 0x0
	s_barrier_signal -1
	s_barrier_wait -1
	s_and_saveexec_b32 s11, s26
	s_cbranch_execz .LBB162_307
; %bb.306:                              ;   in Loop: Header=BB162_3 Depth=1
	ds_load_b64 v[40:41], v64 offset:20736
	ds_load_b64 v[42:43], v63
	s_wait_dscnt 0x0
	v_dual_mul_f32 v0, v43, v41 :: v_dual_mul_f32 v97, v42, v41
	s_delay_alu instid0(VALU_DEP_1) | instskip(NEXT) | instid1(VALU_DEP_1)
	v_dual_fma_f32 v96, v42, v40, -v0 :: v_dual_fmac_f32 v97, v43, v40
	v_pk_add_f32 v[38:39], v[38:39], v[96:97] neg_lo:[0,1] neg_hi:[0,1]
.LBB162_307:                            ;   in Loop: Header=BB162_3 Depth=1
	s_or_b32 exec_lo, exec_lo, s11
	s_barrier_signal -1
	s_barrier_wait -1
	s_and_saveexec_b32 s11, s28
	s_cbranch_execz .LBB162_309
; %bb.308:                              ;   in Loop: Header=BB162_3 Depth=1
	ds_load_b64 v[40:41], v1 offset:20280
	s_wait_dscnt 0x0
	v_pk_mul_f32 v[42:43], v[38:39], v[40:41] op_sel:[1,1] op_sel_hi:[1,0]
	s_delay_alu instid0(VALU_DEP_1) | instskip(SKIP_1) | instid1(VALU_DEP_2)
	v_pk_fma_f32 v[96:97], v[38:39], v[40:41], v[42:43] op_sel_hi:[0,1,1]
	v_pk_fma_f32 v[38:39], v[38:39], v[40:41], v[42:43] neg_lo:[0,0,1] neg_hi:[0,0,1]
	v_mov_b32_e32 v39, v97
	s_delay_alu instid0(VALU_DEP_1)
	v_pk_add_f32 v[40:41], v[38:39], 0 neg_lo:[1,1] neg_hi:[1,1]
	ds_store_b64 v63, v[40:41]
.LBB162_309:                            ;   in Loop: Header=BB162_3 Depth=1
	s_or_b32 exec_lo, exec_lo, s11
	s_wait_dscnt 0x0
	s_barrier_signal -1
	s_barrier_wait -1
	s_and_saveexec_b32 s11, s30
	s_cbranch_execz .LBB162_311
; %bb.310:                              ;   in Loop: Header=BB162_3 Depth=1
	ds_load_b64 v[40:41], v64 offset:20224
	ds_load_b64 v[42:43], v63
	s_wait_dscnt 0x0
	v_pk_mul_f32 v[96:97], v[42:43], v[40:41] op_sel:[1,1] op_sel_hi:[0,1]
	s_delay_alu instid0(VALU_DEP_1) | instskip(SKIP_1) | instid1(VALU_DEP_2)
	v_pk_fma_f32 v[98:99], v[42:43], v[40:41], v[96:97] op_sel_hi:[1,0,1]
	v_pk_fma_f32 v[40:41], v[42:43], v[40:41], v[96:97] neg_lo:[0,0,1] neg_hi:[0,0,1]
	v_mov_b32_e32 v41, v99
	s_delay_alu instid0(VALU_DEP_1)
	v_pk_add_f32 v[38:39], v[38:39], v[40:41] neg_lo:[0,1] neg_hi:[0,1]
.LBB162_311:                            ;   in Loop: Header=BB162_3 Depth=1
	s_or_b32 exec_lo, exec_lo, s11
	s_barrier_signal -1
	s_barrier_wait -1
	s_and_saveexec_b32 s11, s33
	s_cbranch_execz .LBB162_313
; %bb.312:                              ;   in Loop: Header=BB162_3 Depth=1
	ds_load_b64 v[40:41], v1 offset:19760
	s_wait_dscnt 0x0
	v_pk_mul_f32 v[42:43], v[38:39], v[40:41] op_sel:[1,1] op_sel_hi:[1,0]
	s_delay_alu instid0(VALU_DEP_1) | instskip(SKIP_1) | instid1(VALU_DEP_2)
	v_pk_fma_f32 v[96:97], v[38:39], v[40:41], v[42:43] op_sel_hi:[0,1,1]
	v_pk_fma_f32 v[38:39], v[38:39], v[40:41], v[42:43] neg_lo:[0,0,1] neg_hi:[0,0,1]
	v_mov_b32_e32 v39, v97
	s_delay_alu instid0(VALU_DEP_1)
	v_pk_add_f32 v[40:41], v[38:39], 0 neg_lo:[1,1] neg_hi:[1,1]
	ds_store_b64 v63, v[40:41]
.LBB162_313:                            ;   in Loop: Header=BB162_3 Depth=1
	s_or_b32 exec_lo, exec_lo, s11
	s_wait_dscnt 0x0
	s_barrier_signal -1
	s_barrier_wait -1
	s_and_saveexec_b32 s11, s35
	s_cbranch_execz .LBB162_315
; %bb.314:                              ;   in Loop: Header=BB162_3 Depth=1
	ds_load_b64 v[40:41], v64 offset:19712
	ds_load_b64 v[42:43], v63
	s_wait_dscnt 0x0
	v_pk_mul_f32 v[96:97], v[42:43], v[40:41] op_sel:[1,1] op_sel_hi:[0,1]
	s_delay_alu instid0(VALU_DEP_1) | instskip(SKIP_1) | instid1(VALU_DEP_2)
	v_pk_fma_f32 v[98:99], v[42:43], v[40:41], v[96:97] op_sel_hi:[1,0,1]
	v_pk_fma_f32 v[40:41], v[42:43], v[40:41], v[96:97] neg_lo:[0,0,1] neg_hi:[0,0,1]
	v_mov_b32_e32 v41, v99
	s_delay_alu instid0(VALU_DEP_1)
	v_pk_add_f32 v[38:39], v[38:39], v[40:41] neg_lo:[0,1] neg_hi:[0,1]
.LBB162_315:                            ;   in Loop: Header=BB162_3 Depth=1
	;; [unrolled: 35-line block ×3, first 2 shown]
	s_or_b32 exec_lo, exec_lo, s11
	s_barrier_signal -1
	s_barrier_wait -1
	s_and_saveexec_b32 s11, s83
	s_cbranch_execz .LBB162_321
; %bb.320:                              ;   in Loop: Header=BB162_3 Depth=1
	ds_load_b64 v[40:41], v1 offset:18720
	s_wait_dscnt 0x0
	v_pk_mul_f32 v[42:43], v[38:39], v[40:41]
	v_pk_mul_f32 v[38:39], v[38:39], v[40:41] op_sel:[1,0] op_sel_hi:[0,1]
	s_delay_alu instid0(VALU_DEP_1) | instskip(NEXT) | instid1(VALU_DEP_3)
	v_dual_mov_b32 v40, v42 :: v_dual_mov_b32 v41, v38
	v_mov_b32_e32 v38, v43
	s_delay_alu instid0(VALU_DEP_1) | instskip(SKIP_1) | instid1(VALU_DEP_2)
	v_pk_add_f32 v[42:43], v[40:41], v[38:39]
	v_pk_add_f32 v[38:39], v[40:41], v[38:39] neg_lo:[0,1] neg_hi:[0,1]
	v_mov_b32_e32 v39, v43
	s_delay_alu instid0(VALU_DEP_1)
	v_pk_add_f32 v[40:41], v[38:39], 0 neg_lo:[1,1] neg_hi:[1,1]
	ds_store_b64 v63, v[40:41]
.LBB162_321:                            ;   in Loop: Header=BB162_3 Depth=1
	s_or_b32 exec_lo, exec_lo, s11
	s_wait_dscnt 0x0
	s_barrier_signal -1
	s_barrier_wait -1
	s_and_saveexec_b32 s11, s76
	s_cbranch_execz .LBB162_323
; %bb.322:                              ;   in Loop: Header=BB162_3 Depth=1
	ds_load_b64 v[40:41], v64 offset:18688
	ds_load_b64 v[42:43], v63
	s_wait_dscnt 0x0
	v_dual_mul_f32 v0, v43, v41 :: v_dual_mul_f32 v41, v42, v41
	s_delay_alu instid0(VALU_DEP_1) | instskip(NEXT) | instid1(VALU_DEP_1)
	v_dual_fma_f32 v0, v42, v40, -v0 :: v_dual_fmac_f32 v41, v43, v40
	v_dual_sub_f32 v38, v38, v0 :: v_dual_sub_f32 v39, v39, v41
.LBB162_323:                            ;   in Loop: Header=BB162_3 Depth=1
	s_or_b32 exec_lo, exec_lo, s11
	s_barrier_signal -1
	s_barrier_wait -1
	s_and_saveexec_b32 s11, s77
	s_cbranch_execz .LBB162_325
; %bb.324:                              ;   in Loop: Header=BB162_3 Depth=1
	ds_load_b64 v[40:41], v1 offset:18200
	s_wait_dscnt 0x0
	v_dual_mul_f32 v0, v39, v40 :: v_dual_mul_f32 v42, v39, v41
	s_delay_alu instid0(VALU_DEP_1) | instskip(NEXT) | instid1(VALU_DEP_2)
	v_pk_fma_f32 v[96:97], v[38:39], v[40:41], v[0:1] op_sel:[1,0,0] op_sel_hi:[0,1,0]
	v_pk_fma_f32 v[38:39], v[38:39], v[40:41], v[42:43] op_sel_hi:[1,1,0] neg_lo:[0,0,1] neg_hi:[0,0,1]
	s_delay_alu instid0(VALU_DEP_2) | instskip(NEXT) | instid1(VALU_DEP_1)
	v_mov_b32_e32 v39, v97
	v_pk_add_f32 v[40:41], v[38:39], 0 neg_lo:[1,1] neg_hi:[1,1]
	ds_store_b64 v63, v[40:41]
.LBB162_325:                            ;   in Loop: Header=BB162_3 Depth=1
	s_or_b32 exec_lo, exec_lo, s11
	s_wait_dscnt 0x0
	s_barrier_signal -1
	s_barrier_wait -1
	s_and_saveexec_b32 s11, s27
	s_cbranch_execz .LBB162_327
; %bb.326:                              ;   in Loop: Header=BB162_3 Depth=1
	ds_load_b64 v[40:41], v64 offset:18176
	ds_load_b64 v[42:43], v63
	s_wait_dscnt 0x0
	v_pk_mul_f32 v[96:97], v[42:43], v[40:41] op_sel:[1,1] op_sel_hi:[0,1]
	s_delay_alu instid0(VALU_DEP_1) | instskip(SKIP_1) | instid1(VALU_DEP_2)
	v_pk_fma_f32 v[98:99], v[42:43], v[40:41], v[96:97] op_sel_hi:[1,0,1]
	v_pk_fma_f32 v[40:41], v[42:43], v[40:41], v[96:97] neg_lo:[0,0,1] neg_hi:[0,0,1]
	v_mov_b32_e32 v41, v99
	s_delay_alu instid0(VALU_DEP_1)
	v_pk_add_f32 v[38:39], v[38:39], v[40:41] neg_lo:[0,1] neg_hi:[0,1]
.LBB162_327:                            ;   in Loop: Header=BB162_3 Depth=1
	s_or_b32 exec_lo, exec_lo, s11
	s_barrier_signal -1
	s_barrier_wait -1
	s_and_saveexec_b32 s11, s29
	s_cbranch_execz .LBB162_329
; %bb.328:                              ;   in Loop: Header=BB162_3 Depth=1
	ds_load_b64 v[40:41], v1 offset:17680
	s_wait_dscnt 0x0
	v_pk_mul_f32 v[42:43], v[38:39], v[40:41] op_sel:[1,1] op_sel_hi:[1,0]
	s_delay_alu instid0(VALU_DEP_1) | instskip(SKIP_1) | instid1(VALU_DEP_2)
	v_pk_fma_f32 v[96:97], v[38:39], v[40:41], v[42:43] op_sel_hi:[0,1,1]
	v_pk_fma_f32 v[38:39], v[38:39], v[40:41], v[42:43] neg_lo:[0,0,1] neg_hi:[0,0,1]
	v_mov_b32_e32 v39, v97
	s_delay_alu instid0(VALU_DEP_1)
	v_pk_add_f32 v[40:41], v[38:39], 0 neg_lo:[1,1] neg_hi:[1,1]
	ds_store_b64 v63, v[40:41]
.LBB162_329:                            ;   in Loop: Header=BB162_3 Depth=1
	s_or_b32 exec_lo, exec_lo, s11
	s_wait_dscnt 0x0
	s_barrier_signal -1
	s_barrier_wait -1
	s_and_saveexec_b32 s11, s31
	s_cbranch_execz .LBB162_331
; %bb.330:                              ;   in Loop: Header=BB162_3 Depth=1
	ds_load_b64 v[40:41], v64 offset:17664
	ds_load_b64 v[42:43], v63
	s_wait_dscnt 0x0
	v_pk_mul_f32 v[96:97], v[42:43], v[40:41] op_sel:[1,1] op_sel_hi:[0,1]
	s_delay_alu instid0(VALU_DEP_1) | instskip(SKIP_1) | instid1(VALU_DEP_2)
	v_pk_fma_f32 v[98:99], v[42:43], v[40:41], v[96:97] op_sel_hi:[1,0,1]
	v_pk_fma_f32 v[40:41], v[42:43], v[40:41], v[96:97] neg_lo:[0,0,1] neg_hi:[0,0,1]
	v_mov_b32_e32 v41, v99
	s_delay_alu instid0(VALU_DEP_1)
	v_pk_add_f32 v[38:39], v[38:39], v[40:41] neg_lo:[0,1] neg_hi:[0,1]
.LBB162_331:                            ;   in Loop: Header=BB162_3 Depth=1
	s_or_b32 exec_lo, exec_lo, s11
	s_barrier_signal -1
	s_barrier_wait -1
	s_and_saveexec_b32 s11, s34
	s_cbranch_execz .LBB162_333
; %bb.332:                              ;   in Loop: Header=BB162_3 Depth=1
	ds_load_b64 v[40:41], v1 offset:17160
	s_wait_dscnt 0x0
	v_pk_mul_f32 v[42:43], v[38:39], v[40:41] op_sel:[1,1] op_sel_hi:[1,0]
	s_delay_alu instid0(VALU_DEP_1) | instskip(SKIP_1) | instid1(VALU_DEP_2)
	v_pk_fma_f32 v[96:97], v[38:39], v[40:41], v[42:43] op_sel_hi:[0,1,1]
	v_pk_fma_f32 v[38:39], v[38:39], v[40:41], v[42:43] neg_lo:[0,0,1] neg_hi:[0,0,1]
	v_mov_b32_e32 v39, v97
	s_delay_alu instid0(VALU_DEP_1)
	v_pk_add_f32 v[40:41], v[38:39], 0 neg_lo:[1,1] neg_hi:[1,1]
	ds_store_b64 v63, v[40:41]
.LBB162_333:                            ;   in Loop: Header=BB162_3 Depth=1
	;; [unrolled: 35-line block ×3, first 2 shown]
	s_or_b32 exec_lo, exec_lo, s11
	s_wait_dscnt 0x0
	s_barrier_signal -1
	s_barrier_wait -1
	s_barrier_signal -1
	s_barrier_wait -1
	s_and_saveexec_b32 s11, s7
; %bb.338:                              ;   in Loop: Header=BB162_3 Depth=1
	ds_store_b64 v67, v[38:39] offset:32512
; %bb.339:                              ;   in Loop: Header=BB162_3 Depth=1
	s_or_b32 exec_lo, exec_lo, s11
	s_wait_dscnt 0x0
	s_barrier_signal -1
	s_barrier_wait -1
	s_barrier_signal -1
	s_barrier_wait -1
	s_and_saveexec_b32 s11, s89
	s_cbranch_execz .LBB162_341
; %bb.340:                              ;   in Loop: Header=BB162_3 Depth=1
	ds_load_b64 v[38:39], v51 offset:24832
	s_wait_dscnt 0x0
	ds_store_b64 v56, v[38:39] offset:16768
	ds_load_b64 v[38:39], v51 offset:24840
	s_wait_dscnt 0x0
	ds_store_b64 v56, v[38:39] offset:17280
	ds_load_b64 v[38:39], v51 offset:24848
	s_wait_dscnt 0x0
	ds_store_b64 v56, v[38:39] offset:17792
	ds_load_b64 v[38:39], v51 offset:24856
	s_wait_dscnt 0x0
	ds_store_b64 v56, v[38:39] offset:18304
	ds_load_b64 v[38:39], v51 offset:24864
	s_wait_dscnt 0x0
	ds_store_b64 v56, v[38:39] offset:18816
	ds_load_b64 v[38:39], v51 offset:24872
	s_wait_dscnt 0x0
	ds_store_b64 v56, v[38:39] offset:19328
	ds_load_b64 v[38:39], v51 offset:24880
	s_wait_dscnt 0x0
	ds_store_b64 v56, v[38:39] offset:19840
	ds_load_b64 v[38:39], v51 offset:24888
	s_wait_dscnt 0x0
	ds_store_b64 v56, v[38:39] offset:20352
	ds_load_b64 v[38:39], v51 offset:24896
	s_wait_dscnt 0x0
	ds_store_b64 v56, v[38:39] offset:20864
	ds_load_b64 v[38:39], v51 offset:24904
	s_wait_dscnt 0x0
	ds_store_b64 v56, v[38:39] offset:21376
	ds_load_b64 v[38:39], v51 offset:24912
	s_wait_dscnt 0x0
	ds_store_b64 v56, v[38:39] offset:21888
	ds_load_b64 v[38:39], v51 offset:24920
	s_wait_dscnt 0x0
	ds_store_b64 v56, v[38:39] offset:22400
	ds_load_b64 v[38:39], v51 offset:24928
	s_wait_dscnt 0x0
	ds_store_b64 v56, v[38:39] offset:22912
	ds_load_b64 v[38:39], v51 offset:24936
	s_wait_dscnt 0x0
	ds_store_b64 v56, v[38:39] offset:23424
	ds_load_b64 v[38:39], v51 offset:24944
	s_wait_dscnt 0x0
	ds_store_b64 v56, v[38:39] offset:23936
	ds_load_b64 v[38:39], v51 offset:24952
	s_wait_dscnt 0x0
	ds_store_b64 v56, v[38:39] offset:24448
.LBB162_341:                            ;   in Loop: Header=BB162_3 Depth=1
	s_or_b32 exec_lo, exec_lo, s11
	s_wait_dscnt 0x0
	s_barrier_signal -1
	s_barrier_wait -1
	s_and_saveexec_b32 s11, s14
	s_cbranch_execz .LBB162_343
; %bb.342:                              ;   in Loop: Header=BB162_3 Depth=1
	v_add_nc_u32_e64 v0, 0x170, 0
	ds_load_b64 v[42:43], v1 offset:24440
	ds_load_2addr_stride64_b64 v[38:41], v0 offset0:46 offset1:47
	s_wait_dscnt 0x0
	v_dual_mul_f32 v44, v43, v39 :: v_dual_mul_f32 v0, v42, v39
	s_delay_alu instid0(VALU_DEP_1) | instskip(NEXT) | instid1(VALU_DEP_2)
	v_xor_b32_e32 v44, 0x80000000, v44
	v_fmac_f32_e32 v0, v43, v38
	s_delay_alu instid0(VALU_DEP_2) | instskip(NEXT) | instid1(VALU_DEP_2)
	v_fmac_f32_e32 v44, v42, v38
	v_pk_mul_f32 v[38:39], v[0:1], v[40:41] op_sel:[0,1] op_sel_hi:[0,0]
	v_add_nc_u32_e64 v0, 0x5800, 0
	s_delay_alu instid0(VALU_DEP_2) | instskip(SKIP_1) | instid1(VALU_DEP_2)
	v_pk_fma_f32 v[42:43], v[44:45], v[40:41], v[38:39] op_sel_hi:[0,1,1]
	v_pk_fma_f32 v[38:39], v[44:45], v[40:41], v[38:39] neg_lo:[0,0,1] neg_hi:[0,0,1]
	v_mov_b32_e32 v39, v43
	ds_store_2addr_b64 v0, v[38:39], v[38:39] offset0:175 offset1:238
.LBB162_343:                            ;   in Loop: Header=BB162_3 Depth=1
	s_or_b32 exec_lo, exec_lo, s11
	v_dual_mov_b32 v38, 0 :: v_dual_mov_b32 v39, 0
	s_wait_dscnt 0x0
	s_barrier_signal -1
	s_barrier_wait -1
	global_wb scope:SCOPE_DEV
	s_wait_storecnt 0x0
	global_inv scope:SCOPE_DEV
	s_and_saveexec_b32 s11, s3
	s_cbranch_execz .LBB162_347
; %bb.344:                              ;   in Loop: Header=BB162_3 Depth=1
	ds_load_b64 v[38:39], v47 offset:23904
	ds_load_b64 v[40:41], v48 offset:24432
	s_wait_dscnt 0x0
	v_pk_mul_f32 v[42:43], v[40:41], v[38:39] op_sel:[1,1] op_sel_hi:[0,1]
	s_delay_alu instid0(VALU_DEP_1) | instskip(SKIP_1) | instid1(VALU_DEP_2)
	v_pk_fma_f32 v[96:97], v[40:41], v[38:39], v[42:43] op_sel_hi:[1,0,1]
	v_pk_fma_f32 v[38:39], v[40:41], v[38:39], v[42:43] neg_lo:[0,0,1] neg_hi:[0,0,1]
	v_mov_b32_e32 v39, v97
	s_delay_alu instid0(VALU_DEP_1)
	v_pk_add_f32 v[38:39], v[38:39], 0 op_sel_hi:[1,0]
	s_and_saveexec_b32 s12, s18
	s_cbranch_execz .LBB162_346
; %bb.345:                              ;   in Loop: Header=BB162_3 Depth=1
	ds_load_b64 v[40:41], v49 offset:24416
	ds_load_b64 v[42:43], v1 offset:24440
	s_wait_dscnt 0x0
	v_pk_mul_f32 v[96:97], v[42:43], v[40:41] op_sel:[1,1] op_sel_hi:[0,1]
	s_delay_alu instid0(VALU_DEP_1) | instskip(SKIP_1) | instid1(VALU_DEP_2)
	v_pk_fma_f32 v[98:99], v[42:43], v[40:41], v[96:97] op_sel_hi:[1,0,1]
	v_pk_fma_f32 v[40:41], v[42:43], v[40:41], v[96:97] neg_lo:[0,0,1] neg_hi:[0,0,1]
	v_mov_b32_e32 v41, v99
	s_delay_alu instid0(VALU_DEP_1)
	v_pk_add_f32 v[38:39], v[38:39], v[40:41]
.LBB162_346:                            ;   in Loop: Header=BB162_3 Depth=1
	s_or_b32 exec_lo, exec_lo, s12
.LBB162_347:                            ;   in Loop: Header=BB162_3 Depth=1
	s_delay_alu instid0(SALU_CYCLE_1)
	s_or_b32 exec_lo, exec_lo, s11
	s_and_saveexec_b32 s11, s92
	s_cbranch_execz .LBB162_349
; %bb.348:                              ;   in Loop: Header=BB162_3 Depth=1
	ds_load_b64 v[40:41], v1 offset:23400
	s_wait_dscnt 0x0
	v_pk_mul_f32 v[42:43], v[38:39], v[40:41] op_sel:[1,1] op_sel_hi:[1,0]
	s_delay_alu instid0(VALU_DEP_1) | instskip(SKIP_1) | instid1(VALU_DEP_2)
	v_pk_fma_f32 v[96:97], v[38:39], v[40:41], v[42:43] op_sel_hi:[0,1,1]
	v_pk_fma_f32 v[38:39], v[38:39], v[40:41], v[42:43] neg_lo:[0,0,1] neg_hi:[0,0,1]
	v_mov_b32_e32 v39, v97
	s_delay_alu instid0(VALU_DEP_1)
	v_pk_add_f32 v[40:41], v[38:39], 0 neg_lo:[1,1] neg_hi:[1,1]
	ds_store_b64 v3, v[40:41]
.LBB162_349:                            ;   in Loop: Header=BB162_3 Depth=1
	s_or_b32 exec_lo, exec_lo, s11
	s_wait_loadcnt_dscnt 0x0
	s_barrier_signal -1
	s_barrier_wait -1
	s_and_saveexec_b32 s11, s93
	s_cbranch_execz .LBB162_351
; %bb.350:                              ;   in Loop: Header=BB162_3 Depth=1
	ds_load_b64 v[40:41], v1 offset:23392
	ds_load_b64 v[42:43], v3
	s_wait_dscnt 0x0
	v_pk_mul_f32 v[96:97], v[42:43], v[40:41] op_sel:[1,1] op_sel_hi:[0,1]
	s_delay_alu instid0(VALU_DEP_1) | instskip(SKIP_1) | instid1(VALU_DEP_2)
	v_pk_fma_f32 v[98:99], v[42:43], v[40:41], v[96:97] op_sel_hi:[1,0,1]
	v_pk_fma_f32 v[40:41], v[42:43], v[40:41], v[96:97] neg_lo:[0,0,1] neg_hi:[0,0,1]
	v_mov_b32_e32 v41, v99
	s_delay_alu instid0(VALU_DEP_1)
	v_pk_add_f32 v[38:39], v[38:39], v[40:41] neg_lo:[0,1] neg_hi:[0,1]
.LBB162_351:                            ;   in Loop: Header=BB162_3 Depth=1
	s_or_b32 exec_lo, exec_lo, s11
	s_barrier_signal -1
	s_barrier_wait -1
	s_and_saveexec_b32 s11, s93
	s_cbranch_execz .LBB162_353
; %bb.352:                              ;   in Loop: Header=BB162_3 Depth=1
	ds_load_b64 v[40:41], v1 offset:22880
	s_wait_dscnt 0x0
	v_pk_mul_f32 v[42:43], v[38:39], v[40:41] op_sel:[1,1] op_sel_hi:[1,0]
	s_delay_alu instid0(VALU_DEP_1) | instskip(SKIP_1) | instid1(VALU_DEP_2)
	v_pk_fma_f32 v[96:97], v[38:39], v[40:41], v[42:43] op_sel_hi:[0,1,1]
	v_pk_fma_f32 v[38:39], v[38:39], v[40:41], v[42:43] neg_lo:[0,0,1] neg_hi:[0,0,1]
	v_mov_b32_e32 v39, v97
	s_delay_alu instid0(VALU_DEP_1)
	v_pk_add_f32 v[40:41], v[38:39], 0 neg_lo:[1,1] neg_hi:[1,1]
	ds_store_b64 v3, v[40:41]
.LBB162_353:                            ;   in Loop: Header=BB162_3 Depth=1
	s_or_b32 exec_lo, exec_lo, s11
	s_wait_dscnt 0x0
	s_barrier_signal -1
	s_barrier_wait -1
	s_barrier_signal -1
	s_barrier_wait -1
	s_and_saveexec_b32 s11, s3
; %bb.354:                              ;   in Loop: Header=BB162_3 Depth=1
	ds_store_b64 v50, v[38:39] offset:24416
; %bb.355:                              ;   in Loop: Header=BB162_3 Depth=1
	s_or_b32 exec_lo, exec_lo, s11
	s_wait_dscnt 0x0
	s_barrier_signal -1
	s_barrier_wait -1
	s_barrier_signal -1
	s_barrier_wait -1
	s_and_saveexec_b32 s11, s94
	s_cbranch_execz .LBB162_357
; %bb.356:                              ;   in Loop: Header=BB162_3 Depth=1
	ds_load_b64 v[38:39], v51 offset:23904
	s_wait_dscnt 0x0
	ds_store_b64 v49, v[38:39] offset:22896
	ds_load_b64 v[38:39], v51 offset:23912
	s_wait_dscnt 0x0
	ds_store_b64 v49, v[38:39] offset:23408
.LBB162_357:                            ;   in Loop: Header=BB162_3 Depth=1
	s_or_b32 exec_lo, exec_lo, s11
	s_wait_dscnt 0x0
	s_barrier_signal -1
	s_barrier_wait -1
	s_and_saveexec_b32 s11, s14
	s_cbranch_execz .LBB162_359
; %bb.358:                              ;   in Loop: Header=BB162_3 Depth=1
	v_add_nc_u32_e64 v0, 0x160, 0
	ds_load_b64 v[42:43], v1 offset:23400
	ds_load_2addr_stride64_b64 v[38:41], v0 offset0:44 offset1:45
	s_wait_dscnt 0x0
	v_dual_mul_f32 v44, v43, v39 :: v_dual_mul_f32 v0, v42, v39
	s_delay_alu instid0(VALU_DEP_1) | instskip(NEXT) | instid1(VALU_DEP_2)
	v_xor_b32_e32 v44, 0x80000000, v44
	v_fmac_f32_e32 v0, v43, v38
	s_delay_alu instid0(VALU_DEP_2) | instskip(NEXT) | instid1(VALU_DEP_2)
	v_fmac_f32_e32 v44, v42, v38
	v_pk_mul_f32 v[38:39], v[0:1], v[40:41] op_sel:[0,1] op_sel_hi:[0,0]
	v_add_nc_u32_e64 v0, 0x5800, 0
	s_delay_alu instid0(VALU_DEP_2) | instskip(SKIP_1) | instid1(VALU_DEP_2)
	v_pk_fma_f32 v[42:43], v[44:45], v[40:41], v[38:39] op_sel_hi:[0,1,1]
	v_pk_fma_f32 v[38:39], v[44:45], v[40:41], v[38:39] neg_lo:[0,0,1] neg_hi:[0,0,1]
	v_mov_b32_e32 v39, v43
	ds_store_2addr_b64 v0, v[38:39], v[38:39] offset0:45 offset1:108
.LBB162_359:                            ;   in Loop: Header=BB162_3 Depth=1
	s_or_b32 exec_lo, exec_lo, s11
	v_mov_b64_e32 v[38:39], 0
	s_wait_dscnt 0x0
	s_barrier_signal -1
	s_barrier_wait -1
	global_wb scope:SCOPE_DEV
	s_wait_storecnt 0x0
	global_inv scope:SCOPE_DEV
	s_and_saveexec_b32 s11, s5
	s_cbranch_execz .LBB162_365
; %bb.360:                              ;   in Loop: Header=BB162_3 Depth=1
	ds_load_b64 v[38:39], v53 offset:22848
	ds_load_b64 v[40:41], v54 offset:24416
	s_wait_dscnt 0x0
	v_dual_mul_f32 v0, v41, v39 :: v_dual_mul_f32 v39, v40, v39
	s_delay_alu instid0(VALU_DEP_1) | instskip(NEXT) | instid1(VALU_DEP_1)
	v_dual_fma_f32 v0, v40, v38, -v0 :: v_dual_fmac_f32 v39, v41, v38
	v_dual_add_f32 v38, 0, v0 :: v_dual_add_f32 v39, 0, v39
	s_and_saveexec_b32 s12, s19
	s_cbranch_execnz .LBB162_1138
; %bb.361:                              ;   in Loop: Header=BB162_3 Depth=1
	s_or_b32 exec_lo, exec_lo, s12
	s_and_saveexec_b32 s12, s20
	s_cbranch_execnz .LBB162_1139
.LBB162_362:                            ;   in Loop: Header=BB162_3 Depth=1
	s_or_b32 exec_lo, exec_lo, s12
	s_and_saveexec_b32 s12, s3
	s_cbranch_execz .LBB162_364
.LBB162_363:                            ;   in Loop: Header=BB162_3 Depth=1
	ds_load_b64 v[40:41], v56 offset:24384
	ds_load_b64 v[42:43], v1 offset:24440
	s_wait_dscnt 0x0
	v_dual_mul_f32 v0, v43, v41 :: v_dual_mul_f32 v41, v42, v41
	s_delay_alu instid0(VALU_DEP_1) | instskip(NEXT) | instid1(VALU_DEP_1)
	v_dual_fma_f32 v0, v42, v40, -v0 :: v_dual_fmac_f32 v41, v43, v40
	v_dual_add_f32 v38, v38, v0 :: v_dual_add_f32 v39, v39, v41
.LBB162_364:                            ;   in Loop: Header=BB162_3 Depth=1
	s_or_b32 exec_lo, exec_lo, s12
.LBB162_365:                            ;   in Loop: Header=BB162_3 Depth=1
	s_delay_alu instid0(SALU_CYCLE_1)
	s_or_b32 exec_lo, exec_lo, s11
	s_and_saveexec_b32 s11, s95
	s_cbranch_execz .LBB162_367
; %bb.366:                              ;   in Loop: Header=BB162_3 Depth=1
	ds_load_b64 v[40:41], v1 offset:22360
	s_wait_dscnt 0x0
	v_dual_mul_f32 v0, v39, v40 :: v_dual_mul_f32 v42, v39, v41
	s_delay_alu instid0(VALU_DEP_1) | instskip(NEXT) | instid1(VALU_DEP_2)
	v_pk_fma_f32 v[96:97], v[38:39], v[40:41], v[0:1] op_sel:[1,0,0] op_sel_hi:[0,1,0]
	v_pk_fma_f32 v[38:39], v[38:39], v[40:41], v[42:43] op_sel_hi:[1,1,0] neg_lo:[0,0,1] neg_hi:[0,0,1]
	s_delay_alu instid0(VALU_DEP_2) | instskip(NEXT) | instid1(VALU_DEP_1)
	v_mov_b32_e32 v39, v97
	v_pk_add_f32 v[40:41], v[38:39], 0 neg_lo:[1,1] neg_hi:[1,1]
	ds_store_b64 v52, v[40:41]
.LBB162_367:                            ;   in Loop: Header=BB162_3 Depth=1
	s_or_b32 exec_lo, exec_lo, s11
	s_wait_loadcnt_dscnt 0x0
	s_barrier_signal -1
	s_barrier_wait -1
	s_and_saveexec_b32 s11, s96
	s_cbranch_execz .LBB162_369
; %bb.368:                              ;   in Loop: Header=BB162_3 Depth=1
	ds_load_b64 v[40:41], v53 offset:22336
	ds_load_b64 v[42:43], v52
	s_wait_dscnt 0x0
	v_pk_mul_f32 v[96:97], v[42:43], v[40:41] op_sel:[1,1] op_sel_hi:[0,1]
	s_delay_alu instid0(VALU_DEP_1) | instskip(SKIP_1) | instid1(VALU_DEP_2)
	v_pk_fma_f32 v[98:99], v[42:43], v[40:41], v[96:97] op_sel_hi:[1,0,1]
	v_pk_fma_f32 v[40:41], v[42:43], v[40:41], v[96:97] neg_lo:[0,0,1] neg_hi:[0,0,1]
	v_mov_b32_e32 v41, v99
	s_delay_alu instid0(VALU_DEP_1)
	v_pk_add_f32 v[38:39], v[38:39], v[40:41] neg_lo:[0,1] neg_hi:[0,1]
.LBB162_369:                            ;   in Loop: Header=BB162_3 Depth=1
	s_or_b32 exec_lo, exec_lo, s11
	s_barrier_signal -1
	s_barrier_wait -1
	s_and_saveexec_b32 s11, s97
	s_cbranch_execz .LBB162_371
; %bb.370:                              ;   in Loop: Header=BB162_3 Depth=1
	ds_load_b64 v[40:41], v1 offset:21840
	s_wait_dscnt 0x0
	v_pk_mul_f32 v[42:43], v[38:39], v[40:41] op_sel:[1,1] op_sel_hi:[1,0]
	s_delay_alu instid0(VALU_DEP_1) | instskip(SKIP_1) | instid1(VALU_DEP_2)
	v_pk_fma_f32 v[96:97], v[38:39], v[40:41], v[42:43] op_sel_hi:[0,1,1]
	v_pk_fma_f32 v[38:39], v[38:39], v[40:41], v[42:43] neg_lo:[0,0,1] neg_hi:[0,0,1]
	v_mov_b32_e32 v39, v97
	s_delay_alu instid0(VALU_DEP_1)
	v_pk_add_f32 v[40:41], v[38:39], 0 neg_lo:[1,1] neg_hi:[1,1]
	ds_store_b64 v52, v[40:41]
.LBB162_371:                            ;   in Loop: Header=BB162_3 Depth=1
	s_or_b32 exec_lo, exec_lo, s11
	s_wait_dscnt 0x0
	s_barrier_signal -1
	s_barrier_wait -1
	s_and_saveexec_b32 s11, s98
	s_cbranch_execz .LBB162_373
; %bb.372:                              ;   in Loop: Header=BB162_3 Depth=1
	ds_load_b64 v[40:41], v53 offset:21824
	ds_load_b64 v[42:43], v52
	s_wait_dscnt 0x0
	v_pk_mul_f32 v[96:97], v[42:43], v[40:41] op_sel:[1,1] op_sel_hi:[0,1]
	s_delay_alu instid0(VALU_DEP_1) | instskip(SKIP_1) | instid1(VALU_DEP_2)
	v_pk_fma_f32 v[98:99], v[42:43], v[40:41], v[96:97] op_sel_hi:[1,0,1]
	v_pk_fma_f32 v[40:41], v[42:43], v[40:41], v[96:97] neg_lo:[0,0,1] neg_hi:[0,0,1]
	v_mov_b32_e32 v41, v99
	s_delay_alu instid0(VALU_DEP_1)
	v_pk_add_f32 v[38:39], v[38:39], v[40:41] neg_lo:[0,1] neg_hi:[0,1]
.LBB162_373:                            ;   in Loop: Header=BB162_3 Depth=1
	s_or_b32 exec_lo, exec_lo, s11
	s_barrier_signal -1
	s_barrier_wait -1
	s_and_saveexec_b32 s11, s99
	s_cbranch_execz .LBB162_375
; %bb.374:                              ;   in Loop: Header=BB162_3 Depth=1
	ds_load_b64 v[40:41], v1 offset:21320
	s_wait_dscnt 0x0
	v_pk_mul_f32 v[42:43], v[38:39], v[40:41] op_sel:[1,1] op_sel_hi:[1,0]
	s_delay_alu instid0(VALU_DEP_1) | instskip(SKIP_1) | instid1(VALU_DEP_2)
	v_pk_fma_f32 v[96:97], v[38:39], v[40:41], v[42:43] op_sel_hi:[0,1,1]
	v_pk_fma_f32 v[38:39], v[38:39], v[40:41], v[42:43] neg_lo:[0,0,1] neg_hi:[0,0,1]
	v_mov_b32_e32 v39, v97
	s_delay_alu instid0(VALU_DEP_1)
	v_pk_add_f32 v[40:41], v[38:39], 0 neg_lo:[1,1] neg_hi:[1,1]
	ds_store_b64 v52, v[40:41]
.LBB162_375:                            ;   in Loop: Header=BB162_3 Depth=1
	s_or_b32 exec_lo, exec_lo, s11
	s_wait_dscnt 0x0
	;; [unrolled: 35-line block ×3, first 2 shown]
	s_barrier_signal -1
	s_barrier_wait -1
	s_barrier_signal -1
	s_barrier_wait -1
	s_and_saveexec_b32 s11, s5
; %bb.380:                              ;   in Loop: Header=BB162_3 Depth=1
	ds_store_b64 v57, v[38:39] offset:24384
; %bb.381:                              ;   in Loop: Header=BB162_3 Depth=1
	s_or_b32 exec_lo, exec_lo, s11
	s_wait_dscnt 0x0
	s_barrier_signal -1
	s_barrier_wait -1
	s_barrier_signal -1
	s_barrier_wait -1
	s_and_saveexec_b32 s11, s101
	s_cbranch_execz .LBB162_383
; %bb.382:                              ;   in Loop: Header=BB162_3 Depth=1
	ds_load_b64 v[38:39], v58 offset:22848
	s_wait_dscnt 0x0
	ds_store_b64 v5, v[38:39] offset:20832
	ds_load_b64 v[38:39], v58 offset:22856
	s_wait_dscnt 0x0
	ds_store_b64 v5, v[38:39] offset:21344
	;; [unrolled: 3-line block ×4, first 2 shown]
.LBB162_383:                            ;   in Loop: Header=BB162_3 Depth=1
	s_or_b32 exec_lo, exec_lo, s11
	s_wait_dscnt 0x0
	s_barrier_signal -1
	s_barrier_wait -1
	s_and_saveexec_b32 s11, s14
	s_cbranch_execz .LBB162_385
; %bb.384:                              ;   in Loop: Header=BB162_3 Depth=1
	v_add_nc_u32_e64 v0, 0x150, 0
	ds_load_b64 v[42:43], v1 offset:22360
	ds_load_2addr_stride64_b64 v[38:41], v0 offset0:42 offset1:43
	s_wait_dscnt 0x0
	v_dual_mul_f32 v44, v43, v39 :: v_dual_mul_f32 v0, v42, v39
	s_delay_alu instid0(VALU_DEP_1) | instskip(NEXT) | instid1(VALU_DEP_2)
	v_xor_b32_e32 v44, 0x80000000, v44
	v_fmac_f32_e32 v0, v43, v38
	s_delay_alu instid0(VALU_DEP_2) | instskip(NEXT) | instid1(VALU_DEP_2)
	v_fmac_f32_e32 v44, v42, v38
	v_pk_mul_f32 v[38:39], v[0:1], v[40:41] op_sel:[0,1] op_sel_hi:[0,0]
	v_add_nc_u32_e64 v0, 0x5000, 0
	s_delay_alu instid0(VALU_DEP_2) | instskip(SKIP_1) | instid1(VALU_DEP_2)
	v_pk_fma_f32 v[42:43], v[44:45], v[40:41], v[38:39] op_sel_hi:[0,1,1]
	v_pk_fma_f32 v[38:39], v[44:45], v[40:41], v[38:39] neg_lo:[0,0,1] neg_hi:[0,0,1]
	v_mov_b32_e32 v39, v43
	ds_store_2addr_b64 v0, v[38:39], v[38:39] offset0:171 offset1:234
.LBB162_385:                            ;   in Loop: Header=BB162_3 Depth=1
	s_or_b32 exec_lo, exec_lo, s11
	v_dual_mov_b32 v38, 0 :: v_dual_mov_b32 v39, 0
	s_wait_dscnt 0x0
	s_barrier_signal -1
	s_barrier_wait -1
	global_wb scope:SCOPE_DEV
	s_wait_storecnt 0x0
	global_inv scope:SCOPE_DEV
	s_and_saveexec_b32 s11, s3
	s_cbranch_execz .LBB162_389
; %bb.386:                              ;   in Loop: Header=BB162_3 Depth=1
	ds_load_b64 v[38:39], v47 offset:21824
	ds_load_b64 v[40:41], v48 offset:22352
	s_wait_dscnt 0x0
	v_pk_mul_f32 v[42:43], v[40:41], v[38:39] op_sel:[1,1] op_sel_hi:[0,1]
	s_delay_alu instid0(VALU_DEP_1) | instskip(SKIP_1) | instid1(VALU_DEP_2)
	v_pk_fma_f32 v[96:97], v[40:41], v[38:39], v[42:43] op_sel_hi:[1,0,1]
	v_pk_fma_f32 v[38:39], v[40:41], v[38:39], v[42:43] neg_lo:[0,0,1] neg_hi:[0,0,1]
	v_mov_b32_e32 v39, v97
	s_delay_alu instid0(VALU_DEP_1)
	v_pk_add_f32 v[38:39], v[38:39], 0 op_sel_hi:[1,0]
	s_and_saveexec_b32 s12, s18
	s_cbranch_execz .LBB162_388
; %bb.387:                              ;   in Loop: Header=BB162_3 Depth=1
	ds_load_b64 v[40:41], v5 offset:22336
	ds_load_b64 v[42:43], v1 offset:22360
	s_wait_dscnt 0x0
	v_pk_mul_f32 v[96:97], v[42:43], v[40:41] op_sel:[1,1] op_sel_hi:[0,1]
	s_delay_alu instid0(VALU_DEP_1) | instskip(SKIP_1) | instid1(VALU_DEP_2)
	v_pk_fma_f32 v[98:99], v[42:43], v[40:41], v[96:97] op_sel_hi:[1,0,1]
	v_pk_fma_f32 v[40:41], v[42:43], v[40:41], v[96:97] neg_lo:[0,0,1] neg_hi:[0,0,1]
	v_mov_b32_e32 v41, v99
	s_delay_alu instid0(VALU_DEP_1)
	v_pk_add_f32 v[38:39], v[38:39], v[40:41]
.LBB162_388:                            ;   in Loop: Header=BB162_3 Depth=1
	s_or_b32 exec_lo, exec_lo, s12
.LBB162_389:                            ;   in Loop: Header=BB162_3 Depth=1
	s_delay_alu instid0(SALU_CYCLE_1)
	s_or_b32 exec_lo, exec_lo, s11
	s_and_saveexec_b32 s11, s92
	s_cbranch_execz .LBB162_391
; %bb.390:                              ;   in Loop: Header=BB162_3 Depth=1
	ds_load_b64 v[40:41], v1 offset:21320
	s_wait_dscnt 0x0
	v_pk_mul_f32 v[42:43], v[38:39], v[40:41] op_sel:[1,1] op_sel_hi:[1,0]
	s_delay_alu instid0(VALU_DEP_1) | instskip(SKIP_1) | instid1(VALU_DEP_2)
	v_pk_fma_f32 v[96:97], v[38:39], v[40:41], v[42:43] op_sel_hi:[0,1,1]
	v_pk_fma_f32 v[38:39], v[38:39], v[40:41], v[42:43] neg_lo:[0,0,1] neg_hi:[0,0,1]
	v_mov_b32_e32 v39, v97
	s_delay_alu instid0(VALU_DEP_1)
	v_pk_add_f32 v[40:41], v[38:39], 0 neg_lo:[1,1] neg_hi:[1,1]
	ds_store_b64 v3, v[40:41]
.LBB162_391:                            ;   in Loop: Header=BB162_3 Depth=1
	s_or_b32 exec_lo, exec_lo, s11
	s_wait_loadcnt_dscnt 0x0
	s_barrier_signal -1
	s_barrier_wait -1
	s_and_saveexec_b32 s11, s93
	s_cbranch_execz .LBB162_393
; %bb.392:                              ;   in Loop: Header=BB162_3 Depth=1
	ds_load_b64 v[40:41], v1 offset:21312
	ds_load_b64 v[42:43], v3
	s_wait_dscnt 0x0
	v_pk_mul_f32 v[96:97], v[42:43], v[40:41] op_sel:[1,1] op_sel_hi:[0,1]
	s_delay_alu instid0(VALU_DEP_1) | instskip(SKIP_1) | instid1(VALU_DEP_2)
	v_pk_fma_f32 v[98:99], v[42:43], v[40:41], v[96:97] op_sel_hi:[1,0,1]
	v_pk_fma_f32 v[40:41], v[42:43], v[40:41], v[96:97] neg_lo:[0,0,1] neg_hi:[0,0,1]
	v_mov_b32_e32 v41, v99
	s_delay_alu instid0(VALU_DEP_1)
	v_pk_add_f32 v[38:39], v[38:39], v[40:41] neg_lo:[0,1] neg_hi:[0,1]
.LBB162_393:                            ;   in Loop: Header=BB162_3 Depth=1
	s_or_b32 exec_lo, exec_lo, s11
	s_barrier_signal -1
	s_barrier_wait -1
	s_and_saveexec_b32 s11, s93
	s_cbranch_execz .LBB162_395
; %bb.394:                              ;   in Loop: Header=BB162_3 Depth=1
	ds_load_b64 v[40:41], v1 offset:20800
	s_wait_dscnt 0x0
	v_pk_mul_f32 v[42:43], v[38:39], v[40:41] op_sel:[1,1] op_sel_hi:[1,0]
	s_delay_alu instid0(VALU_DEP_1) | instskip(SKIP_1) | instid1(VALU_DEP_2)
	v_pk_fma_f32 v[96:97], v[38:39], v[40:41], v[42:43] op_sel_hi:[0,1,1]
	v_pk_fma_f32 v[38:39], v[38:39], v[40:41], v[42:43] neg_lo:[0,0,1] neg_hi:[0,0,1]
	v_mov_b32_e32 v39, v97
	s_delay_alu instid0(VALU_DEP_1)
	v_pk_add_f32 v[40:41], v[38:39], 0 neg_lo:[1,1] neg_hi:[1,1]
	ds_store_b64 v3, v[40:41]
.LBB162_395:                            ;   in Loop: Header=BB162_3 Depth=1
	s_or_b32 exec_lo, exec_lo, s11
	s_wait_dscnt 0x0
	s_barrier_signal -1
	s_barrier_wait -1
	s_barrier_signal -1
	s_barrier_wait -1
	s_and_saveexec_b32 s11, s3
; %bb.396:                              ;   in Loop: Header=BB162_3 Depth=1
	ds_store_b64 v50, v[38:39] offset:22336
; %bb.397:                              ;   in Loop: Header=BB162_3 Depth=1
	s_or_b32 exec_lo, exec_lo, s11
	s_wait_dscnt 0x0
	s_barrier_signal -1
	s_barrier_wait -1
	s_barrier_signal -1
	s_barrier_wait -1
	s_and_saveexec_b32 s11, s94
	s_cbranch_execz .LBB162_399
; %bb.398:                              ;   in Loop: Header=BB162_3 Depth=1
	ds_load_b64 v[38:39], v72 offset:21824
	s_wait_dscnt 0x0
	ds_store_b64 v5, v[38:39] offset:20816
	ds_load_b64 v[38:39], v72 offset:21832
	s_wait_dscnt 0x0
	ds_store_b64 v5, v[38:39] offset:21328
.LBB162_399:                            ;   in Loop: Header=BB162_3 Depth=1
	s_or_b32 exec_lo, exec_lo, s11
	s_wait_dscnt 0x0
	s_barrier_signal -1
	s_barrier_wait -1
	s_and_saveexec_b32 s11, s14
	s_cbranch_execz .LBB162_401
; %bb.400:                              ;   in Loop: Header=BB162_3 Depth=1
	v_add_nc_u32_e64 v0, 0x140, 0
	ds_load_b64 v[42:43], v1 offset:21320
	ds_load_2addr_stride64_b64 v[38:41], v0 offset0:40 offset1:41
	s_wait_dscnt 0x0
	v_dual_mul_f32 v44, v43, v39 :: v_dual_mul_f32 v0, v42, v39
	s_delay_alu instid0(VALU_DEP_1) | instskip(NEXT) | instid1(VALU_DEP_2)
	v_xor_b32_e32 v44, 0x80000000, v44
	v_fmac_f32_e32 v0, v43, v38
	s_delay_alu instid0(VALU_DEP_2) | instskip(NEXT) | instid1(VALU_DEP_2)
	v_fmac_f32_e32 v44, v42, v38
	v_pk_mul_f32 v[38:39], v[0:1], v[40:41] op_sel:[0,1] op_sel_hi:[0,0]
	v_add_nc_u32_e64 v0, 0x5000, 0
	s_delay_alu instid0(VALU_DEP_2) | instskip(SKIP_1) | instid1(VALU_DEP_2)
	v_pk_fma_f32 v[42:43], v[44:45], v[40:41], v[38:39] op_sel_hi:[0,1,1]
	v_pk_fma_f32 v[38:39], v[44:45], v[40:41], v[38:39] neg_lo:[0,0,1] neg_hi:[0,0,1]
	v_mov_b32_e32 v39, v43
	ds_store_2addr_b64 v0, v[38:39], v[38:39] offset0:41 offset1:104
.LBB162_401:                            ;   in Loop: Header=BB162_3 Depth=1
	s_or_b32 exec_lo, exec_lo, s11
	v_mov_b64_e32 v[38:39], 0
	s_wait_dscnt 0x0
	s_barrier_signal -1
	s_barrier_wait -1
	global_wb scope:SCOPE_DEV
	s_wait_storecnt 0x0
	global_inv scope:SCOPE_DEV
	s_and_saveexec_b32 s11, s6
	s_cbranch_execz .LBB162_411
; %bb.402:                              ;   in Loop: Header=BB162_3 Depth=1
	ds_load_b64 v[38:39], v60 offset:20736
	ds_load_b64 v[40:41], v61 offset:24384
	s_wait_dscnt 0x0
	v_dual_mul_f32 v0, v41, v39 :: v_dual_mul_f32 v39, v40, v39
	s_delay_alu instid0(VALU_DEP_1) | instskip(NEXT) | instid1(VALU_DEP_1)
	v_dual_fma_f32 v0, v40, v38, -v0 :: v_dual_fmac_f32 v39, v41, v38
	v_dual_add_f32 v38, 0, v0 :: v_dual_add_f32 v39, 0, v39
	s_and_saveexec_b32 s12, s21
	s_cbranch_execnz .LBB162_1140
; %bb.403:                              ;   in Loop: Header=BB162_3 Depth=1
	s_or_b32 exec_lo, exec_lo, s12
	s_and_saveexec_b32 s12, s22
	s_cbranch_execnz .LBB162_1141
.LBB162_404:                            ;   in Loop: Header=BB162_3 Depth=1
	s_or_b32 exec_lo, exec_lo, s12
	s_and_saveexec_b32 s12, s23
	s_cbranch_execnz .LBB162_1142
.LBB162_405:                            ;   in Loop: Header=BB162_3 Depth=1
	s_or_b32 exec_lo, exec_lo, s12
	s_and_saveexec_b32 s12, s24
	s_cbranch_execnz .LBB162_1143
.LBB162_406:                            ;   in Loop: Header=BB162_3 Depth=1
	s_or_b32 exec_lo, exec_lo, s12
	s_and_saveexec_b32 s12, s25
	s_cbranch_execnz .LBB162_1144
.LBB162_407:                            ;   in Loop: Header=BB162_3 Depth=1
	s_or_b32 exec_lo, exec_lo, s12
	s_and_saveexec_b32 s12, s5
	s_cbranch_execnz .LBB162_1145
.LBB162_408:                            ;   in Loop: Header=BB162_3 Depth=1
	s_or_b32 exec_lo, exec_lo, s12
	s_and_saveexec_b32 s12, s20
	s_cbranch_execz .LBB162_410
.LBB162_409:                            ;   in Loop: Header=BB162_3 Depth=1
	ds_load_b64 v[40:41], v73 offset:24320
	ds_load_b64 v[42:43], v1 offset:24440
	s_wait_dscnt 0x0
	v_dual_mul_f32 v0, v43, v41 :: v_dual_mul_f32 v97, v42, v41
	s_delay_alu instid0(VALU_DEP_1) | instskip(NEXT) | instid1(VALU_DEP_1)
	v_dual_fma_f32 v96, v42, v40, -v0 :: v_dual_fmac_f32 v97, v43, v40
	v_pk_add_f32 v[38:39], v[38:39], v[96:97]
.LBB162_410:                            ;   in Loop: Header=BB162_3 Depth=1
	s_or_b32 exec_lo, exec_lo, s12
.LBB162_411:                            ;   in Loop: Header=BB162_3 Depth=1
	s_delay_alu instid0(SALU_CYCLE_1)
	s_or_b32 exec_lo, exec_lo, s11
	s_and_saveexec_b32 s11, s102
	s_cbranch_execz .LBB162_413
; %bb.412:                              ;   in Loop: Header=BB162_3 Depth=1
	ds_load_b64 v[40:41], v1 offset:20280
	s_wait_dscnt 0x0
	v_pk_mul_f32 v[42:43], v[38:39], v[40:41] op_sel:[1,1] op_sel_hi:[1,0]
	s_delay_alu instid0(VALU_DEP_1) | instskip(SKIP_1) | instid1(VALU_DEP_2)
	v_pk_fma_f32 v[96:97], v[38:39], v[40:41], v[42:43] op_sel_hi:[0,1,1]
	v_pk_fma_f32 v[38:39], v[38:39], v[40:41], v[42:43] neg_lo:[0,0,1] neg_hi:[0,0,1]
	v_mov_b32_e32 v39, v97
	s_delay_alu instid0(VALU_DEP_1)
	v_pk_add_f32 v[40:41], v[38:39], 0 neg_lo:[1,1] neg_hi:[1,1]
	ds_store_b64 v59, v[40:41]
.LBB162_413:                            ;   in Loop: Header=BB162_3 Depth=1
	s_or_b32 exec_lo, exec_lo, s11
	s_wait_loadcnt_dscnt 0x0
	s_barrier_signal -1
	s_barrier_wait -1
	s_and_saveexec_b32 s11, s103
	s_cbranch_execz .LBB162_415
; %bb.414:                              ;   in Loop: Header=BB162_3 Depth=1
	ds_load_b64 v[40:41], v60 offset:20224
	ds_load_b64 v[42:43], v59
	s_wait_dscnt 0x0
	v_pk_mul_f32 v[96:97], v[42:43], v[40:41] op_sel:[1,1] op_sel_hi:[0,1]
	s_delay_alu instid0(VALU_DEP_1) | instskip(SKIP_1) | instid1(VALU_DEP_2)
	v_pk_fma_f32 v[98:99], v[42:43], v[40:41], v[96:97] op_sel_hi:[1,0,1]
	v_pk_fma_f32 v[40:41], v[42:43], v[40:41], v[96:97] neg_lo:[0,0,1] neg_hi:[0,0,1]
	v_mov_b32_e32 v41, v99
	s_delay_alu instid0(VALU_DEP_1)
	v_pk_add_f32 v[38:39], v[38:39], v[40:41] neg_lo:[0,1] neg_hi:[0,1]
.LBB162_415:                            ;   in Loop: Header=BB162_3 Depth=1
	s_or_b32 exec_lo, exec_lo, s11
	s_barrier_signal -1
	s_barrier_wait -1
	s_and_saveexec_b32 s11, s104
	s_cbranch_execz .LBB162_417
; %bb.416:                              ;   in Loop: Header=BB162_3 Depth=1
	ds_load_b64 v[40:41], v1 offset:19760
	s_wait_dscnt 0x0
	v_pk_mul_f32 v[42:43], v[38:39], v[40:41] op_sel:[1,1] op_sel_hi:[1,0]
	s_delay_alu instid0(VALU_DEP_1) | instskip(SKIP_1) | instid1(VALU_DEP_2)
	v_pk_fma_f32 v[96:97], v[38:39], v[40:41], v[42:43] op_sel_hi:[0,1,1]
	v_pk_fma_f32 v[38:39], v[38:39], v[40:41], v[42:43] neg_lo:[0,0,1] neg_hi:[0,0,1]
	v_mov_b32_e32 v39, v97
	s_delay_alu instid0(VALU_DEP_1)
	v_pk_add_f32 v[40:41], v[38:39], 0 neg_lo:[1,1] neg_hi:[1,1]
	ds_store_b64 v59, v[40:41]
.LBB162_417:                            ;   in Loop: Header=BB162_3 Depth=1
	s_or_b32 exec_lo, exec_lo, s11
	s_wait_dscnt 0x0
	s_barrier_signal -1
	s_barrier_wait -1
	s_and_saveexec_b32 s11, vcc_hi
	s_cbranch_execz .LBB162_419
; %bb.418:                              ;   in Loop: Header=BB162_3 Depth=1
	ds_load_b64 v[40:41], v60 offset:19712
	ds_load_b64 v[42:43], v59
	s_wait_dscnt 0x0
	v_pk_mul_f32 v[96:97], v[42:43], v[40:41] op_sel:[1,1] op_sel_hi:[0,1]
	s_delay_alu instid0(VALU_DEP_1) | instskip(SKIP_1) | instid1(VALU_DEP_2)
	v_pk_fma_f32 v[98:99], v[42:43], v[40:41], v[96:97] op_sel_hi:[1,0,1]
	v_pk_fma_f32 v[40:41], v[42:43], v[40:41], v[96:97] neg_lo:[0,0,1] neg_hi:[0,0,1]
	v_mov_b32_e32 v41, v99
	s_delay_alu instid0(VALU_DEP_1)
	v_pk_add_f32 v[38:39], v[38:39], v[40:41] neg_lo:[0,1] neg_hi:[0,1]
.LBB162_419:                            ;   in Loop: Header=BB162_3 Depth=1
	s_or_b32 exec_lo, exec_lo, s11
	s_barrier_signal -1
	s_barrier_wait -1
	s_and_saveexec_b32 s11, s15
	s_cbranch_execz .LBB162_421
; %bb.420:                              ;   in Loop: Header=BB162_3 Depth=1
	ds_load_b64 v[40:41], v1 offset:19240
	s_wait_dscnt 0x0
	v_pk_mul_f32 v[42:43], v[38:39], v[40:41] op_sel:[1,1] op_sel_hi:[1,0]
	s_delay_alu instid0(VALU_DEP_1) | instskip(SKIP_1) | instid1(VALU_DEP_2)
	v_pk_fma_f32 v[96:97], v[38:39], v[40:41], v[42:43] op_sel_hi:[0,1,1]
	v_pk_fma_f32 v[38:39], v[38:39], v[40:41], v[42:43] neg_lo:[0,0,1] neg_hi:[0,0,1]
	v_mov_b32_e32 v39, v97
	s_delay_alu instid0(VALU_DEP_1)
	v_pk_add_f32 v[40:41], v[38:39], 0 neg_lo:[1,1] neg_hi:[1,1]
	ds_store_b64 v59, v[40:41]
.LBB162_421:                            ;   in Loop: Header=BB162_3 Depth=1
	s_or_b32 exec_lo, exec_lo, s11
	s_wait_dscnt 0x0
	s_barrier_signal -1
	s_barrier_wait -1
	s_and_saveexec_b32 s11, s41
	s_cbranch_execz .LBB162_423
; %bb.422:                              ;   in Loop: Header=BB162_3 Depth=1
	ds_load_b64 v[40:41], v60 offset:19200
	ds_load_b64 v[42:43], v59
	s_wait_dscnt 0x0
	v_pk_mul_f32 v[96:97], v[42:43], v[40:41] op_sel:[1,1] op_sel_hi:[0,1]
	s_delay_alu instid0(VALU_DEP_1) | instskip(SKIP_1) | instid1(VALU_DEP_2)
	v_pk_fma_f32 v[98:99], v[42:43], v[40:41], v[96:97] op_sel_hi:[1,0,1]
	v_pk_fma_f32 v[40:41], v[42:43], v[40:41], v[96:97] neg_lo:[0,0,1] neg_hi:[0,0,1]
	v_mov_b32_e32 v41, v99
	s_delay_alu instid0(VALU_DEP_1)
	v_pk_add_f32 v[38:39], v[38:39], v[40:41] neg_lo:[0,1] neg_hi:[0,1]
.LBB162_423:                            ;   in Loop: Header=BB162_3 Depth=1
	s_or_b32 exec_lo, exec_lo, s11
	s_barrier_signal -1
	s_barrier_wait -1
	s_and_saveexec_b32 s11, s42
	s_cbranch_execz .LBB162_425
; %bb.424:                              ;   in Loop: Header=BB162_3 Depth=1
	ds_load_b64 v[40:41], v1 offset:18720
	s_wait_dscnt 0x0
	v_pk_mul_f32 v[42:43], v[38:39], v[40:41]
	v_pk_mul_f32 v[38:39], v[38:39], v[40:41] op_sel:[1,0] op_sel_hi:[0,1]
	s_delay_alu instid0(VALU_DEP_1) | instskip(NEXT) | instid1(VALU_DEP_3)
	v_dual_mov_b32 v40, v42 :: v_dual_mov_b32 v41, v38
	v_mov_b32_e32 v38, v43
	s_delay_alu instid0(VALU_DEP_1) | instskip(SKIP_1) | instid1(VALU_DEP_2)
	v_pk_add_f32 v[42:43], v[40:41], v[38:39]
	v_pk_add_f32 v[38:39], v[40:41], v[38:39] neg_lo:[0,1] neg_hi:[0,1]
	v_mov_b32_e32 v39, v43
	s_delay_alu instid0(VALU_DEP_1)
	v_pk_add_f32 v[40:41], v[38:39], 0 neg_lo:[1,1] neg_hi:[1,1]
	ds_store_b64 v59, v[40:41]
.LBB162_425:                            ;   in Loop: Header=BB162_3 Depth=1
	s_or_b32 exec_lo, exec_lo, s11
	s_wait_dscnt 0x0
	s_barrier_signal -1
	s_barrier_wait -1
	s_and_saveexec_b32 s11, s43
	s_cbranch_execz .LBB162_427
; %bb.426:                              ;   in Loop: Header=BB162_3 Depth=1
	ds_load_b64 v[40:41], v60 offset:18688
	ds_load_b64 v[42:43], v59
	s_wait_dscnt 0x0
	v_dual_mul_f32 v0, v43, v41 :: v_dual_mul_f32 v41, v42, v41
	s_delay_alu instid0(VALU_DEP_1) | instskip(NEXT) | instid1(VALU_DEP_1)
	v_dual_fma_f32 v0, v42, v40, -v0 :: v_dual_fmac_f32 v41, v43, v40
	v_dual_sub_f32 v38, v38, v0 :: v_dual_sub_f32 v39, v39, v41
.LBB162_427:                            ;   in Loop: Header=BB162_3 Depth=1
	s_or_b32 exec_lo, exec_lo, s11
	s_barrier_signal -1
	s_barrier_wait -1
	s_and_saveexec_b32 s11, s44
	s_cbranch_execz .LBB162_429
; %bb.428:                              ;   in Loop: Header=BB162_3 Depth=1
	ds_load_b64 v[40:41], v1 offset:18200
	s_wait_dscnt 0x0
	v_dual_mul_f32 v0, v39, v40 :: v_dual_mul_f32 v42, v39, v41
	s_delay_alu instid0(VALU_DEP_1) | instskip(NEXT) | instid1(VALU_DEP_2)
	v_pk_fma_f32 v[96:97], v[38:39], v[40:41], v[0:1] op_sel:[1,0,0] op_sel_hi:[0,1,0]
	v_pk_fma_f32 v[38:39], v[38:39], v[40:41], v[42:43] op_sel_hi:[1,1,0] neg_lo:[0,0,1] neg_hi:[0,0,1]
	s_delay_alu instid0(VALU_DEP_2) | instskip(NEXT) | instid1(VALU_DEP_1)
	v_mov_b32_e32 v39, v97
	v_pk_add_f32 v[40:41], v[38:39], 0 neg_lo:[1,1] neg_hi:[1,1]
	ds_store_b64 v59, v[40:41]
.LBB162_429:                            ;   in Loop: Header=BB162_3 Depth=1
	s_or_b32 exec_lo, exec_lo, s11
	s_wait_dscnt 0x0
	s_barrier_signal -1
	s_barrier_wait -1
	s_and_saveexec_b32 s11, s45
	s_cbranch_execz .LBB162_431
; %bb.430:                              ;   in Loop: Header=BB162_3 Depth=1
	ds_load_b64 v[40:41], v60 offset:18176
	ds_load_b64 v[42:43], v59
	s_wait_dscnt 0x0
	v_pk_mul_f32 v[96:97], v[42:43], v[40:41] op_sel:[1,1] op_sel_hi:[0,1]
	s_delay_alu instid0(VALU_DEP_1) | instskip(SKIP_1) | instid1(VALU_DEP_2)
	v_pk_fma_f32 v[98:99], v[42:43], v[40:41], v[96:97] op_sel_hi:[1,0,1]
	v_pk_fma_f32 v[40:41], v[42:43], v[40:41], v[96:97] neg_lo:[0,0,1] neg_hi:[0,0,1]
	v_mov_b32_e32 v41, v99
	s_delay_alu instid0(VALU_DEP_1)
	v_pk_add_f32 v[38:39], v[38:39], v[40:41] neg_lo:[0,1] neg_hi:[0,1]
.LBB162_431:                            ;   in Loop: Header=BB162_3 Depth=1
	s_or_b32 exec_lo, exec_lo, s11
	s_barrier_signal -1
	s_barrier_wait -1
	s_and_saveexec_b32 s11, s46
	s_cbranch_execz .LBB162_433
; %bb.432:                              ;   in Loop: Header=BB162_3 Depth=1
	ds_load_b64 v[40:41], v1 offset:17680
	s_wait_dscnt 0x0
	v_pk_mul_f32 v[42:43], v[38:39], v[40:41] op_sel:[1,1] op_sel_hi:[1,0]
	s_delay_alu instid0(VALU_DEP_1) | instskip(SKIP_1) | instid1(VALU_DEP_2)
	v_pk_fma_f32 v[96:97], v[38:39], v[40:41], v[42:43] op_sel_hi:[0,1,1]
	v_pk_fma_f32 v[38:39], v[38:39], v[40:41], v[42:43] neg_lo:[0,0,1] neg_hi:[0,0,1]
	v_mov_b32_e32 v39, v97
	s_delay_alu instid0(VALU_DEP_1)
	v_pk_add_f32 v[40:41], v[38:39], 0 neg_lo:[1,1] neg_hi:[1,1]
	ds_store_b64 v59, v[40:41]
.LBB162_433:                            ;   in Loop: Header=BB162_3 Depth=1
	s_or_b32 exec_lo, exec_lo, s11
	s_wait_dscnt 0x0
	s_barrier_signal -1
	s_barrier_wait -1
	s_and_saveexec_b32 s11, s47
	s_cbranch_execz .LBB162_435
; %bb.434:                              ;   in Loop: Header=BB162_3 Depth=1
	ds_load_b64 v[40:41], v60 offset:17664
	ds_load_b64 v[42:43], v59
	s_wait_dscnt 0x0
	v_pk_mul_f32 v[96:97], v[42:43], v[40:41] op_sel:[1,1] op_sel_hi:[0,1]
	s_delay_alu instid0(VALU_DEP_1) | instskip(SKIP_1) | instid1(VALU_DEP_2)
	v_pk_fma_f32 v[98:99], v[42:43], v[40:41], v[96:97] op_sel_hi:[1,0,1]
	v_pk_fma_f32 v[40:41], v[42:43], v[40:41], v[96:97] neg_lo:[0,0,1] neg_hi:[0,0,1]
	v_mov_b32_e32 v41, v99
	s_delay_alu instid0(VALU_DEP_1)
	v_pk_add_f32 v[38:39], v[38:39], v[40:41] neg_lo:[0,1] neg_hi:[0,1]
.LBB162_435:                            ;   in Loop: Header=BB162_3 Depth=1
	s_or_b32 exec_lo, exec_lo, s11
	s_barrier_signal -1
	s_barrier_wait -1
	s_and_saveexec_b32 s11, s48
	s_cbranch_execz .LBB162_437
; %bb.436:                              ;   in Loop: Header=BB162_3 Depth=1
	ds_load_b64 v[40:41], v1 offset:17160
	s_wait_dscnt 0x0
	v_pk_mul_f32 v[42:43], v[38:39], v[40:41] op_sel:[1,1] op_sel_hi:[1,0]
	s_delay_alu instid0(VALU_DEP_1) | instskip(SKIP_1) | instid1(VALU_DEP_2)
	v_pk_fma_f32 v[96:97], v[38:39], v[40:41], v[42:43] op_sel_hi:[0,1,1]
	v_pk_fma_f32 v[38:39], v[38:39], v[40:41], v[42:43] neg_lo:[0,0,1] neg_hi:[0,0,1]
	v_mov_b32_e32 v39, v97
	s_delay_alu instid0(VALU_DEP_1)
	v_pk_add_f32 v[40:41], v[38:39], 0 neg_lo:[1,1] neg_hi:[1,1]
	ds_store_b64 v59, v[40:41]
.LBB162_437:                            ;   in Loop: Header=BB162_3 Depth=1
	;; [unrolled: 35-line block ×3, first 2 shown]
	s_or_b32 exec_lo, exec_lo, s11
	s_wait_dscnt 0x0
	s_barrier_signal -1
	s_barrier_wait -1
	s_barrier_signal -1
	s_barrier_wait -1
	s_and_saveexec_b32 s11, s6
; %bb.442:                              ;   in Loop: Header=BB162_3 Depth=1
	ds_store_b64 v62, v[38:39] offset:24320
; %bb.443:                              ;   in Loop: Header=BB162_3 Depth=1
	s_or_b32 exec_lo, exec_lo, s11
	s_wait_dscnt 0x0
	s_barrier_signal -1
	s_barrier_wait -1
	s_barrier_signal -1
	s_barrier_wait -1
	s_and_saveexec_b32 s11, s50
	s_cbranch_execz .LBB162_445
; %bb.444:                              ;   in Loop: Header=BB162_3 Depth=1
	ds_load_b64 v[38:39], v74 offset:20736
	s_wait_dscnt 0x0
	ds_store_b64 v75, v[38:39] offset:16704
	ds_load_b64 v[38:39], v74 offset:20744
	s_wait_dscnt 0x0
	ds_store_b64 v75, v[38:39] offset:17216
	;; [unrolled: 3-line block ×8, first 2 shown]
.LBB162_445:                            ;   in Loop: Header=BB162_3 Depth=1
	s_or_b32 exec_lo, exec_lo, s11
	s_wait_dscnt 0x0
	s_barrier_signal -1
	s_barrier_wait -1
	s_and_saveexec_b32 s11, s14
	s_cbranch_execz .LBB162_447
; %bb.446:                              ;   in Loop: Header=BB162_3 Depth=1
	v_add_nc_u32_e64 v0, 0x130, 0
	ds_load_b64 v[42:43], v1 offset:20280
	ds_load_2addr_stride64_b64 v[38:41], v0 offset0:38 offset1:39
	s_wait_dscnt 0x0
	v_dual_mul_f32 v44, v43, v39 :: v_dual_mul_f32 v0, v42, v39
	s_delay_alu instid0(VALU_DEP_1) | instskip(NEXT) | instid1(VALU_DEP_2)
	v_xor_b32_e32 v44, 0x80000000, v44
	v_fmac_f32_e32 v0, v43, v38
	s_delay_alu instid0(VALU_DEP_2) | instskip(NEXT) | instid1(VALU_DEP_2)
	v_fmac_f32_e32 v44, v42, v38
	v_pk_mul_f32 v[38:39], v[0:1], v[40:41] op_sel:[0,1] op_sel_hi:[0,0]
	v_add_nc_u32_e64 v0, 0x4800, 0
	s_delay_alu instid0(VALU_DEP_2) | instskip(SKIP_1) | instid1(VALU_DEP_2)
	v_pk_fma_f32 v[42:43], v[44:45], v[40:41], v[38:39] op_sel_hi:[0,1,1]
	v_pk_fma_f32 v[38:39], v[44:45], v[40:41], v[38:39] neg_lo:[0,0,1] neg_hi:[0,0,1]
	v_mov_b32_e32 v39, v43
	ds_store_2addr_b64 v0, v[38:39], v[38:39] offset0:167 offset1:230
.LBB162_447:                            ;   in Loop: Header=BB162_3 Depth=1
	s_or_b32 exec_lo, exec_lo, s11
	v_dual_mov_b32 v38, 0 :: v_dual_mov_b32 v39, 0
	s_wait_dscnt 0x0
	s_barrier_signal -1
	s_barrier_wait -1
	global_wb scope:SCOPE_DEV
	s_wait_storecnt 0x0
	global_inv scope:SCOPE_DEV
	s_and_saveexec_b32 s11, s3
	s_cbranch_execz .LBB162_451
; %bb.448:                              ;   in Loop: Header=BB162_3 Depth=1
	ds_load_b64 v[38:39], v47 offset:19744
	ds_load_b64 v[40:41], v48 offset:20272
	s_wait_dscnt 0x0
	v_pk_mul_f32 v[42:43], v[40:41], v[38:39] op_sel:[1,1] op_sel_hi:[0,1]
	s_delay_alu instid0(VALU_DEP_1) | instskip(SKIP_1) | instid1(VALU_DEP_2)
	v_pk_fma_f32 v[96:97], v[40:41], v[38:39], v[42:43] op_sel_hi:[1,0,1]
	v_pk_fma_f32 v[38:39], v[40:41], v[38:39], v[42:43] neg_lo:[0,0,1] neg_hi:[0,0,1]
	v_mov_b32_e32 v39, v97
	s_delay_alu instid0(VALU_DEP_1)
	v_pk_add_f32 v[38:39], v[38:39], 0 op_sel_hi:[1,0]
	s_and_saveexec_b32 s12, s18
	s_cbranch_execz .LBB162_450
; %bb.449:                              ;   in Loop: Header=BB162_3 Depth=1
	ds_load_b64 v[40:41], v75 offset:20256
	ds_load_b64 v[42:43], v1 offset:20280
	s_wait_dscnt 0x0
	v_pk_mul_f32 v[96:97], v[42:43], v[40:41] op_sel:[1,1] op_sel_hi:[0,1]
	s_delay_alu instid0(VALU_DEP_1) | instskip(SKIP_1) | instid1(VALU_DEP_2)
	v_pk_fma_f32 v[98:99], v[42:43], v[40:41], v[96:97] op_sel_hi:[1,0,1]
	v_pk_fma_f32 v[40:41], v[42:43], v[40:41], v[96:97] neg_lo:[0,0,1] neg_hi:[0,0,1]
	v_mov_b32_e32 v41, v99
	s_delay_alu instid0(VALU_DEP_1)
	v_pk_add_f32 v[38:39], v[38:39], v[40:41]
.LBB162_450:                            ;   in Loop: Header=BB162_3 Depth=1
	s_or_b32 exec_lo, exec_lo, s12
.LBB162_451:                            ;   in Loop: Header=BB162_3 Depth=1
	s_delay_alu instid0(SALU_CYCLE_1)
	s_or_b32 exec_lo, exec_lo, s11
	s_and_saveexec_b32 s11, s92
	s_cbranch_execz .LBB162_453
; %bb.452:                              ;   in Loop: Header=BB162_3 Depth=1
	ds_load_b64 v[40:41], v1 offset:19240
	s_wait_dscnt 0x0
	v_pk_mul_f32 v[42:43], v[38:39], v[40:41] op_sel:[1,1] op_sel_hi:[1,0]
	s_delay_alu instid0(VALU_DEP_1) | instskip(SKIP_1) | instid1(VALU_DEP_2)
	v_pk_fma_f32 v[96:97], v[38:39], v[40:41], v[42:43] op_sel_hi:[0,1,1]
	v_pk_fma_f32 v[38:39], v[38:39], v[40:41], v[42:43] neg_lo:[0,0,1] neg_hi:[0,0,1]
	v_mov_b32_e32 v39, v97
	s_delay_alu instid0(VALU_DEP_1)
	v_pk_add_f32 v[40:41], v[38:39], 0 neg_lo:[1,1] neg_hi:[1,1]
	ds_store_b64 v3, v[40:41]
.LBB162_453:                            ;   in Loop: Header=BB162_3 Depth=1
	s_or_b32 exec_lo, exec_lo, s11
	s_wait_loadcnt_dscnt 0x0
	s_barrier_signal -1
	s_barrier_wait -1
	s_and_saveexec_b32 s11, s93
	s_cbranch_execz .LBB162_455
; %bb.454:                              ;   in Loop: Header=BB162_3 Depth=1
	ds_load_b64 v[40:41], v1 offset:19232
	ds_load_b64 v[42:43], v3
	s_wait_dscnt 0x0
	v_pk_mul_f32 v[96:97], v[42:43], v[40:41] op_sel:[1,1] op_sel_hi:[0,1]
	s_delay_alu instid0(VALU_DEP_1) | instskip(SKIP_1) | instid1(VALU_DEP_2)
	v_pk_fma_f32 v[98:99], v[42:43], v[40:41], v[96:97] op_sel_hi:[1,0,1]
	v_pk_fma_f32 v[40:41], v[42:43], v[40:41], v[96:97] neg_lo:[0,0,1] neg_hi:[0,0,1]
	v_mov_b32_e32 v41, v99
	s_delay_alu instid0(VALU_DEP_1)
	v_pk_add_f32 v[38:39], v[38:39], v[40:41] neg_lo:[0,1] neg_hi:[0,1]
.LBB162_455:                            ;   in Loop: Header=BB162_3 Depth=1
	s_or_b32 exec_lo, exec_lo, s11
	s_barrier_signal -1
	s_barrier_wait -1
	s_and_saveexec_b32 s11, s93
	s_cbranch_execz .LBB162_457
; %bb.456:                              ;   in Loop: Header=BB162_3 Depth=1
	ds_load_b64 v[40:41], v1 offset:18720
	s_wait_dscnt 0x0
	v_pk_mul_f32 v[42:43], v[38:39], v[40:41] op_sel:[1,1] op_sel_hi:[1,0]
	s_delay_alu instid0(VALU_DEP_1) | instskip(SKIP_1) | instid1(VALU_DEP_2)
	v_pk_fma_f32 v[96:97], v[38:39], v[40:41], v[42:43] op_sel_hi:[0,1,1]
	v_pk_fma_f32 v[38:39], v[38:39], v[40:41], v[42:43] neg_lo:[0,0,1] neg_hi:[0,0,1]
	v_mov_b32_e32 v39, v97
	s_delay_alu instid0(VALU_DEP_1)
	v_pk_add_f32 v[40:41], v[38:39], 0 neg_lo:[1,1] neg_hi:[1,1]
	ds_store_b64 v3, v[40:41]
.LBB162_457:                            ;   in Loop: Header=BB162_3 Depth=1
	s_or_b32 exec_lo, exec_lo, s11
	s_wait_dscnt 0x0
	s_barrier_signal -1
	s_barrier_wait -1
	s_barrier_signal -1
	s_barrier_wait -1
	s_and_saveexec_b32 s11, s3
; %bb.458:                              ;   in Loop: Header=BB162_3 Depth=1
	ds_store_b64 v50, v[38:39] offset:20256
; %bb.459:                              ;   in Loop: Header=BB162_3 Depth=1
	s_or_b32 exec_lo, exec_lo, s11
	s_wait_dscnt 0x0
	s_barrier_signal -1
	s_barrier_wait -1
	s_barrier_signal -1
	s_barrier_wait -1
	s_and_saveexec_b32 s11, s94
	s_cbranch_execz .LBB162_461
; %bb.460:                              ;   in Loop: Header=BB162_3 Depth=1
	ds_load_b64 v[38:39], v77 offset:19744
	s_wait_dscnt 0x0
	ds_store_b64 v75, v[38:39] offset:18736
	ds_load_b64 v[38:39], v77 offset:19752
	s_wait_dscnt 0x0
	ds_store_b64 v75, v[38:39] offset:19248
.LBB162_461:                            ;   in Loop: Header=BB162_3 Depth=1
	s_or_b32 exec_lo, exec_lo, s11
	s_wait_dscnt 0x0
	s_barrier_signal -1
	s_barrier_wait -1
	s_and_saveexec_b32 s11, s14
	s_cbranch_execz .LBB162_463
; %bb.462:                              ;   in Loop: Header=BB162_3 Depth=1
	v_add_nc_u32_e64 v0, 0x120, 0
	ds_load_b64 v[42:43], v1 offset:19240
	ds_load_2addr_stride64_b64 v[38:41], v0 offset0:36 offset1:37
	s_wait_dscnt 0x0
	v_dual_mul_f32 v44, v43, v39 :: v_dual_mul_f32 v0, v42, v39
	s_delay_alu instid0(VALU_DEP_1) | instskip(NEXT) | instid1(VALU_DEP_2)
	v_xor_b32_e32 v44, 0x80000000, v44
	v_fmac_f32_e32 v0, v43, v38
	s_delay_alu instid0(VALU_DEP_2) | instskip(NEXT) | instid1(VALU_DEP_2)
	v_fmac_f32_e32 v44, v42, v38
	v_pk_mul_f32 v[38:39], v[0:1], v[40:41] op_sel:[0,1] op_sel_hi:[0,0]
	v_add_nc_u32_e64 v0, 0x4800, 0
	s_delay_alu instid0(VALU_DEP_2) | instskip(SKIP_1) | instid1(VALU_DEP_2)
	v_pk_fma_f32 v[42:43], v[44:45], v[40:41], v[38:39] op_sel_hi:[0,1,1]
	v_pk_fma_f32 v[38:39], v[44:45], v[40:41], v[38:39] neg_lo:[0,0,1] neg_hi:[0,0,1]
	v_mov_b32_e32 v39, v43
	ds_store_2addr_b64 v0, v[38:39], v[38:39] offset0:37 offset1:100
.LBB162_463:                            ;   in Loop: Header=BB162_3 Depth=1
	s_or_b32 exec_lo, exec_lo, s11
	v_mov_b64_e32 v[38:39], 0
	s_wait_dscnt 0x0
	s_barrier_signal -1
	s_barrier_wait -1
	global_wb scope:SCOPE_DEV
	s_wait_storecnt 0x0
	global_inv scope:SCOPE_DEV
	s_and_saveexec_b32 s11, s5
	s_cbranch_execz .LBB162_469
; %bb.464:                              ;   in Loop: Header=BB162_3 Depth=1
	ds_load_b64 v[38:39], v53 offset:18688
	ds_load_b64 v[40:41], v54 offset:20256
	s_wait_dscnt 0x0
	v_dual_mul_f32 v0, v41, v39 :: v_dual_mul_f32 v39, v40, v39
	s_delay_alu instid0(VALU_DEP_1) | instskip(NEXT) | instid1(VALU_DEP_1)
	v_dual_fma_f32 v0, v40, v38, -v0 :: v_dual_fmac_f32 v39, v41, v38
	v_dual_add_f32 v38, 0, v0 :: v_dual_add_f32 v39, 0, v39
	s_and_saveexec_b32 s12, s19
	s_cbranch_execnz .LBB162_1146
; %bb.465:                              ;   in Loop: Header=BB162_3 Depth=1
	s_or_b32 exec_lo, exec_lo, s12
	s_and_saveexec_b32 s12, s20
	s_cbranch_execnz .LBB162_1147
.LBB162_466:                            ;   in Loop: Header=BB162_3 Depth=1
	s_or_b32 exec_lo, exec_lo, s12
	s_and_saveexec_b32 s12, s3
	s_cbranch_execz .LBB162_468
.LBB162_467:                            ;   in Loop: Header=BB162_3 Depth=1
	ds_load_b64 v[40:41], v79 offset:20224
	ds_load_b64 v[42:43], v1 offset:20280
	s_wait_dscnt 0x0
	v_dual_mul_f32 v0, v43, v41 :: v_dual_mul_f32 v41, v42, v41
	s_delay_alu instid0(VALU_DEP_1) | instskip(NEXT) | instid1(VALU_DEP_1)
	v_dual_fma_f32 v0, v42, v40, -v0 :: v_dual_fmac_f32 v41, v43, v40
	v_dual_add_f32 v38, v38, v0 :: v_dual_add_f32 v39, v39, v41
.LBB162_468:                            ;   in Loop: Header=BB162_3 Depth=1
	s_or_b32 exec_lo, exec_lo, s12
.LBB162_469:                            ;   in Loop: Header=BB162_3 Depth=1
	s_delay_alu instid0(SALU_CYCLE_1)
	s_or_b32 exec_lo, exec_lo, s11
	s_and_saveexec_b32 s11, s95
	s_cbranch_execz .LBB162_471
; %bb.470:                              ;   in Loop: Header=BB162_3 Depth=1
	ds_load_b64 v[40:41], v1 offset:18200
	s_wait_dscnt 0x0
	v_dual_mul_f32 v0, v39, v40 :: v_dual_mul_f32 v42, v39, v41
	s_delay_alu instid0(VALU_DEP_1) | instskip(NEXT) | instid1(VALU_DEP_2)
	v_pk_fma_f32 v[96:97], v[38:39], v[40:41], v[0:1] op_sel:[1,0,0] op_sel_hi:[0,1,0]
	v_pk_fma_f32 v[38:39], v[38:39], v[40:41], v[42:43] op_sel_hi:[1,1,0] neg_lo:[0,0,1] neg_hi:[0,0,1]
	s_delay_alu instid0(VALU_DEP_2) | instskip(NEXT) | instid1(VALU_DEP_1)
	v_mov_b32_e32 v39, v97
	v_pk_add_f32 v[40:41], v[38:39], 0 neg_lo:[1,1] neg_hi:[1,1]
	ds_store_b64 v52, v[40:41]
.LBB162_471:                            ;   in Loop: Header=BB162_3 Depth=1
	s_or_b32 exec_lo, exec_lo, s11
	s_wait_loadcnt_dscnt 0x0
	s_barrier_signal -1
	s_barrier_wait -1
	s_and_saveexec_b32 s11, s96
	s_cbranch_execz .LBB162_473
; %bb.472:                              ;   in Loop: Header=BB162_3 Depth=1
	ds_load_b64 v[40:41], v53 offset:18176
	ds_load_b64 v[42:43], v52
	s_wait_dscnt 0x0
	v_pk_mul_f32 v[96:97], v[42:43], v[40:41] op_sel:[1,1] op_sel_hi:[0,1]
	s_delay_alu instid0(VALU_DEP_1) | instskip(SKIP_1) | instid1(VALU_DEP_2)
	v_pk_fma_f32 v[98:99], v[42:43], v[40:41], v[96:97] op_sel_hi:[1,0,1]
	v_pk_fma_f32 v[40:41], v[42:43], v[40:41], v[96:97] neg_lo:[0,0,1] neg_hi:[0,0,1]
	v_mov_b32_e32 v41, v99
	s_delay_alu instid0(VALU_DEP_1)
	v_pk_add_f32 v[38:39], v[38:39], v[40:41] neg_lo:[0,1] neg_hi:[0,1]
.LBB162_473:                            ;   in Loop: Header=BB162_3 Depth=1
	s_or_b32 exec_lo, exec_lo, s11
	s_barrier_signal -1
	s_barrier_wait -1
	s_and_saveexec_b32 s11, s97
	s_cbranch_execz .LBB162_475
; %bb.474:                              ;   in Loop: Header=BB162_3 Depth=1
	ds_load_b64 v[40:41], v1 offset:17680
	s_wait_dscnt 0x0
	v_pk_mul_f32 v[42:43], v[38:39], v[40:41] op_sel:[1,1] op_sel_hi:[1,0]
	s_delay_alu instid0(VALU_DEP_1) | instskip(SKIP_1) | instid1(VALU_DEP_2)
	v_pk_fma_f32 v[96:97], v[38:39], v[40:41], v[42:43] op_sel_hi:[0,1,1]
	v_pk_fma_f32 v[38:39], v[38:39], v[40:41], v[42:43] neg_lo:[0,0,1] neg_hi:[0,0,1]
	v_mov_b32_e32 v39, v97
	s_delay_alu instid0(VALU_DEP_1)
	v_pk_add_f32 v[40:41], v[38:39], 0 neg_lo:[1,1] neg_hi:[1,1]
	ds_store_b64 v52, v[40:41]
.LBB162_475:                            ;   in Loop: Header=BB162_3 Depth=1
	s_or_b32 exec_lo, exec_lo, s11
	s_wait_dscnt 0x0
	s_barrier_signal -1
	s_barrier_wait -1
	s_and_saveexec_b32 s11, s98
	s_cbranch_execz .LBB162_477
; %bb.476:                              ;   in Loop: Header=BB162_3 Depth=1
	ds_load_b64 v[40:41], v53 offset:17664
	ds_load_b64 v[42:43], v52
	s_wait_dscnt 0x0
	v_pk_mul_f32 v[96:97], v[42:43], v[40:41] op_sel:[1,1] op_sel_hi:[0,1]
	s_delay_alu instid0(VALU_DEP_1) | instskip(SKIP_1) | instid1(VALU_DEP_2)
	v_pk_fma_f32 v[98:99], v[42:43], v[40:41], v[96:97] op_sel_hi:[1,0,1]
	v_pk_fma_f32 v[40:41], v[42:43], v[40:41], v[96:97] neg_lo:[0,0,1] neg_hi:[0,0,1]
	v_mov_b32_e32 v41, v99
	s_delay_alu instid0(VALU_DEP_1)
	v_pk_add_f32 v[38:39], v[38:39], v[40:41] neg_lo:[0,1] neg_hi:[0,1]
.LBB162_477:                            ;   in Loop: Header=BB162_3 Depth=1
	s_or_b32 exec_lo, exec_lo, s11
	s_barrier_signal -1
	s_barrier_wait -1
	s_and_saveexec_b32 s11, s99
	s_cbranch_execz .LBB162_479
; %bb.478:                              ;   in Loop: Header=BB162_3 Depth=1
	ds_load_b64 v[40:41], v1 offset:17160
	s_wait_dscnt 0x0
	v_pk_mul_f32 v[42:43], v[38:39], v[40:41] op_sel:[1,1] op_sel_hi:[1,0]
	s_delay_alu instid0(VALU_DEP_1) | instskip(SKIP_1) | instid1(VALU_DEP_2)
	v_pk_fma_f32 v[96:97], v[38:39], v[40:41], v[42:43] op_sel_hi:[0,1,1]
	v_pk_fma_f32 v[38:39], v[38:39], v[40:41], v[42:43] neg_lo:[0,0,1] neg_hi:[0,0,1]
	v_mov_b32_e32 v39, v97
	s_delay_alu instid0(VALU_DEP_1)
	v_pk_add_f32 v[40:41], v[38:39], 0 neg_lo:[1,1] neg_hi:[1,1]
	ds_store_b64 v52, v[40:41]
.LBB162_479:                            ;   in Loop: Header=BB162_3 Depth=1
	s_or_b32 exec_lo, exec_lo, s11
	s_wait_dscnt 0x0
	s_barrier_signal -1
	s_barrier_wait -1
	s_and_saveexec_b32 s11, s100
	s_cbranch_execz .LBB162_481
; %bb.480:                              ;   in Loop: Header=BB162_3 Depth=1
	ds_load_b64 v[40:41], v1 offset:17152
	ds_load_b64 v[42:43], v52
	s_wait_dscnt 0x0
	v_pk_mul_f32 v[96:97], v[42:43], v[40:41] op_sel:[1,1] op_sel_hi:[0,1]
	s_delay_alu instid0(VALU_DEP_1) | instskip(SKIP_1) | instid1(VALU_DEP_2)
	v_pk_fma_f32 v[98:99], v[42:43], v[40:41], v[96:97] op_sel_hi:[1,0,1]
	v_pk_fma_f32 v[40:41], v[42:43], v[40:41], v[96:97] neg_lo:[0,0,1] neg_hi:[0,0,1]
	v_mov_b32_e32 v41, v99
	s_delay_alu instid0(VALU_DEP_1)
	v_pk_add_f32 v[38:39], v[38:39], v[40:41] neg_lo:[0,1] neg_hi:[0,1]
.LBB162_481:                            ;   in Loop: Header=BB162_3 Depth=1
	s_or_b32 exec_lo, exec_lo, s11
	s_barrier_signal -1
	s_barrier_wait -1
	s_and_saveexec_b32 s11, s100
	s_cbranch_execz .LBB162_483
; %bb.482:                              ;   in Loop: Header=BB162_3 Depth=1
	ds_load_b64 v[40:41], v1 offset:16640
	s_wait_dscnt 0x0
	v_pk_mul_f32 v[42:43], v[38:39], v[40:41] op_sel:[1,1] op_sel_hi:[1,0]
	s_delay_alu instid0(VALU_DEP_1) | instskip(SKIP_1) | instid1(VALU_DEP_2)
	v_pk_fma_f32 v[96:97], v[38:39], v[40:41], v[42:43] op_sel_hi:[0,1,1]
	v_pk_fma_f32 v[38:39], v[38:39], v[40:41], v[42:43] neg_lo:[0,0,1] neg_hi:[0,0,1]
	v_mov_b32_e32 v39, v97
	s_delay_alu instid0(VALU_DEP_1)
	v_pk_add_f32 v[40:41], v[38:39], 0 neg_lo:[1,1] neg_hi:[1,1]
	ds_store_b64 v52, v[40:41]
.LBB162_483:                            ;   in Loop: Header=BB162_3 Depth=1
	s_or_b32 exec_lo, exec_lo, s11
	s_wait_dscnt 0x0
	s_barrier_signal -1
	s_barrier_wait -1
	s_barrier_signal -1
	s_barrier_wait -1
	s_and_saveexec_b32 s11, s5
; %bb.484:                              ;   in Loop: Header=BB162_3 Depth=1
	ds_store_b64 v57, v[38:39] offset:20224
; %bb.485:                              ;   in Loop: Header=BB162_3 Depth=1
	s_or_b32 exec_lo, exec_lo, s11
	s_wait_dscnt 0x0
	s_barrier_signal -1
	s_barrier_wait -1
	s_barrier_signal -1
	s_barrier_wait -1
	s_and_saveexec_b32 s11, s101
	s_cbranch_execz .LBB162_487
; %bb.486:                              ;   in Loop: Header=BB162_3 Depth=1
	ds_load_b64 v[38:39], v81 offset:18688
	s_wait_dscnt 0x0
	ds_store_b64 v83, v[38:39] offset:16672
	ds_load_b64 v[38:39], v81 offset:18696
	s_wait_dscnt 0x0
	ds_store_b64 v83, v[38:39] offset:17184
	;; [unrolled: 3-line block ×4, first 2 shown]
.LBB162_487:                            ;   in Loop: Header=BB162_3 Depth=1
	s_or_b32 exec_lo, exec_lo, s11
	s_wait_dscnt 0x0
	s_barrier_signal -1
	s_barrier_wait -1
	s_and_saveexec_b32 s11, s14
	s_cbranch_execz .LBB162_489
; %bb.488:                              ;   in Loop: Header=BB162_3 Depth=1
	v_add_nc_u32_e64 v0, 0x110, 0
	ds_load_b64 v[42:43], v1 offset:18200
	ds_load_2addr_stride64_b64 v[38:41], v0 offset0:34 offset1:35
	s_wait_dscnt 0x0
	v_dual_mul_f32 v44, v43, v39 :: v_dual_mul_f32 v0, v42, v39
	s_delay_alu instid0(VALU_DEP_1) | instskip(NEXT) | instid1(VALU_DEP_2)
	v_xor_b32_e32 v44, 0x80000000, v44
	v_fmac_f32_e32 v0, v43, v38
	s_delay_alu instid0(VALU_DEP_2) | instskip(NEXT) | instid1(VALU_DEP_2)
	v_fmac_f32_e32 v44, v42, v38
	v_pk_mul_f32 v[38:39], v[0:1], v[40:41] op_sel:[0,1] op_sel_hi:[0,0]
	v_add_nc_u32_e64 v0, 0x4000, 0
	s_delay_alu instid0(VALU_DEP_2) | instskip(SKIP_1) | instid1(VALU_DEP_2)
	v_pk_fma_f32 v[42:43], v[44:45], v[40:41], v[38:39] op_sel_hi:[0,1,1]
	v_pk_fma_f32 v[38:39], v[44:45], v[40:41], v[38:39] neg_lo:[0,0,1] neg_hi:[0,0,1]
	v_mov_b32_e32 v39, v43
	ds_store_2addr_b64 v0, v[38:39], v[38:39] offset0:163 offset1:226
.LBB162_489:                            ;   in Loop: Header=BB162_3 Depth=1
	s_or_b32 exec_lo, exec_lo, s11
	v_dual_mov_b32 v38, 0 :: v_dual_mov_b32 v39, 0
	s_wait_dscnt 0x0
	s_barrier_signal -1
	s_barrier_wait -1
	global_wb scope:SCOPE_DEV
	s_wait_storecnt 0x0
	global_inv scope:SCOPE_DEV
	s_and_saveexec_b32 s11, s3
	s_cbranch_execz .LBB162_493
; %bb.490:                              ;   in Loop: Header=BB162_3 Depth=1
	ds_load_b64 v[38:39], v47 offset:17664
	ds_load_b64 v[40:41], v48 offset:18192
	s_wait_dscnt 0x0
	v_pk_mul_f32 v[42:43], v[40:41], v[38:39] op_sel:[1,1] op_sel_hi:[0,1]
	s_delay_alu instid0(VALU_DEP_1) | instskip(SKIP_1) | instid1(VALU_DEP_2)
	v_pk_fma_f32 v[96:97], v[40:41], v[38:39], v[42:43] op_sel_hi:[1,0,1]
	v_pk_fma_f32 v[38:39], v[40:41], v[38:39], v[42:43] neg_lo:[0,0,1] neg_hi:[0,0,1]
	v_mov_b32_e32 v39, v97
	s_delay_alu instid0(VALU_DEP_1)
	v_pk_add_f32 v[38:39], v[38:39], 0 op_sel_hi:[1,0]
	s_and_saveexec_b32 s12, s18
	s_cbranch_execz .LBB162_492
; %bb.491:                              ;   in Loop: Header=BB162_3 Depth=1
	ds_load_b64 v[40:41], v83 offset:18176
	ds_load_b64 v[42:43], v1 offset:18200
	s_wait_dscnt 0x0
	v_pk_mul_f32 v[96:97], v[42:43], v[40:41] op_sel:[1,1] op_sel_hi:[0,1]
	s_delay_alu instid0(VALU_DEP_1) | instskip(SKIP_1) | instid1(VALU_DEP_2)
	v_pk_fma_f32 v[98:99], v[42:43], v[40:41], v[96:97] op_sel_hi:[1,0,1]
	v_pk_fma_f32 v[40:41], v[42:43], v[40:41], v[96:97] neg_lo:[0,0,1] neg_hi:[0,0,1]
	v_mov_b32_e32 v41, v99
	s_delay_alu instid0(VALU_DEP_1)
	v_pk_add_f32 v[38:39], v[38:39], v[40:41]
.LBB162_492:                            ;   in Loop: Header=BB162_3 Depth=1
	s_or_b32 exec_lo, exec_lo, s12
.LBB162_493:                            ;   in Loop: Header=BB162_3 Depth=1
	s_delay_alu instid0(SALU_CYCLE_1)
	s_or_b32 exec_lo, exec_lo, s11
	s_and_saveexec_b32 s11, s92
	s_cbranch_execz .LBB162_495
; %bb.494:                              ;   in Loop: Header=BB162_3 Depth=1
	ds_load_b64 v[40:41], v1 offset:17160
	s_wait_dscnt 0x0
	v_pk_mul_f32 v[42:43], v[38:39], v[40:41] op_sel:[1,1] op_sel_hi:[1,0]
	s_delay_alu instid0(VALU_DEP_1) | instskip(SKIP_1) | instid1(VALU_DEP_2)
	v_pk_fma_f32 v[96:97], v[38:39], v[40:41], v[42:43] op_sel_hi:[0,1,1]
	v_pk_fma_f32 v[38:39], v[38:39], v[40:41], v[42:43] neg_lo:[0,0,1] neg_hi:[0,0,1]
	v_mov_b32_e32 v39, v97
	s_delay_alu instid0(VALU_DEP_1)
	v_pk_add_f32 v[40:41], v[38:39], 0 neg_lo:[1,1] neg_hi:[1,1]
	ds_store_b64 v3, v[40:41]
.LBB162_495:                            ;   in Loop: Header=BB162_3 Depth=1
	s_or_b32 exec_lo, exec_lo, s11
	s_wait_loadcnt_dscnt 0x0
	s_barrier_signal -1
	s_barrier_wait -1
	s_and_saveexec_b32 s11, s93
	s_cbranch_execz .LBB162_497
; %bb.496:                              ;   in Loop: Header=BB162_3 Depth=1
	ds_load_b64 v[40:41], v1 offset:17152
	ds_load_b64 v[42:43], v3
	s_wait_dscnt 0x0
	v_pk_mul_f32 v[96:97], v[42:43], v[40:41] op_sel:[1,1] op_sel_hi:[0,1]
	s_delay_alu instid0(VALU_DEP_1) | instskip(SKIP_1) | instid1(VALU_DEP_2)
	v_pk_fma_f32 v[98:99], v[42:43], v[40:41], v[96:97] op_sel_hi:[1,0,1]
	v_pk_fma_f32 v[40:41], v[42:43], v[40:41], v[96:97] neg_lo:[0,0,1] neg_hi:[0,0,1]
	v_mov_b32_e32 v41, v99
	s_delay_alu instid0(VALU_DEP_1)
	v_pk_add_f32 v[38:39], v[38:39], v[40:41] neg_lo:[0,1] neg_hi:[0,1]
.LBB162_497:                            ;   in Loop: Header=BB162_3 Depth=1
	s_or_b32 exec_lo, exec_lo, s11
	s_barrier_signal -1
	s_barrier_wait -1
	s_and_saveexec_b32 s11, s93
	s_cbranch_execz .LBB162_499
; %bb.498:                              ;   in Loop: Header=BB162_3 Depth=1
	ds_load_b64 v[40:41], v1 offset:16640
	s_wait_dscnt 0x0
	v_pk_mul_f32 v[42:43], v[38:39], v[40:41] op_sel:[1,1] op_sel_hi:[1,0]
	s_delay_alu instid0(VALU_DEP_1) | instskip(SKIP_1) | instid1(VALU_DEP_2)
	v_pk_fma_f32 v[96:97], v[38:39], v[40:41], v[42:43] op_sel_hi:[0,1,1]
	v_pk_fma_f32 v[38:39], v[38:39], v[40:41], v[42:43] neg_lo:[0,0,1] neg_hi:[0,0,1]
	v_mov_b32_e32 v39, v97
	s_delay_alu instid0(VALU_DEP_1)
	v_pk_add_f32 v[40:41], v[38:39], 0 neg_lo:[1,1] neg_hi:[1,1]
	ds_store_b64 v3, v[40:41]
.LBB162_499:                            ;   in Loop: Header=BB162_3 Depth=1
	s_or_b32 exec_lo, exec_lo, s11
	s_wait_dscnt 0x0
	s_barrier_signal -1
	s_barrier_wait -1
	s_barrier_signal -1
	s_barrier_wait -1
	s_and_saveexec_b32 s11, s3
; %bb.500:                              ;   in Loop: Header=BB162_3 Depth=1
	ds_store_b64 v50, v[38:39] offset:18176
; %bb.501:                              ;   in Loop: Header=BB162_3 Depth=1
	s_or_b32 exec_lo, exec_lo, s11
	s_wait_dscnt 0x0
	s_barrier_signal -1
	s_barrier_wait -1
	s_barrier_signal -1
	s_barrier_wait -1
	s_and_saveexec_b32 s11, s94
	s_cbranch_execz .LBB162_503
; %bb.502:                              ;   in Loop: Header=BB162_3 Depth=1
	ds_load_b64 v[38:39], v84 offset:17664
	s_wait_dscnt 0x0
	ds_store_b64 v83, v[38:39] offset:16656
	ds_load_b64 v[38:39], v84 offset:17672
	s_wait_dscnt 0x0
	ds_store_b64 v83, v[38:39] offset:17168
.LBB162_503:                            ;   in Loop: Header=BB162_3 Depth=1
	s_or_b32 exec_lo, exec_lo, s11
	s_wait_dscnt 0x0
	s_barrier_signal -1
	s_barrier_wait -1
	s_and_saveexec_b32 s11, s14
	s_cbranch_execz .LBB162_505
; %bb.504:                              ;   in Loop: Header=BB162_3 Depth=1
	v_add_nc_u32_e64 v0, 0x100, 0
	ds_load_b64 v[42:43], v1 offset:17160
	ds_load_2addr_stride64_b64 v[38:41], v0 offset0:32 offset1:33
	s_wait_dscnt 0x0
	v_dual_mul_f32 v44, v43, v39 :: v_dual_mul_f32 v0, v42, v39
	s_delay_alu instid0(VALU_DEP_1) | instskip(NEXT) | instid1(VALU_DEP_2)
	v_xor_b32_e32 v44, 0x80000000, v44
	v_fmac_f32_e32 v0, v43, v38
	s_delay_alu instid0(VALU_DEP_2) | instskip(NEXT) | instid1(VALU_DEP_2)
	v_fmac_f32_e32 v44, v42, v38
	v_pk_mul_f32 v[38:39], v[0:1], v[40:41] op_sel:[0,1] op_sel_hi:[0,0]
	v_add_nc_u32_e64 v0, 0x4000, 0
	s_delay_alu instid0(VALU_DEP_2) | instskip(SKIP_1) | instid1(VALU_DEP_2)
	v_pk_fma_f32 v[42:43], v[44:45], v[40:41], v[38:39] op_sel_hi:[0,1,1]
	v_pk_fma_f32 v[38:39], v[44:45], v[40:41], v[38:39] neg_lo:[0,0,1] neg_hi:[0,0,1]
	v_mov_b32_e32 v39, v43
	ds_store_2addr_b64 v0, v[38:39], v[38:39] offset0:33 offset1:96
.LBB162_505:                            ;   in Loop: Header=BB162_3 Depth=1
	s_or_b32 exec_lo, exec_lo, s11
	v_mov_b64_e32 v[38:39], 0
	s_wait_dscnt 0x0
	s_barrier_signal -1
	s_barrier_wait -1
	global_wb scope:SCOPE_DEV
	s_wait_storecnt 0x0
	global_inv scope:SCOPE_DEV
	s_and_saveexec_b32 s65, s38
	s_cbranch_execz .LBB162_567
; %bb.506:                              ;   in Loop: Header=BB162_3 Depth=1
	ds_load_b64 v[38:39], v68 offset:16384
	ds_load_b64 v[40:41], v70 offset:32512
	s_wait_dscnt 0x0
	v_dual_mul_f32 v0, v41, v39 :: v_dual_mul_f32 v39, v40, v39
	s_delay_alu instid0(VALU_DEP_1) | instskip(NEXT) | instid1(VALU_DEP_1)
	v_dual_fma_f32 v0, v40, v38, -v0 :: v_dual_fmac_f32 v39, v41, v38
	v_dual_add_f32 v38, 0, v0 :: v_dual_add_f32 v39, 0, v39
	s_mov_b32 s11, exec_lo
	v_readlane_b32 s12, v104, 9
	s_and_b32 s12, s11, s12
	s_delay_alu instid0(SALU_CYCLE_1)
	s_mov_b32 exec_lo, s12
	s_cbranch_execz .LBB162_508
; %bb.507:                              ;   in Loop: Header=BB162_3 Depth=1
	ds_load_b64 v[40:41], v68 offset:16896
	ds_load_b64 v[42:43], v70 offset:32520
	s_wait_dscnt 0x0
	v_dual_mul_f32 v0, v43, v41 :: v_dual_mul_f32 v41, v42, v41
	s_delay_alu instid0(VALU_DEP_1) | instskip(NEXT) | instid1(VALU_DEP_1)
	v_dual_fma_f32 v0, v42, v40, -v0 :: v_dual_fmac_f32 v41, v43, v40
	v_dual_add_f32 v38, v38, v0 :: v_dual_add_f32 v39, v39, v41
.LBB162_508:                            ;   in Loop: Header=BB162_3 Depth=1
	s_or_b32 exec_lo, exec_lo, s11
	s_delay_alu instid0(SALU_CYCLE_1) | instskip(SKIP_2) | instid1(SALU_CYCLE_1)
	s_mov_b32 s11, exec_lo
	v_readlane_b32 s12, v104, 10
	s_and_b32 s12, s11, s12
	s_mov_b32 exec_lo, s12
	s_cbranch_execz .LBB162_510
; %bb.509:                              ;   in Loop: Header=BB162_3 Depth=1
	ds_load_b64 v[40:41], v68 offset:17408
	ds_load_b64 v[42:43], v70 offset:32528
	s_wait_dscnt 0x0
	v_dual_mul_f32 v0, v43, v41 :: v_dual_mul_f32 v41, v42, v41
	s_delay_alu instid0(VALU_DEP_1) | instskip(NEXT) | instid1(VALU_DEP_1)
	v_dual_fma_f32 v0, v42, v40, -v0 :: v_dual_fmac_f32 v41, v43, v40
	v_dual_add_f32 v38, v38, v0 :: v_dual_add_f32 v39, v39, v41
.LBB162_510:                            ;   in Loop: Header=BB162_3 Depth=1
	s_or_b32 exec_lo, exec_lo, s11
	s_delay_alu instid0(SALU_CYCLE_1) | instskip(SKIP_2) | instid1(SALU_CYCLE_1)
	s_mov_b32 s11, exec_lo
	v_readlane_b32 s12, v104, 11
	s_and_b32 s12, s11, s12
	;; [unrolled: 16-line block ×22, first 2 shown]
	s_mov_b32 exec_lo, s12
	s_cbranch_execz .LBB162_552
; %bb.551:                              ;   in Loop: Header=BB162_3 Depth=1
	ds_load_b64 v[40:41], v68 offset:28160
	ds_load_b64 v[42:43], v70 offset:32696
	s_wait_dscnt 0x0
	v_dual_mul_f32 v0, v43, v41 :: v_dual_mul_f32 v41, v42, v41
	s_delay_alu instid0(VALU_DEP_1) | instskip(NEXT) | instid1(VALU_DEP_1)
	v_dual_fma_f32 v0, v42, v40, -v0 :: v_dual_fmac_f32 v41, v43, v40
	v_dual_add_f32 v38, v38, v0 :: v_dual_add_f32 v39, v39, v41
.LBB162_552:                            ;   in Loop: Header=BB162_3 Depth=1
	s_or_b32 exec_lo, exec_lo, s11
	s_and_saveexec_b32 s11, s7
	s_cbranch_execz .LBB162_554
; %bb.553:                              ;   in Loop: Header=BB162_3 Depth=1
	ds_load_b64 v[40:41], v68 offset:28672
	ds_load_b64 v[42:43], v70 offset:32704
	s_wait_dscnt 0x0
	v_dual_mul_f32 v0, v43, v41 :: v_dual_mul_f32 v41, v42, v41
	s_delay_alu instid0(VALU_DEP_1) | instskip(NEXT) | instid1(VALU_DEP_1)
	v_dual_fma_f32 v0, v42, v40, -v0 :: v_dual_fmac_f32 v41, v43, v40
	v_dual_add_f32 v38, v38, v0 :: v_dual_add_f32 v39, v39, v41
.LBB162_554:                            ;   in Loop: Header=BB162_3 Depth=1
	s_or_b32 exec_lo, exec_lo, s11
	s_delay_alu instid0(SALU_CYCLE_1) | instskip(SKIP_2) | instid1(SALU_CYCLE_1)
	s_mov_b32 s11, exec_lo
	v_readlane_b32 s12, v105, 30
	s_and_b32 s12, s11, s12
	s_mov_b32 exec_lo, s12
	s_cbranch_execz .LBB162_556
; %bb.555:                              ;   in Loop: Header=BB162_3 Depth=1
	ds_load_b64 v[40:41], v68 offset:29184
	ds_load_b64 v[42:43], v70 offset:32712
	s_wait_dscnt 0x0
	v_dual_mul_f32 v0, v43, v41 :: v_dual_mul_f32 v41, v42, v41
	s_delay_alu instid0(VALU_DEP_1) | instskip(NEXT) | instid1(VALU_DEP_1)
	v_dual_fma_f32 v0, v42, v40, -v0 :: v_dual_fmac_f32 v41, v43, v40
	v_dual_add_f32 v38, v38, v0 :: v_dual_add_f32 v39, v39, v41
.LBB162_556:                            ;   in Loop: Header=BB162_3 Depth=1
	s_or_b32 exec_lo, exec_lo, s11
	s_delay_alu instid0(SALU_CYCLE_1) | instskip(SKIP_2) | instid1(SALU_CYCLE_1)
	s_mov_b32 s11, exec_lo
	v_readlane_b32 s12, v104, 0
	s_and_b32 s12, s11, s12
	s_mov_b32 exec_lo, s12
	;; [unrolled: 16-line block ×4, first 2 shown]
	s_cbranch_execz .LBB162_562
; %bb.561:                              ;   in Loop: Header=BB162_3 Depth=1
	ds_load_b64 v[40:41], v68 offset:30720
	ds_load_b64 v[42:43], v70 offset:32736
	s_wait_dscnt 0x0
	v_dual_mul_f32 v0, v43, v41 :: v_dual_mul_f32 v97, v42, v41
	s_delay_alu instid0(VALU_DEP_1) | instskip(NEXT) | instid1(VALU_DEP_1)
	v_dual_fma_f32 v96, v42, v40, -v0 :: v_dual_fmac_f32 v97, v43, v40
	v_pk_add_f32 v[38:39], v[38:39], v[96:97]
.LBB162_562:                            ;   in Loop: Header=BB162_3 Depth=1
	s_or_b32 exec_lo, exec_lo, s11
	s_delay_alu instid0(SALU_CYCLE_1) | instskip(SKIP_2) | instid1(SALU_CYCLE_1)
	s_mov_b32 s11, exec_lo
	v_readlane_b32 s12, v104, 6
	s_and_b32 s12, s11, s12
	s_mov_b32 exec_lo, s12
	s_cbranch_execnz .LBB162_1148
; %bb.563:                              ;   in Loop: Header=BB162_3 Depth=1
	s_or_b32 exec_lo, exec_lo, s11
	s_and_saveexec_b32 s11, s6
	s_cbranch_execnz .LBB162_1149
.LBB162_564:                            ;   in Loop: Header=BB162_3 Depth=1
	s_or_b32 exec_lo, exec_lo, s11
	s_and_saveexec_b32 s11, s24
	s_delay_alu instid0(SALU_CYCLE_1)
	s_xor_b32 s11, exec_lo, s11
	s_cbranch_execz .LBB162_566
.LBB162_565:                            ;   in Loop: Header=BB162_3 Depth=1
	ds_load_b64 v[40:41], v68 offset:32256
	ds_load_b64 v[42:43], v70 offset:32760
	s_wait_dscnt 0x0
	v_pk_mul_f32 v[96:97], v[42:43], v[40:41] op_sel:[1,1] op_sel_hi:[0,1]
	s_delay_alu instid0(VALU_DEP_1) | instskip(SKIP_1) | instid1(VALU_DEP_2)
	v_pk_fma_f32 v[98:99], v[42:43], v[40:41], v[96:97] op_sel_hi:[1,0,1]
	v_pk_fma_f32 v[40:41], v[42:43], v[40:41], v[96:97] neg_lo:[0,0,1] neg_hi:[0,0,1]
	v_mov_b32_e32 v41, v99
	s_delay_alu instid0(VALU_DEP_1)
	v_pk_add_f32 v[38:39], v[38:39], v[40:41]
.LBB162_566:                            ;   in Loop: Header=BB162_3 Depth=1
	s_or_b32 exec_lo, exec_lo, s11
.LBB162_567:                            ;   in Loop: Header=BB162_3 Depth=1
	s_delay_alu instid0(SALU_CYCLE_1)
	s_or_b32 exec_lo, exec_lo, s65
	v_dual_mov_b32 v0, v95 :: v_dual_mov_b32 v40, v93
	s_mov_b32 s11, 31
	s_branch .LBB162_569
.LBB162_568:                            ;   in Loop: Header=BB162_569 Depth=2
	s_or_b32 exec_lo, exec_lo, s12
	v_add_nc_u32_e32 v40, 0xfffffc00, v40
	v_add_nc_u32_e32 v0, 2, v0
	s_add_co_i32 s11, s11, -2
	s_cmp_eq_u32 s65, 0
	s_barrier_signal -1
	s_barrier_wait -1
	s_cbranch_scc1 .LBB162_577
.LBB162_569:                            ;   Parent Loop BB162_3 Depth=1
                                        ; =>  This Inner Loop Header: Depth=2
	s_delay_alu instid0(VALU_DEP_1) | instskip(SKIP_1) | instid1(SALU_CYCLE_1)
	v_cmp_eq_u32_e32 vcc_lo, 0, v0
	s_and_b32 s65, s10, vcc_lo
	s_and_saveexec_b32 s12, s65
	s_cbranch_execz .LBB162_571
; %bb.570:                              ;   in Loop: Header=BB162_569 Depth=2
	ds_load_b64 v[42:43], v94
	s_wait_dscnt 0x0
	v_pk_mul_f32 v[96:97], v[38:39], v[42:43] op_sel:[1,1] op_sel_hi:[1,0]
	s_delay_alu instid0(VALU_DEP_1) | instskip(SKIP_1) | instid1(VALU_DEP_2)
	v_pk_fma_f32 v[98:99], v[38:39], v[42:43], v[96:97] op_sel_hi:[0,1,1]
	v_pk_fma_f32 v[38:39], v[38:39], v[42:43], v[96:97] neg_lo:[0,0,1] neg_hi:[0,0,1]
	v_mov_b32_e32 v39, v99
	s_delay_alu instid0(VALU_DEP_1)
	v_pk_add_f32 v[42:43], v[38:39], 0 neg_lo:[1,1] neg_hi:[1,1]
	ds_store_b64 v69, v[42:43]
.LBB162_571:                            ;   in Loop: Header=BB162_569 Depth=2
	s_or_b32 exec_lo, exec_lo, s12
	v_cmp_gt_u32_e32 vcc_lo, s11, v66
	s_wait_loadcnt_dscnt 0x0
	s_barrier_signal -1
	s_barrier_wait -1
	s_and_b32 s65, s10, vcc_lo
	s_delay_alu instid0(SALU_CYCLE_1)
	s_and_saveexec_b32 s12, s65
	s_cbranch_execz .LBB162_573
; %bb.572:                              ;   in Loop: Header=BB162_569 Depth=2
	ds_load_b64 v[42:43], v40 offset:512
	ds_load_b64 v[96:97], v69
	s_wait_dscnt 0x0
	v_pk_mul_f32 v[98:99], v[96:97], v[42:43] op_sel:[1,1] op_sel_hi:[0,1]
	s_delay_alu instid0(VALU_DEP_1) | instskip(SKIP_1) | instid1(VALU_DEP_2)
	v_pk_fma_f32 v[100:101], v[96:97], v[42:43], v[98:99] op_sel_hi:[1,0,1]
	v_pk_fma_f32 v[42:43], v[96:97], v[42:43], v[98:99] neg_lo:[0,0,1] neg_hi:[0,0,1]
	v_mov_b32_e32 v43, v101
	s_delay_alu instid0(VALU_DEP_1)
	v_pk_add_f32 v[38:39], v[38:39], v[42:43] neg_lo:[0,1] neg_hi:[0,1]
.LBB162_573:                            ;   in Loop: Header=BB162_569 Depth=2
	s_or_b32 exec_lo, exec_lo, s12
	s_add_co_i32 s65, s11, -1
	s_delay_alu instid0(SALU_CYCLE_1) | instskip(SKIP_3) | instid1(SALU_CYCLE_1)
	v_cmp_eq_u32_e32 vcc_lo, s65, v66
	s_barrier_signal -1
	s_barrier_wait -1
	s_and_b32 s84, s10, vcc_lo
	s_and_saveexec_b32 s12, s84
	s_cbranch_execz .LBB162_575
; %bb.574:                              ;   in Loop: Header=BB162_569 Depth=2
	ds_load_b64 v[42:43], v94
	s_wait_dscnt 0x0
	v_pk_mul_f32 v[96:97], v[38:39], v[42:43] op_sel:[1,1] op_sel_hi:[1,0]
	s_delay_alu instid0(VALU_DEP_1) | instskip(SKIP_1) | instid1(VALU_DEP_2)
	v_pk_fma_f32 v[98:99], v[38:39], v[42:43], v[96:97] op_sel_hi:[0,1,1]
	v_pk_fma_f32 v[38:39], v[38:39], v[42:43], v[96:97] neg_lo:[0,0,1] neg_hi:[0,0,1]
	v_mov_b32_e32 v39, v99
	s_delay_alu instid0(VALU_DEP_1)
	v_pk_add_f32 v[42:43], v[38:39], 0 neg_lo:[1,1] neg_hi:[1,1]
	ds_store_b64 v69, v[42:43]
.LBB162_575:                            ;   in Loop: Header=BB162_569 Depth=2
	s_or_b32 exec_lo, exec_lo, s12
	v_cmp_gt_u32_e32 vcc_lo, s65, v66
	s_wait_dscnt 0x0
	s_barrier_signal -1
	s_barrier_wait -1
	s_and_b32 s84, s10, vcc_lo
	s_delay_alu instid0(SALU_CYCLE_1)
	s_and_saveexec_b32 s12, s84
	s_cbranch_execz .LBB162_568
; %bb.576:                              ;   in Loop: Header=BB162_569 Depth=2
	ds_load_b64 v[42:43], v40
	ds_load_b64 v[96:97], v69
	s_wait_dscnt 0x0
	v_pk_mul_f32 v[98:99], v[96:97], v[42:43] op_sel:[1,1] op_sel_hi:[0,1]
	s_delay_alu instid0(VALU_DEP_1) | instskip(SKIP_1) | instid1(VALU_DEP_2)
	v_pk_fma_f32 v[100:101], v[96:97], v[42:43], v[98:99] op_sel_hi:[1,0,1]
	v_pk_fma_f32 v[42:43], v[96:97], v[42:43], v[98:99] neg_lo:[0,0,1] neg_hi:[0,0,1]
	v_mov_b32_e32 v43, v101
	s_delay_alu instid0(VALU_DEP_1)
	v_pk_add_f32 v[38:39], v[38:39], v[42:43] neg_lo:[0,1] neg_hi:[0,1]
	s_branch .LBB162_568
.LBB162_577:                            ;   in Loop: Header=BB162_3 Depth=1
	s_and_saveexec_b32 s11, s38
; %bb.578:                              ;   in Loop: Header=BB162_3 Depth=1
	ds_store_b64 v71, v[38:39] offset:32256
; %bb.579:                              ;   in Loop: Header=BB162_3 Depth=1
	s_or_b32 exec_lo, exec_lo, s11
	s_wait_dscnt 0x0
	s_barrier_signal -1
	s_barrier_wait -1
	s_barrier_signal -1
	s_barrier_wait -1
	s_mov_b32 s11, exec_lo
	v_readlane_b32 s12, v105, 4
	s_and_b32 s12, s11, s12
	s_delay_alu instid0(SALU_CYCLE_1)
	s_mov_b32 exec_lo, s12
	s_cbranch_execz .LBB162_581
; %bb.580:                              ;   in Loop: Header=BB162_3 Depth=1
	ds_load_b64 v[38:39], v84 offset:16384
	v_add_nc_u32_e32 v0, v84, v55
	s_wait_dscnt 0x0
	ds_store_b64 v0, v[38:39] offset:256
	ds_load_b64 v[38:39], v84 offset:16392
	s_wait_dscnt 0x0
	ds_store_b64 v0, v[38:39] offset:768
	ds_load_b64 v[38:39], v84 offset:16400
	;; [unrolled: 3-line block ×31, first 2 shown]
	s_wait_dscnt 0x0
	ds_store_b64 v0, v[38:39] offset:16128
.LBB162_581:                            ;   in Loop: Header=BB162_3 Depth=1
	s_or_b32 exec_lo, exec_lo, s11
	s_wait_dscnt 0x0
	s_barrier_signal -1
	s_barrier_wait -1
	s_and_saveexec_b32 s11, s14
	s_cbranch_execz .LBB162_583
; %bb.582:                              ;   in Loop: Header=BB162_3 Depth=1
	v_add_nc_u32_e64 v0, 0xf0, 0
	ds_load_b64 v[42:43], v1 offset:16120
	ds_load_2addr_stride64_b64 v[38:41], v0 offset0:30 offset1:31
	s_wait_dscnt 0x0
	v_dual_mul_f32 v44, v43, v39 :: v_dual_mul_f32 v0, v42, v39
	s_delay_alu instid0(VALU_DEP_1) | instskip(NEXT) | instid1(VALU_DEP_2)
	v_xor_b32_e32 v44, 0x80000000, v44
	v_fmac_f32_e32 v0, v43, v38
	s_delay_alu instid0(VALU_DEP_2) | instskip(NEXT) | instid1(VALU_DEP_2)
	v_fmac_f32_e32 v44, v42, v38
	v_pk_mul_f32 v[38:39], v[0:1], v[40:41] op_sel:[0,1] op_sel_hi:[0,0]
	v_add_nc_u32_e64 v0, 0x3800, 0
	s_delay_alu instid0(VALU_DEP_2) | instskip(SKIP_1) | instid1(VALU_DEP_2)
	v_pk_fma_f32 v[42:43], v[44:45], v[40:41], v[38:39] op_sel_hi:[0,1,1]
	v_pk_fma_f32 v[38:39], v[44:45], v[40:41], v[38:39] neg_lo:[0,0,1] neg_hi:[0,0,1]
	v_mov_b32_e32 v39, v43
	ds_store_2addr_b64 v0, v[38:39], v[38:39] offset0:159 offset1:222
.LBB162_583:                            ;   in Loop: Header=BB162_3 Depth=1
	s_or_b32 exec_lo, exec_lo, s11
	v_dual_mov_b32 v38, 0 :: v_dual_mov_b32 v39, 0
	s_wait_dscnt 0x0
	s_barrier_signal -1
	s_barrier_wait -1
	global_wb scope:SCOPE_DEV
	s_wait_storecnt 0x0
	global_inv scope:SCOPE_DEV
	s_and_saveexec_b32 s11, s3
	s_cbranch_execz .LBB162_587
; %bb.584:                              ;   in Loop: Header=BB162_3 Depth=1
	ds_load_b64 v[38:39], v47 offset:15584
	ds_load_b64 v[40:41], v48 offset:16112
	s_wait_dscnt 0x0
	v_pk_mul_f32 v[42:43], v[40:41], v[38:39] op_sel:[1,1] op_sel_hi:[0,1]
	s_delay_alu instid0(VALU_DEP_1) | instskip(SKIP_1) | instid1(VALU_DEP_2)
	v_pk_fma_f32 v[96:97], v[40:41], v[38:39], v[42:43] op_sel_hi:[1,0,1]
	v_pk_fma_f32 v[38:39], v[40:41], v[38:39], v[42:43] neg_lo:[0,0,1] neg_hi:[0,0,1]
	v_mov_b32_e32 v39, v97
	s_delay_alu instid0(VALU_DEP_1)
	v_pk_add_f32 v[38:39], v[38:39], 0 op_sel_hi:[1,0]
	s_and_saveexec_b32 s12, s18
	s_cbranch_execz .LBB162_586
; %bb.585:                              ;   in Loop: Header=BB162_3 Depth=1
	ds_load_b64 v[40:41], v49 offset:16096
	ds_load_b64 v[42:43], v1 offset:16120
	s_wait_dscnt 0x0
	v_pk_mul_f32 v[96:97], v[42:43], v[40:41] op_sel:[1,1] op_sel_hi:[0,1]
	s_delay_alu instid0(VALU_DEP_1) | instskip(SKIP_1) | instid1(VALU_DEP_2)
	v_pk_fma_f32 v[98:99], v[42:43], v[40:41], v[96:97] op_sel_hi:[1,0,1]
	v_pk_fma_f32 v[40:41], v[42:43], v[40:41], v[96:97] neg_lo:[0,0,1] neg_hi:[0,0,1]
	v_mov_b32_e32 v41, v99
	s_delay_alu instid0(VALU_DEP_1)
	v_pk_add_f32 v[38:39], v[38:39], v[40:41]
.LBB162_586:                            ;   in Loop: Header=BB162_3 Depth=1
	s_or_b32 exec_lo, exec_lo, s12
.LBB162_587:                            ;   in Loop: Header=BB162_3 Depth=1
	s_delay_alu instid0(SALU_CYCLE_1)
	s_or_b32 exec_lo, exec_lo, s11
	s_and_saveexec_b32 s11, s92
	s_cbranch_execz .LBB162_589
; %bb.588:                              ;   in Loop: Header=BB162_3 Depth=1
	ds_load_b64 v[40:41], v1 offset:15080
	s_wait_dscnt 0x0
	v_pk_mul_f32 v[42:43], v[38:39], v[40:41] op_sel:[1,1] op_sel_hi:[1,0]
	s_delay_alu instid0(VALU_DEP_1) | instskip(SKIP_1) | instid1(VALU_DEP_2)
	v_pk_fma_f32 v[96:97], v[38:39], v[40:41], v[42:43] op_sel_hi:[0,1,1]
	v_pk_fma_f32 v[38:39], v[38:39], v[40:41], v[42:43] neg_lo:[0,0,1] neg_hi:[0,0,1]
	v_mov_b32_e32 v39, v97
	s_delay_alu instid0(VALU_DEP_1)
	v_pk_add_f32 v[40:41], v[38:39], 0 neg_lo:[1,1] neg_hi:[1,1]
	ds_store_b64 v3, v[40:41]
.LBB162_589:                            ;   in Loop: Header=BB162_3 Depth=1
	s_or_b32 exec_lo, exec_lo, s11
	s_wait_loadcnt_dscnt 0x0
	s_barrier_signal -1
	s_barrier_wait -1
	s_and_saveexec_b32 s11, s93
	s_cbranch_execz .LBB162_591
; %bb.590:                              ;   in Loop: Header=BB162_3 Depth=1
	ds_load_b64 v[40:41], v1 offset:15072
	ds_load_b64 v[42:43], v3
	s_wait_dscnt 0x0
	v_pk_mul_f32 v[96:97], v[42:43], v[40:41] op_sel:[1,1] op_sel_hi:[0,1]
	s_delay_alu instid0(VALU_DEP_1) | instskip(SKIP_1) | instid1(VALU_DEP_2)
	v_pk_fma_f32 v[98:99], v[42:43], v[40:41], v[96:97] op_sel_hi:[1,0,1]
	v_pk_fma_f32 v[40:41], v[42:43], v[40:41], v[96:97] neg_lo:[0,0,1] neg_hi:[0,0,1]
	v_mov_b32_e32 v41, v99
	s_delay_alu instid0(VALU_DEP_1)
	v_pk_add_f32 v[38:39], v[38:39], v[40:41] neg_lo:[0,1] neg_hi:[0,1]
.LBB162_591:                            ;   in Loop: Header=BB162_3 Depth=1
	s_or_b32 exec_lo, exec_lo, s11
	s_barrier_signal -1
	s_barrier_wait -1
	s_and_saveexec_b32 s11, s93
	s_cbranch_execz .LBB162_593
; %bb.592:                              ;   in Loop: Header=BB162_3 Depth=1
	ds_load_b64 v[40:41], v1 offset:14560
	s_wait_dscnt 0x0
	v_pk_mul_f32 v[42:43], v[38:39], v[40:41] op_sel:[1,1] op_sel_hi:[1,0]
	s_delay_alu instid0(VALU_DEP_1) | instskip(SKIP_1) | instid1(VALU_DEP_2)
	v_pk_fma_f32 v[96:97], v[38:39], v[40:41], v[42:43] op_sel_hi:[0,1,1]
	v_pk_fma_f32 v[38:39], v[38:39], v[40:41], v[42:43] neg_lo:[0,0,1] neg_hi:[0,0,1]
	v_mov_b32_e32 v39, v97
	s_delay_alu instid0(VALU_DEP_1)
	v_pk_add_f32 v[40:41], v[38:39], 0 neg_lo:[1,1] neg_hi:[1,1]
	ds_store_b64 v3, v[40:41]
.LBB162_593:                            ;   in Loop: Header=BB162_3 Depth=1
	s_or_b32 exec_lo, exec_lo, s11
	s_wait_dscnt 0x0
	s_barrier_signal -1
	s_barrier_wait -1
	s_barrier_signal -1
	s_barrier_wait -1
	s_and_saveexec_b32 s11, s3
; %bb.594:                              ;   in Loop: Header=BB162_3 Depth=1
	ds_store_b64 v50, v[38:39] offset:16096
; %bb.595:                              ;   in Loop: Header=BB162_3 Depth=1
	s_or_b32 exec_lo, exec_lo, s11
	s_wait_dscnt 0x0
	s_barrier_signal -1
	s_barrier_wait -1
	s_barrier_signal -1
	s_barrier_wait -1
	s_and_saveexec_b32 s11, s94
	s_cbranch_execz .LBB162_597
; %bb.596:                              ;   in Loop: Header=BB162_3 Depth=1
	ds_load_b64 v[38:39], v51 offset:15584
	s_wait_dscnt 0x0
	ds_store_b64 v49, v[38:39] offset:14576
	ds_load_b64 v[38:39], v51 offset:15592
	s_wait_dscnt 0x0
	ds_store_b64 v49, v[38:39] offset:15088
.LBB162_597:                            ;   in Loop: Header=BB162_3 Depth=1
	s_or_b32 exec_lo, exec_lo, s11
	s_wait_dscnt 0x0
	s_barrier_signal -1
	s_barrier_wait -1
	s_and_saveexec_b32 s11, s14
	s_cbranch_execz .LBB162_599
; %bb.598:                              ;   in Loop: Header=BB162_3 Depth=1
	v_add_nc_u32_e64 v0, 0xe0, 0
	ds_load_b64 v[42:43], v1 offset:15080
	ds_load_2addr_stride64_b64 v[38:41], v0 offset0:28 offset1:29
	s_wait_dscnt 0x0
	v_dual_mul_f32 v44, v43, v39 :: v_dual_mul_f32 v0, v42, v39
	s_delay_alu instid0(VALU_DEP_1) | instskip(NEXT) | instid1(VALU_DEP_2)
	v_xor_b32_e32 v44, 0x80000000, v44
	v_fmac_f32_e32 v0, v43, v38
	s_delay_alu instid0(VALU_DEP_2) | instskip(NEXT) | instid1(VALU_DEP_2)
	v_fmac_f32_e32 v44, v42, v38
	v_pk_mul_f32 v[38:39], v[0:1], v[40:41] op_sel:[0,1] op_sel_hi:[0,0]
	v_add_nc_u32_e64 v0, 0x3800, 0
	s_delay_alu instid0(VALU_DEP_2) | instskip(SKIP_1) | instid1(VALU_DEP_2)
	v_pk_fma_f32 v[42:43], v[44:45], v[40:41], v[38:39] op_sel_hi:[0,1,1]
	v_pk_fma_f32 v[38:39], v[44:45], v[40:41], v[38:39] neg_lo:[0,0,1] neg_hi:[0,0,1]
	v_mov_b32_e32 v39, v43
	ds_store_2addr_b64 v0, v[38:39], v[38:39] offset0:29 offset1:92
.LBB162_599:                            ;   in Loop: Header=BB162_3 Depth=1
	s_or_b32 exec_lo, exec_lo, s11
	v_mov_b64_e32 v[38:39], 0
	s_wait_dscnt 0x0
	s_barrier_signal -1
	s_barrier_wait -1
	global_wb scope:SCOPE_DEV
	s_wait_storecnt 0x0
	global_inv scope:SCOPE_DEV
	s_and_saveexec_b32 s11, s5
	s_cbranch_execz .LBB162_605
; %bb.600:                              ;   in Loop: Header=BB162_3 Depth=1
	ds_load_b64 v[38:39], v53 offset:14528
	ds_load_b64 v[40:41], v54 offset:16096
	s_wait_dscnt 0x0
	v_dual_mul_f32 v0, v41, v39 :: v_dual_mul_f32 v39, v40, v39
	s_delay_alu instid0(VALU_DEP_1) | instskip(NEXT) | instid1(VALU_DEP_1)
	v_dual_fma_f32 v0, v40, v38, -v0 :: v_dual_fmac_f32 v39, v41, v38
	v_dual_add_f32 v38, 0, v0 :: v_dual_add_f32 v39, 0, v39
	s_and_saveexec_b32 s12, s19
	s_cbranch_execnz .LBB162_1150
; %bb.601:                              ;   in Loop: Header=BB162_3 Depth=1
	s_or_b32 exec_lo, exec_lo, s12
	s_and_saveexec_b32 s12, s20
	s_cbranch_execnz .LBB162_1151
.LBB162_602:                            ;   in Loop: Header=BB162_3 Depth=1
	s_or_b32 exec_lo, exec_lo, s12
	s_and_saveexec_b32 s12, s3
	s_cbranch_execz .LBB162_604
.LBB162_603:                            ;   in Loop: Header=BB162_3 Depth=1
	ds_load_b64 v[40:41], v56 offset:16064
	ds_load_b64 v[42:43], v1 offset:16120
	s_wait_dscnt 0x0
	v_dual_mul_f32 v0, v43, v41 :: v_dual_mul_f32 v41, v42, v41
	s_delay_alu instid0(VALU_DEP_1) | instskip(NEXT) | instid1(VALU_DEP_1)
	v_dual_fma_f32 v0, v42, v40, -v0 :: v_dual_fmac_f32 v41, v43, v40
	v_dual_add_f32 v38, v38, v0 :: v_dual_add_f32 v39, v39, v41
.LBB162_604:                            ;   in Loop: Header=BB162_3 Depth=1
	s_or_b32 exec_lo, exec_lo, s12
.LBB162_605:                            ;   in Loop: Header=BB162_3 Depth=1
	s_delay_alu instid0(SALU_CYCLE_1)
	s_or_b32 exec_lo, exec_lo, s11
	s_and_saveexec_b32 s11, s95
	s_cbranch_execz .LBB162_607
; %bb.606:                              ;   in Loop: Header=BB162_3 Depth=1
	ds_load_b64 v[40:41], v1 offset:14040
	s_wait_dscnt 0x0
	v_dual_mul_f32 v0, v39, v40 :: v_dual_mul_f32 v42, v39, v41
	s_delay_alu instid0(VALU_DEP_1) | instskip(NEXT) | instid1(VALU_DEP_2)
	v_pk_fma_f32 v[96:97], v[38:39], v[40:41], v[0:1] op_sel:[1,0,0] op_sel_hi:[0,1,0]
	v_pk_fma_f32 v[38:39], v[38:39], v[40:41], v[42:43] op_sel_hi:[1,1,0] neg_lo:[0,0,1] neg_hi:[0,0,1]
	s_delay_alu instid0(VALU_DEP_2) | instskip(NEXT) | instid1(VALU_DEP_1)
	v_mov_b32_e32 v39, v97
	v_pk_add_f32 v[40:41], v[38:39], 0 neg_lo:[1,1] neg_hi:[1,1]
	ds_store_b64 v52, v[40:41]
.LBB162_607:                            ;   in Loop: Header=BB162_3 Depth=1
	s_or_b32 exec_lo, exec_lo, s11
	s_wait_loadcnt_dscnt 0x0
	s_barrier_signal -1
	s_barrier_wait -1
	s_and_saveexec_b32 s11, s96
	s_cbranch_execz .LBB162_609
; %bb.608:                              ;   in Loop: Header=BB162_3 Depth=1
	ds_load_b64 v[40:41], v53 offset:14016
	ds_load_b64 v[42:43], v52
	s_wait_dscnt 0x0
	v_pk_mul_f32 v[96:97], v[42:43], v[40:41] op_sel:[1,1] op_sel_hi:[0,1]
	s_delay_alu instid0(VALU_DEP_1) | instskip(SKIP_1) | instid1(VALU_DEP_2)
	v_pk_fma_f32 v[98:99], v[42:43], v[40:41], v[96:97] op_sel_hi:[1,0,1]
	v_pk_fma_f32 v[40:41], v[42:43], v[40:41], v[96:97] neg_lo:[0,0,1] neg_hi:[0,0,1]
	v_mov_b32_e32 v41, v99
	s_delay_alu instid0(VALU_DEP_1)
	v_pk_add_f32 v[38:39], v[38:39], v[40:41] neg_lo:[0,1] neg_hi:[0,1]
.LBB162_609:                            ;   in Loop: Header=BB162_3 Depth=1
	s_or_b32 exec_lo, exec_lo, s11
	s_barrier_signal -1
	s_barrier_wait -1
	s_and_saveexec_b32 s11, s97
	s_cbranch_execz .LBB162_611
; %bb.610:                              ;   in Loop: Header=BB162_3 Depth=1
	ds_load_b64 v[40:41], v1 offset:13520
	s_wait_dscnt 0x0
	v_pk_mul_f32 v[42:43], v[38:39], v[40:41] op_sel:[1,1] op_sel_hi:[1,0]
	s_delay_alu instid0(VALU_DEP_1) | instskip(SKIP_1) | instid1(VALU_DEP_2)
	v_pk_fma_f32 v[96:97], v[38:39], v[40:41], v[42:43] op_sel_hi:[0,1,1]
	v_pk_fma_f32 v[38:39], v[38:39], v[40:41], v[42:43] neg_lo:[0,0,1] neg_hi:[0,0,1]
	v_mov_b32_e32 v39, v97
	s_delay_alu instid0(VALU_DEP_1)
	v_pk_add_f32 v[40:41], v[38:39], 0 neg_lo:[1,1] neg_hi:[1,1]
	ds_store_b64 v52, v[40:41]
.LBB162_611:                            ;   in Loop: Header=BB162_3 Depth=1
	s_or_b32 exec_lo, exec_lo, s11
	s_wait_dscnt 0x0
	s_barrier_signal -1
	s_barrier_wait -1
	s_and_saveexec_b32 s11, s98
	s_cbranch_execz .LBB162_613
; %bb.612:                              ;   in Loop: Header=BB162_3 Depth=1
	ds_load_b64 v[40:41], v53 offset:13504
	ds_load_b64 v[42:43], v52
	s_wait_dscnt 0x0
	v_pk_mul_f32 v[96:97], v[42:43], v[40:41] op_sel:[1,1] op_sel_hi:[0,1]
	s_delay_alu instid0(VALU_DEP_1) | instskip(SKIP_1) | instid1(VALU_DEP_2)
	v_pk_fma_f32 v[98:99], v[42:43], v[40:41], v[96:97] op_sel_hi:[1,0,1]
	v_pk_fma_f32 v[40:41], v[42:43], v[40:41], v[96:97] neg_lo:[0,0,1] neg_hi:[0,0,1]
	v_mov_b32_e32 v41, v99
	s_delay_alu instid0(VALU_DEP_1)
	v_pk_add_f32 v[38:39], v[38:39], v[40:41] neg_lo:[0,1] neg_hi:[0,1]
.LBB162_613:                            ;   in Loop: Header=BB162_3 Depth=1
	s_or_b32 exec_lo, exec_lo, s11
	s_barrier_signal -1
	s_barrier_wait -1
	s_and_saveexec_b32 s11, s99
	s_cbranch_execz .LBB162_615
; %bb.614:                              ;   in Loop: Header=BB162_3 Depth=1
	ds_load_b64 v[40:41], v1 offset:13000
	s_wait_dscnt 0x0
	v_pk_mul_f32 v[42:43], v[38:39], v[40:41] op_sel:[1,1] op_sel_hi:[1,0]
	s_delay_alu instid0(VALU_DEP_1) | instskip(SKIP_1) | instid1(VALU_DEP_2)
	v_pk_fma_f32 v[96:97], v[38:39], v[40:41], v[42:43] op_sel_hi:[0,1,1]
	v_pk_fma_f32 v[38:39], v[38:39], v[40:41], v[42:43] neg_lo:[0,0,1] neg_hi:[0,0,1]
	v_mov_b32_e32 v39, v97
	s_delay_alu instid0(VALU_DEP_1)
	v_pk_add_f32 v[40:41], v[38:39], 0 neg_lo:[1,1] neg_hi:[1,1]
	ds_store_b64 v52, v[40:41]
.LBB162_615:                            ;   in Loop: Header=BB162_3 Depth=1
	s_or_b32 exec_lo, exec_lo, s11
	s_wait_dscnt 0x0
	;; [unrolled: 35-line block ×3, first 2 shown]
	s_barrier_signal -1
	s_barrier_wait -1
	s_barrier_signal -1
	s_barrier_wait -1
	s_and_saveexec_b32 s11, s5
; %bb.620:                              ;   in Loop: Header=BB162_3 Depth=1
	ds_store_b64 v57, v[38:39] offset:16064
; %bb.621:                              ;   in Loop: Header=BB162_3 Depth=1
	s_or_b32 exec_lo, exec_lo, s11
	s_wait_dscnt 0x0
	s_barrier_signal -1
	s_barrier_wait -1
	s_barrier_signal -1
	s_barrier_wait -1
	s_and_saveexec_b32 s11, s101
	s_cbranch_execz .LBB162_623
; %bb.622:                              ;   in Loop: Header=BB162_3 Depth=1
	ds_load_b64 v[38:39], v58 offset:14528
	s_wait_dscnt 0x0
	ds_store_b64 v5, v[38:39] offset:12512
	ds_load_b64 v[38:39], v58 offset:14536
	s_wait_dscnt 0x0
	ds_store_b64 v5, v[38:39] offset:13024
	;; [unrolled: 3-line block ×4, first 2 shown]
.LBB162_623:                            ;   in Loop: Header=BB162_3 Depth=1
	s_or_b32 exec_lo, exec_lo, s11
	s_wait_dscnt 0x0
	s_barrier_signal -1
	s_barrier_wait -1
	s_and_saveexec_b32 s11, s14
	s_cbranch_execz .LBB162_625
; %bb.624:                              ;   in Loop: Header=BB162_3 Depth=1
	v_add_nc_u32_e64 v0, 0xd0, 0
	ds_load_b64 v[42:43], v1 offset:14040
	ds_load_2addr_stride64_b64 v[38:41], v0 offset0:26 offset1:27
	s_wait_dscnt 0x0
	v_dual_mul_f32 v44, v43, v39 :: v_dual_mul_f32 v0, v42, v39
	s_delay_alu instid0(VALU_DEP_1) | instskip(NEXT) | instid1(VALU_DEP_2)
	v_xor_b32_e32 v44, 0x80000000, v44
	v_fmac_f32_e32 v0, v43, v38
	s_delay_alu instid0(VALU_DEP_2) | instskip(NEXT) | instid1(VALU_DEP_2)
	v_fmac_f32_e32 v44, v42, v38
	v_pk_mul_f32 v[38:39], v[0:1], v[40:41] op_sel:[0,1] op_sel_hi:[0,0]
	v_add_nc_u32_e64 v0, 0x3000, 0
	s_delay_alu instid0(VALU_DEP_2) | instskip(SKIP_1) | instid1(VALU_DEP_2)
	v_pk_fma_f32 v[42:43], v[44:45], v[40:41], v[38:39] op_sel_hi:[0,1,1]
	v_pk_fma_f32 v[38:39], v[44:45], v[40:41], v[38:39] neg_lo:[0,0,1] neg_hi:[0,0,1]
	v_mov_b32_e32 v39, v43
	ds_store_2addr_b64 v0, v[38:39], v[38:39] offset0:155 offset1:218
.LBB162_625:                            ;   in Loop: Header=BB162_3 Depth=1
	s_or_b32 exec_lo, exec_lo, s11
	v_dual_mov_b32 v38, 0 :: v_dual_mov_b32 v39, 0
	s_wait_dscnt 0x0
	s_barrier_signal -1
	s_barrier_wait -1
	global_wb scope:SCOPE_DEV
	s_wait_storecnt 0x0
	global_inv scope:SCOPE_DEV
	s_and_saveexec_b32 s11, s3
	s_cbranch_execz .LBB162_629
; %bb.626:                              ;   in Loop: Header=BB162_3 Depth=1
	ds_load_b64 v[38:39], v47 offset:13504
	ds_load_b64 v[40:41], v48 offset:14032
	s_wait_dscnt 0x0
	v_pk_mul_f32 v[42:43], v[40:41], v[38:39] op_sel:[1,1] op_sel_hi:[0,1]
	s_delay_alu instid0(VALU_DEP_1) | instskip(SKIP_1) | instid1(VALU_DEP_2)
	v_pk_fma_f32 v[96:97], v[40:41], v[38:39], v[42:43] op_sel_hi:[1,0,1]
	v_pk_fma_f32 v[38:39], v[40:41], v[38:39], v[42:43] neg_lo:[0,0,1] neg_hi:[0,0,1]
	v_mov_b32_e32 v39, v97
	s_delay_alu instid0(VALU_DEP_1)
	v_pk_add_f32 v[38:39], v[38:39], 0 op_sel_hi:[1,0]
	s_and_saveexec_b32 s12, s18
	s_cbranch_execz .LBB162_628
; %bb.627:                              ;   in Loop: Header=BB162_3 Depth=1
	ds_load_b64 v[40:41], v5 offset:14016
	ds_load_b64 v[42:43], v1 offset:14040
	s_wait_dscnt 0x0
	v_pk_mul_f32 v[96:97], v[42:43], v[40:41] op_sel:[1,1] op_sel_hi:[0,1]
	s_delay_alu instid0(VALU_DEP_1) | instskip(SKIP_1) | instid1(VALU_DEP_2)
	v_pk_fma_f32 v[98:99], v[42:43], v[40:41], v[96:97] op_sel_hi:[1,0,1]
	v_pk_fma_f32 v[40:41], v[42:43], v[40:41], v[96:97] neg_lo:[0,0,1] neg_hi:[0,0,1]
	v_mov_b32_e32 v41, v99
	s_delay_alu instid0(VALU_DEP_1)
	v_pk_add_f32 v[38:39], v[38:39], v[40:41]
.LBB162_628:                            ;   in Loop: Header=BB162_3 Depth=1
	s_or_b32 exec_lo, exec_lo, s12
.LBB162_629:                            ;   in Loop: Header=BB162_3 Depth=1
	s_delay_alu instid0(SALU_CYCLE_1)
	s_or_b32 exec_lo, exec_lo, s11
	s_and_saveexec_b32 s11, s92
	s_cbranch_execz .LBB162_631
; %bb.630:                              ;   in Loop: Header=BB162_3 Depth=1
	ds_load_b64 v[40:41], v1 offset:13000
	s_wait_dscnt 0x0
	v_pk_mul_f32 v[42:43], v[38:39], v[40:41] op_sel:[1,1] op_sel_hi:[1,0]
	s_delay_alu instid0(VALU_DEP_1) | instskip(SKIP_1) | instid1(VALU_DEP_2)
	v_pk_fma_f32 v[96:97], v[38:39], v[40:41], v[42:43] op_sel_hi:[0,1,1]
	v_pk_fma_f32 v[38:39], v[38:39], v[40:41], v[42:43] neg_lo:[0,0,1] neg_hi:[0,0,1]
	v_mov_b32_e32 v39, v97
	s_delay_alu instid0(VALU_DEP_1)
	v_pk_add_f32 v[40:41], v[38:39], 0 neg_lo:[1,1] neg_hi:[1,1]
	ds_store_b64 v3, v[40:41]
.LBB162_631:                            ;   in Loop: Header=BB162_3 Depth=1
	s_or_b32 exec_lo, exec_lo, s11
	s_wait_loadcnt_dscnt 0x0
	s_barrier_signal -1
	s_barrier_wait -1
	s_and_saveexec_b32 s11, s93
	s_cbranch_execz .LBB162_633
; %bb.632:                              ;   in Loop: Header=BB162_3 Depth=1
	ds_load_b64 v[40:41], v1 offset:12992
	ds_load_b64 v[42:43], v3
	s_wait_dscnt 0x0
	v_pk_mul_f32 v[96:97], v[42:43], v[40:41] op_sel:[1,1] op_sel_hi:[0,1]
	s_delay_alu instid0(VALU_DEP_1) | instskip(SKIP_1) | instid1(VALU_DEP_2)
	v_pk_fma_f32 v[98:99], v[42:43], v[40:41], v[96:97] op_sel_hi:[1,0,1]
	v_pk_fma_f32 v[40:41], v[42:43], v[40:41], v[96:97] neg_lo:[0,0,1] neg_hi:[0,0,1]
	v_mov_b32_e32 v41, v99
	s_delay_alu instid0(VALU_DEP_1)
	v_pk_add_f32 v[38:39], v[38:39], v[40:41] neg_lo:[0,1] neg_hi:[0,1]
.LBB162_633:                            ;   in Loop: Header=BB162_3 Depth=1
	s_or_b32 exec_lo, exec_lo, s11
	s_barrier_signal -1
	s_barrier_wait -1
	s_and_saveexec_b32 s11, s93
	s_cbranch_execz .LBB162_635
; %bb.634:                              ;   in Loop: Header=BB162_3 Depth=1
	ds_load_b64 v[40:41], v1 offset:12480
	s_wait_dscnt 0x0
	v_pk_mul_f32 v[42:43], v[38:39], v[40:41] op_sel:[1,1] op_sel_hi:[1,0]
	s_delay_alu instid0(VALU_DEP_1) | instskip(SKIP_1) | instid1(VALU_DEP_2)
	v_pk_fma_f32 v[96:97], v[38:39], v[40:41], v[42:43] op_sel_hi:[0,1,1]
	v_pk_fma_f32 v[38:39], v[38:39], v[40:41], v[42:43] neg_lo:[0,0,1] neg_hi:[0,0,1]
	v_mov_b32_e32 v39, v97
	s_delay_alu instid0(VALU_DEP_1)
	v_pk_add_f32 v[40:41], v[38:39], 0 neg_lo:[1,1] neg_hi:[1,1]
	ds_store_b64 v3, v[40:41]
.LBB162_635:                            ;   in Loop: Header=BB162_3 Depth=1
	s_or_b32 exec_lo, exec_lo, s11
	s_wait_dscnt 0x0
	s_barrier_signal -1
	s_barrier_wait -1
	s_barrier_signal -1
	s_barrier_wait -1
	s_and_saveexec_b32 s11, s3
; %bb.636:                              ;   in Loop: Header=BB162_3 Depth=1
	ds_store_b64 v50, v[38:39] offset:14016
; %bb.637:                              ;   in Loop: Header=BB162_3 Depth=1
	s_or_b32 exec_lo, exec_lo, s11
	s_wait_dscnt 0x0
	s_barrier_signal -1
	s_barrier_wait -1
	s_barrier_signal -1
	s_barrier_wait -1
	s_and_saveexec_b32 s11, s94
	s_cbranch_execz .LBB162_639
; %bb.638:                              ;   in Loop: Header=BB162_3 Depth=1
	ds_load_b64 v[38:39], v72 offset:13504
	s_wait_dscnt 0x0
	ds_store_b64 v5, v[38:39] offset:12496
	ds_load_b64 v[38:39], v72 offset:13512
	s_wait_dscnt 0x0
	ds_store_b64 v5, v[38:39] offset:13008
.LBB162_639:                            ;   in Loop: Header=BB162_3 Depth=1
	s_or_b32 exec_lo, exec_lo, s11
	s_wait_dscnt 0x0
	s_barrier_signal -1
	s_barrier_wait -1
	s_and_saveexec_b32 s11, s14
	s_cbranch_execz .LBB162_641
; %bb.640:                              ;   in Loop: Header=BB162_3 Depth=1
	v_add_nc_u32_e64 v0, 0xc0, 0
	ds_load_b64 v[42:43], v1 offset:13000
	ds_load_2addr_stride64_b64 v[38:41], v0 offset0:24 offset1:25
	s_wait_dscnt 0x0
	v_dual_mul_f32 v44, v43, v39 :: v_dual_mul_f32 v0, v42, v39
	s_delay_alu instid0(VALU_DEP_1) | instskip(NEXT) | instid1(VALU_DEP_2)
	v_xor_b32_e32 v44, 0x80000000, v44
	v_fmac_f32_e32 v0, v43, v38
	s_delay_alu instid0(VALU_DEP_2) | instskip(NEXT) | instid1(VALU_DEP_2)
	v_fmac_f32_e32 v44, v42, v38
	v_pk_mul_f32 v[38:39], v[0:1], v[40:41] op_sel:[0,1] op_sel_hi:[0,0]
	v_add_nc_u32_e64 v0, 0x3000, 0
	s_delay_alu instid0(VALU_DEP_2) | instskip(SKIP_1) | instid1(VALU_DEP_2)
	v_pk_fma_f32 v[42:43], v[44:45], v[40:41], v[38:39] op_sel_hi:[0,1,1]
	v_pk_fma_f32 v[38:39], v[44:45], v[40:41], v[38:39] neg_lo:[0,0,1] neg_hi:[0,0,1]
	v_mov_b32_e32 v39, v43
	ds_store_2addr_b64 v0, v[38:39], v[38:39] offset0:25 offset1:88
.LBB162_641:                            ;   in Loop: Header=BB162_3 Depth=1
	s_or_b32 exec_lo, exec_lo, s11
	v_mov_b64_e32 v[38:39], 0
	s_wait_dscnt 0x0
	s_barrier_signal -1
	s_barrier_wait -1
	global_wb scope:SCOPE_DEV
	s_wait_storecnt 0x0
	global_inv scope:SCOPE_DEV
	s_and_saveexec_b32 s11, s6
	s_cbranch_execz .LBB162_651
; %bb.642:                              ;   in Loop: Header=BB162_3 Depth=1
	ds_load_b64 v[38:39], v60 offset:12416
	ds_load_b64 v[40:41], v61 offset:16064
	s_wait_dscnt 0x0
	v_dual_mul_f32 v0, v41, v39 :: v_dual_mul_f32 v39, v40, v39
	s_delay_alu instid0(VALU_DEP_1) | instskip(NEXT) | instid1(VALU_DEP_1)
	v_dual_fma_f32 v0, v40, v38, -v0 :: v_dual_fmac_f32 v39, v41, v38
	v_dual_add_f32 v38, 0, v0 :: v_dual_add_f32 v39, 0, v39
	s_and_saveexec_b32 s12, s21
	s_cbranch_execnz .LBB162_1152
; %bb.643:                              ;   in Loop: Header=BB162_3 Depth=1
	s_or_b32 exec_lo, exec_lo, s12
	s_and_saveexec_b32 s12, s22
	s_cbranch_execnz .LBB162_1153
.LBB162_644:                            ;   in Loop: Header=BB162_3 Depth=1
	s_or_b32 exec_lo, exec_lo, s12
	s_and_saveexec_b32 s12, s23
	s_cbranch_execnz .LBB162_1154
.LBB162_645:                            ;   in Loop: Header=BB162_3 Depth=1
	s_or_b32 exec_lo, exec_lo, s12
	s_and_saveexec_b32 s12, s24
	s_cbranch_execnz .LBB162_1155
.LBB162_646:                            ;   in Loop: Header=BB162_3 Depth=1
	s_or_b32 exec_lo, exec_lo, s12
	s_and_saveexec_b32 s12, s25
	s_cbranch_execnz .LBB162_1156
.LBB162_647:                            ;   in Loop: Header=BB162_3 Depth=1
	s_or_b32 exec_lo, exec_lo, s12
	s_and_saveexec_b32 s12, s5
	s_cbranch_execnz .LBB162_1157
.LBB162_648:                            ;   in Loop: Header=BB162_3 Depth=1
	s_or_b32 exec_lo, exec_lo, s12
	s_and_saveexec_b32 s12, s20
	s_cbranch_execz .LBB162_650
.LBB162_649:                            ;   in Loop: Header=BB162_3 Depth=1
	ds_load_b64 v[40:41], v73 offset:16000
	ds_load_b64 v[42:43], v1 offset:16120
	s_wait_dscnt 0x0
	v_dual_mul_f32 v0, v43, v41 :: v_dual_mul_f32 v97, v42, v41
	s_delay_alu instid0(VALU_DEP_1) | instskip(NEXT) | instid1(VALU_DEP_1)
	v_dual_fma_f32 v96, v42, v40, -v0 :: v_dual_fmac_f32 v97, v43, v40
	v_pk_add_f32 v[38:39], v[38:39], v[96:97]
.LBB162_650:                            ;   in Loop: Header=BB162_3 Depth=1
	s_or_b32 exec_lo, exec_lo, s12
.LBB162_651:                            ;   in Loop: Header=BB162_3 Depth=1
	s_delay_alu instid0(SALU_CYCLE_1)
	s_or_b32 exec_lo, exec_lo, s11
	s_and_saveexec_b32 s11, s102
	s_cbranch_execz .LBB162_653
; %bb.652:                              ;   in Loop: Header=BB162_3 Depth=1
	ds_load_b64 v[40:41], v1 offset:11960
	s_wait_dscnt 0x0
	v_pk_mul_f32 v[42:43], v[38:39], v[40:41] op_sel:[1,1] op_sel_hi:[1,0]
	s_delay_alu instid0(VALU_DEP_1) | instskip(SKIP_1) | instid1(VALU_DEP_2)
	v_pk_fma_f32 v[96:97], v[38:39], v[40:41], v[42:43] op_sel_hi:[0,1,1]
	v_pk_fma_f32 v[38:39], v[38:39], v[40:41], v[42:43] neg_lo:[0,0,1] neg_hi:[0,0,1]
	v_mov_b32_e32 v39, v97
	s_delay_alu instid0(VALU_DEP_1)
	v_pk_add_f32 v[40:41], v[38:39], 0 neg_lo:[1,1] neg_hi:[1,1]
	ds_store_b64 v59, v[40:41]
.LBB162_653:                            ;   in Loop: Header=BB162_3 Depth=1
	s_or_b32 exec_lo, exec_lo, s11
	s_wait_loadcnt_dscnt 0x0
	s_barrier_signal -1
	s_barrier_wait -1
	s_and_saveexec_b32 s11, s103
	s_cbranch_execz .LBB162_655
; %bb.654:                              ;   in Loop: Header=BB162_3 Depth=1
	ds_load_b64 v[40:41], v60 offset:11904
	ds_load_b64 v[42:43], v59
	s_wait_dscnt 0x0
	v_pk_mul_f32 v[96:97], v[42:43], v[40:41] op_sel:[1,1] op_sel_hi:[0,1]
	s_delay_alu instid0(VALU_DEP_1) | instskip(SKIP_1) | instid1(VALU_DEP_2)
	v_pk_fma_f32 v[98:99], v[42:43], v[40:41], v[96:97] op_sel_hi:[1,0,1]
	v_pk_fma_f32 v[40:41], v[42:43], v[40:41], v[96:97] neg_lo:[0,0,1] neg_hi:[0,0,1]
	v_mov_b32_e32 v41, v99
	s_delay_alu instid0(VALU_DEP_1)
	v_pk_add_f32 v[38:39], v[38:39], v[40:41] neg_lo:[0,1] neg_hi:[0,1]
.LBB162_655:                            ;   in Loop: Header=BB162_3 Depth=1
	s_or_b32 exec_lo, exec_lo, s11
	s_barrier_signal -1
	s_barrier_wait -1
	s_and_saveexec_b32 s11, s104
	s_cbranch_execz .LBB162_657
; %bb.656:                              ;   in Loop: Header=BB162_3 Depth=1
	ds_load_b64 v[40:41], v1 offset:11440
	s_wait_dscnt 0x0
	v_pk_mul_f32 v[42:43], v[38:39], v[40:41] op_sel:[1,1] op_sel_hi:[1,0]
	s_delay_alu instid0(VALU_DEP_1) | instskip(SKIP_1) | instid1(VALU_DEP_2)
	v_pk_fma_f32 v[96:97], v[38:39], v[40:41], v[42:43] op_sel_hi:[0,1,1]
	v_pk_fma_f32 v[38:39], v[38:39], v[40:41], v[42:43] neg_lo:[0,0,1] neg_hi:[0,0,1]
	v_mov_b32_e32 v39, v97
	s_delay_alu instid0(VALU_DEP_1)
	v_pk_add_f32 v[40:41], v[38:39], 0 neg_lo:[1,1] neg_hi:[1,1]
	ds_store_b64 v59, v[40:41]
.LBB162_657:                            ;   in Loop: Header=BB162_3 Depth=1
	s_or_b32 exec_lo, exec_lo, s11
	s_wait_dscnt 0x0
	s_barrier_signal -1
	s_barrier_wait -1
	s_and_saveexec_b32 s11, vcc_hi
	s_cbranch_execz .LBB162_659
; %bb.658:                              ;   in Loop: Header=BB162_3 Depth=1
	ds_load_b64 v[40:41], v60 offset:11392
	ds_load_b64 v[42:43], v59
	s_wait_dscnt 0x0
	v_pk_mul_f32 v[96:97], v[42:43], v[40:41] op_sel:[1,1] op_sel_hi:[0,1]
	s_delay_alu instid0(VALU_DEP_1) | instskip(SKIP_1) | instid1(VALU_DEP_2)
	v_pk_fma_f32 v[98:99], v[42:43], v[40:41], v[96:97] op_sel_hi:[1,0,1]
	v_pk_fma_f32 v[40:41], v[42:43], v[40:41], v[96:97] neg_lo:[0,0,1] neg_hi:[0,0,1]
	v_mov_b32_e32 v41, v99
	s_delay_alu instid0(VALU_DEP_1)
	v_pk_add_f32 v[38:39], v[38:39], v[40:41] neg_lo:[0,1] neg_hi:[0,1]
.LBB162_659:                            ;   in Loop: Header=BB162_3 Depth=1
	s_or_b32 exec_lo, exec_lo, s11
	s_barrier_signal -1
	s_barrier_wait -1
	s_and_saveexec_b32 s11, s15
	s_cbranch_execz .LBB162_661
; %bb.660:                              ;   in Loop: Header=BB162_3 Depth=1
	ds_load_b64 v[40:41], v1 offset:10920
	s_wait_dscnt 0x0
	v_pk_mul_f32 v[42:43], v[38:39], v[40:41] op_sel:[1,1] op_sel_hi:[1,0]
	s_delay_alu instid0(VALU_DEP_1) | instskip(SKIP_1) | instid1(VALU_DEP_2)
	v_pk_fma_f32 v[96:97], v[38:39], v[40:41], v[42:43] op_sel_hi:[0,1,1]
	v_pk_fma_f32 v[38:39], v[38:39], v[40:41], v[42:43] neg_lo:[0,0,1] neg_hi:[0,0,1]
	v_mov_b32_e32 v39, v97
	s_delay_alu instid0(VALU_DEP_1)
	v_pk_add_f32 v[40:41], v[38:39], 0 neg_lo:[1,1] neg_hi:[1,1]
	ds_store_b64 v59, v[40:41]
.LBB162_661:                            ;   in Loop: Header=BB162_3 Depth=1
	s_or_b32 exec_lo, exec_lo, s11
	s_wait_dscnt 0x0
	s_barrier_signal -1
	s_barrier_wait -1
	s_and_saveexec_b32 s11, s41
	s_cbranch_execz .LBB162_663
; %bb.662:                              ;   in Loop: Header=BB162_3 Depth=1
	ds_load_b64 v[40:41], v60 offset:10880
	ds_load_b64 v[42:43], v59
	s_wait_dscnt 0x0
	v_pk_mul_f32 v[96:97], v[42:43], v[40:41] op_sel:[1,1] op_sel_hi:[0,1]
	s_delay_alu instid0(VALU_DEP_1) | instskip(SKIP_1) | instid1(VALU_DEP_2)
	v_pk_fma_f32 v[98:99], v[42:43], v[40:41], v[96:97] op_sel_hi:[1,0,1]
	v_pk_fma_f32 v[40:41], v[42:43], v[40:41], v[96:97] neg_lo:[0,0,1] neg_hi:[0,0,1]
	v_mov_b32_e32 v41, v99
	s_delay_alu instid0(VALU_DEP_1)
	v_pk_add_f32 v[38:39], v[38:39], v[40:41] neg_lo:[0,1] neg_hi:[0,1]
.LBB162_663:                            ;   in Loop: Header=BB162_3 Depth=1
	s_or_b32 exec_lo, exec_lo, s11
	s_barrier_signal -1
	s_barrier_wait -1
	s_and_saveexec_b32 s11, s42
	s_cbranch_execz .LBB162_665
; %bb.664:                              ;   in Loop: Header=BB162_3 Depth=1
	ds_load_b64 v[40:41], v1 offset:10400
	s_wait_dscnt 0x0
	v_pk_mul_f32 v[42:43], v[38:39], v[40:41]
	v_pk_mul_f32 v[38:39], v[38:39], v[40:41] op_sel:[1,0] op_sel_hi:[0,1]
	s_delay_alu instid0(VALU_DEP_1) | instskip(NEXT) | instid1(VALU_DEP_3)
	v_dual_mov_b32 v40, v42 :: v_dual_mov_b32 v41, v38
	v_mov_b32_e32 v38, v43
	s_delay_alu instid0(VALU_DEP_1) | instskip(SKIP_1) | instid1(VALU_DEP_2)
	v_pk_add_f32 v[42:43], v[40:41], v[38:39]
	v_pk_add_f32 v[38:39], v[40:41], v[38:39] neg_lo:[0,1] neg_hi:[0,1]
	v_mov_b32_e32 v39, v43
	s_delay_alu instid0(VALU_DEP_1)
	v_pk_add_f32 v[40:41], v[38:39], 0 neg_lo:[1,1] neg_hi:[1,1]
	ds_store_b64 v59, v[40:41]
.LBB162_665:                            ;   in Loop: Header=BB162_3 Depth=1
	s_or_b32 exec_lo, exec_lo, s11
	s_wait_dscnt 0x0
	s_barrier_signal -1
	s_barrier_wait -1
	s_and_saveexec_b32 s11, s43
	s_cbranch_execz .LBB162_667
; %bb.666:                              ;   in Loop: Header=BB162_3 Depth=1
	ds_load_b64 v[40:41], v60 offset:10368
	ds_load_b64 v[42:43], v59
	s_wait_dscnt 0x0
	v_dual_mul_f32 v0, v43, v41 :: v_dual_mul_f32 v41, v42, v41
	s_delay_alu instid0(VALU_DEP_1) | instskip(NEXT) | instid1(VALU_DEP_1)
	v_dual_fma_f32 v0, v42, v40, -v0 :: v_dual_fmac_f32 v41, v43, v40
	v_dual_sub_f32 v38, v38, v0 :: v_dual_sub_f32 v39, v39, v41
.LBB162_667:                            ;   in Loop: Header=BB162_3 Depth=1
	s_or_b32 exec_lo, exec_lo, s11
	s_barrier_signal -1
	s_barrier_wait -1
	s_and_saveexec_b32 s11, s44
	s_cbranch_execz .LBB162_669
; %bb.668:                              ;   in Loop: Header=BB162_3 Depth=1
	ds_load_b64 v[40:41], v1 offset:9880
	s_wait_dscnt 0x0
	v_dual_mul_f32 v0, v39, v40 :: v_dual_mul_f32 v42, v39, v41
	s_delay_alu instid0(VALU_DEP_1) | instskip(NEXT) | instid1(VALU_DEP_2)
	v_pk_fma_f32 v[96:97], v[38:39], v[40:41], v[0:1] op_sel:[1,0,0] op_sel_hi:[0,1,0]
	v_pk_fma_f32 v[38:39], v[38:39], v[40:41], v[42:43] op_sel_hi:[1,1,0] neg_lo:[0,0,1] neg_hi:[0,0,1]
	s_delay_alu instid0(VALU_DEP_2) | instskip(NEXT) | instid1(VALU_DEP_1)
	v_mov_b32_e32 v39, v97
	v_pk_add_f32 v[40:41], v[38:39], 0 neg_lo:[1,1] neg_hi:[1,1]
	ds_store_b64 v59, v[40:41]
.LBB162_669:                            ;   in Loop: Header=BB162_3 Depth=1
	s_or_b32 exec_lo, exec_lo, s11
	s_wait_dscnt 0x0
	s_barrier_signal -1
	s_barrier_wait -1
	s_and_saveexec_b32 s11, s45
	s_cbranch_execz .LBB162_671
; %bb.670:                              ;   in Loop: Header=BB162_3 Depth=1
	ds_load_b64 v[40:41], v60 offset:9856
	ds_load_b64 v[42:43], v59
	s_wait_dscnt 0x0
	v_pk_mul_f32 v[96:97], v[42:43], v[40:41] op_sel:[1,1] op_sel_hi:[0,1]
	s_delay_alu instid0(VALU_DEP_1) | instskip(SKIP_1) | instid1(VALU_DEP_2)
	v_pk_fma_f32 v[98:99], v[42:43], v[40:41], v[96:97] op_sel_hi:[1,0,1]
	v_pk_fma_f32 v[40:41], v[42:43], v[40:41], v[96:97] neg_lo:[0,0,1] neg_hi:[0,0,1]
	v_mov_b32_e32 v41, v99
	s_delay_alu instid0(VALU_DEP_1)
	v_pk_add_f32 v[38:39], v[38:39], v[40:41] neg_lo:[0,1] neg_hi:[0,1]
.LBB162_671:                            ;   in Loop: Header=BB162_3 Depth=1
	s_or_b32 exec_lo, exec_lo, s11
	s_barrier_signal -1
	s_barrier_wait -1
	s_and_saveexec_b32 s11, s46
	s_cbranch_execz .LBB162_673
; %bb.672:                              ;   in Loop: Header=BB162_3 Depth=1
	ds_load_b64 v[40:41], v1 offset:9360
	s_wait_dscnt 0x0
	v_pk_mul_f32 v[42:43], v[38:39], v[40:41] op_sel:[1,1] op_sel_hi:[1,0]
	s_delay_alu instid0(VALU_DEP_1) | instskip(SKIP_1) | instid1(VALU_DEP_2)
	v_pk_fma_f32 v[96:97], v[38:39], v[40:41], v[42:43] op_sel_hi:[0,1,1]
	v_pk_fma_f32 v[38:39], v[38:39], v[40:41], v[42:43] neg_lo:[0,0,1] neg_hi:[0,0,1]
	v_mov_b32_e32 v39, v97
	s_delay_alu instid0(VALU_DEP_1)
	v_pk_add_f32 v[40:41], v[38:39], 0 neg_lo:[1,1] neg_hi:[1,1]
	ds_store_b64 v59, v[40:41]
.LBB162_673:                            ;   in Loop: Header=BB162_3 Depth=1
	s_or_b32 exec_lo, exec_lo, s11
	s_wait_dscnt 0x0
	s_barrier_signal -1
	s_barrier_wait -1
	s_and_saveexec_b32 s11, s47
	s_cbranch_execz .LBB162_675
; %bb.674:                              ;   in Loop: Header=BB162_3 Depth=1
	ds_load_b64 v[40:41], v60 offset:9344
	ds_load_b64 v[42:43], v59
	s_wait_dscnt 0x0
	v_pk_mul_f32 v[96:97], v[42:43], v[40:41] op_sel:[1,1] op_sel_hi:[0,1]
	s_delay_alu instid0(VALU_DEP_1) | instskip(SKIP_1) | instid1(VALU_DEP_2)
	v_pk_fma_f32 v[98:99], v[42:43], v[40:41], v[96:97] op_sel_hi:[1,0,1]
	v_pk_fma_f32 v[40:41], v[42:43], v[40:41], v[96:97] neg_lo:[0,0,1] neg_hi:[0,0,1]
	v_mov_b32_e32 v41, v99
	s_delay_alu instid0(VALU_DEP_1)
	v_pk_add_f32 v[38:39], v[38:39], v[40:41] neg_lo:[0,1] neg_hi:[0,1]
.LBB162_675:                            ;   in Loop: Header=BB162_3 Depth=1
	s_or_b32 exec_lo, exec_lo, s11
	s_barrier_signal -1
	s_barrier_wait -1
	s_and_saveexec_b32 s11, s48
	s_cbranch_execz .LBB162_677
; %bb.676:                              ;   in Loop: Header=BB162_3 Depth=1
	ds_load_b64 v[40:41], v1 offset:8840
	s_wait_dscnt 0x0
	v_pk_mul_f32 v[42:43], v[38:39], v[40:41] op_sel:[1,1] op_sel_hi:[1,0]
	s_delay_alu instid0(VALU_DEP_1) | instskip(SKIP_1) | instid1(VALU_DEP_2)
	v_pk_fma_f32 v[96:97], v[38:39], v[40:41], v[42:43] op_sel_hi:[0,1,1]
	v_pk_fma_f32 v[38:39], v[38:39], v[40:41], v[42:43] neg_lo:[0,0,1] neg_hi:[0,0,1]
	v_mov_b32_e32 v39, v97
	s_delay_alu instid0(VALU_DEP_1)
	v_pk_add_f32 v[40:41], v[38:39], 0 neg_lo:[1,1] neg_hi:[1,1]
	ds_store_b64 v59, v[40:41]
.LBB162_677:                            ;   in Loop: Header=BB162_3 Depth=1
	;; [unrolled: 35-line block ×3, first 2 shown]
	s_or_b32 exec_lo, exec_lo, s11
	s_wait_dscnt 0x0
	s_barrier_signal -1
	s_barrier_wait -1
	s_barrier_signal -1
	s_barrier_wait -1
	s_and_saveexec_b32 s11, s6
; %bb.682:                              ;   in Loop: Header=BB162_3 Depth=1
	ds_store_b64 v62, v[38:39] offset:16000
; %bb.683:                              ;   in Loop: Header=BB162_3 Depth=1
	s_or_b32 exec_lo, exec_lo, s11
	s_wait_dscnt 0x0
	s_barrier_signal -1
	s_barrier_wait -1
	s_barrier_signal -1
	s_barrier_wait -1
	s_and_saveexec_b32 s11, s50
	s_cbranch_execz .LBB162_685
; %bb.684:                              ;   in Loop: Header=BB162_3 Depth=1
	ds_load_b64 v[38:39], v74 offset:12416
	s_wait_dscnt 0x0
	ds_store_b64 v75, v[38:39] offset:8384
	ds_load_b64 v[38:39], v74 offset:12424
	s_wait_dscnt 0x0
	ds_store_b64 v75, v[38:39] offset:8896
	;; [unrolled: 3-line block ×8, first 2 shown]
.LBB162_685:                            ;   in Loop: Header=BB162_3 Depth=1
	s_or_b32 exec_lo, exec_lo, s11
	s_wait_dscnt 0x0
	s_barrier_signal -1
	s_barrier_wait -1
	s_and_saveexec_b32 s11, s14
	s_cbranch_execz .LBB162_687
; %bb.686:                              ;   in Loop: Header=BB162_3 Depth=1
	v_add_nc_u32_e64 v0, 0xb0, 0
	ds_load_b64 v[42:43], v1 offset:11960
	ds_load_2addr_stride64_b64 v[38:41], v0 offset0:22 offset1:23
	s_wait_dscnt 0x0
	v_dual_mul_f32 v44, v43, v39 :: v_dual_mul_f32 v0, v42, v39
	s_delay_alu instid0(VALU_DEP_1) | instskip(NEXT) | instid1(VALU_DEP_2)
	v_xor_b32_e32 v44, 0x80000000, v44
	v_fmac_f32_e32 v0, v43, v38
	s_delay_alu instid0(VALU_DEP_2) | instskip(NEXT) | instid1(VALU_DEP_2)
	v_fmac_f32_e32 v44, v42, v38
	v_pk_mul_f32 v[38:39], v[0:1], v[40:41] op_sel:[0,1] op_sel_hi:[0,0]
	v_add_nc_u32_e64 v0, 0x2800, 0
	s_delay_alu instid0(VALU_DEP_2) | instskip(SKIP_1) | instid1(VALU_DEP_2)
	v_pk_fma_f32 v[42:43], v[44:45], v[40:41], v[38:39] op_sel_hi:[0,1,1]
	v_pk_fma_f32 v[38:39], v[44:45], v[40:41], v[38:39] neg_lo:[0,0,1] neg_hi:[0,0,1]
	v_mov_b32_e32 v39, v43
	ds_store_2addr_b64 v0, v[38:39], v[38:39] offset0:151 offset1:214
.LBB162_687:                            ;   in Loop: Header=BB162_3 Depth=1
	s_or_b32 exec_lo, exec_lo, s11
	v_dual_mov_b32 v38, 0 :: v_dual_mov_b32 v39, 0
	s_wait_dscnt 0x0
	s_barrier_signal -1
	s_barrier_wait -1
	global_wb scope:SCOPE_DEV
	s_wait_storecnt 0x0
	global_inv scope:SCOPE_DEV
	s_and_saveexec_b32 s11, s3
	s_cbranch_execz .LBB162_691
; %bb.688:                              ;   in Loop: Header=BB162_3 Depth=1
	ds_load_b64 v[38:39], v47 offset:11424
	ds_load_b64 v[40:41], v48 offset:11952
	s_wait_dscnt 0x0
	v_pk_mul_f32 v[42:43], v[40:41], v[38:39] op_sel:[1,1] op_sel_hi:[0,1]
	s_delay_alu instid0(VALU_DEP_1) | instskip(SKIP_1) | instid1(VALU_DEP_2)
	v_pk_fma_f32 v[96:97], v[40:41], v[38:39], v[42:43] op_sel_hi:[1,0,1]
	v_pk_fma_f32 v[38:39], v[40:41], v[38:39], v[42:43] neg_lo:[0,0,1] neg_hi:[0,0,1]
	v_mov_b32_e32 v39, v97
	s_delay_alu instid0(VALU_DEP_1)
	v_pk_add_f32 v[38:39], v[38:39], 0 op_sel_hi:[1,0]
	s_and_saveexec_b32 s12, s18
	s_cbranch_execz .LBB162_690
; %bb.689:                              ;   in Loop: Header=BB162_3 Depth=1
	ds_load_b64 v[40:41], v75 offset:11936
	ds_load_b64 v[42:43], v1 offset:11960
	s_wait_dscnt 0x0
	v_pk_mul_f32 v[96:97], v[42:43], v[40:41] op_sel:[1,1] op_sel_hi:[0,1]
	s_delay_alu instid0(VALU_DEP_1) | instskip(SKIP_1) | instid1(VALU_DEP_2)
	v_pk_fma_f32 v[98:99], v[42:43], v[40:41], v[96:97] op_sel_hi:[1,0,1]
	v_pk_fma_f32 v[40:41], v[42:43], v[40:41], v[96:97] neg_lo:[0,0,1] neg_hi:[0,0,1]
	v_mov_b32_e32 v41, v99
	s_delay_alu instid0(VALU_DEP_1)
	v_pk_add_f32 v[38:39], v[38:39], v[40:41]
.LBB162_690:                            ;   in Loop: Header=BB162_3 Depth=1
	s_or_b32 exec_lo, exec_lo, s12
.LBB162_691:                            ;   in Loop: Header=BB162_3 Depth=1
	s_delay_alu instid0(SALU_CYCLE_1)
	s_or_b32 exec_lo, exec_lo, s11
	s_and_saveexec_b32 s11, s92
	s_cbranch_execz .LBB162_693
; %bb.692:                              ;   in Loop: Header=BB162_3 Depth=1
	ds_load_b64 v[40:41], v1 offset:10920
	s_wait_dscnt 0x0
	v_pk_mul_f32 v[42:43], v[38:39], v[40:41] op_sel:[1,1] op_sel_hi:[1,0]
	s_delay_alu instid0(VALU_DEP_1) | instskip(SKIP_1) | instid1(VALU_DEP_2)
	v_pk_fma_f32 v[96:97], v[38:39], v[40:41], v[42:43] op_sel_hi:[0,1,1]
	v_pk_fma_f32 v[38:39], v[38:39], v[40:41], v[42:43] neg_lo:[0,0,1] neg_hi:[0,0,1]
	v_mov_b32_e32 v39, v97
	s_delay_alu instid0(VALU_DEP_1)
	v_pk_add_f32 v[40:41], v[38:39], 0 neg_lo:[1,1] neg_hi:[1,1]
	ds_store_b64 v3, v[40:41]
.LBB162_693:                            ;   in Loop: Header=BB162_3 Depth=1
	s_or_b32 exec_lo, exec_lo, s11
	s_wait_loadcnt_dscnt 0x0
	s_barrier_signal -1
	s_barrier_wait -1
	s_and_saveexec_b32 s11, s93
	s_cbranch_execz .LBB162_695
; %bb.694:                              ;   in Loop: Header=BB162_3 Depth=1
	ds_load_b64 v[40:41], v1 offset:10912
	ds_load_b64 v[42:43], v3
	s_wait_dscnt 0x0
	v_pk_mul_f32 v[96:97], v[42:43], v[40:41] op_sel:[1,1] op_sel_hi:[0,1]
	s_delay_alu instid0(VALU_DEP_1) | instskip(SKIP_1) | instid1(VALU_DEP_2)
	v_pk_fma_f32 v[98:99], v[42:43], v[40:41], v[96:97] op_sel_hi:[1,0,1]
	v_pk_fma_f32 v[40:41], v[42:43], v[40:41], v[96:97] neg_lo:[0,0,1] neg_hi:[0,0,1]
	v_mov_b32_e32 v41, v99
	s_delay_alu instid0(VALU_DEP_1)
	v_pk_add_f32 v[38:39], v[38:39], v[40:41] neg_lo:[0,1] neg_hi:[0,1]
.LBB162_695:                            ;   in Loop: Header=BB162_3 Depth=1
	s_or_b32 exec_lo, exec_lo, s11
	s_barrier_signal -1
	s_barrier_wait -1
	s_and_saveexec_b32 s11, s93
	s_cbranch_execz .LBB162_697
; %bb.696:                              ;   in Loop: Header=BB162_3 Depth=1
	ds_load_b64 v[40:41], v1 offset:10400
	s_wait_dscnt 0x0
	v_pk_mul_f32 v[42:43], v[38:39], v[40:41] op_sel:[1,1] op_sel_hi:[1,0]
	s_delay_alu instid0(VALU_DEP_1) | instskip(SKIP_1) | instid1(VALU_DEP_2)
	v_pk_fma_f32 v[96:97], v[38:39], v[40:41], v[42:43] op_sel_hi:[0,1,1]
	v_pk_fma_f32 v[38:39], v[38:39], v[40:41], v[42:43] neg_lo:[0,0,1] neg_hi:[0,0,1]
	v_mov_b32_e32 v39, v97
	s_delay_alu instid0(VALU_DEP_1)
	v_pk_add_f32 v[40:41], v[38:39], 0 neg_lo:[1,1] neg_hi:[1,1]
	ds_store_b64 v3, v[40:41]
.LBB162_697:                            ;   in Loop: Header=BB162_3 Depth=1
	s_or_b32 exec_lo, exec_lo, s11
	s_wait_dscnt 0x0
	s_barrier_signal -1
	s_barrier_wait -1
	s_barrier_signal -1
	s_barrier_wait -1
	s_and_saveexec_b32 s11, s3
; %bb.698:                              ;   in Loop: Header=BB162_3 Depth=1
	ds_store_b64 v50, v[38:39] offset:11936
; %bb.699:                              ;   in Loop: Header=BB162_3 Depth=1
	s_or_b32 exec_lo, exec_lo, s11
	s_wait_dscnt 0x0
	s_barrier_signal -1
	s_barrier_wait -1
	s_barrier_signal -1
	s_barrier_wait -1
	s_and_saveexec_b32 s11, s94
	s_cbranch_execz .LBB162_701
; %bb.700:                              ;   in Loop: Header=BB162_3 Depth=1
	ds_load_b64 v[38:39], v77 offset:11424
	s_wait_dscnt 0x0
	ds_store_b64 v75, v[38:39] offset:10416
	ds_load_b64 v[38:39], v77 offset:11432
	s_wait_dscnt 0x0
	ds_store_b64 v75, v[38:39] offset:10928
.LBB162_701:                            ;   in Loop: Header=BB162_3 Depth=1
	s_or_b32 exec_lo, exec_lo, s11
	s_wait_dscnt 0x0
	s_barrier_signal -1
	s_barrier_wait -1
	s_and_saveexec_b32 s11, s14
	s_cbranch_execz .LBB162_703
; %bb.702:                              ;   in Loop: Header=BB162_3 Depth=1
	v_add_nc_u32_e64 v0, 0xa0, 0
	ds_load_b64 v[42:43], v1 offset:10920
	ds_load_2addr_stride64_b64 v[38:41], v0 offset0:20 offset1:21
	s_wait_dscnt 0x0
	v_dual_mul_f32 v44, v43, v39 :: v_dual_mul_f32 v0, v42, v39
	s_delay_alu instid0(VALU_DEP_1) | instskip(NEXT) | instid1(VALU_DEP_2)
	v_xor_b32_e32 v44, 0x80000000, v44
	v_fmac_f32_e32 v0, v43, v38
	s_delay_alu instid0(VALU_DEP_2) | instskip(NEXT) | instid1(VALU_DEP_2)
	v_fmac_f32_e32 v44, v42, v38
	v_pk_mul_f32 v[38:39], v[0:1], v[40:41] op_sel:[0,1] op_sel_hi:[0,0]
	v_add_nc_u32_e64 v0, 0x2800, 0
	s_delay_alu instid0(VALU_DEP_2) | instskip(SKIP_1) | instid1(VALU_DEP_2)
	v_pk_fma_f32 v[42:43], v[44:45], v[40:41], v[38:39] op_sel_hi:[0,1,1]
	v_pk_fma_f32 v[38:39], v[44:45], v[40:41], v[38:39] neg_lo:[0,0,1] neg_hi:[0,0,1]
	v_mov_b32_e32 v39, v43
	ds_store_2addr_b64 v0, v[38:39], v[38:39] offset0:21 offset1:84
.LBB162_703:                            ;   in Loop: Header=BB162_3 Depth=1
	s_or_b32 exec_lo, exec_lo, s11
	v_mov_b64_e32 v[38:39], 0
	s_wait_dscnt 0x0
	s_barrier_signal -1
	s_barrier_wait -1
	global_wb scope:SCOPE_DEV
	s_wait_storecnt 0x0
	global_inv scope:SCOPE_DEV
	s_and_saveexec_b32 s11, s5
	s_cbranch_execz .LBB162_709
; %bb.704:                              ;   in Loop: Header=BB162_3 Depth=1
	ds_load_b64 v[38:39], v53 offset:10368
	ds_load_b64 v[40:41], v54 offset:11936
	s_wait_dscnt 0x0
	v_dual_mul_f32 v0, v41, v39 :: v_dual_mul_f32 v39, v40, v39
	s_delay_alu instid0(VALU_DEP_1) | instskip(NEXT) | instid1(VALU_DEP_1)
	v_dual_fma_f32 v0, v40, v38, -v0 :: v_dual_fmac_f32 v39, v41, v38
	v_dual_add_f32 v38, 0, v0 :: v_dual_add_f32 v39, 0, v39
	s_and_saveexec_b32 s12, s19
	s_cbranch_execnz .LBB162_1158
; %bb.705:                              ;   in Loop: Header=BB162_3 Depth=1
	s_or_b32 exec_lo, exec_lo, s12
	s_and_saveexec_b32 s12, s20
	s_cbranch_execnz .LBB162_1159
.LBB162_706:                            ;   in Loop: Header=BB162_3 Depth=1
	s_or_b32 exec_lo, exec_lo, s12
	s_and_saveexec_b32 s12, s3
	s_cbranch_execz .LBB162_708
.LBB162_707:                            ;   in Loop: Header=BB162_3 Depth=1
	ds_load_b64 v[40:41], v79 offset:11904
	ds_load_b64 v[42:43], v1 offset:11960
	s_wait_dscnt 0x0
	v_dual_mul_f32 v0, v43, v41 :: v_dual_mul_f32 v41, v42, v41
	s_delay_alu instid0(VALU_DEP_1) | instskip(NEXT) | instid1(VALU_DEP_1)
	v_dual_fma_f32 v0, v42, v40, -v0 :: v_dual_fmac_f32 v41, v43, v40
	v_dual_add_f32 v38, v38, v0 :: v_dual_add_f32 v39, v39, v41
.LBB162_708:                            ;   in Loop: Header=BB162_3 Depth=1
	s_or_b32 exec_lo, exec_lo, s12
.LBB162_709:                            ;   in Loop: Header=BB162_3 Depth=1
	s_delay_alu instid0(SALU_CYCLE_1)
	s_or_b32 exec_lo, exec_lo, s11
	s_and_saveexec_b32 s11, s95
	s_cbranch_execz .LBB162_711
; %bb.710:                              ;   in Loop: Header=BB162_3 Depth=1
	ds_load_b64 v[40:41], v1 offset:9880
	s_wait_dscnt 0x0
	v_dual_mul_f32 v0, v39, v40 :: v_dual_mul_f32 v42, v39, v41
	s_delay_alu instid0(VALU_DEP_1) | instskip(NEXT) | instid1(VALU_DEP_2)
	v_pk_fma_f32 v[96:97], v[38:39], v[40:41], v[0:1] op_sel:[1,0,0] op_sel_hi:[0,1,0]
	v_pk_fma_f32 v[38:39], v[38:39], v[40:41], v[42:43] op_sel_hi:[1,1,0] neg_lo:[0,0,1] neg_hi:[0,0,1]
	s_delay_alu instid0(VALU_DEP_2) | instskip(NEXT) | instid1(VALU_DEP_1)
	v_mov_b32_e32 v39, v97
	v_pk_add_f32 v[40:41], v[38:39], 0 neg_lo:[1,1] neg_hi:[1,1]
	ds_store_b64 v52, v[40:41]
.LBB162_711:                            ;   in Loop: Header=BB162_3 Depth=1
	s_or_b32 exec_lo, exec_lo, s11
	s_wait_loadcnt_dscnt 0x0
	s_barrier_signal -1
	s_barrier_wait -1
	s_and_saveexec_b32 s11, s96
	s_cbranch_execz .LBB162_713
; %bb.712:                              ;   in Loop: Header=BB162_3 Depth=1
	ds_load_b64 v[40:41], v53 offset:9856
	ds_load_b64 v[42:43], v52
	s_wait_dscnt 0x0
	v_pk_mul_f32 v[96:97], v[42:43], v[40:41] op_sel:[1,1] op_sel_hi:[0,1]
	s_delay_alu instid0(VALU_DEP_1) | instskip(SKIP_1) | instid1(VALU_DEP_2)
	v_pk_fma_f32 v[98:99], v[42:43], v[40:41], v[96:97] op_sel_hi:[1,0,1]
	v_pk_fma_f32 v[40:41], v[42:43], v[40:41], v[96:97] neg_lo:[0,0,1] neg_hi:[0,0,1]
	v_mov_b32_e32 v41, v99
	s_delay_alu instid0(VALU_DEP_1)
	v_pk_add_f32 v[38:39], v[38:39], v[40:41] neg_lo:[0,1] neg_hi:[0,1]
.LBB162_713:                            ;   in Loop: Header=BB162_3 Depth=1
	s_or_b32 exec_lo, exec_lo, s11
	s_barrier_signal -1
	s_barrier_wait -1
	s_and_saveexec_b32 s11, s97
	s_cbranch_execz .LBB162_715
; %bb.714:                              ;   in Loop: Header=BB162_3 Depth=1
	ds_load_b64 v[40:41], v1 offset:9360
	s_wait_dscnt 0x0
	v_pk_mul_f32 v[42:43], v[38:39], v[40:41] op_sel:[1,1] op_sel_hi:[1,0]
	s_delay_alu instid0(VALU_DEP_1) | instskip(SKIP_1) | instid1(VALU_DEP_2)
	v_pk_fma_f32 v[96:97], v[38:39], v[40:41], v[42:43] op_sel_hi:[0,1,1]
	v_pk_fma_f32 v[38:39], v[38:39], v[40:41], v[42:43] neg_lo:[0,0,1] neg_hi:[0,0,1]
	v_mov_b32_e32 v39, v97
	s_delay_alu instid0(VALU_DEP_1)
	v_pk_add_f32 v[40:41], v[38:39], 0 neg_lo:[1,1] neg_hi:[1,1]
	ds_store_b64 v52, v[40:41]
.LBB162_715:                            ;   in Loop: Header=BB162_3 Depth=1
	s_or_b32 exec_lo, exec_lo, s11
	s_wait_dscnt 0x0
	s_barrier_signal -1
	s_barrier_wait -1
	s_and_saveexec_b32 s11, s98
	s_cbranch_execz .LBB162_717
; %bb.716:                              ;   in Loop: Header=BB162_3 Depth=1
	ds_load_b64 v[40:41], v53 offset:9344
	ds_load_b64 v[42:43], v52
	s_wait_dscnt 0x0
	v_pk_mul_f32 v[96:97], v[42:43], v[40:41] op_sel:[1,1] op_sel_hi:[0,1]
	s_delay_alu instid0(VALU_DEP_1) | instskip(SKIP_1) | instid1(VALU_DEP_2)
	v_pk_fma_f32 v[98:99], v[42:43], v[40:41], v[96:97] op_sel_hi:[1,0,1]
	v_pk_fma_f32 v[40:41], v[42:43], v[40:41], v[96:97] neg_lo:[0,0,1] neg_hi:[0,0,1]
	v_mov_b32_e32 v41, v99
	s_delay_alu instid0(VALU_DEP_1)
	v_pk_add_f32 v[38:39], v[38:39], v[40:41] neg_lo:[0,1] neg_hi:[0,1]
.LBB162_717:                            ;   in Loop: Header=BB162_3 Depth=1
	s_or_b32 exec_lo, exec_lo, s11
	s_barrier_signal -1
	s_barrier_wait -1
	s_and_saveexec_b32 s11, s99
	s_cbranch_execz .LBB162_719
; %bb.718:                              ;   in Loop: Header=BB162_3 Depth=1
	ds_load_b64 v[40:41], v1 offset:8840
	s_wait_dscnt 0x0
	v_pk_mul_f32 v[42:43], v[38:39], v[40:41] op_sel:[1,1] op_sel_hi:[1,0]
	s_delay_alu instid0(VALU_DEP_1) | instskip(SKIP_1) | instid1(VALU_DEP_2)
	v_pk_fma_f32 v[96:97], v[38:39], v[40:41], v[42:43] op_sel_hi:[0,1,1]
	v_pk_fma_f32 v[38:39], v[38:39], v[40:41], v[42:43] neg_lo:[0,0,1] neg_hi:[0,0,1]
	v_mov_b32_e32 v39, v97
	s_delay_alu instid0(VALU_DEP_1)
	v_pk_add_f32 v[40:41], v[38:39], 0 neg_lo:[1,1] neg_hi:[1,1]
	ds_store_b64 v52, v[40:41]
.LBB162_719:                            ;   in Loop: Header=BB162_3 Depth=1
	s_or_b32 exec_lo, exec_lo, s11
	s_wait_dscnt 0x0
	;; [unrolled: 35-line block ×3, first 2 shown]
	s_barrier_signal -1
	s_barrier_wait -1
	s_barrier_signal -1
	s_barrier_wait -1
	s_and_saveexec_b32 s11, s5
; %bb.724:                              ;   in Loop: Header=BB162_3 Depth=1
	ds_store_b64 v57, v[38:39] offset:11904
; %bb.725:                              ;   in Loop: Header=BB162_3 Depth=1
	s_or_b32 exec_lo, exec_lo, s11
	s_wait_dscnt 0x0
	s_barrier_signal -1
	s_barrier_wait -1
	s_barrier_signal -1
	s_barrier_wait -1
	s_and_saveexec_b32 s11, s101
	s_cbranch_execz .LBB162_727
; %bb.726:                              ;   in Loop: Header=BB162_3 Depth=1
	ds_load_b64 v[38:39], v81 offset:10368
	s_wait_dscnt 0x0
	ds_store_b64 v83, v[38:39] offset:8352
	ds_load_b64 v[38:39], v81 offset:10376
	s_wait_dscnt 0x0
	ds_store_b64 v83, v[38:39] offset:8864
	;; [unrolled: 3-line block ×4, first 2 shown]
.LBB162_727:                            ;   in Loop: Header=BB162_3 Depth=1
	s_or_b32 exec_lo, exec_lo, s11
	s_wait_dscnt 0x0
	s_barrier_signal -1
	s_barrier_wait -1
	s_and_saveexec_b32 s11, s14
	s_cbranch_execz .LBB162_729
; %bb.728:                              ;   in Loop: Header=BB162_3 Depth=1
	v_add_nc_u32_e64 v0, 0x90, 0
	ds_load_b64 v[42:43], v1 offset:9880
	ds_load_2addr_stride64_b64 v[38:41], v0 offset0:18 offset1:19
	s_wait_dscnt 0x0
	v_dual_mul_f32 v44, v43, v39 :: v_dual_mul_f32 v0, v42, v39
	s_delay_alu instid0(VALU_DEP_1) | instskip(NEXT) | instid1(VALU_DEP_2)
	v_xor_b32_e32 v44, 0x80000000, v44
	v_fmac_f32_e32 v0, v43, v38
	s_delay_alu instid0(VALU_DEP_2) | instskip(NEXT) | instid1(VALU_DEP_2)
	v_fmac_f32_e32 v44, v42, v38
	v_pk_mul_f32 v[38:39], v[0:1], v[40:41] op_sel:[0,1] op_sel_hi:[0,0]
	v_add_nc_u32_e64 v0, 0x2000, 0
	s_delay_alu instid0(VALU_DEP_2) | instskip(SKIP_1) | instid1(VALU_DEP_2)
	v_pk_fma_f32 v[42:43], v[44:45], v[40:41], v[38:39] op_sel_hi:[0,1,1]
	v_pk_fma_f32 v[38:39], v[44:45], v[40:41], v[38:39] neg_lo:[0,0,1] neg_hi:[0,0,1]
	v_mov_b32_e32 v39, v43
	ds_store_2addr_b64 v0, v[38:39], v[38:39] offset0:147 offset1:210
.LBB162_729:                            ;   in Loop: Header=BB162_3 Depth=1
	s_or_b32 exec_lo, exec_lo, s11
	v_dual_mov_b32 v38, 0 :: v_dual_mov_b32 v39, 0
	s_wait_dscnt 0x0
	s_barrier_signal -1
	s_barrier_wait -1
	global_wb scope:SCOPE_DEV
	s_wait_storecnt 0x0
	global_inv scope:SCOPE_DEV
	s_and_saveexec_b32 s11, s3
	s_cbranch_execz .LBB162_733
; %bb.730:                              ;   in Loop: Header=BB162_3 Depth=1
	ds_load_b64 v[38:39], v47 offset:9344
	ds_load_b64 v[40:41], v48 offset:9872
	s_wait_dscnt 0x0
	v_pk_mul_f32 v[42:43], v[40:41], v[38:39] op_sel:[1,1] op_sel_hi:[0,1]
	s_delay_alu instid0(VALU_DEP_1) | instskip(SKIP_1) | instid1(VALU_DEP_2)
	v_pk_fma_f32 v[96:97], v[40:41], v[38:39], v[42:43] op_sel_hi:[1,0,1]
	v_pk_fma_f32 v[38:39], v[40:41], v[38:39], v[42:43] neg_lo:[0,0,1] neg_hi:[0,0,1]
	v_mov_b32_e32 v39, v97
	s_delay_alu instid0(VALU_DEP_1)
	v_pk_add_f32 v[38:39], v[38:39], 0 op_sel_hi:[1,0]
	s_and_saveexec_b32 s12, s18
	s_cbranch_execz .LBB162_732
; %bb.731:                              ;   in Loop: Header=BB162_3 Depth=1
	ds_load_b64 v[40:41], v83 offset:9856
	ds_load_b64 v[42:43], v1 offset:9880
	s_wait_dscnt 0x0
	v_pk_mul_f32 v[96:97], v[42:43], v[40:41] op_sel:[1,1] op_sel_hi:[0,1]
	s_delay_alu instid0(VALU_DEP_1) | instskip(SKIP_1) | instid1(VALU_DEP_2)
	v_pk_fma_f32 v[98:99], v[42:43], v[40:41], v[96:97] op_sel_hi:[1,0,1]
	v_pk_fma_f32 v[40:41], v[42:43], v[40:41], v[96:97] neg_lo:[0,0,1] neg_hi:[0,0,1]
	v_mov_b32_e32 v41, v99
	s_delay_alu instid0(VALU_DEP_1)
	v_pk_add_f32 v[38:39], v[38:39], v[40:41]
.LBB162_732:                            ;   in Loop: Header=BB162_3 Depth=1
	s_or_b32 exec_lo, exec_lo, s12
.LBB162_733:                            ;   in Loop: Header=BB162_3 Depth=1
	s_delay_alu instid0(SALU_CYCLE_1)
	s_or_b32 exec_lo, exec_lo, s11
	s_and_saveexec_b32 s11, s92
	s_cbranch_execz .LBB162_735
; %bb.734:                              ;   in Loop: Header=BB162_3 Depth=1
	ds_load_b64 v[40:41], v1 offset:8840
	s_wait_dscnt 0x0
	v_pk_mul_f32 v[42:43], v[38:39], v[40:41] op_sel:[1,1] op_sel_hi:[1,0]
	s_delay_alu instid0(VALU_DEP_1) | instskip(SKIP_1) | instid1(VALU_DEP_2)
	v_pk_fma_f32 v[96:97], v[38:39], v[40:41], v[42:43] op_sel_hi:[0,1,1]
	v_pk_fma_f32 v[38:39], v[38:39], v[40:41], v[42:43] neg_lo:[0,0,1] neg_hi:[0,0,1]
	v_mov_b32_e32 v39, v97
	s_delay_alu instid0(VALU_DEP_1)
	v_pk_add_f32 v[40:41], v[38:39], 0 neg_lo:[1,1] neg_hi:[1,1]
	ds_store_b64 v3, v[40:41]
.LBB162_735:                            ;   in Loop: Header=BB162_3 Depth=1
	s_or_b32 exec_lo, exec_lo, s11
	s_wait_loadcnt_dscnt 0x0
	s_barrier_signal -1
	s_barrier_wait -1
	s_and_saveexec_b32 s11, s93
	s_cbranch_execz .LBB162_737
; %bb.736:                              ;   in Loop: Header=BB162_3 Depth=1
	ds_load_b64 v[40:41], v1 offset:8832
	ds_load_b64 v[42:43], v3
	s_wait_dscnt 0x0
	v_pk_mul_f32 v[96:97], v[42:43], v[40:41] op_sel:[1,1] op_sel_hi:[0,1]
	s_delay_alu instid0(VALU_DEP_1) | instskip(SKIP_1) | instid1(VALU_DEP_2)
	v_pk_fma_f32 v[98:99], v[42:43], v[40:41], v[96:97] op_sel_hi:[1,0,1]
	v_pk_fma_f32 v[40:41], v[42:43], v[40:41], v[96:97] neg_lo:[0,0,1] neg_hi:[0,0,1]
	v_mov_b32_e32 v41, v99
	s_delay_alu instid0(VALU_DEP_1)
	v_pk_add_f32 v[38:39], v[38:39], v[40:41] neg_lo:[0,1] neg_hi:[0,1]
.LBB162_737:                            ;   in Loop: Header=BB162_3 Depth=1
	s_or_b32 exec_lo, exec_lo, s11
	s_barrier_signal -1
	s_barrier_wait -1
	s_and_saveexec_b32 s11, s93
	s_cbranch_execz .LBB162_739
; %bb.738:                              ;   in Loop: Header=BB162_3 Depth=1
	ds_load_b64 v[40:41], v1 offset:8320
	s_wait_dscnt 0x0
	v_pk_mul_f32 v[42:43], v[38:39], v[40:41] op_sel:[1,1] op_sel_hi:[1,0]
	s_delay_alu instid0(VALU_DEP_1) | instskip(SKIP_1) | instid1(VALU_DEP_2)
	v_pk_fma_f32 v[96:97], v[38:39], v[40:41], v[42:43] op_sel_hi:[0,1,1]
	v_pk_fma_f32 v[38:39], v[38:39], v[40:41], v[42:43] neg_lo:[0,0,1] neg_hi:[0,0,1]
	v_mov_b32_e32 v39, v97
	s_delay_alu instid0(VALU_DEP_1)
	v_pk_add_f32 v[40:41], v[38:39], 0 neg_lo:[1,1] neg_hi:[1,1]
	ds_store_b64 v3, v[40:41]
.LBB162_739:                            ;   in Loop: Header=BB162_3 Depth=1
	s_or_b32 exec_lo, exec_lo, s11
	s_wait_dscnt 0x0
	s_barrier_signal -1
	s_barrier_wait -1
	s_barrier_signal -1
	s_barrier_wait -1
	s_and_saveexec_b32 s11, s3
; %bb.740:                              ;   in Loop: Header=BB162_3 Depth=1
	ds_store_b64 v50, v[38:39] offset:9856
; %bb.741:                              ;   in Loop: Header=BB162_3 Depth=1
	s_or_b32 exec_lo, exec_lo, s11
	s_wait_dscnt 0x0
	s_barrier_signal -1
	s_barrier_wait -1
	s_barrier_signal -1
	s_barrier_wait -1
	s_and_saveexec_b32 s11, s94
	s_cbranch_execz .LBB162_743
; %bb.742:                              ;   in Loop: Header=BB162_3 Depth=1
	ds_load_b64 v[38:39], v84 offset:9344
	s_wait_dscnt 0x0
	ds_store_b64 v83, v[38:39] offset:8336
	ds_load_b64 v[38:39], v84 offset:9352
	s_wait_dscnt 0x0
	ds_store_b64 v83, v[38:39] offset:8848
.LBB162_743:                            ;   in Loop: Header=BB162_3 Depth=1
	s_or_b32 exec_lo, exec_lo, s11
	s_wait_dscnt 0x0
	s_barrier_signal -1
	s_barrier_wait -1
	s_and_saveexec_b32 s11, s14
	s_cbranch_execz .LBB162_745
; %bb.744:                              ;   in Loop: Header=BB162_3 Depth=1
	v_add_nc_u32_e64 v0, 0x80, 0
	ds_load_b64 v[42:43], v1 offset:8840
	ds_load_2addr_stride64_b64 v[38:41], v0 offset0:16 offset1:17
	s_wait_dscnt 0x0
	v_dual_mul_f32 v44, v43, v39 :: v_dual_mul_f32 v0, v42, v39
	s_delay_alu instid0(VALU_DEP_1) | instskip(NEXT) | instid1(VALU_DEP_2)
	v_xor_b32_e32 v44, 0x80000000, v44
	v_fmac_f32_e32 v0, v43, v38
	s_delay_alu instid0(VALU_DEP_2) | instskip(NEXT) | instid1(VALU_DEP_2)
	v_fmac_f32_e32 v44, v42, v38
	v_pk_mul_f32 v[38:39], v[0:1], v[40:41] op_sel:[0,1] op_sel_hi:[0,0]
	v_add_nc_u32_e64 v0, 0x2000, 0
	s_delay_alu instid0(VALU_DEP_2) | instskip(SKIP_1) | instid1(VALU_DEP_2)
	v_pk_fma_f32 v[42:43], v[44:45], v[40:41], v[38:39] op_sel_hi:[0,1,1]
	v_pk_fma_f32 v[38:39], v[44:45], v[40:41], v[38:39] neg_lo:[0,0,1] neg_hi:[0,0,1]
	v_mov_b32_e32 v39, v43
	ds_store_2addr_b64 v0, v[38:39], v[38:39] offset0:17 offset1:80
.LBB162_745:                            ;   in Loop: Header=BB162_3 Depth=1
	s_or_b32 exec_lo, exec_lo, s11
	v_mov_b64_e32 v[38:39], 0
	s_wait_dscnt 0x0
	s_barrier_signal -1
	s_barrier_wait -1
	global_wb scope:SCOPE_DEV
	s_wait_storecnt 0x0
	global_inv scope:SCOPE_DEV
	s_and_saveexec_b32 s65, s7
	s_cbranch_execz .LBB162_773
; %bb.746:                              ;   in Loop: Header=BB162_3 Depth=1
	ds_load_b64 v[38:39], v64 offset:8192
	ds_load_b64 v[40:41], v65 offset:16000
	s_wait_dscnt 0x0
	v_dual_mul_f32 v0, v41, v39 :: v_dual_mul_f32 v39, v40, v39
	s_delay_alu instid0(VALU_DEP_1) | instskip(NEXT) | instid1(VALU_DEP_1)
	v_dual_fma_f32 v0, v40, v38, -v0 :: v_dual_fmac_f32 v39, v41, v38
	v_dual_add_f32 v38, 0, v0 :: v_dual_add_f32 v39, 0, v39
	s_mov_b32 s11, exec_lo
	v_readlane_b32 s12, v105, 29
	s_and_b32 s12, s11, s12
	s_delay_alu instid0(SALU_CYCLE_1)
	s_mov_b32 exec_lo, s12
	s_cbranch_execz .LBB162_748
; %bb.747:                              ;   in Loop: Header=BB162_3 Depth=1
	ds_load_b64 v[40:41], v64 offset:8704
	ds_load_b64 v[42:43], v65 offset:16008
	s_wait_dscnt 0x0
	v_dual_mul_f32 v0, v43, v41 :: v_dual_mul_f32 v41, v42, v41
	s_delay_alu instid0(VALU_DEP_1) | instskip(NEXT) | instid1(VALU_DEP_1)
	v_dual_fma_f32 v0, v42, v40, -v0 :: v_dual_fmac_f32 v41, v43, v40
	v_dual_add_f32 v38, v38, v0 :: v_dual_add_f32 v39, v39, v41
.LBB162_748:                            ;   in Loop: Header=BB162_3 Depth=1
	s_or_b32 exec_lo, exec_lo, s11
	s_delay_alu instid0(SALU_CYCLE_1) | instskip(SKIP_2) | instid1(SALU_CYCLE_1)
	s_mov_b32 s11, exec_lo
	v_readlane_b32 s12, v105, 30
	s_and_b32 s12, s11, s12
	s_mov_b32 exec_lo, s12
	s_cbranch_execz .LBB162_750
; %bb.749:                              ;   in Loop: Header=BB162_3 Depth=1
	ds_load_b64 v[40:41], v64 offset:9216
	ds_load_b64 v[42:43], v65 offset:16016
	s_wait_dscnt 0x0
	v_dual_mul_f32 v0, v43, v41 :: v_dual_mul_f32 v41, v42, v41
	s_delay_alu instid0(VALU_DEP_1) | instskip(NEXT) | instid1(VALU_DEP_1)
	v_dual_fma_f32 v0, v42, v40, -v0 :: v_dual_fmac_f32 v41, v43, v40
	v_dual_add_f32 v38, v38, v0 :: v_dual_add_f32 v39, v39, v41
.LBB162_750:                            ;   in Loop: Header=BB162_3 Depth=1
	s_or_b32 exec_lo, exec_lo, s11
	s_delay_alu instid0(SALU_CYCLE_1) | instskip(SKIP_2) | instid1(SALU_CYCLE_1)
	s_mov_b32 s11, exec_lo
	v_readlane_b32 s12, v105, 31
	s_and_b32 s12, s11, s12
	;; [unrolled: 16-line block ×10, first 2 shown]
	s_mov_b32 exec_lo, s12
	s_cbranch_execnz .LBB162_1160
; %bb.767:                              ;   in Loop: Header=BB162_3 Depth=1
	s_or_b32 exec_lo, exec_lo, s11
	s_and_saveexec_b32 s11, s6
	s_cbranch_execnz .LBB162_1161
.LBB162_768:                            ;   in Loop: Header=BB162_3 Depth=1
	s_or_b32 exec_lo, exec_lo, s11
	s_and_saveexec_b32 s11, s22
	s_cbranch_execnz .LBB162_1162
.LBB162_769:                            ;   in Loop: Header=BB162_3 Depth=1
	s_or_b32 exec_lo, exec_lo, s11
	s_and_saveexec_b32 s11, s24
	s_cbranch_execnz .LBB162_1163
.LBB162_770:                            ;   in Loop: Header=BB162_3 Depth=1
	s_or_b32 exec_lo, exec_lo, s11
	s_and_saveexec_b32 s11, s5
	s_cbranch_execz .LBB162_772
.LBB162_771:                            ;   in Loop: Header=BB162_3 Depth=1
	ds_load_b64 v[40:41], v49 offset:15872
	ds_load_b64 v[42:43], v1 offset:16120
	s_wait_dscnt 0x0
	v_dual_mul_f32 v0, v43, v41 :: v_dual_mul_f32 v97, v42, v41
	s_delay_alu instid0(VALU_DEP_1) | instskip(NEXT) | instid1(VALU_DEP_1)
	v_dual_fma_f32 v96, v42, v40, -v0 :: v_dual_fmac_f32 v97, v43, v40
	v_pk_add_f32 v[38:39], v[38:39], v[96:97]
.LBB162_772:                            ;   in Loop: Header=BB162_3 Depth=1
	s_or_b32 exec_lo, exec_lo, s11
.LBB162_773:                            ;   in Loop: Header=BB162_3 Depth=1
	s_delay_alu instid0(SALU_CYCLE_1) | instskip(NEXT) | instid1(SALU_CYCLE_1)
	s_or_b32 exec_lo, exec_lo, s65
	s_mov_b32 s11, exec_lo
	v_readlane_b32 s12, v105, 1
	s_and_b32 s12, s11, s12
	s_delay_alu instid0(SALU_CYCLE_1)
	s_mov_b32 exec_lo, s12
	s_cbranch_execz .LBB162_775
; %bb.774:                              ;   in Loop: Header=BB162_3 Depth=1
	ds_load_b64 v[40:41], v1 offset:7800
	s_wait_dscnt 0x0
	v_pk_mul_f32 v[42:43], v[38:39], v[40:41] op_sel:[1,1] op_sel_hi:[1,0]
	s_delay_alu instid0(VALU_DEP_1) | instskip(SKIP_1) | instid1(VALU_DEP_2)
	v_pk_fma_f32 v[96:97], v[38:39], v[40:41], v[42:43] op_sel_hi:[0,1,1]
	v_pk_fma_f32 v[38:39], v[38:39], v[40:41], v[42:43] neg_lo:[0,0,1] neg_hi:[0,0,1]
	v_mov_b32_e32 v39, v97
	s_delay_alu instid0(VALU_DEP_1)
	v_pk_add_f32 v[40:41], v[38:39], 0 neg_lo:[1,1] neg_hi:[1,1]
	ds_store_b64 v63, v[40:41]
.LBB162_775:                            ;   in Loop: Header=BB162_3 Depth=1
	s_or_b32 exec_lo, exec_lo, s11
	s_wait_loadcnt_dscnt 0x0
	s_barrier_signal -1
	s_barrier_wait -1
	s_mov_b32 s11, exec_lo
	v_readlane_b32 s12, v105, 2
	s_and_b32 s12, s11, s12
	s_delay_alu instid0(SALU_CYCLE_1)
	s_mov_b32 exec_lo, s12
	s_cbranch_execz .LBB162_777
; %bb.776:                              ;   in Loop: Header=BB162_3 Depth=1
	ds_load_b64 v[40:41], v64 offset:7680
	ds_load_b64 v[42:43], v63
	s_wait_dscnt 0x0
	v_pk_mul_f32 v[96:97], v[42:43], v[40:41] op_sel:[1,1] op_sel_hi:[0,1]
	s_delay_alu instid0(VALU_DEP_1) | instskip(SKIP_1) | instid1(VALU_DEP_2)
	v_pk_fma_f32 v[98:99], v[42:43], v[40:41], v[96:97] op_sel_hi:[1,0,1]
	v_pk_fma_f32 v[40:41], v[42:43], v[40:41], v[96:97] neg_lo:[0,0,1] neg_hi:[0,0,1]
	v_mov_b32_e32 v41, v99
	s_delay_alu instid0(VALU_DEP_1)
	v_pk_add_f32 v[38:39], v[38:39], v[40:41] neg_lo:[0,1] neg_hi:[0,1]
.LBB162_777:                            ;   in Loop: Header=BB162_3 Depth=1
	s_or_b32 exec_lo, exec_lo, s11
	s_barrier_signal -1
	s_barrier_wait -1
	s_mov_b32 s11, exec_lo
	v_readlane_b32 s12, v105, 3
	s_and_b32 s12, s11, s12
	s_delay_alu instid0(SALU_CYCLE_1)
	s_mov_b32 exec_lo, s12
	s_cbranch_execz .LBB162_779
; %bb.778:                              ;   in Loop: Header=BB162_3 Depth=1
	ds_load_b64 v[40:41], v1 offset:7280
	s_wait_dscnt 0x0
	v_pk_mul_f32 v[42:43], v[38:39], v[40:41] op_sel:[1,1] op_sel_hi:[1,0]
	s_delay_alu instid0(VALU_DEP_1) | instskip(SKIP_1) | instid1(VALU_DEP_2)
	v_pk_fma_f32 v[96:97], v[38:39], v[40:41], v[42:43] op_sel_hi:[0,1,1]
	v_pk_fma_f32 v[38:39], v[38:39], v[40:41], v[42:43] neg_lo:[0,0,1] neg_hi:[0,0,1]
	v_mov_b32_e32 v39, v97
	s_delay_alu instid0(VALU_DEP_1)
	v_pk_add_f32 v[40:41], v[38:39], 0 neg_lo:[1,1] neg_hi:[1,1]
	ds_store_b64 v63, v[40:41]
.LBB162_779:                            ;   in Loop: Header=BB162_3 Depth=1
	s_or_b32 exec_lo, exec_lo, s11
	s_wait_dscnt 0x0
	s_barrier_signal -1
	s_barrier_wait -1
	s_and_saveexec_b32 s11, s54
	s_cbranch_execz .LBB162_781
; %bb.780:                              ;   in Loop: Header=BB162_3 Depth=1
	ds_load_b64 v[40:41], v64 offset:7168
	ds_load_b64 v[42:43], v63
	s_wait_dscnt 0x0
	v_pk_mul_f32 v[96:97], v[42:43], v[40:41] op_sel:[1,1] op_sel_hi:[0,1]
	s_delay_alu instid0(VALU_DEP_1) | instskip(SKIP_1) | instid1(VALU_DEP_2)
	v_pk_fma_f32 v[98:99], v[42:43], v[40:41], v[96:97] op_sel_hi:[1,0,1]
	v_pk_fma_f32 v[40:41], v[42:43], v[40:41], v[96:97] neg_lo:[0,0,1] neg_hi:[0,0,1]
	v_mov_b32_e32 v41, v99
	s_delay_alu instid0(VALU_DEP_1)
	v_pk_add_f32 v[38:39], v[38:39], v[40:41] neg_lo:[0,1] neg_hi:[0,1]
.LBB162_781:                            ;   in Loop: Header=BB162_3 Depth=1
	s_or_b32 exec_lo, exec_lo, s11
	s_barrier_signal -1
	s_barrier_wait -1
	s_and_saveexec_b32 s11, s55
	s_cbranch_execz .LBB162_783
; %bb.782:                              ;   in Loop: Header=BB162_3 Depth=1
	ds_load_b64 v[40:41], v1 offset:6760
	s_wait_dscnt 0x0
	v_pk_mul_f32 v[42:43], v[38:39], v[40:41] op_sel:[1,1] op_sel_hi:[1,0]
	s_delay_alu instid0(VALU_DEP_1) | instskip(SKIP_1) | instid1(VALU_DEP_2)
	v_pk_fma_f32 v[96:97], v[38:39], v[40:41], v[42:43] op_sel_hi:[0,1,1]
	v_pk_fma_f32 v[38:39], v[38:39], v[40:41], v[42:43] neg_lo:[0,0,1] neg_hi:[0,0,1]
	v_mov_b32_e32 v39, v97
	s_delay_alu instid0(VALU_DEP_1)
	v_pk_add_f32 v[40:41], v[38:39], 0 neg_lo:[1,1] neg_hi:[1,1]
	ds_store_b64 v63, v[40:41]
.LBB162_783:                            ;   in Loop: Header=BB162_3 Depth=1
	s_or_b32 exec_lo, exec_lo, s11
	s_wait_dscnt 0x0
	s_barrier_signal -1
	s_barrier_wait -1
	s_and_saveexec_b32 s11, s56
	s_cbranch_execz .LBB162_785
; %bb.784:                              ;   in Loop: Header=BB162_3 Depth=1
	ds_load_b64 v[40:41], v64 offset:6656
	ds_load_b64 v[42:43], v63
	s_wait_dscnt 0x0
	v_pk_mul_f32 v[96:97], v[42:43], v[40:41] op_sel:[1,1] op_sel_hi:[0,1]
	s_delay_alu instid0(VALU_DEP_1) | instskip(SKIP_1) | instid1(VALU_DEP_2)
	v_pk_fma_f32 v[98:99], v[42:43], v[40:41], v[96:97] op_sel_hi:[1,0,1]
	v_pk_fma_f32 v[40:41], v[42:43], v[40:41], v[96:97] neg_lo:[0,0,1] neg_hi:[0,0,1]
	v_mov_b32_e32 v41, v99
	s_delay_alu instid0(VALU_DEP_1)
	v_pk_add_f32 v[38:39], v[38:39], v[40:41] neg_lo:[0,1] neg_hi:[0,1]
.LBB162_785:                            ;   in Loop: Header=BB162_3 Depth=1
	s_or_b32 exec_lo, exec_lo, s11
	s_delay_alu instid0(VALU_DEP_1)
	v_dual_mov_b32 v40, v39 :: v_dual_mov_b32 v41, v38
	s_barrier_signal -1
	s_barrier_wait -1
	s_and_saveexec_b32 s11, s57
	s_cbranch_execz .LBB162_787
; %bb.786:                              ;   in Loop: Header=BB162_3 Depth=1
	ds_load_b64 v[42:43], v1 offset:6240
	s_wait_dscnt 0x0
	v_dual_mul_f32 v0, v41, v43 :: v_dual_mul_f32 v44, v39, v43
	s_delay_alu instid0(VALU_DEP_1) | instskip(NEXT) | instid1(VALU_DEP_2)
	v_pk_fma_f32 v[40:41], v[40:41], v[42:43], v[0:1] op_sel_hi:[1,1,0]
	v_pk_fma_f32 v[38:39], v[38:39], v[42:43], v[44:45] op_sel_hi:[1,1,0] neg_lo:[0,0,1] neg_hi:[0,0,1]
	s_delay_alu instid0(VALU_DEP_1) | instskip(NEXT) | instid1(VALU_DEP_1)
	v_dual_mov_b32 v39, v40 :: v_dual_mov_b32 v41, v38
	v_pk_add_f32 v[42:43], v[38:39], 0 neg_lo:[1,1] neg_hi:[1,1]
	ds_store_b64 v63, v[42:43]
.LBB162_787:                            ;   in Loop: Header=BB162_3 Depth=1
	s_or_b32 exec_lo, exec_lo, s11
	s_wait_dscnt 0x0
	s_barrier_signal -1
	s_barrier_wait -1
	s_and_saveexec_b32 s11, s58
	s_cbranch_execz .LBB162_789
; %bb.788:                              ;   in Loop: Header=BB162_3 Depth=1
	ds_load_b64 v[38:39], v64 offset:6144
	ds_load_b64 v[42:43], v63
	s_wait_dscnt 0x0
	v_dual_mul_f32 v0, v43, v39 :: v_dual_mul_f32 v96, v42, v39
	s_delay_alu instid0(VALU_DEP_1) | instskip(NEXT) | instid1(VALU_DEP_2)
	v_fma_f32 v97, v42, v38, -v0
	v_fmac_f32_e32 v96, v43, v38
	s_delay_alu instid0(VALU_DEP_1)
	v_pk_add_f32 v[40:41], v[40:41], v[96:97] neg_lo:[0,1] neg_hi:[0,1]
.LBB162_789:                            ;   in Loop: Header=BB162_3 Depth=1
	s_or_b32 exec_lo, exec_lo, s11
	s_barrier_signal -1
	s_barrier_wait -1
	s_and_saveexec_b32 s11, s59
	s_cbranch_execz .LBB162_791
; %bb.790:                              ;   in Loop: Header=BB162_3 Depth=1
	ds_load_b64 v[38:39], v1 offset:5720
	s_wait_dscnt 0x0
	v_pk_mul_f32 v[42:43], v[40:41], v[38:39] op_sel_hi:[0,1]
	s_delay_alu instid0(VALU_DEP_1) | instskip(SKIP_1) | instid1(VALU_DEP_2)
	v_pk_fma_f32 v[96:97], v[40:41], v[38:39], v[42:43] op_sel:[1,1,0] op_sel_hi:[1,0,1] neg_lo:[0,0,1] neg_hi:[0,0,1]
	v_pk_fma_f32 v[40:41], v[40:41], v[38:39], v[42:43] op_sel:[1,1,0] op_sel_hi:[1,0,1]
	v_mov_b32_e32 v41, v97
	s_delay_alu instid0(VALU_DEP_2)
	v_xor_b32_e32 v39, 0x80000000, v40
	v_xor_b32_e32 v38, 0x80000000, v97
	ds_store_b64 v63, v[38:39]
.LBB162_791:                            ;   in Loop: Header=BB162_3 Depth=1
	s_or_b32 exec_lo, exec_lo, s11
	s_wait_dscnt 0x0
	s_barrier_signal -1
	s_barrier_wait -1
	s_and_saveexec_b32 s11, s60
	s_cbranch_execz .LBB162_793
; %bb.792:                              ;   in Loop: Header=BB162_3 Depth=1
	ds_load_b64 v[38:39], v64 offset:5632
	ds_load_b64 v[42:43], v63
	s_wait_dscnt 0x0
	v_pk_mul_f32 v[96:97], v[42:43], v[38:39] op_sel:[0,1]
	s_delay_alu instid0(VALU_DEP_1) | instskip(SKIP_1) | instid1(VALU_DEP_2)
	v_pk_fma_f32 v[98:99], v[42:43], v[38:39], v[96:97] op_sel:[1,0,0] op_sel_hi:[0,0,1] neg_lo:[0,0,1] neg_hi:[0,0,1]
	v_pk_fma_f32 v[38:39], v[42:43], v[38:39], v[96:97] op_sel:[1,0,0] op_sel_hi:[0,1,1]
	v_mov_b32_e32 v39, v99
	s_delay_alu instid0(VALU_DEP_1)
	v_pk_add_f32 v[40:41], v[40:41], v[38:39] neg_lo:[0,1] neg_hi:[0,1]
.LBB162_793:                            ;   in Loop: Header=BB162_3 Depth=1
	s_or_b32 exec_lo, exec_lo, s11
	s_barrier_signal -1
	s_barrier_wait -1
	s_and_saveexec_b32 s11, s61
	s_cbranch_execz .LBB162_795
; %bb.794:                              ;   in Loop: Header=BB162_3 Depth=1
	ds_load_b64 v[38:39], v1 offset:5200
	s_wait_dscnt 0x0
	v_pk_mul_f32 v[42:43], v[40:41], v[38:39] op_sel_hi:[0,1]
	s_delay_alu instid0(VALU_DEP_1) | instskip(SKIP_1) | instid1(VALU_DEP_2)
	v_pk_fma_f32 v[96:97], v[40:41], v[38:39], v[42:43] op_sel:[1,1,0] op_sel_hi:[1,0,1] neg_lo:[0,0,1] neg_hi:[0,0,1]
	v_pk_fma_f32 v[40:41], v[40:41], v[38:39], v[42:43] op_sel:[1,1,0] op_sel_hi:[1,0,1]
	v_mov_b32_e32 v41, v97
	s_delay_alu instid0(VALU_DEP_2)
	v_xor_b32_e32 v39, 0x80000000, v40
	v_xor_b32_e32 v38, 0x80000000, v97
	ds_store_b64 v63, v[38:39]
.LBB162_795:                            ;   in Loop: Header=BB162_3 Depth=1
	s_or_b32 exec_lo, exec_lo, s11
	s_wait_dscnt 0x0
	s_barrier_signal -1
	s_barrier_wait -1
	s_and_saveexec_b32 s11, s62
	s_cbranch_execz .LBB162_797
; %bb.796:                              ;   in Loop: Header=BB162_3 Depth=1
	ds_load_b64 v[38:39], v64 offset:5120
	ds_load_b64 v[42:43], v63
	s_wait_dscnt 0x0
	v_pk_mul_f32 v[96:97], v[42:43], v[38:39] op_sel:[0,1]
	s_delay_alu instid0(VALU_DEP_1) | instskip(SKIP_1) | instid1(VALU_DEP_2)
	v_pk_fma_f32 v[98:99], v[42:43], v[38:39], v[96:97] op_sel:[1,0,0] op_sel_hi:[0,0,1] neg_lo:[0,0,1] neg_hi:[0,0,1]
	v_pk_fma_f32 v[38:39], v[42:43], v[38:39], v[96:97] op_sel:[1,0,0] op_sel_hi:[0,1,1]
	v_mov_b32_e32 v39, v99
	s_delay_alu instid0(VALU_DEP_1)
	v_pk_add_f32 v[40:41], v[40:41], v[38:39] neg_lo:[0,1] neg_hi:[0,1]
.LBB162_797:                            ;   in Loop: Header=BB162_3 Depth=1
	;; [unrolled: 36-line block ×3, first 2 shown]
	s_or_b32 exec_lo, exec_lo, s11
	s_delay_alu instid0(VALU_DEP_1)
	v_dual_mov_b32 v38, v41 :: v_dual_mov_b32 v39, v40
	s_barrier_signal -1
	s_barrier_wait -1
	s_and_saveexec_b32 s11, s13
	s_cbranch_execz .LBB162_803
; %bb.802:                              ;   in Loop: Header=BB162_3 Depth=1
	ds_load_b64 v[42:43], v1 offset:4160
	s_wait_dscnt 0x0
	v_dual_mul_f32 v0, v40, v42 :: v_dual_mul_f32 v44, v39, v43
	s_delay_alu instid0(VALU_DEP_1) | instskip(NEXT) | instid1(VALU_DEP_2)
	v_pk_fma_f32 v[40:41], v[40:41], v[42:43], v[0:1] op_sel_hi:[1,1,0]
	v_pk_fma_f32 v[38:39], v[38:39], v[42:43], v[44:45] op_sel_hi:[1,1,0] neg_lo:[0,0,1] neg_hi:[0,0,1]
	s_delay_alu instid0(VALU_DEP_2) | instskip(NEXT) | instid1(VALU_DEP_1)
	v_mov_b32_e32 v39, v41
	v_pk_add_f32 v[40:41], v[38:39], 0 neg_lo:[1,1] neg_hi:[1,1]
	ds_store_b64 v63, v[40:41]
.LBB162_803:                            ;   in Loop: Header=BB162_3 Depth=1
	s_or_b32 exec_lo, exec_lo, s11
	s_wait_dscnt 0x0
	s_barrier_signal -1
	s_barrier_wait -1
	s_and_saveexec_b32 s11, s26
	s_cbranch_execz .LBB162_805
; %bb.804:                              ;   in Loop: Header=BB162_3 Depth=1
	ds_load_b64 v[40:41], v64 offset:4096
	ds_load_b64 v[42:43], v63
	s_wait_dscnt 0x0
	v_dual_mul_f32 v0, v43, v41 :: v_dual_mul_f32 v97, v42, v41
	s_delay_alu instid0(VALU_DEP_1) | instskip(NEXT) | instid1(VALU_DEP_1)
	v_dual_fma_f32 v96, v42, v40, -v0 :: v_dual_fmac_f32 v97, v43, v40
	v_pk_add_f32 v[38:39], v[38:39], v[96:97] neg_lo:[0,1] neg_hi:[0,1]
.LBB162_805:                            ;   in Loop: Header=BB162_3 Depth=1
	s_or_b32 exec_lo, exec_lo, s11
	s_barrier_signal -1
	s_barrier_wait -1
	s_and_saveexec_b32 s11, s28
	s_cbranch_execz .LBB162_807
; %bb.806:                              ;   in Loop: Header=BB162_3 Depth=1
	ds_load_b64 v[40:41], v1 offset:3640
	s_wait_dscnt 0x0
	v_pk_mul_f32 v[42:43], v[38:39], v[40:41] op_sel:[1,1] op_sel_hi:[1,0]
	s_delay_alu instid0(VALU_DEP_1) | instskip(SKIP_1) | instid1(VALU_DEP_2)
	v_pk_fma_f32 v[96:97], v[38:39], v[40:41], v[42:43] op_sel_hi:[0,1,1]
	v_pk_fma_f32 v[38:39], v[38:39], v[40:41], v[42:43] neg_lo:[0,0,1] neg_hi:[0,0,1]
	v_mov_b32_e32 v39, v97
	s_delay_alu instid0(VALU_DEP_1)
	v_pk_add_f32 v[40:41], v[38:39], 0 neg_lo:[1,1] neg_hi:[1,1]
	ds_store_b64 v63, v[40:41]
.LBB162_807:                            ;   in Loop: Header=BB162_3 Depth=1
	s_or_b32 exec_lo, exec_lo, s11
	s_wait_dscnt 0x0
	s_barrier_signal -1
	s_barrier_wait -1
	s_and_saveexec_b32 s11, s30
	s_cbranch_execz .LBB162_809
; %bb.808:                              ;   in Loop: Header=BB162_3 Depth=1
	ds_load_b64 v[40:41], v64 offset:3584
	ds_load_b64 v[42:43], v63
	s_wait_dscnt 0x0
	v_pk_mul_f32 v[96:97], v[42:43], v[40:41] op_sel:[1,1] op_sel_hi:[0,1]
	s_delay_alu instid0(VALU_DEP_1) | instskip(SKIP_1) | instid1(VALU_DEP_2)
	v_pk_fma_f32 v[98:99], v[42:43], v[40:41], v[96:97] op_sel_hi:[1,0,1]
	v_pk_fma_f32 v[40:41], v[42:43], v[40:41], v[96:97] neg_lo:[0,0,1] neg_hi:[0,0,1]
	v_mov_b32_e32 v41, v99
	s_delay_alu instid0(VALU_DEP_1)
	v_pk_add_f32 v[38:39], v[38:39], v[40:41] neg_lo:[0,1] neg_hi:[0,1]
.LBB162_809:                            ;   in Loop: Header=BB162_3 Depth=1
	s_or_b32 exec_lo, exec_lo, s11
	s_barrier_signal -1
	s_barrier_wait -1
	s_and_saveexec_b32 s11, s33
	s_cbranch_execz .LBB162_811
; %bb.810:                              ;   in Loop: Header=BB162_3 Depth=1
	ds_load_b64 v[40:41], v1 offset:3120
	s_wait_dscnt 0x0
	v_pk_mul_f32 v[42:43], v[38:39], v[40:41] op_sel:[1,1] op_sel_hi:[1,0]
	s_delay_alu instid0(VALU_DEP_1) | instskip(SKIP_1) | instid1(VALU_DEP_2)
	v_pk_fma_f32 v[96:97], v[38:39], v[40:41], v[42:43] op_sel_hi:[0,1,1]
	v_pk_fma_f32 v[38:39], v[38:39], v[40:41], v[42:43] neg_lo:[0,0,1] neg_hi:[0,0,1]
	v_mov_b32_e32 v39, v97
	s_delay_alu instid0(VALU_DEP_1)
	v_pk_add_f32 v[40:41], v[38:39], 0 neg_lo:[1,1] neg_hi:[1,1]
	ds_store_b64 v63, v[40:41]
.LBB162_811:                            ;   in Loop: Header=BB162_3 Depth=1
	s_or_b32 exec_lo, exec_lo, s11
	s_wait_dscnt 0x0
	s_barrier_signal -1
	s_barrier_wait -1
	s_and_saveexec_b32 s11, s35
	s_cbranch_execz .LBB162_813
; %bb.812:                              ;   in Loop: Header=BB162_3 Depth=1
	ds_load_b64 v[40:41], v64 offset:3072
	ds_load_b64 v[42:43], v63
	s_wait_dscnt 0x0
	v_pk_mul_f32 v[96:97], v[42:43], v[40:41] op_sel:[1,1] op_sel_hi:[0,1]
	s_delay_alu instid0(VALU_DEP_1) | instskip(SKIP_1) | instid1(VALU_DEP_2)
	v_pk_fma_f32 v[98:99], v[42:43], v[40:41], v[96:97] op_sel_hi:[1,0,1]
	v_pk_fma_f32 v[40:41], v[42:43], v[40:41], v[96:97] neg_lo:[0,0,1] neg_hi:[0,0,1]
	v_mov_b32_e32 v41, v99
	s_delay_alu instid0(VALU_DEP_1)
	v_pk_add_f32 v[38:39], v[38:39], v[40:41] neg_lo:[0,1] neg_hi:[0,1]
.LBB162_813:                            ;   in Loop: Header=BB162_3 Depth=1
	;; [unrolled: 35-line block ×3, first 2 shown]
	s_or_b32 exec_lo, exec_lo, s11
	s_barrier_signal -1
	s_barrier_wait -1
	s_and_saveexec_b32 s11, s83
	s_cbranch_execz .LBB162_819
; %bb.818:                              ;   in Loop: Header=BB162_3 Depth=1
	ds_load_b64 v[40:41], v1 offset:2080
	s_wait_dscnt 0x0
	v_pk_mul_f32 v[42:43], v[38:39], v[40:41]
	v_pk_mul_f32 v[38:39], v[38:39], v[40:41] op_sel:[1,0] op_sel_hi:[0,1]
	s_delay_alu instid0(VALU_DEP_1) | instskip(NEXT) | instid1(VALU_DEP_3)
	v_dual_mov_b32 v40, v42 :: v_dual_mov_b32 v41, v38
	v_mov_b32_e32 v38, v43
	s_delay_alu instid0(VALU_DEP_1) | instskip(SKIP_1) | instid1(VALU_DEP_2)
	v_pk_add_f32 v[42:43], v[40:41], v[38:39]
	v_pk_add_f32 v[38:39], v[40:41], v[38:39] neg_lo:[0,1] neg_hi:[0,1]
	v_mov_b32_e32 v39, v43
	s_delay_alu instid0(VALU_DEP_1)
	v_pk_add_f32 v[40:41], v[38:39], 0 neg_lo:[1,1] neg_hi:[1,1]
	ds_store_b64 v63, v[40:41]
.LBB162_819:                            ;   in Loop: Header=BB162_3 Depth=1
	s_or_b32 exec_lo, exec_lo, s11
	s_wait_dscnt 0x0
	s_barrier_signal -1
	s_barrier_wait -1
	s_and_saveexec_b32 s11, s76
	s_cbranch_execz .LBB162_821
; %bb.820:                              ;   in Loop: Header=BB162_3 Depth=1
	ds_load_b64 v[40:41], v64 offset:2048
	ds_load_b64 v[42:43], v63
	s_wait_dscnt 0x0
	v_dual_mul_f32 v0, v43, v41 :: v_dual_mul_f32 v41, v42, v41
	s_delay_alu instid0(VALU_DEP_1) | instskip(NEXT) | instid1(VALU_DEP_1)
	v_dual_fma_f32 v0, v42, v40, -v0 :: v_dual_fmac_f32 v41, v43, v40
	v_dual_sub_f32 v38, v38, v0 :: v_dual_sub_f32 v39, v39, v41
.LBB162_821:                            ;   in Loop: Header=BB162_3 Depth=1
	s_or_b32 exec_lo, exec_lo, s11
	s_barrier_signal -1
	s_barrier_wait -1
	s_and_saveexec_b32 s11, s77
	s_cbranch_execz .LBB162_823
; %bb.822:                              ;   in Loop: Header=BB162_3 Depth=1
	ds_load_b64 v[40:41], v1 offset:1560
	s_wait_dscnt 0x0
	v_dual_mul_f32 v0, v39, v40 :: v_dual_mul_f32 v42, v39, v41
	s_delay_alu instid0(VALU_DEP_1) | instskip(NEXT) | instid1(VALU_DEP_2)
	v_pk_fma_f32 v[96:97], v[38:39], v[40:41], v[0:1] op_sel:[1,0,0] op_sel_hi:[0,1,0]
	v_pk_fma_f32 v[38:39], v[38:39], v[40:41], v[42:43] op_sel_hi:[1,1,0] neg_lo:[0,0,1] neg_hi:[0,0,1]
	s_delay_alu instid0(VALU_DEP_2) | instskip(NEXT) | instid1(VALU_DEP_1)
	v_mov_b32_e32 v39, v97
	v_pk_add_f32 v[40:41], v[38:39], 0 neg_lo:[1,1] neg_hi:[1,1]
	ds_store_b64 v63, v[40:41]
.LBB162_823:                            ;   in Loop: Header=BB162_3 Depth=1
	s_or_b32 exec_lo, exec_lo, s11
	s_wait_dscnt 0x0
	s_barrier_signal -1
	s_barrier_wait -1
	s_and_saveexec_b32 s11, s27
	s_cbranch_execz .LBB162_825
; %bb.824:                              ;   in Loop: Header=BB162_3 Depth=1
	ds_load_b64 v[40:41], v64 offset:1536
	ds_load_b64 v[42:43], v63
	s_wait_dscnt 0x0
	v_pk_mul_f32 v[96:97], v[42:43], v[40:41] op_sel:[1,1] op_sel_hi:[0,1]
	s_delay_alu instid0(VALU_DEP_1) | instskip(SKIP_1) | instid1(VALU_DEP_2)
	v_pk_fma_f32 v[98:99], v[42:43], v[40:41], v[96:97] op_sel_hi:[1,0,1]
	v_pk_fma_f32 v[40:41], v[42:43], v[40:41], v[96:97] neg_lo:[0,0,1] neg_hi:[0,0,1]
	v_mov_b32_e32 v41, v99
	s_delay_alu instid0(VALU_DEP_1)
	v_pk_add_f32 v[38:39], v[38:39], v[40:41] neg_lo:[0,1] neg_hi:[0,1]
.LBB162_825:                            ;   in Loop: Header=BB162_3 Depth=1
	s_or_b32 exec_lo, exec_lo, s11
	s_barrier_signal -1
	s_barrier_wait -1
	s_and_saveexec_b32 s11, s29
	s_cbranch_execz .LBB162_827
; %bb.826:                              ;   in Loop: Header=BB162_3 Depth=1
	ds_load_b64 v[40:41], v1 offset:1040
	s_wait_dscnt 0x0
	v_pk_mul_f32 v[42:43], v[38:39], v[40:41] op_sel:[1,1] op_sel_hi:[1,0]
	s_delay_alu instid0(VALU_DEP_1) | instskip(SKIP_1) | instid1(VALU_DEP_2)
	v_pk_fma_f32 v[96:97], v[38:39], v[40:41], v[42:43] op_sel_hi:[0,1,1]
	v_pk_fma_f32 v[38:39], v[38:39], v[40:41], v[42:43] neg_lo:[0,0,1] neg_hi:[0,0,1]
	v_mov_b32_e32 v39, v97
	s_delay_alu instid0(VALU_DEP_1)
	v_pk_add_f32 v[40:41], v[38:39], 0 neg_lo:[1,1] neg_hi:[1,1]
	ds_store_b64 v63, v[40:41]
.LBB162_827:                            ;   in Loop: Header=BB162_3 Depth=1
	s_or_b32 exec_lo, exec_lo, s11
	s_wait_dscnt 0x0
	s_barrier_signal -1
	s_barrier_wait -1
	s_and_saveexec_b32 s11, s31
	s_cbranch_execz .LBB162_829
; %bb.828:                              ;   in Loop: Header=BB162_3 Depth=1
	ds_load_b64 v[40:41], v64 offset:1024
	ds_load_b64 v[42:43], v63
	s_wait_dscnt 0x0
	v_pk_mul_f32 v[96:97], v[42:43], v[40:41] op_sel:[1,1] op_sel_hi:[0,1]
	s_delay_alu instid0(VALU_DEP_1) | instskip(SKIP_1) | instid1(VALU_DEP_2)
	v_pk_fma_f32 v[98:99], v[42:43], v[40:41], v[96:97] op_sel_hi:[1,0,1]
	v_pk_fma_f32 v[40:41], v[42:43], v[40:41], v[96:97] neg_lo:[0,0,1] neg_hi:[0,0,1]
	v_mov_b32_e32 v41, v99
	s_delay_alu instid0(VALU_DEP_1)
	v_pk_add_f32 v[38:39], v[38:39], v[40:41] neg_lo:[0,1] neg_hi:[0,1]
.LBB162_829:                            ;   in Loop: Header=BB162_3 Depth=1
	s_or_b32 exec_lo, exec_lo, s11
	s_barrier_signal -1
	s_barrier_wait -1
	s_and_saveexec_b32 s11, s34
	s_cbranch_execz .LBB162_831
; %bb.830:                              ;   in Loop: Header=BB162_3 Depth=1
	ds_load_b64 v[40:41], v1 offset:520
	s_wait_dscnt 0x0
	v_pk_mul_f32 v[42:43], v[38:39], v[40:41] op_sel:[1,1] op_sel_hi:[1,0]
	s_delay_alu instid0(VALU_DEP_1) | instskip(SKIP_1) | instid1(VALU_DEP_2)
	v_pk_fma_f32 v[96:97], v[38:39], v[40:41], v[42:43] op_sel_hi:[0,1,1]
	v_pk_fma_f32 v[38:39], v[38:39], v[40:41], v[42:43] neg_lo:[0,0,1] neg_hi:[0,0,1]
	v_mov_b32_e32 v39, v97
	s_delay_alu instid0(VALU_DEP_1)
	v_pk_add_f32 v[40:41], v[38:39], 0 neg_lo:[1,1] neg_hi:[1,1]
	ds_store_b64 v63, v[40:41]
.LBB162_831:                            ;   in Loop: Header=BB162_3 Depth=1
	s_or_b32 exec_lo, exec_lo, s11
	s_wait_dscnt 0x0
	s_barrier_signal -1
	s_barrier_wait -1
	s_and_saveexec_b32 s11, s36
	s_cbranch_execz .LBB162_833
; %bb.832:                              ;   in Loop: Header=BB162_3 Depth=1
	ds_load_b64 v[40:41], v1 offset:512
	ds_load_b64 v[42:43], v63
	s_wait_dscnt 0x0
	v_pk_mul_f32 v[96:97], v[42:43], v[40:41] op_sel:[1,1] op_sel_hi:[0,1]
	s_delay_alu instid0(VALU_DEP_1) | instskip(SKIP_1) | instid1(VALU_DEP_2)
	v_pk_fma_f32 v[98:99], v[42:43], v[40:41], v[96:97] op_sel_hi:[1,0,1]
	v_pk_fma_f32 v[40:41], v[42:43], v[40:41], v[96:97] neg_lo:[0,0,1] neg_hi:[0,0,1]
	v_mov_b32_e32 v41, v99
	s_delay_alu instid0(VALU_DEP_1)
	v_pk_add_f32 v[38:39], v[38:39], v[40:41] neg_lo:[0,1] neg_hi:[0,1]
.LBB162_833:                            ;   in Loop: Header=BB162_3 Depth=1
	s_or_b32 exec_lo, exec_lo, s11
	s_barrier_signal -1
	s_barrier_wait -1
	s_and_saveexec_b32 s11, s36
	s_cbranch_execz .LBB162_835
; %bb.834:                              ;   in Loop: Header=BB162_3 Depth=1
	ds_load_b64 v[40:41], v1
	s_wait_dscnt 0x0
	v_pk_mul_f32 v[42:43], v[38:39], v[40:41] op_sel:[1,1] op_sel_hi:[1,0]
	s_delay_alu instid0(VALU_DEP_1) | instskip(SKIP_1) | instid1(VALU_DEP_2)
	v_pk_fma_f32 v[96:97], v[38:39], v[40:41], v[42:43] op_sel_hi:[0,1,1]
	v_pk_fma_f32 v[38:39], v[38:39], v[40:41], v[42:43] neg_lo:[0,0,1] neg_hi:[0,0,1]
	v_mov_b32_e32 v39, v97
	s_delay_alu instid0(VALU_DEP_1)
	v_pk_add_f32 v[40:41], v[38:39], 0 neg_lo:[1,1] neg_hi:[1,1]
	ds_store_b64 v63, v[40:41]
.LBB162_835:                            ;   in Loop: Header=BB162_3 Depth=1
	s_or_b32 exec_lo, exec_lo, s11
	s_wait_dscnt 0x0
	s_barrier_signal -1
	s_barrier_wait -1
	s_barrier_signal -1
	s_barrier_wait -1
	s_and_saveexec_b32 s11, s7
; %bb.836:                              ;   in Loop: Header=BB162_3 Depth=1
	ds_store_b64 v67, v[38:39] offset:15872
; %bb.837:                              ;   in Loop: Header=BB162_3 Depth=1
	s_or_b32 exec_lo, exec_lo, s11
	s_wait_dscnt 0x0
	s_barrier_signal -1
	s_barrier_wait -1
	s_barrier_signal -1
	s_barrier_wait -1
	s_and_saveexec_b32 s11, s89
	s_cbranch_execz .LBB162_839
; %bb.838:                              ;   in Loop: Header=BB162_3 Depth=1
	ds_load_b64 v[38:39], v51 offset:8192
	s_wait_dscnt 0x0
	ds_store_b64 v56, v[38:39] offset:128
	ds_load_b64 v[38:39], v51 offset:8200
	s_wait_dscnt 0x0
	ds_store_b64 v56, v[38:39] offset:640
	;; [unrolled: 3-line block ×16, first 2 shown]
.LBB162_839:                            ;   in Loop: Header=BB162_3 Depth=1
	s_or_b32 exec_lo, exec_lo, s11
	s_wait_dscnt 0x0
	s_barrier_signal -1
	s_barrier_wait -1
	s_and_saveexec_b32 s11, s14
	s_cbranch_execz .LBB162_841
; %bb.840:                              ;   in Loop: Header=BB162_3 Depth=1
	v_add_nc_u32_e64 v0, 0x70, 0
	ds_load_b64 v[42:43], v1 offset:7800
	ds_load_2addr_stride64_b64 v[38:41], v0 offset0:14 offset1:15
	s_wait_dscnt 0x0
	v_dual_mul_f32 v44, v43, v39 :: v_dual_mul_f32 v0, v42, v39
	s_delay_alu instid0(VALU_DEP_1) | instskip(NEXT) | instid1(VALU_DEP_2)
	v_xor_b32_e32 v44, 0x80000000, v44
	v_fmac_f32_e32 v0, v43, v38
	s_delay_alu instid0(VALU_DEP_2) | instskip(NEXT) | instid1(VALU_DEP_2)
	v_fmac_f32_e32 v44, v42, v38
	v_pk_mul_f32 v[38:39], v[0:1], v[40:41] op_sel:[0,1] op_sel_hi:[0,0]
	v_add_nc_u32_e64 v0, 0x1800, 0
	s_delay_alu instid0(VALU_DEP_2) | instskip(SKIP_1) | instid1(VALU_DEP_2)
	v_pk_fma_f32 v[42:43], v[44:45], v[40:41], v[38:39] op_sel_hi:[0,1,1]
	v_pk_fma_f32 v[38:39], v[44:45], v[40:41], v[38:39] neg_lo:[0,0,1] neg_hi:[0,0,1]
	v_mov_b32_e32 v39, v43
	ds_store_2addr_b64 v0, v[38:39], v[38:39] offset0:143 offset1:206
.LBB162_841:                            ;   in Loop: Header=BB162_3 Depth=1
	s_or_b32 exec_lo, exec_lo, s11
	v_dual_mov_b32 v38, 0 :: v_dual_mov_b32 v39, 0
	s_wait_dscnt 0x0
	s_barrier_signal -1
	s_barrier_wait -1
	global_wb scope:SCOPE_DEV
	s_wait_storecnt 0x0
	global_inv scope:SCOPE_DEV
	s_and_saveexec_b32 s11, s3
	s_cbranch_execz .LBB162_845
; %bb.842:                              ;   in Loop: Header=BB162_3 Depth=1
	ds_load_b64 v[38:39], v47 offset:7264
	ds_load_b64 v[40:41], v48 offset:7792
	s_wait_dscnt 0x0
	v_pk_mul_f32 v[42:43], v[40:41], v[38:39] op_sel:[1,1] op_sel_hi:[0,1]
	s_delay_alu instid0(VALU_DEP_1) | instskip(SKIP_1) | instid1(VALU_DEP_2)
	v_pk_fma_f32 v[96:97], v[40:41], v[38:39], v[42:43] op_sel_hi:[1,0,1]
	v_pk_fma_f32 v[38:39], v[40:41], v[38:39], v[42:43] neg_lo:[0,0,1] neg_hi:[0,0,1]
	v_mov_b32_e32 v39, v97
	s_delay_alu instid0(VALU_DEP_1)
	v_pk_add_f32 v[38:39], v[38:39], 0 op_sel_hi:[1,0]
	s_and_saveexec_b32 s12, s18
	s_cbranch_execz .LBB162_844
; %bb.843:                              ;   in Loop: Header=BB162_3 Depth=1
	ds_load_b64 v[40:41], v49 offset:7776
	ds_load_b64 v[42:43], v1 offset:7800
	s_wait_dscnt 0x0
	v_pk_mul_f32 v[96:97], v[42:43], v[40:41] op_sel:[1,1] op_sel_hi:[0,1]
	s_delay_alu instid0(VALU_DEP_1) | instskip(SKIP_1) | instid1(VALU_DEP_2)
	v_pk_fma_f32 v[98:99], v[42:43], v[40:41], v[96:97] op_sel_hi:[1,0,1]
	v_pk_fma_f32 v[40:41], v[42:43], v[40:41], v[96:97] neg_lo:[0,0,1] neg_hi:[0,0,1]
	v_mov_b32_e32 v41, v99
	s_delay_alu instid0(VALU_DEP_1)
	v_pk_add_f32 v[38:39], v[38:39], v[40:41]
.LBB162_844:                            ;   in Loop: Header=BB162_3 Depth=1
	s_or_b32 exec_lo, exec_lo, s12
.LBB162_845:                            ;   in Loop: Header=BB162_3 Depth=1
	s_delay_alu instid0(SALU_CYCLE_1)
	s_or_b32 exec_lo, exec_lo, s11
	s_and_saveexec_b32 s11, s92
	s_cbranch_execz .LBB162_847
; %bb.846:                              ;   in Loop: Header=BB162_3 Depth=1
	ds_load_b64 v[40:41], v1 offset:6760
	s_wait_dscnt 0x0
	v_pk_mul_f32 v[42:43], v[38:39], v[40:41] op_sel:[1,1] op_sel_hi:[1,0]
	s_delay_alu instid0(VALU_DEP_1) | instskip(SKIP_1) | instid1(VALU_DEP_2)
	v_pk_fma_f32 v[96:97], v[38:39], v[40:41], v[42:43] op_sel_hi:[0,1,1]
	v_pk_fma_f32 v[38:39], v[38:39], v[40:41], v[42:43] neg_lo:[0,0,1] neg_hi:[0,0,1]
	v_mov_b32_e32 v39, v97
	s_delay_alu instid0(VALU_DEP_1)
	v_pk_add_f32 v[40:41], v[38:39], 0 neg_lo:[1,1] neg_hi:[1,1]
	ds_store_b64 v3, v[40:41]
.LBB162_847:                            ;   in Loop: Header=BB162_3 Depth=1
	s_or_b32 exec_lo, exec_lo, s11
	s_wait_loadcnt_dscnt 0x0
	s_barrier_signal -1
	s_barrier_wait -1
	s_and_saveexec_b32 s11, s93
	s_cbranch_execz .LBB162_849
; %bb.848:                              ;   in Loop: Header=BB162_3 Depth=1
	ds_load_b64 v[40:41], v1 offset:6752
	ds_load_b64 v[42:43], v3
	s_wait_dscnt 0x0
	v_pk_mul_f32 v[96:97], v[42:43], v[40:41] op_sel:[1,1] op_sel_hi:[0,1]
	s_delay_alu instid0(VALU_DEP_1) | instskip(SKIP_1) | instid1(VALU_DEP_2)
	v_pk_fma_f32 v[98:99], v[42:43], v[40:41], v[96:97] op_sel_hi:[1,0,1]
	v_pk_fma_f32 v[40:41], v[42:43], v[40:41], v[96:97] neg_lo:[0,0,1] neg_hi:[0,0,1]
	v_mov_b32_e32 v41, v99
	s_delay_alu instid0(VALU_DEP_1)
	v_pk_add_f32 v[38:39], v[38:39], v[40:41] neg_lo:[0,1] neg_hi:[0,1]
.LBB162_849:                            ;   in Loop: Header=BB162_3 Depth=1
	s_or_b32 exec_lo, exec_lo, s11
	s_barrier_signal -1
	s_barrier_wait -1
	s_and_saveexec_b32 s11, s93
	s_cbranch_execz .LBB162_851
; %bb.850:                              ;   in Loop: Header=BB162_3 Depth=1
	ds_load_b64 v[40:41], v1 offset:6240
	s_wait_dscnt 0x0
	v_pk_mul_f32 v[42:43], v[38:39], v[40:41] op_sel:[1,1] op_sel_hi:[1,0]
	s_delay_alu instid0(VALU_DEP_1) | instskip(SKIP_1) | instid1(VALU_DEP_2)
	v_pk_fma_f32 v[96:97], v[38:39], v[40:41], v[42:43] op_sel_hi:[0,1,1]
	v_pk_fma_f32 v[38:39], v[38:39], v[40:41], v[42:43] neg_lo:[0,0,1] neg_hi:[0,0,1]
	v_mov_b32_e32 v39, v97
	s_delay_alu instid0(VALU_DEP_1)
	v_pk_add_f32 v[40:41], v[38:39], 0 neg_lo:[1,1] neg_hi:[1,1]
	ds_store_b64 v3, v[40:41]
.LBB162_851:                            ;   in Loop: Header=BB162_3 Depth=1
	s_or_b32 exec_lo, exec_lo, s11
	s_wait_dscnt 0x0
	s_barrier_signal -1
	s_barrier_wait -1
	s_barrier_signal -1
	s_barrier_wait -1
	s_and_saveexec_b32 s11, s3
; %bb.852:                              ;   in Loop: Header=BB162_3 Depth=1
	ds_store_b64 v50, v[38:39] offset:7776
; %bb.853:                              ;   in Loop: Header=BB162_3 Depth=1
	s_or_b32 exec_lo, exec_lo, s11
	s_wait_dscnt 0x0
	s_barrier_signal -1
	s_barrier_wait -1
	s_barrier_signal -1
	s_barrier_wait -1
	s_and_saveexec_b32 s11, s94
	s_cbranch_execz .LBB162_855
; %bb.854:                              ;   in Loop: Header=BB162_3 Depth=1
	ds_load_b64 v[38:39], v51 offset:7264
	s_wait_dscnt 0x0
	ds_store_b64 v49, v[38:39] offset:6256
	ds_load_b64 v[38:39], v51 offset:7272
	s_wait_dscnt 0x0
	ds_store_b64 v49, v[38:39] offset:6768
.LBB162_855:                            ;   in Loop: Header=BB162_3 Depth=1
	s_or_b32 exec_lo, exec_lo, s11
	s_wait_dscnt 0x0
	s_barrier_signal -1
	s_barrier_wait -1
	s_and_saveexec_b32 s11, s14
	s_cbranch_execz .LBB162_857
; %bb.856:                              ;   in Loop: Header=BB162_3 Depth=1
	v_add_nc_u32_e64 v0, 0x60, 0
	ds_load_b64 v[42:43], v1 offset:6760
	ds_load_2addr_stride64_b64 v[38:41], v0 offset0:12 offset1:13
	s_wait_dscnt 0x0
	v_dual_mul_f32 v44, v43, v39 :: v_dual_mul_f32 v0, v42, v39
	s_delay_alu instid0(VALU_DEP_1) | instskip(NEXT) | instid1(VALU_DEP_2)
	v_xor_b32_e32 v44, 0x80000000, v44
	v_fmac_f32_e32 v0, v43, v38
	s_delay_alu instid0(VALU_DEP_2) | instskip(NEXT) | instid1(VALU_DEP_2)
	v_fmac_f32_e32 v44, v42, v38
	v_pk_mul_f32 v[38:39], v[0:1], v[40:41] op_sel:[0,1] op_sel_hi:[0,0]
	v_add_nc_u32_e64 v0, 0x1800, 0
	s_delay_alu instid0(VALU_DEP_2) | instskip(SKIP_1) | instid1(VALU_DEP_2)
	v_pk_fma_f32 v[42:43], v[44:45], v[40:41], v[38:39] op_sel_hi:[0,1,1]
	v_pk_fma_f32 v[38:39], v[44:45], v[40:41], v[38:39] neg_lo:[0,0,1] neg_hi:[0,0,1]
	v_mov_b32_e32 v39, v43
	ds_store_2addr_b64 v0, v[38:39], v[38:39] offset0:13 offset1:76
.LBB162_857:                            ;   in Loop: Header=BB162_3 Depth=1
	s_or_b32 exec_lo, exec_lo, s11
	v_mov_b64_e32 v[38:39], 0
	s_wait_dscnt 0x0
	s_barrier_signal -1
	s_barrier_wait -1
	global_wb scope:SCOPE_DEV
	s_wait_storecnt 0x0
	global_inv scope:SCOPE_DEV
	s_and_saveexec_b32 s11, s5
	s_cbranch_execz .LBB162_863
; %bb.858:                              ;   in Loop: Header=BB162_3 Depth=1
	ds_load_b64 v[38:39], v53 offset:6208
	ds_load_b64 v[40:41], v54 offset:7776
	s_wait_dscnt 0x0
	v_dual_mul_f32 v0, v41, v39 :: v_dual_mul_f32 v39, v40, v39
	s_delay_alu instid0(VALU_DEP_1) | instskip(NEXT) | instid1(VALU_DEP_1)
	v_dual_fma_f32 v0, v40, v38, -v0 :: v_dual_fmac_f32 v39, v41, v38
	v_dual_add_f32 v38, 0, v0 :: v_dual_add_f32 v39, 0, v39
	s_and_saveexec_b32 s12, s19
	s_cbranch_execnz .LBB162_1164
; %bb.859:                              ;   in Loop: Header=BB162_3 Depth=1
	s_or_b32 exec_lo, exec_lo, s12
	s_and_saveexec_b32 s12, s20
	s_cbranch_execnz .LBB162_1165
.LBB162_860:                            ;   in Loop: Header=BB162_3 Depth=1
	s_or_b32 exec_lo, exec_lo, s12
	s_and_saveexec_b32 s12, s3
	s_cbranch_execz .LBB162_862
.LBB162_861:                            ;   in Loop: Header=BB162_3 Depth=1
	ds_load_b64 v[40:41], v56 offset:7744
	ds_load_b64 v[42:43], v1 offset:7800
	s_wait_dscnt 0x0
	v_dual_mul_f32 v0, v43, v41 :: v_dual_mul_f32 v41, v42, v41
	s_delay_alu instid0(VALU_DEP_1) | instskip(NEXT) | instid1(VALU_DEP_1)
	v_dual_fma_f32 v0, v42, v40, -v0 :: v_dual_fmac_f32 v41, v43, v40
	v_dual_add_f32 v38, v38, v0 :: v_dual_add_f32 v39, v39, v41
.LBB162_862:                            ;   in Loop: Header=BB162_3 Depth=1
	s_or_b32 exec_lo, exec_lo, s12
.LBB162_863:                            ;   in Loop: Header=BB162_3 Depth=1
	s_delay_alu instid0(SALU_CYCLE_1)
	s_or_b32 exec_lo, exec_lo, s11
	s_and_saveexec_b32 s11, s95
	s_cbranch_execz .LBB162_865
; %bb.864:                              ;   in Loop: Header=BB162_3 Depth=1
	ds_load_b64 v[40:41], v1 offset:5720
	s_wait_dscnt 0x0
	v_dual_mul_f32 v0, v39, v40 :: v_dual_mul_f32 v42, v39, v41
	s_delay_alu instid0(VALU_DEP_1) | instskip(NEXT) | instid1(VALU_DEP_2)
	v_pk_fma_f32 v[96:97], v[38:39], v[40:41], v[0:1] op_sel:[1,0,0] op_sel_hi:[0,1,0]
	v_pk_fma_f32 v[38:39], v[38:39], v[40:41], v[42:43] op_sel_hi:[1,1,0] neg_lo:[0,0,1] neg_hi:[0,0,1]
	s_delay_alu instid0(VALU_DEP_2) | instskip(NEXT) | instid1(VALU_DEP_1)
	v_mov_b32_e32 v39, v97
	v_pk_add_f32 v[40:41], v[38:39], 0 neg_lo:[1,1] neg_hi:[1,1]
	ds_store_b64 v52, v[40:41]
.LBB162_865:                            ;   in Loop: Header=BB162_3 Depth=1
	s_or_b32 exec_lo, exec_lo, s11
	s_wait_loadcnt_dscnt 0x0
	s_barrier_signal -1
	s_barrier_wait -1
	s_and_saveexec_b32 s11, s96
	s_cbranch_execz .LBB162_867
; %bb.866:                              ;   in Loop: Header=BB162_3 Depth=1
	ds_load_b64 v[40:41], v53 offset:5696
	ds_load_b64 v[42:43], v52
	s_wait_dscnt 0x0
	v_pk_mul_f32 v[96:97], v[42:43], v[40:41] op_sel:[1,1] op_sel_hi:[0,1]
	s_delay_alu instid0(VALU_DEP_1) | instskip(SKIP_1) | instid1(VALU_DEP_2)
	v_pk_fma_f32 v[98:99], v[42:43], v[40:41], v[96:97] op_sel_hi:[1,0,1]
	v_pk_fma_f32 v[40:41], v[42:43], v[40:41], v[96:97] neg_lo:[0,0,1] neg_hi:[0,0,1]
	v_mov_b32_e32 v41, v99
	s_delay_alu instid0(VALU_DEP_1)
	v_pk_add_f32 v[38:39], v[38:39], v[40:41] neg_lo:[0,1] neg_hi:[0,1]
.LBB162_867:                            ;   in Loop: Header=BB162_3 Depth=1
	s_or_b32 exec_lo, exec_lo, s11
	s_barrier_signal -1
	s_barrier_wait -1
	s_and_saveexec_b32 s11, s97
	s_cbranch_execz .LBB162_869
; %bb.868:                              ;   in Loop: Header=BB162_3 Depth=1
	ds_load_b64 v[40:41], v1 offset:5200
	s_wait_dscnt 0x0
	v_pk_mul_f32 v[42:43], v[38:39], v[40:41] op_sel:[1,1] op_sel_hi:[1,0]
	s_delay_alu instid0(VALU_DEP_1) | instskip(SKIP_1) | instid1(VALU_DEP_2)
	v_pk_fma_f32 v[96:97], v[38:39], v[40:41], v[42:43] op_sel_hi:[0,1,1]
	v_pk_fma_f32 v[38:39], v[38:39], v[40:41], v[42:43] neg_lo:[0,0,1] neg_hi:[0,0,1]
	v_mov_b32_e32 v39, v97
	s_delay_alu instid0(VALU_DEP_1)
	v_pk_add_f32 v[40:41], v[38:39], 0 neg_lo:[1,1] neg_hi:[1,1]
	ds_store_b64 v52, v[40:41]
.LBB162_869:                            ;   in Loop: Header=BB162_3 Depth=1
	s_or_b32 exec_lo, exec_lo, s11
	s_wait_dscnt 0x0
	s_barrier_signal -1
	s_barrier_wait -1
	s_and_saveexec_b32 s11, s98
	s_cbranch_execz .LBB162_871
; %bb.870:                              ;   in Loop: Header=BB162_3 Depth=1
	ds_load_b64 v[40:41], v53 offset:5184
	ds_load_b64 v[42:43], v52
	s_wait_dscnt 0x0
	v_pk_mul_f32 v[96:97], v[42:43], v[40:41] op_sel:[1,1] op_sel_hi:[0,1]
	s_delay_alu instid0(VALU_DEP_1) | instskip(SKIP_1) | instid1(VALU_DEP_2)
	v_pk_fma_f32 v[98:99], v[42:43], v[40:41], v[96:97] op_sel_hi:[1,0,1]
	v_pk_fma_f32 v[40:41], v[42:43], v[40:41], v[96:97] neg_lo:[0,0,1] neg_hi:[0,0,1]
	v_mov_b32_e32 v41, v99
	s_delay_alu instid0(VALU_DEP_1)
	v_pk_add_f32 v[38:39], v[38:39], v[40:41] neg_lo:[0,1] neg_hi:[0,1]
.LBB162_871:                            ;   in Loop: Header=BB162_3 Depth=1
	s_or_b32 exec_lo, exec_lo, s11
	s_barrier_signal -1
	s_barrier_wait -1
	s_and_saveexec_b32 s11, s99
	s_cbranch_execz .LBB162_873
; %bb.872:                              ;   in Loop: Header=BB162_3 Depth=1
	ds_load_b64 v[40:41], v1 offset:4680
	s_wait_dscnt 0x0
	v_pk_mul_f32 v[42:43], v[38:39], v[40:41] op_sel:[1,1] op_sel_hi:[1,0]
	s_delay_alu instid0(VALU_DEP_1) | instskip(SKIP_1) | instid1(VALU_DEP_2)
	v_pk_fma_f32 v[96:97], v[38:39], v[40:41], v[42:43] op_sel_hi:[0,1,1]
	v_pk_fma_f32 v[38:39], v[38:39], v[40:41], v[42:43] neg_lo:[0,0,1] neg_hi:[0,0,1]
	v_mov_b32_e32 v39, v97
	s_delay_alu instid0(VALU_DEP_1)
	v_pk_add_f32 v[40:41], v[38:39], 0 neg_lo:[1,1] neg_hi:[1,1]
	ds_store_b64 v52, v[40:41]
.LBB162_873:                            ;   in Loop: Header=BB162_3 Depth=1
	s_or_b32 exec_lo, exec_lo, s11
	s_wait_dscnt 0x0
	s_barrier_signal -1
	s_barrier_wait -1
	s_and_saveexec_b32 s11, s100
	s_cbranch_execz .LBB162_875
; %bb.874:                              ;   in Loop: Header=BB162_3 Depth=1
	ds_load_b64 v[40:41], v1 offset:4672
	ds_load_b64 v[42:43], v52
	s_wait_dscnt 0x0
	v_pk_mul_f32 v[96:97], v[42:43], v[40:41] op_sel:[1,1] op_sel_hi:[0,1]
	s_delay_alu instid0(VALU_DEP_1) | instskip(SKIP_1) | instid1(VALU_DEP_2)
	v_pk_fma_f32 v[98:99], v[42:43], v[40:41], v[96:97] op_sel_hi:[1,0,1]
	v_pk_fma_f32 v[40:41], v[42:43], v[40:41], v[96:97] neg_lo:[0,0,1] neg_hi:[0,0,1]
	v_mov_b32_e32 v41, v99
	s_delay_alu instid0(VALU_DEP_1)
	v_pk_add_f32 v[38:39], v[38:39], v[40:41] neg_lo:[0,1] neg_hi:[0,1]
.LBB162_875:                            ;   in Loop: Header=BB162_3 Depth=1
	s_or_b32 exec_lo, exec_lo, s11
	s_barrier_signal -1
	s_barrier_wait -1
	s_and_saveexec_b32 s11, s100
	s_cbranch_execz .LBB162_877
; %bb.876:                              ;   in Loop: Header=BB162_3 Depth=1
	ds_load_b64 v[40:41], v1 offset:4160
	s_wait_dscnt 0x0
	v_pk_mul_f32 v[42:43], v[38:39], v[40:41] op_sel:[1,1] op_sel_hi:[1,0]
	s_delay_alu instid0(VALU_DEP_1) | instskip(SKIP_1) | instid1(VALU_DEP_2)
	v_pk_fma_f32 v[96:97], v[38:39], v[40:41], v[42:43] op_sel_hi:[0,1,1]
	v_pk_fma_f32 v[38:39], v[38:39], v[40:41], v[42:43] neg_lo:[0,0,1] neg_hi:[0,0,1]
	v_mov_b32_e32 v39, v97
	s_delay_alu instid0(VALU_DEP_1)
	v_pk_add_f32 v[40:41], v[38:39], 0 neg_lo:[1,1] neg_hi:[1,1]
	ds_store_b64 v52, v[40:41]
.LBB162_877:                            ;   in Loop: Header=BB162_3 Depth=1
	s_or_b32 exec_lo, exec_lo, s11
	s_wait_dscnt 0x0
	s_barrier_signal -1
	s_barrier_wait -1
	s_barrier_signal -1
	s_barrier_wait -1
	s_and_saveexec_b32 s11, s5
; %bb.878:                              ;   in Loop: Header=BB162_3 Depth=1
	ds_store_b64 v57, v[38:39] offset:7744
; %bb.879:                              ;   in Loop: Header=BB162_3 Depth=1
	s_or_b32 exec_lo, exec_lo, s11
	s_wait_dscnt 0x0
	s_barrier_signal -1
	s_barrier_wait -1
	s_barrier_signal -1
	s_barrier_wait -1
	s_and_saveexec_b32 s11, s101
	s_cbranch_execz .LBB162_881
; %bb.880:                              ;   in Loop: Header=BB162_3 Depth=1
	ds_load_b64 v[38:39], v58 offset:6208
	s_wait_dscnt 0x0
	ds_store_b64 v5, v[38:39] offset:4192
	ds_load_b64 v[38:39], v58 offset:6216
	s_wait_dscnt 0x0
	ds_store_b64 v5, v[38:39] offset:4704
	;; [unrolled: 3-line block ×4, first 2 shown]
.LBB162_881:                            ;   in Loop: Header=BB162_3 Depth=1
	s_or_b32 exec_lo, exec_lo, s11
	s_wait_dscnt 0x0
	s_barrier_signal -1
	s_barrier_wait -1
	s_and_saveexec_b32 s11, s14
	s_cbranch_execz .LBB162_883
; %bb.882:                              ;   in Loop: Header=BB162_3 Depth=1
	v_add_nc_u32_e64 v0, 0x50, 0
	ds_load_b64 v[42:43], v1 offset:5720
	ds_load_2addr_stride64_b64 v[38:41], v0 offset0:10 offset1:11
	s_wait_dscnt 0x0
	v_dual_mul_f32 v44, v43, v39 :: v_dual_mul_f32 v0, v42, v39
	s_delay_alu instid0(VALU_DEP_1) | instskip(NEXT) | instid1(VALU_DEP_2)
	v_xor_b32_e32 v44, 0x80000000, v44
	v_fmac_f32_e32 v0, v43, v38
	s_delay_alu instid0(VALU_DEP_2) | instskip(NEXT) | instid1(VALU_DEP_2)
	v_fmac_f32_e32 v44, v42, v38
	v_pk_mul_f32 v[38:39], v[0:1], v[40:41] op_sel:[0,1] op_sel_hi:[0,0]
	v_add_nc_u32_e64 v0, 0x1000, 0
	s_delay_alu instid0(VALU_DEP_2) | instskip(SKIP_1) | instid1(VALU_DEP_2)
	v_pk_fma_f32 v[42:43], v[44:45], v[40:41], v[38:39] op_sel_hi:[0,1,1]
	v_pk_fma_f32 v[38:39], v[44:45], v[40:41], v[38:39] neg_lo:[0,0,1] neg_hi:[0,0,1]
	v_mov_b32_e32 v39, v43
	ds_store_2addr_b64 v0, v[38:39], v[38:39] offset0:139 offset1:202
.LBB162_883:                            ;   in Loop: Header=BB162_3 Depth=1
	s_or_b32 exec_lo, exec_lo, s11
	v_dual_mov_b32 v38, 0 :: v_dual_mov_b32 v39, 0
	s_wait_dscnt 0x0
	s_barrier_signal -1
	s_barrier_wait -1
	global_wb scope:SCOPE_DEV
	s_wait_storecnt 0x0
	global_inv scope:SCOPE_DEV
	s_and_saveexec_b32 s11, s3
	s_cbranch_execz .LBB162_887
; %bb.884:                              ;   in Loop: Header=BB162_3 Depth=1
	ds_load_b64 v[38:39], v47 offset:5184
	ds_load_b64 v[40:41], v48 offset:5712
	s_wait_dscnt 0x0
	v_pk_mul_f32 v[42:43], v[40:41], v[38:39] op_sel:[1,1] op_sel_hi:[0,1]
	s_delay_alu instid0(VALU_DEP_1) | instskip(SKIP_1) | instid1(VALU_DEP_2)
	v_pk_fma_f32 v[96:97], v[40:41], v[38:39], v[42:43] op_sel_hi:[1,0,1]
	v_pk_fma_f32 v[38:39], v[40:41], v[38:39], v[42:43] neg_lo:[0,0,1] neg_hi:[0,0,1]
	v_mov_b32_e32 v39, v97
	s_delay_alu instid0(VALU_DEP_1)
	v_pk_add_f32 v[38:39], v[38:39], 0 op_sel_hi:[1,0]
	s_and_saveexec_b32 s12, s18
	s_cbranch_execz .LBB162_886
; %bb.885:                              ;   in Loop: Header=BB162_3 Depth=1
	ds_load_b64 v[40:41], v5 offset:5696
	ds_load_b64 v[42:43], v1 offset:5720
	s_wait_dscnt 0x0
	v_pk_mul_f32 v[96:97], v[42:43], v[40:41] op_sel:[1,1] op_sel_hi:[0,1]
	s_delay_alu instid0(VALU_DEP_1) | instskip(SKIP_1) | instid1(VALU_DEP_2)
	v_pk_fma_f32 v[98:99], v[42:43], v[40:41], v[96:97] op_sel_hi:[1,0,1]
	v_pk_fma_f32 v[40:41], v[42:43], v[40:41], v[96:97] neg_lo:[0,0,1] neg_hi:[0,0,1]
	v_mov_b32_e32 v41, v99
	s_delay_alu instid0(VALU_DEP_1)
	v_pk_add_f32 v[38:39], v[38:39], v[40:41]
.LBB162_886:                            ;   in Loop: Header=BB162_3 Depth=1
	s_or_b32 exec_lo, exec_lo, s12
.LBB162_887:                            ;   in Loop: Header=BB162_3 Depth=1
	s_delay_alu instid0(SALU_CYCLE_1)
	s_or_b32 exec_lo, exec_lo, s11
	s_and_saveexec_b32 s11, s92
	s_cbranch_execz .LBB162_889
; %bb.888:                              ;   in Loop: Header=BB162_3 Depth=1
	ds_load_b64 v[40:41], v1 offset:4680
	s_wait_dscnt 0x0
	v_pk_mul_f32 v[42:43], v[38:39], v[40:41] op_sel:[1,1] op_sel_hi:[1,0]
	s_delay_alu instid0(VALU_DEP_1) | instskip(SKIP_1) | instid1(VALU_DEP_2)
	v_pk_fma_f32 v[96:97], v[38:39], v[40:41], v[42:43] op_sel_hi:[0,1,1]
	v_pk_fma_f32 v[38:39], v[38:39], v[40:41], v[42:43] neg_lo:[0,0,1] neg_hi:[0,0,1]
	v_mov_b32_e32 v39, v97
	s_delay_alu instid0(VALU_DEP_1)
	v_pk_add_f32 v[40:41], v[38:39], 0 neg_lo:[1,1] neg_hi:[1,1]
	ds_store_b64 v3, v[40:41]
.LBB162_889:                            ;   in Loop: Header=BB162_3 Depth=1
	s_or_b32 exec_lo, exec_lo, s11
	s_wait_loadcnt_dscnt 0x0
	s_barrier_signal -1
	s_barrier_wait -1
	s_and_saveexec_b32 s11, s93
	s_cbranch_execz .LBB162_891
; %bb.890:                              ;   in Loop: Header=BB162_3 Depth=1
	ds_load_b64 v[40:41], v1 offset:4672
	ds_load_b64 v[42:43], v3
	s_wait_dscnt 0x0
	v_pk_mul_f32 v[96:97], v[42:43], v[40:41] op_sel:[1,1] op_sel_hi:[0,1]
	s_delay_alu instid0(VALU_DEP_1) | instskip(SKIP_1) | instid1(VALU_DEP_2)
	v_pk_fma_f32 v[98:99], v[42:43], v[40:41], v[96:97] op_sel_hi:[1,0,1]
	v_pk_fma_f32 v[40:41], v[42:43], v[40:41], v[96:97] neg_lo:[0,0,1] neg_hi:[0,0,1]
	v_mov_b32_e32 v41, v99
	s_delay_alu instid0(VALU_DEP_1)
	v_pk_add_f32 v[38:39], v[38:39], v[40:41] neg_lo:[0,1] neg_hi:[0,1]
.LBB162_891:                            ;   in Loop: Header=BB162_3 Depth=1
	s_or_b32 exec_lo, exec_lo, s11
	s_barrier_signal -1
	s_barrier_wait -1
	s_and_saveexec_b32 s11, s93
	s_cbranch_execz .LBB162_893
; %bb.892:                              ;   in Loop: Header=BB162_3 Depth=1
	ds_load_b64 v[40:41], v1 offset:4160
	s_wait_dscnt 0x0
	v_pk_mul_f32 v[42:43], v[38:39], v[40:41] op_sel:[1,1] op_sel_hi:[1,0]
	s_delay_alu instid0(VALU_DEP_1) | instskip(SKIP_1) | instid1(VALU_DEP_2)
	v_pk_fma_f32 v[96:97], v[38:39], v[40:41], v[42:43] op_sel_hi:[0,1,1]
	v_pk_fma_f32 v[38:39], v[38:39], v[40:41], v[42:43] neg_lo:[0,0,1] neg_hi:[0,0,1]
	v_mov_b32_e32 v39, v97
	s_delay_alu instid0(VALU_DEP_1)
	v_pk_add_f32 v[40:41], v[38:39], 0 neg_lo:[1,1] neg_hi:[1,1]
	ds_store_b64 v3, v[40:41]
.LBB162_893:                            ;   in Loop: Header=BB162_3 Depth=1
	s_or_b32 exec_lo, exec_lo, s11
	s_wait_dscnt 0x0
	s_barrier_signal -1
	s_barrier_wait -1
	s_barrier_signal -1
	s_barrier_wait -1
	s_and_saveexec_b32 s11, s3
; %bb.894:                              ;   in Loop: Header=BB162_3 Depth=1
	ds_store_b64 v50, v[38:39] offset:5696
; %bb.895:                              ;   in Loop: Header=BB162_3 Depth=1
	s_or_b32 exec_lo, exec_lo, s11
	s_wait_dscnt 0x0
	s_barrier_signal -1
	s_barrier_wait -1
	s_barrier_signal -1
	s_barrier_wait -1
	s_and_saveexec_b32 s11, s94
	s_cbranch_execz .LBB162_897
; %bb.896:                              ;   in Loop: Header=BB162_3 Depth=1
	ds_load_b64 v[38:39], v72 offset:5184
	s_wait_dscnt 0x0
	ds_store_b64 v5, v[38:39] offset:4176
	ds_load_b64 v[38:39], v72 offset:5192
	s_wait_dscnt 0x0
	ds_store_b64 v5, v[38:39] offset:4688
.LBB162_897:                            ;   in Loop: Header=BB162_3 Depth=1
	s_or_b32 exec_lo, exec_lo, s11
	s_wait_dscnt 0x0
	s_barrier_signal -1
	s_barrier_wait -1
	s_and_saveexec_b32 s11, s14
	s_cbranch_execz .LBB162_899
; %bb.898:                              ;   in Loop: Header=BB162_3 Depth=1
	v_add_nc_u32_e64 v0, 64, 0
	ds_load_b64 v[42:43], v1 offset:4680
	ds_load_2addr_stride64_b64 v[38:41], v0 offset0:8 offset1:9
	s_wait_dscnt 0x0
	v_dual_mul_f32 v44, v43, v39 :: v_dual_mul_f32 v0, v42, v39
	s_delay_alu instid0(VALU_DEP_1) | instskip(NEXT) | instid1(VALU_DEP_2)
	v_xor_b32_e32 v44, 0x80000000, v44
	v_fmac_f32_e32 v0, v43, v38
	s_delay_alu instid0(VALU_DEP_2) | instskip(NEXT) | instid1(VALU_DEP_2)
	v_fmac_f32_e32 v44, v42, v38
	v_pk_mul_f32 v[38:39], v[0:1], v[40:41] op_sel:[0,1] op_sel_hi:[0,0]
	v_add_nc_u32_e64 v0, 0x1000, 0
	s_delay_alu instid0(VALU_DEP_2) | instskip(SKIP_1) | instid1(VALU_DEP_2)
	v_pk_fma_f32 v[42:43], v[44:45], v[40:41], v[38:39] op_sel_hi:[0,1,1]
	v_pk_fma_f32 v[38:39], v[44:45], v[40:41], v[38:39] neg_lo:[0,0,1] neg_hi:[0,0,1]
	v_mov_b32_e32 v39, v43
	ds_store_2addr_b64 v0, v[38:39], v[38:39] offset0:9 offset1:72
.LBB162_899:                            ;   in Loop: Header=BB162_3 Depth=1
	s_or_b32 exec_lo, exec_lo, s11
	v_mov_b64_e32 v[38:39], 0
	s_wait_dscnt 0x0
	s_barrier_signal -1
	s_barrier_wait -1
	global_wb scope:SCOPE_DEV
	s_wait_storecnt 0x0
	global_inv scope:SCOPE_DEV
	s_and_saveexec_b32 s11, s6
	s_cbranch_execz .LBB162_909
; %bb.900:                              ;   in Loop: Header=BB162_3 Depth=1
	ds_load_b64 v[38:39], v60 offset:4096
	ds_load_b64 v[40:41], v61 offset:7744
	s_wait_dscnt 0x0
	v_dual_mul_f32 v0, v41, v39 :: v_dual_mul_f32 v39, v40, v39
	s_delay_alu instid0(VALU_DEP_1) | instskip(NEXT) | instid1(VALU_DEP_1)
	v_dual_fma_f32 v0, v40, v38, -v0 :: v_dual_fmac_f32 v39, v41, v38
	v_dual_add_f32 v38, 0, v0 :: v_dual_add_f32 v39, 0, v39
	s_and_saveexec_b32 s12, s21
	s_cbranch_execnz .LBB162_1166
; %bb.901:                              ;   in Loop: Header=BB162_3 Depth=1
	s_or_b32 exec_lo, exec_lo, s12
	s_and_saveexec_b32 s12, s22
	s_cbranch_execnz .LBB162_1167
.LBB162_902:                            ;   in Loop: Header=BB162_3 Depth=1
	s_or_b32 exec_lo, exec_lo, s12
	s_and_saveexec_b32 s12, s23
	s_cbranch_execnz .LBB162_1168
.LBB162_903:                            ;   in Loop: Header=BB162_3 Depth=1
	s_or_b32 exec_lo, exec_lo, s12
	s_and_saveexec_b32 s12, s24
	s_cbranch_execnz .LBB162_1169
.LBB162_904:                            ;   in Loop: Header=BB162_3 Depth=1
	s_or_b32 exec_lo, exec_lo, s12
	s_and_saveexec_b32 s12, s25
	s_cbranch_execnz .LBB162_1170
.LBB162_905:                            ;   in Loop: Header=BB162_3 Depth=1
	s_or_b32 exec_lo, exec_lo, s12
	s_and_saveexec_b32 s12, s5
	s_cbranch_execnz .LBB162_1171
.LBB162_906:                            ;   in Loop: Header=BB162_3 Depth=1
	s_or_b32 exec_lo, exec_lo, s12
	s_and_saveexec_b32 s12, s20
	s_cbranch_execz .LBB162_908
.LBB162_907:                            ;   in Loop: Header=BB162_3 Depth=1
	ds_load_b64 v[40:41], v73 offset:7680
	ds_load_b64 v[42:43], v1 offset:7800
	s_wait_dscnt 0x0
	v_dual_mul_f32 v0, v43, v41 :: v_dual_mul_f32 v97, v42, v41
	s_delay_alu instid0(VALU_DEP_1) | instskip(NEXT) | instid1(VALU_DEP_1)
	v_dual_fma_f32 v96, v42, v40, -v0 :: v_dual_fmac_f32 v97, v43, v40
	v_pk_add_f32 v[38:39], v[38:39], v[96:97]
.LBB162_908:                            ;   in Loop: Header=BB162_3 Depth=1
	s_or_b32 exec_lo, exec_lo, s12
.LBB162_909:                            ;   in Loop: Header=BB162_3 Depth=1
	s_delay_alu instid0(SALU_CYCLE_1)
	s_or_b32 exec_lo, exec_lo, s11
	s_and_saveexec_b32 s11, s102
	s_cbranch_execz .LBB162_911
; %bb.910:                              ;   in Loop: Header=BB162_3 Depth=1
	ds_load_b64 v[40:41], v1 offset:3640
	s_wait_dscnt 0x0
	v_pk_mul_f32 v[42:43], v[38:39], v[40:41] op_sel:[1,1] op_sel_hi:[1,0]
	s_delay_alu instid0(VALU_DEP_1) | instskip(SKIP_1) | instid1(VALU_DEP_2)
	v_pk_fma_f32 v[96:97], v[38:39], v[40:41], v[42:43] op_sel_hi:[0,1,1]
	v_pk_fma_f32 v[38:39], v[38:39], v[40:41], v[42:43] neg_lo:[0,0,1] neg_hi:[0,0,1]
	v_mov_b32_e32 v39, v97
	s_delay_alu instid0(VALU_DEP_1)
	v_pk_add_f32 v[40:41], v[38:39], 0 neg_lo:[1,1] neg_hi:[1,1]
	ds_store_b64 v59, v[40:41]
.LBB162_911:                            ;   in Loop: Header=BB162_3 Depth=1
	s_or_b32 exec_lo, exec_lo, s11
	s_wait_loadcnt_dscnt 0x0
	s_barrier_signal -1
	s_barrier_wait -1
	s_and_saveexec_b32 s11, s103
	s_cbranch_execz .LBB162_913
; %bb.912:                              ;   in Loop: Header=BB162_3 Depth=1
	ds_load_b64 v[40:41], v60 offset:3584
	ds_load_b64 v[42:43], v59
	s_wait_dscnt 0x0
	v_pk_mul_f32 v[96:97], v[42:43], v[40:41] op_sel:[1,1] op_sel_hi:[0,1]
	s_delay_alu instid0(VALU_DEP_1) | instskip(SKIP_1) | instid1(VALU_DEP_2)
	v_pk_fma_f32 v[98:99], v[42:43], v[40:41], v[96:97] op_sel_hi:[1,0,1]
	v_pk_fma_f32 v[40:41], v[42:43], v[40:41], v[96:97] neg_lo:[0,0,1] neg_hi:[0,0,1]
	v_mov_b32_e32 v41, v99
	s_delay_alu instid0(VALU_DEP_1)
	v_pk_add_f32 v[38:39], v[38:39], v[40:41] neg_lo:[0,1] neg_hi:[0,1]
.LBB162_913:                            ;   in Loop: Header=BB162_3 Depth=1
	s_or_b32 exec_lo, exec_lo, s11
	s_barrier_signal -1
	s_barrier_wait -1
	s_and_saveexec_b32 s11, s104
	s_cbranch_execz .LBB162_915
; %bb.914:                              ;   in Loop: Header=BB162_3 Depth=1
	ds_load_b64 v[40:41], v1 offset:3120
	s_wait_dscnt 0x0
	v_pk_mul_f32 v[42:43], v[38:39], v[40:41] op_sel:[1,1] op_sel_hi:[1,0]
	s_delay_alu instid0(VALU_DEP_1) | instskip(SKIP_1) | instid1(VALU_DEP_2)
	v_pk_fma_f32 v[96:97], v[38:39], v[40:41], v[42:43] op_sel_hi:[0,1,1]
	v_pk_fma_f32 v[38:39], v[38:39], v[40:41], v[42:43] neg_lo:[0,0,1] neg_hi:[0,0,1]
	v_mov_b32_e32 v39, v97
	s_delay_alu instid0(VALU_DEP_1)
	v_pk_add_f32 v[40:41], v[38:39], 0 neg_lo:[1,1] neg_hi:[1,1]
	ds_store_b64 v59, v[40:41]
.LBB162_915:                            ;   in Loop: Header=BB162_3 Depth=1
	s_or_b32 exec_lo, exec_lo, s11
	s_wait_dscnt 0x0
	s_barrier_signal -1
	s_barrier_wait -1
	s_and_saveexec_b32 s11, vcc_hi
	s_cbranch_execz .LBB162_917
; %bb.916:                              ;   in Loop: Header=BB162_3 Depth=1
	ds_load_b64 v[40:41], v60 offset:3072
	ds_load_b64 v[42:43], v59
	s_wait_dscnt 0x0
	v_pk_mul_f32 v[96:97], v[42:43], v[40:41] op_sel:[1,1] op_sel_hi:[0,1]
	s_delay_alu instid0(VALU_DEP_1) | instskip(SKIP_1) | instid1(VALU_DEP_2)
	v_pk_fma_f32 v[98:99], v[42:43], v[40:41], v[96:97] op_sel_hi:[1,0,1]
	v_pk_fma_f32 v[40:41], v[42:43], v[40:41], v[96:97] neg_lo:[0,0,1] neg_hi:[0,0,1]
	v_mov_b32_e32 v41, v99
	s_delay_alu instid0(VALU_DEP_1)
	v_pk_add_f32 v[38:39], v[38:39], v[40:41] neg_lo:[0,1] neg_hi:[0,1]
.LBB162_917:                            ;   in Loop: Header=BB162_3 Depth=1
	s_or_b32 exec_lo, exec_lo, s11
	s_barrier_signal -1
	s_barrier_wait -1
	s_and_saveexec_b32 s11, s15
	s_cbranch_execz .LBB162_919
; %bb.918:                              ;   in Loop: Header=BB162_3 Depth=1
	ds_load_b64 v[40:41], v1 offset:2600
	s_wait_dscnt 0x0
	v_pk_mul_f32 v[42:43], v[38:39], v[40:41] op_sel:[1,1] op_sel_hi:[1,0]
	s_delay_alu instid0(VALU_DEP_1) | instskip(SKIP_1) | instid1(VALU_DEP_2)
	v_pk_fma_f32 v[96:97], v[38:39], v[40:41], v[42:43] op_sel_hi:[0,1,1]
	v_pk_fma_f32 v[38:39], v[38:39], v[40:41], v[42:43] neg_lo:[0,0,1] neg_hi:[0,0,1]
	v_mov_b32_e32 v39, v97
	s_delay_alu instid0(VALU_DEP_1)
	v_pk_add_f32 v[40:41], v[38:39], 0 neg_lo:[1,1] neg_hi:[1,1]
	ds_store_b64 v59, v[40:41]
.LBB162_919:                            ;   in Loop: Header=BB162_3 Depth=1
	s_or_b32 exec_lo, exec_lo, s11
	s_wait_dscnt 0x0
	s_barrier_signal -1
	s_barrier_wait -1
	s_and_saveexec_b32 s11, s41
	s_cbranch_execz .LBB162_921
; %bb.920:                              ;   in Loop: Header=BB162_3 Depth=1
	ds_load_b64 v[40:41], v60 offset:2560
	ds_load_b64 v[42:43], v59
	s_wait_dscnt 0x0
	v_pk_mul_f32 v[96:97], v[42:43], v[40:41] op_sel:[1,1] op_sel_hi:[0,1]
	s_delay_alu instid0(VALU_DEP_1) | instskip(SKIP_1) | instid1(VALU_DEP_2)
	v_pk_fma_f32 v[98:99], v[42:43], v[40:41], v[96:97] op_sel_hi:[1,0,1]
	v_pk_fma_f32 v[40:41], v[42:43], v[40:41], v[96:97] neg_lo:[0,0,1] neg_hi:[0,0,1]
	v_mov_b32_e32 v41, v99
	s_delay_alu instid0(VALU_DEP_1)
	v_pk_add_f32 v[38:39], v[38:39], v[40:41] neg_lo:[0,1] neg_hi:[0,1]
.LBB162_921:                            ;   in Loop: Header=BB162_3 Depth=1
	s_or_b32 exec_lo, exec_lo, s11
	s_barrier_signal -1
	s_barrier_wait -1
	s_and_saveexec_b32 s11, s42
	s_cbranch_execz .LBB162_923
; %bb.922:                              ;   in Loop: Header=BB162_3 Depth=1
	ds_load_b64 v[40:41], v1 offset:2080
	s_wait_dscnt 0x0
	v_pk_mul_f32 v[42:43], v[38:39], v[40:41]
	v_pk_mul_f32 v[38:39], v[38:39], v[40:41] op_sel:[1,0] op_sel_hi:[0,1]
	s_delay_alu instid0(VALU_DEP_1) | instskip(NEXT) | instid1(VALU_DEP_3)
	v_dual_mov_b32 v40, v42 :: v_dual_mov_b32 v41, v38
	v_mov_b32_e32 v38, v43
	s_delay_alu instid0(VALU_DEP_1) | instskip(SKIP_1) | instid1(VALU_DEP_2)
	v_pk_add_f32 v[42:43], v[40:41], v[38:39]
	v_pk_add_f32 v[38:39], v[40:41], v[38:39] neg_lo:[0,1] neg_hi:[0,1]
	v_mov_b32_e32 v39, v43
	s_delay_alu instid0(VALU_DEP_1)
	v_pk_add_f32 v[40:41], v[38:39], 0 neg_lo:[1,1] neg_hi:[1,1]
	ds_store_b64 v59, v[40:41]
.LBB162_923:                            ;   in Loop: Header=BB162_3 Depth=1
	s_or_b32 exec_lo, exec_lo, s11
	s_wait_dscnt 0x0
	s_barrier_signal -1
	s_barrier_wait -1
	s_and_saveexec_b32 s11, s43
	s_cbranch_execz .LBB162_925
; %bb.924:                              ;   in Loop: Header=BB162_3 Depth=1
	ds_load_b64 v[40:41], v60 offset:2048
	ds_load_b64 v[42:43], v59
	s_wait_dscnt 0x0
	v_dual_mul_f32 v0, v43, v41 :: v_dual_mul_f32 v41, v42, v41
	s_delay_alu instid0(VALU_DEP_1) | instskip(NEXT) | instid1(VALU_DEP_1)
	v_dual_fma_f32 v0, v42, v40, -v0 :: v_dual_fmac_f32 v41, v43, v40
	v_dual_sub_f32 v38, v38, v0 :: v_dual_sub_f32 v39, v39, v41
.LBB162_925:                            ;   in Loop: Header=BB162_3 Depth=1
	s_or_b32 exec_lo, exec_lo, s11
	s_barrier_signal -1
	s_barrier_wait -1
	s_and_saveexec_b32 s11, s44
	s_cbranch_execz .LBB162_927
; %bb.926:                              ;   in Loop: Header=BB162_3 Depth=1
	ds_load_b64 v[40:41], v1 offset:1560
	s_wait_dscnt 0x0
	v_dual_mul_f32 v0, v39, v40 :: v_dual_mul_f32 v42, v39, v41
	s_delay_alu instid0(VALU_DEP_1) | instskip(NEXT) | instid1(VALU_DEP_2)
	v_pk_fma_f32 v[96:97], v[38:39], v[40:41], v[0:1] op_sel:[1,0,0] op_sel_hi:[0,1,0]
	v_pk_fma_f32 v[38:39], v[38:39], v[40:41], v[42:43] op_sel_hi:[1,1,0] neg_lo:[0,0,1] neg_hi:[0,0,1]
	s_delay_alu instid0(VALU_DEP_2) | instskip(NEXT) | instid1(VALU_DEP_1)
	v_mov_b32_e32 v39, v97
	v_pk_add_f32 v[40:41], v[38:39], 0 neg_lo:[1,1] neg_hi:[1,1]
	ds_store_b64 v59, v[40:41]
.LBB162_927:                            ;   in Loop: Header=BB162_3 Depth=1
	s_or_b32 exec_lo, exec_lo, s11
	s_wait_dscnt 0x0
	s_barrier_signal -1
	s_barrier_wait -1
	s_and_saveexec_b32 s11, s45
	s_cbranch_execz .LBB162_929
; %bb.928:                              ;   in Loop: Header=BB162_3 Depth=1
	ds_load_b64 v[40:41], v60 offset:1536
	ds_load_b64 v[42:43], v59
	s_wait_dscnt 0x0
	v_pk_mul_f32 v[96:97], v[42:43], v[40:41] op_sel:[1,1] op_sel_hi:[0,1]
	s_delay_alu instid0(VALU_DEP_1) | instskip(SKIP_1) | instid1(VALU_DEP_2)
	v_pk_fma_f32 v[98:99], v[42:43], v[40:41], v[96:97] op_sel_hi:[1,0,1]
	v_pk_fma_f32 v[40:41], v[42:43], v[40:41], v[96:97] neg_lo:[0,0,1] neg_hi:[0,0,1]
	v_mov_b32_e32 v41, v99
	s_delay_alu instid0(VALU_DEP_1)
	v_pk_add_f32 v[38:39], v[38:39], v[40:41] neg_lo:[0,1] neg_hi:[0,1]
.LBB162_929:                            ;   in Loop: Header=BB162_3 Depth=1
	s_or_b32 exec_lo, exec_lo, s11
	s_barrier_signal -1
	s_barrier_wait -1
	s_and_saveexec_b32 s11, s46
	s_cbranch_execz .LBB162_931
; %bb.930:                              ;   in Loop: Header=BB162_3 Depth=1
	ds_load_b64 v[40:41], v1 offset:1040
	s_wait_dscnt 0x0
	v_pk_mul_f32 v[42:43], v[38:39], v[40:41] op_sel:[1,1] op_sel_hi:[1,0]
	s_delay_alu instid0(VALU_DEP_1) | instskip(SKIP_1) | instid1(VALU_DEP_2)
	v_pk_fma_f32 v[96:97], v[38:39], v[40:41], v[42:43] op_sel_hi:[0,1,1]
	v_pk_fma_f32 v[38:39], v[38:39], v[40:41], v[42:43] neg_lo:[0,0,1] neg_hi:[0,0,1]
	v_mov_b32_e32 v39, v97
	s_delay_alu instid0(VALU_DEP_1)
	v_pk_add_f32 v[40:41], v[38:39], 0 neg_lo:[1,1] neg_hi:[1,1]
	ds_store_b64 v59, v[40:41]
.LBB162_931:                            ;   in Loop: Header=BB162_3 Depth=1
	s_or_b32 exec_lo, exec_lo, s11
	s_wait_dscnt 0x0
	s_barrier_signal -1
	s_barrier_wait -1
	s_and_saveexec_b32 s11, s47
	s_cbranch_execz .LBB162_933
; %bb.932:                              ;   in Loop: Header=BB162_3 Depth=1
	ds_load_b64 v[40:41], v60 offset:1024
	ds_load_b64 v[42:43], v59
	s_wait_dscnt 0x0
	v_pk_mul_f32 v[96:97], v[42:43], v[40:41] op_sel:[1,1] op_sel_hi:[0,1]
	s_delay_alu instid0(VALU_DEP_1) | instskip(SKIP_1) | instid1(VALU_DEP_2)
	v_pk_fma_f32 v[98:99], v[42:43], v[40:41], v[96:97] op_sel_hi:[1,0,1]
	v_pk_fma_f32 v[40:41], v[42:43], v[40:41], v[96:97] neg_lo:[0,0,1] neg_hi:[0,0,1]
	v_mov_b32_e32 v41, v99
	s_delay_alu instid0(VALU_DEP_1)
	v_pk_add_f32 v[38:39], v[38:39], v[40:41] neg_lo:[0,1] neg_hi:[0,1]
.LBB162_933:                            ;   in Loop: Header=BB162_3 Depth=1
	s_or_b32 exec_lo, exec_lo, s11
	s_barrier_signal -1
	s_barrier_wait -1
	s_and_saveexec_b32 s11, s48
	s_cbranch_execz .LBB162_935
; %bb.934:                              ;   in Loop: Header=BB162_3 Depth=1
	ds_load_b64 v[40:41], v1 offset:520
	s_wait_dscnt 0x0
	v_pk_mul_f32 v[42:43], v[38:39], v[40:41] op_sel:[1,1] op_sel_hi:[1,0]
	s_delay_alu instid0(VALU_DEP_1) | instskip(SKIP_1) | instid1(VALU_DEP_2)
	v_pk_fma_f32 v[96:97], v[38:39], v[40:41], v[42:43] op_sel_hi:[0,1,1]
	v_pk_fma_f32 v[38:39], v[38:39], v[40:41], v[42:43] neg_lo:[0,0,1] neg_hi:[0,0,1]
	v_mov_b32_e32 v39, v97
	s_delay_alu instid0(VALU_DEP_1)
	v_pk_add_f32 v[40:41], v[38:39], 0 neg_lo:[1,1] neg_hi:[1,1]
	ds_store_b64 v59, v[40:41]
.LBB162_935:                            ;   in Loop: Header=BB162_3 Depth=1
	s_or_b32 exec_lo, exec_lo, s11
	s_wait_dscnt 0x0
	s_barrier_signal -1
	s_barrier_wait -1
	s_and_saveexec_b32 s11, s49
	s_cbranch_execz .LBB162_937
; %bb.936:                              ;   in Loop: Header=BB162_3 Depth=1
	ds_load_b64 v[40:41], v1 offset:512
	ds_load_b64 v[42:43], v59
	s_wait_dscnt 0x0
	v_pk_mul_f32 v[96:97], v[42:43], v[40:41] op_sel:[1,1] op_sel_hi:[0,1]
	s_delay_alu instid0(VALU_DEP_1) | instskip(SKIP_1) | instid1(VALU_DEP_2)
	v_pk_fma_f32 v[98:99], v[42:43], v[40:41], v[96:97] op_sel_hi:[1,0,1]
	v_pk_fma_f32 v[40:41], v[42:43], v[40:41], v[96:97] neg_lo:[0,0,1] neg_hi:[0,0,1]
	v_mov_b32_e32 v41, v99
	s_delay_alu instid0(VALU_DEP_1)
	v_pk_add_f32 v[38:39], v[38:39], v[40:41] neg_lo:[0,1] neg_hi:[0,1]
.LBB162_937:                            ;   in Loop: Header=BB162_3 Depth=1
	s_or_b32 exec_lo, exec_lo, s11
	s_barrier_signal -1
	s_barrier_wait -1
	s_and_saveexec_b32 s11, s49
	s_cbranch_execz .LBB162_939
; %bb.938:                              ;   in Loop: Header=BB162_3 Depth=1
	ds_load_b64 v[40:41], v1
	s_wait_dscnt 0x0
	v_pk_mul_f32 v[42:43], v[38:39], v[40:41] op_sel:[1,1] op_sel_hi:[1,0]
	s_delay_alu instid0(VALU_DEP_1) | instskip(SKIP_1) | instid1(VALU_DEP_2)
	v_pk_fma_f32 v[96:97], v[38:39], v[40:41], v[42:43] op_sel_hi:[0,1,1]
	v_pk_fma_f32 v[38:39], v[38:39], v[40:41], v[42:43] neg_lo:[0,0,1] neg_hi:[0,0,1]
	v_mov_b32_e32 v39, v97
	s_delay_alu instid0(VALU_DEP_1)
	v_pk_add_f32 v[40:41], v[38:39], 0 neg_lo:[1,1] neg_hi:[1,1]
	ds_store_b64 v59, v[40:41]
.LBB162_939:                            ;   in Loop: Header=BB162_3 Depth=1
	s_or_b32 exec_lo, exec_lo, s11
	s_wait_dscnt 0x0
	s_barrier_signal -1
	s_barrier_wait -1
	s_barrier_signal -1
	s_barrier_wait -1
	s_and_saveexec_b32 s11, s6
; %bb.940:                              ;   in Loop: Header=BB162_3 Depth=1
	ds_store_b64 v62, v[38:39] offset:7680
; %bb.941:                              ;   in Loop: Header=BB162_3 Depth=1
	s_or_b32 exec_lo, exec_lo, s11
	s_wait_dscnt 0x0
	s_barrier_signal -1
	s_barrier_wait -1
	s_barrier_signal -1
	s_barrier_wait -1
	s_and_saveexec_b32 s11, s50
	s_cbranch_execz .LBB162_943
; %bb.942:                              ;   in Loop: Header=BB162_3 Depth=1
	ds_load_b64 v[38:39], v74 offset:4096
	s_wait_dscnt 0x0
	ds_store_b64 v75, v[38:39] offset:64
	ds_load_b64 v[38:39], v74 offset:4104
	s_wait_dscnt 0x0
	ds_store_b64 v75, v[38:39] offset:576
	ds_load_b64 v[38:39], v74 offset:4112
	s_wait_dscnt 0x0
	ds_store_b64 v75, v[38:39] offset:1088
	ds_load_b64 v[38:39], v74 offset:4120
	s_wait_dscnt 0x0
	ds_store_b64 v75, v[38:39] offset:1600
	ds_load_b64 v[38:39], v74 offset:4128
	s_wait_dscnt 0x0
	ds_store_b64 v75, v[38:39] offset:2112
	ds_load_b64 v[38:39], v74 offset:4136
	s_wait_dscnt 0x0
	ds_store_b64 v75, v[38:39] offset:2624
	ds_load_b64 v[38:39], v74 offset:4144
	s_wait_dscnt 0x0
	ds_store_b64 v75, v[38:39] offset:3136
	ds_load_b64 v[38:39], v74 offset:4152
	s_wait_dscnt 0x0
	ds_store_b64 v75, v[38:39] offset:3648
.LBB162_943:                            ;   in Loop: Header=BB162_3 Depth=1
	s_or_b32 exec_lo, exec_lo, s11
	s_wait_dscnt 0x0
	s_barrier_signal -1
	s_barrier_wait -1
	s_and_saveexec_b32 s11, s14
	s_cbranch_execz .LBB162_945
; %bb.944:                              ;   in Loop: Header=BB162_3 Depth=1
	v_add_nc_u32_e64 v0, 48, 0
	ds_load_b64 v[42:43], v1 offset:3640
	ds_load_2addr_stride64_b64 v[38:41], v0 offset0:6 offset1:7
	s_wait_dscnt 0x0
	v_dual_mul_f32 v44, v43, v39 :: v_dual_mul_f32 v0, v42, v39
	s_delay_alu instid0(VALU_DEP_1) | instskip(NEXT) | instid1(VALU_DEP_2)
	v_xor_b32_e32 v44, 0x80000000, v44
	v_fmac_f32_e32 v0, v43, v38
	s_delay_alu instid0(VALU_DEP_2) | instskip(NEXT) | instid1(VALU_DEP_2)
	v_fmac_f32_e32 v44, v42, v38
	v_pk_mul_f32 v[38:39], v[0:1], v[40:41] op_sel:[0,1] op_sel_hi:[0,0]
	v_add_nc_u32_e64 v0, 0x800, 0
	s_delay_alu instid0(VALU_DEP_2) | instskip(SKIP_1) | instid1(VALU_DEP_2)
	v_pk_fma_f32 v[42:43], v[44:45], v[40:41], v[38:39] op_sel_hi:[0,1,1]
	v_pk_fma_f32 v[38:39], v[44:45], v[40:41], v[38:39] neg_lo:[0,0,1] neg_hi:[0,0,1]
	v_mov_b32_e32 v39, v43
	ds_store_2addr_b64 v0, v[38:39], v[38:39] offset0:135 offset1:198
.LBB162_945:                            ;   in Loop: Header=BB162_3 Depth=1
	s_or_b32 exec_lo, exec_lo, s11
	v_dual_mov_b32 v38, 0 :: v_dual_mov_b32 v39, 0
	s_wait_dscnt 0x0
	s_barrier_signal -1
	s_barrier_wait -1
	global_wb scope:SCOPE_DEV
	s_wait_storecnt 0x0
	global_inv scope:SCOPE_DEV
	s_and_saveexec_b32 s11, s3
	s_cbranch_execz .LBB162_949
; %bb.946:                              ;   in Loop: Header=BB162_3 Depth=1
	ds_load_b64 v[38:39], v47 offset:3104
	ds_load_b64 v[40:41], v48 offset:3632
	s_wait_dscnt 0x0
	v_pk_mul_f32 v[42:43], v[40:41], v[38:39] op_sel:[1,1] op_sel_hi:[0,1]
	s_delay_alu instid0(VALU_DEP_1) | instskip(SKIP_1) | instid1(VALU_DEP_2)
	v_pk_fma_f32 v[96:97], v[40:41], v[38:39], v[42:43] op_sel_hi:[1,0,1]
	v_pk_fma_f32 v[38:39], v[40:41], v[38:39], v[42:43] neg_lo:[0,0,1] neg_hi:[0,0,1]
	v_mov_b32_e32 v39, v97
	s_delay_alu instid0(VALU_DEP_1)
	v_pk_add_f32 v[38:39], v[38:39], 0 op_sel_hi:[1,0]
	s_and_saveexec_b32 s12, s18
	s_cbranch_execz .LBB162_948
; %bb.947:                              ;   in Loop: Header=BB162_3 Depth=1
	ds_load_b64 v[40:41], v75 offset:3616
	ds_load_b64 v[42:43], v1 offset:3640
	s_wait_dscnt 0x0
	v_pk_mul_f32 v[96:97], v[42:43], v[40:41] op_sel:[1,1] op_sel_hi:[0,1]
	s_delay_alu instid0(VALU_DEP_1) | instskip(SKIP_1) | instid1(VALU_DEP_2)
	v_pk_fma_f32 v[98:99], v[42:43], v[40:41], v[96:97] op_sel_hi:[1,0,1]
	v_pk_fma_f32 v[40:41], v[42:43], v[40:41], v[96:97] neg_lo:[0,0,1] neg_hi:[0,0,1]
	v_mov_b32_e32 v41, v99
	s_delay_alu instid0(VALU_DEP_1)
	v_pk_add_f32 v[38:39], v[38:39], v[40:41]
.LBB162_948:                            ;   in Loop: Header=BB162_3 Depth=1
	s_or_b32 exec_lo, exec_lo, s12
.LBB162_949:                            ;   in Loop: Header=BB162_3 Depth=1
	s_delay_alu instid0(SALU_CYCLE_1)
	s_or_b32 exec_lo, exec_lo, s11
	s_and_saveexec_b32 s11, s92
	s_cbranch_execz .LBB162_951
; %bb.950:                              ;   in Loop: Header=BB162_3 Depth=1
	ds_load_b64 v[40:41], v1 offset:2600
	s_wait_dscnt 0x0
	v_pk_mul_f32 v[42:43], v[38:39], v[40:41] op_sel:[1,1] op_sel_hi:[1,0]
	s_delay_alu instid0(VALU_DEP_1) | instskip(SKIP_1) | instid1(VALU_DEP_2)
	v_pk_fma_f32 v[96:97], v[38:39], v[40:41], v[42:43] op_sel_hi:[0,1,1]
	v_pk_fma_f32 v[38:39], v[38:39], v[40:41], v[42:43] neg_lo:[0,0,1] neg_hi:[0,0,1]
	v_mov_b32_e32 v39, v97
	s_delay_alu instid0(VALU_DEP_1)
	v_pk_add_f32 v[40:41], v[38:39], 0 neg_lo:[1,1] neg_hi:[1,1]
	ds_store_b64 v3, v[40:41]
.LBB162_951:                            ;   in Loop: Header=BB162_3 Depth=1
	s_or_b32 exec_lo, exec_lo, s11
	s_wait_loadcnt_dscnt 0x0
	s_barrier_signal -1
	s_barrier_wait -1
	s_and_saveexec_b32 s11, s93
	s_cbranch_execz .LBB162_953
; %bb.952:                              ;   in Loop: Header=BB162_3 Depth=1
	ds_load_b64 v[40:41], v1 offset:2592
	ds_load_b64 v[42:43], v3
	s_wait_dscnt 0x0
	v_pk_mul_f32 v[96:97], v[42:43], v[40:41] op_sel:[1,1] op_sel_hi:[0,1]
	s_delay_alu instid0(VALU_DEP_1) | instskip(SKIP_1) | instid1(VALU_DEP_2)
	v_pk_fma_f32 v[98:99], v[42:43], v[40:41], v[96:97] op_sel_hi:[1,0,1]
	v_pk_fma_f32 v[40:41], v[42:43], v[40:41], v[96:97] neg_lo:[0,0,1] neg_hi:[0,0,1]
	v_mov_b32_e32 v41, v99
	s_delay_alu instid0(VALU_DEP_1)
	v_pk_add_f32 v[38:39], v[38:39], v[40:41] neg_lo:[0,1] neg_hi:[0,1]
.LBB162_953:                            ;   in Loop: Header=BB162_3 Depth=1
	s_or_b32 exec_lo, exec_lo, s11
	s_barrier_signal -1
	s_barrier_wait -1
	s_and_saveexec_b32 s11, s93
	s_cbranch_execz .LBB162_955
; %bb.954:                              ;   in Loop: Header=BB162_3 Depth=1
	ds_load_b64 v[40:41], v1 offset:2080
	s_wait_dscnt 0x0
	v_pk_mul_f32 v[42:43], v[38:39], v[40:41] op_sel:[1,1] op_sel_hi:[1,0]
	s_delay_alu instid0(VALU_DEP_1) | instskip(SKIP_1) | instid1(VALU_DEP_2)
	v_pk_fma_f32 v[96:97], v[38:39], v[40:41], v[42:43] op_sel_hi:[0,1,1]
	v_pk_fma_f32 v[38:39], v[38:39], v[40:41], v[42:43] neg_lo:[0,0,1] neg_hi:[0,0,1]
	v_mov_b32_e32 v39, v97
	s_delay_alu instid0(VALU_DEP_1)
	v_pk_add_f32 v[40:41], v[38:39], 0 neg_lo:[1,1] neg_hi:[1,1]
	ds_store_b64 v3, v[40:41]
.LBB162_955:                            ;   in Loop: Header=BB162_3 Depth=1
	s_or_b32 exec_lo, exec_lo, s11
	s_wait_dscnt 0x0
	s_barrier_signal -1
	s_barrier_wait -1
	s_barrier_signal -1
	s_barrier_wait -1
	s_and_saveexec_b32 s11, s3
; %bb.956:                              ;   in Loop: Header=BB162_3 Depth=1
	ds_store_b64 v50, v[38:39] offset:3616
; %bb.957:                              ;   in Loop: Header=BB162_3 Depth=1
	s_or_b32 exec_lo, exec_lo, s11
	s_wait_dscnt 0x0
	s_barrier_signal -1
	s_barrier_wait -1
	s_barrier_signal -1
	s_barrier_wait -1
	s_and_saveexec_b32 s11, s94
	s_cbranch_execz .LBB162_959
; %bb.958:                              ;   in Loop: Header=BB162_3 Depth=1
	ds_load_b64 v[38:39], v77 offset:3104
	s_wait_dscnt 0x0
	ds_store_b64 v75, v[38:39] offset:2096
	ds_load_b64 v[38:39], v77 offset:3112
	s_wait_dscnt 0x0
	ds_store_b64 v75, v[38:39] offset:2608
.LBB162_959:                            ;   in Loop: Header=BB162_3 Depth=1
	s_or_b32 exec_lo, exec_lo, s11
	s_wait_dscnt 0x0
	s_barrier_signal -1
	s_barrier_wait -1
	s_and_saveexec_b32 s11, s14
	s_cbranch_execz .LBB162_961
; %bb.960:                              ;   in Loop: Header=BB162_3 Depth=1
	v_add_nc_u32_e64 v0, 32, 0
	ds_load_b64 v[42:43], v1 offset:2600
	ds_load_2addr_stride64_b64 v[38:41], v0 offset0:4 offset1:5
	s_wait_dscnt 0x0
	v_dual_mul_f32 v44, v43, v39 :: v_dual_mul_f32 v0, v42, v39
	s_delay_alu instid0(VALU_DEP_1) | instskip(NEXT) | instid1(VALU_DEP_2)
	v_xor_b32_e32 v44, 0x80000000, v44
	v_fmac_f32_e32 v0, v43, v38
	s_delay_alu instid0(VALU_DEP_2) | instskip(NEXT) | instid1(VALU_DEP_2)
	v_fmac_f32_e32 v44, v42, v38
	v_pk_mul_f32 v[38:39], v[0:1], v[40:41] op_sel:[0,1] op_sel_hi:[0,0]
	v_add_nc_u32_e64 v0, 0x800, 0
	s_delay_alu instid0(VALU_DEP_2) | instskip(SKIP_1) | instid1(VALU_DEP_2)
	v_pk_fma_f32 v[42:43], v[44:45], v[40:41], v[38:39] op_sel_hi:[0,1,1]
	v_pk_fma_f32 v[38:39], v[44:45], v[40:41], v[38:39] neg_lo:[0,0,1] neg_hi:[0,0,1]
	v_mov_b32_e32 v39, v43
	ds_store_2addr_b64 v0, v[38:39], v[38:39] offset0:5 offset1:68
.LBB162_961:                            ;   in Loop: Header=BB162_3 Depth=1
	s_or_b32 exec_lo, exec_lo, s11
	v_mov_b64_e32 v[38:39], 0
	s_wait_dscnt 0x0
	s_barrier_signal -1
	s_barrier_wait -1
	global_wb scope:SCOPE_DEV
	s_wait_storecnt 0x0
	global_inv scope:SCOPE_DEV
	s_and_saveexec_b32 s11, s5
	s_cbranch_execz .LBB162_967
; %bb.962:                              ;   in Loop: Header=BB162_3 Depth=1
	ds_load_b64 v[38:39], v53 offset:2048
	ds_load_b64 v[40:41], v54 offset:3616
	s_wait_dscnt 0x0
	v_dual_mul_f32 v0, v41, v39 :: v_dual_mul_f32 v39, v40, v39
	s_delay_alu instid0(VALU_DEP_1) | instskip(NEXT) | instid1(VALU_DEP_1)
	v_dual_fma_f32 v0, v40, v38, -v0 :: v_dual_fmac_f32 v39, v41, v38
	v_dual_add_f32 v38, 0, v0 :: v_dual_add_f32 v39, 0, v39
	s_and_saveexec_b32 s12, s19
	s_cbranch_execnz .LBB162_1172
; %bb.963:                              ;   in Loop: Header=BB162_3 Depth=1
	s_or_b32 exec_lo, exec_lo, s12
	s_and_saveexec_b32 s12, s20
	s_cbranch_execnz .LBB162_1173
.LBB162_964:                            ;   in Loop: Header=BB162_3 Depth=1
	s_or_b32 exec_lo, exec_lo, s12
	s_and_saveexec_b32 s12, s3
	s_cbranch_execz .LBB162_966
.LBB162_965:                            ;   in Loop: Header=BB162_3 Depth=1
	ds_load_b64 v[40:41], v79 offset:3584
	ds_load_b64 v[42:43], v1 offset:3640
	s_wait_dscnt 0x0
	v_dual_mul_f32 v0, v43, v41 :: v_dual_mul_f32 v41, v42, v41
	s_delay_alu instid0(VALU_DEP_1) | instskip(NEXT) | instid1(VALU_DEP_1)
	v_dual_fma_f32 v0, v42, v40, -v0 :: v_dual_fmac_f32 v41, v43, v40
	v_dual_add_f32 v38, v38, v0 :: v_dual_add_f32 v39, v39, v41
.LBB162_966:                            ;   in Loop: Header=BB162_3 Depth=1
	s_or_b32 exec_lo, exec_lo, s12
.LBB162_967:                            ;   in Loop: Header=BB162_3 Depth=1
	s_delay_alu instid0(SALU_CYCLE_1)
	s_or_b32 exec_lo, exec_lo, s11
	s_and_saveexec_b32 s11, s95
	s_cbranch_execz .LBB162_969
; %bb.968:                              ;   in Loop: Header=BB162_3 Depth=1
	ds_load_b64 v[40:41], v1 offset:1560
	s_wait_dscnt 0x0
	v_dual_mul_f32 v0, v39, v40 :: v_dual_mul_f32 v42, v39, v41
	s_delay_alu instid0(VALU_DEP_1) | instskip(NEXT) | instid1(VALU_DEP_2)
	v_pk_fma_f32 v[96:97], v[38:39], v[40:41], v[0:1] op_sel:[1,0,0] op_sel_hi:[0,1,0]
	v_pk_fma_f32 v[38:39], v[38:39], v[40:41], v[42:43] op_sel_hi:[1,1,0] neg_lo:[0,0,1] neg_hi:[0,0,1]
	s_delay_alu instid0(VALU_DEP_2) | instskip(NEXT) | instid1(VALU_DEP_1)
	v_mov_b32_e32 v39, v97
	v_pk_add_f32 v[40:41], v[38:39], 0 neg_lo:[1,1] neg_hi:[1,1]
	ds_store_b64 v52, v[40:41]
.LBB162_969:                            ;   in Loop: Header=BB162_3 Depth=1
	s_or_b32 exec_lo, exec_lo, s11
	s_wait_loadcnt_dscnt 0x0
	s_barrier_signal -1
	s_barrier_wait -1
	s_and_saveexec_b32 s11, s96
	s_cbranch_execz .LBB162_971
; %bb.970:                              ;   in Loop: Header=BB162_3 Depth=1
	ds_load_b64 v[40:41], v53 offset:1536
	ds_load_b64 v[42:43], v52
	s_wait_dscnt 0x0
	v_pk_mul_f32 v[96:97], v[42:43], v[40:41] op_sel:[1,1] op_sel_hi:[0,1]
	s_delay_alu instid0(VALU_DEP_1) | instskip(SKIP_1) | instid1(VALU_DEP_2)
	v_pk_fma_f32 v[98:99], v[42:43], v[40:41], v[96:97] op_sel_hi:[1,0,1]
	v_pk_fma_f32 v[40:41], v[42:43], v[40:41], v[96:97] neg_lo:[0,0,1] neg_hi:[0,0,1]
	v_mov_b32_e32 v41, v99
	s_delay_alu instid0(VALU_DEP_1)
	v_pk_add_f32 v[38:39], v[38:39], v[40:41] neg_lo:[0,1] neg_hi:[0,1]
.LBB162_971:                            ;   in Loop: Header=BB162_3 Depth=1
	s_or_b32 exec_lo, exec_lo, s11
	s_barrier_signal -1
	s_barrier_wait -1
	s_and_saveexec_b32 s11, s97
	s_cbranch_execz .LBB162_973
; %bb.972:                              ;   in Loop: Header=BB162_3 Depth=1
	ds_load_b64 v[40:41], v1 offset:1040
	s_wait_dscnt 0x0
	v_pk_mul_f32 v[42:43], v[38:39], v[40:41] op_sel:[1,1] op_sel_hi:[1,0]
	s_delay_alu instid0(VALU_DEP_1) | instskip(SKIP_1) | instid1(VALU_DEP_2)
	v_pk_fma_f32 v[96:97], v[38:39], v[40:41], v[42:43] op_sel_hi:[0,1,1]
	v_pk_fma_f32 v[38:39], v[38:39], v[40:41], v[42:43] neg_lo:[0,0,1] neg_hi:[0,0,1]
	v_mov_b32_e32 v39, v97
	s_delay_alu instid0(VALU_DEP_1)
	v_pk_add_f32 v[40:41], v[38:39], 0 neg_lo:[1,1] neg_hi:[1,1]
	ds_store_b64 v52, v[40:41]
.LBB162_973:                            ;   in Loop: Header=BB162_3 Depth=1
	s_or_b32 exec_lo, exec_lo, s11
	s_wait_dscnt 0x0
	s_barrier_signal -1
	s_barrier_wait -1
	s_and_saveexec_b32 s11, s98
	s_cbranch_execz .LBB162_975
; %bb.974:                              ;   in Loop: Header=BB162_3 Depth=1
	ds_load_b64 v[40:41], v53 offset:1024
	ds_load_b64 v[42:43], v52
	s_wait_dscnt 0x0
	v_pk_mul_f32 v[96:97], v[42:43], v[40:41] op_sel:[1,1] op_sel_hi:[0,1]
	s_delay_alu instid0(VALU_DEP_1) | instskip(SKIP_1) | instid1(VALU_DEP_2)
	v_pk_fma_f32 v[98:99], v[42:43], v[40:41], v[96:97] op_sel_hi:[1,0,1]
	v_pk_fma_f32 v[40:41], v[42:43], v[40:41], v[96:97] neg_lo:[0,0,1] neg_hi:[0,0,1]
	v_mov_b32_e32 v41, v99
	s_delay_alu instid0(VALU_DEP_1)
	v_pk_add_f32 v[38:39], v[38:39], v[40:41] neg_lo:[0,1] neg_hi:[0,1]
.LBB162_975:                            ;   in Loop: Header=BB162_3 Depth=1
	s_or_b32 exec_lo, exec_lo, s11
	s_barrier_signal -1
	s_barrier_wait -1
	s_and_saveexec_b32 s11, s99
	s_cbranch_execz .LBB162_977
; %bb.976:                              ;   in Loop: Header=BB162_3 Depth=1
	ds_load_b64 v[40:41], v1 offset:520
	s_wait_dscnt 0x0
	v_pk_mul_f32 v[42:43], v[38:39], v[40:41] op_sel:[1,1] op_sel_hi:[1,0]
	s_delay_alu instid0(VALU_DEP_1) | instskip(SKIP_1) | instid1(VALU_DEP_2)
	v_pk_fma_f32 v[96:97], v[38:39], v[40:41], v[42:43] op_sel_hi:[0,1,1]
	v_pk_fma_f32 v[38:39], v[38:39], v[40:41], v[42:43] neg_lo:[0,0,1] neg_hi:[0,0,1]
	v_mov_b32_e32 v39, v97
	s_delay_alu instid0(VALU_DEP_1)
	v_pk_add_f32 v[40:41], v[38:39], 0 neg_lo:[1,1] neg_hi:[1,1]
	ds_store_b64 v52, v[40:41]
.LBB162_977:                            ;   in Loop: Header=BB162_3 Depth=1
	s_or_b32 exec_lo, exec_lo, s11
	s_wait_dscnt 0x0
	s_barrier_signal -1
	s_barrier_wait -1
	s_and_saveexec_b32 s11, s100
	s_cbranch_execz .LBB162_979
; %bb.978:                              ;   in Loop: Header=BB162_3 Depth=1
	ds_load_b64 v[40:41], v1 offset:512
	ds_load_b64 v[42:43], v52
	s_wait_dscnt 0x0
	v_pk_mul_f32 v[96:97], v[42:43], v[40:41] op_sel:[1,1] op_sel_hi:[0,1]
	s_delay_alu instid0(VALU_DEP_1) | instskip(SKIP_1) | instid1(VALU_DEP_2)
	v_pk_fma_f32 v[98:99], v[42:43], v[40:41], v[96:97] op_sel_hi:[1,0,1]
	v_pk_fma_f32 v[40:41], v[42:43], v[40:41], v[96:97] neg_lo:[0,0,1] neg_hi:[0,0,1]
	v_mov_b32_e32 v41, v99
	s_delay_alu instid0(VALU_DEP_1)
	v_pk_add_f32 v[38:39], v[38:39], v[40:41] neg_lo:[0,1] neg_hi:[0,1]
.LBB162_979:                            ;   in Loop: Header=BB162_3 Depth=1
	s_or_b32 exec_lo, exec_lo, s11
	s_barrier_signal -1
	s_barrier_wait -1
	s_and_saveexec_b32 s11, s100
	s_cbranch_execz .LBB162_981
; %bb.980:                              ;   in Loop: Header=BB162_3 Depth=1
	ds_load_b64 v[40:41], v1
	s_wait_dscnt 0x0
	v_pk_mul_f32 v[42:43], v[38:39], v[40:41] op_sel:[1,1] op_sel_hi:[1,0]
	s_delay_alu instid0(VALU_DEP_1) | instskip(SKIP_1) | instid1(VALU_DEP_2)
	v_pk_fma_f32 v[96:97], v[38:39], v[40:41], v[42:43] op_sel_hi:[0,1,1]
	v_pk_fma_f32 v[38:39], v[38:39], v[40:41], v[42:43] neg_lo:[0,0,1] neg_hi:[0,0,1]
	v_mov_b32_e32 v39, v97
	s_delay_alu instid0(VALU_DEP_1)
	v_pk_add_f32 v[40:41], v[38:39], 0 neg_lo:[1,1] neg_hi:[1,1]
	ds_store_b64 v52, v[40:41]
.LBB162_981:                            ;   in Loop: Header=BB162_3 Depth=1
	s_or_b32 exec_lo, exec_lo, s11
	s_wait_dscnt 0x0
	s_barrier_signal -1
	s_barrier_wait -1
	s_barrier_signal -1
	s_barrier_wait -1
	s_and_saveexec_b32 s11, s5
; %bb.982:                              ;   in Loop: Header=BB162_3 Depth=1
	ds_store_b64 v57, v[38:39] offset:3584
; %bb.983:                              ;   in Loop: Header=BB162_3 Depth=1
	s_or_b32 exec_lo, exec_lo, s11
	s_wait_dscnt 0x0
	s_barrier_signal -1
	s_barrier_wait -1
	s_barrier_signal -1
	s_barrier_wait -1
	s_and_saveexec_b32 s11, s101
	s_cbranch_execz .LBB162_985
; %bb.984:                              ;   in Loop: Header=BB162_3 Depth=1
	ds_load_b64 v[38:39], v81 offset:2048
	s_wait_dscnt 0x0
	ds_store_b64 v83, v[38:39] offset:32
	ds_load_b64 v[38:39], v81 offset:2056
	s_wait_dscnt 0x0
	ds_store_b64 v83, v[38:39] offset:544
	;; [unrolled: 3-line block ×4, first 2 shown]
.LBB162_985:                            ;   in Loop: Header=BB162_3 Depth=1
	s_or_b32 exec_lo, exec_lo, s11
	s_wait_dscnt 0x0
	s_barrier_signal -1
	s_barrier_wait -1
	s_and_saveexec_b32 s11, s14
	s_cbranch_execz .LBB162_987
; %bb.986:                              ;   in Loop: Header=BB162_3 Depth=1
	ds_load_2addr_b64 v[38:41], v1 offset0:130 offset1:194
	ds_load_b64 v[42:43], v1 offset:1560
	s_wait_dscnt 0x0
	v_dual_mul_f32 v44, v43, v39 :: v_dual_mul_f32 v0, v42, v39
	s_delay_alu instid0(VALU_DEP_1) | instskip(NEXT) | instid1(VALU_DEP_2)
	v_xor_b32_e32 v44, 0x80000000, v44
	v_fmac_f32_e32 v0, v43, v38
	s_delay_alu instid0(VALU_DEP_2) | instskip(NEXT) | instid1(VALU_DEP_2)
	v_fmac_f32_e32 v44, v42, v38
	v_pk_mul_f32 v[38:39], v[0:1], v[40:41] op_sel:[0,1] op_sel_hi:[0,0]
	s_delay_alu instid0(VALU_DEP_1) | instskip(SKIP_1) | instid1(VALU_DEP_2)
	v_pk_fma_f32 v[42:43], v[44:45], v[40:41], v[38:39] op_sel_hi:[0,1,1]
	v_pk_fma_f32 v[38:39], v[44:45], v[40:41], v[38:39] neg_lo:[0,0,1] neg_hi:[0,0,1]
	v_mov_b32_e32 v39, v43
	ds_store_2addr_b64 v1, v[38:39], v[38:39] offset0:131 offset1:194
.LBB162_987:                            ;   in Loop: Header=BB162_3 Depth=1
	s_or_b32 exec_lo, exec_lo, s11
	v_dual_mov_b32 v38, 0 :: v_dual_mov_b32 v39, 0
	s_wait_dscnt 0x0
	s_barrier_signal -1
	s_barrier_wait -1
	global_wb scope:SCOPE_DEV
	s_wait_storecnt 0x0
	global_inv scope:SCOPE_DEV
	s_and_saveexec_b32 s11, s3
	s_cbranch_execz .LBB162_991
; %bb.988:                              ;   in Loop: Header=BB162_3 Depth=1
	ds_load_b64 v[38:39], v47 offset:1024
	ds_load_b64 v[40:41], v48 offset:1552
	s_wait_dscnt 0x0
	v_pk_mul_f32 v[42:43], v[40:41], v[38:39] op_sel:[1,1] op_sel_hi:[0,1]
	s_delay_alu instid0(VALU_DEP_1) | instskip(SKIP_1) | instid1(VALU_DEP_2)
	v_pk_fma_f32 v[96:97], v[40:41], v[38:39], v[42:43] op_sel_hi:[1,0,1]
	v_pk_fma_f32 v[38:39], v[40:41], v[38:39], v[42:43] neg_lo:[0,0,1] neg_hi:[0,0,1]
	v_mov_b32_e32 v39, v97
	s_delay_alu instid0(VALU_DEP_1)
	v_pk_add_f32 v[38:39], v[38:39], 0 op_sel_hi:[1,0]
	s_and_saveexec_b32 s12, s18
	s_cbranch_execz .LBB162_990
; %bb.989:                              ;   in Loop: Header=BB162_3 Depth=1
	ds_load_b64 v[40:41], v83 offset:1536
	ds_load_b64 v[42:43], v1 offset:1560
	s_wait_dscnt 0x0
	v_pk_mul_f32 v[96:97], v[42:43], v[40:41] op_sel:[1,1] op_sel_hi:[0,1]
	s_delay_alu instid0(VALU_DEP_1) | instskip(SKIP_1) | instid1(VALU_DEP_2)
	v_pk_fma_f32 v[98:99], v[42:43], v[40:41], v[96:97] op_sel_hi:[1,0,1]
	v_pk_fma_f32 v[40:41], v[42:43], v[40:41], v[96:97] neg_lo:[0,0,1] neg_hi:[0,0,1]
	v_mov_b32_e32 v41, v99
	s_delay_alu instid0(VALU_DEP_1)
	v_pk_add_f32 v[38:39], v[38:39], v[40:41]
.LBB162_990:                            ;   in Loop: Header=BB162_3 Depth=1
	s_or_b32 exec_lo, exec_lo, s12
.LBB162_991:                            ;   in Loop: Header=BB162_3 Depth=1
	s_delay_alu instid0(SALU_CYCLE_1)
	s_or_b32 exec_lo, exec_lo, s11
	s_and_saveexec_b32 s11, s92
	s_cbranch_execz .LBB162_993
; %bb.992:                              ;   in Loop: Header=BB162_3 Depth=1
	ds_load_b64 v[40:41], v1 offset:520
	s_wait_dscnt 0x0
	v_pk_mul_f32 v[42:43], v[38:39], v[40:41] op_sel:[1,1] op_sel_hi:[1,0]
	s_delay_alu instid0(VALU_DEP_1) | instskip(SKIP_1) | instid1(VALU_DEP_2)
	v_pk_fma_f32 v[96:97], v[38:39], v[40:41], v[42:43] op_sel_hi:[0,1,1]
	v_pk_fma_f32 v[38:39], v[38:39], v[40:41], v[42:43] neg_lo:[0,0,1] neg_hi:[0,0,1]
	v_mov_b32_e32 v39, v97
	s_delay_alu instid0(VALU_DEP_1)
	v_pk_add_f32 v[40:41], v[38:39], 0 neg_lo:[1,1] neg_hi:[1,1]
	ds_store_b64 v3, v[40:41]
.LBB162_993:                            ;   in Loop: Header=BB162_3 Depth=1
	s_or_b32 exec_lo, exec_lo, s11
	s_wait_loadcnt_dscnt 0x0
	s_barrier_signal -1
	s_barrier_wait -1
	s_and_saveexec_b32 s11, s93
	s_cbranch_execz .LBB162_995
; %bb.994:                              ;   in Loop: Header=BB162_3 Depth=1
	ds_load_b64 v[40:41], v1 offset:512
	ds_load_b64 v[42:43], v3
	s_wait_dscnt 0x0
	v_pk_mul_f32 v[96:97], v[42:43], v[40:41] op_sel:[1,1] op_sel_hi:[0,1]
	s_delay_alu instid0(VALU_DEP_1) | instskip(SKIP_1) | instid1(VALU_DEP_2)
	v_pk_fma_f32 v[98:99], v[42:43], v[40:41], v[96:97] op_sel_hi:[1,0,1]
	v_pk_fma_f32 v[40:41], v[42:43], v[40:41], v[96:97] neg_lo:[0,0,1] neg_hi:[0,0,1]
	v_mov_b32_e32 v41, v99
	s_delay_alu instid0(VALU_DEP_1)
	v_pk_add_f32 v[38:39], v[38:39], v[40:41] neg_lo:[0,1] neg_hi:[0,1]
.LBB162_995:                            ;   in Loop: Header=BB162_3 Depth=1
	s_or_b32 exec_lo, exec_lo, s11
	s_barrier_signal -1
	s_barrier_wait -1
	s_and_saveexec_b32 s11, s93
	s_cbranch_execz .LBB162_997
; %bb.996:                              ;   in Loop: Header=BB162_3 Depth=1
	ds_load_b64 v[40:41], v1
	s_wait_dscnt 0x0
	v_pk_mul_f32 v[42:43], v[38:39], v[40:41] op_sel:[1,1] op_sel_hi:[1,0]
	s_delay_alu instid0(VALU_DEP_1) | instskip(SKIP_1) | instid1(VALU_DEP_2)
	v_pk_fma_f32 v[96:97], v[38:39], v[40:41], v[42:43] op_sel_hi:[0,1,1]
	v_pk_fma_f32 v[38:39], v[38:39], v[40:41], v[42:43] neg_lo:[0,0,1] neg_hi:[0,0,1]
	v_mov_b32_e32 v39, v97
	s_delay_alu instid0(VALU_DEP_1)
	v_pk_add_f32 v[40:41], v[38:39], 0 neg_lo:[1,1] neg_hi:[1,1]
	ds_store_b64 v3, v[40:41]
.LBB162_997:                            ;   in Loop: Header=BB162_3 Depth=1
	s_or_b32 exec_lo, exec_lo, s11
	s_wait_dscnt 0x0
	s_barrier_signal -1
	s_barrier_wait -1
	s_barrier_signal -1
	s_barrier_wait -1
	s_and_saveexec_b32 s11, s3
; %bb.998:                              ;   in Loop: Header=BB162_3 Depth=1
	ds_store_b64 v50, v[38:39] offset:1536
; %bb.999:                              ;   in Loop: Header=BB162_3 Depth=1
	s_or_b32 exec_lo, exec_lo, s11
	s_wait_dscnt 0x0
	s_barrier_signal -1
	s_barrier_wait -1
	s_barrier_signal -1
	s_barrier_wait -1
	s_and_saveexec_b32 s11, s94
	s_cbranch_execz .LBB162_1001
; %bb.1000:                             ;   in Loop: Header=BB162_3 Depth=1
	ds_load_b64 v[38:39], v84 offset:1024
	s_wait_dscnt 0x0
	ds_store_b64 v83, v[38:39] offset:16
	ds_load_b64 v[38:39], v84 offset:1032
	s_wait_dscnt 0x0
	ds_store_b64 v83, v[38:39] offset:528
.LBB162_1001:                           ;   in Loop: Header=BB162_3 Depth=1
	s_or_b32 exec_lo, exec_lo, s11
	s_wait_dscnt 0x0
	s_barrier_signal -1
	s_barrier_wait -1
	s_and_saveexec_b32 s11, s14
	s_cbranch_execz .LBB162_1003
; %bb.1002:                             ;   in Loop: Header=BB162_3 Depth=1
	ds_load_2addr_stride64_b64 v[38:41], v1 offset1:1
	ds_load_b64 v[42:43], v1 offset:520
	s_wait_dscnt 0x0
	v_dual_mul_f32 v44, v43, v39 :: v_dual_mul_f32 v0, v42, v39
	s_delay_alu instid0(VALU_DEP_1) | instskip(NEXT) | instid1(VALU_DEP_2)
	v_xor_b32_e32 v44, 0x80000000, v44
	v_fmac_f32_e32 v0, v43, v38
	s_delay_alu instid0(VALU_DEP_2) | instskip(NEXT) | instid1(VALU_DEP_2)
	v_fmac_f32_e32 v44, v42, v38
	v_pk_mul_f32 v[38:39], v[0:1], v[40:41] op_sel:[0,1] op_sel_hi:[0,0]
	s_delay_alu instid0(VALU_DEP_1) | instskip(SKIP_1) | instid1(VALU_DEP_2)
	v_pk_fma_f32 v[42:43], v[44:45], v[40:41], v[38:39] op_sel_hi:[0,1,1]
	v_pk_fma_f32 v[38:39], v[44:45], v[40:41], v[38:39] neg_lo:[0,0,1] neg_hi:[0,0,1]
	v_mov_b32_e32 v39, v43
	ds_store_2addr_b64 v1, v[38:39], v[38:39] offset0:1 offset1:64
.LBB162_1003:                           ;   in Loop: Header=BB162_3 Depth=1
	s_or_b32 exec_lo, exec_lo, s11
.LBB162_1004:                           ;   in Loop: Header=BB162_3 Depth=1
	v_add_nc_u64_e32 v[36:37], s[74:75], v[36:37]
	v_mov_b64_e32 v[38:39], 0
	s_wait_dscnt 0x0
	s_barrier_signal -1
	s_barrier_wait -1
	s_wait_xcnt 0x0
	s_and_saveexec_b32 s11, s52
	s_cbranch_execz .LBB162_1006
; %bb.1005:                             ;   in Loop: Header=BB162_3 Depth=1
	v_lshl_add_u64 v[38:39], v[10:11], 3, v[36:37]
	v_readlane_b32 s16, v105, 22
	v_readlane_b32 s17, v105, 23
	flat_load_b64 v[38:39], v[38:39]
	v_mov_b64_e32 v[40:41], s[16:17]
	v_readlane_b32 s16, v105, 24
	v_readlane_b32 s17, v105, 25
	s_delay_alu instid0(VALU_DEP_1) | instskip(SKIP_1) | instid1(VALU_DEP_4)
	v_mov_b64_e32 v[42:43], s[16:17]
	s_wait_loadcnt_dscnt 0x0
	v_pk_mul_f32 v[40:41], v[40:41], v[38:39]
	s_delay_alu instid0(VALU_DEP_1)
	v_pk_fma_f32 v[38:39], v[42:43], v[38:39], v[40:41] op_sel:[0,0,1] op_sel_hi:[1,1,0] neg_lo:[1,0,0] neg_hi:[1,0,0]
.LBB162_1006:                           ;   in Loop: Header=BB162_3 Depth=1
	s_or_b32 exec_lo, exec_lo, s11
	s_delay_alu instid0(SALU_CYCLE_1)
	s_and_not1_b32 vcc_lo, exec_lo, s53
	s_cbranch_vccnz .LBB162_1041
; %bb.1007:                             ;   in Loop: Header=BB162_3 Depth=1
	v_mov_b32_e32 v96, -1
	s_lshl_b64 s[84:85], s[66:67], 2
	s_mov_b32 s11, 0
	s_add_nc_u64 s[84:85], s[80:81], s[84:85]
	s_branch .LBB162_1010
.LBB162_1008:                           ;   in Loop: Header=BB162_1010 Depth=2
	s_wait_xcnt 0x0
	ds_load_b64 v[40:41], v86 offset:384
	s_wait_loadcnt_dscnt 0x0
	v_pk_mul_f32 v[42:43], v[42:43], v[40:41] op_sel:[0,1] op_sel_hi:[0,0]
	s_delay_alu instid0(VALU_DEP_1) | instskip(SKIP_1) | instid1(VALU_DEP_2)
	v_pk_fma_f32 v[98:99], v[0:1], v[40:41], v[42:43] op_sel_hi:[0,1,1] neg_lo:[0,0,1] neg_hi:[0,0,1]
	v_pk_fma_f32 v[40:41], v[0:1], v[40:41], v[42:43]
	v_mov_b32_e32 v41, v99
	s_delay_alu instid0(VALU_DEP_1)
	v_pk_add_f32 v[38:39], v[38:39], v[40:41]
.LBB162_1009:                           ;   in Loop: Header=BB162_1010 Depth=2
	s_or_b32 exec_lo, exec_lo, s65
	s_add_co_i32 s11, s11, 1
	s_delay_alu instid0(SALU_CYCLE_1)
	s_cmp_eq_u32 s11, s88
	s_cbranch_scc1 .LBB162_1041
.LBB162_1010:                           ;   Parent Loop BB162_3 Depth=1
                                        ; =>  This Loop Header: Depth=2
                                        ;       Child Loop BB162_1012 Depth 3
	v_cmp_gt_i32_e32 vcc_lo, s11, v96
	s_and_b32 s65, s39, vcc_lo
	s_delay_alu instid0(SALU_CYCLE_1)
	s_and_saveexec_b32 s12, s65
	s_cbranch_execz .LBB162_1013
; %bb.1011:                             ;   in Loop: Header=BB162_1010 Depth=2
	global_load_b32 v96, v1, s[84:85]
	s_wait_loadcnt 0x0
	v_cmp_le_i32_e32 vcc_lo, s11, v96
	s_cbranch_vccnz .LBB162_1013
.LBB162_1012:                           ;   Parent Loop BB162_3 Depth=1
                                        ;     Parent Loop BB162_1010 Depth=2
                                        ; =>    This Inner Loop Header: Depth=3
	global_wb scope:SCOPE_DEV
	s_wait_storecnt 0x0
	global_inv scope:SCOPE_DEV
	global_load_b32 v96, v1, s[84:85]
	s_wait_loadcnt 0x0
	v_cmp_gt_i32_e32 vcc_lo, s11, v96
	s_cbranch_vccnz .LBB162_1012
.LBB162_1013:                           ;   in Loop: Header=BB162_1010 Depth=2
	s_or_b32 exec_lo, exec_lo, s12
	s_lshl_b32 s65, s11, 6
	global_wb scope:SCOPE_DEV
	s_wait_storecnt 0x0
	global_inv scope:SCOPE_DEV
	s_wait_loadcnt 0x0
	s_barrier_signal -1
	s_barrier_wait -1
	s_and_saveexec_b32 s12, s40
	s_cbranch_execz .LBB162_1018
; %bb.1014:                             ;   in Loop: Header=BB162_1010 Depth=2
	v_or_b32_e32 v0, s65, v4
	s_delay_alu instid0(VALU_DEP_1) | instskip(SKIP_1) | instid1(SALU_CYCLE_1)
	v_cmp_le_i32_e32 vcc_lo, s87, v0
	s_and_saveexec_b32 s16, vcc_lo
	s_xor_b32 vcc_lo, exec_lo, s16
; %bb.1015:                             ;   in Loop: Header=BB162_1010 Depth=2
	ds_store_b64 v88, v[24:25]
; %bb.1016:                             ;   in Loop: Header=BB162_1010 Depth=2
	s_and_not1_saveexec_b32 s16, vcc_lo
	s_cbranch_execz .LBB162_1018
; %bb.1017:                             ;   in Loop: Header=BB162_1010 Depth=2
	v_mul_u64_e32 v[40:41], s[78:79], v[0:1]
	s_delay_alu instid0(VALU_DEP_1)
	v_lshl_add_u64 v[40:41], v[40:41], 3, v[36:37]
	flat_load_b64 v[40:41], v[40:41]
	s_wait_loadcnt_dscnt 0x0
	ds_store_b64 v88, v[40:41]
.LBB162_1018:                           ;   in Loop: Header=BB162_1010 Depth=2
	s_or_b32 exec_lo, exec_lo, s12
	v_add_nc_u32_e32 v0, s65, v45
	v_cmp_ne_u32_e32 vcc_lo, s11, v46
	s_wait_dscnt 0x0
	s_barrier_signal -1
	s_barrier_wait -1
	v_cmp_gt_i32_e64 s65, s87, v0
	v_lshl_add_u64 v[40:41], v[0:1], 3, v[34:35]
	v_cndmask_b32_e64 v97, 0, 1, vcc_lo
	s_and_b32 s12, s65, s2
	s_delay_alu instid0(SALU_CYCLE_1)
	s_and_saveexec_b32 s65, s12
	s_cbranch_execz .LBB162_1024
; %bb.1019:                             ;   in Loop: Header=BB162_1010 Depth=2
	v_mov_b32_e32 v42, v26
	s_and_not1_b32 vcc_lo, exec_lo, vcc_lo
	s_cbranch_vccnz .LBB162_1021
; %bb.1020:                             ;   in Loop: Header=BB162_1010 Depth=2
	flat_load_b32 v42, v[40:41]
.LBB162_1021:                           ;   in Loop: Header=BB162_1010 Depth=2
	v_cmp_ne_u32_e32 vcc_lo, 1, v97
	v_mov_b32_e32 v44, v27
	s_cbranch_vccnz .LBB162_1023
; %bb.1022:                             ;   in Loop: Header=BB162_1010 Depth=2
	flat_load_b32 v44, v[40:41] offset:4
.LBB162_1023:                           ;   in Loop: Header=BB162_1010 Depth=2
	ds_load_b64 v[98:99], v86
	s_wait_loadcnt_dscnt 0x0
	v_pk_mul_f32 v[100:101], v[44:45], v[98:99] op_sel:[0,1] op_sel_hi:[0,0]
	s_delay_alu instid0(VALU_DEP_1) | instskip(SKIP_1) | instid1(VALU_DEP_2)
	v_pk_fma_f32 v[102:103], v[42:43], v[98:99], v[100:101] op_sel_hi:[0,1,1] neg_lo:[0,0,1] neg_hi:[0,0,1]
	v_pk_fma_f32 v[42:43], v[42:43], v[98:99], v[100:101]
	v_mov_b32_e32 v43, v103
	s_delay_alu instid0(VALU_DEP_1)
	v_pk_add_f32 v[38:39], v[38:39], v[42:43]
.LBB162_1024:                           ;   in Loop: Header=BB162_1010 Depth=2
	s_or_b32 exec_lo, exec_lo, s65
	v_add_nc_u32_e32 v42, 16, v0
	s_delay_alu instid0(VALU_DEP_1) | instskip(SKIP_1) | instid1(SALU_CYCLE_1)
	v_cmp_gt_i32_e32 vcc_lo, s87, v42
	s_and_b32 s12, vcc_lo, s2
	s_and_saveexec_b32 s65, s12
	s_cbranch_execz .LBB162_1030
; %bb.1025:                             ;   in Loop: Header=BB162_1010 Depth=2
	v_cmp_ne_u32_e32 vcc_lo, 1, v97
	v_mov_b32_e32 v42, v28
	s_cbranch_vccnz .LBB162_1027
; %bb.1026:                             ;   in Loop: Header=BB162_1010 Depth=2
	flat_load_b32 v42, v[40:41] offset:128
.LBB162_1027:                           ;   in Loop: Header=BB162_1010 Depth=2
	v_cmp_ne_u32_e32 vcc_lo, 1, v97
	v_mov_b32_e32 v43, v29
	s_cbranch_vccnz .LBB162_1029
; %bb.1028:                             ;   in Loop: Header=BB162_1010 Depth=2
	flat_load_b32 v43, v[40:41] offset:132
.LBB162_1029:                           ;   in Loop: Header=BB162_1010 Depth=2
	ds_load_b64 v[98:99], v86 offset:128
	s_wait_loadcnt_dscnt 0x1
	v_dual_mov_b32 v100, v43 :: v_dual_mov_b32 v101, v42
	s_wait_dscnt 0x0
	v_dual_mul_f32 v44, v43, v98 :: v_dual_mul_f32 v102, v43, v99
	s_delay_alu instid0(VALU_DEP_1) | instskip(NEXT) | instid1(VALU_DEP_2)
	v_pk_fma_f32 v[100:101], v[100:101], v[98:99], v[44:45] op_sel_hi:[1,1,0] neg_lo:[0,0,1] neg_hi:[0,0,1]
	v_pk_fma_f32 v[42:43], v[42:43], v[98:99], v[102:103] op_sel_hi:[1,1,0]
	s_delay_alu instid0(VALU_DEP_2) | instskip(NEXT) | instid1(VALU_DEP_1)
	v_mov_b32_e32 v43, v101
	v_pk_add_f32 v[38:39], v[38:39], v[42:43]
.LBB162_1030:                           ;   in Loop: Header=BB162_1010 Depth=2
	s_or_b32 exec_lo, exec_lo, s65
	v_add_nc_u32_e32 v42, 32, v0
	s_delay_alu instid0(VALU_DEP_1) | instskip(SKIP_1) | instid1(SALU_CYCLE_1)
	v_cmp_gt_i32_e32 vcc_lo, s87, v42
	s_and_b32 s12, vcc_lo, s2
	s_and_saveexec_b32 s65, s12
	s_cbranch_execz .LBB162_1036
; %bb.1031:                             ;   in Loop: Header=BB162_1010 Depth=2
	v_cmp_ne_u32_e32 vcc_lo, 1, v97
	v_mov_b32_e32 v42, v30
	s_cbranch_vccnz .LBB162_1033
; %bb.1032:                             ;   in Loop: Header=BB162_1010 Depth=2
	flat_load_b32 v42, v[40:41] offset:256
.LBB162_1033:                           ;   in Loop: Header=BB162_1010 Depth=2
	v_cmp_ne_u32_e32 vcc_lo, 1, v97
	v_mov_b32_e32 v44, v31
	s_cbranch_vccnz .LBB162_1035
; %bb.1034:                             ;   in Loop: Header=BB162_1010 Depth=2
	flat_load_b32 v44, v[40:41] offset:260
.LBB162_1035:                           ;   in Loop: Header=BB162_1010 Depth=2
	ds_load_b64 v[98:99], v86 offset:256
	s_wait_loadcnt_dscnt 0x0
	v_pk_mul_f32 v[100:101], v[44:45], v[98:99] op_sel:[0,1] op_sel_hi:[0,0]
	s_delay_alu instid0(VALU_DEP_1) | instskip(SKIP_1) | instid1(VALU_DEP_2)
	v_pk_fma_f32 v[102:103], v[42:43], v[98:99], v[100:101] op_sel_hi:[0,1,1] neg_lo:[0,0,1] neg_hi:[0,0,1]
	v_pk_fma_f32 v[42:43], v[42:43], v[98:99], v[100:101]
	v_mov_b32_e32 v43, v103
	s_delay_alu instid0(VALU_DEP_1)
	v_pk_add_f32 v[38:39], v[38:39], v[42:43]
.LBB162_1036:                           ;   in Loop: Header=BB162_1010 Depth=2
	s_or_b32 exec_lo, exec_lo, s65
	v_add_nc_u32_e32 v0, 48, v0
	s_delay_alu instid0(VALU_DEP_1) | instskip(SKIP_1) | instid1(SALU_CYCLE_1)
	v_cmp_gt_i32_e32 vcc_lo, s87, v0
	s_and_b32 s12, vcc_lo, s2
	s_and_saveexec_b32 s65, s12
	s_cbranch_execz .LBB162_1009
; %bb.1037:                             ;   in Loop: Header=BB162_1010 Depth=2
	v_cmp_ne_u32_e32 vcc_lo, 1, v97
	v_mov_b32_e32 v0, v32
	s_cbranch_vccnz .LBB162_1039
; %bb.1038:                             ;   in Loop: Header=BB162_1010 Depth=2
	flat_load_b32 v0, v[40:41] offset:384
.LBB162_1039:                           ;   in Loop: Header=BB162_1010 Depth=2
	v_cmp_ne_u32_e32 vcc_lo, 1, v97
	v_mov_b32_e32 v42, v33
	s_cbranch_vccnz .LBB162_1008
; %bb.1040:                             ;   in Loop: Header=BB162_1010 Depth=2
	flat_load_b32 v42, v[40:41] offset:388
	s_branch .LBB162_1008
.LBB162_1041:                           ;   in Loop: Header=BB162_3 Depth=1
	ds_store_b64 v89, v[38:39]
	s_wait_dscnt 0x0
	s_barrier_signal -1
	s_barrier_wait -1
	s_and_saveexec_b32 s11, s4
	s_cbranch_execz .LBB162_1043
; %bb.1042:                             ;   in Loop: Header=BB162_3 Depth=1
	ds_load_2addr_stride64_b64 v[40:43], v90 offset0:1 offset1:2
	ds_load_2addr_stride64_b64 v[96:99], v90 offset0:3 offset1:4
	;; [unrolled: 1-line block ×3, first 2 shown]
	s_wait_dscnt 0x2
	v_pk_add_f32 v[34:35], v[38:39], v[40:41]
	ds_load_2addr_stride64_b64 v[38:41], v90 offset0:7 offset1:8
	v_pk_add_f32 v[34:35], v[34:35], v[42:43]
	ds_load_b64 v[42:43], v90 offset:7680
	s_wait_dscnt 0x3
	v_pk_add_f32 v[34:35], v[34:35], v[96:97]
	s_delay_alu instid0(VALU_DEP_1) | instskip(SKIP_3) | instid1(VALU_DEP_1)
	v_pk_add_f32 v[34:35], v[34:35], v[98:99]
	ds_load_2addr_stride64_b64 v[96:99], v90 offset0:9 offset1:10
	s_wait_dscnt 0x3
	v_pk_add_f32 v[34:35], v[34:35], v[100:101]
	v_pk_add_f32 v[34:35], v[34:35], v[102:103]
	ds_load_2addr_stride64_b64 v[100:103], v90 offset0:11 offset1:12
	s_wait_dscnt 0x3
	v_pk_add_f32 v[34:35], v[34:35], v[38:39]
	s_delay_alu instid0(VALU_DEP_1) | instskip(SKIP_3) | instid1(VALU_DEP_1)
	v_pk_add_f32 v[34:35], v[34:35], v[40:41]
	ds_load_2addr_stride64_b64 v[38:41], v90 offset0:13 offset1:14
	s_wait_dscnt 0x2
	v_pk_add_f32 v[34:35], v[34:35], v[96:97]
	v_pk_add_f32 v[34:35], v[34:35], v[98:99]
	s_wait_dscnt 0x1
	s_delay_alu instid0(VALU_DEP_1) | instskip(NEXT) | instid1(VALU_DEP_1)
	v_pk_add_f32 v[34:35], v[34:35], v[100:101]
	v_pk_add_f32 v[34:35], v[34:35], v[102:103]
	s_wait_dscnt 0x0
	s_delay_alu instid0(VALU_DEP_1) | instskip(NEXT) | instid1(VALU_DEP_1)
	v_pk_add_f32 v[34:35], v[34:35], v[38:39]
	v_pk_add_f32 v[34:35], v[34:35], v[40:41]
	s_delay_alu instid0(VALU_DEP_1) | instskip(NEXT) | instid1(VALU_DEP_1)
	v_pk_add_f32 v[34:35], v[34:35], v[42:43]
	v_cndmask_b32_e64 v39, -v35, 0, s51
	s_delay_alu instid0(VALU_DEP_2)
	v_cndmask_b32_e64 v38, -v34, 0, s51
.LBB162_1043:                           ;   in Loop: Header=BB162_3 Depth=1
	s_or_b32 exec_lo, exec_lo, s11
	s_delay_alu instid0(SALU_CYCLE_1)
	s_and_not1_b32 vcc_lo, exec_lo, s91
	s_cbranch_vccnz .LBB162_1053
; %bb.1044:                             ;   in Loop: Header=BB162_3 Depth=1
	s_and_saveexec_b32 s11, s4
; %bb.1045:                             ;   in Loop: Header=BB162_3 Depth=1
	ds_store_b64 v92, v[38:39]
; %bb.1046:                             ;   in Loop: Header=BB162_3 Depth=1
	s_or_b32 exec_lo, exec_lo, s11
	v_mov_b64_e32 v[34:35], 0
	s_wait_dscnt 0x0
	s_barrier_signal -1
	s_barrier_wait -1
	s_and_saveexec_b32 s11, s0
	s_cbranch_execnz .LBB162_1116
; %bb.1047:                             ;   in Loop: Header=BB162_3 Depth=1
	s_or_b32 exec_lo, exec_lo, s11
	s_and_saveexec_b32 s11, s1
	s_cbranch_execnz .LBB162_1117
.LBB162_1048:                           ;   in Loop: Header=BB162_3 Depth=1
	s_or_b32 exec_lo, exec_lo, s11
	s_and_saveexec_b32 s11, s8
	s_cbranch_execnz .LBB162_1118
.LBB162_1049:                           ;   in Loop: Header=BB162_3 Depth=1
	s_or_b32 exec_lo, exec_lo, s11
	s_and_saveexec_b32 s11, s9
	s_cbranch_execz .LBB162_1051
.LBB162_1050:                           ;   in Loop: Header=BB162_3 Depth=1
	ds_load_b64 v[40:41], v91 offset:24576
	ds_load_b64 v[42:43], v86 offset:384
	s_wait_dscnt 0x0
	v_pk_mul_f32 v[96:97], v[42:43], v[40:41] op_sel:[1,1] op_sel_hi:[0,1]
	s_delay_alu instid0(VALU_DEP_1) | instskip(SKIP_1) | instid1(VALU_DEP_2)
	v_pk_fma_f32 v[98:99], v[42:43], v[40:41], v[96:97] op_sel_hi:[1,0,1]
	v_pk_fma_f32 v[40:41], v[42:43], v[40:41], v[96:97] neg_lo:[0,0,1] neg_hi:[0,0,1]
	v_mov_b32_e32 v41, v99
	s_delay_alu instid0(VALU_DEP_1)
	v_pk_add_f32 v[34:35], v[34:35], v[40:41]
.LBB162_1051:                           ;   in Loop: Header=BB162_3 Depth=1
	s_or_b32 exec_lo, exec_lo, s11
	s_mov_b32 s65, 0
	s_mov_b32 s11, 0
	ds_store_b64 v89, v[34:35]
	s_wait_dscnt 0x0
	s_barrier_signal -1
	s_barrier_wait -1
                                        ; implicit-def: $vgpr40_vgpr41
	s_and_saveexec_b32 s84, s4
	s_cbranch_execz .LBB162_1119
; %bb.1052:                             ;   in Loop: Header=BB162_3 Depth=1
	ds_load_2addr_stride64_b64 v[40:43], v90 offset0:1 offset1:2
	ds_load_2addr_stride64_b64 v[96:99], v90 offset0:3 offset1:4
	ds_load_2addr_stride64_b64 v[100:103], v90 offset0:5 offset1:6
	s_mov_b32 s11, exec_lo
	s_wait_dscnt 0x2
	v_pk_add_f32 v[34:35], v[34:35], v[40:41]
	s_delay_alu instid0(VALU_DEP_1) | instskip(SKIP_3) | instid1(VALU_DEP_1)
	v_pk_add_f32 v[34:35], v[34:35], v[42:43]
	ds_load_2addr_stride64_b64 v[40:43], v90 offset0:7 offset1:8
	s_wait_dscnt 0x2
	v_pk_add_f32 v[34:35], v[34:35], v[96:97]
	v_pk_add_f32 v[34:35], v[34:35], v[98:99]
	ds_load_2addr_stride64_b64 v[96:99], v90 offset0:9 offset1:10
	s_wait_dscnt 0x2
	v_pk_add_f32 v[34:35], v[34:35], v[100:101]
	s_delay_alu instid0(VALU_DEP_1) | instskip(SKIP_3) | instid1(VALU_DEP_1)
	v_pk_add_f32 v[34:35], v[34:35], v[102:103]
	ds_load_2addr_stride64_b64 v[100:103], v90 offset0:11 offset1:12
	s_wait_dscnt 0x2
	v_pk_add_f32 v[34:35], v[34:35], v[40:41]
	v_pk_add_f32 v[34:35], v[34:35], v[42:43]
	ds_load_2addr_stride64_b64 v[40:43], v90 offset0:13 offset1:14
	s_wait_dscnt 0x2
	v_pk_add_f32 v[34:35], v[34:35], v[96:97]
	ds_load_b64 v[96:97], v90 offset:7680
	v_pk_add_f32 v[34:35], v[34:35], v[98:99]
	s_wait_dscnt 0x2
	s_delay_alu instid0(VALU_DEP_1) | instskip(NEXT) | instid1(VALU_DEP_1)
	v_pk_add_f32 v[34:35], v[34:35], v[100:101]
	v_pk_add_f32 v[34:35], v[34:35], v[102:103]
	s_wait_dscnt 0x1
	s_delay_alu instid0(VALU_DEP_1) | instskip(NEXT) | instid1(VALU_DEP_1)
	v_pk_add_f32 v[34:35], v[34:35], v[40:41]
	v_pk_add_f32 v[34:35], v[34:35], v[42:43]
	s_wait_dscnt 0x0
	s_delay_alu instid0(VALU_DEP_1) | instskip(SKIP_1) | instid1(SALU_CYCLE_1)
	v_pk_add_f32 v[40:41], v[34:35], v[96:97]
	s_or_b32 exec_lo, exec_lo, s84
	s_and_b32 vcc_lo, exec_lo, s65
	s_cbranch_vccnz .LBB162_1054
	s_branch .LBB162_1120
.LBB162_1053:                           ;   in Loop: Header=BB162_3 Depth=1
	s_mov_b32 s11, 0
                                        ; implicit-def: $vgpr40_vgpr41
	s_cbranch_execz .LBB162_1120
.LBB162_1054:                           ;   in Loop: Header=BB162_3 Depth=1
	v_dual_mov_b32 v0, v2 :: v_dual_mov_b32 v34, v76
	s_mov_b32 s65, 0
	s_branch .LBB162_1056
.LBB162_1055:                           ;   in Loop: Header=BB162_1056 Depth=2
	s_or_b32 exec_lo, exec_lo, s12
	v_add_nc_u32_e32 v34, 0x400, v34
	v_add_nc_u32_e32 v0, -2, v0
	s_add_co_i32 s65, s65, 2
	s_delay_alu instid0(SALU_CYCLE_1)
	s_cmp_lg_u32 s65, 64
	s_barrier_signal -1
	s_barrier_wait -1
	s_cbranch_scc0 .LBB162_1064
.LBB162_1056:                           ;   Parent Loop BB162_3 Depth=1
                                        ; =>  This Inner Loop Header: Depth=2
	s_delay_alu instid0(VALU_DEP_1) | instskip(SKIP_2) | instid1(SALU_CYCLE_1)
	v_cmp_eq_u32_e32 vcc_lo, 0, v0
	v_add_nc_u32_e32 v35, v84, v49
	s_and_b32 s16, s4, vcc_lo
	s_and_saveexec_b32 s12, s16
	s_cbranch_execz .LBB162_1058
; %bb.1057:                             ;   in Loop: Header=BB162_1056 Depth=2
	ds_load_b64 v[40:41], v35
	s_wait_dscnt 0x0
	v_pk_mul_f32 v[42:43], v[38:39], v[40:41] op_sel:[1,1] op_sel_hi:[1,0]
	s_delay_alu instid0(VALU_DEP_1) | instskip(SKIP_1) | instid1(VALU_DEP_2)
	v_pk_fma_f32 v[96:97], v[38:39], v[40:41], v[42:43] op_sel_hi:[0,1,1]
	v_pk_fma_f32 v[40:41], v[38:39], v[40:41], v[42:43] neg_lo:[0,0,1] neg_hi:[0,0,1]
	v_mov_b32_e32 v41, v97
	s_delay_alu instid0(VALU_DEP_1)
	v_mov_b64_e32 v[38:39], v[40:41]
	ds_store_b64 v1, v[40:41] offset:41472
.LBB162_1058:                           ;   in Loop: Header=BB162_1056 Depth=2
	s_or_b32 exec_lo, exec_lo, s12
	v_cmp_lt_u32_e32 vcc_lo, s65, v2
	s_wait_dscnt 0x0
	s_barrier_signal -1
	s_barrier_wait -1
	s_and_b32 s16, s4, vcc_lo
	s_delay_alu instid0(SALU_CYCLE_1)
	s_and_saveexec_b32 s12, s16
	s_cbranch_execz .LBB162_1060
; %bb.1059:                             ;   in Loop: Header=BB162_1056 Depth=2
	ds_load_b64 v[40:41], v34
	ds_load_b64 v[42:43], v1 offset:41472
	s_wait_dscnt 0x0
	v_pk_mul_f32 v[96:97], v[42:43], v[40:41] op_sel:[1,1] op_sel_hi:[0,1]
	s_delay_alu instid0(VALU_DEP_1) | instskip(SKIP_1) | instid1(VALU_DEP_2)
	v_pk_fma_f32 v[98:99], v[42:43], v[40:41], v[96:97] op_sel_hi:[1,0,1]
	v_pk_fma_f32 v[40:41], v[42:43], v[40:41], v[96:97] neg_lo:[0,0,1] neg_hi:[0,0,1]
	v_mov_b32_e32 v41, v99
	s_delay_alu instid0(VALU_DEP_1)
	v_pk_add_f32 v[38:39], v[38:39], v[40:41]
.LBB162_1060:                           ;   in Loop: Header=BB162_1056 Depth=2
	s_or_b32 exec_lo, exec_lo, s12
	s_or_b32 s12, s65, 1
	s_delay_alu instid0(SALU_CYCLE_1) | instskip(SKIP_3) | instid1(SALU_CYCLE_1)
	v_cmp_eq_u32_e32 vcc_lo, s12, v2
	s_barrier_signal -1
	s_barrier_wait -1
	s_and_b32 s16, s4, vcc_lo
	s_and_saveexec_b32 s84, s16
	s_cbranch_execz .LBB162_1062
; %bb.1061:                             ;   in Loop: Header=BB162_1056 Depth=2
	ds_load_b64 v[40:41], v35
	s_wait_dscnt 0x0
	v_pk_mul_f32 v[42:43], v[38:39], v[40:41] op_sel:[1,1] op_sel_hi:[1,0]
	s_delay_alu instid0(VALU_DEP_1) | instskip(SKIP_1) | instid1(VALU_DEP_2)
	v_pk_fma_f32 v[96:97], v[38:39], v[40:41], v[42:43] op_sel_hi:[0,1,1]
	v_pk_fma_f32 v[40:41], v[38:39], v[40:41], v[42:43] neg_lo:[0,0,1] neg_hi:[0,0,1]
	v_mov_b32_e32 v41, v97
	s_delay_alu instid0(VALU_DEP_1)
	v_mov_b64_e32 v[38:39], v[40:41]
	ds_store_b64 v1, v[40:41] offset:41472
.LBB162_1062:                           ;   in Loop: Header=BB162_1056 Depth=2
	s_or_b32 exec_lo, exec_lo, s84
	v_cmp_lt_u32_e32 vcc_lo, s12, v2
	s_wait_dscnt 0x0
	s_barrier_signal -1
	s_barrier_wait -1
	s_and_b32 s16, s4, vcc_lo
	s_delay_alu instid0(SALU_CYCLE_1)
	s_and_saveexec_b32 s12, s16
	s_cbranch_execz .LBB162_1055
; %bb.1063:                             ;   in Loop: Header=BB162_1056 Depth=2
	ds_load_b64 v[40:41], v34 offset:512
	ds_load_b64 v[42:43], v1 offset:41472
	s_wait_dscnt 0x0
	v_pk_mul_f32 v[96:97], v[42:43], v[40:41] op_sel:[1,1] op_sel_hi:[0,1]
	s_delay_alu instid0(VALU_DEP_1) | instskip(SKIP_1) | instid1(VALU_DEP_2)
	v_pk_fma_f32 v[98:99], v[42:43], v[40:41], v[96:97] op_sel_hi:[1,0,1]
	v_pk_fma_f32 v[40:41], v[42:43], v[40:41], v[96:97] neg_lo:[0,0,1] neg_hi:[0,0,1]
	v_mov_b32_e32 v41, v99
	s_delay_alu instid0(VALU_DEP_1)
	v_pk_add_f32 v[38:39], v[38:39], v[40:41]
	s_branch .LBB162_1055
.LBB162_1064:                           ;   in Loop: Header=BB162_3 Depth=1
	s_and_b32 vcc_lo, exec_lo, s90
	s_mov_b32 s12, -1
	s_cbranch_vccz .LBB162_1066
; %bb.1065:                             ;   in Loop: Header=BB162_3 Depth=1
	s_and_not1_b32 s11, s11, exec_lo
	s_and_b32 s16, s4, exec_lo
	s_mov_b32 s12, 0
	s_or_b32 s11, s11, s16
.LBB162_1066:                           ;   in Loop: Header=BB162_3 Depth=1
	s_and_not1_b32 vcc_lo, exec_lo, s12
	s_cbranch_vccnz .LBB162_1068
; %bb.1067:                             ;   in Loop: Header=BB162_3 Depth=1
	v_readlane_b32 s12, v105, 5
	s_and_not1_b32 s11, s11, exec_lo
	s_and_b32 s12, s12, exec_lo
	s_delay_alu instid0(SALU_CYCLE_1)
	s_or_b32 s11, s11, s12
.LBB162_1068:                           ;   in Loop: Header=BB162_3 Depth=1
	v_mov_b64_e32 v[34:35], v[12:13]
	s_and_saveexec_b32 s12, s11
	s_cbranch_execnz .LBB162_1121
	s_branch .LBB162_1122
.LBB162_1069:                           ;   in Loop: Header=BB162_3 Depth=1
	v_readlane_b32 s16, v105, 14
	s_and_saveexec_b32 s12, s16
	s_delay_alu instid0(SALU_CYCLE_1)
	s_xor_b32 s12, exec_lo, s12
	s_cbranch_execz .LBB162_1073
; %bb.1070:                             ;   in Loop: Header=BB162_3 Depth=1
	v_readlane_b32 s16, v105, 26
	s_and_saveexec_b32 s65, s16
; %bb.1071:                             ;   in Loop: Header=BB162_3 Depth=1
	ds_store_b64 v78, v[24:25]
; %bb.1072:                             ;   in Loop: Header=BB162_3 Depth=1
	s_or_b32 exec_lo, exec_lo, s65
.LBB162_1073:                           ;   in Loop: Header=BB162_3 Depth=1
	s_and_not1_saveexec_b32 s65, s12
	s_cbranch_execz .LBB162_1079
; %bb.1074:                             ;   in Loop: Header=BB162_3 Depth=1
	v_lshl_add_u64 v[40:41], v[14:15], 3, v[38:39]
	s_mov_b32 s84, exec_lo
                                        ; implicit-def: $vgpr42_vgpr43
	flat_load_b64 v[40:41], v[40:41]
	s_wait_loadcnt_dscnt 0x0
	v_cmpx_ngt_f32_e64 |v40|, |v41|
	s_xor_b32 s84, exec_lo, s84
	s_cbranch_execz .LBB162_1076
; %bb.1075:                             ;   in Loop: Header=BB162_3 Depth=1
	v_div_scale_f32 v0, null, -v41, -v41, v40
	v_div_scale_f32 v44, vcc_lo, v40, -v41, v40
	s_delay_alu instid0(VALU_DEP_2) | instskip(SKIP_1) | instid1(TRANS32_DEP_1)
	v_rcp_f32_e32 v42, v0
	v_nop
	v_fma_f32 v43, -v0, v42, 1.0
	s_delay_alu instid0(VALU_DEP_1) | instskip(NEXT) | instid1(VALU_DEP_1)
	v_fmac_f32_e32 v42, v43, v42
	v_mul_f32_e32 v43, v44, v42
	s_delay_alu instid0(VALU_DEP_1) | instskip(NEXT) | instid1(VALU_DEP_1)
	v_fma_f32 v96, -v0, v43, v44
	v_fmac_f32_e32 v43, v96, v42
	s_delay_alu instid0(VALU_DEP_1) | instskip(NEXT) | instid1(VALU_DEP_1)
	v_fma_f32 v0, -v0, v43, v44
	v_div_fmas_f32 v0, v0, v42, v43
	s_delay_alu instid0(VALU_DEP_1) | instskip(NEXT) | instid1(VALU_DEP_1)
	v_div_fixup_f32 v0, v0, -v41, v40
	v_fma_f32 v40, v40, v0, -v41
	s_delay_alu instid0(VALU_DEP_1) | instskip(SKIP_1) | instid1(VALU_DEP_2)
	v_div_scale_f32 v41, null, v40, v40, 1.0
	v_div_scale_f32 v44, vcc_lo, 1.0, v40, 1.0
	v_rcp_f32_e32 v42, v41
	v_nop
	s_delay_alu instid0(TRANS32_DEP_1) | instskip(NEXT) | instid1(VALU_DEP_1)
	v_fma_f32 v43, -v41, v42, 1.0
	v_fmac_f32_e32 v42, v43, v42
	s_delay_alu instid0(VALU_DEP_1) | instskip(NEXT) | instid1(VALU_DEP_1)
	v_mul_f32_e32 v43, v44, v42
	v_fma_f32 v96, -v41, v43, v44
	s_delay_alu instid0(VALU_DEP_1) | instskip(NEXT) | instid1(VALU_DEP_1)
	v_fmac_f32_e32 v43, v96, v42
	v_fma_f32 v41, -v41, v43, v44
	s_delay_alu instid0(VALU_DEP_1) | instskip(NEXT) | instid1(VALU_DEP_1)
	v_div_fmas_f32 v41, v41, v42, v43
	v_div_fixup_f32 v40, v41, v40, 1.0
	s_delay_alu instid0(VALU_DEP_1)
	v_mul_f32_e32 v42, v0, v40
	v_xor_b32_e32 v43, 0x80000000, v40
                                        ; implicit-def: $vgpr40_vgpr41
.LBB162_1076:                           ;   in Loop: Header=BB162_3 Depth=1
	s_and_not1_saveexec_b32 s84, s84
	s_cbranch_execz .LBB162_1078
; %bb.1077:                             ;   in Loop: Header=BB162_3 Depth=1
	v_div_scale_f32 v0, null, v40, v40, -v41
	v_div_scale_f32 v44, vcc_lo, -v41, v40, -v41
	s_delay_alu instid0(VALU_DEP_2) | instskip(SKIP_1) | instid1(TRANS32_DEP_1)
	v_rcp_f32_e32 v42, v0
	v_nop
	v_fma_f32 v43, -v0, v42, 1.0
	s_delay_alu instid0(VALU_DEP_1) | instskip(NEXT) | instid1(VALU_DEP_1)
	v_fmac_f32_e32 v42, v43, v42
	v_mul_f32_e32 v43, v44, v42
	s_delay_alu instid0(VALU_DEP_1) | instskip(NEXT) | instid1(VALU_DEP_1)
	v_fma_f32 v96, -v0, v43, v44
	v_fmac_f32_e32 v43, v96, v42
	s_delay_alu instid0(VALU_DEP_1) | instskip(NEXT) | instid1(VALU_DEP_1)
	v_fma_f32 v0, -v0, v43, v44
	v_div_fmas_f32 v0, v0, v42, v43
	s_delay_alu instid0(VALU_DEP_1) | instskip(NEXT) | instid1(VALU_DEP_1)
	v_div_fixup_f32 v0, v0, v40, -v41
	v_fma_f32 v40, -v41, v0, v40
	s_delay_alu instid0(VALU_DEP_1) | instskip(NEXT) | instid1(VALU_DEP_1)
	v_div_scale_f32 v41, null, v40, v40, 1.0
	v_rcp_f32_e32 v42, v41
	v_nop
	s_delay_alu instid0(TRANS32_DEP_1) | instskip(NEXT) | instid1(VALU_DEP_1)
	v_fma_f32 v43, -v41, v42, 1.0
	v_fmac_f32_e32 v42, v43, v42
	v_div_scale_f32 v43, vcc_lo, 1.0, v40, 1.0
	s_delay_alu instid0(VALU_DEP_1) | instskip(NEXT) | instid1(VALU_DEP_1)
	v_mul_f32_e32 v44, v43, v42
	v_fma_f32 v96, -v41, v44, v43
	s_delay_alu instid0(VALU_DEP_1) | instskip(NEXT) | instid1(VALU_DEP_1)
	v_fmac_f32_e32 v44, v96, v42
	v_fma_f32 v41, -v41, v44, v43
	s_delay_alu instid0(VALU_DEP_1) | instskip(NEXT) | instid1(VALU_DEP_1)
	v_div_fmas_f32 v41, v41, v42, v44
	v_div_fixup_f32 v42, v41, v40, 1.0
	s_delay_alu instid0(VALU_DEP_1)
	v_mul_f32_e64 v43, v0, -v42
.LBB162_1078:                           ;   in Loop: Header=BB162_3 Depth=1
	s_or_b32 exec_lo, exec_lo, s84
	ds_store_b64 v78, v[42:43]
.LBB162_1079:                           ;   in Loop: Header=BB162_3 Depth=1
	s_or_b32 exec_lo, exec_lo, s65
	s_and_not1_saveexec_b32 s11, s11
	s_cbranch_execz .LBB162_17
.LBB162_1080:                           ;   in Loop: Header=BB162_3 Depth=1
	v_lshl_add_u64 v[40:41], v[14:15], 3, v[38:39]
	flat_load_b64 v[40:41], v[40:41]
	s_wait_loadcnt_dscnt 0x0
	v_xor_b32_e32 v40, 0x80000000, v40
	ds_store_b64 v78, v[40:41]
	s_or_b32 exec_lo, exec_lo, s11
	s_and_saveexec_b32 s11, s1
	s_delay_alu instid0(SALU_CYCLE_1)
	s_xor_b32 s11, exec_lo, s11
	s_cbranch_execz .LBB162_18
.LBB162_1081:                           ;   in Loop: Header=BB162_3 Depth=1
	v_readlane_b32 s16, v105, 16
	s_and_saveexec_b32 s12, s16
	s_delay_alu instid0(SALU_CYCLE_1)
	s_xor_b32 s12, exec_lo, s12
	s_cbranch_execz .LBB162_1085
; %bb.1082:                             ;   in Loop: Header=BB162_3 Depth=1
	v_readlane_b32 s16, v105, 27
	s_and_saveexec_b32 s65, s16
; %bb.1083:                             ;   in Loop: Header=BB162_3 Depth=1
	ds_store_b64 v80, v[24:25]
; %bb.1084:                             ;   in Loop: Header=BB162_3 Depth=1
	s_or_b32 exec_lo, exec_lo, s65
.LBB162_1085:                           ;   in Loop: Header=BB162_3 Depth=1
	s_and_not1_saveexec_b32 s65, s12
	s_cbranch_execz .LBB162_1091
; %bb.1086:                             ;   in Loop: Header=BB162_3 Depth=1
	v_lshl_add_u64 v[40:41], v[16:17], 3, v[38:39]
	s_mov_b32 s84, exec_lo
                                        ; implicit-def: $vgpr42_vgpr43
	flat_load_b64 v[40:41], v[40:41]
	s_wait_loadcnt_dscnt 0x0
	v_cmpx_ngt_f32_e64 |v40|, |v41|
	s_xor_b32 s84, exec_lo, s84
	s_cbranch_execz .LBB162_1088
; %bb.1087:                             ;   in Loop: Header=BB162_3 Depth=1
	v_div_scale_f32 v0, null, -v41, -v41, v40
	v_div_scale_f32 v44, vcc_lo, v40, -v41, v40
	s_delay_alu instid0(VALU_DEP_2) | instskip(SKIP_1) | instid1(TRANS32_DEP_1)
	v_rcp_f32_e32 v42, v0
	v_nop
	v_fma_f32 v43, -v0, v42, 1.0
	s_delay_alu instid0(VALU_DEP_1) | instskip(NEXT) | instid1(VALU_DEP_1)
	v_fmac_f32_e32 v42, v43, v42
	v_mul_f32_e32 v43, v44, v42
	s_delay_alu instid0(VALU_DEP_1) | instskip(NEXT) | instid1(VALU_DEP_1)
	v_fma_f32 v96, -v0, v43, v44
	v_fmac_f32_e32 v43, v96, v42
	s_delay_alu instid0(VALU_DEP_1) | instskip(NEXT) | instid1(VALU_DEP_1)
	v_fma_f32 v0, -v0, v43, v44
	v_div_fmas_f32 v0, v0, v42, v43
	s_delay_alu instid0(VALU_DEP_1) | instskip(NEXT) | instid1(VALU_DEP_1)
	v_div_fixup_f32 v0, v0, -v41, v40
	v_fma_f32 v40, v40, v0, -v41
	s_delay_alu instid0(VALU_DEP_1) | instskip(SKIP_1) | instid1(VALU_DEP_2)
	v_div_scale_f32 v41, null, v40, v40, 1.0
	v_div_scale_f32 v44, vcc_lo, 1.0, v40, 1.0
	v_rcp_f32_e32 v42, v41
	v_nop
	s_delay_alu instid0(TRANS32_DEP_1) | instskip(NEXT) | instid1(VALU_DEP_1)
	v_fma_f32 v43, -v41, v42, 1.0
	v_fmac_f32_e32 v42, v43, v42
	s_delay_alu instid0(VALU_DEP_1) | instskip(NEXT) | instid1(VALU_DEP_1)
	v_mul_f32_e32 v43, v44, v42
	v_fma_f32 v96, -v41, v43, v44
	s_delay_alu instid0(VALU_DEP_1) | instskip(NEXT) | instid1(VALU_DEP_1)
	v_fmac_f32_e32 v43, v96, v42
	v_fma_f32 v41, -v41, v43, v44
	s_delay_alu instid0(VALU_DEP_1) | instskip(NEXT) | instid1(VALU_DEP_1)
	v_div_fmas_f32 v41, v41, v42, v43
	v_div_fixup_f32 v40, v41, v40, 1.0
	s_delay_alu instid0(VALU_DEP_1)
	v_mul_f32_e32 v42, v0, v40
	v_xor_b32_e32 v43, 0x80000000, v40
                                        ; implicit-def: $vgpr40_vgpr41
.LBB162_1088:                           ;   in Loop: Header=BB162_3 Depth=1
	s_and_not1_saveexec_b32 s84, s84
	s_cbranch_execz .LBB162_1090
; %bb.1089:                             ;   in Loop: Header=BB162_3 Depth=1
	v_div_scale_f32 v0, null, v40, v40, -v41
	v_div_scale_f32 v44, vcc_lo, -v41, v40, -v41
	s_delay_alu instid0(VALU_DEP_2) | instskip(SKIP_1) | instid1(TRANS32_DEP_1)
	v_rcp_f32_e32 v42, v0
	v_nop
	v_fma_f32 v43, -v0, v42, 1.0
	s_delay_alu instid0(VALU_DEP_1) | instskip(NEXT) | instid1(VALU_DEP_1)
	v_fmac_f32_e32 v42, v43, v42
	v_mul_f32_e32 v43, v44, v42
	s_delay_alu instid0(VALU_DEP_1) | instskip(NEXT) | instid1(VALU_DEP_1)
	v_fma_f32 v96, -v0, v43, v44
	v_fmac_f32_e32 v43, v96, v42
	s_delay_alu instid0(VALU_DEP_1) | instskip(NEXT) | instid1(VALU_DEP_1)
	v_fma_f32 v0, -v0, v43, v44
	v_div_fmas_f32 v0, v0, v42, v43
	s_delay_alu instid0(VALU_DEP_1) | instskip(NEXT) | instid1(VALU_DEP_1)
	v_div_fixup_f32 v0, v0, v40, -v41
	v_fma_f32 v40, -v41, v0, v40
	s_delay_alu instid0(VALU_DEP_1) | instskip(NEXT) | instid1(VALU_DEP_1)
	v_div_scale_f32 v41, null, v40, v40, 1.0
	v_rcp_f32_e32 v42, v41
	v_nop
	s_delay_alu instid0(TRANS32_DEP_1) | instskip(NEXT) | instid1(VALU_DEP_1)
	v_fma_f32 v43, -v41, v42, 1.0
	v_fmac_f32_e32 v42, v43, v42
	v_div_scale_f32 v43, vcc_lo, 1.0, v40, 1.0
	s_delay_alu instid0(VALU_DEP_1) | instskip(NEXT) | instid1(VALU_DEP_1)
	v_mul_f32_e32 v44, v43, v42
	v_fma_f32 v96, -v41, v44, v43
	s_delay_alu instid0(VALU_DEP_1) | instskip(NEXT) | instid1(VALU_DEP_1)
	v_fmac_f32_e32 v44, v96, v42
	v_fma_f32 v41, -v41, v44, v43
	s_delay_alu instid0(VALU_DEP_1) | instskip(NEXT) | instid1(VALU_DEP_1)
	v_div_fmas_f32 v41, v41, v42, v44
	v_div_fixup_f32 v42, v41, v40, 1.0
	s_delay_alu instid0(VALU_DEP_1)
	v_mul_f32_e64 v43, v0, -v42
.LBB162_1090:                           ;   in Loop: Header=BB162_3 Depth=1
	s_or_b32 exec_lo, exec_lo, s84
	ds_store_b64 v80, v[42:43]
.LBB162_1091:                           ;   in Loop: Header=BB162_3 Depth=1
	s_or_b32 exec_lo, exec_lo, s65
	s_and_not1_saveexec_b32 s11, s11
	s_cbranch_execz .LBB162_19
.LBB162_1092:                           ;   in Loop: Header=BB162_3 Depth=1
	v_lshl_add_u64 v[40:41], v[16:17], 3, v[38:39]
	flat_load_b64 v[40:41], v[40:41]
	s_wait_loadcnt_dscnt 0x0
	v_xor_b32_e32 v40, 0x80000000, v40
	ds_store_b64 v80, v[40:41]
	s_or_b32 exec_lo, exec_lo, s11
	s_and_saveexec_b32 s11, s8
	s_delay_alu instid0(SALU_CYCLE_1)
	s_xor_b32 s11, exec_lo, s11
	s_cbranch_execz .LBB162_20
.LBB162_1093:                           ;   in Loop: Header=BB162_3 Depth=1
	v_readlane_b32 s16, v105, 18
	s_and_saveexec_b32 s12, s16
	s_delay_alu instid0(SALU_CYCLE_1)
	s_xor_b32 s12, exec_lo, s12
	s_cbranch_execz .LBB162_1097
; %bb.1094:                             ;   in Loop: Header=BB162_3 Depth=1
	v_readlane_b32 s16, v105, 28
	s_and_saveexec_b32 s65, s16
; %bb.1095:                             ;   in Loop: Header=BB162_3 Depth=1
	ds_store_b64 v82, v[24:25]
; %bb.1096:                             ;   in Loop: Header=BB162_3 Depth=1
	s_or_b32 exec_lo, exec_lo, s65
.LBB162_1097:                           ;   in Loop: Header=BB162_3 Depth=1
	s_and_not1_saveexec_b32 s65, s12
	s_cbranch_execz .LBB162_1103
; %bb.1098:                             ;   in Loop: Header=BB162_3 Depth=1
	v_lshl_add_u64 v[40:41], v[18:19], 3, v[38:39]
	s_mov_b32 s84, exec_lo
                                        ; implicit-def: $vgpr42_vgpr43
	flat_load_b64 v[40:41], v[40:41]
	s_wait_loadcnt_dscnt 0x0
	v_cmpx_ngt_f32_e64 |v40|, |v41|
	s_xor_b32 s84, exec_lo, s84
	s_cbranch_execz .LBB162_1100
; %bb.1099:                             ;   in Loop: Header=BB162_3 Depth=1
	v_div_scale_f32 v0, null, -v41, -v41, v40
	v_div_scale_f32 v44, vcc_lo, v40, -v41, v40
	s_delay_alu instid0(VALU_DEP_2) | instskip(SKIP_1) | instid1(TRANS32_DEP_1)
	v_rcp_f32_e32 v42, v0
	v_nop
	v_fma_f32 v43, -v0, v42, 1.0
	s_delay_alu instid0(VALU_DEP_1) | instskip(NEXT) | instid1(VALU_DEP_1)
	v_fmac_f32_e32 v42, v43, v42
	v_mul_f32_e32 v43, v44, v42
	s_delay_alu instid0(VALU_DEP_1) | instskip(NEXT) | instid1(VALU_DEP_1)
	v_fma_f32 v96, -v0, v43, v44
	v_fmac_f32_e32 v43, v96, v42
	s_delay_alu instid0(VALU_DEP_1) | instskip(NEXT) | instid1(VALU_DEP_1)
	v_fma_f32 v0, -v0, v43, v44
	v_div_fmas_f32 v0, v0, v42, v43
	s_delay_alu instid0(VALU_DEP_1) | instskip(NEXT) | instid1(VALU_DEP_1)
	v_div_fixup_f32 v0, v0, -v41, v40
	v_fma_f32 v40, v40, v0, -v41
	s_delay_alu instid0(VALU_DEP_1) | instskip(SKIP_1) | instid1(VALU_DEP_2)
	v_div_scale_f32 v41, null, v40, v40, 1.0
	v_div_scale_f32 v44, vcc_lo, 1.0, v40, 1.0
	v_rcp_f32_e32 v42, v41
	v_nop
	s_delay_alu instid0(TRANS32_DEP_1) | instskip(NEXT) | instid1(VALU_DEP_1)
	v_fma_f32 v43, -v41, v42, 1.0
	v_fmac_f32_e32 v42, v43, v42
	s_delay_alu instid0(VALU_DEP_1) | instskip(NEXT) | instid1(VALU_DEP_1)
	v_mul_f32_e32 v43, v44, v42
	v_fma_f32 v96, -v41, v43, v44
	s_delay_alu instid0(VALU_DEP_1) | instskip(NEXT) | instid1(VALU_DEP_1)
	v_fmac_f32_e32 v43, v96, v42
	v_fma_f32 v41, -v41, v43, v44
	s_delay_alu instid0(VALU_DEP_1) | instskip(NEXT) | instid1(VALU_DEP_1)
	v_div_fmas_f32 v41, v41, v42, v43
	v_div_fixup_f32 v40, v41, v40, 1.0
	s_delay_alu instid0(VALU_DEP_1)
	v_mul_f32_e32 v42, v0, v40
	v_xor_b32_e32 v43, 0x80000000, v40
                                        ; implicit-def: $vgpr40_vgpr41
.LBB162_1100:                           ;   in Loop: Header=BB162_3 Depth=1
	s_and_not1_saveexec_b32 s84, s84
	s_cbranch_execz .LBB162_1102
; %bb.1101:                             ;   in Loop: Header=BB162_3 Depth=1
	v_div_scale_f32 v0, null, v40, v40, -v41
	v_div_scale_f32 v44, vcc_lo, -v41, v40, -v41
	s_delay_alu instid0(VALU_DEP_2) | instskip(SKIP_1) | instid1(TRANS32_DEP_1)
	v_rcp_f32_e32 v42, v0
	v_nop
	v_fma_f32 v43, -v0, v42, 1.0
	s_delay_alu instid0(VALU_DEP_1) | instskip(NEXT) | instid1(VALU_DEP_1)
	v_fmac_f32_e32 v42, v43, v42
	v_mul_f32_e32 v43, v44, v42
	s_delay_alu instid0(VALU_DEP_1) | instskip(NEXT) | instid1(VALU_DEP_1)
	v_fma_f32 v96, -v0, v43, v44
	v_fmac_f32_e32 v43, v96, v42
	s_delay_alu instid0(VALU_DEP_1) | instskip(NEXT) | instid1(VALU_DEP_1)
	v_fma_f32 v0, -v0, v43, v44
	v_div_fmas_f32 v0, v0, v42, v43
	s_delay_alu instid0(VALU_DEP_1) | instskip(NEXT) | instid1(VALU_DEP_1)
	v_div_fixup_f32 v0, v0, v40, -v41
	v_fma_f32 v40, -v41, v0, v40
	s_delay_alu instid0(VALU_DEP_1) | instskip(NEXT) | instid1(VALU_DEP_1)
	v_div_scale_f32 v41, null, v40, v40, 1.0
	v_rcp_f32_e32 v42, v41
	v_nop
	s_delay_alu instid0(TRANS32_DEP_1) | instskip(NEXT) | instid1(VALU_DEP_1)
	v_fma_f32 v43, -v41, v42, 1.0
	v_fmac_f32_e32 v42, v43, v42
	v_div_scale_f32 v43, vcc_lo, 1.0, v40, 1.0
	s_delay_alu instid0(VALU_DEP_1) | instskip(NEXT) | instid1(VALU_DEP_1)
	v_mul_f32_e32 v44, v43, v42
	v_fma_f32 v96, -v41, v44, v43
	s_delay_alu instid0(VALU_DEP_1) | instskip(NEXT) | instid1(VALU_DEP_1)
	v_fmac_f32_e32 v44, v96, v42
	v_fma_f32 v41, -v41, v44, v43
	s_delay_alu instid0(VALU_DEP_1) | instskip(NEXT) | instid1(VALU_DEP_1)
	v_div_fmas_f32 v41, v41, v42, v44
	v_div_fixup_f32 v42, v41, v40, 1.0
	s_delay_alu instid0(VALU_DEP_1)
	v_mul_f32_e64 v43, v0, -v42
.LBB162_1102:                           ;   in Loop: Header=BB162_3 Depth=1
	s_or_b32 exec_lo, exec_lo, s84
	ds_store_b64 v82, v[42:43]
.LBB162_1103:                           ;   in Loop: Header=BB162_3 Depth=1
	s_or_b32 exec_lo, exec_lo, s65
	s_and_not1_saveexec_b32 s11, s11
	s_cbranch_execz .LBB162_21
.LBB162_1104:                           ;   in Loop: Header=BB162_3 Depth=1
	v_lshl_add_u64 v[40:41], v[18:19], 3, v[38:39]
	flat_load_b64 v[40:41], v[40:41]
	s_wait_loadcnt_dscnt 0x0
	v_xor_b32_e32 v40, 0x80000000, v40
	ds_store_b64 v82, v[40:41]
	s_or_b32 exec_lo, exec_lo, s11
	s_and_saveexec_b32 s11, s9
	s_delay_alu instid0(SALU_CYCLE_1)
	s_xor_b32 s11, exec_lo, s11
	s_cbranch_execz .LBB162_22
.LBB162_1105:                           ;   in Loop: Header=BB162_3 Depth=1
	v_readlane_b32 s16, v105, 20
	s_and_saveexec_b32 s12, s16
	s_delay_alu instid0(SALU_CYCLE_1)
	s_xor_b32 s12, exec_lo, s12
	s_cbranch_execz .LBB162_1109
; %bb.1106:                             ;   in Loop: Header=BB162_3 Depth=1
	v_readlane_b32 s16, v104, 8
	s_and_saveexec_b32 s65, s16
; %bb.1107:                             ;   in Loop: Header=BB162_3 Depth=1
	ds_store_b64 v85, v[24:25]
; %bb.1108:                             ;   in Loop: Header=BB162_3 Depth=1
	s_or_b32 exec_lo, exec_lo, s65
.LBB162_1109:                           ;   in Loop: Header=BB162_3 Depth=1
	s_and_not1_saveexec_b32 s65, s12
	s_cbranch_execz .LBB162_1115
; %bb.1110:                             ;   in Loop: Header=BB162_3 Depth=1
	v_lshl_add_u64 v[40:41], v[20:21], 3, v[38:39]
	s_mov_b32 s84, exec_lo
                                        ; implicit-def: $vgpr42_vgpr43
	flat_load_b64 v[40:41], v[40:41]
	s_wait_loadcnt_dscnt 0x0
	v_cmpx_ngt_f32_e64 |v40|, |v41|
	s_xor_b32 s84, exec_lo, s84
	s_cbranch_execz .LBB162_1112
; %bb.1111:                             ;   in Loop: Header=BB162_3 Depth=1
	v_div_scale_f32 v0, null, -v41, -v41, v40
	v_div_scale_f32 v44, vcc_lo, v40, -v41, v40
	s_delay_alu instid0(VALU_DEP_2) | instskip(SKIP_1) | instid1(TRANS32_DEP_1)
	v_rcp_f32_e32 v42, v0
	v_nop
	v_fma_f32 v43, -v0, v42, 1.0
	s_delay_alu instid0(VALU_DEP_1) | instskip(NEXT) | instid1(VALU_DEP_1)
	v_fmac_f32_e32 v42, v43, v42
	v_mul_f32_e32 v43, v44, v42
	s_delay_alu instid0(VALU_DEP_1) | instskip(NEXT) | instid1(VALU_DEP_1)
	v_fma_f32 v96, -v0, v43, v44
	v_fmac_f32_e32 v43, v96, v42
	s_delay_alu instid0(VALU_DEP_1) | instskip(NEXT) | instid1(VALU_DEP_1)
	v_fma_f32 v0, -v0, v43, v44
	v_div_fmas_f32 v0, v0, v42, v43
	s_delay_alu instid0(VALU_DEP_1) | instskip(NEXT) | instid1(VALU_DEP_1)
	v_div_fixup_f32 v0, v0, -v41, v40
	v_fma_f32 v40, v40, v0, -v41
	s_delay_alu instid0(VALU_DEP_1) | instskip(SKIP_1) | instid1(VALU_DEP_2)
	v_div_scale_f32 v41, null, v40, v40, 1.0
	v_div_scale_f32 v44, vcc_lo, 1.0, v40, 1.0
	v_rcp_f32_e32 v42, v41
	v_nop
	s_delay_alu instid0(TRANS32_DEP_1) | instskip(NEXT) | instid1(VALU_DEP_1)
	v_fma_f32 v43, -v41, v42, 1.0
	v_fmac_f32_e32 v42, v43, v42
	s_delay_alu instid0(VALU_DEP_1) | instskip(NEXT) | instid1(VALU_DEP_1)
	v_mul_f32_e32 v43, v44, v42
	v_fma_f32 v96, -v41, v43, v44
	s_delay_alu instid0(VALU_DEP_1) | instskip(NEXT) | instid1(VALU_DEP_1)
	v_fmac_f32_e32 v43, v96, v42
	v_fma_f32 v41, -v41, v43, v44
	s_delay_alu instid0(VALU_DEP_1) | instskip(NEXT) | instid1(VALU_DEP_1)
	v_div_fmas_f32 v41, v41, v42, v43
	v_div_fixup_f32 v40, v41, v40, 1.0
	s_delay_alu instid0(VALU_DEP_1)
	v_mul_f32_e32 v42, v0, v40
	v_xor_b32_e32 v43, 0x80000000, v40
                                        ; implicit-def: $vgpr40_vgpr41
.LBB162_1112:                           ;   in Loop: Header=BB162_3 Depth=1
	s_and_not1_saveexec_b32 s84, s84
	s_cbranch_execz .LBB162_1114
; %bb.1113:                             ;   in Loop: Header=BB162_3 Depth=1
	v_div_scale_f32 v0, null, v40, v40, -v41
	v_div_scale_f32 v44, vcc_lo, -v41, v40, -v41
	s_delay_alu instid0(VALU_DEP_2) | instskip(SKIP_1) | instid1(TRANS32_DEP_1)
	v_rcp_f32_e32 v42, v0
	v_nop
	v_fma_f32 v43, -v0, v42, 1.0
	s_delay_alu instid0(VALU_DEP_1) | instskip(NEXT) | instid1(VALU_DEP_1)
	v_fmac_f32_e32 v42, v43, v42
	v_mul_f32_e32 v43, v44, v42
	s_delay_alu instid0(VALU_DEP_1) | instskip(NEXT) | instid1(VALU_DEP_1)
	v_fma_f32 v96, -v0, v43, v44
	v_fmac_f32_e32 v43, v96, v42
	s_delay_alu instid0(VALU_DEP_1) | instskip(NEXT) | instid1(VALU_DEP_1)
	v_fma_f32 v0, -v0, v43, v44
	v_div_fmas_f32 v0, v0, v42, v43
	s_delay_alu instid0(VALU_DEP_1) | instskip(NEXT) | instid1(VALU_DEP_1)
	v_div_fixup_f32 v0, v0, v40, -v41
	v_fma_f32 v40, -v41, v0, v40
	s_delay_alu instid0(VALU_DEP_1) | instskip(NEXT) | instid1(VALU_DEP_1)
	v_div_scale_f32 v41, null, v40, v40, 1.0
	v_rcp_f32_e32 v42, v41
	v_nop
	s_delay_alu instid0(TRANS32_DEP_1) | instskip(NEXT) | instid1(VALU_DEP_1)
	v_fma_f32 v43, -v41, v42, 1.0
	v_fmac_f32_e32 v42, v43, v42
	v_div_scale_f32 v43, vcc_lo, 1.0, v40, 1.0
	s_delay_alu instid0(VALU_DEP_1) | instskip(NEXT) | instid1(VALU_DEP_1)
	v_mul_f32_e32 v44, v43, v42
	v_fma_f32 v96, -v41, v44, v43
	s_delay_alu instid0(VALU_DEP_1) | instskip(NEXT) | instid1(VALU_DEP_1)
	v_fmac_f32_e32 v44, v96, v42
	v_fma_f32 v41, -v41, v44, v43
	s_delay_alu instid0(VALU_DEP_1) | instskip(NEXT) | instid1(VALU_DEP_1)
	v_div_fmas_f32 v41, v41, v42, v44
	v_div_fixup_f32 v42, v41, v40, 1.0
	s_delay_alu instid0(VALU_DEP_1)
	v_mul_f32_e64 v43, v0, -v42
.LBB162_1114:                           ;   in Loop: Header=BB162_3 Depth=1
	s_or_b32 exec_lo, exec_lo, s84
	ds_store_b64 v85, v[42:43]
.LBB162_1115:                           ;   in Loop: Header=BB162_3 Depth=1
	s_or_b32 exec_lo, exec_lo, s65
	s_and_not1_saveexec_b32 s11, s11
	s_cbranch_execnz .LBB162_23
	s_branch .LBB162_24
.LBB162_1116:                           ;   in Loop: Header=BB162_3 Depth=1
	ds_load_b64 v[34:35], v91
	ds_load_b64 v[40:41], v86
	s_wait_dscnt 0x0
	v_dual_mul_f32 v0, v41, v35 :: v_dual_mul_f32 v35, v40, v35
	s_delay_alu instid0(VALU_DEP_1) | instskip(NEXT) | instid1(VALU_DEP_1)
	v_dual_fma_f32 v0, v40, v34, -v0 :: v_dual_fmac_f32 v35, v41, v34
	v_dual_add_f32 v34, 0, v0 :: v_dual_add_f32 v35, 0, v35
	s_or_b32 exec_lo, exec_lo, s11
	s_and_saveexec_b32 s11, s1
	s_cbranch_execz .LBB162_1048
.LBB162_1117:                           ;   in Loop: Header=BB162_3 Depth=1
	ds_load_b64 v[40:41], v91 offset:8192
	ds_load_b64 v[42:43], v86 offset:128
	s_wait_dscnt 0x0
	v_dual_mul_f32 v0, v43, v41 :: v_dual_mul_f32 v97, v42, v41
	s_delay_alu instid0(VALU_DEP_1) | instskip(NEXT) | instid1(VALU_DEP_1)
	v_dual_fma_f32 v96, v42, v40, -v0 :: v_dual_fmac_f32 v97, v43, v40
	v_pk_add_f32 v[34:35], v[34:35], v[96:97]
	s_or_b32 exec_lo, exec_lo, s11
	s_and_saveexec_b32 s11, s8
	s_cbranch_execz .LBB162_1049
.LBB162_1118:                           ;   in Loop: Header=BB162_3 Depth=1
	ds_load_b64 v[40:41], v91 offset:16384
	ds_load_b64 v[42:43], v86 offset:256
	s_wait_dscnt 0x0
	v_pk_mul_f32 v[96:97], v[42:43], v[40:41] op_sel:[1,1] op_sel_hi:[0,1]
	s_delay_alu instid0(VALU_DEP_1) | instskip(SKIP_1) | instid1(VALU_DEP_2)
	v_pk_fma_f32 v[98:99], v[42:43], v[40:41], v[96:97] op_sel_hi:[1,0,1]
	v_pk_fma_f32 v[40:41], v[42:43], v[40:41], v[96:97] neg_lo:[0,0,1] neg_hi:[0,0,1]
	v_mov_b32_e32 v41, v99
	s_delay_alu instid0(VALU_DEP_1)
	v_pk_add_f32 v[34:35], v[34:35], v[40:41]
	s_or_b32 exec_lo, exec_lo, s11
	s_and_saveexec_b32 s11, s9
	s_cbranch_execnz .LBB162_1050
	s_branch .LBB162_1051
.LBB162_1119:                           ;   in Loop: Header=BB162_3 Depth=1
	s_or_b32 exec_lo, exec_lo, s84
	s_delay_alu instid0(SALU_CYCLE_1)
	s_and_b32 vcc_lo, exec_lo, s65
	s_cbranch_vccnz .LBB162_1054
.LBB162_1120:                           ;   in Loop: Header=BB162_3 Depth=1
	v_mov_b64_e32 v[38:39], v[40:41]
	v_mov_b64_e32 v[34:35], v[22:23]
	s_and_saveexec_b32 s12, s11
	s_cbranch_execz .LBB162_1122
.LBB162_1121:                           ;   in Loop: Header=BB162_3 Depth=1
	s_delay_alu instid0(VALU_DEP_1)
	v_lshl_add_u64 v[34:35], v[34:35], 3, v[36:37]
	flat_store_b64 v[34:35], v[38:39]
.LBB162_1122:                           ;   in Loop: Header=BB162_3 Depth=1
	s_wait_xcnt 0x0
	s_or_b32 exec_lo, exec_lo, s12
	global_wb scope:SCOPE_DEV
	s_wait_storecnt_dscnt 0x0
	global_inv scope:SCOPE_DEV
	s_wait_loadcnt 0x0
	s_barrier_signal -1
	s_barrier_wait -1
	s_and_saveexec_b32 s11, s39
	s_cbranch_execz .LBB162_2
; %bb.1123:                             ;   in Loop: Header=BB162_3 Depth=1
	s_lshl_b64 s[84:85], s[66:67], 2
	s_delay_alu instid0(SALU_CYCLE_1)
	s_add_nc_u64 s[84:85], s[80:81], s[84:85]
	global_load_b32 v0, v1, s[84:85]
	s_wait_loadcnt 0x0
	v_add_nc_u32_e32 v0, 1, v0
	global_store_b32 v1, v0, s[84:85]
	s_branch .LBB162_2
.LBB162_1124:                           ;   in Loop: Header=BB162_3 Depth=1
	ds_load_b64 v[40:41], v53 offset:31680
	ds_load_b64 v[42:43], v54 offset:32744
	s_wait_dscnt 0x0
	v_dual_mul_f32 v0, v43, v41 :: v_dual_mul_f32 v41, v42, v41
	s_delay_alu instid0(VALU_DEP_1) | instskip(NEXT) | instid1(VALU_DEP_1)
	v_dual_fma_f32 v0, v42, v40, -v0 :: v_dual_fmac_f32 v41, v43, v40
	v_dual_add_f32 v38, v38, v0 :: v_dual_add_f32 v39, v39, v41
	s_or_b32 exec_lo, exec_lo, s12
	s_and_saveexec_b32 s12, s20
	s_cbranch_execz .LBB162_104
.LBB162_1125:                           ;   in Loop: Header=BB162_3 Depth=1
	ds_load_b64 v[40:41], v53 offset:32192
	ds_load_b64 v[42:43], v54 offset:32752
	s_wait_dscnt 0x0
	v_dual_mul_f32 v0, v43, v41 :: v_dual_mul_f32 v41, v42, v41
	s_delay_alu instid0(VALU_DEP_1) | instskip(NEXT) | instid1(VALU_DEP_1)
	v_dual_fma_f32 v0, v42, v40, -v0 :: v_dual_fmac_f32 v41, v43, v40
	v_dual_add_f32 v38, v38, v0 :: v_dual_add_f32 v39, v39, v41
	s_or_b32 exec_lo, exec_lo, s12
	s_and_saveexec_b32 s12, s3
	s_cbranch_execnz .LBB162_105
	s_branch .LBB162_106
.LBB162_1126:                           ;   in Loop: Header=BB162_3 Depth=1
	ds_load_b64 v[40:41], v60 offset:29568
	ds_load_b64 v[42:43], v61 offset:32712
	s_wait_dscnt 0x0
	v_dual_mul_f32 v0, v43, v41 :: v_dual_mul_f32 v41, v42, v41
	s_delay_alu instid0(VALU_DEP_1) | instskip(NEXT) | instid1(VALU_DEP_1)
	v_dual_fma_f32 v0, v42, v40, -v0 :: v_dual_fmac_f32 v41, v43, v40
	v_dual_add_f32 v38, v38, v0 :: v_dual_add_f32 v39, v39, v41
	s_or_b32 exec_lo, exec_lo, s12
	s_and_saveexec_b32 s12, s22
	s_cbranch_execz .LBB162_146
.LBB162_1127:                           ;   in Loop: Header=BB162_3 Depth=1
	ds_load_b64 v[40:41], v60 offset:30080
	ds_load_b64 v[42:43], v61 offset:32720
	s_wait_dscnt 0x0
	v_dual_mul_f32 v0, v43, v41 :: v_dual_mul_f32 v41, v42, v41
	s_delay_alu instid0(VALU_DEP_1) | instskip(NEXT) | instid1(VALU_DEP_1)
	v_dual_fma_f32 v0, v42, v40, -v0 :: v_dual_fmac_f32 v41, v43, v40
	v_dual_add_f32 v38, v38, v0 :: v_dual_add_f32 v39, v39, v41
	s_or_b32 exec_lo, exec_lo, s12
	s_and_saveexec_b32 s12, s23
	s_cbranch_execz .LBB162_147
.LBB162_1128:                           ;   in Loop: Header=BB162_3 Depth=1
	ds_load_b64 v[40:41], v60 offset:30592
	ds_load_b64 v[42:43], v61 offset:32728
	s_wait_dscnt 0x0
	v_dual_mul_f32 v0, v43, v41 :: v_dual_mul_f32 v41, v42, v41
	s_delay_alu instid0(VALU_DEP_1) | instskip(NEXT) | instid1(VALU_DEP_1)
	v_dual_fma_f32 v0, v42, v40, -v0 :: v_dual_fmac_f32 v41, v43, v40
	v_dual_add_f32 v38, v38, v0 :: v_dual_add_f32 v39, v39, v41
	s_or_b32 exec_lo, exec_lo, s12
	s_and_saveexec_b32 s12, s24
	s_cbranch_execz .LBB162_148
.LBB162_1129:                           ;   in Loop: Header=BB162_3 Depth=1
	ds_load_b64 v[40:41], v60 offset:31104
	ds_load_b64 v[42:43], v61 offset:32736
	s_wait_dscnt 0x0
	v_dual_mul_f32 v0, v43, v41 :: v_dual_mul_f32 v41, v42, v41
	s_delay_alu instid0(VALU_DEP_1) | instskip(NEXT) | instid1(VALU_DEP_1)
	v_dual_fma_f32 v0, v42, v40, -v0 :: v_dual_fmac_f32 v41, v43, v40
	v_dual_add_f32 v38, v38, v0 :: v_dual_add_f32 v39, v39, v41
	s_or_b32 exec_lo, exec_lo, s12
	s_and_saveexec_b32 s12, s25
	s_cbranch_execz .LBB162_149
.LBB162_1130:                           ;   in Loop: Header=BB162_3 Depth=1
	ds_load_b64 v[40:41], v60 offset:31616
	ds_load_b64 v[42:43], v61 offset:32744
	s_wait_dscnt 0x0
	v_dual_mul_f32 v0, v43, v41 :: v_dual_mul_f32 v41, v42, v41
	s_delay_alu instid0(VALU_DEP_1) | instskip(NEXT) | instid1(VALU_DEP_1)
	v_dual_fma_f32 v0, v42, v40, -v0 :: v_dual_fmac_f32 v41, v43, v40
	v_dual_add_f32 v38, v38, v0 :: v_dual_add_f32 v39, v39, v41
	s_or_b32 exec_lo, exec_lo, s12
	s_and_saveexec_b32 s12, s5
	s_cbranch_execz .LBB162_150
.LBB162_1131:                           ;   in Loop: Header=BB162_3 Depth=1
	ds_load_b64 v[40:41], v60 offset:32128
	ds_load_b64 v[42:43], v61 offset:32752
	s_wait_dscnt 0x0
	v_dual_mul_f32 v0, v43, v41 :: v_dual_mul_f32 v41, v42, v41
	s_delay_alu instid0(VALU_DEP_1) | instskip(NEXT) | instid1(VALU_DEP_1)
	v_dual_fma_f32 v0, v42, v40, -v0 :: v_dual_fmac_f32 v41, v43, v40
	v_dual_add_f32 v38, v38, v0 :: v_dual_add_f32 v39, v39, v41
	s_or_b32 exec_lo, exec_lo, s12
	s_and_saveexec_b32 s12, s20
	s_cbranch_execnz .LBB162_151
	s_branch .LBB162_152
.LBB162_1132:                           ;   in Loop: Header=BB162_3 Depth=1
	ds_load_b64 v[40:41], v53 offset:27520
	ds_load_b64 v[42:43], v54 offset:28584
	s_wait_dscnt 0x0
	v_dual_mul_f32 v0, v43, v41 :: v_dual_mul_f32 v41, v42, v41
	s_delay_alu instid0(VALU_DEP_1) | instskip(NEXT) | instid1(VALU_DEP_1)
	v_dual_fma_f32 v0, v42, v40, -v0 :: v_dual_fmac_f32 v41, v43, v40
	v_dual_add_f32 v38, v38, v0 :: v_dual_add_f32 v39, v39, v41
	s_or_b32 exec_lo, exec_lo, s12
	s_and_saveexec_b32 s12, s20
	s_cbranch_execz .LBB162_208
.LBB162_1133:                           ;   in Loop: Header=BB162_3 Depth=1
	ds_load_b64 v[40:41], v53 offset:28032
	ds_load_b64 v[42:43], v54 offset:28592
	s_wait_dscnt 0x0
	v_dual_mul_f32 v0, v43, v41 :: v_dual_mul_f32 v41, v42, v41
	s_delay_alu instid0(VALU_DEP_1) | instskip(NEXT) | instid1(VALU_DEP_1)
	v_dual_fma_f32 v0, v42, v40, -v0 :: v_dual_fmac_f32 v41, v43, v40
	v_dual_add_f32 v38, v38, v0 :: v_dual_add_f32 v39, v39, v41
	s_or_b32 exec_lo, exec_lo, s12
	s_and_saveexec_b32 s12, s3
	s_cbranch_execnz .LBB162_209
	s_branch .LBB162_210
.LBB162_1134:                           ;   in Loop: Header=BB162_3 Depth=1
	ds_load_b64 v[40:41], v64 offset:30464
	ds_load_b64 v[42:43], v65 offset:32728
	s_wait_dscnt 0x0
	v_dual_mul_f32 v0, v43, v41 :: v_dual_mul_f32 v41, v42, v41
	s_delay_alu instid0(VALU_DEP_1) | instskip(NEXT) | instid1(VALU_DEP_1)
	v_dual_fma_f32 v0, v42, v40, -v0 :: v_dual_fmac_f32 v41, v43, v40
	v_dual_add_f32 v38, v38, v0 :: v_dual_add_f32 v39, v39, v41
	s_or_b32 exec_lo, exec_lo, s11
	s_and_saveexec_b32 s11, s6
	s_cbranch_execz .LBB162_270
.LBB162_1135:                           ;   in Loop: Header=BB162_3 Depth=1
	ds_load_b64 v[40:41], v64 offset:30976
	ds_load_b64 v[42:43], v65 offset:32736
	s_wait_dscnt 0x0
	v_dual_mul_f32 v0, v43, v41 :: v_dual_mul_f32 v41, v42, v41
	s_delay_alu instid0(VALU_DEP_1) | instskip(NEXT) | instid1(VALU_DEP_1)
	v_dual_fma_f32 v0, v42, v40, -v0 :: v_dual_fmac_f32 v41, v43, v40
	v_dual_add_f32 v38, v38, v0 :: v_dual_add_f32 v39, v39, v41
	s_or_b32 exec_lo, exec_lo, s11
	s_and_saveexec_b32 s11, s22
	s_cbranch_execz .LBB162_271
.LBB162_1136:                           ;   in Loop: Header=BB162_3 Depth=1
	ds_load_b64 v[40:41], v64 offset:31488
	ds_load_b64 v[42:43], v65 offset:32744
	s_wait_dscnt 0x0
	v_dual_mul_f32 v0, v43, v41 :: v_dual_mul_f32 v41, v42, v41
	s_delay_alu instid0(VALU_DEP_1) | instskip(NEXT) | instid1(VALU_DEP_1)
	v_dual_fma_f32 v0, v42, v40, -v0 :: v_dual_fmac_f32 v41, v43, v40
	v_dual_add_f32 v38, v38, v0 :: v_dual_add_f32 v39, v39, v41
	s_or_b32 exec_lo, exec_lo, s11
	s_and_saveexec_b32 s11, s24
	s_cbranch_execz .LBB162_272
.LBB162_1137:                           ;   in Loop: Header=BB162_3 Depth=1
	ds_load_b64 v[40:41], v64 offset:32000
	ds_load_b64 v[42:43], v65 offset:32752
	s_wait_dscnt 0x0
	v_dual_mul_f32 v0, v43, v41 :: v_dual_mul_f32 v41, v42, v41
	s_delay_alu instid0(VALU_DEP_1) | instskip(NEXT) | instid1(VALU_DEP_1)
	v_dual_fma_f32 v0, v42, v40, -v0 :: v_dual_fmac_f32 v41, v43, v40
	v_dual_add_f32 v38, v38, v0 :: v_dual_add_f32 v39, v39, v41
	s_or_b32 exec_lo, exec_lo, s11
	s_and_saveexec_b32 s11, s5
	s_cbranch_execnz .LBB162_273
	s_branch .LBB162_274
.LBB162_1138:                           ;   in Loop: Header=BB162_3 Depth=1
	ds_load_b64 v[40:41], v53 offset:23360
	ds_load_b64 v[42:43], v54 offset:24424
	s_wait_dscnt 0x0
	v_dual_mul_f32 v0, v43, v41 :: v_dual_mul_f32 v41, v42, v41
	s_delay_alu instid0(VALU_DEP_1) | instskip(NEXT) | instid1(VALU_DEP_1)
	v_dual_fma_f32 v0, v42, v40, -v0 :: v_dual_fmac_f32 v41, v43, v40
	v_dual_add_f32 v38, v38, v0 :: v_dual_add_f32 v39, v39, v41
	s_or_b32 exec_lo, exec_lo, s12
	s_and_saveexec_b32 s12, s20
	s_cbranch_execz .LBB162_362
.LBB162_1139:                           ;   in Loop: Header=BB162_3 Depth=1
	ds_load_b64 v[40:41], v53 offset:23872
	ds_load_b64 v[42:43], v54 offset:24432
	s_wait_dscnt 0x0
	v_dual_mul_f32 v0, v43, v41 :: v_dual_mul_f32 v41, v42, v41
	s_delay_alu instid0(VALU_DEP_1) | instskip(NEXT) | instid1(VALU_DEP_1)
	v_dual_fma_f32 v0, v42, v40, -v0 :: v_dual_fmac_f32 v41, v43, v40
	v_dual_add_f32 v38, v38, v0 :: v_dual_add_f32 v39, v39, v41
	s_or_b32 exec_lo, exec_lo, s12
	s_and_saveexec_b32 s12, s3
	s_cbranch_execnz .LBB162_363
	s_branch .LBB162_364
.LBB162_1140:                           ;   in Loop: Header=BB162_3 Depth=1
	ds_load_b64 v[40:41], v60 offset:21248
	ds_load_b64 v[42:43], v61 offset:24392
	s_wait_dscnt 0x0
	v_dual_mul_f32 v0, v43, v41 :: v_dual_mul_f32 v41, v42, v41
	s_delay_alu instid0(VALU_DEP_1) | instskip(NEXT) | instid1(VALU_DEP_1)
	v_dual_fma_f32 v0, v42, v40, -v0 :: v_dual_fmac_f32 v41, v43, v40
	v_dual_add_f32 v38, v38, v0 :: v_dual_add_f32 v39, v39, v41
	s_or_b32 exec_lo, exec_lo, s12
	s_and_saveexec_b32 s12, s22
	s_cbranch_execz .LBB162_404
.LBB162_1141:                           ;   in Loop: Header=BB162_3 Depth=1
	ds_load_b64 v[40:41], v60 offset:21760
	ds_load_b64 v[42:43], v61 offset:24400
	s_wait_dscnt 0x0
	v_dual_mul_f32 v0, v43, v41 :: v_dual_mul_f32 v41, v42, v41
	s_delay_alu instid0(VALU_DEP_1) | instskip(NEXT) | instid1(VALU_DEP_1)
	v_dual_fma_f32 v0, v42, v40, -v0 :: v_dual_fmac_f32 v41, v43, v40
	v_dual_add_f32 v38, v38, v0 :: v_dual_add_f32 v39, v39, v41
	s_or_b32 exec_lo, exec_lo, s12
	s_and_saveexec_b32 s12, s23
	s_cbranch_execz .LBB162_405
.LBB162_1142:                           ;   in Loop: Header=BB162_3 Depth=1
	ds_load_b64 v[40:41], v60 offset:22272
	ds_load_b64 v[42:43], v61 offset:24408
	s_wait_dscnt 0x0
	v_dual_mul_f32 v0, v43, v41 :: v_dual_mul_f32 v41, v42, v41
	s_delay_alu instid0(VALU_DEP_1) | instskip(NEXT) | instid1(VALU_DEP_1)
	v_dual_fma_f32 v0, v42, v40, -v0 :: v_dual_fmac_f32 v41, v43, v40
	v_dual_add_f32 v38, v38, v0 :: v_dual_add_f32 v39, v39, v41
	s_or_b32 exec_lo, exec_lo, s12
	s_and_saveexec_b32 s12, s24
	s_cbranch_execz .LBB162_406
.LBB162_1143:                           ;   in Loop: Header=BB162_3 Depth=1
	ds_load_b64 v[40:41], v60 offset:22784
	ds_load_b64 v[42:43], v61 offset:24416
	s_wait_dscnt 0x0
	v_dual_mul_f32 v0, v43, v41 :: v_dual_mul_f32 v41, v42, v41
	s_delay_alu instid0(VALU_DEP_1) | instskip(NEXT) | instid1(VALU_DEP_1)
	v_dual_fma_f32 v0, v42, v40, -v0 :: v_dual_fmac_f32 v41, v43, v40
	v_dual_add_f32 v38, v38, v0 :: v_dual_add_f32 v39, v39, v41
	s_or_b32 exec_lo, exec_lo, s12
	s_and_saveexec_b32 s12, s25
	s_cbranch_execz .LBB162_407
.LBB162_1144:                           ;   in Loop: Header=BB162_3 Depth=1
	ds_load_b64 v[40:41], v60 offset:23296
	ds_load_b64 v[42:43], v61 offset:24424
	s_wait_dscnt 0x0
	v_dual_mul_f32 v0, v43, v41 :: v_dual_mul_f32 v41, v42, v41
	s_delay_alu instid0(VALU_DEP_1) | instskip(NEXT) | instid1(VALU_DEP_1)
	v_dual_fma_f32 v0, v42, v40, -v0 :: v_dual_fmac_f32 v41, v43, v40
	v_dual_add_f32 v38, v38, v0 :: v_dual_add_f32 v39, v39, v41
	s_or_b32 exec_lo, exec_lo, s12
	s_and_saveexec_b32 s12, s5
	s_cbranch_execz .LBB162_408
.LBB162_1145:                           ;   in Loop: Header=BB162_3 Depth=1
	ds_load_b64 v[40:41], v60 offset:23808
	ds_load_b64 v[42:43], v61 offset:24432
	s_wait_dscnt 0x0
	v_dual_mul_f32 v0, v43, v41 :: v_dual_mul_f32 v41, v42, v41
	s_delay_alu instid0(VALU_DEP_1) | instskip(NEXT) | instid1(VALU_DEP_1)
	v_dual_fma_f32 v0, v42, v40, -v0 :: v_dual_fmac_f32 v41, v43, v40
	v_dual_add_f32 v38, v38, v0 :: v_dual_add_f32 v39, v39, v41
	s_or_b32 exec_lo, exec_lo, s12
	s_and_saveexec_b32 s12, s20
	s_cbranch_execnz .LBB162_409
	s_branch .LBB162_410
.LBB162_1146:                           ;   in Loop: Header=BB162_3 Depth=1
	ds_load_b64 v[40:41], v53 offset:19200
	ds_load_b64 v[42:43], v54 offset:20264
	s_wait_dscnt 0x0
	v_dual_mul_f32 v0, v43, v41 :: v_dual_mul_f32 v41, v42, v41
	s_delay_alu instid0(VALU_DEP_1) | instskip(NEXT) | instid1(VALU_DEP_1)
	v_dual_fma_f32 v0, v42, v40, -v0 :: v_dual_fmac_f32 v41, v43, v40
	v_dual_add_f32 v38, v38, v0 :: v_dual_add_f32 v39, v39, v41
	s_or_b32 exec_lo, exec_lo, s12
	s_and_saveexec_b32 s12, s20
	s_cbranch_execz .LBB162_466
.LBB162_1147:                           ;   in Loop: Header=BB162_3 Depth=1
	ds_load_b64 v[40:41], v53 offset:19712
	ds_load_b64 v[42:43], v54 offset:20272
	s_wait_dscnt 0x0
	v_dual_mul_f32 v0, v43, v41 :: v_dual_mul_f32 v41, v42, v41
	s_delay_alu instid0(VALU_DEP_1) | instskip(NEXT) | instid1(VALU_DEP_1)
	v_dual_fma_f32 v0, v42, v40, -v0 :: v_dual_fmac_f32 v41, v43, v40
	v_dual_add_f32 v38, v38, v0 :: v_dual_add_f32 v39, v39, v41
	s_or_b32 exec_lo, exec_lo, s12
	s_and_saveexec_b32 s12, s3
	s_cbranch_execnz .LBB162_467
	s_branch .LBB162_468
.LBB162_1148:                           ;   in Loop: Header=BB162_3 Depth=1
	ds_load_b64 v[40:41], v68 offset:31232
	ds_load_b64 v[42:43], v70 offset:32744
	s_wait_dscnt 0x0
	v_pk_mul_f32 v[96:97], v[42:43], v[40:41] op_sel:[1,1] op_sel_hi:[0,1]
	s_delay_alu instid0(VALU_DEP_1) | instskip(SKIP_1) | instid1(VALU_DEP_2)
	v_pk_fma_f32 v[98:99], v[42:43], v[40:41], v[96:97] op_sel_hi:[1,0,1]
	v_pk_fma_f32 v[40:41], v[42:43], v[40:41], v[96:97] neg_lo:[0,0,1] neg_hi:[0,0,1]
	v_mov_b32_e32 v41, v99
	s_delay_alu instid0(VALU_DEP_1)
	v_pk_add_f32 v[38:39], v[38:39], v[40:41]
	s_or_b32 exec_lo, exec_lo, s11
	s_and_saveexec_b32 s11, s6
	s_cbranch_execz .LBB162_564
.LBB162_1149:                           ;   in Loop: Header=BB162_3 Depth=1
	ds_load_b64 v[40:41], v68 offset:31744
	ds_load_b64 v[42:43], v70 offset:32752
	s_wait_dscnt 0x0
	v_pk_mul_f32 v[96:97], v[42:43], v[40:41] op_sel:[1,1] op_sel_hi:[0,1]
	s_delay_alu instid0(VALU_DEP_1) | instskip(SKIP_1) | instid1(VALU_DEP_2)
	v_pk_fma_f32 v[98:99], v[42:43], v[40:41], v[96:97] op_sel_hi:[1,0,1]
	v_pk_fma_f32 v[40:41], v[42:43], v[40:41], v[96:97] neg_lo:[0,0,1] neg_hi:[0,0,1]
	v_mov_b32_e32 v41, v99
	s_delay_alu instid0(VALU_DEP_1) | instskip(SKIP_2) | instid1(SALU_CYCLE_1)
	v_pk_add_f32 v[38:39], v[38:39], v[40:41]
	s_or_b32 exec_lo, exec_lo, s11
	s_and_saveexec_b32 s11, s24
	s_xor_b32 s11, exec_lo, s11
	s_cbranch_execnz .LBB162_565
	s_branch .LBB162_566
.LBB162_1150:                           ;   in Loop: Header=BB162_3 Depth=1
	ds_load_b64 v[40:41], v53 offset:15040
	ds_load_b64 v[42:43], v54 offset:16104
	s_wait_dscnt 0x0
	v_dual_mul_f32 v0, v43, v41 :: v_dual_mul_f32 v41, v42, v41
	s_delay_alu instid0(VALU_DEP_1) | instskip(NEXT) | instid1(VALU_DEP_1)
	v_dual_fma_f32 v0, v42, v40, -v0 :: v_dual_fmac_f32 v41, v43, v40
	v_dual_add_f32 v38, v38, v0 :: v_dual_add_f32 v39, v39, v41
	s_or_b32 exec_lo, exec_lo, s12
	s_and_saveexec_b32 s12, s20
	s_cbranch_execz .LBB162_602
.LBB162_1151:                           ;   in Loop: Header=BB162_3 Depth=1
	ds_load_b64 v[40:41], v53 offset:15552
	ds_load_b64 v[42:43], v54 offset:16112
	s_wait_dscnt 0x0
	v_dual_mul_f32 v0, v43, v41 :: v_dual_mul_f32 v41, v42, v41
	s_delay_alu instid0(VALU_DEP_1) | instskip(NEXT) | instid1(VALU_DEP_1)
	v_dual_fma_f32 v0, v42, v40, -v0 :: v_dual_fmac_f32 v41, v43, v40
	v_dual_add_f32 v38, v38, v0 :: v_dual_add_f32 v39, v39, v41
	s_or_b32 exec_lo, exec_lo, s12
	s_and_saveexec_b32 s12, s3
	s_cbranch_execnz .LBB162_603
	s_branch .LBB162_604
.LBB162_1152:                           ;   in Loop: Header=BB162_3 Depth=1
	ds_load_b64 v[40:41], v60 offset:12928
	ds_load_b64 v[42:43], v61 offset:16072
	s_wait_dscnt 0x0
	v_dual_mul_f32 v0, v43, v41 :: v_dual_mul_f32 v41, v42, v41
	s_delay_alu instid0(VALU_DEP_1) | instskip(NEXT) | instid1(VALU_DEP_1)
	v_dual_fma_f32 v0, v42, v40, -v0 :: v_dual_fmac_f32 v41, v43, v40
	v_dual_add_f32 v38, v38, v0 :: v_dual_add_f32 v39, v39, v41
	s_or_b32 exec_lo, exec_lo, s12
	s_and_saveexec_b32 s12, s22
	s_cbranch_execz .LBB162_644
.LBB162_1153:                           ;   in Loop: Header=BB162_3 Depth=1
	ds_load_b64 v[40:41], v60 offset:13440
	ds_load_b64 v[42:43], v61 offset:16080
	s_wait_dscnt 0x0
	v_dual_mul_f32 v0, v43, v41 :: v_dual_mul_f32 v41, v42, v41
	s_delay_alu instid0(VALU_DEP_1) | instskip(NEXT) | instid1(VALU_DEP_1)
	v_dual_fma_f32 v0, v42, v40, -v0 :: v_dual_fmac_f32 v41, v43, v40
	v_dual_add_f32 v38, v38, v0 :: v_dual_add_f32 v39, v39, v41
	s_or_b32 exec_lo, exec_lo, s12
	s_and_saveexec_b32 s12, s23
	s_cbranch_execz .LBB162_645
.LBB162_1154:                           ;   in Loop: Header=BB162_3 Depth=1
	ds_load_b64 v[40:41], v60 offset:13952
	ds_load_b64 v[42:43], v61 offset:16088
	s_wait_dscnt 0x0
	v_dual_mul_f32 v0, v43, v41 :: v_dual_mul_f32 v41, v42, v41
	s_delay_alu instid0(VALU_DEP_1) | instskip(NEXT) | instid1(VALU_DEP_1)
	v_dual_fma_f32 v0, v42, v40, -v0 :: v_dual_fmac_f32 v41, v43, v40
	v_dual_add_f32 v38, v38, v0 :: v_dual_add_f32 v39, v39, v41
	s_or_b32 exec_lo, exec_lo, s12
	s_and_saveexec_b32 s12, s24
	s_cbranch_execz .LBB162_646
.LBB162_1155:                           ;   in Loop: Header=BB162_3 Depth=1
	ds_load_b64 v[40:41], v60 offset:14464
	ds_load_b64 v[42:43], v61 offset:16096
	s_wait_dscnt 0x0
	v_dual_mul_f32 v0, v43, v41 :: v_dual_mul_f32 v41, v42, v41
	s_delay_alu instid0(VALU_DEP_1) | instskip(NEXT) | instid1(VALU_DEP_1)
	v_dual_fma_f32 v0, v42, v40, -v0 :: v_dual_fmac_f32 v41, v43, v40
	v_dual_add_f32 v38, v38, v0 :: v_dual_add_f32 v39, v39, v41
	s_or_b32 exec_lo, exec_lo, s12
	s_and_saveexec_b32 s12, s25
	s_cbranch_execz .LBB162_647
.LBB162_1156:                           ;   in Loop: Header=BB162_3 Depth=1
	ds_load_b64 v[40:41], v60 offset:14976
	ds_load_b64 v[42:43], v61 offset:16104
	s_wait_dscnt 0x0
	v_dual_mul_f32 v0, v43, v41 :: v_dual_mul_f32 v41, v42, v41
	s_delay_alu instid0(VALU_DEP_1) | instskip(NEXT) | instid1(VALU_DEP_1)
	v_dual_fma_f32 v0, v42, v40, -v0 :: v_dual_fmac_f32 v41, v43, v40
	v_dual_add_f32 v38, v38, v0 :: v_dual_add_f32 v39, v39, v41
	s_or_b32 exec_lo, exec_lo, s12
	s_and_saveexec_b32 s12, s5
	s_cbranch_execz .LBB162_648
.LBB162_1157:                           ;   in Loop: Header=BB162_3 Depth=1
	ds_load_b64 v[40:41], v60 offset:15488
	ds_load_b64 v[42:43], v61 offset:16112
	s_wait_dscnt 0x0
	v_dual_mul_f32 v0, v43, v41 :: v_dual_mul_f32 v41, v42, v41
	s_delay_alu instid0(VALU_DEP_1) | instskip(NEXT) | instid1(VALU_DEP_1)
	v_dual_fma_f32 v0, v42, v40, -v0 :: v_dual_fmac_f32 v41, v43, v40
	v_dual_add_f32 v38, v38, v0 :: v_dual_add_f32 v39, v39, v41
	s_or_b32 exec_lo, exec_lo, s12
	s_and_saveexec_b32 s12, s20
	s_cbranch_execnz .LBB162_649
	s_branch .LBB162_650
.LBB162_1158:                           ;   in Loop: Header=BB162_3 Depth=1
	ds_load_b64 v[40:41], v53 offset:10880
	ds_load_b64 v[42:43], v54 offset:11944
	s_wait_dscnt 0x0
	v_dual_mul_f32 v0, v43, v41 :: v_dual_mul_f32 v41, v42, v41
	s_delay_alu instid0(VALU_DEP_1) | instskip(NEXT) | instid1(VALU_DEP_1)
	v_dual_fma_f32 v0, v42, v40, -v0 :: v_dual_fmac_f32 v41, v43, v40
	v_dual_add_f32 v38, v38, v0 :: v_dual_add_f32 v39, v39, v41
	s_or_b32 exec_lo, exec_lo, s12
	s_and_saveexec_b32 s12, s20
	s_cbranch_execz .LBB162_706
.LBB162_1159:                           ;   in Loop: Header=BB162_3 Depth=1
	ds_load_b64 v[40:41], v53 offset:11392
	ds_load_b64 v[42:43], v54 offset:11952
	s_wait_dscnt 0x0
	v_dual_mul_f32 v0, v43, v41 :: v_dual_mul_f32 v41, v42, v41
	s_delay_alu instid0(VALU_DEP_1) | instskip(NEXT) | instid1(VALU_DEP_1)
	v_dual_fma_f32 v0, v42, v40, -v0 :: v_dual_fmac_f32 v41, v43, v40
	v_dual_add_f32 v38, v38, v0 :: v_dual_add_f32 v39, v39, v41
	s_or_b32 exec_lo, exec_lo, s12
	s_and_saveexec_b32 s12, s3
	s_cbranch_execnz .LBB162_707
	s_branch .LBB162_708
.LBB162_1160:                           ;   in Loop: Header=BB162_3 Depth=1
	ds_load_b64 v[40:41], v64 offset:13824
	ds_load_b64 v[42:43], v65 offset:16088
	s_wait_dscnt 0x0
	v_dual_mul_f32 v0, v43, v41 :: v_dual_mul_f32 v41, v42, v41
	s_delay_alu instid0(VALU_DEP_1) | instskip(NEXT) | instid1(VALU_DEP_1)
	v_dual_fma_f32 v0, v42, v40, -v0 :: v_dual_fmac_f32 v41, v43, v40
	v_dual_add_f32 v38, v38, v0 :: v_dual_add_f32 v39, v39, v41
	s_or_b32 exec_lo, exec_lo, s11
	s_and_saveexec_b32 s11, s6
	s_cbranch_execz .LBB162_768
.LBB162_1161:                           ;   in Loop: Header=BB162_3 Depth=1
	ds_load_b64 v[40:41], v64 offset:14336
	ds_load_b64 v[42:43], v65 offset:16096
	s_wait_dscnt 0x0
	v_dual_mul_f32 v0, v43, v41 :: v_dual_mul_f32 v41, v42, v41
	s_delay_alu instid0(VALU_DEP_1) | instskip(NEXT) | instid1(VALU_DEP_1)
	v_dual_fma_f32 v0, v42, v40, -v0 :: v_dual_fmac_f32 v41, v43, v40
	v_dual_add_f32 v38, v38, v0 :: v_dual_add_f32 v39, v39, v41
	s_or_b32 exec_lo, exec_lo, s11
	s_and_saveexec_b32 s11, s22
	s_cbranch_execz .LBB162_769
.LBB162_1162:                           ;   in Loop: Header=BB162_3 Depth=1
	ds_load_b64 v[40:41], v64 offset:14848
	ds_load_b64 v[42:43], v65 offset:16104
	s_wait_dscnt 0x0
	v_dual_mul_f32 v0, v43, v41 :: v_dual_mul_f32 v41, v42, v41
	s_delay_alu instid0(VALU_DEP_1) | instskip(NEXT) | instid1(VALU_DEP_1)
	v_dual_fma_f32 v0, v42, v40, -v0 :: v_dual_fmac_f32 v41, v43, v40
	v_dual_add_f32 v38, v38, v0 :: v_dual_add_f32 v39, v39, v41
	s_or_b32 exec_lo, exec_lo, s11
	s_and_saveexec_b32 s11, s24
	s_cbranch_execz .LBB162_770
.LBB162_1163:                           ;   in Loop: Header=BB162_3 Depth=1
	ds_load_b64 v[40:41], v64 offset:15360
	ds_load_b64 v[42:43], v65 offset:16112
	s_wait_dscnt 0x0
	v_dual_mul_f32 v0, v43, v41 :: v_dual_mul_f32 v41, v42, v41
	s_delay_alu instid0(VALU_DEP_1) | instskip(NEXT) | instid1(VALU_DEP_1)
	v_dual_fma_f32 v0, v42, v40, -v0 :: v_dual_fmac_f32 v41, v43, v40
	v_dual_add_f32 v38, v38, v0 :: v_dual_add_f32 v39, v39, v41
	s_or_b32 exec_lo, exec_lo, s11
	s_and_saveexec_b32 s11, s5
	s_cbranch_execnz .LBB162_771
	s_branch .LBB162_772
.LBB162_1164:                           ;   in Loop: Header=BB162_3 Depth=1
	ds_load_b64 v[40:41], v53 offset:6720
	ds_load_b64 v[42:43], v54 offset:7784
	s_wait_dscnt 0x0
	v_dual_mul_f32 v0, v43, v41 :: v_dual_mul_f32 v41, v42, v41
	s_delay_alu instid0(VALU_DEP_1) | instskip(NEXT) | instid1(VALU_DEP_1)
	v_dual_fma_f32 v0, v42, v40, -v0 :: v_dual_fmac_f32 v41, v43, v40
	v_dual_add_f32 v38, v38, v0 :: v_dual_add_f32 v39, v39, v41
	s_or_b32 exec_lo, exec_lo, s12
	s_and_saveexec_b32 s12, s20
	s_cbranch_execz .LBB162_860
.LBB162_1165:                           ;   in Loop: Header=BB162_3 Depth=1
	ds_load_b64 v[40:41], v53 offset:7232
	ds_load_b64 v[42:43], v54 offset:7792
	s_wait_dscnt 0x0
	v_dual_mul_f32 v0, v43, v41 :: v_dual_mul_f32 v41, v42, v41
	s_delay_alu instid0(VALU_DEP_1) | instskip(NEXT) | instid1(VALU_DEP_1)
	v_dual_fma_f32 v0, v42, v40, -v0 :: v_dual_fmac_f32 v41, v43, v40
	v_dual_add_f32 v38, v38, v0 :: v_dual_add_f32 v39, v39, v41
	s_or_b32 exec_lo, exec_lo, s12
	s_and_saveexec_b32 s12, s3
	s_cbranch_execnz .LBB162_861
	s_branch .LBB162_862
.LBB162_1166:                           ;   in Loop: Header=BB162_3 Depth=1
	ds_load_b64 v[40:41], v60 offset:4608
	ds_load_b64 v[42:43], v61 offset:7752
	s_wait_dscnt 0x0
	v_dual_mul_f32 v0, v43, v41 :: v_dual_mul_f32 v41, v42, v41
	s_delay_alu instid0(VALU_DEP_1) | instskip(NEXT) | instid1(VALU_DEP_1)
	v_dual_fma_f32 v0, v42, v40, -v0 :: v_dual_fmac_f32 v41, v43, v40
	v_dual_add_f32 v38, v38, v0 :: v_dual_add_f32 v39, v39, v41
	s_or_b32 exec_lo, exec_lo, s12
	s_and_saveexec_b32 s12, s22
	s_cbranch_execz .LBB162_902
.LBB162_1167:                           ;   in Loop: Header=BB162_3 Depth=1
	ds_load_b64 v[40:41], v60 offset:5120
	ds_load_b64 v[42:43], v61 offset:7760
	s_wait_dscnt 0x0
	v_dual_mul_f32 v0, v43, v41 :: v_dual_mul_f32 v41, v42, v41
	s_delay_alu instid0(VALU_DEP_1) | instskip(NEXT) | instid1(VALU_DEP_1)
	v_dual_fma_f32 v0, v42, v40, -v0 :: v_dual_fmac_f32 v41, v43, v40
	v_dual_add_f32 v38, v38, v0 :: v_dual_add_f32 v39, v39, v41
	s_or_b32 exec_lo, exec_lo, s12
	s_and_saveexec_b32 s12, s23
	s_cbranch_execz .LBB162_903
.LBB162_1168:                           ;   in Loop: Header=BB162_3 Depth=1
	ds_load_b64 v[40:41], v60 offset:5632
	ds_load_b64 v[42:43], v61 offset:7768
	s_wait_dscnt 0x0
	v_dual_mul_f32 v0, v43, v41 :: v_dual_mul_f32 v41, v42, v41
	s_delay_alu instid0(VALU_DEP_1) | instskip(NEXT) | instid1(VALU_DEP_1)
	v_dual_fma_f32 v0, v42, v40, -v0 :: v_dual_fmac_f32 v41, v43, v40
	v_dual_add_f32 v38, v38, v0 :: v_dual_add_f32 v39, v39, v41
	s_or_b32 exec_lo, exec_lo, s12
	s_and_saveexec_b32 s12, s24
	s_cbranch_execz .LBB162_904
.LBB162_1169:                           ;   in Loop: Header=BB162_3 Depth=1
	ds_load_b64 v[40:41], v60 offset:6144
	ds_load_b64 v[42:43], v61 offset:7776
	s_wait_dscnt 0x0
	v_dual_mul_f32 v0, v43, v41 :: v_dual_mul_f32 v41, v42, v41
	s_delay_alu instid0(VALU_DEP_1) | instskip(NEXT) | instid1(VALU_DEP_1)
	v_dual_fma_f32 v0, v42, v40, -v0 :: v_dual_fmac_f32 v41, v43, v40
	v_dual_add_f32 v38, v38, v0 :: v_dual_add_f32 v39, v39, v41
	s_or_b32 exec_lo, exec_lo, s12
	s_and_saveexec_b32 s12, s25
	s_cbranch_execz .LBB162_905
.LBB162_1170:                           ;   in Loop: Header=BB162_3 Depth=1
	ds_load_b64 v[40:41], v60 offset:6656
	ds_load_b64 v[42:43], v61 offset:7784
	s_wait_dscnt 0x0
	v_dual_mul_f32 v0, v43, v41 :: v_dual_mul_f32 v41, v42, v41
	s_delay_alu instid0(VALU_DEP_1) | instskip(NEXT) | instid1(VALU_DEP_1)
	v_dual_fma_f32 v0, v42, v40, -v0 :: v_dual_fmac_f32 v41, v43, v40
	v_dual_add_f32 v38, v38, v0 :: v_dual_add_f32 v39, v39, v41
	s_or_b32 exec_lo, exec_lo, s12
	s_and_saveexec_b32 s12, s5
	s_cbranch_execz .LBB162_906
.LBB162_1171:                           ;   in Loop: Header=BB162_3 Depth=1
	ds_load_b64 v[40:41], v60 offset:7168
	ds_load_b64 v[42:43], v61 offset:7792
	s_wait_dscnt 0x0
	v_dual_mul_f32 v0, v43, v41 :: v_dual_mul_f32 v41, v42, v41
	s_delay_alu instid0(VALU_DEP_1) | instskip(NEXT) | instid1(VALU_DEP_1)
	v_dual_fma_f32 v0, v42, v40, -v0 :: v_dual_fmac_f32 v41, v43, v40
	v_dual_add_f32 v38, v38, v0 :: v_dual_add_f32 v39, v39, v41
	s_or_b32 exec_lo, exec_lo, s12
	s_and_saveexec_b32 s12, s20
	s_cbranch_execnz .LBB162_907
	s_branch .LBB162_908
.LBB162_1172:                           ;   in Loop: Header=BB162_3 Depth=1
	ds_load_b64 v[40:41], v53 offset:2560
	ds_load_b64 v[42:43], v54 offset:3624
	s_wait_dscnt 0x0
	v_dual_mul_f32 v0, v43, v41 :: v_dual_mul_f32 v41, v42, v41
	s_delay_alu instid0(VALU_DEP_1) | instskip(NEXT) | instid1(VALU_DEP_1)
	v_dual_fma_f32 v0, v42, v40, -v0 :: v_dual_fmac_f32 v41, v43, v40
	v_dual_add_f32 v38, v38, v0 :: v_dual_add_f32 v39, v39, v41
	s_or_b32 exec_lo, exec_lo, s12
	s_and_saveexec_b32 s12, s20
	s_cbranch_execz .LBB162_964
.LBB162_1173:                           ;   in Loop: Header=BB162_3 Depth=1
	ds_load_b64 v[40:41], v53 offset:3072
	ds_load_b64 v[42:43], v54 offset:3632
	s_wait_dscnt 0x0
	v_dual_mul_f32 v0, v43, v41 :: v_dual_mul_f32 v41, v42, v41
	s_delay_alu instid0(VALU_DEP_1) | instskip(NEXT) | instid1(VALU_DEP_1)
	v_dual_fma_f32 v0, v42, v40, -v0 :: v_dual_fmac_f32 v41, v43, v40
	v_dual_add_f32 v38, v38, v0 :: v_dual_add_f32 v39, v39, v41
	s_or_b32 exec_lo, exec_lo, s12
	s_and_saveexec_b32 s12, s3
	s_cbranch_execnz .LBB162_965
	s_branch .LBB162_966
.LBB162_1174:
	s_endpgm
	.section	.rodata,"a",@progbits
	.p2align	6, 0x0
	.amdhsa_kernel _ZL19rocblas_trsv_deviceILi64ELi16ELb0ELb1ELb1ELb0E19rocblas_complex_numIfES1_PKPKS1_PKPS1_EviT7_lllT6_T8_lllPii
		.amdhsa_group_segment_fixed_size 41480
		.amdhsa_private_segment_fixed_size 0
		.amdhsa_kernarg_size 352
		.amdhsa_user_sgpr_count 2
		.amdhsa_user_sgpr_dispatch_ptr 0
		.amdhsa_user_sgpr_queue_ptr 0
		.amdhsa_user_sgpr_kernarg_segment_ptr 1
		.amdhsa_user_sgpr_dispatch_id 0
		.amdhsa_user_sgpr_kernarg_preload_length 0
		.amdhsa_user_sgpr_kernarg_preload_offset 0
		.amdhsa_user_sgpr_private_segment_size 0
		.amdhsa_wavefront_size32 1
		.amdhsa_uses_dynamic_stack 0
		.amdhsa_enable_private_segment 0
		.amdhsa_system_sgpr_workgroup_id_x 1
		.amdhsa_system_sgpr_workgroup_id_y 0
		.amdhsa_system_sgpr_workgroup_id_z 1
		.amdhsa_system_sgpr_workgroup_info 0
		.amdhsa_system_vgpr_workitem_id 1
		.amdhsa_next_free_vgpr 106
		.amdhsa_next_free_sgpr 105
		.amdhsa_named_barrier_count 0
		.amdhsa_reserve_vcc 1
		.amdhsa_float_round_mode_32 0
		.amdhsa_float_round_mode_16_64 0
		.amdhsa_float_denorm_mode_32 3
		.amdhsa_float_denorm_mode_16_64 3
		.amdhsa_fp16_overflow 0
		.amdhsa_memory_ordered 1
		.amdhsa_forward_progress 1
		.amdhsa_inst_pref_size 255
		.amdhsa_round_robin_scheduling 0
		.amdhsa_exception_fp_ieee_invalid_op 0
		.amdhsa_exception_fp_denorm_src 0
		.amdhsa_exception_fp_ieee_div_zero 0
		.amdhsa_exception_fp_ieee_overflow 0
		.amdhsa_exception_fp_ieee_underflow 0
		.amdhsa_exception_fp_ieee_inexact 0
		.amdhsa_exception_int_div_zero 0
	.end_amdhsa_kernel
	.section	.text._ZL19rocblas_trsv_deviceILi64ELi16ELb0ELb1ELb1ELb0E19rocblas_complex_numIfES1_PKPKS1_PKPS1_EviT7_lllT6_T8_lllPii,"axG",@progbits,_ZL19rocblas_trsv_deviceILi64ELi16ELb0ELb1ELb1ELb0E19rocblas_complex_numIfES1_PKPKS1_PKPS1_EviT7_lllT6_T8_lllPii,comdat
.Lfunc_end162:
	.size	_ZL19rocblas_trsv_deviceILi64ELi16ELb0ELb1ELb1ELb0E19rocblas_complex_numIfES1_PKPKS1_PKPS1_EviT7_lllT6_T8_lllPii, .Lfunc_end162-_ZL19rocblas_trsv_deviceILi64ELi16ELb0ELb1ELb1ELb0E19rocblas_complex_numIfES1_PKPKS1_PKPS1_EviT7_lllT6_T8_lllPii
                                        ; -- End function
	.set _ZL19rocblas_trsv_deviceILi64ELi16ELb0ELb1ELb1ELb0E19rocblas_complex_numIfES1_PKPKS1_PKPS1_EviT7_lllT6_T8_lllPii.num_vgpr, 106
	.set _ZL19rocblas_trsv_deviceILi64ELi16ELb0ELb1ELb1ELb0E19rocblas_complex_numIfES1_PKPKS1_PKPS1_EviT7_lllT6_T8_lllPii.num_agpr, 0
	.set _ZL19rocblas_trsv_deviceILi64ELi16ELb0ELb1ELb1ELb0E19rocblas_complex_numIfES1_PKPKS1_PKPS1_EviT7_lllT6_T8_lllPii.numbered_sgpr, 105
	.set _ZL19rocblas_trsv_deviceILi64ELi16ELb0ELb1ELb1ELb0E19rocblas_complex_numIfES1_PKPKS1_PKPS1_EviT7_lllT6_T8_lllPii.num_named_barrier, 0
	.set _ZL19rocblas_trsv_deviceILi64ELi16ELb0ELb1ELb1ELb0E19rocblas_complex_numIfES1_PKPKS1_PKPS1_EviT7_lllT6_T8_lllPii.private_seg_size, 0
	.set _ZL19rocblas_trsv_deviceILi64ELi16ELb0ELb1ELb1ELb0E19rocblas_complex_numIfES1_PKPKS1_PKPS1_EviT7_lllT6_T8_lllPii.uses_vcc, 1
	.set _ZL19rocblas_trsv_deviceILi64ELi16ELb0ELb1ELb1ELb0E19rocblas_complex_numIfES1_PKPKS1_PKPS1_EviT7_lllT6_T8_lllPii.uses_flat_scratch, 0
	.set _ZL19rocblas_trsv_deviceILi64ELi16ELb0ELb1ELb1ELb0E19rocblas_complex_numIfES1_PKPKS1_PKPS1_EviT7_lllT6_T8_lllPii.has_dyn_sized_stack, 0
	.set _ZL19rocblas_trsv_deviceILi64ELi16ELb0ELb1ELb1ELb0E19rocblas_complex_numIfES1_PKPKS1_PKPS1_EviT7_lllT6_T8_lllPii.has_recursion, 0
	.set _ZL19rocblas_trsv_deviceILi64ELi16ELb0ELb1ELb1ELb0E19rocblas_complex_numIfES1_PKPKS1_PKPS1_EviT7_lllT6_T8_lllPii.has_indirect_call, 0
	.section	.AMDGPU.csdata,"",@progbits
; Kernel info:
; codeLenInByte = 55184
; TotalNumSgprs: 107
; NumVgprs: 106
; ScratchSize: 0
; MemoryBound: 0
; FloatMode: 240
; IeeeMode: 1
; LDSByteSize: 41480 bytes/workgroup (compile time only)
; SGPRBlocks: 0
; VGPRBlocks: 6
; NumSGPRsForWavesPerEU: 107
; NumVGPRsForWavesPerEU: 106
; NamedBarCnt: 0
; Occupancy: 9
; WaveLimiterHint : 1
; COMPUTE_PGM_RSRC2:SCRATCH_EN: 0
; COMPUTE_PGM_RSRC2:USER_SGPR: 2
; COMPUTE_PGM_RSRC2:TRAP_HANDLER: 0
; COMPUTE_PGM_RSRC2:TGID_X_EN: 1
; COMPUTE_PGM_RSRC2:TGID_Y_EN: 0
; COMPUTE_PGM_RSRC2:TGID_Z_EN: 1
; COMPUTE_PGM_RSRC2:TIDIG_COMP_CNT: 1
	.section	.text._ZL19rocblas_trsv_deviceILi64ELi16ELb1ELb0ELb0ELb1E19rocblas_complex_numIfES1_PKPKS1_PKPS1_EviT7_lllT6_T8_lllPii,"axG",@progbits,_ZL19rocblas_trsv_deviceILi64ELi16ELb1ELb0ELb0ELb1E19rocblas_complex_numIfES1_PKPKS1_PKPS1_EviT7_lllT6_T8_lllPii,comdat
	.globl	_ZL19rocblas_trsv_deviceILi64ELi16ELb1ELb0ELb0ELb1E19rocblas_complex_numIfES1_PKPKS1_PKPS1_EviT7_lllT6_T8_lllPii ; -- Begin function _ZL19rocblas_trsv_deviceILi64ELi16ELb1ELb0ELb0ELb1E19rocblas_complex_numIfES1_PKPKS1_PKPS1_EviT7_lllT6_T8_lllPii
	.p2align	8
	.type	_ZL19rocblas_trsv_deviceILi64ELi16ELb1ELb0ELb0ELb1E19rocblas_complex_numIfES1_PKPKS1_PKPS1_EviT7_lllT6_T8_lllPii,@function
_ZL19rocblas_trsv_deviceILi64ELi16ELb1ELb0ELb0ELb1E19rocblas_complex_numIfES1_PKPKS1_PKPS1_EviT7_lllT6_T8_lllPii: ; @_ZL19rocblas_trsv_deviceILi64ELi16ELb1ELb0ELb0ELb1E19rocblas_complex_numIfES1_PKPKS1_PKPS1_EviT7_lllT6_T8_lllPii
; %bb.0:
	s_load_b32 s67, s[0:1], 0x58
	s_bfe_u32 s2, ttmp6, 0x40014
	s_lshr_b32 s3, ttmp7, 16
	s_add_co_i32 s2, s2, 1
	s_bfe_u32 s5, ttmp6, 0x40008
	s_mul_i32 s4, s3, s2
	s_getreg_b32 s2, hwreg(HW_REG_IB_STS2, 6, 4)
	s_add_co_i32 s5, s5, s4
	s_cmp_eq_u32 s2, 0
	s_mov_b32 s77, 0
	s_cselect_b32 s76, s3, s5
	s_wait_kmcnt 0x0
	s_cmp_ge_u32 s76, s67
	s_cbranch_scc1 .LBB163_1050
; %bb.1:
	s_clause 0x4
	s_load_b32 s3, s[0:1], 0x6c
	s_load_b32 s98, s[0:1], 0x0
	s_load_b64 s[78:79], s[0:1], 0x18
	s_load_b64 s[20:21], s[0:1], 0x28
	;; [unrolled: 1-line block ×3, first 2 shown]
	s_bfe_u32 s5, ttmp6, 0x4000c
	s_and_b32 s4, ttmp6, 15
	s_add_co_i32 s5, s5, 1
	v_bfe_u32 v2, v0, 10, 10
	s_mul_i32 s5, ttmp9, s5
	v_and_b32_e32 v4, 0x3ff, v0
	s_add_co_i32 s4, s4, s5
	s_cmp_eq_u32 s2, 0
	v_dual_mov_b32 v1, 0 :: v_dual_lshrrev_b32 v3, 10, v0
	s_cselect_b32 s99, ttmp9, s4
	v_dual_lshlrev_b32 v14, 6, v2 :: v_dual_lshlrev_b32 v53, 3, v4
	s_delay_alu instid0(VALU_DEP_2) | instskip(NEXT) | instid1(VALU_DEP_3)
	v_mov_b32_e32 v7, v1
	v_bitop3_b32 v45, v0, v3, 0x3ff bitop3:0xa8
	s_wait_kmcnt 0x0
	s_and_b32 s4, s3, 0xffff
	s_add_co_i32 s2, s98, -1
	s_ashr_i32 s3, s98, 31
	s_ashr_i32 s5, s2, 31
	s_lshr_b32 s3, s3, 26
	s_lshr_b32 s5, s5, 26
	s_add_co_i32 s3, s98, s3
	s_add_co_i32 s2, s2, s5
	s_and_not1_b32 s3, s3, 63
	s_ashr_i32 s2, s2, 6
	s_sub_co_i32 s18, s98, s3
	s_cmp_eq_u32 s2, s99
	v_add_nc_u32_e32 v44, v14, v4
	s_cselect_b32 s5, -1, 0
	s_cmp_lg_u32 s18, 0
	v_sub_co_u32 v5, s7, s99, 1
	s_cselect_b32 s6, -1, 0
	s_lshl_b32 s14, s99, 6
	s_delay_alu instid0(SALU_CYCLE_1) | instskip(SKIP_2) | instid1(VALU_DEP_3)
	v_dual_add_nc_u32 v17, s14, v2 :: v_dual_bitop2_b32 v10, v14, v4 bitop3:0x14
	v_dual_add_nc_u32 v8, s14, v4 :: v_dual_bitop2_b32 v15, v14, v4 bitop3:0x40
	v_and_b32_e32 v14, 3, v0
	v_lshrrev_b16 v16, 1, v10
	s_delay_alu instid0(VALU_DEP_4)
	v_subrev_nc_u32_e32 v12, 64, v17
	s_and_b32 s13, s6, s5
	v_mad_u32_u24 v6, v2, s4, v4
	v_lshlrev_b32_e32 v56, 3, v14
	s_xor_b32 s4, s7, -1
	v_ashrrev_i32_e32 v13, 31, v12
	s_ashr_i32 s15, s14, 31
	s_xor_b32 s101, s13, -1
	s_add_nc_u64 s[2:3], s[78:79], 1
	s_cmp_gt_i32 s99, 4
	v_mul_u64_e32 v[10:11], s[78:79], v[12:13]
	v_add_nc_u16 v13, v15, v16
	v_and_b32_e32 v15, 1, v0
	v_ashrrev_i32_e32 v9, 31, v8
                                        ; implicit-def: $vgpr94 : SGPR spill to VGPR lane
	s_mul_u64 s[16:17], s[2:3], s[14:15]
	v_writelane_b32 v94, s4, 0
	v_and_b32_e32 v3, 0xffff, v13
	v_lshlrev_b32_e32 v13, 3, v15
	s_cselect_b32 s3, -1, 0
	v_cmp_gt_i32_e32 vcc_lo, s18, v4
	s_and_b32 s102, s3, s101
	v_lshl_add_u32 v50, v3, 3, 0x8000
	v_lshl_or_b32 v51, v3, 9, v13
	v_lshrrev_b32_e32 v13, 2, v44
	v_mul_u32_u24_e32 v52, 0x208, v3
	v_cmp_gt_u32_e64 s3, 4, v44
	s_xor_b32 s22, s21, 0x80000000
	v_cmp_gt_i32_e64 s2, s98, v8
	v_lshlrev_b32_e32 v3, 3, v13
	v_mul_u32_u24_e32 v54, 0x208, v13
	v_cmp_eq_u32_e64 s4, 1, v15
	s_clause 0x2
	s_load_b64 s[84:85], s[0:1], 0x50
	s_load_b128 s[68:71], s[0:1], 0x8
	s_load_b128 s[72:75], s[0:1], 0x30
	v_dual_mov_b32 v22, 0 :: v_dual_add_nc_u32 v55, 0x8000, v3
	v_sub_nc_u32_e32 v3, v54, v3
	v_lshl_or_b32 v57, v13, 9, v56
	v_and_b32_e32 v13, 7, v0
	s_xor_b32 s5, s4, -1
	s_and_b32 s104, s4, s3
	s_and_b32 s103, s5, s3
	v_cmp_gt_u32_e64 s4, 16, v44
	v_lshlrev_b32_e32 v60, 3, v13
	v_cmp_eq_u32_e64 s5, 0, v14
	v_cmp_ne_u32_e64 s6, 0, v14
	v_cmp_eq_u32_e64 s7, 1, v14
	v_dual_add_nc_u32 v58, v3, v56 :: v_dual_add_nc_u32 v40, 48, v2
	s_and_b32 vcc_hi, s5, s4
	s_and_b32 s43, s6, s4
	s_and_b32 s44, s7, s4
	v_cmp_lt_u32_e64 s5, 1, v14
	v_cmp_eq_u32_e64 s6, 2, v14
	v_cmp_eq_u32_e64 s7, 3, v14
	v_and_b32_e32 v14, 0x1fff8, v44
	v_lshrrev_b32_e32 v3, 3, v44
	s_and_b32 s45, s5, s4
	s_and_b32 s46, s6, s4
	v_cmp_gt_u32_e64 s5, 64, v44
	v_add_nc_u32_e32 v61, 0x8000, v14
	v_mul_u32_u24_e32 v59, 0x208, v3
	s_and_b32 s47, s7, s4
	s_mov_b32 s23, s21
	s_mov_b32 s21, s20
	v_mbcnt_lo_u32_b32 v18, -1, 0
	v_dual_sub_nc_u32 v15, v59, v14 :: v_dual_bitop2_b32 v14, 15, v0 bitop3:0x40
	v_lshl_or_b32 v62, v3, 9, v60
	s_delay_alu instid0(VALU_DEP_3) | instskip(NEXT) | instid1(VALU_DEP_3)
	v_dual_mov_b32 v43, v1 :: v_dual_lshlrev_b32 v23, 20, v18
                                        ; implicit-def: $vgpr93 : SGPR spill to VGPR lane
	v_dual_mov_b32 v41, v1 :: v_dual_lshlrev_b32 v65, 3, v14
	v_cmp_eq_u32_e64 s6, 0, v13
	v_cmp_ne_u32_e64 s7, 0, v13
	v_cmp_lt_u32_e64 s8, 1, v13
	v_lshrrev_b32_e32 v3, 4, v44
	v_cmp_eq_u32_e64 s9, 2, v13
	s_and_b32 s48, s6, s5
	v_cmp_eq_u32_e64 s6, 1, v13
	s_and_b32 s49, s7, s5
	v_cmp_lt_u32_e64 s7, 2, v13
	s_and_b32 s51, s8, s5
	v_cmp_eq_u32_e64 s8, 4, v13
	s_and_b32 s50, s6, s5
	v_cmp_eq_u32_e64 s6, 3, v13
	s_and_b32 s53, s7, s5
	v_cmp_lt_u32_e64 s7, 3, v13
	v_mul_u32_u24_e32 v64, 0x208, v3
	v_add_nc_u32_e32 v63, v15, v60
	s_and_b32 s54, s6, s5
	v_cmp_eq_u32_e64 s6, 5, v13
	v_lshlrev_b32_e32 v15, 3, v3
	s_and_b32 s52, s9, s5
	v_cmp_lt_u32_e64 s9, 4, v13
	s_and_b32 s55, s7, s5
	s_and_b32 s56, s8, s5
	;; [unrolled: 1-line block ×3, first 2 shown]
	v_cmp_lt_u32_e64 s6, 5, v13
	v_cmp_eq_u32_e64 s7, 6, v13
	v_cmp_eq_u32_e64 s8, 7, v13
	v_dual_sub_nc_u32 v13, v64, v15 :: v_dual_add_nc_u32 v16, 16, v2
	s_and_b32 s59, s6, s5
	s_and_b32 s60, s7, s5
	v_cmp_gt_u32_e64 s6, 0x100, v44
	s_delay_alu instid0(VALU_DEP_2)
	v_add_nc_u32_e32 v68, v13, v65
	v_lshl_or_b32 v67, v3, 9, v65
	v_lshrrev_b32_e32 v3, 5, v44
	s_and_b32 s61, s8, s5
	s_and_b32 s57, s9, s5
	v_and_b32_e32 v69, 31, v0
	v_add_nc_u32_e32 v66, 0x8000, v15
	v_lshlrev_b32_e32 v70, 3, v3
	v_cmp_eq_u32_e64 s7, 0, v14
	v_cmp_ne_u32_e64 s8, 0, v14
	v_cmp_eq_u32_e64 s9, 1, v14
	v_cmp_lt_u32_e64 s10, 1, v14
	v_cmp_eq_u32_e64 s11, 2, v14
	s_and_b32 s7, s7, s6
	v_lshlrev_b32_e32 v71, 9, v3
	v_writelane_b32 v94, s7, 1
	s_and_b32 s7, s8, s6
	v_cmp_eq_u32_e64 s8, 3, v14
	v_subrev_nc_u32_e32 v3, 48, v17
	v_cmp_le_u32_e64 s19, v4, v16
	v_writelane_b32 v94, s7, 2
	s_and_b32 s7, s9, s6
	v_cmp_lt_u32_e64 s9, 3, v14
	v_dual_add_nc_u32 v42, 32, v2 :: v_dual_lshlrev_b32 v72, 3, v69
	v_writelane_b32 v94, s7, 3
	s_and_b32 s7, s10, s6
	v_cmp_eq_u32_e64 s10, 4, v14
	v_dual_add_nc_u32 v0, s14, v6 :: v_dual_bitop2_b32 v46, v16, v4 bitop3:0x54
	v_writelane_b32 v94, s7, 4
	s_and_b32 s7, s11, s6
	s_and_b32 s31, s10, s6
	v_cmp_lt_u32_e64 s10, 6, v14
	v_cmp_lt_u32_e64 s11, 4, v14
	v_writelane_b32 v94, s7, 5
	v_cmp_lt_u32_e64 s7, 2, v14
	v_or_b32_e32 v47, v42, v4
	s_and_b32 s42, s10, s6
	v_cmp_eq_u32_e64 s10, 9, v14
	s_and_b32 s34, s11, s6
	s_and_b32 s7, s7, s6
	v_cmp_eq_u32_e64 s11, 7, v14
	v_writelane_b32 v94, s7, 6
	s_and_b32 s7, s8, s6
	s_and_b32 s25, s10, s6
	v_cmp_lt_u32_e64 s10, 11, v14
	v_cmp_lt_u32_e64 s8, 5, v14
	v_writelane_b32 v94, s7, 7
	s_and_b32 s7, s9, s6
	v_cmp_eq_u32_e64 s9, 6, v14
	s_and_b32 s100, s10, s6
	v_cmp_eq_u32_e64 s10, 14, v14
	v_writelane_b32 v94, s7, 8
	v_cmp_eq_u32_e64 s7, 5, v14
	s_and_b32 s41, s9, s6
	v_cmp_lt_u32_e64 s9, 8, v14
	s_and_b32 s40, s8, s6
	s_and_b32 s86, s11, s6
	;; [unrolled: 1-line block ×3, first 2 shown]
	v_cmp_lt_u32_e64 s7, 7, v14
	s_and_b32 s81, s9, s6
	v_cmp_eq_u32_e64 s9, 11, v14
	v_cmp_eq_u32_e64 s8, 8, v14
	v_cmp_lt_u32_e64 s11, 9, v14
	s_and_b32 s87, s7, s6
	v_cmp_eq_u32_e64 s7, 10, v14
	s_and_b32 s65, s10, s6
	v_cmp_le_i32_e64 s10, s18, v4
	s_and_b32 s35, s9, s6
	v_cmp_lt_u32_e64 s9, 13, v14
	s_and_b32 s29, s7, s6
	v_cmp_lt_u32_e64 s7, 12, v14
	s_and_b32 s80, s8, s6
	s_and_b32 s27, s11, s6
	v_cmp_lt_u32_e64 s8, 10, v14
	v_cmp_eq_u32_e64 s11, 12, v14
	s_and_b32 s63, s7, s6
	v_cmp_eq_u32_e64 s7, 0, v2
	s_and_b32 s26, s10, s13
	s_and_b32 s64, s9, s6
	s_xor_b32 s9, s26, -1
	s_and_b32 s33, s8, s6
	s_and_b32 s62, s11, s6
	v_cmp_eq_u32_e64 s8, 13, v14
	v_cmp_eq_u32_e64 s11, 15, v14
	s_and_b32 s28, s7, s9
	v_cmp_ge_u32_e64 s9, v4, v16
	v_add_nc_u64_e32 v[14:15], s[14:15], v[6:7]
	s_and_b32 s8, s8, s6
	s_and_b32 s24, s11, s6
	s_cmp_gt_i32 s99, 0
	v_writelane_b32 v94, s9, 9
	s_cselect_b32 s30, -1, 0
	s_and_b32 s9, s7, vcc_lo
	v_cmp_gt_i32_e32 vcc_lo, s98, v12
	v_subrev_nc_u32_e32 v7, 32, v17
	v_writelane_b32 v94, s9, 10
	v_cmp_gt_i32_e64 s9, s98, v3
	v_add_max_i32_e64 v3, v17, -16, v8
	s_wait_xcnt 0x0
	s_and_b32 s0, s2, vcc_lo
	v_cmp_gt_i32_e64 s11, s98, v7
	v_writelane_b32 v94, s0, 11
	s_and_b32 s0, s2, s9
	v_cmp_le_u32_e64 s15, v4, v2
	v_cmp_le_i32_e32 vcc_lo, s18, v2
	v_cmp_le_i32_e64 s13, s18, v42
	v_writelane_b32 v94, s0, 12
	s_and_b32 s0, s2, s11
	v_cmp_le_i32_e64 s11, s18, v16
	v_mov_b32_e32 v17, v1
	s_or_b32 s9, s13, s10
	v_writelane_b32 v94, s0, 13
	v_cmp_le_i32_e64 s0, s98, v3
	s_or_b32 s1, s11, s10
	v_cmp_le_u32_e64 s11, v4, v42
	v_mov_b32_e32 v3, v1
	v_cmp_le_u32_e64 s13, v4, v40
	v_writelane_b32 v94, s0, 14
	s_or_b32 s0, vcc_lo, s10
	v_cmp_le_i32_e64 s14, s18, v40
	s_or_b32 s0, s0, s15
	v_mul_u64_e32 v[12:13], s[82:83], v[14:15]
	v_writelane_b32 v94, s15, 15
	v_lshl_add_u32 v7, v16, 9, v53
	s_or_b32 s10, s14, s10
	v_mul_u64_e32 v[14:15], s[78:79], v[16:17]
	v_add_nc_u64_e32 v[16:17], src_flat_scratch_base_lo, v[22:23]
	v_writelane_b32 v94, s0, 16
	s_or_b32 s0, s1, s19
	v_dual_mov_b32 v22, 8 :: v_dual_bitop2_b32 v48, v40, v4 bitop3:0x54
	v_mul_u64_e32 v[26:27], s[78:79], v[42:43]
	v_writelane_b32 v94, s19, 17
	v_mul_u64_e32 v[28:29], s[82:83], v[8:9]
	s_delay_alu instid0(VALU_DEP_4)
	v_add_nc_u64_e32 v[18:19], src_flat_scratch_base_lo, v[22:23]
	v_mov_b32_e32 v22, 16
	v_mul_u64_e32 v[30:31], s[82:83], v[0:1]
	v_writelane_b32 v94, s0, 18
	s_or_b32 s0, s9, s11
	v_mul_u64_e32 v[32:33], s[78:79], v[2:3]
	v_add_nc_u64_e32 v[20:21], src_flat_scratch_base_lo, v[22:23]
	v_mov_b32_e32 v22, 24
	v_writelane_b32 v94, s11, 19
	v_mul_u64_e32 v[34:35], s[78:79], v[40:41]
	v_cmp_lt_u32_e64 s12, 0x3ff, v44
	v_lshl_add_u32 v76, v2, 3, 0xa000
	v_add_nc_u64_e32 v[22:23], src_flat_scratch_base_lo, v[22:23]
	v_writelane_b32 v94, s0, 20
	s_or_b32 s0, s10, s13
	v_mov_b64_e32 v[36:37], 0
	v_mov_b64_e32 v[38:39], 0x3f800000
	v_lshl_add_u32 v73, v42, 9, v53
	v_writelane_b32 v94, s13, 21
	s_lshl_b64 s[88:89], s[16:17], 3
	v_dual_mov_b32 v25, v1 :: v_dual_lshlrev_b32 v24, 3, v4
	s_xor_b32 s9, s12, -1
	v_writelane_b32 v94, s0, 22
	v_cmp_gt_u32_e64 s0, 64, v45
	v_add_nc_u32_e32 v74, 0x8000, v70
	v_dual_add_nc_u32 v81, v76, v53 :: v_dual_bitop2_b32 v75, v71, v72 bitop3:0x54
	v_writelane_b32 v94, s22, 23
	v_lshl_add_u32 v77, v6, 3, 0xa000
	v_lshl_add_u32 v78, v44, 3, 0x8000
	v_add_nc_u32_e32 v79, 0x8000, v53
	v_lshl_add_u32 v80, v2, 9, v53
	v_writelane_b32 v94, s23, 24
	v_lshl_add_u32 v82, v40, 9, v53
	v_or_b32_e32 v83, 0x4100, v72
	v_cmp_eq_u32_e64 s12, 0, v45
	v_cmp_gt_u32_e64 s16, 2, v44
	v_writelane_b32 v94, s20, 25
	v_cmp_gt_u32_e64 s17, 12, v44
	v_cmp_gt_u32_e64 s18, 8, v44
	v_cmp_gt_u32_e64 s19, 56, v44
	v_cmp_gt_u32_e64 s22, 32, v44
	v_writelane_b32 v94, s21, 26
	v_cmp_gt_u32_e64 s20, 48, v44
	v_cmp_gt_u32_e64 s21, 40, v44
	v_cmp_gt_u32_e64 s23, 24, v44
	;; [unrolled: 5-line block ×3, first 2 shown]
	v_cmp_gt_u32_e64 s37, 0x400, v44
	v_cmp_eq_u32_e64 s38, 0, v6
	v_writelane_b32 v94, s0, 28
	v_cmp_gt_u32_e64 s0, 64, v47
	v_cmp_gt_u32_e64 s39, 64, v6
	s_lshl_b64 s[90:91], s[78:79], 7
	s_lshl_b64 s[92:93], s[78:79], 8
	s_mul_u64 s[94:95], s[78:79], 0x180
	v_writelane_b32 v94, s0, 29
	v_cmp_gt_u32_e64 s0, 0xf0, v44
	s_wait_kmcnt 0x0
	s_lshl_b64 s[70:71], s[70:71], 3
	s_lshl_b64 s[74:75], s[74:75], 3
                                        ; implicit-def: $vgpr92 : SGPR spill to VGPR lane
	v_writelane_b32 v94, s0, 30
	v_cmp_gt_u32_e64 s0, 0xe0, v44
	s_delay_alu instid0(VALU_DEP_1) | instskip(SKIP_1) | instid1(VALU_DEP_1)
	v_writelane_b32 v94, s0, 31
	v_cmp_gt_u32_e64 s0, 0xd0, v44
	v_writelane_b32 v93, s0, 0
	v_cmp_gt_u32_e64 s0, 0xc0, v44
	s_delay_alu instid0(VALU_DEP_1) | instskip(SKIP_1) | instid1(VALU_DEP_1)
	v_writelane_b32 v93, s0, 1
	v_cmp_gt_u32_e64 s0, 0xb0, v44
	v_writelane_b32 v93, s0, 2
	v_cmp_ge_u32_e64 s0, v4, v42
	s_delay_alu instid0(VALU_DEP_1) | instskip(SKIP_1) | instid1(VALU_DEP_1)
	v_writelane_b32 v93, s0, 3
	v_cmp_gt_u32_e64 s0, 0x90, v44
	v_writelane_b32 v93, s0, 4
	v_cmp_gt_u32_e64 s0, 0x70, v44
	s_delay_alu instid0(VALU_DEP_1) | instskip(SKIP_1) | instid1(VALU_DEP_1)
	v_writelane_b32 v93, s0, 5
	v_cmp_gt_u32_e64 s0, 0x50, v44
	v_writelane_b32 v93, s0, 6
	v_cmp_ge_u32_e64 s0, v4, v2
	s_delay_alu instid0(VALU_DEP_1) | instskip(SKIP_1) | instid1(VALU_DEP_1)
	v_writelane_b32 v93, s0, 7
	v_cmp_ge_u32_e64 s0, v4, v40
	v_writelane_b32 v93, s0, 8
	v_cmp_gt_u32_e64 s0, 64, v48
	s_delay_alu instid0(VALU_DEP_1) | instskip(SKIP_1) | instid1(VALU_DEP_1)
	v_writelane_b32 v93, s0, 9
	v_cmp_gt_u32_e64 s0, 0x3e0, v44
	v_writelane_b32 v93, s0, 10
	v_cmp_gt_u32_e64 s0, 0x3c0, v44
	s_delay_alu instid0(VALU_DEP_1) | instskip(SKIP_1) | instid1(VALU_DEP_1)
	v_writelane_b32 v93, s0, 11
	v_cmp_gt_u32_e64 s0, 0x3a0, v44
	;; [unrolled: 5-line block ×12, first 2 shown]
	v_writelane_b32 v92, s0, 0
	s_branch .LBB163_3
.LBB163_2:                              ;   in Loop: Header=BB163_3 Depth=1
	s_wait_xcnt 0x0
	s_or_b32 exec_lo, exec_lo, s10
	s_add_co_i32 s76, s76, 0x10000
	global_wb scope:SCOPE_DEV
	s_wait_storecnt 0x0
	global_inv scope:SCOPE_DEV
	s_cmp_lt_u32 s76, s67
	s_cbranch_scc0 .LBB163_1050
.LBB163_3:                              ; =>This Loop Header: Depth=1
                                        ;     Child Loop BB163_521 Depth 2
                                        ;     Child Loop BB163_937 Depth 2
                                        ;       Child Loop BB163_939 Depth 3
                                        ;     Child Loop BB163_971 Depth 2
	v_mov_b32_e32 v0, s76
	v_readlane_b32 s0, v94, 0
	s_clause 0x1
	global_load_b64 v[40:41], v0, s[68:69] scale_offset
	global_load_b64 v[42:43], v0, s[72:73] scale_offset
	s_and_not1_b32 vcc_lo, exec_lo, s0
	s_wait_loadcnt 0x1
	v_add_nc_u64_e32 v[40:41], s[70:71], v[40:41]
	s_cbranch_vccnz .LBB163_15
; %bb.4:                                ;   in Loop: Header=BB163_3 Depth=1
	s_delay_alu instid0(VALU_DEP_1) | instskip(SKIP_3) | instid1(VALU_DEP_4)
	v_lshl_add_u64 v[44:45], v[10:11], 3, v[40:41]
	v_dual_mov_b32 v46, 0 :: v_dual_mov_b32 v48, 0
	v_mov_b32_e32 v49, 0
	v_readlane_b32 s0, v94, 11
	v_lshl_add_u64 v[44:45], v[8:9], 3, v[44:45]
	s_wait_loadcnt 0x0
	s_barrier_signal -1
	s_barrier_wait -1
	s_wait_xcnt 0x0
	s_and_saveexec_b32 s10, s0
	s_cbranch_execz .LBB163_6
; %bb.5:                                ;   in Loop: Header=BB163_3 Depth=1
	flat_load_b64 v[48:49], v[44:45]
.LBB163_6:                              ;   in Loop: Header=BB163_3 Depth=1
	s_wait_xcnt 0x0
	s_or_b32 exec_lo, exec_lo, s10
	v_mov_b32_e32 v47, 0
	v_readlane_b32 s0, v94, 12
	s_wait_loadcnt_dscnt 0x0
	scratch_store_b64 off, v[48:49], off
	s_wait_storecnt 0x0
	s_barrier_signal -1
	s_barrier_wait -1
	s_wait_xcnt 0x0
	s_and_saveexec_b32 s10, s0
	s_cbranch_execz .LBB163_8
; %bb.7:                                ;   in Loop: Header=BB163_3 Depth=1
	v_add_nc_u64_e32 v[46:47], s[90:91], v[44:45]
	flat_load_b64 v[46:47], v[46:47]
.LBB163_8:                              ;   in Loop: Header=BB163_3 Depth=1
	s_wait_xcnt 0x0
	s_or_b32 exec_lo, exec_lo, s10
	s_wait_loadcnt_dscnt 0x0
	scratch_store_b64 off, v[46:47], off offset:8
	s_wait_xcnt 0x0
	v_dual_mov_b32 v46, 0 :: v_dual_mov_b32 v47, 0
	v_readlane_b32 s0, v94, 13
	s_wait_storecnt 0x0
	s_barrier_signal -1
	s_barrier_wait -1
	s_and_saveexec_b32 s10, s0
	s_cbranch_execz .LBB163_10
; %bb.9:                                ;   in Loop: Header=BB163_3 Depth=1
	v_add_nc_u64_e32 v[46:47], s[92:93], v[44:45]
	flat_load_b64 v[46:47], v[46:47]
.LBB163_10:                             ;   in Loop: Header=BB163_3 Depth=1
	s_wait_xcnt 0x0
	s_or_b32 exec_lo, exec_lo, s10
	v_readlane_b32 s0, v94, 14
	s_wait_loadcnt_dscnt 0x0
	scratch_store_b64 off, v[46:47], off offset:16
	s_wait_storecnt 0x0
	s_barrier_signal -1
	s_barrier_wait -1
	s_wait_xcnt 0x0
	s_and_saveexec_b32 s10, s0
	s_delay_alu instid0(SALU_CYCLE_1)
	s_xor_b32 s10, exec_lo, s10
	s_cbranch_execz .LBB163_12
; %bb.11:                               ;   in Loop: Header=BB163_3 Depth=1
	scratch_store_b64 off, v[36:37], off offset:24
                                        ; implicit-def: $vgpr44_vgpr45
.LBB163_12:                             ;   in Loop: Header=BB163_3 Depth=1
	s_wait_xcnt 0x0
	s_and_not1_saveexec_b32 s10, s10
	s_cbranch_execz .LBB163_14
; %bb.13:                               ;   in Loop: Header=BB163_3 Depth=1
	v_add_nc_u64_e32 v[44:45], s[94:95], v[44:45]
	flat_load_b64 v[44:45], v[44:45]
	s_wait_loadcnt_dscnt 0x0
	scratch_store_b64 off, v[44:45], off offset:24
.LBB163_14:                             ;   in Loop: Header=BB163_3 Depth=1
	s_wait_xcnt 0x0
	s_or_b32 exec_lo, exec_lo, s10
.LBB163_15:                             ;   in Loop: Header=BB163_3 Depth=1
	s_delay_alu instid0(VALU_DEP_1) | instskip(SKIP_2) | instid1(VALU_DEP_1)
	v_add_nc_u64_e32 v[44:45], s[88:89], v[40:41]
	s_and_not1_b32 vcc_lo, exec_lo, s101
	s_mov_b32 s10, -1
	v_add_nc_u64_e32 v[44:45], v[44:45], v[24:25]
	s_cbranch_vccnz .LBB163_41
; %bb.16:                               ;   in Loop: Header=BB163_3 Depth=1
	v_readlane_b32 s0, v94, 15
	s_wait_xcnt 0x0
	s_and_saveexec_b32 s10, s0
	s_delay_alu instid0(SALU_CYCLE_1)
	s_xor_b32 s10, exec_lo, s10
	s_cbranch_execz .LBB163_20
; %bb.17:                               ;   in Loop: Header=BB163_3 Depth=1
	v_readlane_b32 s0, v94, 27
	s_and_saveexec_b32 s11, s0
; %bb.18:                               ;   in Loop: Header=BB163_3 Depth=1
	ds_store_b64 v80, v[36:37]
; %bb.19:                               ;   in Loop: Header=BB163_3 Depth=1
	s_or_b32 exec_lo, exec_lo, s11
.LBB163_20:                             ;   in Loop: Header=BB163_3 Depth=1
	s_and_not1_saveexec_b32 s10, s10
	s_cbranch_execz .LBB163_22
; %bb.21:                               ;   in Loop: Header=BB163_3 Depth=1
	v_lshl_add_u64 v[46:47], v[32:33], 3, v[44:45]
	flat_load_b64 v[46:47], v[46:47]
	s_wait_loadcnt_dscnt 0x0
	v_pk_add_f32 v[46:47], v[46:47], 0 neg_lo:[1,1] neg_hi:[1,1]
	ds_store_b64 v80, v[46:47]
.LBB163_22:                             ;   in Loop: Header=BB163_3 Depth=1
	s_or_b32 exec_lo, exec_lo, s10
	v_readlane_b32 s0, v94, 17
	s_and_saveexec_b32 s10, s0
	s_delay_alu instid0(SALU_CYCLE_1)
	s_xor_b32 s10, exec_lo, s10
	s_cbranch_execz .LBB163_26
; %bb.23:                               ;   in Loop: Header=BB163_3 Depth=1
	v_readlane_b32 s0, v94, 28
	s_and_saveexec_b32 s11, s0
; %bb.24:                               ;   in Loop: Header=BB163_3 Depth=1
	ds_store_b64 v7, v[36:37]
; %bb.25:                               ;   in Loop: Header=BB163_3 Depth=1
	s_or_b32 exec_lo, exec_lo, s11
.LBB163_26:                             ;   in Loop: Header=BB163_3 Depth=1
	s_and_not1_saveexec_b32 s10, s10
	s_cbranch_execz .LBB163_28
; %bb.27:                               ;   in Loop: Header=BB163_3 Depth=1
	v_lshl_add_u64 v[46:47], v[14:15], 3, v[44:45]
	flat_load_b64 v[46:47], v[46:47]
	s_wait_loadcnt_dscnt 0x0
	v_pk_add_f32 v[46:47], v[46:47], 0 neg_lo:[1,1] neg_hi:[1,1]
	ds_store_b64 v7, v[46:47]
.LBB163_28:                             ;   in Loop: Header=BB163_3 Depth=1
	s_or_b32 exec_lo, exec_lo, s10
	v_readlane_b32 s0, v94, 19
	s_and_saveexec_b32 s10, s0
	s_delay_alu instid0(SALU_CYCLE_1)
	s_xor_b32 s10, exec_lo, s10
	s_cbranch_execz .LBB163_32
; %bb.29:                               ;   in Loop: Header=BB163_3 Depth=1
	v_readlane_b32 s0, v94, 29
	s_and_saveexec_b32 s11, s0
; %bb.30:                               ;   in Loop: Header=BB163_3 Depth=1
	ds_store_b64 v73, v[36:37]
; %bb.31:                               ;   in Loop: Header=BB163_3 Depth=1
	s_or_b32 exec_lo, exec_lo, s11
.LBB163_32:                             ;   in Loop: Header=BB163_3 Depth=1
	s_and_not1_saveexec_b32 s10, s10
	s_cbranch_execz .LBB163_34
; %bb.33:                               ;   in Loop: Header=BB163_3 Depth=1
	v_lshl_add_u64 v[46:47], v[26:27], 3, v[44:45]
	flat_load_b64 v[46:47], v[46:47]
	s_wait_loadcnt_dscnt 0x0
	v_pk_add_f32 v[46:47], v[46:47], 0 neg_lo:[1,1] neg_hi:[1,1]
	ds_store_b64 v73, v[46:47]
.LBB163_34:                             ;   in Loop: Header=BB163_3 Depth=1
	s_or_b32 exec_lo, exec_lo, s10
	v_readlane_b32 s0, v94, 21
	s_and_saveexec_b32 s10, s0
	s_delay_alu instid0(SALU_CYCLE_1)
	s_xor_b32 s10, exec_lo, s10
	s_cbranch_execz .LBB163_38
; %bb.35:                               ;   in Loop: Header=BB163_3 Depth=1
	v_readlane_b32 s0, v93, 9
	s_and_saveexec_b32 s11, s0
; %bb.36:                               ;   in Loop: Header=BB163_3 Depth=1
	ds_store_b64 v82, v[36:37]
; %bb.37:                               ;   in Loop: Header=BB163_3 Depth=1
	s_or_b32 exec_lo, exec_lo, s11
.LBB163_38:                             ;   in Loop: Header=BB163_3 Depth=1
	s_and_not1_saveexec_b32 s10, s10
	s_cbranch_execz .LBB163_40
; %bb.39:                               ;   in Loop: Header=BB163_3 Depth=1
	v_lshl_add_u64 v[46:47], v[34:35], 3, v[44:45]
	flat_load_b64 v[46:47], v[46:47]
	s_wait_loadcnt_dscnt 0x0
	v_pk_add_f32 v[46:47], v[46:47], 0 neg_lo:[1,1] neg_hi:[1,1]
	ds_store_b64 v82, v[46:47]
.LBB163_40:                             ;   in Loop: Header=BB163_3 Depth=1
	s_or_b32 exec_lo, exec_lo, s10
	s_mov_b32 s10, 0
.LBB163_41:                             ;   in Loop: Header=BB163_3 Depth=1
	s_delay_alu instid0(SALU_CYCLE_1)
	s_and_b32 vcc_lo, exec_lo, s10
	s_cbranch_vccz .LBB163_67
; %bb.42:                               ;   in Loop: Header=BB163_3 Depth=1
	v_readlane_b32 s0, v94, 16
	s_wait_xcnt 0x0
	s_and_saveexec_b32 s10, s0
	s_delay_alu instid0(SALU_CYCLE_1)
	s_xor_b32 s10, exec_lo, s10
	s_cbranch_execz .LBB163_46
; %bb.43:                               ;   in Loop: Header=BB163_3 Depth=1
	v_readlane_b32 s0, v94, 27
	s_and_saveexec_b32 s11, s0
; %bb.44:                               ;   in Loop: Header=BB163_3 Depth=1
	ds_store_b64 v80, v[36:37]
; %bb.45:                               ;   in Loop: Header=BB163_3 Depth=1
	s_or_b32 exec_lo, exec_lo, s11
.LBB163_46:                             ;   in Loop: Header=BB163_3 Depth=1
	s_and_not1_saveexec_b32 s10, s10
	s_cbranch_execz .LBB163_48
; %bb.47:                               ;   in Loop: Header=BB163_3 Depth=1
	v_lshl_add_u64 v[46:47], v[32:33], 3, v[44:45]
	flat_load_b64 v[46:47], v[46:47]
	s_wait_loadcnt_dscnt 0x0
	v_pk_add_f32 v[46:47], v[46:47], 0 neg_lo:[1,1] neg_hi:[1,1]
	ds_store_b64 v80, v[46:47]
.LBB163_48:                             ;   in Loop: Header=BB163_3 Depth=1
	s_or_b32 exec_lo, exec_lo, s10
	v_readlane_b32 s0, v94, 18
	s_and_saveexec_b32 s10, s0
	s_delay_alu instid0(SALU_CYCLE_1)
	s_xor_b32 s10, exec_lo, s10
	s_cbranch_execz .LBB163_52
; %bb.49:                               ;   in Loop: Header=BB163_3 Depth=1
	v_readlane_b32 s0, v94, 28
	s_and_saveexec_b32 s11, s0
; %bb.50:                               ;   in Loop: Header=BB163_3 Depth=1
	ds_store_b64 v7, v[36:37]
; %bb.51:                               ;   in Loop: Header=BB163_3 Depth=1
	s_or_b32 exec_lo, exec_lo, s11
.LBB163_52:                             ;   in Loop: Header=BB163_3 Depth=1
	s_and_not1_saveexec_b32 s10, s10
	s_cbranch_execz .LBB163_54
; %bb.53:                               ;   in Loop: Header=BB163_3 Depth=1
	v_lshl_add_u64 v[46:47], v[14:15], 3, v[44:45]
	flat_load_b64 v[46:47], v[46:47]
	s_wait_loadcnt_dscnt 0x0
	v_pk_add_f32 v[46:47], v[46:47], 0 neg_lo:[1,1] neg_hi:[1,1]
	ds_store_b64 v7, v[46:47]
.LBB163_54:                             ;   in Loop: Header=BB163_3 Depth=1
	s_or_b32 exec_lo, exec_lo, s10
	v_readlane_b32 s0, v94, 20
	;; [unrolled: 23-line block ×3, first 2 shown]
	s_and_saveexec_b32 s10, s0
	s_delay_alu instid0(SALU_CYCLE_1)
	s_xor_b32 s10, exec_lo, s10
	s_cbranch_execz .LBB163_64
; %bb.61:                               ;   in Loop: Header=BB163_3 Depth=1
	v_readlane_b32 s0, v93, 9
	s_and_saveexec_b32 s11, s0
; %bb.62:                               ;   in Loop: Header=BB163_3 Depth=1
	ds_store_b64 v82, v[36:37]
; %bb.63:                               ;   in Loop: Header=BB163_3 Depth=1
	s_or_b32 exec_lo, exec_lo, s11
                                        ; implicit-def: $vgpr44_vgpr45
.LBB163_64:                             ;   in Loop: Header=BB163_3 Depth=1
	s_and_not1_saveexec_b32 s10, s10
	s_cbranch_execz .LBB163_66
; %bb.65:                               ;   in Loop: Header=BB163_3 Depth=1
	v_lshl_add_u64 v[44:45], v[34:35], 3, v[44:45]
	flat_load_b64 v[44:45], v[44:45]
	s_wait_loadcnt_dscnt 0x0
	v_pk_add_f32 v[44:45], v[44:45], 0 neg_lo:[1,1] neg_hi:[1,1]
	ds_store_b64 v82, v[44:45]
.LBB163_66:                             ;   in Loop: Header=BB163_3 Depth=1
	s_or_b32 exec_lo, exec_lo, s10
.LBB163_67:                             ;   in Loop: Header=BB163_3 Depth=1
	s_delay_alu instid0(SALU_CYCLE_1)
	s_and_not1_b32 vcc_lo, exec_lo, s102
	s_wait_storecnt 0x0
	s_wait_loadcnt_dscnt 0x0
	s_barrier_signal -1
	s_barrier_wait -1
	s_cbranch_vccnz .LBB163_932
; %bb.68:                               ;   in Loop: Header=BB163_3 Depth=1
	s_wait_xcnt 0x0
	s_and_saveexec_b32 s10, s12
; %bb.69:                               ;   in Loop: Header=BB163_3 Depth=1
	ds_store_2addr_b64 v1, v[38:39], v[38:39] offset1:65
; %bb.70:                               ;   in Loop: Header=BB163_3 Depth=1
	s_or_b32 exec_lo, exec_lo, s10
	v_mov_b64_e32 v[44:45], 0
	s_wait_dscnt 0x0
	s_barrier_signal -1
	s_barrier_wait -1
	s_and_saveexec_b32 s10, s3
	s_cbranch_execz .LBB163_74
; %bb.71:                               ;   in Loop: Header=BB163_3 Depth=1
	ds_load_b64 v[44:45], v51 offset:16
	ds_load_b64 v[46:47], v52
	s_wait_dscnt 0x0
	v_pk_mul_f32 v[48:49], v[46:47], v[44:45] op_sel:[1,1] op_sel_hi:[0,1]
	s_delay_alu instid0(VALU_DEP_1) | instskip(SKIP_1) | instid1(VALU_DEP_2)
	v_pk_fma_f32 v[84:85], v[46:47], v[44:45], v[48:49] op_sel_hi:[1,0,1]
	v_pk_fma_f32 v[44:45], v[46:47], v[44:45], v[48:49] neg_lo:[0,0,1] neg_hi:[0,0,1]
	v_mov_b32_e32 v45, v85
	s_delay_alu instid0(VALU_DEP_1)
	v_pk_add_f32 v[44:45], v[44:45], 0 op_sel_hi:[1,0]
	s_and_saveexec_b32 s11, s16
	s_cbranch_execz .LBB163_73
; %bb.72:                               ;   in Loop: Header=BB163_3 Depth=1
	ds_load_b64 v[46:47], v53 offset:528
	ds_load_b64 v[48:49], v1 offset:8
	s_wait_dscnt 0x0
	v_pk_mul_f32 v[84:85], v[48:49], v[46:47] op_sel:[1,1] op_sel_hi:[0,1]
	s_delay_alu instid0(VALU_DEP_1) | instskip(SKIP_1) | instid1(VALU_DEP_2)
	v_pk_fma_f32 v[86:87], v[48:49], v[46:47], v[84:85] op_sel_hi:[1,0,1]
	v_pk_fma_f32 v[46:47], v[48:49], v[46:47], v[84:85] neg_lo:[0,0,1] neg_hi:[0,0,1]
	v_mov_b32_e32 v47, v87
	s_delay_alu instid0(VALU_DEP_1)
	v_pk_add_f32 v[44:45], v[44:45], v[46:47]
.LBB163_73:                             ;   in Loop: Header=BB163_3 Depth=1
	s_or_b32 exec_lo, exec_lo, s11
	s_delay_alu instid0(VALU_DEP_1)
	v_pk_add_f32 v[44:45], v[44:45], 0 neg_lo:[1,1] neg_hi:[1,1]
.LBB163_74:                             ;   in Loop: Header=BB163_3 Depth=1
	s_or_b32 exec_lo, exec_lo, s10
	s_and_saveexec_b32 s10, s103
; %bb.75:                               ;   in Loop: Header=BB163_3 Depth=1
	ds_store_b64 v50, v[44:45]
; %bb.76:                               ;   in Loop: Header=BB163_3 Depth=1
	s_or_b32 exec_lo, exec_lo, s10
	s_wait_dscnt 0x0
	s_barrier_signal -1
	s_barrier_wait -1
	s_and_saveexec_b32 s10, s104
	s_cbranch_execz .LBB163_78
; %bb.77:                               ;   in Loop: Header=BB163_3 Depth=1
	ds_load_b64 v[46:47], v1 offset:1048
	ds_load_b64 v[48:49], v50
	s_wait_dscnt 0x0
	v_pk_mul_f32 v[84:85], v[48:49], v[46:47] op_sel:[1,1] op_sel_hi:[0,1]
	s_delay_alu instid0(VALU_DEP_1) | instskip(SKIP_1) | instid1(VALU_DEP_2)
	v_pk_fma_f32 v[86:87], v[48:49], v[46:47], v[84:85] op_sel_hi:[1,0,1]
	v_pk_fma_f32 v[46:47], v[48:49], v[46:47], v[84:85] neg_lo:[0,0,1] neg_hi:[0,0,1]
	v_mov_b32_e32 v47, v87
	s_delay_alu instid0(VALU_DEP_1)
	v_pk_add_f32 v[44:45], v[44:45], v[46:47]
.LBB163_78:                             ;   in Loop: Header=BB163_3 Depth=1
	s_or_b32 exec_lo, exec_lo, s10
	s_barrier_signal -1
	s_barrier_wait -1
	s_and_saveexec_b32 s10, s104
; %bb.79:                               ;   in Loop: Header=BB163_3 Depth=1
	ds_store_b64 v50, v[44:45]
; %bb.80:                               ;   in Loop: Header=BB163_3 Depth=1
	s_or_b32 exec_lo, exec_lo, s10
	s_wait_dscnt 0x0
	s_barrier_signal -1
	s_barrier_wait -1
	s_barrier_signal -1
	s_barrier_wait -1
	s_and_saveexec_b32 s10, s3
; %bb.81:                               ;   in Loop: Header=BB163_3 Depth=1
	v_pk_add_f32 v[44:45], v[44:45], 0 neg_lo:[1,1] neg_hi:[1,1]
	ds_store_b64 v51, v[44:45] offset:16
; %bb.82:                               ;   in Loop: Header=BB163_3 Depth=1
	s_or_b32 exec_lo, exec_lo, s10
	s_wait_dscnt 0x0
	s_barrier_signal -1
	s_barrier_wait -1
	s_barrier_signal -1
	s_barrier_wait -1
	s_and_saveexec_b32 s10, s12
; %bb.83:                               ;   in Loop: Header=BB163_3 Depth=1
	ds_store_2addr_b64 v1, v[38:39], v[38:39] offset0:130 offset1:195
; %bb.84:                               ;   in Loop: Header=BB163_3 Depth=1
	s_or_b32 exec_lo, exec_lo, s10
	v_mov_b64_e32 v[44:45], 0
	s_wait_dscnt 0x0
	s_barrier_signal -1
	s_barrier_wait -1
	s_and_saveexec_b32 s10, s4
	s_cbranch_execz .LBB163_90
; %bb.85:                               ;   in Loop: Header=BB163_3 Depth=1
	ds_load_b64 v[44:45], v57 offset:32
	ds_load_b64 v[46:47], v54
	s_wait_dscnt 0x0
	v_dual_mul_f32 v0, v47, v45 :: v_dual_mul_f32 v3, v46, v45
	s_delay_alu instid0(VALU_DEP_1) | instskip(NEXT) | instid1(VALU_DEP_1)
	v_dual_fma_f32 v0, v46, v44, -v0 :: v_dual_fmac_f32 v3, v47, v44
	v_dual_add_f32 v44, 0, v0 :: v_dual_add_f32 v45, 0, v3
	s_and_saveexec_b32 s11, s17
	s_cbranch_execnz .LBB163_997
; %bb.86:                               ;   in Loop: Header=BB163_3 Depth=1
	s_or_b32 exec_lo, exec_lo, s11
	s_and_saveexec_b32 s11, s18
	s_cbranch_execnz .LBB163_998
.LBB163_87:                             ;   in Loop: Header=BB163_3 Depth=1
	s_or_b32 exec_lo, exec_lo, s11
	s_and_saveexec_b32 s11, s3
	s_cbranch_execz .LBB163_89
.LBB163_88:                             ;   in Loop: Header=BB163_3 Depth=1
	ds_load_b64 v[46:47], v53 offset:1568
	ds_load_b64 v[48:49], v1 offset:24
	s_wait_dscnt 0x0
	v_dual_mul_f32 v0, v49, v47 :: v_dual_mul_f32 v85, v48, v47
	s_delay_alu instid0(VALU_DEP_1) | instskip(NEXT) | instid1(VALU_DEP_1)
	v_dual_fma_f32 v84, v48, v46, -v0 :: v_dual_fmac_f32 v85, v49, v46
	v_pk_add_f32 v[44:45], v[44:45], v[84:85]
.LBB163_89:                             ;   in Loop: Header=BB163_3 Depth=1
	s_or_b32 exec_lo, exec_lo, s11
	s_delay_alu instid0(VALU_DEP_1)
	v_pk_add_f32 v[44:45], v[44:45], 0 neg_lo:[1,1] neg_hi:[1,1]
.LBB163_90:                             ;   in Loop: Header=BB163_3 Depth=1
	s_or_b32 exec_lo, exec_lo, s10
	s_and_saveexec_b32 s10, vcc_hi
; %bb.91:                               ;   in Loop: Header=BB163_3 Depth=1
	ds_store_b64 v55, v[44:45]
; %bb.92:                               ;   in Loop: Header=BB163_3 Depth=1
	s_or_b32 exec_lo, exec_lo, s10
	s_wait_dscnt 0x0
	s_barrier_signal -1
	s_barrier_wait -1
	s_and_saveexec_b32 s10, s43
	s_cbranch_execz .LBB163_94
; %bb.93:                               ;   in Loop: Header=BB163_3 Depth=1
	ds_load_b64 v[46:47], v56 offset:2080
	ds_load_b64 v[48:49], v55
	s_wait_dscnt 0x0
	v_pk_mul_f32 v[84:85], v[48:49], v[46:47] op_sel:[1,1] op_sel_hi:[0,1]
	s_delay_alu instid0(VALU_DEP_1) | instskip(SKIP_1) | instid1(VALU_DEP_2)
	v_pk_fma_f32 v[86:87], v[48:49], v[46:47], v[84:85] op_sel_hi:[1,0,1]
	v_pk_fma_f32 v[46:47], v[48:49], v[46:47], v[84:85] neg_lo:[0,0,1] neg_hi:[0,0,1]
	v_mov_b32_e32 v47, v87
	s_delay_alu instid0(VALU_DEP_1)
	v_pk_add_f32 v[44:45], v[44:45], v[46:47]
.LBB163_94:                             ;   in Loop: Header=BB163_3 Depth=1
	s_or_b32 exec_lo, exec_lo, s10
	s_barrier_signal -1
	s_barrier_wait -1
	s_and_saveexec_b32 s10, s44
; %bb.95:                               ;   in Loop: Header=BB163_3 Depth=1
	ds_store_b64 v55, v[44:45]
; %bb.96:                               ;   in Loop: Header=BB163_3 Depth=1
	s_or_b32 exec_lo, exec_lo, s10
	s_wait_dscnt 0x0
	s_barrier_signal -1
	s_barrier_wait -1
	s_and_saveexec_b32 s10, s45
	s_cbranch_execz .LBB163_98
; %bb.97:                               ;   in Loop: Header=BB163_3 Depth=1
	ds_load_b64 v[46:47], v56 offset:2592
	ds_load_b64 v[48:49], v55
	s_wait_dscnt 0x0
	v_pk_mul_f32 v[84:85], v[48:49], v[46:47] op_sel:[1,1] op_sel_hi:[0,1]
	s_delay_alu instid0(VALU_DEP_1) | instskip(SKIP_1) | instid1(VALU_DEP_2)
	v_pk_fma_f32 v[86:87], v[48:49], v[46:47], v[84:85] op_sel_hi:[1,0,1]
	v_pk_fma_f32 v[46:47], v[48:49], v[46:47], v[84:85] neg_lo:[0,0,1] neg_hi:[0,0,1]
	v_mov_b32_e32 v47, v87
	s_delay_alu instid0(VALU_DEP_1)
	v_pk_add_f32 v[44:45], v[44:45], v[46:47]
.LBB163_98:                             ;   in Loop: Header=BB163_3 Depth=1
	s_or_b32 exec_lo, exec_lo, s10
	s_barrier_signal -1
	s_barrier_wait -1
	s_and_saveexec_b32 s10, s46
; %bb.99:                               ;   in Loop: Header=BB163_3 Depth=1
	ds_store_b64 v55, v[44:45]
; %bb.100:                              ;   in Loop: Header=BB163_3 Depth=1
	s_or_b32 exec_lo, exec_lo, s10
	s_wait_dscnt 0x0
	s_barrier_signal -1
	s_barrier_wait -1
	s_and_saveexec_b32 s10, s47
	s_cbranch_execz .LBB163_102
; %bb.101:                              ;   in Loop: Header=BB163_3 Depth=1
	ds_load_b64 v[46:47], v1 offset:3128
	ds_load_b64 v[48:49], v55
	s_wait_dscnt 0x0
	v_pk_mul_f32 v[84:85], v[48:49], v[46:47] op_sel:[1,1] op_sel_hi:[0,1]
	s_delay_alu instid0(VALU_DEP_1) | instskip(SKIP_1) | instid1(VALU_DEP_2)
	v_pk_fma_f32 v[86:87], v[48:49], v[46:47], v[84:85] op_sel_hi:[1,0,1]
	v_pk_fma_f32 v[46:47], v[48:49], v[46:47], v[84:85] neg_lo:[0,0,1] neg_hi:[0,0,1]
	v_mov_b32_e32 v47, v87
	s_delay_alu instid0(VALU_DEP_1)
	v_pk_add_f32 v[44:45], v[44:45], v[46:47]
.LBB163_102:                            ;   in Loop: Header=BB163_3 Depth=1
	s_or_b32 exec_lo, exec_lo, s10
	s_barrier_signal -1
	s_barrier_wait -1
	s_and_saveexec_b32 s10, s47
; %bb.103:                              ;   in Loop: Header=BB163_3 Depth=1
	ds_store_b64 v55, v[44:45]
; %bb.104:                              ;   in Loop: Header=BB163_3 Depth=1
	s_or_b32 exec_lo, exec_lo, s10
	s_wait_dscnt 0x0
	s_barrier_signal -1
	s_barrier_wait -1
	s_barrier_signal -1
	s_barrier_wait -1
	s_and_saveexec_b32 s10, s4
; %bb.105:                              ;   in Loop: Header=BB163_3 Depth=1
	v_pk_add_f32 v[44:45], v[44:45], 0 neg_lo:[1,1] neg_hi:[1,1]
	ds_store_b64 v57, v[44:45] offset:32
; %bb.106:                              ;   in Loop: Header=BB163_3 Depth=1
	s_or_b32 exec_lo, exec_lo, s10
	s_wait_dscnt 0x0
	s_barrier_signal -1
	s_barrier_wait -1
	s_barrier_signal -1
	s_barrier_wait -1
	s_and_saveexec_b32 s10, s12
; %bb.107:                              ;   in Loop: Header=BB163_3 Depth=1
	v_add_nc_u32_e64 v0, 0x800, 0
	ds_store_2addr_b64 v0, v[38:39], v[38:39] offset0:4 offset1:69
; %bb.108:                              ;   in Loop: Header=BB163_3 Depth=1
	s_or_b32 exec_lo, exec_lo, s10
	v_mov_b64_e32 v[44:45], 0
	s_wait_dscnt 0x0
	s_barrier_signal -1
	s_barrier_wait -1
	s_and_saveexec_b32 s10, s3
	s_cbranch_execz .LBB163_112
; %bb.109:                              ;   in Loop: Header=BB163_3 Depth=1
	ds_load_b64 v[44:45], v51 offset:2096
	ds_load_b64 v[46:47], v52 offset:2080
	s_wait_dscnt 0x0
	v_pk_mul_f32 v[48:49], v[46:47], v[44:45] op_sel:[1,1] op_sel_hi:[0,1]
	s_delay_alu instid0(VALU_DEP_1) | instskip(SKIP_1) | instid1(VALU_DEP_2)
	v_pk_fma_f32 v[84:85], v[46:47], v[44:45], v[48:49] op_sel_hi:[1,0,1]
	v_pk_fma_f32 v[44:45], v[46:47], v[44:45], v[48:49] neg_lo:[0,0,1] neg_hi:[0,0,1]
	v_mov_b32_e32 v45, v85
	s_delay_alu instid0(VALU_DEP_1)
	v_pk_add_f32 v[44:45], v[44:45], 0 op_sel_hi:[1,0]
	s_and_saveexec_b32 s11, s16
	s_cbranch_execz .LBB163_111
; %bb.110:                              ;   in Loop: Header=BB163_3 Depth=1
	ds_load_b64 v[46:47], v53 offset:2608
	ds_load_b64 v[48:49], v1 offset:2088
	s_wait_dscnt 0x0
	v_pk_mul_f32 v[84:85], v[48:49], v[46:47] op_sel:[1,1] op_sel_hi:[0,1]
	s_delay_alu instid0(VALU_DEP_1) | instskip(SKIP_1) | instid1(VALU_DEP_2)
	v_pk_fma_f32 v[86:87], v[48:49], v[46:47], v[84:85] op_sel_hi:[1,0,1]
	v_pk_fma_f32 v[46:47], v[48:49], v[46:47], v[84:85] neg_lo:[0,0,1] neg_hi:[0,0,1]
	v_mov_b32_e32 v47, v87
	s_delay_alu instid0(VALU_DEP_1)
	v_pk_add_f32 v[44:45], v[44:45], v[46:47]
.LBB163_111:                            ;   in Loop: Header=BB163_3 Depth=1
	s_or_b32 exec_lo, exec_lo, s11
	s_delay_alu instid0(VALU_DEP_1)
	v_pk_add_f32 v[44:45], v[44:45], 0 neg_lo:[1,1] neg_hi:[1,1]
.LBB163_112:                            ;   in Loop: Header=BB163_3 Depth=1
	s_or_b32 exec_lo, exec_lo, s10
	s_and_saveexec_b32 s10, s103
; %bb.113:                              ;   in Loop: Header=BB163_3 Depth=1
	ds_store_b64 v50, v[44:45]
; %bb.114:                              ;   in Loop: Header=BB163_3 Depth=1
	s_or_b32 exec_lo, exec_lo, s10
	s_wait_dscnt 0x0
	s_barrier_signal -1
	s_barrier_wait -1
	s_and_saveexec_b32 s10, s104
	s_cbranch_execz .LBB163_116
; %bb.115:                              ;   in Loop: Header=BB163_3 Depth=1
	ds_load_b64 v[46:47], v1 offset:3128
	ds_load_b64 v[48:49], v50
	s_wait_dscnt 0x0
	v_pk_mul_f32 v[84:85], v[48:49], v[46:47] op_sel:[1,1] op_sel_hi:[0,1]
	s_delay_alu instid0(VALU_DEP_1) | instskip(SKIP_1) | instid1(VALU_DEP_2)
	v_pk_fma_f32 v[86:87], v[48:49], v[46:47], v[84:85] op_sel_hi:[1,0,1]
	v_pk_fma_f32 v[46:47], v[48:49], v[46:47], v[84:85] neg_lo:[0,0,1] neg_hi:[0,0,1]
	v_mov_b32_e32 v47, v87
	s_delay_alu instid0(VALU_DEP_1)
	v_pk_add_f32 v[44:45], v[44:45], v[46:47]
.LBB163_116:                            ;   in Loop: Header=BB163_3 Depth=1
	s_or_b32 exec_lo, exec_lo, s10
	s_barrier_signal -1
	s_barrier_wait -1
	s_and_saveexec_b32 s10, s104
; %bb.117:                              ;   in Loop: Header=BB163_3 Depth=1
	ds_store_b64 v50, v[44:45]
; %bb.118:                              ;   in Loop: Header=BB163_3 Depth=1
	s_or_b32 exec_lo, exec_lo, s10
	s_wait_dscnt 0x0
	s_barrier_signal -1
	s_barrier_wait -1
	s_barrier_signal -1
	s_barrier_wait -1
	s_and_saveexec_b32 s10, s3
; %bb.119:                              ;   in Loop: Header=BB163_3 Depth=1
	v_pk_add_f32 v[44:45], v[44:45], 0 neg_lo:[1,1] neg_hi:[1,1]
	ds_store_b64 v51, v[44:45] offset:2096
; %bb.120:                              ;   in Loop: Header=BB163_3 Depth=1
	s_or_b32 exec_lo, exec_lo, s10
	s_wait_dscnt 0x0
	s_barrier_signal -1
	s_barrier_wait -1
	s_barrier_signal -1
	s_barrier_wait -1
	s_and_saveexec_b32 s10, s12
; %bb.121:                              ;   in Loop: Header=BB163_3 Depth=1
	v_add_nc_u32_e64 v0, 0x800, 0
	ds_store_2addr_b64 v0, v[38:39], v[38:39] offset0:134 offset1:199
; %bb.122:                              ;   in Loop: Header=BB163_3 Depth=1
	s_or_b32 exec_lo, exec_lo, s10
	v_mov_b64_e32 v[44:45], 0
	s_wait_dscnt 0x0
	s_barrier_signal -1
	s_barrier_wait -1
	s_and_saveexec_b32 s10, s5
	s_cbranch_execz .LBB163_132
; %bb.123:                              ;   in Loop: Header=BB163_3 Depth=1
	ds_load_b64 v[44:45], v62 offset:64
	ds_load_b64 v[46:47], v59
	s_wait_dscnt 0x0
	v_dual_mul_f32 v0, v47, v45 :: v_dual_mul_f32 v3, v46, v45
	s_delay_alu instid0(VALU_DEP_1) | instskip(NEXT) | instid1(VALU_DEP_1)
	v_dual_fma_f32 v0, v46, v44, -v0 :: v_dual_fmac_f32 v3, v47, v44
	v_dual_add_f32 v44, 0, v0 :: v_dual_add_f32 v45, 0, v3
	s_and_saveexec_b32 s11, s19
	s_cbranch_execnz .LBB163_999
; %bb.124:                              ;   in Loop: Header=BB163_3 Depth=1
	s_or_b32 exec_lo, exec_lo, s11
	s_and_saveexec_b32 s11, s20
	s_cbranch_execnz .LBB163_1000
.LBB163_125:                            ;   in Loop: Header=BB163_3 Depth=1
	s_or_b32 exec_lo, exec_lo, s11
	s_and_saveexec_b32 s11, s21
	s_cbranch_execnz .LBB163_1001
.LBB163_126:                            ;   in Loop: Header=BB163_3 Depth=1
	s_or_b32 exec_lo, exec_lo, s11
	s_and_saveexec_b32 s11, s22
	s_cbranch_execnz .LBB163_1002
.LBB163_127:                            ;   in Loop: Header=BB163_3 Depth=1
	s_or_b32 exec_lo, exec_lo, s11
	s_and_saveexec_b32 s11, s23
	s_cbranch_execnz .LBB163_1003
.LBB163_128:                            ;   in Loop: Header=BB163_3 Depth=1
	s_or_b32 exec_lo, exec_lo, s11
	s_and_saveexec_b32 s11, s4
	s_cbranch_execnz .LBB163_1004
.LBB163_129:                            ;   in Loop: Header=BB163_3 Depth=1
	s_or_b32 exec_lo, exec_lo, s11
	s_and_saveexec_b32 s11, s18
	s_cbranch_execz .LBB163_131
.LBB163_130:                            ;   in Loop: Header=BB163_3 Depth=1
	ds_load_b64 v[46:47], v53 offset:3648
	ds_load_b64 v[48:49], v1 offset:56
	s_wait_dscnt 0x0
	v_pk_mul_f32 v[84:85], v[48:49], v[46:47] op_sel:[1,1] op_sel_hi:[0,1]
	s_delay_alu instid0(VALU_DEP_1) | instskip(SKIP_1) | instid1(VALU_DEP_2)
	v_pk_fma_f32 v[86:87], v[48:49], v[46:47], v[84:85] op_sel_hi:[1,0,1]
	v_pk_fma_f32 v[46:47], v[48:49], v[46:47], v[84:85] neg_lo:[0,0,1] neg_hi:[0,0,1]
	v_mov_b32_e32 v47, v87
	s_delay_alu instid0(VALU_DEP_1)
	v_pk_add_f32 v[44:45], v[44:45], v[46:47]
.LBB163_131:                            ;   in Loop: Header=BB163_3 Depth=1
	s_or_b32 exec_lo, exec_lo, s11
	s_delay_alu instid0(VALU_DEP_1)
	v_pk_add_f32 v[44:45], v[44:45], 0 neg_lo:[1,1] neg_hi:[1,1]
.LBB163_132:                            ;   in Loop: Header=BB163_3 Depth=1
	s_or_b32 exec_lo, exec_lo, s10
	s_and_saveexec_b32 s10, s48
; %bb.133:                              ;   in Loop: Header=BB163_3 Depth=1
	ds_store_b64 v61, v[44:45]
; %bb.134:                              ;   in Loop: Header=BB163_3 Depth=1
	s_or_b32 exec_lo, exec_lo, s10
	s_wait_dscnt 0x0
	s_barrier_signal -1
	s_barrier_wait -1
	s_and_saveexec_b32 s10, s49
	s_cbranch_execz .LBB163_136
; %bb.135:                              ;   in Loop: Header=BB163_3 Depth=1
	ds_load_b64 v[46:47], v60 offset:4160
	ds_load_b64 v[48:49], v61
	s_wait_dscnt 0x0
	v_pk_mul_f32 v[84:85], v[48:49], v[46:47] op_sel:[1,1] op_sel_hi:[0,1]
	s_delay_alu instid0(VALU_DEP_1) | instskip(SKIP_1) | instid1(VALU_DEP_2)
	v_pk_fma_f32 v[86:87], v[48:49], v[46:47], v[84:85] op_sel_hi:[1,0,1]
	v_pk_fma_f32 v[46:47], v[48:49], v[46:47], v[84:85] neg_lo:[0,0,1] neg_hi:[0,0,1]
	v_mov_b32_e32 v47, v87
	s_delay_alu instid0(VALU_DEP_1)
	v_pk_add_f32 v[44:45], v[44:45], v[46:47]
.LBB163_136:                            ;   in Loop: Header=BB163_3 Depth=1
	s_or_b32 exec_lo, exec_lo, s10
	s_barrier_signal -1
	s_barrier_wait -1
	s_and_saveexec_b32 s10, s50
; %bb.137:                              ;   in Loop: Header=BB163_3 Depth=1
	ds_store_b64 v61, v[44:45]
; %bb.138:                              ;   in Loop: Header=BB163_3 Depth=1
	s_or_b32 exec_lo, exec_lo, s10
	s_wait_dscnt 0x0
	s_barrier_signal -1
	s_barrier_wait -1
	s_and_saveexec_b32 s10, s51
	s_cbranch_execz .LBB163_140
; %bb.139:                              ;   in Loop: Header=BB163_3 Depth=1
	ds_load_b64 v[46:47], v60 offset:4672
	ds_load_b64 v[48:49], v61
	s_wait_dscnt 0x0
	v_dual_mul_f32 v0, v49, v47 :: v_dual_mul_f32 v3, v48, v47
	s_delay_alu instid0(VALU_DEP_1) | instskip(NEXT) | instid1(VALU_DEP_1)
	v_dual_fma_f32 v0, v48, v46, -v0 :: v_dual_fmac_f32 v3, v49, v46
	v_dual_add_f32 v44, v44, v0 :: v_dual_add_f32 v45, v45, v3
.LBB163_140:                            ;   in Loop: Header=BB163_3 Depth=1
	s_or_b32 exec_lo, exec_lo, s10
	s_barrier_signal -1
	s_barrier_wait -1
	s_and_saveexec_b32 s10, s52
; %bb.141:                              ;   in Loop: Header=BB163_3 Depth=1
	ds_store_b64 v61, v[44:45]
; %bb.142:                              ;   in Loop: Header=BB163_3 Depth=1
	s_or_b32 exec_lo, exec_lo, s10
	s_wait_dscnt 0x0
	s_barrier_signal -1
	s_barrier_wait -1
	s_and_saveexec_b32 s10, s53
	s_cbranch_execz .LBB163_144
; %bb.143:                              ;   in Loop: Header=BB163_3 Depth=1
	ds_load_b64 v[46:47], v60 offset:5184
	ds_load_b64 v[48:49], v61
	s_wait_dscnt 0x0
	v_dual_mul_f32 v0, v49, v47 :: v_dual_mul_f32 v85, v48, v47
	s_delay_alu instid0(VALU_DEP_1) | instskip(NEXT) | instid1(VALU_DEP_1)
	v_dual_fma_f32 v84, v48, v46, -v0 :: v_dual_fmac_f32 v85, v49, v46
	v_pk_add_f32 v[44:45], v[44:45], v[84:85]
.LBB163_144:                            ;   in Loop: Header=BB163_3 Depth=1
	s_or_b32 exec_lo, exec_lo, s10
	s_barrier_signal -1
	s_barrier_wait -1
	s_and_saveexec_b32 s10, s54
; %bb.145:                              ;   in Loop: Header=BB163_3 Depth=1
	ds_store_b64 v61, v[44:45]
; %bb.146:                              ;   in Loop: Header=BB163_3 Depth=1
	s_or_b32 exec_lo, exec_lo, s10
	s_wait_dscnt 0x0
	s_barrier_signal -1
	s_barrier_wait -1
	s_and_saveexec_b32 s10, s55
	s_cbranch_execz .LBB163_148
; %bb.147:                              ;   in Loop: Header=BB163_3 Depth=1
	ds_load_b64 v[46:47], v60 offset:5696
	ds_load_b64 v[48:49], v61
	s_wait_dscnt 0x0
	v_pk_mul_f32 v[84:85], v[48:49], v[46:47] op_sel:[1,1] op_sel_hi:[0,1]
	s_delay_alu instid0(VALU_DEP_1) | instskip(SKIP_1) | instid1(VALU_DEP_2)
	v_pk_fma_f32 v[86:87], v[48:49], v[46:47], v[84:85] op_sel_hi:[1,0,1]
	v_pk_fma_f32 v[46:47], v[48:49], v[46:47], v[84:85] neg_lo:[0,0,1] neg_hi:[0,0,1]
	v_mov_b32_e32 v47, v87
	s_delay_alu instid0(VALU_DEP_1)
	v_pk_add_f32 v[44:45], v[44:45], v[46:47]
.LBB163_148:                            ;   in Loop: Header=BB163_3 Depth=1
	s_or_b32 exec_lo, exec_lo, s10
	s_barrier_signal -1
	s_barrier_wait -1
	s_and_saveexec_b32 s10, s56
; %bb.149:                              ;   in Loop: Header=BB163_3 Depth=1
	ds_store_b64 v61, v[44:45]
; %bb.150:                              ;   in Loop: Header=BB163_3 Depth=1
	s_or_b32 exec_lo, exec_lo, s10
	s_wait_dscnt 0x0
	s_barrier_signal -1
	s_barrier_wait -1
	s_and_saveexec_b32 s10, s57
	s_cbranch_execz .LBB163_152
; %bb.151:                              ;   in Loop: Header=BB163_3 Depth=1
	ds_load_b64 v[46:47], v60 offset:6208
	ds_load_b64 v[48:49], v61
	s_wait_dscnt 0x0
	v_pk_mul_f32 v[84:85], v[48:49], v[46:47] op_sel:[1,1] op_sel_hi:[0,1]
	s_delay_alu instid0(VALU_DEP_1) | instskip(SKIP_1) | instid1(VALU_DEP_2)
	v_pk_fma_f32 v[86:87], v[48:49], v[46:47], v[84:85] op_sel_hi:[1,0,1]
	v_pk_fma_f32 v[46:47], v[48:49], v[46:47], v[84:85] neg_lo:[0,0,1] neg_hi:[0,0,1]
	v_mov_b32_e32 v47, v87
	s_delay_alu instid0(VALU_DEP_1)
	v_pk_add_f32 v[44:45], v[44:45], v[46:47]
.LBB163_152:                            ;   in Loop: Header=BB163_3 Depth=1
	;; [unrolled: 25-line block ×4, first 2 shown]
	s_or_b32 exec_lo, exec_lo, s10
	s_barrier_signal -1
	s_barrier_wait -1
	s_and_saveexec_b32 s10, s61
; %bb.161:                              ;   in Loop: Header=BB163_3 Depth=1
	ds_store_b64 v61, v[44:45]
; %bb.162:                              ;   in Loop: Header=BB163_3 Depth=1
	s_or_b32 exec_lo, exec_lo, s10
	s_wait_dscnt 0x0
	s_barrier_signal -1
	s_barrier_wait -1
	s_barrier_signal -1
	s_barrier_wait -1
	s_and_saveexec_b32 s10, s5
; %bb.163:                              ;   in Loop: Header=BB163_3 Depth=1
	v_pk_add_f32 v[44:45], v[44:45], 0 neg_lo:[1,1] neg_hi:[1,1]
	ds_store_b64 v62, v[44:45] offset:64
; %bb.164:                              ;   in Loop: Header=BB163_3 Depth=1
	s_or_b32 exec_lo, exec_lo, s10
	s_wait_dscnt 0x0
	s_barrier_signal -1
	s_barrier_wait -1
	s_barrier_signal -1
	s_barrier_wait -1
	s_and_saveexec_b32 s10, s12
; %bb.165:                              ;   in Loop: Header=BB163_3 Depth=1
	v_add_nc_u32_e64 v0, 0x1000, 0
	ds_store_2addr_b64 v0, v[38:39], v[38:39] offset0:8 offset1:73
; %bb.166:                              ;   in Loop: Header=BB163_3 Depth=1
	s_or_b32 exec_lo, exec_lo, s10
	v_mov_b64_e32 v[44:45], 0
	s_wait_dscnt 0x0
	s_barrier_signal -1
	s_barrier_wait -1
	s_and_saveexec_b32 s10, s3
	s_cbranch_execz .LBB163_170
; %bb.167:                              ;   in Loop: Header=BB163_3 Depth=1
	ds_load_b64 v[44:45], v51 offset:4176
	ds_load_b64 v[46:47], v52 offset:4160
	s_wait_dscnt 0x0
	v_pk_mul_f32 v[48:49], v[46:47], v[44:45] op_sel:[1,1] op_sel_hi:[0,1]
	s_delay_alu instid0(VALU_DEP_1) | instskip(SKIP_1) | instid1(VALU_DEP_2)
	v_pk_fma_f32 v[84:85], v[46:47], v[44:45], v[48:49] op_sel_hi:[1,0,1]
	v_pk_fma_f32 v[44:45], v[46:47], v[44:45], v[48:49] neg_lo:[0,0,1] neg_hi:[0,0,1]
	v_mov_b32_e32 v45, v85
	s_delay_alu instid0(VALU_DEP_1)
	v_pk_add_f32 v[44:45], v[44:45], 0 op_sel_hi:[1,0]
	s_and_saveexec_b32 s11, s16
	s_cbranch_execz .LBB163_169
; %bb.168:                              ;   in Loop: Header=BB163_3 Depth=1
	ds_load_b64 v[46:47], v53 offset:4688
	ds_load_b64 v[48:49], v1 offset:4168
	s_wait_dscnt 0x0
	v_pk_mul_f32 v[84:85], v[48:49], v[46:47] op_sel:[1,1] op_sel_hi:[0,1]
	s_delay_alu instid0(VALU_DEP_1) | instskip(SKIP_1) | instid1(VALU_DEP_2)
	v_pk_fma_f32 v[86:87], v[48:49], v[46:47], v[84:85] op_sel_hi:[1,0,1]
	v_pk_fma_f32 v[46:47], v[48:49], v[46:47], v[84:85] neg_lo:[0,0,1] neg_hi:[0,0,1]
	v_mov_b32_e32 v47, v87
	s_delay_alu instid0(VALU_DEP_1)
	v_pk_add_f32 v[44:45], v[44:45], v[46:47]
.LBB163_169:                            ;   in Loop: Header=BB163_3 Depth=1
	s_or_b32 exec_lo, exec_lo, s11
	s_delay_alu instid0(VALU_DEP_1)
	v_pk_add_f32 v[44:45], v[44:45], 0 neg_lo:[1,1] neg_hi:[1,1]
.LBB163_170:                            ;   in Loop: Header=BB163_3 Depth=1
	s_or_b32 exec_lo, exec_lo, s10
	s_and_saveexec_b32 s10, s103
; %bb.171:                              ;   in Loop: Header=BB163_3 Depth=1
	ds_store_b64 v50, v[44:45]
; %bb.172:                              ;   in Loop: Header=BB163_3 Depth=1
	s_or_b32 exec_lo, exec_lo, s10
	s_wait_dscnt 0x0
	s_barrier_signal -1
	s_barrier_wait -1
	s_and_saveexec_b32 s10, s104
	s_cbranch_execz .LBB163_174
; %bb.173:                              ;   in Loop: Header=BB163_3 Depth=1
	ds_load_b64 v[46:47], v1 offset:5208
	ds_load_b64 v[48:49], v50
	s_wait_dscnt 0x0
	v_pk_mul_f32 v[84:85], v[48:49], v[46:47] op_sel:[1,1] op_sel_hi:[0,1]
	s_delay_alu instid0(VALU_DEP_1) | instskip(SKIP_1) | instid1(VALU_DEP_2)
	v_pk_fma_f32 v[86:87], v[48:49], v[46:47], v[84:85] op_sel_hi:[1,0,1]
	v_pk_fma_f32 v[46:47], v[48:49], v[46:47], v[84:85] neg_lo:[0,0,1] neg_hi:[0,0,1]
	v_mov_b32_e32 v47, v87
	s_delay_alu instid0(VALU_DEP_1)
	v_pk_add_f32 v[44:45], v[44:45], v[46:47]
.LBB163_174:                            ;   in Loop: Header=BB163_3 Depth=1
	s_or_b32 exec_lo, exec_lo, s10
	s_barrier_signal -1
	s_barrier_wait -1
	s_and_saveexec_b32 s10, s104
; %bb.175:                              ;   in Loop: Header=BB163_3 Depth=1
	ds_store_b64 v50, v[44:45]
; %bb.176:                              ;   in Loop: Header=BB163_3 Depth=1
	s_or_b32 exec_lo, exec_lo, s10
	s_wait_dscnt 0x0
	s_barrier_signal -1
	s_barrier_wait -1
	s_barrier_signal -1
	s_barrier_wait -1
	s_and_saveexec_b32 s10, s3
; %bb.177:                              ;   in Loop: Header=BB163_3 Depth=1
	v_pk_add_f32 v[44:45], v[44:45], 0 neg_lo:[1,1] neg_hi:[1,1]
	ds_store_b64 v51, v[44:45] offset:4176
; %bb.178:                              ;   in Loop: Header=BB163_3 Depth=1
	s_or_b32 exec_lo, exec_lo, s10
	s_wait_dscnt 0x0
	s_barrier_signal -1
	s_barrier_wait -1
	s_barrier_signal -1
	s_barrier_wait -1
	s_and_saveexec_b32 s10, s12
; %bb.179:                              ;   in Loop: Header=BB163_3 Depth=1
	v_add_nc_u32_e64 v0, 0x1000, 0
	ds_store_2addr_b64 v0, v[38:39], v[38:39] offset0:138 offset1:203
; %bb.180:                              ;   in Loop: Header=BB163_3 Depth=1
	s_or_b32 exec_lo, exec_lo, s10
	v_mov_b64_e32 v[44:45], 0
	s_wait_dscnt 0x0
	s_barrier_signal -1
	s_barrier_wait -1
	s_and_saveexec_b32 s10, s4
	s_cbranch_execz .LBB163_186
; %bb.181:                              ;   in Loop: Header=BB163_3 Depth=1
	ds_load_b64 v[44:45], v57 offset:4192
	ds_load_b64 v[46:47], v54 offset:4160
	s_wait_dscnt 0x0
	v_dual_mul_f32 v0, v47, v45 :: v_dual_mul_f32 v3, v46, v45
	s_delay_alu instid0(VALU_DEP_1) | instskip(NEXT) | instid1(VALU_DEP_1)
	v_dual_fma_f32 v0, v46, v44, -v0 :: v_dual_fmac_f32 v3, v47, v44
	v_dual_add_f32 v44, 0, v0 :: v_dual_add_f32 v45, 0, v3
	s_and_saveexec_b32 s11, s17
	s_cbranch_execnz .LBB163_1005
; %bb.182:                              ;   in Loop: Header=BB163_3 Depth=1
	s_or_b32 exec_lo, exec_lo, s11
	s_and_saveexec_b32 s11, s18
	s_cbranch_execnz .LBB163_1006
.LBB163_183:                            ;   in Loop: Header=BB163_3 Depth=1
	s_or_b32 exec_lo, exec_lo, s11
	s_and_saveexec_b32 s11, s3
	s_cbranch_execz .LBB163_185
.LBB163_184:                            ;   in Loop: Header=BB163_3 Depth=1
	ds_load_b64 v[46:47], v53 offset:5728
	ds_load_b64 v[48:49], v1 offset:4184
	s_wait_dscnt 0x0
	v_dual_mul_f32 v0, v49, v47 :: v_dual_mul_f32 v85, v48, v47
	s_delay_alu instid0(VALU_DEP_1) | instskip(NEXT) | instid1(VALU_DEP_1)
	v_dual_fma_f32 v84, v48, v46, -v0 :: v_dual_fmac_f32 v85, v49, v46
	v_pk_add_f32 v[44:45], v[44:45], v[84:85]
.LBB163_185:                            ;   in Loop: Header=BB163_3 Depth=1
	s_or_b32 exec_lo, exec_lo, s11
	s_delay_alu instid0(VALU_DEP_1)
	v_pk_add_f32 v[44:45], v[44:45], 0 neg_lo:[1,1] neg_hi:[1,1]
.LBB163_186:                            ;   in Loop: Header=BB163_3 Depth=1
	s_or_b32 exec_lo, exec_lo, s10
	s_and_saveexec_b32 s10, vcc_hi
; %bb.187:                              ;   in Loop: Header=BB163_3 Depth=1
	ds_store_b64 v55, v[44:45]
; %bb.188:                              ;   in Loop: Header=BB163_3 Depth=1
	s_or_b32 exec_lo, exec_lo, s10
	s_wait_dscnt 0x0
	s_barrier_signal -1
	s_barrier_wait -1
	s_and_saveexec_b32 s10, s43
	s_cbranch_execz .LBB163_190
; %bb.189:                              ;   in Loop: Header=BB163_3 Depth=1
	ds_load_b64 v[46:47], v56 offset:6240
	ds_load_b64 v[48:49], v55
	s_wait_dscnt 0x0
	v_pk_mul_f32 v[84:85], v[48:49], v[46:47] op_sel:[1,1] op_sel_hi:[0,1]
	s_delay_alu instid0(VALU_DEP_1) | instskip(SKIP_1) | instid1(VALU_DEP_2)
	v_pk_fma_f32 v[86:87], v[48:49], v[46:47], v[84:85] op_sel_hi:[1,0,1]
	v_pk_fma_f32 v[46:47], v[48:49], v[46:47], v[84:85] neg_lo:[0,0,1] neg_hi:[0,0,1]
	v_mov_b32_e32 v47, v87
	s_delay_alu instid0(VALU_DEP_1)
	v_pk_add_f32 v[44:45], v[44:45], v[46:47]
.LBB163_190:                            ;   in Loop: Header=BB163_3 Depth=1
	s_or_b32 exec_lo, exec_lo, s10
	s_barrier_signal -1
	s_barrier_wait -1
	s_and_saveexec_b32 s10, s44
; %bb.191:                              ;   in Loop: Header=BB163_3 Depth=1
	ds_store_b64 v55, v[44:45]
; %bb.192:                              ;   in Loop: Header=BB163_3 Depth=1
	s_or_b32 exec_lo, exec_lo, s10
	s_wait_dscnt 0x0
	s_barrier_signal -1
	s_barrier_wait -1
	s_and_saveexec_b32 s10, s45
	s_cbranch_execz .LBB163_194
; %bb.193:                              ;   in Loop: Header=BB163_3 Depth=1
	ds_load_b64 v[46:47], v56 offset:6752
	ds_load_b64 v[48:49], v55
	s_wait_dscnt 0x0
	v_pk_mul_f32 v[84:85], v[48:49], v[46:47] op_sel:[1,1] op_sel_hi:[0,1]
	s_delay_alu instid0(VALU_DEP_1) | instskip(SKIP_1) | instid1(VALU_DEP_2)
	v_pk_fma_f32 v[86:87], v[48:49], v[46:47], v[84:85] op_sel_hi:[1,0,1]
	v_pk_fma_f32 v[46:47], v[48:49], v[46:47], v[84:85] neg_lo:[0,0,1] neg_hi:[0,0,1]
	v_mov_b32_e32 v47, v87
	s_delay_alu instid0(VALU_DEP_1)
	v_pk_add_f32 v[44:45], v[44:45], v[46:47]
.LBB163_194:                            ;   in Loop: Header=BB163_3 Depth=1
	s_or_b32 exec_lo, exec_lo, s10
	s_barrier_signal -1
	s_barrier_wait -1
	s_and_saveexec_b32 s10, s46
	;; [unrolled: 25-line block ×3, first 2 shown]
; %bb.199:                              ;   in Loop: Header=BB163_3 Depth=1
	ds_store_b64 v55, v[44:45]
; %bb.200:                              ;   in Loop: Header=BB163_3 Depth=1
	s_or_b32 exec_lo, exec_lo, s10
	s_wait_dscnt 0x0
	s_barrier_signal -1
	s_barrier_wait -1
	s_barrier_signal -1
	s_barrier_wait -1
	s_and_saveexec_b32 s10, s4
; %bb.201:                              ;   in Loop: Header=BB163_3 Depth=1
	v_pk_add_f32 v[44:45], v[44:45], 0 neg_lo:[1,1] neg_hi:[1,1]
	ds_store_b64 v57, v[44:45] offset:4192
; %bb.202:                              ;   in Loop: Header=BB163_3 Depth=1
	s_or_b32 exec_lo, exec_lo, s10
	s_wait_dscnt 0x0
	s_barrier_signal -1
	s_barrier_wait -1
	s_barrier_signal -1
	s_barrier_wait -1
	s_and_saveexec_b32 s10, s12
; %bb.203:                              ;   in Loop: Header=BB163_3 Depth=1
	v_add_nc_u32_e64 v0, 0x1800, 0
	ds_store_2addr_b64 v0, v[38:39], v[38:39] offset0:12 offset1:77
; %bb.204:                              ;   in Loop: Header=BB163_3 Depth=1
	s_or_b32 exec_lo, exec_lo, s10
	v_mov_b64_e32 v[44:45], 0
	s_wait_dscnt 0x0
	s_barrier_signal -1
	s_barrier_wait -1
	s_and_saveexec_b32 s10, s3
	s_cbranch_execz .LBB163_208
; %bb.205:                              ;   in Loop: Header=BB163_3 Depth=1
	ds_load_b64 v[44:45], v51 offset:6256
	ds_load_b64 v[46:47], v52 offset:6240
	s_wait_dscnt 0x0
	v_pk_mul_f32 v[48:49], v[46:47], v[44:45] op_sel:[1,1] op_sel_hi:[0,1]
	s_delay_alu instid0(VALU_DEP_1) | instskip(SKIP_1) | instid1(VALU_DEP_2)
	v_pk_fma_f32 v[84:85], v[46:47], v[44:45], v[48:49] op_sel_hi:[1,0,1]
	v_pk_fma_f32 v[44:45], v[46:47], v[44:45], v[48:49] neg_lo:[0,0,1] neg_hi:[0,0,1]
	v_mov_b32_e32 v45, v85
	s_delay_alu instid0(VALU_DEP_1)
	v_pk_add_f32 v[44:45], v[44:45], 0 op_sel_hi:[1,0]
	s_and_saveexec_b32 s11, s16
	s_cbranch_execz .LBB163_207
; %bb.206:                              ;   in Loop: Header=BB163_3 Depth=1
	ds_load_b64 v[46:47], v53 offset:6768
	ds_load_b64 v[48:49], v1 offset:6248
	s_wait_dscnt 0x0
	v_pk_mul_f32 v[84:85], v[48:49], v[46:47] op_sel:[1,1] op_sel_hi:[0,1]
	s_delay_alu instid0(VALU_DEP_1) | instskip(SKIP_1) | instid1(VALU_DEP_2)
	v_pk_fma_f32 v[86:87], v[48:49], v[46:47], v[84:85] op_sel_hi:[1,0,1]
	v_pk_fma_f32 v[46:47], v[48:49], v[46:47], v[84:85] neg_lo:[0,0,1] neg_hi:[0,0,1]
	v_mov_b32_e32 v47, v87
	s_delay_alu instid0(VALU_DEP_1)
	v_pk_add_f32 v[44:45], v[44:45], v[46:47]
.LBB163_207:                            ;   in Loop: Header=BB163_3 Depth=1
	s_or_b32 exec_lo, exec_lo, s11
	s_delay_alu instid0(VALU_DEP_1)
	v_pk_add_f32 v[44:45], v[44:45], 0 neg_lo:[1,1] neg_hi:[1,1]
.LBB163_208:                            ;   in Loop: Header=BB163_3 Depth=1
	s_or_b32 exec_lo, exec_lo, s10
	s_and_saveexec_b32 s10, s103
; %bb.209:                              ;   in Loop: Header=BB163_3 Depth=1
	ds_store_b64 v50, v[44:45]
; %bb.210:                              ;   in Loop: Header=BB163_3 Depth=1
	s_or_b32 exec_lo, exec_lo, s10
	s_wait_dscnt 0x0
	s_barrier_signal -1
	s_barrier_wait -1
	s_and_saveexec_b32 s10, s104
	s_cbranch_execz .LBB163_212
; %bb.211:                              ;   in Loop: Header=BB163_3 Depth=1
	ds_load_b64 v[46:47], v1 offset:7288
	ds_load_b64 v[48:49], v50
	s_wait_dscnt 0x0
	v_pk_mul_f32 v[84:85], v[48:49], v[46:47] op_sel:[1,1] op_sel_hi:[0,1]
	s_delay_alu instid0(VALU_DEP_1) | instskip(SKIP_1) | instid1(VALU_DEP_2)
	v_pk_fma_f32 v[86:87], v[48:49], v[46:47], v[84:85] op_sel_hi:[1,0,1]
	v_pk_fma_f32 v[46:47], v[48:49], v[46:47], v[84:85] neg_lo:[0,0,1] neg_hi:[0,0,1]
	v_mov_b32_e32 v47, v87
	s_delay_alu instid0(VALU_DEP_1)
	v_pk_add_f32 v[44:45], v[44:45], v[46:47]
.LBB163_212:                            ;   in Loop: Header=BB163_3 Depth=1
	s_or_b32 exec_lo, exec_lo, s10
	s_barrier_signal -1
	s_barrier_wait -1
	s_and_saveexec_b32 s10, s104
; %bb.213:                              ;   in Loop: Header=BB163_3 Depth=1
	ds_store_b64 v50, v[44:45]
; %bb.214:                              ;   in Loop: Header=BB163_3 Depth=1
	s_or_b32 exec_lo, exec_lo, s10
	s_wait_dscnt 0x0
	s_barrier_signal -1
	s_barrier_wait -1
	s_barrier_signal -1
	s_barrier_wait -1
	s_and_saveexec_b32 s10, s3
; %bb.215:                              ;   in Loop: Header=BB163_3 Depth=1
	v_pk_add_f32 v[44:45], v[44:45], 0 neg_lo:[1,1] neg_hi:[1,1]
	ds_store_b64 v51, v[44:45] offset:6256
; %bb.216:                              ;   in Loop: Header=BB163_3 Depth=1
	s_or_b32 exec_lo, exec_lo, s10
	s_wait_dscnt 0x0
	s_barrier_signal -1
	s_barrier_wait -1
	s_barrier_signal -1
	s_barrier_wait -1
	s_and_saveexec_b32 s10, s12
; %bb.217:                              ;   in Loop: Header=BB163_3 Depth=1
	v_add_nc_u32_e64 v0, 0x1800, 0
	ds_store_2addr_b64 v0, v[38:39], v[38:39] offset0:142 offset1:207
; %bb.218:                              ;   in Loop: Header=BB163_3 Depth=1
	s_or_b32 exec_lo, exec_lo, s10
	v_mov_b64_e32 v[44:45], 0
	s_wait_dscnt 0x0
	s_barrier_signal -1
	s_barrier_wait -1
	s_and_saveexec_b32 s66, s6
	s_cbranch_execz .LBB163_246
; %bb.219:                              ;   in Loop: Header=BB163_3 Depth=1
	ds_load_b64 v[44:45], v67 offset:128
	ds_load_b64 v[46:47], v64
	v_readlane_b32 s0, v94, 30
	s_wait_dscnt 0x0
	v_dual_mul_f32 v0, v47, v45 :: v_dual_mul_f32 v3, v46, v45
	s_delay_alu instid0(VALU_DEP_1) | instskip(NEXT) | instid1(VALU_DEP_1)
	v_dual_fma_f32 v0, v46, v44, -v0 :: v_dual_fmac_f32 v3, v47, v44
	v_dual_add_f32 v44, 0, v0 :: v_dual_add_f32 v45, 0, v3
	s_and_saveexec_b32 s10, s0
	s_cbranch_execz .LBB163_221
; %bb.220:                              ;   in Loop: Header=BB163_3 Depth=1
	ds_load_b64 v[46:47], v68 offset:640
	ds_load_b64 v[48:49], v64 offset:8
	s_wait_dscnt 0x0
	v_dual_mul_f32 v0, v49, v47 :: v_dual_mul_f32 v3, v48, v47
	s_delay_alu instid0(VALU_DEP_1) | instskip(NEXT) | instid1(VALU_DEP_1)
	v_dual_fma_f32 v0, v48, v46, -v0 :: v_dual_fmac_f32 v3, v49, v46
	v_dual_add_f32 v44, v44, v0 :: v_dual_add_f32 v45, v45, v3
.LBB163_221:                            ;   in Loop: Header=BB163_3 Depth=1
	s_or_b32 exec_lo, exec_lo, s10
	v_readlane_b32 s0, v94, 31
	s_and_saveexec_b32 s10, s0
	s_cbranch_execz .LBB163_223
; %bb.222:                              ;   in Loop: Header=BB163_3 Depth=1
	ds_load_b64 v[46:47], v68 offset:1152
	ds_load_b64 v[48:49], v64 offset:16
	s_wait_dscnt 0x0
	v_dual_mul_f32 v0, v49, v47 :: v_dual_mul_f32 v3, v48, v47
	s_delay_alu instid0(VALU_DEP_1) | instskip(NEXT) | instid1(VALU_DEP_1)
	v_dual_fma_f32 v0, v48, v46, -v0 :: v_dual_fmac_f32 v3, v49, v46
	v_dual_add_f32 v44, v44, v0 :: v_dual_add_f32 v45, v45, v3
.LBB163_223:                            ;   in Loop: Header=BB163_3 Depth=1
	s_or_b32 exec_lo, exec_lo, s10
	v_readlane_b32 s0, v93, 0
	;; [unrolled: 13-line block ×4, first 2 shown]
	s_and_saveexec_b32 s10, s0
	s_cbranch_execz .LBB163_229
; %bb.228:                              ;   in Loop: Header=BB163_3 Depth=1
	ds_load_b64 v[46:47], v68 offset:2688
	ds_load_b64 v[48:49], v64 offset:40
	s_wait_dscnt 0x0
	v_dual_mul_f32 v0, v49, v47 :: v_dual_mul_f32 v3, v48, v47
	s_delay_alu instid0(VALU_DEP_1) | instskip(NEXT) | instid1(VALU_DEP_1)
	v_dual_fma_f32 v0, v48, v46, -v0 :: v_dual_fmac_f32 v3, v49, v46
	v_dual_add_f32 v44, v44, v0 :: v_dual_add_f32 v45, v45, v3
.LBB163_229:                            ;   in Loop: Header=BB163_3 Depth=1
	s_or_b32 exec_lo, exec_lo, s10
	s_and_saveexec_b32 s10, s13
	s_cbranch_execz .LBB163_231
; %bb.230:                              ;   in Loop: Header=BB163_3 Depth=1
	ds_load_b64 v[46:47], v68 offset:3200
	ds_load_b64 v[48:49], v64 offset:48
	s_wait_dscnt 0x0
	v_dual_mul_f32 v0, v49, v47 :: v_dual_mul_f32 v3, v48, v47
	s_delay_alu instid0(VALU_DEP_1) | instskip(NEXT) | instid1(VALU_DEP_1)
	v_dual_fma_f32 v0, v48, v46, -v0 :: v_dual_fmac_f32 v3, v49, v46
	v_dual_add_f32 v44, v44, v0 :: v_dual_add_f32 v45, v45, v3
.LBB163_231:                            ;   in Loop: Header=BB163_3 Depth=1
	s_or_b32 exec_lo, exec_lo, s10
	v_readlane_b32 s0, v93, 4
	s_and_saveexec_b32 s10, s0
	s_cbranch_execz .LBB163_233
; %bb.232:                              ;   in Loop: Header=BB163_3 Depth=1
	ds_load_b64 v[46:47], v68 offset:3712
	ds_load_b64 v[48:49], v64 offset:56
	s_wait_dscnt 0x0
	v_dual_mul_f32 v0, v49, v47 :: v_dual_mul_f32 v3, v48, v47
	s_delay_alu instid0(VALU_DEP_1) | instskip(NEXT) | instid1(VALU_DEP_1)
	v_dual_fma_f32 v0, v48, v46, -v0 :: v_dual_fmac_f32 v3, v49, v46
	v_dual_add_f32 v44, v44, v0 :: v_dual_add_f32 v45, v45, v3
.LBB163_233:                            ;   in Loop: Header=BB163_3 Depth=1
	s_or_b32 exec_lo, exec_lo, s10
	s_and_saveexec_b32 s10, s14
	s_cbranch_execz .LBB163_235
; %bb.234:                              ;   in Loop: Header=BB163_3 Depth=1
	ds_load_b64 v[46:47], v67 offset:4224
	ds_load_b64 v[48:49], v64 offset:64
	s_wait_dscnt 0x0
	v_dual_mul_f32 v0, v49, v47 :: v_dual_mul_f32 v3, v48, v47
	s_delay_alu instid0(VALU_DEP_1) | instskip(NEXT) | instid1(VALU_DEP_1)
	v_dual_fma_f32 v0, v48, v46, -v0 :: v_dual_fmac_f32 v3, v49, v46
	v_dual_add_f32 v44, v44, v0 :: v_dual_add_f32 v45, v45, v3
.LBB163_235:                            ;   in Loop: Header=BB163_3 Depth=1
	s_or_b32 exec_lo, exec_lo, s10
	v_readlane_b32 s0, v93, 5
	;; [unrolled: 25-line block ×3, first 2 shown]
	s_and_saveexec_b32 s10, s0
	s_cbranch_execnz .LBB163_1007
; %bb.240:                              ;   in Loop: Header=BB163_3 Depth=1
	s_or_b32 exec_lo, exec_lo, s10
	s_and_saveexec_b32 s10, s5
	s_cbranch_execnz .LBB163_1008
.LBB163_241:                            ;   in Loop: Header=BB163_3 Depth=1
	s_or_b32 exec_lo, exec_lo, s10
	s_and_saveexec_b32 s10, s20
	s_cbranch_execnz .LBB163_1009
.LBB163_242:                            ;   in Loop: Header=BB163_3 Depth=1
	s_or_b32 exec_lo, exec_lo, s10
	s_and_saveexec_b32 s10, s22
	s_cbranch_execnz .LBB163_1010
.LBB163_243:                            ;   in Loop: Header=BB163_3 Depth=1
	s_or_b32 exec_lo, exec_lo, s10
	s_and_saveexec_b32 s10, s4
	s_cbranch_execz .LBB163_245
.LBB163_244:                            ;   in Loop: Header=BB163_3 Depth=1
	ds_load_b64 v[46:47], v53 offset:7808
	ds_load_b64 v[48:49], v1 offset:120
	s_wait_dscnt 0x0
	v_dual_mul_f32 v0, v49, v47 :: v_dual_mul_f32 v85, v48, v47
	s_delay_alu instid0(VALU_DEP_1) | instskip(NEXT) | instid1(VALU_DEP_1)
	v_dual_fma_f32 v84, v48, v46, -v0 :: v_dual_fmac_f32 v85, v49, v46
	v_pk_add_f32 v[44:45], v[44:45], v[84:85]
.LBB163_245:                            ;   in Loop: Header=BB163_3 Depth=1
	s_or_b32 exec_lo, exec_lo, s10
	s_delay_alu instid0(VALU_DEP_1)
	v_pk_add_f32 v[44:45], v[44:45], 0 neg_lo:[1,1] neg_hi:[1,1]
.LBB163_246:                            ;   in Loop: Header=BB163_3 Depth=1
	s_or_b32 exec_lo, exec_lo, s66
	v_readlane_b32 s0, v94, 1
	s_and_saveexec_b32 s10, s0
; %bb.247:                              ;   in Loop: Header=BB163_3 Depth=1
	ds_store_b64 v66, v[44:45]
; %bb.248:                              ;   in Loop: Header=BB163_3 Depth=1
	s_or_b32 exec_lo, exec_lo, s10
	v_readlane_b32 s0, v94, 2
	s_wait_dscnt 0x0
	s_barrier_signal -1
	s_barrier_wait -1
	s_and_saveexec_b32 s10, s0
	s_cbranch_execz .LBB163_250
; %bb.249:                              ;   in Loop: Header=BB163_3 Depth=1
	ds_load_b64 v[46:47], v65 offset:8320
	ds_load_b64 v[48:49], v66
	s_wait_dscnt 0x0
	v_pk_mul_f32 v[84:85], v[48:49], v[46:47] op_sel:[1,1] op_sel_hi:[0,1]
	s_delay_alu instid0(VALU_DEP_1) | instskip(SKIP_1) | instid1(VALU_DEP_2)
	v_pk_fma_f32 v[86:87], v[48:49], v[46:47], v[84:85] op_sel_hi:[1,0,1]
	v_pk_fma_f32 v[46:47], v[48:49], v[46:47], v[84:85] neg_lo:[0,0,1] neg_hi:[0,0,1]
	v_mov_b32_e32 v47, v87
	s_delay_alu instid0(VALU_DEP_1)
	v_pk_add_f32 v[44:45], v[44:45], v[46:47]
.LBB163_250:                            ;   in Loop: Header=BB163_3 Depth=1
	s_or_b32 exec_lo, exec_lo, s10
	v_readlane_b32 s0, v94, 3
	s_barrier_signal -1
	s_barrier_wait -1
	s_and_saveexec_b32 s10, s0
; %bb.251:                              ;   in Loop: Header=BB163_3 Depth=1
	ds_store_b64 v66, v[44:45]
; %bb.252:                              ;   in Loop: Header=BB163_3 Depth=1
	s_or_b32 exec_lo, exec_lo, s10
	v_readlane_b32 s0, v94, 4
	s_wait_dscnt 0x0
	s_barrier_signal -1
	s_barrier_wait -1
	s_and_saveexec_b32 s10, s0
	s_cbranch_execz .LBB163_254
; %bb.253:                              ;   in Loop: Header=BB163_3 Depth=1
	ds_load_b64 v[46:47], v65 offset:8832
	ds_load_b64 v[48:49], v66
	s_wait_dscnt 0x0
	v_pk_mul_f32 v[84:85], v[48:49], v[46:47] op_sel:[1,1] op_sel_hi:[0,1]
	s_delay_alu instid0(VALU_DEP_1) | instskip(SKIP_1) | instid1(VALU_DEP_2)
	v_pk_fma_f32 v[86:87], v[48:49], v[46:47], v[84:85] op_sel_hi:[1,0,1]
	v_pk_fma_f32 v[46:47], v[48:49], v[46:47], v[84:85] neg_lo:[0,0,1] neg_hi:[0,0,1]
	v_mov_b32_e32 v47, v87
	s_delay_alu instid0(VALU_DEP_1)
	v_pk_add_f32 v[44:45], v[44:45], v[46:47]
.LBB163_254:                            ;   in Loop: Header=BB163_3 Depth=1
	s_or_b32 exec_lo, exec_lo, s10
	v_readlane_b32 s0, v94, 5
	s_barrier_signal -1
	s_barrier_wait -1
	;; [unrolled: 27-line block ×3, first 2 shown]
	s_and_saveexec_b32 s10, s0
; %bb.259:                              ;   in Loop: Header=BB163_3 Depth=1
	ds_store_b64 v66, v[44:45]
; %bb.260:                              ;   in Loop: Header=BB163_3 Depth=1
	s_or_b32 exec_lo, exec_lo, s10
	v_readlane_b32 s0, v94, 8
	s_wait_dscnt 0x0
	s_barrier_signal -1
	s_barrier_wait -1
	s_and_saveexec_b32 s10, s0
	s_cbranch_execz .LBB163_262
; %bb.261:                              ;   in Loop: Header=BB163_3 Depth=1
	ds_load_b64 v[46:47], v65 offset:9856
	ds_load_b64 v[48:49], v66
	s_wait_dscnt 0x0
	v_dual_mul_f32 v0, v49, v47 :: v_dual_mul_f32 v3, v48, v47
	s_delay_alu instid0(VALU_DEP_1) | instskip(NEXT) | instid1(VALU_DEP_1)
	v_dual_fma_f32 v0, v48, v46, -v0 :: v_dual_fmac_f32 v3, v49, v46
	v_dual_add_f32 v44, v44, v0 :: v_dual_add_f32 v45, v45, v3
.LBB163_262:                            ;   in Loop: Header=BB163_3 Depth=1
	s_or_b32 exec_lo, exec_lo, s10
	s_barrier_signal -1
	s_barrier_wait -1
	s_and_saveexec_b32 s10, s31
; %bb.263:                              ;   in Loop: Header=BB163_3 Depth=1
	ds_store_b64 v66, v[44:45]
; %bb.264:                              ;   in Loop: Header=BB163_3 Depth=1
	s_or_b32 exec_lo, exec_lo, s10
	s_wait_dscnt 0x0
	s_barrier_signal -1
	s_barrier_wait -1
	s_and_saveexec_b32 s10, s34
	s_cbranch_execz .LBB163_266
; %bb.265:                              ;   in Loop: Header=BB163_3 Depth=1
	ds_load_b64 v[46:47], v65 offset:10368
	ds_load_b64 v[48:49], v66
	s_wait_dscnt 0x0
	v_dual_mul_f32 v0, v49, v47 :: v_dual_mul_f32 v85, v48, v47
	s_delay_alu instid0(VALU_DEP_1) | instskip(NEXT) | instid1(VALU_DEP_1)
	v_dual_fma_f32 v84, v48, v46, -v0 :: v_dual_fmac_f32 v85, v49, v46
	v_pk_add_f32 v[44:45], v[44:45], v[84:85]
.LBB163_266:                            ;   in Loop: Header=BB163_3 Depth=1
	s_or_b32 exec_lo, exec_lo, s10
	s_barrier_signal -1
	s_barrier_wait -1
	s_and_saveexec_b32 s10, s36
; %bb.267:                              ;   in Loop: Header=BB163_3 Depth=1
	ds_store_b64 v66, v[44:45]
; %bb.268:                              ;   in Loop: Header=BB163_3 Depth=1
	s_or_b32 exec_lo, exec_lo, s10
	s_wait_dscnt 0x0
	s_barrier_signal -1
	s_barrier_wait -1
	s_and_saveexec_b32 s10, s40
	s_cbranch_execz .LBB163_270
; %bb.269:                              ;   in Loop: Header=BB163_3 Depth=1
	ds_load_b64 v[46:47], v65 offset:10880
	ds_load_b64 v[48:49], v66
	s_wait_dscnt 0x0
	v_pk_mul_f32 v[84:85], v[48:49], v[46:47] op_sel:[1,1] op_sel_hi:[0,1]
	s_delay_alu instid0(VALU_DEP_1) | instskip(SKIP_1) | instid1(VALU_DEP_2)
	v_pk_fma_f32 v[86:87], v[48:49], v[46:47], v[84:85] op_sel_hi:[1,0,1]
	v_pk_fma_f32 v[46:47], v[48:49], v[46:47], v[84:85] neg_lo:[0,0,1] neg_hi:[0,0,1]
	v_mov_b32_e32 v47, v87
	s_delay_alu instid0(VALU_DEP_1)
	v_pk_add_f32 v[44:45], v[44:45], v[46:47]
.LBB163_270:                            ;   in Loop: Header=BB163_3 Depth=1
	s_or_b32 exec_lo, exec_lo, s10
	s_barrier_signal -1
	s_barrier_wait -1
	s_and_saveexec_b32 s10, s41
; %bb.271:                              ;   in Loop: Header=BB163_3 Depth=1
	ds_store_b64 v66, v[44:45]
; %bb.272:                              ;   in Loop: Header=BB163_3 Depth=1
	s_or_b32 exec_lo, exec_lo, s10
	s_wait_dscnt 0x0
	s_barrier_signal -1
	s_barrier_wait -1
	s_and_saveexec_b32 s10, s42
	s_cbranch_execz .LBB163_274
; %bb.273:                              ;   in Loop: Header=BB163_3 Depth=1
	ds_load_b64 v[46:47], v65 offset:11392
	ds_load_b64 v[48:49], v66
	s_wait_dscnt 0x0
	v_pk_mul_f32 v[84:85], v[48:49], v[46:47] op_sel:[1,1] op_sel_hi:[0,1]
	s_delay_alu instid0(VALU_DEP_1) | instskip(SKIP_1) | instid1(VALU_DEP_2)
	v_pk_fma_f32 v[86:87], v[48:49], v[46:47], v[84:85] op_sel_hi:[1,0,1]
	v_pk_fma_f32 v[46:47], v[48:49], v[46:47], v[84:85] neg_lo:[0,0,1] neg_hi:[0,0,1]
	v_mov_b32_e32 v47, v87
	s_delay_alu instid0(VALU_DEP_1)
	v_pk_add_f32 v[44:45], v[44:45], v[46:47]
.LBB163_274:                            ;   in Loop: Header=BB163_3 Depth=1
	s_or_b32 exec_lo, exec_lo, s10
	s_barrier_signal -1
	s_barrier_wait -1
	s_and_saveexec_b32 s10, s86
; %bb.275:                              ;   in Loop: Header=BB163_3 Depth=1
	ds_store_b64 v66, v[44:45]
; %bb.276:                              ;   in Loop: Header=BB163_3 Depth=1
	s_or_b32 exec_lo, exec_lo, s10
	s_wait_dscnt 0x0
	s_barrier_signal -1
	s_barrier_wait -1
	s_and_saveexec_b32 s10, s87
	s_cbranch_execz .LBB163_278
; %bb.277:                              ;   in Loop: Header=BB163_3 Depth=1
	ds_load_b64 v[46:47], v65 offset:11904
	ds_load_b64 v[48:49], v66
	s_wait_dscnt 0x0
	v_pk_mul_f32 v[84:85], v[48:49], v[46:47] op_sel:[1,1] op_sel_hi:[0,1]
	s_delay_alu instid0(VALU_DEP_1) | instskip(SKIP_1) | instid1(VALU_DEP_2)
	v_pk_fma_f32 v[86:87], v[48:49], v[46:47], v[84:85] op_sel_hi:[1,0,1]
	v_pk_fma_f32 v[46:47], v[48:49], v[46:47], v[84:85] neg_lo:[0,0,1] neg_hi:[0,0,1]
	v_mov_b32_e32 v47, v87
	s_delay_alu instid0(VALU_DEP_1)
	v_pk_add_f32 v[44:45], v[44:45], v[46:47]
.LBB163_278:                            ;   in Loop: Header=BB163_3 Depth=1
	s_or_b32 exec_lo, exec_lo, s10
	s_barrier_signal -1
	s_barrier_wait -1
	s_and_saveexec_b32 s10, s80
; %bb.279:                              ;   in Loop: Header=BB163_3 Depth=1
	ds_store_b64 v66, v[44:45]
; %bb.280:                              ;   in Loop: Header=BB163_3 Depth=1
	s_or_b32 exec_lo, exec_lo, s10
	s_wait_dscnt 0x0
	s_barrier_signal -1
	s_barrier_wait -1
	s_and_saveexec_b32 s10, s81
	s_cbranch_execz .LBB163_282
; %bb.281:                              ;   in Loop: Header=BB163_3 Depth=1
	ds_load_b64 v[46:47], v65 offset:12416
	ds_load_b64 v[48:49], v66
	s_wait_dscnt 0x0
	v_pk_mul_f32 v[84:85], v[48:49], v[46:47] op_sel:[1,1] op_sel_hi:[0,1]
	s_delay_alu instid0(VALU_DEP_1) | instskip(SKIP_1) | instid1(VALU_DEP_2)
	v_pk_fma_f32 v[86:87], v[48:49], v[46:47], v[84:85] op_sel_hi:[1,0,1]
	v_pk_fma_f32 v[46:47], v[48:49], v[46:47], v[84:85] neg_lo:[0,0,1] neg_hi:[0,0,1]
	v_mov_b32_e32 v47, v87
	s_delay_alu instid0(VALU_DEP_1)
	v_pk_add_f32 v[44:45], v[44:45], v[46:47]
.LBB163_282:                            ;   in Loop: Header=BB163_3 Depth=1
	s_or_b32 exec_lo, exec_lo, s10
	s_barrier_signal -1
	s_barrier_wait -1
	s_and_saveexec_b32 s10, s25
; %bb.283:                              ;   in Loop: Header=BB163_3 Depth=1
	ds_store_b64 v66, v[44:45]
; %bb.284:                              ;   in Loop: Header=BB163_3 Depth=1
	s_or_b32 exec_lo, exec_lo, s10
	s_wait_dscnt 0x0
	s_barrier_signal -1
	s_barrier_wait -1
	s_and_saveexec_b32 s10, s27
	s_cbranch_execz .LBB163_286
; %bb.285:                              ;   in Loop: Header=BB163_3 Depth=1
	ds_load_b64 v[46:47], v65 offset:12928
	ds_load_b64 v[48:49], v66
	s_wait_dscnt 0x0
	v_dual_mul_f32 v0, v49, v47 :: v_dual_mul_f32 v3, v48, v47
	s_delay_alu instid0(VALU_DEP_1) | instskip(NEXT) | instid1(VALU_DEP_1)
	v_dual_fma_f32 v0, v48, v46, -v0 :: v_dual_fmac_f32 v3, v49, v46
	v_dual_add_f32 v44, v44, v0 :: v_dual_add_f32 v45, v45, v3
.LBB163_286:                            ;   in Loop: Header=BB163_3 Depth=1
	s_or_b32 exec_lo, exec_lo, s10
	s_barrier_signal -1
	s_barrier_wait -1
	s_and_saveexec_b32 s10, s29
; %bb.287:                              ;   in Loop: Header=BB163_3 Depth=1
	ds_store_b64 v66, v[44:45]
; %bb.288:                              ;   in Loop: Header=BB163_3 Depth=1
	s_or_b32 exec_lo, exec_lo, s10
	s_wait_dscnt 0x0
	s_barrier_signal -1
	s_barrier_wait -1
	s_and_saveexec_b32 s10, s33
	s_cbranch_execz .LBB163_290
; %bb.289:                              ;   in Loop: Header=BB163_3 Depth=1
	ds_load_b64 v[46:47], v65 offset:13440
	ds_load_b64 v[48:49], v66
	s_wait_dscnt 0x0
	v_dual_mul_f32 v0, v49, v47 :: v_dual_mul_f32 v85, v48, v47
	s_delay_alu instid0(VALU_DEP_1) | instskip(NEXT) | instid1(VALU_DEP_1)
	v_dual_fma_f32 v84, v48, v46, -v0 :: v_dual_fmac_f32 v85, v49, v46
	v_pk_add_f32 v[44:45], v[44:45], v[84:85]
.LBB163_290:                            ;   in Loop: Header=BB163_3 Depth=1
	s_or_b32 exec_lo, exec_lo, s10
	s_barrier_signal -1
	s_barrier_wait -1
	s_and_saveexec_b32 s10, s35
; %bb.291:                              ;   in Loop: Header=BB163_3 Depth=1
	ds_store_b64 v66, v[44:45]
; %bb.292:                              ;   in Loop: Header=BB163_3 Depth=1
	s_or_b32 exec_lo, exec_lo, s10
	s_wait_dscnt 0x0
	s_barrier_signal -1
	s_barrier_wait -1
	s_and_saveexec_b32 s10, s100
	s_cbranch_execz .LBB163_294
; %bb.293:                              ;   in Loop: Header=BB163_3 Depth=1
	ds_load_b64 v[46:47], v65 offset:13952
	ds_load_b64 v[48:49], v66
	s_wait_dscnt 0x0
	v_pk_mul_f32 v[84:85], v[48:49], v[46:47] op_sel:[1,1] op_sel_hi:[0,1]
	s_delay_alu instid0(VALU_DEP_1) | instskip(SKIP_1) | instid1(VALU_DEP_2)
	v_pk_fma_f32 v[86:87], v[48:49], v[46:47], v[84:85] op_sel_hi:[1,0,1]
	v_pk_fma_f32 v[46:47], v[48:49], v[46:47], v[84:85] neg_lo:[0,0,1] neg_hi:[0,0,1]
	v_mov_b32_e32 v47, v87
	s_delay_alu instid0(VALU_DEP_1)
	v_pk_add_f32 v[44:45], v[44:45], v[46:47]
.LBB163_294:                            ;   in Loop: Header=BB163_3 Depth=1
	s_or_b32 exec_lo, exec_lo, s10
	s_barrier_signal -1
	s_barrier_wait -1
	s_and_saveexec_b32 s10, s62
; %bb.295:                              ;   in Loop: Header=BB163_3 Depth=1
	ds_store_b64 v66, v[44:45]
; %bb.296:                              ;   in Loop: Header=BB163_3 Depth=1
	s_or_b32 exec_lo, exec_lo, s10
	s_wait_dscnt 0x0
	s_barrier_signal -1
	s_barrier_wait -1
	s_and_saveexec_b32 s10, s63
	s_cbranch_execz .LBB163_298
; %bb.297:                              ;   in Loop: Header=BB163_3 Depth=1
	ds_load_b64 v[46:47], v65 offset:14464
	ds_load_b64 v[48:49], v66
	s_wait_dscnt 0x0
	v_pk_mul_f32 v[84:85], v[48:49], v[46:47] op_sel:[1,1] op_sel_hi:[0,1]
	s_delay_alu instid0(VALU_DEP_1) | instskip(SKIP_1) | instid1(VALU_DEP_2)
	v_pk_fma_f32 v[86:87], v[48:49], v[46:47], v[84:85] op_sel_hi:[1,0,1]
	v_pk_fma_f32 v[46:47], v[48:49], v[46:47], v[84:85] neg_lo:[0,0,1] neg_hi:[0,0,1]
	v_mov_b32_e32 v47, v87
	s_delay_alu instid0(VALU_DEP_1)
	v_pk_add_f32 v[44:45], v[44:45], v[46:47]
.LBB163_298:                            ;   in Loop: Header=BB163_3 Depth=1
	s_or_b32 exec_lo, exec_lo, s10
	s_barrier_signal -1
	s_barrier_wait -1
	s_and_saveexec_b32 s10, s8
; %bb.299:                              ;   in Loop: Header=BB163_3 Depth=1
	ds_store_b64 v66, v[44:45]
; %bb.300:                              ;   in Loop: Header=BB163_3 Depth=1
	s_or_b32 exec_lo, exec_lo, s10
	s_wait_dscnt 0x0
	s_barrier_signal -1
	s_barrier_wait -1
	s_and_saveexec_b32 s10, s64
	s_cbranch_execz .LBB163_302
; %bb.301:                              ;   in Loop: Header=BB163_3 Depth=1
	ds_load_b64 v[46:47], v65 offset:14976
	ds_load_b64 v[48:49], v66
	s_wait_dscnt 0x0
	v_pk_mul_f32 v[84:85], v[48:49], v[46:47] op_sel:[1,1] op_sel_hi:[0,1]
	s_delay_alu instid0(VALU_DEP_1) | instskip(SKIP_1) | instid1(VALU_DEP_2)
	v_pk_fma_f32 v[86:87], v[48:49], v[46:47], v[84:85] op_sel_hi:[1,0,1]
	v_pk_fma_f32 v[46:47], v[48:49], v[46:47], v[84:85] neg_lo:[0,0,1] neg_hi:[0,0,1]
	v_mov_b32_e32 v47, v87
	s_delay_alu instid0(VALU_DEP_1)
	v_pk_add_f32 v[44:45], v[44:45], v[46:47]
.LBB163_302:                            ;   in Loop: Header=BB163_3 Depth=1
	s_or_b32 exec_lo, exec_lo, s10
	s_barrier_signal -1
	s_barrier_wait -1
	s_and_saveexec_b32 s10, s65
; %bb.303:                              ;   in Loop: Header=BB163_3 Depth=1
	ds_store_b64 v66, v[44:45]
; %bb.304:                              ;   in Loop: Header=BB163_3 Depth=1
	s_or_b32 exec_lo, exec_lo, s10
	s_wait_dscnt 0x0
	s_barrier_signal -1
	s_barrier_wait -1
	s_and_saveexec_b32 s10, s24
	s_cbranch_execz .LBB163_306
; %bb.305:                              ;   in Loop: Header=BB163_3 Depth=1
	ds_load_b64 v[46:47], v1 offset:15608
	ds_load_b64 v[48:49], v66
	s_wait_dscnt 0x0
	v_pk_mul_f32 v[84:85], v[48:49], v[46:47] op_sel:[1,1] op_sel_hi:[0,1]
	s_delay_alu instid0(VALU_DEP_1) | instskip(SKIP_1) | instid1(VALU_DEP_2)
	v_pk_fma_f32 v[86:87], v[48:49], v[46:47], v[84:85] op_sel_hi:[1,0,1]
	v_pk_fma_f32 v[46:47], v[48:49], v[46:47], v[84:85] neg_lo:[0,0,1] neg_hi:[0,0,1]
	v_mov_b32_e32 v47, v87
	s_delay_alu instid0(VALU_DEP_1)
	v_pk_add_f32 v[44:45], v[44:45], v[46:47]
.LBB163_306:                            ;   in Loop: Header=BB163_3 Depth=1
	s_or_b32 exec_lo, exec_lo, s10
	s_barrier_signal -1
	s_barrier_wait -1
	s_and_saveexec_b32 s10, s24
; %bb.307:                              ;   in Loop: Header=BB163_3 Depth=1
	ds_store_b64 v66, v[44:45]
; %bb.308:                              ;   in Loop: Header=BB163_3 Depth=1
	s_or_b32 exec_lo, exec_lo, s10
	s_wait_dscnt 0x0
	s_barrier_signal -1
	s_barrier_wait -1
	s_barrier_signal -1
	s_barrier_wait -1
	s_and_saveexec_b32 s10, s6
; %bb.309:                              ;   in Loop: Header=BB163_3 Depth=1
	v_pk_add_f32 v[44:45], v[44:45], 0 neg_lo:[1,1] neg_hi:[1,1]
	ds_store_b64 v67, v[44:45] offset:128
; %bb.310:                              ;   in Loop: Header=BB163_3 Depth=1
	s_or_b32 exec_lo, exec_lo, s10
	s_wait_dscnt 0x0
	s_barrier_signal -1
	s_barrier_wait -1
	s_barrier_signal -1
	s_barrier_wait -1
	s_and_saveexec_b32 s10, s12
; %bb.311:                              ;   in Loop: Header=BB163_3 Depth=1
	v_add_nc_u32_e64 v0, 0x2000, 0
	ds_store_2addr_b64 v0, v[38:39], v[38:39] offset0:16 offset1:81
; %bb.312:                              ;   in Loop: Header=BB163_3 Depth=1
	s_or_b32 exec_lo, exec_lo, s10
	v_mov_b64_e32 v[44:45], 0
	s_wait_dscnt 0x0
	s_barrier_signal -1
	s_barrier_wait -1
	s_and_saveexec_b32 s10, s3
	s_cbranch_execz .LBB163_316
; %bb.313:                              ;   in Loop: Header=BB163_3 Depth=1
	ds_load_b64 v[44:45], v51 offset:8336
	ds_load_b64 v[46:47], v52 offset:8320
	s_wait_dscnt 0x0
	v_pk_mul_f32 v[48:49], v[46:47], v[44:45] op_sel:[1,1] op_sel_hi:[0,1]
	s_delay_alu instid0(VALU_DEP_1) | instskip(SKIP_1) | instid1(VALU_DEP_2)
	v_pk_fma_f32 v[84:85], v[46:47], v[44:45], v[48:49] op_sel_hi:[1,0,1]
	v_pk_fma_f32 v[44:45], v[46:47], v[44:45], v[48:49] neg_lo:[0,0,1] neg_hi:[0,0,1]
	v_mov_b32_e32 v45, v85
	s_delay_alu instid0(VALU_DEP_1)
	v_pk_add_f32 v[44:45], v[44:45], 0 op_sel_hi:[1,0]
	s_and_saveexec_b32 s11, s16
	s_cbranch_execz .LBB163_315
; %bb.314:                              ;   in Loop: Header=BB163_3 Depth=1
	ds_load_b64 v[46:47], v53 offset:8848
	ds_load_b64 v[48:49], v1 offset:8328
	s_wait_dscnt 0x0
	v_pk_mul_f32 v[84:85], v[48:49], v[46:47] op_sel:[1,1] op_sel_hi:[0,1]
	s_delay_alu instid0(VALU_DEP_1) | instskip(SKIP_1) | instid1(VALU_DEP_2)
	v_pk_fma_f32 v[86:87], v[48:49], v[46:47], v[84:85] op_sel_hi:[1,0,1]
	v_pk_fma_f32 v[46:47], v[48:49], v[46:47], v[84:85] neg_lo:[0,0,1] neg_hi:[0,0,1]
	v_mov_b32_e32 v47, v87
	s_delay_alu instid0(VALU_DEP_1)
	v_pk_add_f32 v[44:45], v[44:45], v[46:47]
.LBB163_315:                            ;   in Loop: Header=BB163_3 Depth=1
	s_or_b32 exec_lo, exec_lo, s11
	s_delay_alu instid0(VALU_DEP_1)
	v_pk_add_f32 v[44:45], v[44:45], 0 neg_lo:[1,1] neg_hi:[1,1]
.LBB163_316:                            ;   in Loop: Header=BB163_3 Depth=1
	s_or_b32 exec_lo, exec_lo, s10
	s_and_saveexec_b32 s10, s103
; %bb.317:                              ;   in Loop: Header=BB163_3 Depth=1
	ds_store_b64 v50, v[44:45]
; %bb.318:                              ;   in Loop: Header=BB163_3 Depth=1
	s_or_b32 exec_lo, exec_lo, s10
	s_wait_dscnt 0x0
	s_barrier_signal -1
	s_barrier_wait -1
	s_and_saveexec_b32 s10, s104
	s_cbranch_execz .LBB163_320
; %bb.319:                              ;   in Loop: Header=BB163_3 Depth=1
	ds_load_b64 v[46:47], v1 offset:9368
	ds_load_b64 v[48:49], v50
	s_wait_dscnt 0x0
	v_pk_mul_f32 v[84:85], v[48:49], v[46:47] op_sel:[1,1] op_sel_hi:[0,1]
	s_delay_alu instid0(VALU_DEP_1) | instskip(SKIP_1) | instid1(VALU_DEP_2)
	v_pk_fma_f32 v[86:87], v[48:49], v[46:47], v[84:85] op_sel_hi:[1,0,1]
	v_pk_fma_f32 v[46:47], v[48:49], v[46:47], v[84:85] neg_lo:[0,0,1] neg_hi:[0,0,1]
	v_mov_b32_e32 v47, v87
	s_delay_alu instid0(VALU_DEP_1)
	v_pk_add_f32 v[44:45], v[44:45], v[46:47]
.LBB163_320:                            ;   in Loop: Header=BB163_3 Depth=1
	s_or_b32 exec_lo, exec_lo, s10
	s_barrier_signal -1
	s_barrier_wait -1
	s_and_saveexec_b32 s10, s104
; %bb.321:                              ;   in Loop: Header=BB163_3 Depth=1
	ds_store_b64 v50, v[44:45]
; %bb.322:                              ;   in Loop: Header=BB163_3 Depth=1
	s_or_b32 exec_lo, exec_lo, s10
	s_wait_dscnt 0x0
	s_barrier_signal -1
	s_barrier_wait -1
	s_barrier_signal -1
	s_barrier_wait -1
	s_and_saveexec_b32 s10, s3
; %bb.323:                              ;   in Loop: Header=BB163_3 Depth=1
	v_pk_add_f32 v[44:45], v[44:45], 0 neg_lo:[1,1] neg_hi:[1,1]
	ds_store_b64 v51, v[44:45] offset:8336
; %bb.324:                              ;   in Loop: Header=BB163_3 Depth=1
	s_or_b32 exec_lo, exec_lo, s10
	s_wait_dscnt 0x0
	s_barrier_signal -1
	s_barrier_wait -1
	s_barrier_signal -1
	s_barrier_wait -1
	s_and_saveexec_b32 s10, s12
; %bb.325:                              ;   in Loop: Header=BB163_3 Depth=1
	v_add_nc_u32_e64 v0, 0x2000, 0
	ds_store_2addr_b64 v0, v[38:39], v[38:39] offset0:146 offset1:211
; %bb.326:                              ;   in Loop: Header=BB163_3 Depth=1
	s_or_b32 exec_lo, exec_lo, s10
	v_mov_b64_e32 v[44:45], 0
	s_wait_dscnt 0x0
	s_barrier_signal -1
	s_barrier_wait -1
	s_and_saveexec_b32 s10, s4
	s_cbranch_execz .LBB163_332
; %bb.327:                              ;   in Loop: Header=BB163_3 Depth=1
	ds_load_b64 v[44:45], v57 offset:8352
	ds_load_b64 v[46:47], v54 offset:8320
	s_wait_dscnt 0x0
	v_dual_mul_f32 v0, v47, v45 :: v_dual_mul_f32 v3, v46, v45
	s_delay_alu instid0(VALU_DEP_1) | instskip(NEXT) | instid1(VALU_DEP_1)
	v_dual_fma_f32 v0, v46, v44, -v0 :: v_dual_fmac_f32 v3, v47, v44
	v_dual_add_f32 v44, 0, v0 :: v_dual_add_f32 v45, 0, v3
	s_and_saveexec_b32 s11, s17
	s_cbranch_execnz .LBB163_1011
; %bb.328:                              ;   in Loop: Header=BB163_3 Depth=1
	s_or_b32 exec_lo, exec_lo, s11
	s_and_saveexec_b32 s11, s18
	s_cbranch_execnz .LBB163_1012
.LBB163_329:                            ;   in Loop: Header=BB163_3 Depth=1
	s_or_b32 exec_lo, exec_lo, s11
	s_and_saveexec_b32 s11, s3
	s_cbranch_execz .LBB163_331
.LBB163_330:                            ;   in Loop: Header=BB163_3 Depth=1
	ds_load_b64 v[46:47], v53 offset:9888
	ds_load_b64 v[48:49], v1 offset:8344
	s_wait_dscnt 0x0
	v_dual_mul_f32 v0, v49, v47 :: v_dual_mul_f32 v85, v48, v47
	s_delay_alu instid0(VALU_DEP_1) | instskip(NEXT) | instid1(VALU_DEP_1)
	v_dual_fma_f32 v84, v48, v46, -v0 :: v_dual_fmac_f32 v85, v49, v46
	v_pk_add_f32 v[44:45], v[44:45], v[84:85]
.LBB163_331:                            ;   in Loop: Header=BB163_3 Depth=1
	s_or_b32 exec_lo, exec_lo, s11
	s_delay_alu instid0(VALU_DEP_1)
	v_pk_add_f32 v[44:45], v[44:45], 0 neg_lo:[1,1] neg_hi:[1,1]
.LBB163_332:                            ;   in Loop: Header=BB163_3 Depth=1
	s_or_b32 exec_lo, exec_lo, s10
	s_and_saveexec_b32 s10, vcc_hi
; %bb.333:                              ;   in Loop: Header=BB163_3 Depth=1
	ds_store_b64 v55, v[44:45]
; %bb.334:                              ;   in Loop: Header=BB163_3 Depth=1
	s_or_b32 exec_lo, exec_lo, s10
	s_wait_dscnt 0x0
	s_barrier_signal -1
	s_barrier_wait -1
	s_and_saveexec_b32 s10, s43
	s_cbranch_execz .LBB163_336
; %bb.335:                              ;   in Loop: Header=BB163_3 Depth=1
	ds_load_b64 v[46:47], v56 offset:10400
	ds_load_b64 v[48:49], v55
	s_wait_dscnt 0x0
	v_pk_mul_f32 v[84:85], v[48:49], v[46:47] op_sel:[1,1] op_sel_hi:[0,1]
	s_delay_alu instid0(VALU_DEP_1) | instskip(SKIP_1) | instid1(VALU_DEP_2)
	v_pk_fma_f32 v[86:87], v[48:49], v[46:47], v[84:85] op_sel_hi:[1,0,1]
	v_pk_fma_f32 v[46:47], v[48:49], v[46:47], v[84:85] neg_lo:[0,0,1] neg_hi:[0,0,1]
	v_mov_b32_e32 v47, v87
	s_delay_alu instid0(VALU_DEP_1)
	v_pk_add_f32 v[44:45], v[44:45], v[46:47]
.LBB163_336:                            ;   in Loop: Header=BB163_3 Depth=1
	s_or_b32 exec_lo, exec_lo, s10
	s_barrier_signal -1
	s_barrier_wait -1
	s_and_saveexec_b32 s10, s44
; %bb.337:                              ;   in Loop: Header=BB163_3 Depth=1
	ds_store_b64 v55, v[44:45]
; %bb.338:                              ;   in Loop: Header=BB163_3 Depth=1
	s_or_b32 exec_lo, exec_lo, s10
	s_wait_dscnt 0x0
	s_barrier_signal -1
	s_barrier_wait -1
	s_and_saveexec_b32 s10, s45
	s_cbranch_execz .LBB163_340
; %bb.339:                              ;   in Loop: Header=BB163_3 Depth=1
	ds_load_b64 v[46:47], v56 offset:10912
	ds_load_b64 v[48:49], v55
	s_wait_dscnt 0x0
	v_pk_mul_f32 v[84:85], v[48:49], v[46:47] op_sel:[1,1] op_sel_hi:[0,1]
	s_delay_alu instid0(VALU_DEP_1) | instskip(SKIP_1) | instid1(VALU_DEP_2)
	v_pk_fma_f32 v[86:87], v[48:49], v[46:47], v[84:85] op_sel_hi:[1,0,1]
	v_pk_fma_f32 v[46:47], v[48:49], v[46:47], v[84:85] neg_lo:[0,0,1] neg_hi:[0,0,1]
	v_mov_b32_e32 v47, v87
	s_delay_alu instid0(VALU_DEP_1)
	v_pk_add_f32 v[44:45], v[44:45], v[46:47]
.LBB163_340:                            ;   in Loop: Header=BB163_3 Depth=1
	s_or_b32 exec_lo, exec_lo, s10
	s_barrier_signal -1
	s_barrier_wait -1
	s_and_saveexec_b32 s10, s46
	;; [unrolled: 25-line block ×3, first 2 shown]
; %bb.345:                              ;   in Loop: Header=BB163_3 Depth=1
	ds_store_b64 v55, v[44:45]
; %bb.346:                              ;   in Loop: Header=BB163_3 Depth=1
	s_or_b32 exec_lo, exec_lo, s10
	s_wait_dscnt 0x0
	s_barrier_signal -1
	s_barrier_wait -1
	s_barrier_signal -1
	s_barrier_wait -1
	s_and_saveexec_b32 s10, s4
; %bb.347:                              ;   in Loop: Header=BB163_3 Depth=1
	v_pk_add_f32 v[44:45], v[44:45], 0 neg_lo:[1,1] neg_hi:[1,1]
	ds_store_b64 v57, v[44:45] offset:8352
; %bb.348:                              ;   in Loop: Header=BB163_3 Depth=1
	s_or_b32 exec_lo, exec_lo, s10
	s_wait_dscnt 0x0
	s_barrier_signal -1
	s_barrier_wait -1
	s_barrier_signal -1
	s_barrier_wait -1
	s_and_saveexec_b32 s10, s12
; %bb.349:                              ;   in Loop: Header=BB163_3 Depth=1
	v_add_nc_u32_e64 v0, 0x2800, 0
	ds_store_2addr_b64 v0, v[38:39], v[38:39] offset0:20 offset1:85
; %bb.350:                              ;   in Loop: Header=BB163_3 Depth=1
	s_or_b32 exec_lo, exec_lo, s10
	v_mov_b64_e32 v[44:45], 0
	s_wait_dscnt 0x0
	s_barrier_signal -1
	s_barrier_wait -1
	s_and_saveexec_b32 s10, s3
	s_cbranch_execz .LBB163_354
; %bb.351:                              ;   in Loop: Header=BB163_3 Depth=1
	ds_load_b64 v[44:45], v51 offset:10416
	ds_load_b64 v[46:47], v52 offset:10400
	s_wait_dscnt 0x0
	v_pk_mul_f32 v[48:49], v[46:47], v[44:45] op_sel:[1,1] op_sel_hi:[0,1]
	s_delay_alu instid0(VALU_DEP_1) | instskip(SKIP_1) | instid1(VALU_DEP_2)
	v_pk_fma_f32 v[84:85], v[46:47], v[44:45], v[48:49] op_sel_hi:[1,0,1]
	v_pk_fma_f32 v[44:45], v[46:47], v[44:45], v[48:49] neg_lo:[0,0,1] neg_hi:[0,0,1]
	v_mov_b32_e32 v45, v85
	s_delay_alu instid0(VALU_DEP_1)
	v_pk_add_f32 v[44:45], v[44:45], 0 op_sel_hi:[1,0]
	s_and_saveexec_b32 s11, s16
	s_cbranch_execz .LBB163_353
; %bb.352:                              ;   in Loop: Header=BB163_3 Depth=1
	ds_load_b64 v[46:47], v53 offset:10928
	ds_load_b64 v[48:49], v1 offset:10408
	s_wait_dscnt 0x0
	v_pk_mul_f32 v[84:85], v[48:49], v[46:47] op_sel:[1,1] op_sel_hi:[0,1]
	s_delay_alu instid0(VALU_DEP_1) | instskip(SKIP_1) | instid1(VALU_DEP_2)
	v_pk_fma_f32 v[86:87], v[48:49], v[46:47], v[84:85] op_sel_hi:[1,0,1]
	v_pk_fma_f32 v[46:47], v[48:49], v[46:47], v[84:85] neg_lo:[0,0,1] neg_hi:[0,0,1]
	v_mov_b32_e32 v47, v87
	s_delay_alu instid0(VALU_DEP_1)
	v_pk_add_f32 v[44:45], v[44:45], v[46:47]
.LBB163_353:                            ;   in Loop: Header=BB163_3 Depth=1
	s_or_b32 exec_lo, exec_lo, s11
	s_delay_alu instid0(VALU_DEP_1)
	v_pk_add_f32 v[44:45], v[44:45], 0 neg_lo:[1,1] neg_hi:[1,1]
.LBB163_354:                            ;   in Loop: Header=BB163_3 Depth=1
	s_or_b32 exec_lo, exec_lo, s10
	s_and_saveexec_b32 s10, s103
; %bb.355:                              ;   in Loop: Header=BB163_3 Depth=1
	ds_store_b64 v50, v[44:45]
; %bb.356:                              ;   in Loop: Header=BB163_3 Depth=1
	s_or_b32 exec_lo, exec_lo, s10
	s_wait_dscnt 0x0
	s_barrier_signal -1
	s_barrier_wait -1
	s_and_saveexec_b32 s10, s104
	s_cbranch_execz .LBB163_358
; %bb.357:                              ;   in Loop: Header=BB163_3 Depth=1
	ds_load_b64 v[46:47], v1 offset:11448
	ds_load_b64 v[48:49], v50
	s_wait_dscnt 0x0
	v_pk_mul_f32 v[84:85], v[48:49], v[46:47] op_sel:[1,1] op_sel_hi:[0,1]
	s_delay_alu instid0(VALU_DEP_1) | instskip(SKIP_1) | instid1(VALU_DEP_2)
	v_pk_fma_f32 v[86:87], v[48:49], v[46:47], v[84:85] op_sel_hi:[1,0,1]
	v_pk_fma_f32 v[46:47], v[48:49], v[46:47], v[84:85] neg_lo:[0,0,1] neg_hi:[0,0,1]
	v_mov_b32_e32 v47, v87
	s_delay_alu instid0(VALU_DEP_1)
	v_pk_add_f32 v[44:45], v[44:45], v[46:47]
.LBB163_358:                            ;   in Loop: Header=BB163_3 Depth=1
	s_or_b32 exec_lo, exec_lo, s10
	s_barrier_signal -1
	s_barrier_wait -1
	s_and_saveexec_b32 s10, s104
; %bb.359:                              ;   in Loop: Header=BB163_3 Depth=1
	ds_store_b64 v50, v[44:45]
; %bb.360:                              ;   in Loop: Header=BB163_3 Depth=1
	s_or_b32 exec_lo, exec_lo, s10
	s_wait_dscnt 0x0
	s_barrier_signal -1
	s_barrier_wait -1
	s_barrier_signal -1
	s_barrier_wait -1
	s_and_saveexec_b32 s10, s3
; %bb.361:                              ;   in Loop: Header=BB163_3 Depth=1
	v_pk_add_f32 v[44:45], v[44:45], 0 neg_lo:[1,1] neg_hi:[1,1]
	ds_store_b64 v51, v[44:45] offset:10416
; %bb.362:                              ;   in Loop: Header=BB163_3 Depth=1
	s_or_b32 exec_lo, exec_lo, s10
	s_wait_dscnt 0x0
	s_barrier_signal -1
	s_barrier_wait -1
	s_barrier_signal -1
	s_barrier_wait -1
	s_and_saveexec_b32 s10, s12
; %bb.363:                              ;   in Loop: Header=BB163_3 Depth=1
	v_add_nc_u32_e64 v0, 0x2800, 0
	ds_store_2addr_b64 v0, v[38:39], v[38:39] offset0:150 offset1:215
; %bb.364:                              ;   in Loop: Header=BB163_3 Depth=1
	s_or_b32 exec_lo, exec_lo, s10
	v_mov_b64_e32 v[44:45], 0
	s_wait_dscnt 0x0
	s_barrier_signal -1
	s_barrier_wait -1
	s_and_saveexec_b32 s10, s5
	s_cbranch_execz .LBB163_374
; %bb.365:                              ;   in Loop: Header=BB163_3 Depth=1
	ds_load_b64 v[44:45], v62 offset:8384
	ds_load_b64 v[46:47], v59 offset:8320
	s_wait_dscnt 0x0
	v_dual_mul_f32 v0, v47, v45 :: v_dual_mul_f32 v3, v46, v45
	s_delay_alu instid0(VALU_DEP_1) | instskip(NEXT) | instid1(VALU_DEP_1)
	v_dual_fma_f32 v0, v46, v44, -v0 :: v_dual_fmac_f32 v3, v47, v44
	v_dual_add_f32 v44, 0, v0 :: v_dual_add_f32 v45, 0, v3
	s_and_saveexec_b32 s11, s19
	s_cbranch_execnz .LBB163_1013
; %bb.366:                              ;   in Loop: Header=BB163_3 Depth=1
	s_or_b32 exec_lo, exec_lo, s11
	s_and_saveexec_b32 s11, s20
	s_cbranch_execnz .LBB163_1014
.LBB163_367:                            ;   in Loop: Header=BB163_3 Depth=1
	s_or_b32 exec_lo, exec_lo, s11
	s_and_saveexec_b32 s11, s21
	s_cbranch_execnz .LBB163_1015
.LBB163_368:                            ;   in Loop: Header=BB163_3 Depth=1
	s_or_b32 exec_lo, exec_lo, s11
	s_and_saveexec_b32 s11, s22
	s_cbranch_execnz .LBB163_1016
.LBB163_369:                            ;   in Loop: Header=BB163_3 Depth=1
	s_or_b32 exec_lo, exec_lo, s11
	s_and_saveexec_b32 s11, s23
	s_cbranch_execnz .LBB163_1017
.LBB163_370:                            ;   in Loop: Header=BB163_3 Depth=1
	s_or_b32 exec_lo, exec_lo, s11
	s_and_saveexec_b32 s11, s4
	s_cbranch_execnz .LBB163_1018
.LBB163_371:                            ;   in Loop: Header=BB163_3 Depth=1
	s_or_b32 exec_lo, exec_lo, s11
	s_and_saveexec_b32 s11, s18
	s_cbranch_execz .LBB163_373
.LBB163_372:                            ;   in Loop: Header=BB163_3 Depth=1
	ds_load_b64 v[46:47], v53 offset:11968
	ds_load_b64 v[48:49], v1 offset:8376
	s_wait_dscnt 0x0
	v_pk_mul_f32 v[84:85], v[48:49], v[46:47] op_sel:[1,1] op_sel_hi:[0,1]
	s_delay_alu instid0(VALU_DEP_1) | instskip(SKIP_1) | instid1(VALU_DEP_2)
	v_pk_fma_f32 v[86:87], v[48:49], v[46:47], v[84:85] op_sel_hi:[1,0,1]
	v_pk_fma_f32 v[46:47], v[48:49], v[46:47], v[84:85] neg_lo:[0,0,1] neg_hi:[0,0,1]
	v_mov_b32_e32 v47, v87
	s_delay_alu instid0(VALU_DEP_1)
	v_pk_add_f32 v[44:45], v[44:45], v[46:47]
.LBB163_373:                            ;   in Loop: Header=BB163_3 Depth=1
	s_or_b32 exec_lo, exec_lo, s11
	s_delay_alu instid0(VALU_DEP_1)
	v_pk_add_f32 v[44:45], v[44:45], 0 neg_lo:[1,1] neg_hi:[1,1]
.LBB163_374:                            ;   in Loop: Header=BB163_3 Depth=1
	s_or_b32 exec_lo, exec_lo, s10
	s_and_saveexec_b32 s10, s48
; %bb.375:                              ;   in Loop: Header=BB163_3 Depth=1
	ds_store_b64 v61, v[44:45]
; %bb.376:                              ;   in Loop: Header=BB163_3 Depth=1
	s_or_b32 exec_lo, exec_lo, s10
	s_wait_dscnt 0x0
	s_barrier_signal -1
	s_barrier_wait -1
	s_and_saveexec_b32 s10, s49
	s_cbranch_execz .LBB163_378
; %bb.377:                              ;   in Loop: Header=BB163_3 Depth=1
	ds_load_b64 v[46:47], v60 offset:12480
	ds_load_b64 v[48:49], v61
	s_wait_dscnt 0x0
	v_pk_mul_f32 v[84:85], v[48:49], v[46:47] op_sel:[1,1] op_sel_hi:[0,1]
	s_delay_alu instid0(VALU_DEP_1) | instskip(SKIP_1) | instid1(VALU_DEP_2)
	v_pk_fma_f32 v[86:87], v[48:49], v[46:47], v[84:85] op_sel_hi:[1,0,1]
	v_pk_fma_f32 v[46:47], v[48:49], v[46:47], v[84:85] neg_lo:[0,0,1] neg_hi:[0,0,1]
	v_mov_b32_e32 v47, v87
	s_delay_alu instid0(VALU_DEP_1)
	v_pk_add_f32 v[44:45], v[44:45], v[46:47]
.LBB163_378:                            ;   in Loop: Header=BB163_3 Depth=1
	s_or_b32 exec_lo, exec_lo, s10
	s_barrier_signal -1
	s_barrier_wait -1
	s_and_saveexec_b32 s10, s50
; %bb.379:                              ;   in Loop: Header=BB163_3 Depth=1
	ds_store_b64 v61, v[44:45]
; %bb.380:                              ;   in Loop: Header=BB163_3 Depth=1
	s_or_b32 exec_lo, exec_lo, s10
	s_wait_dscnt 0x0
	s_barrier_signal -1
	s_barrier_wait -1
	s_and_saveexec_b32 s10, s51
	s_cbranch_execz .LBB163_382
; %bb.381:                              ;   in Loop: Header=BB163_3 Depth=1
	ds_load_b64 v[46:47], v60 offset:12992
	ds_load_b64 v[48:49], v61
	s_wait_dscnt 0x0
	v_dual_mul_f32 v0, v49, v47 :: v_dual_mul_f32 v3, v48, v47
	s_delay_alu instid0(VALU_DEP_1) | instskip(NEXT) | instid1(VALU_DEP_1)
	v_dual_fma_f32 v0, v48, v46, -v0 :: v_dual_fmac_f32 v3, v49, v46
	v_dual_add_f32 v44, v44, v0 :: v_dual_add_f32 v45, v45, v3
.LBB163_382:                            ;   in Loop: Header=BB163_3 Depth=1
	s_or_b32 exec_lo, exec_lo, s10
	s_barrier_signal -1
	s_barrier_wait -1
	s_and_saveexec_b32 s10, s52
; %bb.383:                              ;   in Loop: Header=BB163_3 Depth=1
	ds_store_b64 v61, v[44:45]
; %bb.384:                              ;   in Loop: Header=BB163_3 Depth=1
	s_or_b32 exec_lo, exec_lo, s10
	s_wait_dscnt 0x0
	s_barrier_signal -1
	s_barrier_wait -1
	s_and_saveexec_b32 s10, s53
	s_cbranch_execz .LBB163_386
; %bb.385:                              ;   in Loop: Header=BB163_3 Depth=1
	ds_load_b64 v[46:47], v60 offset:13504
	ds_load_b64 v[48:49], v61
	s_wait_dscnt 0x0
	v_dual_mul_f32 v0, v49, v47 :: v_dual_mul_f32 v85, v48, v47
	s_delay_alu instid0(VALU_DEP_1) | instskip(NEXT) | instid1(VALU_DEP_1)
	v_dual_fma_f32 v84, v48, v46, -v0 :: v_dual_fmac_f32 v85, v49, v46
	v_pk_add_f32 v[44:45], v[44:45], v[84:85]
.LBB163_386:                            ;   in Loop: Header=BB163_3 Depth=1
	s_or_b32 exec_lo, exec_lo, s10
	s_barrier_signal -1
	s_barrier_wait -1
	s_and_saveexec_b32 s10, s54
; %bb.387:                              ;   in Loop: Header=BB163_3 Depth=1
	ds_store_b64 v61, v[44:45]
; %bb.388:                              ;   in Loop: Header=BB163_3 Depth=1
	s_or_b32 exec_lo, exec_lo, s10
	s_wait_dscnt 0x0
	s_barrier_signal -1
	s_barrier_wait -1
	s_and_saveexec_b32 s10, s55
	s_cbranch_execz .LBB163_390
; %bb.389:                              ;   in Loop: Header=BB163_3 Depth=1
	ds_load_b64 v[46:47], v60 offset:14016
	ds_load_b64 v[48:49], v61
	s_wait_dscnt 0x0
	v_pk_mul_f32 v[84:85], v[48:49], v[46:47] op_sel:[1,1] op_sel_hi:[0,1]
	s_delay_alu instid0(VALU_DEP_1) | instskip(SKIP_1) | instid1(VALU_DEP_2)
	v_pk_fma_f32 v[86:87], v[48:49], v[46:47], v[84:85] op_sel_hi:[1,0,1]
	v_pk_fma_f32 v[46:47], v[48:49], v[46:47], v[84:85] neg_lo:[0,0,1] neg_hi:[0,0,1]
	v_mov_b32_e32 v47, v87
	s_delay_alu instid0(VALU_DEP_1)
	v_pk_add_f32 v[44:45], v[44:45], v[46:47]
.LBB163_390:                            ;   in Loop: Header=BB163_3 Depth=1
	s_or_b32 exec_lo, exec_lo, s10
	s_barrier_signal -1
	s_barrier_wait -1
	s_and_saveexec_b32 s10, s56
; %bb.391:                              ;   in Loop: Header=BB163_3 Depth=1
	ds_store_b64 v61, v[44:45]
; %bb.392:                              ;   in Loop: Header=BB163_3 Depth=1
	s_or_b32 exec_lo, exec_lo, s10
	s_wait_dscnt 0x0
	s_barrier_signal -1
	s_barrier_wait -1
	s_and_saveexec_b32 s10, s57
	s_cbranch_execz .LBB163_394
; %bb.393:                              ;   in Loop: Header=BB163_3 Depth=1
	ds_load_b64 v[46:47], v60 offset:14528
	ds_load_b64 v[48:49], v61
	s_wait_dscnt 0x0
	v_pk_mul_f32 v[84:85], v[48:49], v[46:47] op_sel:[1,1] op_sel_hi:[0,1]
	s_delay_alu instid0(VALU_DEP_1) | instskip(SKIP_1) | instid1(VALU_DEP_2)
	v_pk_fma_f32 v[86:87], v[48:49], v[46:47], v[84:85] op_sel_hi:[1,0,1]
	v_pk_fma_f32 v[46:47], v[48:49], v[46:47], v[84:85] neg_lo:[0,0,1] neg_hi:[0,0,1]
	v_mov_b32_e32 v47, v87
	s_delay_alu instid0(VALU_DEP_1)
	v_pk_add_f32 v[44:45], v[44:45], v[46:47]
.LBB163_394:                            ;   in Loop: Header=BB163_3 Depth=1
	;; [unrolled: 25-line block ×4, first 2 shown]
	s_or_b32 exec_lo, exec_lo, s10
	s_barrier_signal -1
	s_barrier_wait -1
	s_and_saveexec_b32 s10, s61
; %bb.403:                              ;   in Loop: Header=BB163_3 Depth=1
	ds_store_b64 v61, v[44:45]
; %bb.404:                              ;   in Loop: Header=BB163_3 Depth=1
	s_or_b32 exec_lo, exec_lo, s10
	s_wait_dscnt 0x0
	s_barrier_signal -1
	s_barrier_wait -1
	s_barrier_signal -1
	s_barrier_wait -1
	s_and_saveexec_b32 s10, s5
; %bb.405:                              ;   in Loop: Header=BB163_3 Depth=1
	v_pk_add_f32 v[44:45], v[44:45], 0 neg_lo:[1,1] neg_hi:[1,1]
	ds_store_b64 v62, v[44:45] offset:8384
; %bb.406:                              ;   in Loop: Header=BB163_3 Depth=1
	s_or_b32 exec_lo, exec_lo, s10
	s_wait_dscnt 0x0
	s_barrier_signal -1
	s_barrier_wait -1
	s_barrier_signal -1
	s_barrier_wait -1
	s_and_saveexec_b32 s10, s12
; %bb.407:                              ;   in Loop: Header=BB163_3 Depth=1
	v_add_nc_u32_e64 v0, 0x3000, 0
	ds_store_2addr_b64 v0, v[38:39], v[38:39] offset0:24 offset1:89
; %bb.408:                              ;   in Loop: Header=BB163_3 Depth=1
	s_or_b32 exec_lo, exec_lo, s10
	v_mov_b64_e32 v[44:45], 0
	s_wait_dscnt 0x0
	s_barrier_signal -1
	s_barrier_wait -1
	s_and_saveexec_b32 s10, s3
	s_cbranch_execz .LBB163_412
; %bb.409:                              ;   in Loop: Header=BB163_3 Depth=1
	ds_load_b64 v[44:45], v51 offset:12496
	ds_load_b64 v[46:47], v52 offset:12480
	s_wait_dscnt 0x0
	v_pk_mul_f32 v[48:49], v[46:47], v[44:45] op_sel:[1,1] op_sel_hi:[0,1]
	s_delay_alu instid0(VALU_DEP_1) | instskip(SKIP_1) | instid1(VALU_DEP_2)
	v_pk_fma_f32 v[84:85], v[46:47], v[44:45], v[48:49] op_sel_hi:[1,0,1]
	v_pk_fma_f32 v[44:45], v[46:47], v[44:45], v[48:49] neg_lo:[0,0,1] neg_hi:[0,0,1]
	v_mov_b32_e32 v45, v85
	s_delay_alu instid0(VALU_DEP_1)
	v_pk_add_f32 v[44:45], v[44:45], 0 op_sel_hi:[1,0]
	s_and_saveexec_b32 s11, s16
	s_cbranch_execz .LBB163_411
; %bb.410:                              ;   in Loop: Header=BB163_3 Depth=1
	ds_load_b64 v[46:47], v53 offset:13008
	ds_load_b64 v[48:49], v1 offset:12488
	s_wait_dscnt 0x0
	v_pk_mul_f32 v[84:85], v[48:49], v[46:47] op_sel:[1,1] op_sel_hi:[0,1]
	s_delay_alu instid0(VALU_DEP_1) | instskip(SKIP_1) | instid1(VALU_DEP_2)
	v_pk_fma_f32 v[86:87], v[48:49], v[46:47], v[84:85] op_sel_hi:[1,0,1]
	v_pk_fma_f32 v[46:47], v[48:49], v[46:47], v[84:85] neg_lo:[0,0,1] neg_hi:[0,0,1]
	v_mov_b32_e32 v47, v87
	s_delay_alu instid0(VALU_DEP_1)
	v_pk_add_f32 v[44:45], v[44:45], v[46:47]
.LBB163_411:                            ;   in Loop: Header=BB163_3 Depth=1
	s_or_b32 exec_lo, exec_lo, s11
	s_delay_alu instid0(VALU_DEP_1)
	v_pk_add_f32 v[44:45], v[44:45], 0 neg_lo:[1,1] neg_hi:[1,1]
.LBB163_412:                            ;   in Loop: Header=BB163_3 Depth=1
	s_or_b32 exec_lo, exec_lo, s10
	s_and_saveexec_b32 s10, s103
; %bb.413:                              ;   in Loop: Header=BB163_3 Depth=1
	ds_store_b64 v50, v[44:45]
; %bb.414:                              ;   in Loop: Header=BB163_3 Depth=1
	s_or_b32 exec_lo, exec_lo, s10
	s_wait_dscnt 0x0
	s_barrier_signal -1
	s_barrier_wait -1
	s_and_saveexec_b32 s10, s104
	s_cbranch_execz .LBB163_416
; %bb.415:                              ;   in Loop: Header=BB163_3 Depth=1
	ds_load_b64 v[46:47], v1 offset:13528
	ds_load_b64 v[48:49], v50
	s_wait_dscnt 0x0
	v_pk_mul_f32 v[84:85], v[48:49], v[46:47] op_sel:[1,1] op_sel_hi:[0,1]
	s_delay_alu instid0(VALU_DEP_1) | instskip(SKIP_1) | instid1(VALU_DEP_2)
	v_pk_fma_f32 v[86:87], v[48:49], v[46:47], v[84:85] op_sel_hi:[1,0,1]
	v_pk_fma_f32 v[46:47], v[48:49], v[46:47], v[84:85] neg_lo:[0,0,1] neg_hi:[0,0,1]
	v_mov_b32_e32 v47, v87
	s_delay_alu instid0(VALU_DEP_1)
	v_pk_add_f32 v[44:45], v[44:45], v[46:47]
.LBB163_416:                            ;   in Loop: Header=BB163_3 Depth=1
	s_or_b32 exec_lo, exec_lo, s10
	s_barrier_signal -1
	s_barrier_wait -1
	s_and_saveexec_b32 s10, s104
; %bb.417:                              ;   in Loop: Header=BB163_3 Depth=1
	ds_store_b64 v50, v[44:45]
; %bb.418:                              ;   in Loop: Header=BB163_3 Depth=1
	s_or_b32 exec_lo, exec_lo, s10
	s_wait_dscnt 0x0
	s_barrier_signal -1
	s_barrier_wait -1
	s_barrier_signal -1
	s_barrier_wait -1
	s_and_saveexec_b32 s10, s3
; %bb.419:                              ;   in Loop: Header=BB163_3 Depth=1
	v_pk_add_f32 v[44:45], v[44:45], 0 neg_lo:[1,1] neg_hi:[1,1]
	ds_store_b64 v51, v[44:45] offset:12496
; %bb.420:                              ;   in Loop: Header=BB163_3 Depth=1
	s_or_b32 exec_lo, exec_lo, s10
	s_wait_dscnt 0x0
	s_barrier_signal -1
	s_barrier_wait -1
	s_barrier_signal -1
	s_barrier_wait -1
	s_and_saveexec_b32 s10, s12
; %bb.421:                              ;   in Loop: Header=BB163_3 Depth=1
	v_add_nc_u32_e64 v0, 0x3000, 0
	ds_store_2addr_b64 v0, v[38:39], v[38:39] offset0:154 offset1:219
; %bb.422:                              ;   in Loop: Header=BB163_3 Depth=1
	s_or_b32 exec_lo, exec_lo, s10
	v_mov_b64_e32 v[44:45], 0
	s_wait_dscnt 0x0
	s_barrier_signal -1
	s_barrier_wait -1
	s_and_saveexec_b32 s10, s4
	s_cbranch_execz .LBB163_428
; %bb.423:                              ;   in Loop: Header=BB163_3 Depth=1
	ds_load_b64 v[44:45], v57 offset:12512
	ds_load_b64 v[46:47], v54 offset:12480
	s_wait_dscnt 0x0
	v_dual_mul_f32 v0, v47, v45 :: v_dual_mul_f32 v3, v46, v45
	s_delay_alu instid0(VALU_DEP_1) | instskip(NEXT) | instid1(VALU_DEP_1)
	v_dual_fma_f32 v0, v46, v44, -v0 :: v_dual_fmac_f32 v3, v47, v44
	v_dual_add_f32 v44, 0, v0 :: v_dual_add_f32 v45, 0, v3
	s_and_saveexec_b32 s11, s17
	s_cbranch_execnz .LBB163_1019
; %bb.424:                              ;   in Loop: Header=BB163_3 Depth=1
	s_or_b32 exec_lo, exec_lo, s11
	s_and_saveexec_b32 s11, s18
	s_cbranch_execnz .LBB163_1020
.LBB163_425:                            ;   in Loop: Header=BB163_3 Depth=1
	s_or_b32 exec_lo, exec_lo, s11
	s_and_saveexec_b32 s11, s3
	s_cbranch_execz .LBB163_427
.LBB163_426:                            ;   in Loop: Header=BB163_3 Depth=1
	ds_load_b64 v[46:47], v53 offset:14048
	ds_load_b64 v[48:49], v1 offset:12504
	s_wait_dscnt 0x0
	v_dual_mul_f32 v0, v49, v47 :: v_dual_mul_f32 v85, v48, v47
	s_delay_alu instid0(VALU_DEP_1) | instskip(NEXT) | instid1(VALU_DEP_1)
	v_dual_fma_f32 v84, v48, v46, -v0 :: v_dual_fmac_f32 v85, v49, v46
	v_pk_add_f32 v[44:45], v[44:45], v[84:85]
.LBB163_427:                            ;   in Loop: Header=BB163_3 Depth=1
	s_or_b32 exec_lo, exec_lo, s11
	s_delay_alu instid0(VALU_DEP_1)
	v_pk_add_f32 v[44:45], v[44:45], 0 neg_lo:[1,1] neg_hi:[1,1]
.LBB163_428:                            ;   in Loop: Header=BB163_3 Depth=1
	s_or_b32 exec_lo, exec_lo, s10
	s_and_saveexec_b32 s10, vcc_hi
; %bb.429:                              ;   in Loop: Header=BB163_3 Depth=1
	ds_store_b64 v55, v[44:45]
; %bb.430:                              ;   in Loop: Header=BB163_3 Depth=1
	s_or_b32 exec_lo, exec_lo, s10
	s_wait_dscnt 0x0
	s_barrier_signal -1
	s_barrier_wait -1
	s_and_saveexec_b32 s10, s43
	s_cbranch_execz .LBB163_432
; %bb.431:                              ;   in Loop: Header=BB163_3 Depth=1
	ds_load_b64 v[46:47], v56 offset:14560
	ds_load_b64 v[48:49], v55
	s_wait_dscnt 0x0
	v_pk_mul_f32 v[84:85], v[48:49], v[46:47] op_sel:[1,1] op_sel_hi:[0,1]
	s_delay_alu instid0(VALU_DEP_1) | instskip(SKIP_1) | instid1(VALU_DEP_2)
	v_pk_fma_f32 v[86:87], v[48:49], v[46:47], v[84:85] op_sel_hi:[1,0,1]
	v_pk_fma_f32 v[46:47], v[48:49], v[46:47], v[84:85] neg_lo:[0,0,1] neg_hi:[0,0,1]
	v_mov_b32_e32 v47, v87
	s_delay_alu instid0(VALU_DEP_1)
	v_pk_add_f32 v[44:45], v[44:45], v[46:47]
.LBB163_432:                            ;   in Loop: Header=BB163_3 Depth=1
	s_or_b32 exec_lo, exec_lo, s10
	s_barrier_signal -1
	s_barrier_wait -1
	s_and_saveexec_b32 s10, s44
; %bb.433:                              ;   in Loop: Header=BB163_3 Depth=1
	ds_store_b64 v55, v[44:45]
; %bb.434:                              ;   in Loop: Header=BB163_3 Depth=1
	s_or_b32 exec_lo, exec_lo, s10
	s_wait_dscnt 0x0
	s_barrier_signal -1
	s_barrier_wait -1
	s_and_saveexec_b32 s10, s45
	s_cbranch_execz .LBB163_436
; %bb.435:                              ;   in Loop: Header=BB163_3 Depth=1
	ds_load_b64 v[46:47], v56 offset:15072
	ds_load_b64 v[48:49], v55
	s_wait_dscnt 0x0
	v_pk_mul_f32 v[84:85], v[48:49], v[46:47] op_sel:[1,1] op_sel_hi:[0,1]
	s_delay_alu instid0(VALU_DEP_1) | instskip(SKIP_1) | instid1(VALU_DEP_2)
	v_pk_fma_f32 v[86:87], v[48:49], v[46:47], v[84:85] op_sel_hi:[1,0,1]
	v_pk_fma_f32 v[46:47], v[48:49], v[46:47], v[84:85] neg_lo:[0,0,1] neg_hi:[0,0,1]
	v_mov_b32_e32 v47, v87
	s_delay_alu instid0(VALU_DEP_1)
	v_pk_add_f32 v[44:45], v[44:45], v[46:47]
.LBB163_436:                            ;   in Loop: Header=BB163_3 Depth=1
	s_or_b32 exec_lo, exec_lo, s10
	s_barrier_signal -1
	s_barrier_wait -1
	s_and_saveexec_b32 s10, s46
	;; [unrolled: 25-line block ×3, first 2 shown]
; %bb.441:                              ;   in Loop: Header=BB163_3 Depth=1
	ds_store_b64 v55, v[44:45]
; %bb.442:                              ;   in Loop: Header=BB163_3 Depth=1
	s_or_b32 exec_lo, exec_lo, s10
	s_wait_dscnt 0x0
	s_barrier_signal -1
	s_barrier_wait -1
	s_barrier_signal -1
	s_barrier_wait -1
	s_and_saveexec_b32 s10, s4
; %bb.443:                              ;   in Loop: Header=BB163_3 Depth=1
	v_pk_add_f32 v[44:45], v[44:45], 0 neg_lo:[1,1] neg_hi:[1,1]
	ds_store_b64 v57, v[44:45] offset:12512
; %bb.444:                              ;   in Loop: Header=BB163_3 Depth=1
	s_or_b32 exec_lo, exec_lo, s10
	s_wait_dscnt 0x0
	s_barrier_signal -1
	s_barrier_wait -1
	s_barrier_signal -1
	s_barrier_wait -1
	s_and_saveexec_b32 s10, s12
; %bb.445:                              ;   in Loop: Header=BB163_3 Depth=1
	v_add_nc_u32_e64 v0, 0x3800, 0
	ds_store_2addr_b64 v0, v[38:39], v[38:39] offset0:28 offset1:93
; %bb.446:                              ;   in Loop: Header=BB163_3 Depth=1
	s_or_b32 exec_lo, exec_lo, s10
	v_mov_b64_e32 v[44:45], 0
	s_wait_dscnt 0x0
	s_barrier_signal -1
	s_barrier_wait -1
	s_and_saveexec_b32 s10, s3
	s_cbranch_execz .LBB163_450
; %bb.447:                              ;   in Loop: Header=BB163_3 Depth=1
	ds_load_b64 v[44:45], v51 offset:14576
	ds_load_b64 v[46:47], v52 offset:14560
	s_wait_dscnt 0x0
	v_pk_mul_f32 v[48:49], v[46:47], v[44:45] op_sel:[1,1] op_sel_hi:[0,1]
	s_delay_alu instid0(VALU_DEP_1) | instskip(SKIP_1) | instid1(VALU_DEP_2)
	v_pk_fma_f32 v[84:85], v[46:47], v[44:45], v[48:49] op_sel_hi:[1,0,1]
	v_pk_fma_f32 v[44:45], v[46:47], v[44:45], v[48:49] neg_lo:[0,0,1] neg_hi:[0,0,1]
	v_mov_b32_e32 v45, v85
	s_delay_alu instid0(VALU_DEP_1)
	v_pk_add_f32 v[44:45], v[44:45], 0 op_sel_hi:[1,0]
	s_and_saveexec_b32 s11, s16
	s_cbranch_execz .LBB163_449
; %bb.448:                              ;   in Loop: Header=BB163_3 Depth=1
	ds_load_b64 v[46:47], v53 offset:15088
	ds_load_b64 v[48:49], v1 offset:14568
	s_wait_dscnt 0x0
	v_pk_mul_f32 v[84:85], v[48:49], v[46:47] op_sel:[1,1] op_sel_hi:[0,1]
	s_delay_alu instid0(VALU_DEP_1) | instskip(SKIP_1) | instid1(VALU_DEP_2)
	v_pk_fma_f32 v[86:87], v[48:49], v[46:47], v[84:85] op_sel_hi:[1,0,1]
	v_pk_fma_f32 v[46:47], v[48:49], v[46:47], v[84:85] neg_lo:[0,0,1] neg_hi:[0,0,1]
	v_mov_b32_e32 v47, v87
	s_delay_alu instid0(VALU_DEP_1)
	v_pk_add_f32 v[44:45], v[44:45], v[46:47]
.LBB163_449:                            ;   in Loop: Header=BB163_3 Depth=1
	s_or_b32 exec_lo, exec_lo, s11
	s_delay_alu instid0(VALU_DEP_1)
	v_pk_add_f32 v[44:45], v[44:45], 0 neg_lo:[1,1] neg_hi:[1,1]
.LBB163_450:                            ;   in Loop: Header=BB163_3 Depth=1
	s_or_b32 exec_lo, exec_lo, s10
	s_and_saveexec_b32 s10, s103
; %bb.451:                              ;   in Loop: Header=BB163_3 Depth=1
	ds_store_b64 v50, v[44:45]
; %bb.452:                              ;   in Loop: Header=BB163_3 Depth=1
	s_or_b32 exec_lo, exec_lo, s10
	s_wait_dscnt 0x0
	s_barrier_signal -1
	s_barrier_wait -1
	s_and_saveexec_b32 s10, s104
	s_cbranch_execz .LBB163_454
; %bb.453:                              ;   in Loop: Header=BB163_3 Depth=1
	ds_load_b64 v[46:47], v1 offset:15608
	ds_load_b64 v[48:49], v50
	s_wait_dscnt 0x0
	v_pk_mul_f32 v[84:85], v[48:49], v[46:47] op_sel:[1,1] op_sel_hi:[0,1]
	s_delay_alu instid0(VALU_DEP_1) | instskip(SKIP_1) | instid1(VALU_DEP_2)
	v_pk_fma_f32 v[86:87], v[48:49], v[46:47], v[84:85] op_sel_hi:[1,0,1]
	v_pk_fma_f32 v[46:47], v[48:49], v[46:47], v[84:85] neg_lo:[0,0,1] neg_hi:[0,0,1]
	v_mov_b32_e32 v47, v87
	s_delay_alu instid0(VALU_DEP_1)
	v_pk_add_f32 v[44:45], v[44:45], v[46:47]
.LBB163_454:                            ;   in Loop: Header=BB163_3 Depth=1
	s_or_b32 exec_lo, exec_lo, s10
	s_barrier_signal -1
	s_barrier_wait -1
	s_and_saveexec_b32 s10, s104
; %bb.455:                              ;   in Loop: Header=BB163_3 Depth=1
	ds_store_b64 v50, v[44:45]
; %bb.456:                              ;   in Loop: Header=BB163_3 Depth=1
	s_or_b32 exec_lo, exec_lo, s10
	s_wait_dscnt 0x0
	s_barrier_signal -1
	s_barrier_wait -1
	s_barrier_signal -1
	s_barrier_wait -1
	s_and_saveexec_b32 s10, s3
; %bb.457:                              ;   in Loop: Header=BB163_3 Depth=1
	v_pk_add_f32 v[44:45], v[44:45], 0 neg_lo:[1,1] neg_hi:[1,1]
	ds_store_b64 v51, v[44:45] offset:14576
; %bb.458:                              ;   in Loop: Header=BB163_3 Depth=1
	s_or_b32 exec_lo, exec_lo, s10
	s_wait_dscnt 0x0
	s_barrier_signal -1
	s_barrier_wait -1
	s_barrier_signal -1
	s_barrier_wait -1
	s_and_saveexec_b32 s10, s12
; %bb.459:                              ;   in Loop: Header=BB163_3 Depth=1
	v_add_nc_u32_e64 v0, 0x3800, 0
	ds_store_2addr_b64 v0, v[38:39], v[38:39] offset0:158 offset1:223
; %bb.460:                              ;   in Loop: Header=BB163_3 Depth=1
	s_or_b32 exec_lo, exec_lo, s10
	v_mov_b64_e32 v[44:45], 0
	s_wait_dscnt 0x0
	s_barrier_signal -1
	s_barrier_wait -1
	s_and_saveexec_b32 s66, s37
	s_cbranch_execz .LBB163_519
; %bb.461:                              ;   in Loop: Header=BB163_3 Depth=1
	v_dual_add_nc_u32 v3, v72, v71 :: v_dual_add_nc_u32 v0, v71, v70
	v_readlane_b32 s0, v93, 10
	ds_load_b64 v[44:45], v3 offset:256
	ds_load_b64 v[46:47], v0
	s_wait_dscnt 0x0
	v_pk_mul_f32 v[48:49], v[46:47], v[44:45] op_sel:[1,1] op_sel_hi:[0,1]
	s_delay_alu instid0(VALU_DEP_1) | instskip(SKIP_1) | instid1(VALU_DEP_2)
	v_pk_fma_f32 v[84:85], v[46:47], v[44:45], v[48:49] op_sel_hi:[1,0,1]
	v_pk_fma_f32 v[44:45], v[46:47], v[44:45], v[48:49] neg_lo:[0,0,1] neg_hi:[0,0,1]
	v_mov_b32_e32 v45, v85
	s_delay_alu instid0(VALU_DEP_1)
	v_pk_add_f32 v[44:45], v[44:45], 0 op_sel_hi:[1,0]
	s_and_saveexec_b32 s10, s0
	s_cbranch_execz .LBB163_463
; %bb.462:                              ;   in Loop: Header=BB163_3 Depth=1
	ds_load_b64 v[46:47], v3 offset:768
	ds_load_b64 v[48:49], v0 offset:8
	s_wait_dscnt 0x0
	v_pk_mul_f32 v[84:85], v[48:49], v[46:47] op_sel:[1,1] op_sel_hi:[0,1]
	s_delay_alu instid0(VALU_DEP_1) | instskip(SKIP_1) | instid1(VALU_DEP_2)
	v_pk_fma_f32 v[86:87], v[48:49], v[46:47], v[84:85] op_sel_hi:[1,0,1]
	v_pk_fma_f32 v[46:47], v[48:49], v[46:47], v[84:85] neg_lo:[0,0,1] neg_hi:[0,0,1]
	v_mov_b32_e32 v47, v87
	s_delay_alu instid0(VALU_DEP_1)
	v_pk_add_f32 v[44:45], v[44:45], v[46:47]
.LBB163_463:                            ;   in Loop: Header=BB163_3 Depth=1
	s_or_b32 exec_lo, exec_lo, s10
	v_readlane_b32 s0, v93, 11
	s_and_saveexec_b32 s10, s0
	s_cbranch_execz .LBB163_465
; %bb.464:                              ;   in Loop: Header=BB163_3 Depth=1
	ds_load_b64 v[46:47], v3 offset:1280
	ds_load_b64 v[48:49], v0 offset:16
	s_wait_dscnt 0x0
	v_pk_mul_f32 v[84:85], v[48:49], v[46:47] op_sel:[1,1] op_sel_hi:[0,1]
	s_delay_alu instid0(VALU_DEP_1) | instskip(SKIP_1) | instid1(VALU_DEP_2)
	v_pk_fma_f32 v[86:87], v[48:49], v[46:47], v[84:85] op_sel_hi:[1,0,1]
	v_pk_fma_f32 v[46:47], v[48:49], v[46:47], v[84:85] neg_lo:[0,0,1] neg_hi:[0,0,1]
	v_mov_b32_e32 v47, v87
	s_delay_alu instid0(VALU_DEP_1)
	v_pk_add_f32 v[44:45], v[44:45], v[46:47]
.LBB163_465:                            ;   in Loop: Header=BB163_3 Depth=1
	s_or_b32 exec_lo, exec_lo, s10
	v_readlane_b32 s0, v93, 12
	;; [unrolled: 16-line block ×22, first 2 shown]
	s_and_saveexec_b32 s10, s0
	s_cbranch_execz .LBB163_507
; %bb.506:                              ;   in Loop: Header=BB163_3 Depth=1
	ds_load_b64 v[46:47], v3 offset:12032
	ds_load_b64 v[48:49], v0 offset:184
	s_wait_dscnt 0x0
	v_pk_mul_f32 v[84:85], v[48:49], v[46:47] op_sel:[1,1] op_sel_hi:[0,1]
	s_delay_alu instid0(VALU_DEP_1) | instskip(SKIP_1) | instid1(VALU_DEP_2)
	v_pk_fma_f32 v[86:87], v[48:49], v[46:47], v[84:85] op_sel_hi:[1,0,1]
	v_pk_fma_f32 v[46:47], v[48:49], v[46:47], v[84:85] neg_lo:[0,0,1] neg_hi:[0,0,1]
	v_mov_b32_e32 v47, v87
	s_delay_alu instid0(VALU_DEP_1)
	v_pk_add_f32 v[44:45], v[44:45], v[46:47]
.LBB163_507:                            ;   in Loop: Header=BB163_3 Depth=1
	s_or_b32 exec_lo, exec_lo, s10
	s_and_saveexec_b32 s10, s6
	s_cbranch_execz .LBB163_509
; %bb.508:                              ;   in Loop: Header=BB163_3 Depth=1
	ds_load_b64 v[46:47], v3 offset:12544
	ds_load_b64 v[48:49], v0 offset:192
	s_wait_dscnt 0x0
	v_pk_mul_f32 v[84:85], v[48:49], v[46:47] op_sel:[1,1] op_sel_hi:[0,1]
	s_delay_alu instid0(VALU_DEP_1) | instskip(SKIP_1) | instid1(VALU_DEP_2)
	v_pk_fma_f32 v[86:87], v[48:49], v[46:47], v[84:85] op_sel_hi:[1,0,1]
	v_pk_fma_f32 v[46:47], v[48:49], v[46:47], v[84:85] neg_lo:[0,0,1] neg_hi:[0,0,1]
	v_mov_b32_e32 v47, v87
	s_delay_alu instid0(VALU_DEP_1)
	v_pk_add_f32 v[44:45], v[44:45], v[46:47]
.LBB163_509:                            ;   in Loop: Header=BB163_3 Depth=1
	s_or_b32 exec_lo, exec_lo, s10
	v_readlane_b32 s0, v94, 31
	s_and_saveexec_b32 s10, s0
	s_cbranch_execz .LBB163_511
; %bb.510:                              ;   in Loop: Header=BB163_3 Depth=1
	ds_load_b64 v[46:47], v3 offset:13056
	ds_load_b64 v[48:49], v0 offset:200
	s_wait_dscnt 0x0
	v_pk_mul_f32 v[84:85], v[48:49], v[46:47] op_sel:[1,1] op_sel_hi:[0,1]
	s_delay_alu instid0(VALU_DEP_1) | instskip(SKIP_1) | instid1(VALU_DEP_2)
	v_pk_fma_f32 v[86:87], v[48:49], v[46:47], v[84:85] op_sel_hi:[1,0,1]
	v_pk_fma_f32 v[46:47], v[48:49], v[46:47], v[84:85] neg_lo:[0,0,1] neg_hi:[0,0,1]
	v_mov_b32_e32 v47, v87
	s_delay_alu instid0(VALU_DEP_1)
	v_pk_add_f32 v[44:45], v[44:45], v[46:47]
.LBB163_511:                            ;   in Loop: Header=BB163_3 Depth=1
	s_or_b32 exec_lo, exec_lo, s10
	v_readlane_b32 s0, v93, 1
	s_and_saveexec_b32 s10, s0
	s_cbranch_execnz .LBB163_1021
; %bb.512:                              ;   in Loop: Header=BB163_3 Depth=1
	s_or_b32 exec_lo, exec_lo, s10
	s_and_saveexec_b32 s10, s13
	s_cbranch_execnz .LBB163_1022
.LBB163_513:                            ;   in Loop: Header=BB163_3 Depth=1
	s_or_b32 exec_lo, exec_lo, s10
	s_and_saveexec_b32 s10, s14
	s_cbranch_execnz .LBB163_1023
.LBB163_514:                            ;   in Loop: Header=BB163_3 Depth=1
	s_or_b32 exec_lo, exec_lo, s10
	s_and_saveexec_b32 s10, s15
	s_cbranch_execnz .LBB163_1024
.LBB163_515:                            ;   in Loop: Header=BB163_3 Depth=1
	s_or_b32 exec_lo, exec_lo, s10
	s_and_saveexec_b32 s10, s5
	s_cbranch_execnz .LBB163_1025
.LBB163_516:                            ;   in Loop: Header=BB163_3 Depth=1
	s_or_b32 exec_lo, exec_lo, s10
	s_and_saveexec_b32 s10, s22
	s_cbranch_execz .LBB163_518
.LBB163_517:                            ;   in Loop: Header=BB163_3 Depth=1
	ds_load_b64 v[46:47], v72 offset:16128
	ds_load_b64 v[48:49], v0 offset:248
	s_wait_dscnt 0x0
	v_pk_mul_f32 v[84:85], v[48:49], v[46:47] op_sel:[1,1] op_sel_hi:[0,1]
	s_delay_alu instid0(VALU_DEP_1) | instskip(SKIP_1) | instid1(VALU_DEP_2)
	v_pk_fma_f32 v[86:87], v[48:49], v[46:47], v[84:85] op_sel_hi:[1,0,1]
	v_pk_fma_f32 v[46:47], v[48:49], v[46:47], v[84:85] neg_lo:[0,0,1] neg_hi:[0,0,1]
	v_mov_b32_e32 v47, v87
	s_delay_alu instid0(VALU_DEP_1)
	v_pk_add_f32 v[44:45], v[44:45], v[46:47]
.LBB163_518:                            ;   in Loop: Header=BB163_3 Depth=1
	s_or_b32 exec_lo, exec_lo, s10
	s_delay_alu instid0(VALU_DEP_1)
	v_pk_add_f32 v[44:45], v[44:45], 0 neg_lo:[1,1] neg_hi:[1,1]
.LBB163_519:                            ;   in Loop: Header=BB163_3 Depth=1
	s_or_b32 exec_lo, exec_lo, s66
	v_dual_mov_b32 v0, v69 :: v_dual_mov_b32 v3, v83
	s_mov_b32 s10, 0
	s_branch .LBB163_521
.LBB163_520:                            ;   in Loop: Header=BB163_521 Depth=2
	s_or_b32 exec_lo, exec_lo, s11
	v_add_nc_u32_e32 v3, 0x800, v3
	v_add_nc_u32_e32 v0, -4, v0
	s_add_co_i32 s10, s10, 4
	s_delay_alu instid0(SALU_CYCLE_1)
	s_cmp_eq_u32 s10, 32
	s_barrier_signal -1
	s_barrier_wait -1
	s_cbranch_scc1 .LBB163_537
.LBB163_521:                            ;   Parent Loop BB163_3 Depth=1
                                        ; =>  This Inner Loop Header: Depth=2
	s_delay_alu instid0(VALU_DEP_1) | instskip(SKIP_1) | instid1(SALU_CYCLE_1)
	v_cmp_eq_u32_e32 vcc_lo, 0, v0
	s_and_b32 s66, s9, vcc_lo
	s_and_saveexec_b32 s11, s66
; %bb.522:                              ;   in Loop: Header=BB163_521 Depth=2
	ds_store_b64 v74, v[44:45]
; %bb.523:                              ;   in Loop: Header=BB163_521 Depth=2
	s_or_b32 exec_lo, exec_lo, s11
	v_cmp_lt_u32_e32 vcc_lo, s10, v69
	s_wait_dscnt 0x0
	s_barrier_signal -1
	s_barrier_wait -1
	s_and_b32 s66, s9, vcc_lo
	s_delay_alu instid0(SALU_CYCLE_1)
	s_and_saveexec_b32 s11, s66
	s_cbranch_execz .LBB163_525
; %bb.524:                              ;   in Loop: Header=BB163_521 Depth=2
	ds_load_b64 v[46:47], v3
	ds_load_b64 v[48:49], v74
	s_wait_dscnt 0x0
	v_pk_mul_f32 v[84:85], v[48:49], v[46:47] op_sel:[1,1] op_sel_hi:[0,1]
	s_delay_alu instid0(VALU_DEP_1) | instskip(SKIP_1) | instid1(VALU_DEP_2)
	v_pk_fma_f32 v[86:87], v[48:49], v[46:47], v[84:85] op_sel_hi:[1,0,1]
	v_pk_fma_f32 v[46:47], v[48:49], v[46:47], v[84:85] neg_lo:[0,0,1] neg_hi:[0,0,1]
	v_mov_b32_e32 v47, v87
	s_delay_alu instid0(VALU_DEP_1)
	v_pk_add_f32 v[44:45], v[44:45], v[46:47]
.LBB163_525:                            ;   in Loop: Header=BB163_521 Depth=2
	s_or_b32 exec_lo, exec_lo, s11
	s_or_b32 s11, s10, 1
	s_delay_alu instid0(SALU_CYCLE_1) | instskip(SKIP_3) | instid1(SALU_CYCLE_1)
	v_cmp_eq_u32_e32 vcc_lo, s11, v69
	s_barrier_signal -1
	s_barrier_wait -1
	s_and_b32 s96, s9, vcc_lo
	s_and_saveexec_b32 s66, s96
; %bb.526:                              ;   in Loop: Header=BB163_521 Depth=2
	ds_store_b64 v74, v[44:45]
; %bb.527:                              ;   in Loop: Header=BB163_521 Depth=2
	s_or_b32 exec_lo, exec_lo, s66
	v_cmp_lt_u32_e32 vcc_lo, s11, v69
	s_wait_dscnt 0x0
	s_barrier_signal -1
	s_barrier_wait -1
	s_and_b32 s66, s9, vcc_lo
	s_delay_alu instid0(SALU_CYCLE_1)
	s_and_saveexec_b32 s11, s66
	s_cbranch_execz .LBB163_529
; %bb.528:                              ;   in Loop: Header=BB163_521 Depth=2
	ds_load_b64 v[46:47], v3 offset:512
	ds_load_b64 v[48:49], v74
	s_wait_dscnt 0x0
	v_pk_mul_f32 v[84:85], v[48:49], v[46:47] op_sel:[1,1] op_sel_hi:[0,1]
	s_delay_alu instid0(VALU_DEP_1) | instskip(SKIP_1) | instid1(VALU_DEP_2)
	v_pk_fma_f32 v[86:87], v[48:49], v[46:47], v[84:85] op_sel_hi:[1,0,1]
	v_pk_fma_f32 v[46:47], v[48:49], v[46:47], v[84:85] neg_lo:[0,0,1] neg_hi:[0,0,1]
	v_mov_b32_e32 v47, v87
	s_delay_alu instid0(VALU_DEP_1)
	v_pk_add_f32 v[44:45], v[44:45], v[46:47]
.LBB163_529:                            ;   in Loop: Header=BB163_521 Depth=2
	s_or_b32 exec_lo, exec_lo, s11
	s_or_b32 s11, s10, 2
	s_delay_alu instid0(SALU_CYCLE_1) | instskip(SKIP_3) | instid1(SALU_CYCLE_1)
	v_cmp_eq_u32_e32 vcc_lo, s11, v69
	s_barrier_signal -1
	s_barrier_wait -1
	s_and_b32 s96, s9, vcc_lo
	s_and_saveexec_b32 s66, s96
; %bb.530:                              ;   in Loop: Header=BB163_521 Depth=2
	ds_store_b64 v74, v[44:45]
; %bb.531:                              ;   in Loop: Header=BB163_521 Depth=2
	s_or_b32 exec_lo, exec_lo, s66
	v_cmp_lt_u32_e32 vcc_lo, s11, v69
	s_wait_dscnt 0x0
	s_barrier_signal -1
	s_barrier_wait -1
	s_and_b32 s66, s9, vcc_lo
	s_delay_alu instid0(SALU_CYCLE_1)
	s_and_saveexec_b32 s11, s66
	s_cbranch_execz .LBB163_533
; %bb.532:                              ;   in Loop: Header=BB163_521 Depth=2
	ds_load_b64 v[46:47], v3 offset:1024
	ds_load_b64 v[48:49], v74
	s_wait_dscnt 0x0
	v_pk_mul_f32 v[84:85], v[48:49], v[46:47] op_sel:[1,1] op_sel_hi:[0,1]
	s_delay_alu instid0(VALU_DEP_1) | instskip(SKIP_1) | instid1(VALU_DEP_2)
	v_pk_fma_f32 v[86:87], v[48:49], v[46:47], v[84:85] op_sel_hi:[1,0,1]
	v_pk_fma_f32 v[46:47], v[48:49], v[46:47], v[84:85] neg_lo:[0,0,1] neg_hi:[0,0,1]
	v_mov_b32_e32 v47, v87
	s_delay_alu instid0(VALU_DEP_1)
	v_pk_add_f32 v[44:45], v[44:45], v[46:47]
.LBB163_533:                            ;   in Loop: Header=BB163_521 Depth=2
	s_or_b32 exec_lo, exec_lo, s11
	s_or_b32 s11, s10, 3
	s_delay_alu instid0(SALU_CYCLE_1) | instskip(SKIP_3) | instid1(SALU_CYCLE_1)
	v_cmp_eq_u32_e32 vcc_lo, s11, v69
	s_barrier_signal -1
	s_barrier_wait -1
	s_and_b32 s96, s9, vcc_lo
	s_and_saveexec_b32 s66, s96
; %bb.534:                              ;   in Loop: Header=BB163_521 Depth=2
	ds_store_b64 v74, v[44:45]
; %bb.535:                              ;   in Loop: Header=BB163_521 Depth=2
	s_or_b32 exec_lo, exec_lo, s66
	v_cmp_lt_u32_e32 vcc_lo, s11, v69
	s_wait_dscnt 0x0
	s_barrier_signal -1
	s_barrier_wait -1
	s_and_b32 s66, s9, vcc_lo
	s_delay_alu instid0(SALU_CYCLE_1)
	s_and_saveexec_b32 s11, s66
	s_cbranch_execz .LBB163_520
; %bb.536:                              ;   in Loop: Header=BB163_521 Depth=2
	ds_load_b64 v[46:47], v3 offset:1536
	ds_load_b64 v[48:49], v74
	s_wait_dscnt 0x0
	v_pk_mul_f32 v[84:85], v[48:49], v[46:47] op_sel:[1,1] op_sel_hi:[0,1]
	s_delay_alu instid0(VALU_DEP_1) | instskip(SKIP_1) | instid1(VALU_DEP_2)
	v_pk_fma_f32 v[86:87], v[48:49], v[46:47], v[84:85] op_sel_hi:[1,0,1]
	v_pk_fma_f32 v[46:47], v[48:49], v[46:47], v[84:85] neg_lo:[0,0,1] neg_hi:[0,0,1]
	v_mov_b32_e32 v47, v87
	s_delay_alu instid0(VALU_DEP_1)
	v_pk_add_f32 v[44:45], v[44:45], v[46:47]
	s_branch .LBB163_520
.LBB163_537:                            ;   in Loop: Header=BB163_3 Depth=1
	s_and_saveexec_b32 s10, s37
; %bb.538:                              ;   in Loop: Header=BB163_3 Depth=1
	v_pk_add_f32 v[44:45], v[44:45], 0 neg_lo:[1,1] neg_hi:[1,1]
	ds_store_b64 v75, v[44:45] offset:256
; %bb.539:                              ;   in Loop: Header=BB163_3 Depth=1
	s_or_b32 exec_lo, exec_lo, s10
	s_wait_dscnt 0x0
	s_barrier_signal -1
	s_barrier_wait -1
	s_barrier_signal -1
	s_barrier_wait -1
	s_and_saveexec_b32 s10, s12
; %bb.540:                              ;   in Loop: Header=BB163_3 Depth=1
	v_add_nc_u32_e64 v0, 0x4000, 0
	ds_store_2addr_b64 v0, v[38:39], v[38:39] offset0:32 offset1:97
; %bb.541:                              ;   in Loop: Header=BB163_3 Depth=1
	s_or_b32 exec_lo, exec_lo, s10
	v_mov_b64_e32 v[44:45], 0
	s_wait_dscnt 0x0
	s_barrier_signal -1
	s_barrier_wait -1
	s_and_saveexec_b32 s10, s3
	s_cbranch_execz .LBB163_545
; %bb.542:                              ;   in Loop: Header=BB163_3 Depth=1
	ds_load_b64 v[44:45], v51 offset:16656
	ds_load_b64 v[46:47], v52 offset:16640
	s_wait_dscnt 0x0
	v_pk_mul_f32 v[48:49], v[46:47], v[44:45] op_sel:[1,1] op_sel_hi:[0,1]
	s_delay_alu instid0(VALU_DEP_1) | instskip(SKIP_1) | instid1(VALU_DEP_2)
	v_pk_fma_f32 v[84:85], v[46:47], v[44:45], v[48:49] op_sel_hi:[1,0,1]
	v_pk_fma_f32 v[44:45], v[46:47], v[44:45], v[48:49] neg_lo:[0,0,1] neg_hi:[0,0,1]
	v_mov_b32_e32 v45, v85
	s_delay_alu instid0(VALU_DEP_1)
	v_pk_add_f32 v[44:45], v[44:45], 0 op_sel_hi:[1,0]
	s_and_saveexec_b32 s11, s16
	s_cbranch_execz .LBB163_544
; %bb.543:                              ;   in Loop: Header=BB163_3 Depth=1
	ds_load_b64 v[46:47], v53 offset:17168
	ds_load_b64 v[48:49], v1 offset:16648
	s_wait_dscnt 0x0
	v_pk_mul_f32 v[84:85], v[48:49], v[46:47] op_sel:[1,1] op_sel_hi:[0,1]
	s_delay_alu instid0(VALU_DEP_1) | instskip(SKIP_1) | instid1(VALU_DEP_2)
	v_pk_fma_f32 v[86:87], v[48:49], v[46:47], v[84:85] op_sel_hi:[1,0,1]
	v_pk_fma_f32 v[46:47], v[48:49], v[46:47], v[84:85] neg_lo:[0,0,1] neg_hi:[0,0,1]
	v_mov_b32_e32 v47, v87
	s_delay_alu instid0(VALU_DEP_1)
	v_pk_add_f32 v[44:45], v[44:45], v[46:47]
.LBB163_544:                            ;   in Loop: Header=BB163_3 Depth=1
	s_or_b32 exec_lo, exec_lo, s11
	s_delay_alu instid0(VALU_DEP_1)
	v_pk_add_f32 v[44:45], v[44:45], 0 neg_lo:[1,1] neg_hi:[1,1]
.LBB163_545:                            ;   in Loop: Header=BB163_3 Depth=1
	s_or_b32 exec_lo, exec_lo, s10
	s_and_saveexec_b32 s10, s103
; %bb.546:                              ;   in Loop: Header=BB163_3 Depth=1
	ds_store_b64 v50, v[44:45]
; %bb.547:                              ;   in Loop: Header=BB163_3 Depth=1
	s_or_b32 exec_lo, exec_lo, s10
	s_wait_dscnt 0x0
	s_barrier_signal -1
	s_barrier_wait -1
	s_and_saveexec_b32 s10, s104
	s_cbranch_execz .LBB163_549
; %bb.548:                              ;   in Loop: Header=BB163_3 Depth=1
	ds_load_b64 v[46:47], v1 offset:17688
	ds_load_b64 v[48:49], v50
	s_wait_dscnt 0x0
	v_pk_mul_f32 v[84:85], v[48:49], v[46:47] op_sel:[1,1] op_sel_hi:[0,1]
	s_delay_alu instid0(VALU_DEP_1) | instskip(SKIP_1) | instid1(VALU_DEP_2)
	v_pk_fma_f32 v[86:87], v[48:49], v[46:47], v[84:85] op_sel_hi:[1,0,1]
	v_pk_fma_f32 v[46:47], v[48:49], v[46:47], v[84:85] neg_lo:[0,0,1] neg_hi:[0,0,1]
	v_mov_b32_e32 v47, v87
	s_delay_alu instid0(VALU_DEP_1)
	v_pk_add_f32 v[44:45], v[44:45], v[46:47]
.LBB163_549:                            ;   in Loop: Header=BB163_3 Depth=1
	s_or_b32 exec_lo, exec_lo, s10
	s_barrier_signal -1
	s_barrier_wait -1
	s_and_saveexec_b32 s10, s104
; %bb.550:                              ;   in Loop: Header=BB163_3 Depth=1
	ds_store_b64 v50, v[44:45]
; %bb.551:                              ;   in Loop: Header=BB163_3 Depth=1
	s_or_b32 exec_lo, exec_lo, s10
	s_wait_dscnt 0x0
	s_barrier_signal -1
	s_barrier_wait -1
	s_barrier_signal -1
	s_barrier_wait -1
	s_and_saveexec_b32 s10, s3
; %bb.552:                              ;   in Loop: Header=BB163_3 Depth=1
	v_pk_add_f32 v[44:45], v[44:45], 0 neg_lo:[1,1] neg_hi:[1,1]
	ds_store_b64 v51, v[44:45] offset:16656
; %bb.553:                              ;   in Loop: Header=BB163_3 Depth=1
	s_or_b32 exec_lo, exec_lo, s10
	s_wait_dscnt 0x0
	s_barrier_signal -1
	s_barrier_wait -1
	s_barrier_signal -1
	s_barrier_wait -1
	s_and_saveexec_b32 s10, s12
; %bb.554:                              ;   in Loop: Header=BB163_3 Depth=1
	v_add_nc_u32_e64 v0, 0x4000, 0
	ds_store_2addr_b64 v0, v[38:39], v[38:39] offset0:162 offset1:227
; %bb.555:                              ;   in Loop: Header=BB163_3 Depth=1
	s_or_b32 exec_lo, exec_lo, s10
	v_mov_b64_e32 v[44:45], 0
	s_wait_dscnt 0x0
	s_barrier_signal -1
	s_barrier_wait -1
	s_and_saveexec_b32 s10, s4
	s_cbranch_execz .LBB163_561
; %bb.556:                              ;   in Loop: Header=BB163_3 Depth=1
	ds_load_b64 v[44:45], v57 offset:16672
	ds_load_b64 v[46:47], v54 offset:16640
	s_wait_dscnt 0x0
	v_dual_mul_f32 v0, v47, v45 :: v_dual_mul_f32 v3, v46, v45
	s_delay_alu instid0(VALU_DEP_1) | instskip(NEXT) | instid1(VALU_DEP_1)
	v_dual_fma_f32 v0, v46, v44, -v0 :: v_dual_fmac_f32 v3, v47, v44
	v_dual_add_f32 v44, 0, v0 :: v_dual_add_f32 v45, 0, v3
	s_and_saveexec_b32 s11, s17
	s_cbranch_execnz .LBB163_1026
; %bb.557:                              ;   in Loop: Header=BB163_3 Depth=1
	s_or_b32 exec_lo, exec_lo, s11
	s_and_saveexec_b32 s11, s18
	s_cbranch_execnz .LBB163_1027
.LBB163_558:                            ;   in Loop: Header=BB163_3 Depth=1
	s_or_b32 exec_lo, exec_lo, s11
	s_and_saveexec_b32 s11, s3
	s_cbranch_execz .LBB163_560
.LBB163_559:                            ;   in Loop: Header=BB163_3 Depth=1
	ds_load_b64 v[46:47], v53 offset:18208
	ds_load_b64 v[48:49], v1 offset:16664
	s_wait_dscnt 0x0
	v_dual_mul_f32 v0, v49, v47 :: v_dual_mul_f32 v85, v48, v47
	s_delay_alu instid0(VALU_DEP_1) | instskip(NEXT) | instid1(VALU_DEP_1)
	v_dual_fma_f32 v84, v48, v46, -v0 :: v_dual_fmac_f32 v85, v49, v46
	v_pk_add_f32 v[44:45], v[44:45], v[84:85]
.LBB163_560:                            ;   in Loop: Header=BB163_3 Depth=1
	s_or_b32 exec_lo, exec_lo, s11
	s_delay_alu instid0(VALU_DEP_1)
	v_pk_add_f32 v[44:45], v[44:45], 0 neg_lo:[1,1] neg_hi:[1,1]
.LBB163_561:                            ;   in Loop: Header=BB163_3 Depth=1
	s_or_b32 exec_lo, exec_lo, s10
	s_and_saveexec_b32 s10, vcc_hi
; %bb.562:                              ;   in Loop: Header=BB163_3 Depth=1
	ds_store_b64 v55, v[44:45]
; %bb.563:                              ;   in Loop: Header=BB163_3 Depth=1
	s_or_b32 exec_lo, exec_lo, s10
	s_wait_dscnt 0x0
	s_barrier_signal -1
	s_barrier_wait -1
	s_and_saveexec_b32 s10, s43
	s_cbranch_execz .LBB163_565
; %bb.564:                              ;   in Loop: Header=BB163_3 Depth=1
	ds_load_b64 v[46:47], v56 offset:18720
	ds_load_b64 v[48:49], v55
	s_wait_dscnt 0x0
	v_pk_mul_f32 v[84:85], v[48:49], v[46:47] op_sel:[1,1] op_sel_hi:[0,1]
	s_delay_alu instid0(VALU_DEP_1) | instskip(SKIP_1) | instid1(VALU_DEP_2)
	v_pk_fma_f32 v[86:87], v[48:49], v[46:47], v[84:85] op_sel_hi:[1,0,1]
	v_pk_fma_f32 v[46:47], v[48:49], v[46:47], v[84:85] neg_lo:[0,0,1] neg_hi:[0,0,1]
	v_mov_b32_e32 v47, v87
	s_delay_alu instid0(VALU_DEP_1)
	v_pk_add_f32 v[44:45], v[44:45], v[46:47]
.LBB163_565:                            ;   in Loop: Header=BB163_3 Depth=1
	s_or_b32 exec_lo, exec_lo, s10
	s_barrier_signal -1
	s_barrier_wait -1
	s_and_saveexec_b32 s10, s44
; %bb.566:                              ;   in Loop: Header=BB163_3 Depth=1
	ds_store_b64 v55, v[44:45]
; %bb.567:                              ;   in Loop: Header=BB163_3 Depth=1
	s_or_b32 exec_lo, exec_lo, s10
	s_wait_dscnt 0x0
	s_barrier_signal -1
	s_barrier_wait -1
	s_and_saveexec_b32 s10, s45
	s_cbranch_execz .LBB163_569
; %bb.568:                              ;   in Loop: Header=BB163_3 Depth=1
	ds_load_b64 v[46:47], v56 offset:19232
	ds_load_b64 v[48:49], v55
	s_wait_dscnt 0x0
	v_pk_mul_f32 v[84:85], v[48:49], v[46:47] op_sel:[1,1] op_sel_hi:[0,1]
	s_delay_alu instid0(VALU_DEP_1) | instskip(SKIP_1) | instid1(VALU_DEP_2)
	v_pk_fma_f32 v[86:87], v[48:49], v[46:47], v[84:85] op_sel_hi:[1,0,1]
	v_pk_fma_f32 v[46:47], v[48:49], v[46:47], v[84:85] neg_lo:[0,0,1] neg_hi:[0,0,1]
	v_mov_b32_e32 v47, v87
	s_delay_alu instid0(VALU_DEP_1)
	v_pk_add_f32 v[44:45], v[44:45], v[46:47]
.LBB163_569:                            ;   in Loop: Header=BB163_3 Depth=1
	s_or_b32 exec_lo, exec_lo, s10
	s_barrier_signal -1
	s_barrier_wait -1
	s_and_saveexec_b32 s10, s46
	;; [unrolled: 25-line block ×3, first 2 shown]
; %bb.574:                              ;   in Loop: Header=BB163_3 Depth=1
	ds_store_b64 v55, v[44:45]
; %bb.575:                              ;   in Loop: Header=BB163_3 Depth=1
	s_or_b32 exec_lo, exec_lo, s10
	s_wait_dscnt 0x0
	s_barrier_signal -1
	s_barrier_wait -1
	s_barrier_signal -1
	s_barrier_wait -1
	s_and_saveexec_b32 s10, s4
; %bb.576:                              ;   in Loop: Header=BB163_3 Depth=1
	v_pk_add_f32 v[44:45], v[44:45], 0 neg_lo:[1,1] neg_hi:[1,1]
	ds_store_b64 v57, v[44:45] offset:16672
; %bb.577:                              ;   in Loop: Header=BB163_3 Depth=1
	s_or_b32 exec_lo, exec_lo, s10
	s_wait_dscnt 0x0
	s_barrier_signal -1
	s_barrier_wait -1
	s_barrier_signal -1
	s_barrier_wait -1
	s_and_saveexec_b32 s10, s12
; %bb.578:                              ;   in Loop: Header=BB163_3 Depth=1
	v_add_nc_u32_e64 v0, 0x4800, 0
	ds_store_2addr_b64 v0, v[38:39], v[38:39] offset0:36 offset1:101
; %bb.579:                              ;   in Loop: Header=BB163_3 Depth=1
	s_or_b32 exec_lo, exec_lo, s10
	v_mov_b64_e32 v[44:45], 0
	s_wait_dscnt 0x0
	s_barrier_signal -1
	s_barrier_wait -1
	s_and_saveexec_b32 s10, s3
	s_cbranch_execz .LBB163_583
; %bb.580:                              ;   in Loop: Header=BB163_3 Depth=1
	ds_load_b64 v[44:45], v51 offset:18736
	ds_load_b64 v[46:47], v52 offset:18720
	s_wait_dscnt 0x0
	v_pk_mul_f32 v[48:49], v[46:47], v[44:45] op_sel:[1,1] op_sel_hi:[0,1]
	s_delay_alu instid0(VALU_DEP_1) | instskip(SKIP_1) | instid1(VALU_DEP_2)
	v_pk_fma_f32 v[84:85], v[46:47], v[44:45], v[48:49] op_sel_hi:[1,0,1]
	v_pk_fma_f32 v[44:45], v[46:47], v[44:45], v[48:49] neg_lo:[0,0,1] neg_hi:[0,0,1]
	v_mov_b32_e32 v45, v85
	s_delay_alu instid0(VALU_DEP_1)
	v_pk_add_f32 v[44:45], v[44:45], 0 op_sel_hi:[1,0]
	s_and_saveexec_b32 s11, s16
	s_cbranch_execz .LBB163_582
; %bb.581:                              ;   in Loop: Header=BB163_3 Depth=1
	ds_load_b64 v[46:47], v53 offset:19248
	ds_load_b64 v[48:49], v1 offset:18728
	s_wait_dscnt 0x0
	v_pk_mul_f32 v[84:85], v[48:49], v[46:47] op_sel:[1,1] op_sel_hi:[0,1]
	s_delay_alu instid0(VALU_DEP_1) | instskip(SKIP_1) | instid1(VALU_DEP_2)
	v_pk_fma_f32 v[86:87], v[48:49], v[46:47], v[84:85] op_sel_hi:[1,0,1]
	v_pk_fma_f32 v[46:47], v[48:49], v[46:47], v[84:85] neg_lo:[0,0,1] neg_hi:[0,0,1]
	v_mov_b32_e32 v47, v87
	s_delay_alu instid0(VALU_DEP_1)
	v_pk_add_f32 v[44:45], v[44:45], v[46:47]
.LBB163_582:                            ;   in Loop: Header=BB163_3 Depth=1
	s_or_b32 exec_lo, exec_lo, s11
	s_delay_alu instid0(VALU_DEP_1)
	v_pk_add_f32 v[44:45], v[44:45], 0 neg_lo:[1,1] neg_hi:[1,1]
.LBB163_583:                            ;   in Loop: Header=BB163_3 Depth=1
	s_or_b32 exec_lo, exec_lo, s10
	s_and_saveexec_b32 s10, s103
; %bb.584:                              ;   in Loop: Header=BB163_3 Depth=1
	ds_store_b64 v50, v[44:45]
; %bb.585:                              ;   in Loop: Header=BB163_3 Depth=1
	s_or_b32 exec_lo, exec_lo, s10
	s_wait_dscnt 0x0
	s_barrier_signal -1
	s_barrier_wait -1
	s_and_saveexec_b32 s10, s104
	s_cbranch_execz .LBB163_587
; %bb.586:                              ;   in Loop: Header=BB163_3 Depth=1
	ds_load_b64 v[46:47], v1 offset:19768
	ds_load_b64 v[48:49], v50
	s_wait_dscnt 0x0
	v_pk_mul_f32 v[84:85], v[48:49], v[46:47] op_sel:[1,1] op_sel_hi:[0,1]
	s_delay_alu instid0(VALU_DEP_1) | instskip(SKIP_1) | instid1(VALU_DEP_2)
	v_pk_fma_f32 v[86:87], v[48:49], v[46:47], v[84:85] op_sel_hi:[1,0,1]
	v_pk_fma_f32 v[46:47], v[48:49], v[46:47], v[84:85] neg_lo:[0,0,1] neg_hi:[0,0,1]
	v_mov_b32_e32 v47, v87
	s_delay_alu instid0(VALU_DEP_1)
	v_pk_add_f32 v[44:45], v[44:45], v[46:47]
.LBB163_587:                            ;   in Loop: Header=BB163_3 Depth=1
	s_or_b32 exec_lo, exec_lo, s10
	s_barrier_signal -1
	s_barrier_wait -1
	s_and_saveexec_b32 s10, s104
; %bb.588:                              ;   in Loop: Header=BB163_3 Depth=1
	ds_store_b64 v50, v[44:45]
; %bb.589:                              ;   in Loop: Header=BB163_3 Depth=1
	s_or_b32 exec_lo, exec_lo, s10
	s_wait_dscnt 0x0
	s_barrier_signal -1
	s_barrier_wait -1
	s_barrier_signal -1
	s_barrier_wait -1
	s_and_saveexec_b32 s10, s3
; %bb.590:                              ;   in Loop: Header=BB163_3 Depth=1
	v_pk_add_f32 v[44:45], v[44:45], 0 neg_lo:[1,1] neg_hi:[1,1]
	ds_store_b64 v51, v[44:45] offset:18736
; %bb.591:                              ;   in Loop: Header=BB163_3 Depth=1
	s_or_b32 exec_lo, exec_lo, s10
	s_wait_dscnt 0x0
	s_barrier_signal -1
	s_barrier_wait -1
	s_barrier_signal -1
	s_barrier_wait -1
	s_and_saveexec_b32 s10, s12
; %bb.592:                              ;   in Loop: Header=BB163_3 Depth=1
	v_add_nc_u32_e64 v0, 0x4800, 0
	ds_store_2addr_b64 v0, v[38:39], v[38:39] offset0:166 offset1:231
; %bb.593:                              ;   in Loop: Header=BB163_3 Depth=1
	s_or_b32 exec_lo, exec_lo, s10
	v_mov_b64_e32 v[44:45], 0
	s_wait_dscnt 0x0
	s_barrier_signal -1
	s_barrier_wait -1
	s_and_saveexec_b32 s10, s5
	s_cbranch_execz .LBB163_603
; %bb.594:                              ;   in Loop: Header=BB163_3 Depth=1
	ds_load_b64 v[44:45], v62 offset:16704
	ds_load_b64 v[46:47], v59 offset:16640
	s_wait_dscnt 0x0
	v_dual_mul_f32 v0, v47, v45 :: v_dual_mul_f32 v3, v46, v45
	s_delay_alu instid0(VALU_DEP_1) | instskip(NEXT) | instid1(VALU_DEP_1)
	v_dual_fma_f32 v0, v46, v44, -v0 :: v_dual_fmac_f32 v3, v47, v44
	v_dual_add_f32 v44, 0, v0 :: v_dual_add_f32 v45, 0, v3
	s_and_saveexec_b32 s11, s19
	s_cbranch_execnz .LBB163_1028
; %bb.595:                              ;   in Loop: Header=BB163_3 Depth=1
	s_or_b32 exec_lo, exec_lo, s11
	s_and_saveexec_b32 s11, s20
	s_cbranch_execnz .LBB163_1029
.LBB163_596:                            ;   in Loop: Header=BB163_3 Depth=1
	s_or_b32 exec_lo, exec_lo, s11
	s_and_saveexec_b32 s11, s21
	s_cbranch_execnz .LBB163_1030
.LBB163_597:                            ;   in Loop: Header=BB163_3 Depth=1
	s_or_b32 exec_lo, exec_lo, s11
	s_and_saveexec_b32 s11, s22
	s_cbranch_execnz .LBB163_1031
.LBB163_598:                            ;   in Loop: Header=BB163_3 Depth=1
	s_or_b32 exec_lo, exec_lo, s11
	s_and_saveexec_b32 s11, s23
	s_cbranch_execnz .LBB163_1032
.LBB163_599:                            ;   in Loop: Header=BB163_3 Depth=1
	s_or_b32 exec_lo, exec_lo, s11
	s_and_saveexec_b32 s11, s4
	s_cbranch_execnz .LBB163_1033
.LBB163_600:                            ;   in Loop: Header=BB163_3 Depth=1
	s_or_b32 exec_lo, exec_lo, s11
	s_and_saveexec_b32 s11, s18
	s_cbranch_execz .LBB163_602
.LBB163_601:                            ;   in Loop: Header=BB163_3 Depth=1
	ds_load_b64 v[46:47], v53 offset:20288
	ds_load_b64 v[48:49], v1 offset:16696
	s_wait_dscnt 0x0
	v_pk_mul_f32 v[84:85], v[48:49], v[46:47] op_sel:[1,1] op_sel_hi:[0,1]
	s_delay_alu instid0(VALU_DEP_1) | instskip(SKIP_1) | instid1(VALU_DEP_2)
	v_pk_fma_f32 v[86:87], v[48:49], v[46:47], v[84:85] op_sel_hi:[1,0,1]
	v_pk_fma_f32 v[46:47], v[48:49], v[46:47], v[84:85] neg_lo:[0,0,1] neg_hi:[0,0,1]
	v_mov_b32_e32 v47, v87
	s_delay_alu instid0(VALU_DEP_1)
	v_pk_add_f32 v[44:45], v[44:45], v[46:47]
.LBB163_602:                            ;   in Loop: Header=BB163_3 Depth=1
	s_or_b32 exec_lo, exec_lo, s11
	s_delay_alu instid0(VALU_DEP_1)
	v_pk_add_f32 v[44:45], v[44:45], 0 neg_lo:[1,1] neg_hi:[1,1]
.LBB163_603:                            ;   in Loop: Header=BB163_3 Depth=1
	s_or_b32 exec_lo, exec_lo, s10
	s_and_saveexec_b32 s10, s48
; %bb.604:                              ;   in Loop: Header=BB163_3 Depth=1
	ds_store_b64 v61, v[44:45]
; %bb.605:                              ;   in Loop: Header=BB163_3 Depth=1
	s_or_b32 exec_lo, exec_lo, s10
	s_wait_dscnt 0x0
	s_barrier_signal -1
	s_barrier_wait -1
	s_and_saveexec_b32 s10, s49
	s_cbranch_execz .LBB163_607
; %bb.606:                              ;   in Loop: Header=BB163_3 Depth=1
	ds_load_b64 v[46:47], v60 offset:20800
	ds_load_b64 v[48:49], v61
	s_wait_dscnt 0x0
	v_pk_mul_f32 v[84:85], v[48:49], v[46:47] op_sel:[1,1] op_sel_hi:[0,1]
	s_delay_alu instid0(VALU_DEP_1) | instskip(SKIP_1) | instid1(VALU_DEP_2)
	v_pk_fma_f32 v[86:87], v[48:49], v[46:47], v[84:85] op_sel_hi:[1,0,1]
	v_pk_fma_f32 v[46:47], v[48:49], v[46:47], v[84:85] neg_lo:[0,0,1] neg_hi:[0,0,1]
	v_mov_b32_e32 v47, v87
	s_delay_alu instid0(VALU_DEP_1)
	v_pk_add_f32 v[44:45], v[44:45], v[46:47]
.LBB163_607:                            ;   in Loop: Header=BB163_3 Depth=1
	s_or_b32 exec_lo, exec_lo, s10
	s_barrier_signal -1
	s_barrier_wait -1
	s_and_saveexec_b32 s10, s50
; %bb.608:                              ;   in Loop: Header=BB163_3 Depth=1
	ds_store_b64 v61, v[44:45]
; %bb.609:                              ;   in Loop: Header=BB163_3 Depth=1
	s_or_b32 exec_lo, exec_lo, s10
	s_wait_dscnt 0x0
	s_barrier_signal -1
	s_barrier_wait -1
	s_and_saveexec_b32 s10, s51
	s_cbranch_execz .LBB163_611
; %bb.610:                              ;   in Loop: Header=BB163_3 Depth=1
	ds_load_b64 v[46:47], v60 offset:21312
	ds_load_b64 v[48:49], v61
	s_wait_dscnt 0x0
	v_dual_mul_f32 v0, v49, v47 :: v_dual_mul_f32 v3, v48, v47
	s_delay_alu instid0(VALU_DEP_1) | instskip(NEXT) | instid1(VALU_DEP_1)
	v_dual_fma_f32 v0, v48, v46, -v0 :: v_dual_fmac_f32 v3, v49, v46
	v_dual_add_f32 v44, v44, v0 :: v_dual_add_f32 v45, v45, v3
.LBB163_611:                            ;   in Loop: Header=BB163_3 Depth=1
	s_or_b32 exec_lo, exec_lo, s10
	s_barrier_signal -1
	s_barrier_wait -1
	s_and_saveexec_b32 s10, s52
; %bb.612:                              ;   in Loop: Header=BB163_3 Depth=1
	ds_store_b64 v61, v[44:45]
; %bb.613:                              ;   in Loop: Header=BB163_3 Depth=1
	s_or_b32 exec_lo, exec_lo, s10
	s_wait_dscnt 0x0
	s_barrier_signal -1
	s_barrier_wait -1
	s_and_saveexec_b32 s10, s53
	s_cbranch_execz .LBB163_615
; %bb.614:                              ;   in Loop: Header=BB163_3 Depth=1
	ds_load_b64 v[46:47], v60 offset:21824
	ds_load_b64 v[48:49], v61
	s_wait_dscnt 0x0
	v_dual_mul_f32 v0, v49, v47 :: v_dual_mul_f32 v85, v48, v47
	s_delay_alu instid0(VALU_DEP_1) | instskip(NEXT) | instid1(VALU_DEP_1)
	v_dual_fma_f32 v84, v48, v46, -v0 :: v_dual_fmac_f32 v85, v49, v46
	v_pk_add_f32 v[44:45], v[44:45], v[84:85]
.LBB163_615:                            ;   in Loop: Header=BB163_3 Depth=1
	s_or_b32 exec_lo, exec_lo, s10
	s_barrier_signal -1
	s_barrier_wait -1
	s_and_saveexec_b32 s10, s54
; %bb.616:                              ;   in Loop: Header=BB163_3 Depth=1
	ds_store_b64 v61, v[44:45]
; %bb.617:                              ;   in Loop: Header=BB163_3 Depth=1
	s_or_b32 exec_lo, exec_lo, s10
	s_wait_dscnt 0x0
	s_barrier_signal -1
	s_barrier_wait -1
	s_and_saveexec_b32 s10, s55
	s_cbranch_execz .LBB163_619
; %bb.618:                              ;   in Loop: Header=BB163_3 Depth=1
	ds_load_b64 v[46:47], v60 offset:22336
	ds_load_b64 v[48:49], v61
	s_wait_dscnt 0x0
	v_pk_mul_f32 v[84:85], v[48:49], v[46:47] op_sel:[1,1] op_sel_hi:[0,1]
	s_delay_alu instid0(VALU_DEP_1) | instskip(SKIP_1) | instid1(VALU_DEP_2)
	v_pk_fma_f32 v[86:87], v[48:49], v[46:47], v[84:85] op_sel_hi:[1,0,1]
	v_pk_fma_f32 v[46:47], v[48:49], v[46:47], v[84:85] neg_lo:[0,0,1] neg_hi:[0,0,1]
	v_mov_b32_e32 v47, v87
	s_delay_alu instid0(VALU_DEP_1)
	v_pk_add_f32 v[44:45], v[44:45], v[46:47]
.LBB163_619:                            ;   in Loop: Header=BB163_3 Depth=1
	s_or_b32 exec_lo, exec_lo, s10
	s_barrier_signal -1
	s_barrier_wait -1
	s_and_saveexec_b32 s10, s56
; %bb.620:                              ;   in Loop: Header=BB163_3 Depth=1
	ds_store_b64 v61, v[44:45]
; %bb.621:                              ;   in Loop: Header=BB163_3 Depth=1
	s_or_b32 exec_lo, exec_lo, s10
	s_wait_dscnt 0x0
	s_barrier_signal -1
	s_barrier_wait -1
	s_and_saveexec_b32 s10, s57
	s_cbranch_execz .LBB163_623
; %bb.622:                              ;   in Loop: Header=BB163_3 Depth=1
	ds_load_b64 v[46:47], v60 offset:22848
	ds_load_b64 v[48:49], v61
	s_wait_dscnt 0x0
	v_pk_mul_f32 v[84:85], v[48:49], v[46:47] op_sel:[1,1] op_sel_hi:[0,1]
	s_delay_alu instid0(VALU_DEP_1) | instskip(SKIP_1) | instid1(VALU_DEP_2)
	v_pk_fma_f32 v[86:87], v[48:49], v[46:47], v[84:85] op_sel_hi:[1,0,1]
	v_pk_fma_f32 v[46:47], v[48:49], v[46:47], v[84:85] neg_lo:[0,0,1] neg_hi:[0,0,1]
	v_mov_b32_e32 v47, v87
	s_delay_alu instid0(VALU_DEP_1)
	v_pk_add_f32 v[44:45], v[44:45], v[46:47]
.LBB163_623:                            ;   in Loop: Header=BB163_3 Depth=1
	;; [unrolled: 25-line block ×4, first 2 shown]
	s_or_b32 exec_lo, exec_lo, s10
	s_barrier_signal -1
	s_barrier_wait -1
	s_and_saveexec_b32 s10, s61
; %bb.632:                              ;   in Loop: Header=BB163_3 Depth=1
	ds_store_b64 v61, v[44:45]
; %bb.633:                              ;   in Loop: Header=BB163_3 Depth=1
	s_or_b32 exec_lo, exec_lo, s10
	s_wait_dscnt 0x0
	s_barrier_signal -1
	s_barrier_wait -1
	s_barrier_signal -1
	s_barrier_wait -1
	s_and_saveexec_b32 s10, s5
; %bb.634:                              ;   in Loop: Header=BB163_3 Depth=1
	v_pk_add_f32 v[44:45], v[44:45], 0 neg_lo:[1,1] neg_hi:[1,1]
	ds_store_b64 v62, v[44:45] offset:16704
; %bb.635:                              ;   in Loop: Header=BB163_3 Depth=1
	s_or_b32 exec_lo, exec_lo, s10
	s_wait_dscnt 0x0
	s_barrier_signal -1
	s_barrier_wait -1
	s_barrier_signal -1
	s_barrier_wait -1
	s_and_saveexec_b32 s10, s12
; %bb.636:                              ;   in Loop: Header=BB163_3 Depth=1
	v_add_nc_u32_e64 v0, 0x5000, 0
	ds_store_2addr_b64 v0, v[38:39], v[38:39] offset0:40 offset1:105
; %bb.637:                              ;   in Loop: Header=BB163_3 Depth=1
	s_or_b32 exec_lo, exec_lo, s10
	v_mov_b64_e32 v[44:45], 0
	s_wait_dscnt 0x0
	s_barrier_signal -1
	s_barrier_wait -1
	s_and_saveexec_b32 s10, s3
	s_cbranch_execz .LBB163_641
; %bb.638:                              ;   in Loop: Header=BB163_3 Depth=1
	ds_load_b64 v[44:45], v51 offset:20816
	ds_load_b64 v[46:47], v52 offset:20800
	s_wait_dscnt 0x0
	v_pk_mul_f32 v[48:49], v[46:47], v[44:45] op_sel:[1,1] op_sel_hi:[0,1]
	s_delay_alu instid0(VALU_DEP_1) | instskip(SKIP_1) | instid1(VALU_DEP_2)
	v_pk_fma_f32 v[84:85], v[46:47], v[44:45], v[48:49] op_sel_hi:[1,0,1]
	v_pk_fma_f32 v[44:45], v[46:47], v[44:45], v[48:49] neg_lo:[0,0,1] neg_hi:[0,0,1]
	v_mov_b32_e32 v45, v85
	s_delay_alu instid0(VALU_DEP_1)
	v_pk_add_f32 v[44:45], v[44:45], 0 op_sel_hi:[1,0]
	s_and_saveexec_b32 s11, s16
	s_cbranch_execz .LBB163_640
; %bb.639:                              ;   in Loop: Header=BB163_3 Depth=1
	ds_load_b64 v[46:47], v53 offset:21328
	ds_load_b64 v[48:49], v1 offset:20808
	s_wait_dscnt 0x0
	v_pk_mul_f32 v[84:85], v[48:49], v[46:47] op_sel:[1,1] op_sel_hi:[0,1]
	s_delay_alu instid0(VALU_DEP_1) | instskip(SKIP_1) | instid1(VALU_DEP_2)
	v_pk_fma_f32 v[86:87], v[48:49], v[46:47], v[84:85] op_sel_hi:[1,0,1]
	v_pk_fma_f32 v[46:47], v[48:49], v[46:47], v[84:85] neg_lo:[0,0,1] neg_hi:[0,0,1]
	v_mov_b32_e32 v47, v87
	s_delay_alu instid0(VALU_DEP_1)
	v_pk_add_f32 v[44:45], v[44:45], v[46:47]
.LBB163_640:                            ;   in Loop: Header=BB163_3 Depth=1
	s_or_b32 exec_lo, exec_lo, s11
	s_delay_alu instid0(VALU_DEP_1)
	v_pk_add_f32 v[44:45], v[44:45], 0 neg_lo:[1,1] neg_hi:[1,1]
.LBB163_641:                            ;   in Loop: Header=BB163_3 Depth=1
	s_or_b32 exec_lo, exec_lo, s10
	s_and_saveexec_b32 s10, s103
; %bb.642:                              ;   in Loop: Header=BB163_3 Depth=1
	ds_store_b64 v50, v[44:45]
; %bb.643:                              ;   in Loop: Header=BB163_3 Depth=1
	s_or_b32 exec_lo, exec_lo, s10
	s_wait_dscnt 0x0
	s_barrier_signal -1
	s_barrier_wait -1
	s_and_saveexec_b32 s10, s104
	s_cbranch_execz .LBB163_645
; %bb.644:                              ;   in Loop: Header=BB163_3 Depth=1
	ds_load_b64 v[46:47], v1 offset:21848
	ds_load_b64 v[48:49], v50
	s_wait_dscnt 0x0
	v_pk_mul_f32 v[84:85], v[48:49], v[46:47] op_sel:[1,1] op_sel_hi:[0,1]
	s_delay_alu instid0(VALU_DEP_1) | instskip(SKIP_1) | instid1(VALU_DEP_2)
	v_pk_fma_f32 v[86:87], v[48:49], v[46:47], v[84:85] op_sel_hi:[1,0,1]
	v_pk_fma_f32 v[46:47], v[48:49], v[46:47], v[84:85] neg_lo:[0,0,1] neg_hi:[0,0,1]
	v_mov_b32_e32 v47, v87
	s_delay_alu instid0(VALU_DEP_1)
	v_pk_add_f32 v[44:45], v[44:45], v[46:47]
.LBB163_645:                            ;   in Loop: Header=BB163_3 Depth=1
	s_or_b32 exec_lo, exec_lo, s10
	s_barrier_signal -1
	s_barrier_wait -1
	s_and_saveexec_b32 s10, s104
; %bb.646:                              ;   in Loop: Header=BB163_3 Depth=1
	ds_store_b64 v50, v[44:45]
; %bb.647:                              ;   in Loop: Header=BB163_3 Depth=1
	s_or_b32 exec_lo, exec_lo, s10
	s_wait_dscnt 0x0
	s_barrier_signal -1
	s_barrier_wait -1
	s_barrier_signal -1
	s_barrier_wait -1
	s_and_saveexec_b32 s10, s3
; %bb.648:                              ;   in Loop: Header=BB163_3 Depth=1
	v_pk_add_f32 v[44:45], v[44:45], 0 neg_lo:[1,1] neg_hi:[1,1]
	ds_store_b64 v51, v[44:45] offset:20816
; %bb.649:                              ;   in Loop: Header=BB163_3 Depth=1
	s_or_b32 exec_lo, exec_lo, s10
	s_wait_dscnt 0x0
	s_barrier_signal -1
	s_barrier_wait -1
	s_barrier_signal -1
	s_barrier_wait -1
	s_and_saveexec_b32 s10, s12
; %bb.650:                              ;   in Loop: Header=BB163_3 Depth=1
	v_add_nc_u32_e64 v0, 0x5000, 0
	ds_store_2addr_b64 v0, v[38:39], v[38:39] offset0:170 offset1:235
; %bb.651:                              ;   in Loop: Header=BB163_3 Depth=1
	s_or_b32 exec_lo, exec_lo, s10
	v_mov_b64_e32 v[44:45], 0
	s_wait_dscnt 0x0
	s_barrier_signal -1
	s_barrier_wait -1
	s_and_saveexec_b32 s10, s4
	s_cbranch_execz .LBB163_657
; %bb.652:                              ;   in Loop: Header=BB163_3 Depth=1
	ds_load_b64 v[44:45], v57 offset:20832
	ds_load_b64 v[46:47], v54 offset:20800
	s_wait_dscnt 0x0
	v_dual_mul_f32 v0, v47, v45 :: v_dual_mul_f32 v3, v46, v45
	s_delay_alu instid0(VALU_DEP_1) | instskip(NEXT) | instid1(VALU_DEP_1)
	v_dual_fma_f32 v0, v46, v44, -v0 :: v_dual_fmac_f32 v3, v47, v44
	v_dual_add_f32 v44, 0, v0 :: v_dual_add_f32 v45, 0, v3
	s_and_saveexec_b32 s11, s17
	s_cbranch_execnz .LBB163_1034
; %bb.653:                              ;   in Loop: Header=BB163_3 Depth=1
	s_or_b32 exec_lo, exec_lo, s11
	s_and_saveexec_b32 s11, s18
	s_cbranch_execnz .LBB163_1035
.LBB163_654:                            ;   in Loop: Header=BB163_3 Depth=1
	s_or_b32 exec_lo, exec_lo, s11
	s_and_saveexec_b32 s11, s3
	s_cbranch_execz .LBB163_656
.LBB163_655:                            ;   in Loop: Header=BB163_3 Depth=1
	ds_load_b64 v[46:47], v53 offset:22368
	ds_load_b64 v[48:49], v1 offset:20824
	s_wait_dscnt 0x0
	v_dual_mul_f32 v0, v49, v47 :: v_dual_mul_f32 v85, v48, v47
	s_delay_alu instid0(VALU_DEP_1) | instskip(NEXT) | instid1(VALU_DEP_1)
	v_dual_fma_f32 v84, v48, v46, -v0 :: v_dual_fmac_f32 v85, v49, v46
	v_pk_add_f32 v[44:45], v[44:45], v[84:85]
.LBB163_656:                            ;   in Loop: Header=BB163_3 Depth=1
	s_or_b32 exec_lo, exec_lo, s11
	s_delay_alu instid0(VALU_DEP_1)
	v_pk_add_f32 v[44:45], v[44:45], 0 neg_lo:[1,1] neg_hi:[1,1]
.LBB163_657:                            ;   in Loop: Header=BB163_3 Depth=1
	s_or_b32 exec_lo, exec_lo, s10
	s_and_saveexec_b32 s10, vcc_hi
; %bb.658:                              ;   in Loop: Header=BB163_3 Depth=1
	ds_store_b64 v55, v[44:45]
; %bb.659:                              ;   in Loop: Header=BB163_3 Depth=1
	s_or_b32 exec_lo, exec_lo, s10
	s_wait_dscnt 0x0
	s_barrier_signal -1
	s_barrier_wait -1
	s_and_saveexec_b32 s10, s43
	s_cbranch_execz .LBB163_661
; %bb.660:                              ;   in Loop: Header=BB163_3 Depth=1
	ds_load_b64 v[46:47], v56 offset:22880
	ds_load_b64 v[48:49], v55
	s_wait_dscnt 0x0
	v_pk_mul_f32 v[84:85], v[48:49], v[46:47] op_sel:[1,1] op_sel_hi:[0,1]
	s_delay_alu instid0(VALU_DEP_1) | instskip(SKIP_1) | instid1(VALU_DEP_2)
	v_pk_fma_f32 v[86:87], v[48:49], v[46:47], v[84:85] op_sel_hi:[1,0,1]
	v_pk_fma_f32 v[46:47], v[48:49], v[46:47], v[84:85] neg_lo:[0,0,1] neg_hi:[0,0,1]
	v_mov_b32_e32 v47, v87
	s_delay_alu instid0(VALU_DEP_1)
	v_pk_add_f32 v[44:45], v[44:45], v[46:47]
.LBB163_661:                            ;   in Loop: Header=BB163_3 Depth=1
	s_or_b32 exec_lo, exec_lo, s10
	s_barrier_signal -1
	s_barrier_wait -1
	s_and_saveexec_b32 s10, s44
; %bb.662:                              ;   in Loop: Header=BB163_3 Depth=1
	ds_store_b64 v55, v[44:45]
; %bb.663:                              ;   in Loop: Header=BB163_3 Depth=1
	s_or_b32 exec_lo, exec_lo, s10
	s_wait_dscnt 0x0
	s_barrier_signal -1
	s_barrier_wait -1
	s_and_saveexec_b32 s10, s45
	s_cbranch_execz .LBB163_665
; %bb.664:                              ;   in Loop: Header=BB163_3 Depth=1
	ds_load_b64 v[46:47], v56 offset:23392
	ds_load_b64 v[48:49], v55
	s_wait_dscnt 0x0
	v_pk_mul_f32 v[84:85], v[48:49], v[46:47] op_sel:[1,1] op_sel_hi:[0,1]
	s_delay_alu instid0(VALU_DEP_1) | instskip(SKIP_1) | instid1(VALU_DEP_2)
	v_pk_fma_f32 v[86:87], v[48:49], v[46:47], v[84:85] op_sel_hi:[1,0,1]
	v_pk_fma_f32 v[46:47], v[48:49], v[46:47], v[84:85] neg_lo:[0,0,1] neg_hi:[0,0,1]
	v_mov_b32_e32 v47, v87
	s_delay_alu instid0(VALU_DEP_1)
	v_pk_add_f32 v[44:45], v[44:45], v[46:47]
.LBB163_665:                            ;   in Loop: Header=BB163_3 Depth=1
	s_or_b32 exec_lo, exec_lo, s10
	s_barrier_signal -1
	s_barrier_wait -1
	s_and_saveexec_b32 s10, s46
	;; [unrolled: 25-line block ×3, first 2 shown]
; %bb.670:                              ;   in Loop: Header=BB163_3 Depth=1
	ds_store_b64 v55, v[44:45]
; %bb.671:                              ;   in Loop: Header=BB163_3 Depth=1
	s_or_b32 exec_lo, exec_lo, s10
	s_wait_dscnt 0x0
	s_barrier_signal -1
	s_barrier_wait -1
	s_barrier_signal -1
	s_barrier_wait -1
	s_and_saveexec_b32 s10, s4
; %bb.672:                              ;   in Loop: Header=BB163_3 Depth=1
	v_pk_add_f32 v[44:45], v[44:45], 0 neg_lo:[1,1] neg_hi:[1,1]
	ds_store_b64 v57, v[44:45] offset:20832
; %bb.673:                              ;   in Loop: Header=BB163_3 Depth=1
	s_or_b32 exec_lo, exec_lo, s10
	s_wait_dscnt 0x0
	s_barrier_signal -1
	s_barrier_wait -1
	s_barrier_signal -1
	s_barrier_wait -1
	s_and_saveexec_b32 s10, s12
; %bb.674:                              ;   in Loop: Header=BB163_3 Depth=1
	v_add_nc_u32_e64 v0, 0x5800, 0
	ds_store_2addr_b64 v0, v[38:39], v[38:39] offset0:44 offset1:109
; %bb.675:                              ;   in Loop: Header=BB163_3 Depth=1
	s_or_b32 exec_lo, exec_lo, s10
	v_mov_b64_e32 v[44:45], 0
	s_wait_dscnt 0x0
	s_barrier_signal -1
	s_barrier_wait -1
	s_and_saveexec_b32 s10, s3
	s_cbranch_execz .LBB163_679
; %bb.676:                              ;   in Loop: Header=BB163_3 Depth=1
	ds_load_b64 v[44:45], v51 offset:22896
	ds_load_b64 v[46:47], v52 offset:22880
	s_wait_dscnt 0x0
	v_pk_mul_f32 v[48:49], v[46:47], v[44:45] op_sel:[1,1] op_sel_hi:[0,1]
	s_delay_alu instid0(VALU_DEP_1) | instskip(SKIP_1) | instid1(VALU_DEP_2)
	v_pk_fma_f32 v[84:85], v[46:47], v[44:45], v[48:49] op_sel_hi:[1,0,1]
	v_pk_fma_f32 v[44:45], v[46:47], v[44:45], v[48:49] neg_lo:[0,0,1] neg_hi:[0,0,1]
	v_mov_b32_e32 v45, v85
	s_delay_alu instid0(VALU_DEP_1)
	v_pk_add_f32 v[44:45], v[44:45], 0 op_sel_hi:[1,0]
	s_and_saveexec_b32 s11, s16
	s_cbranch_execz .LBB163_678
; %bb.677:                              ;   in Loop: Header=BB163_3 Depth=1
	ds_load_b64 v[46:47], v53 offset:23408
	ds_load_b64 v[48:49], v1 offset:22888
	s_wait_dscnt 0x0
	v_pk_mul_f32 v[84:85], v[48:49], v[46:47] op_sel:[1,1] op_sel_hi:[0,1]
	s_delay_alu instid0(VALU_DEP_1) | instskip(SKIP_1) | instid1(VALU_DEP_2)
	v_pk_fma_f32 v[86:87], v[48:49], v[46:47], v[84:85] op_sel_hi:[1,0,1]
	v_pk_fma_f32 v[46:47], v[48:49], v[46:47], v[84:85] neg_lo:[0,0,1] neg_hi:[0,0,1]
	v_mov_b32_e32 v47, v87
	s_delay_alu instid0(VALU_DEP_1)
	v_pk_add_f32 v[44:45], v[44:45], v[46:47]
.LBB163_678:                            ;   in Loop: Header=BB163_3 Depth=1
	s_or_b32 exec_lo, exec_lo, s11
	s_delay_alu instid0(VALU_DEP_1)
	v_pk_add_f32 v[44:45], v[44:45], 0 neg_lo:[1,1] neg_hi:[1,1]
.LBB163_679:                            ;   in Loop: Header=BB163_3 Depth=1
	s_or_b32 exec_lo, exec_lo, s10
	s_and_saveexec_b32 s10, s103
; %bb.680:                              ;   in Loop: Header=BB163_3 Depth=1
	ds_store_b64 v50, v[44:45]
; %bb.681:                              ;   in Loop: Header=BB163_3 Depth=1
	s_or_b32 exec_lo, exec_lo, s10
	s_wait_dscnt 0x0
	s_barrier_signal -1
	s_barrier_wait -1
	s_and_saveexec_b32 s10, s104
	s_cbranch_execz .LBB163_683
; %bb.682:                              ;   in Loop: Header=BB163_3 Depth=1
	ds_load_b64 v[46:47], v1 offset:23928
	ds_load_b64 v[48:49], v50
	s_wait_dscnt 0x0
	v_pk_mul_f32 v[84:85], v[48:49], v[46:47] op_sel:[1,1] op_sel_hi:[0,1]
	s_delay_alu instid0(VALU_DEP_1) | instskip(SKIP_1) | instid1(VALU_DEP_2)
	v_pk_fma_f32 v[86:87], v[48:49], v[46:47], v[84:85] op_sel_hi:[1,0,1]
	v_pk_fma_f32 v[46:47], v[48:49], v[46:47], v[84:85] neg_lo:[0,0,1] neg_hi:[0,0,1]
	v_mov_b32_e32 v47, v87
	s_delay_alu instid0(VALU_DEP_1)
	v_pk_add_f32 v[44:45], v[44:45], v[46:47]
.LBB163_683:                            ;   in Loop: Header=BB163_3 Depth=1
	s_or_b32 exec_lo, exec_lo, s10
	s_barrier_signal -1
	s_barrier_wait -1
	s_and_saveexec_b32 s10, s104
; %bb.684:                              ;   in Loop: Header=BB163_3 Depth=1
	ds_store_b64 v50, v[44:45]
; %bb.685:                              ;   in Loop: Header=BB163_3 Depth=1
	s_or_b32 exec_lo, exec_lo, s10
	s_wait_dscnt 0x0
	s_barrier_signal -1
	s_barrier_wait -1
	s_barrier_signal -1
	s_barrier_wait -1
	s_and_saveexec_b32 s10, s3
; %bb.686:                              ;   in Loop: Header=BB163_3 Depth=1
	v_pk_add_f32 v[44:45], v[44:45], 0 neg_lo:[1,1] neg_hi:[1,1]
	ds_store_b64 v51, v[44:45] offset:22896
; %bb.687:                              ;   in Loop: Header=BB163_3 Depth=1
	s_or_b32 exec_lo, exec_lo, s10
	s_wait_dscnt 0x0
	s_barrier_signal -1
	s_barrier_wait -1
	s_barrier_signal -1
	s_barrier_wait -1
	s_and_saveexec_b32 s10, s12
; %bb.688:                              ;   in Loop: Header=BB163_3 Depth=1
	v_add_nc_u32_e64 v0, 0x5800, 0
	ds_store_2addr_b64 v0, v[38:39], v[38:39] offset0:174 offset1:239
; %bb.689:                              ;   in Loop: Header=BB163_3 Depth=1
	s_or_b32 exec_lo, exec_lo, s10
	v_mov_b64_e32 v[44:45], 0
	s_wait_dscnt 0x0
	s_barrier_signal -1
	s_barrier_wait -1
	s_and_saveexec_b32 s66, s6
	s_cbranch_execz .LBB163_717
; %bb.690:                              ;   in Loop: Header=BB163_3 Depth=1
	ds_load_b64 v[44:45], v67 offset:16768
	ds_load_b64 v[46:47], v64 offset:16640
	v_readlane_b32 s0, v94, 30
	s_wait_dscnt 0x0
	v_dual_mul_f32 v0, v47, v45 :: v_dual_mul_f32 v3, v46, v45
	s_delay_alu instid0(VALU_DEP_1) | instskip(NEXT) | instid1(VALU_DEP_1)
	v_dual_fma_f32 v0, v46, v44, -v0 :: v_dual_fmac_f32 v3, v47, v44
	v_dual_add_f32 v44, 0, v0 :: v_dual_add_f32 v45, 0, v3
	s_and_saveexec_b32 s10, s0
	s_cbranch_execz .LBB163_692
; %bb.691:                              ;   in Loop: Header=BB163_3 Depth=1
	ds_load_b64 v[46:47], v68 offset:17280
	ds_load_b64 v[48:49], v64 offset:16648
	s_wait_dscnt 0x0
	v_dual_mul_f32 v0, v49, v47 :: v_dual_mul_f32 v3, v48, v47
	s_delay_alu instid0(VALU_DEP_1) | instskip(NEXT) | instid1(VALU_DEP_1)
	v_dual_fma_f32 v0, v48, v46, -v0 :: v_dual_fmac_f32 v3, v49, v46
	v_dual_add_f32 v44, v44, v0 :: v_dual_add_f32 v45, v45, v3
.LBB163_692:                            ;   in Loop: Header=BB163_3 Depth=1
	s_or_b32 exec_lo, exec_lo, s10
	v_readlane_b32 s0, v94, 31
	s_and_saveexec_b32 s10, s0
	s_cbranch_execz .LBB163_694
; %bb.693:                              ;   in Loop: Header=BB163_3 Depth=1
	ds_load_b64 v[46:47], v68 offset:17792
	ds_load_b64 v[48:49], v64 offset:16656
	s_wait_dscnt 0x0
	v_dual_mul_f32 v0, v49, v47 :: v_dual_mul_f32 v3, v48, v47
	s_delay_alu instid0(VALU_DEP_1) | instskip(NEXT) | instid1(VALU_DEP_1)
	v_dual_fma_f32 v0, v48, v46, -v0 :: v_dual_fmac_f32 v3, v49, v46
	v_dual_add_f32 v44, v44, v0 :: v_dual_add_f32 v45, v45, v3
.LBB163_694:                            ;   in Loop: Header=BB163_3 Depth=1
	s_or_b32 exec_lo, exec_lo, s10
	v_readlane_b32 s0, v93, 0
	;; [unrolled: 13-line block ×4, first 2 shown]
	s_and_saveexec_b32 s10, s0
	s_cbranch_execz .LBB163_700
; %bb.699:                              ;   in Loop: Header=BB163_3 Depth=1
	ds_load_b64 v[46:47], v68 offset:19328
	ds_load_b64 v[48:49], v64 offset:16680
	s_wait_dscnt 0x0
	v_dual_mul_f32 v0, v49, v47 :: v_dual_mul_f32 v3, v48, v47
	s_delay_alu instid0(VALU_DEP_1) | instskip(NEXT) | instid1(VALU_DEP_1)
	v_dual_fma_f32 v0, v48, v46, -v0 :: v_dual_fmac_f32 v3, v49, v46
	v_dual_add_f32 v44, v44, v0 :: v_dual_add_f32 v45, v45, v3
.LBB163_700:                            ;   in Loop: Header=BB163_3 Depth=1
	s_or_b32 exec_lo, exec_lo, s10
	s_and_saveexec_b32 s10, s13
	s_cbranch_execz .LBB163_702
; %bb.701:                              ;   in Loop: Header=BB163_3 Depth=1
	ds_load_b64 v[46:47], v68 offset:19840
	ds_load_b64 v[48:49], v64 offset:16688
	s_wait_dscnt 0x0
	v_dual_mul_f32 v0, v49, v47 :: v_dual_mul_f32 v3, v48, v47
	s_delay_alu instid0(VALU_DEP_1) | instskip(NEXT) | instid1(VALU_DEP_1)
	v_dual_fma_f32 v0, v48, v46, -v0 :: v_dual_fmac_f32 v3, v49, v46
	v_dual_add_f32 v44, v44, v0 :: v_dual_add_f32 v45, v45, v3
.LBB163_702:                            ;   in Loop: Header=BB163_3 Depth=1
	s_or_b32 exec_lo, exec_lo, s10
	v_readlane_b32 s0, v93, 4
	s_and_saveexec_b32 s10, s0
	s_cbranch_execz .LBB163_704
; %bb.703:                              ;   in Loop: Header=BB163_3 Depth=1
	ds_load_b64 v[46:47], v68 offset:20352
	ds_load_b64 v[48:49], v64 offset:16696
	s_wait_dscnt 0x0
	v_dual_mul_f32 v0, v49, v47 :: v_dual_mul_f32 v3, v48, v47
	s_delay_alu instid0(VALU_DEP_1) | instskip(NEXT) | instid1(VALU_DEP_1)
	v_dual_fma_f32 v0, v48, v46, -v0 :: v_dual_fmac_f32 v3, v49, v46
	v_dual_add_f32 v44, v44, v0 :: v_dual_add_f32 v45, v45, v3
.LBB163_704:                            ;   in Loop: Header=BB163_3 Depth=1
	s_or_b32 exec_lo, exec_lo, s10
	s_and_saveexec_b32 s10, s14
	s_cbranch_execz .LBB163_706
; %bb.705:                              ;   in Loop: Header=BB163_3 Depth=1
	ds_load_b64 v[46:47], v67 offset:20864
	ds_load_b64 v[48:49], v64 offset:16704
	s_wait_dscnt 0x0
	v_dual_mul_f32 v0, v49, v47 :: v_dual_mul_f32 v3, v48, v47
	s_delay_alu instid0(VALU_DEP_1) | instskip(NEXT) | instid1(VALU_DEP_1)
	v_dual_fma_f32 v0, v48, v46, -v0 :: v_dual_fmac_f32 v3, v49, v46
	v_dual_add_f32 v44, v44, v0 :: v_dual_add_f32 v45, v45, v3
.LBB163_706:                            ;   in Loop: Header=BB163_3 Depth=1
	s_or_b32 exec_lo, exec_lo, s10
	v_readlane_b32 s0, v93, 5
	;; [unrolled: 25-line block ×3, first 2 shown]
	s_and_saveexec_b32 s10, s0
	s_cbranch_execnz .LBB163_1036
; %bb.711:                              ;   in Loop: Header=BB163_3 Depth=1
	s_or_b32 exec_lo, exec_lo, s10
	s_and_saveexec_b32 s10, s5
	s_cbranch_execnz .LBB163_1037
.LBB163_712:                            ;   in Loop: Header=BB163_3 Depth=1
	s_or_b32 exec_lo, exec_lo, s10
	s_and_saveexec_b32 s10, s20
	s_cbranch_execnz .LBB163_1038
.LBB163_713:                            ;   in Loop: Header=BB163_3 Depth=1
	s_or_b32 exec_lo, exec_lo, s10
	s_and_saveexec_b32 s10, s22
	s_cbranch_execnz .LBB163_1039
.LBB163_714:                            ;   in Loop: Header=BB163_3 Depth=1
	s_or_b32 exec_lo, exec_lo, s10
	s_and_saveexec_b32 s10, s4
	s_cbranch_execz .LBB163_716
.LBB163_715:                            ;   in Loop: Header=BB163_3 Depth=1
	ds_load_b64 v[46:47], v53 offset:24448
	ds_load_b64 v[48:49], v1 offset:16760
	s_wait_dscnt 0x0
	v_dual_mul_f32 v0, v49, v47 :: v_dual_mul_f32 v85, v48, v47
	s_delay_alu instid0(VALU_DEP_1) | instskip(NEXT) | instid1(VALU_DEP_1)
	v_dual_fma_f32 v84, v48, v46, -v0 :: v_dual_fmac_f32 v85, v49, v46
	v_pk_add_f32 v[44:45], v[44:45], v[84:85]
.LBB163_716:                            ;   in Loop: Header=BB163_3 Depth=1
	s_or_b32 exec_lo, exec_lo, s10
	s_delay_alu instid0(VALU_DEP_1)
	v_pk_add_f32 v[44:45], v[44:45], 0 neg_lo:[1,1] neg_hi:[1,1]
.LBB163_717:                            ;   in Loop: Header=BB163_3 Depth=1
	s_or_b32 exec_lo, exec_lo, s66
	v_readlane_b32 s0, v94, 1
	s_and_saveexec_b32 s10, s0
; %bb.718:                              ;   in Loop: Header=BB163_3 Depth=1
	ds_store_b64 v66, v[44:45]
; %bb.719:                              ;   in Loop: Header=BB163_3 Depth=1
	s_or_b32 exec_lo, exec_lo, s10
	v_readlane_b32 s0, v94, 2
	s_wait_dscnt 0x0
	s_barrier_signal -1
	s_barrier_wait -1
	s_and_saveexec_b32 s10, s0
	s_cbranch_execz .LBB163_721
; %bb.720:                              ;   in Loop: Header=BB163_3 Depth=1
	ds_load_b64 v[46:47], v65 offset:24960
	ds_load_b64 v[48:49], v66
	s_wait_dscnt 0x0
	v_pk_mul_f32 v[84:85], v[48:49], v[46:47] op_sel:[1,1] op_sel_hi:[0,1]
	s_delay_alu instid0(VALU_DEP_1) | instskip(SKIP_1) | instid1(VALU_DEP_2)
	v_pk_fma_f32 v[86:87], v[48:49], v[46:47], v[84:85] op_sel_hi:[1,0,1]
	v_pk_fma_f32 v[46:47], v[48:49], v[46:47], v[84:85] neg_lo:[0,0,1] neg_hi:[0,0,1]
	v_mov_b32_e32 v47, v87
	s_delay_alu instid0(VALU_DEP_1)
	v_pk_add_f32 v[44:45], v[44:45], v[46:47]
.LBB163_721:                            ;   in Loop: Header=BB163_3 Depth=1
	s_or_b32 exec_lo, exec_lo, s10
	v_readlane_b32 s0, v94, 3
	s_barrier_signal -1
	s_barrier_wait -1
	s_and_saveexec_b32 s10, s0
; %bb.722:                              ;   in Loop: Header=BB163_3 Depth=1
	ds_store_b64 v66, v[44:45]
; %bb.723:                              ;   in Loop: Header=BB163_3 Depth=1
	s_or_b32 exec_lo, exec_lo, s10
	v_readlane_b32 s0, v94, 4
	s_wait_dscnt 0x0
	s_barrier_signal -1
	s_barrier_wait -1
	s_and_saveexec_b32 s10, s0
	s_cbranch_execz .LBB163_725
; %bb.724:                              ;   in Loop: Header=BB163_3 Depth=1
	ds_load_b64 v[46:47], v65 offset:25472
	ds_load_b64 v[48:49], v66
	s_wait_dscnt 0x0
	v_pk_mul_f32 v[84:85], v[48:49], v[46:47] op_sel:[1,1] op_sel_hi:[0,1]
	s_delay_alu instid0(VALU_DEP_1) | instskip(SKIP_1) | instid1(VALU_DEP_2)
	v_pk_fma_f32 v[86:87], v[48:49], v[46:47], v[84:85] op_sel_hi:[1,0,1]
	v_pk_fma_f32 v[46:47], v[48:49], v[46:47], v[84:85] neg_lo:[0,0,1] neg_hi:[0,0,1]
	v_mov_b32_e32 v47, v87
	s_delay_alu instid0(VALU_DEP_1)
	v_pk_add_f32 v[44:45], v[44:45], v[46:47]
.LBB163_725:                            ;   in Loop: Header=BB163_3 Depth=1
	s_or_b32 exec_lo, exec_lo, s10
	v_readlane_b32 s0, v94, 5
	s_barrier_signal -1
	s_barrier_wait -1
	;; [unrolled: 27-line block ×3, first 2 shown]
	s_and_saveexec_b32 s10, s0
; %bb.730:                              ;   in Loop: Header=BB163_3 Depth=1
	ds_store_b64 v66, v[44:45]
; %bb.731:                              ;   in Loop: Header=BB163_3 Depth=1
	s_or_b32 exec_lo, exec_lo, s10
	v_readlane_b32 s0, v94, 8
	s_wait_dscnt 0x0
	s_barrier_signal -1
	s_barrier_wait -1
	s_and_saveexec_b32 s10, s0
	s_cbranch_execz .LBB163_733
; %bb.732:                              ;   in Loop: Header=BB163_3 Depth=1
	ds_load_b64 v[46:47], v65 offset:26496
	ds_load_b64 v[48:49], v66
	s_wait_dscnt 0x0
	v_dual_mul_f32 v0, v49, v47 :: v_dual_mul_f32 v3, v48, v47
	s_delay_alu instid0(VALU_DEP_1) | instskip(NEXT) | instid1(VALU_DEP_1)
	v_dual_fma_f32 v0, v48, v46, -v0 :: v_dual_fmac_f32 v3, v49, v46
	v_dual_add_f32 v44, v44, v0 :: v_dual_add_f32 v45, v45, v3
.LBB163_733:                            ;   in Loop: Header=BB163_3 Depth=1
	s_or_b32 exec_lo, exec_lo, s10
	s_barrier_signal -1
	s_barrier_wait -1
	s_and_saveexec_b32 s10, s31
; %bb.734:                              ;   in Loop: Header=BB163_3 Depth=1
	ds_store_b64 v66, v[44:45]
; %bb.735:                              ;   in Loop: Header=BB163_3 Depth=1
	s_or_b32 exec_lo, exec_lo, s10
	s_wait_dscnt 0x0
	s_barrier_signal -1
	s_barrier_wait -1
	s_and_saveexec_b32 s10, s34
	s_cbranch_execz .LBB163_737
; %bb.736:                              ;   in Loop: Header=BB163_3 Depth=1
	ds_load_b64 v[46:47], v65 offset:27008
	ds_load_b64 v[48:49], v66
	s_wait_dscnt 0x0
	v_dual_mul_f32 v0, v49, v47 :: v_dual_mul_f32 v85, v48, v47
	s_delay_alu instid0(VALU_DEP_1) | instskip(NEXT) | instid1(VALU_DEP_1)
	v_dual_fma_f32 v84, v48, v46, -v0 :: v_dual_fmac_f32 v85, v49, v46
	v_pk_add_f32 v[44:45], v[44:45], v[84:85]
.LBB163_737:                            ;   in Loop: Header=BB163_3 Depth=1
	s_or_b32 exec_lo, exec_lo, s10
	s_barrier_signal -1
	s_barrier_wait -1
	s_and_saveexec_b32 s10, s36
; %bb.738:                              ;   in Loop: Header=BB163_3 Depth=1
	ds_store_b64 v66, v[44:45]
; %bb.739:                              ;   in Loop: Header=BB163_3 Depth=1
	s_or_b32 exec_lo, exec_lo, s10
	s_wait_dscnt 0x0
	s_barrier_signal -1
	s_barrier_wait -1
	s_and_saveexec_b32 s10, s40
	s_cbranch_execz .LBB163_741
; %bb.740:                              ;   in Loop: Header=BB163_3 Depth=1
	ds_load_b64 v[46:47], v65 offset:27520
	ds_load_b64 v[48:49], v66
	s_wait_dscnt 0x0
	v_pk_mul_f32 v[84:85], v[48:49], v[46:47] op_sel:[1,1] op_sel_hi:[0,1]
	s_delay_alu instid0(VALU_DEP_1) | instskip(SKIP_1) | instid1(VALU_DEP_2)
	v_pk_fma_f32 v[86:87], v[48:49], v[46:47], v[84:85] op_sel_hi:[1,0,1]
	v_pk_fma_f32 v[46:47], v[48:49], v[46:47], v[84:85] neg_lo:[0,0,1] neg_hi:[0,0,1]
	v_mov_b32_e32 v47, v87
	s_delay_alu instid0(VALU_DEP_1)
	v_pk_add_f32 v[44:45], v[44:45], v[46:47]
.LBB163_741:                            ;   in Loop: Header=BB163_3 Depth=1
	s_or_b32 exec_lo, exec_lo, s10
	s_barrier_signal -1
	s_barrier_wait -1
	s_and_saveexec_b32 s10, s41
; %bb.742:                              ;   in Loop: Header=BB163_3 Depth=1
	ds_store_b64 v66, v[44:45]
; %bb.743:                              ;   in Loop: Header=BB163_3 Depth=1
	s_or_b32 exec_lo, exec_lo, s10
	s_wait_dscnt 0x0
	s_barrier_signal -1
	s_barrier_wait -1
	s_and_saveexec_b32 s10, s42
	s_cbranch_execz .LBB163_745
; %bb.744:                              ;   in Loop: Header=BB163_3 Depth=1
	ds_load_b64 v[46:47], v65 offset:28032
	ds_load_b64 v[48:49], v66
	s_wait_dscnt 0x0
	v_pk_mul_f32 v[84:85], v[48:49], v[46:47] op_sel:[1,1] op_sel_hi:[0,1]
	s_delay_alu instid0(VALU_DEP_1) | instskip(SKIP_1) | instid1(VALU_DEP_2)
	v_pk_fma_f32 v[86:87], v[48:49], v[46:47], v[84:85] op_sel_hi:[1,0,1]
	v_pk_fma_f32 v[46:47], v[48:49], v[46:47], v[84:85] neg_lo:[0,0,1] neg_hi:[0,0,1]
	v_mov_b32_e32 v47, v87
	s_delay_alu instid0(VALU_DEP_1)
	v_pk_add_f32 v[44:45], v[44:45], v[46:47]
.LBB163_745:                            ;   in Loop: Header=BB163_3 Depth=1
	;; [unrolled: 25-line block ×4, first 2 shown]
	s_or_b32 exec_lo, exec_lo, s10
	s_barrier_signal -1
	s_barrier_wait -1
	s_and_saveexec_b32 s10, s25
; %bb.754:                              ;   in Loop: Header=BB163_3 Depth=1
	ds_store_b64 v66, v[44:45]
; %bb.755:                              ;   in Loop: Header=BB163_3 Depth=1
	s_or_b32 exec_lo, exec_lo, s10
	s_wait_dscnt 0x0
	s_barrier_signal -1
	s_barrier_wait -1
	s_and_saveexec_b32 s10, s27
	s_cbranch_execz .LBB163_757
; %bb.756:                              ;   in Loop: Header=BB163_3 Depth=1
	ds_load_b64 v[46:47], v65 offset:29568
	ds_load_b64 v[48:49], v66
	s_wait_dscnt 0x0
	v_dual_mul_f32 v0, v49, v47 :: v_dual_mul_f32 v3, v48, v47
	s_delay_alu instid0(VALU_DEP_1) | instskip(NEXT) | instid1(VALU_DEP_1)
	v_dual_fma_f32 v0, v48, v46, -v0 :: v_dual_fmac_f32 v3, v49, v46
	v_dual_add_f32 v44, v44, v0 :: v_dual_add_f32 v45, v45, v3
.LBB163_757:                            ;   in Loop: Header=BB163_3 Depth=1
	s_or_b32 exec_lo, exec_lo, s10
	s_barrier_signal -1
	s_barrier_wait -1
	s_and_saveexec_b32 s10, s29
; %bb.758:                              ;   in Loop: Header=BB163_3 Depth=1
	ds_store_b64 v66, v[44:45]
; %bb.759:                              ;   in Loop: Header=BB163_3 Depth=1
	s_or_b32 exec_lo, exec_lo, s10
	s_wait_dscnt 0x0
	s_barrier_signal -1
	s_barrier_wait -1
	s_and_saveexec_b32 s10, s33
	s_cbranch_execz .LBB163_761
; %bb.760:                              ;   in Loop: Header=BB163_3 Depth=1
	ds_load_b64 v[46:47], v65 offset:30080
	ds_load_b64 v[48:49], v66
	s_wait_dscnt 0x0
	v_dual_mul_f32 v0, v49, v47 :: v_dual_mul_f32 v85, v48, v47
	s_delay_alu instid0(VALU_DEP_1) | instskip(NEXT) | instid1(VALU_DEP_1)
	v_dual_fma_f32 v84, v48, v46, -v0 :: v_dual_fmac_f32 v85, v49, v46
	v_pk_add_f32 v[44:45], v[44:45], v[84:85]
.LBB163_761:                            ;   in Loop: Header=BB163_3 Depth=1
	s_or_b32 exec_lo, exec_lo, s10
	s_barrier_signal -1
	s_barrier_wait -1
	s_and_saveexec_b32 s10, s35
; %bb.762:                              ;   in Loop: Header=BB163_3 Depth=1
	ds_store_b64 v66, v[44:45]
; %bb.763:                              ;   in Loop: Header=BB163_3 Depth=1
	s_or_b32 exec_lo, exec_lo, s10
	s_wait_dscnt 0x0
	s_barrier_signal -1
	s_barrier_wait -1
	s_and_saveexec_b32 s10, s100
	s_cbranch_execz .LBB163_765
; %bb.764:                              ;   in Loop: Header=BB163_3 Depth=1
	ds_load_b64 v[46:47], v65 offset:30592
	ds_load_b64 v[48:49], v66
	s_wait_dscnt 0x0
	v_pk_mul_f32 v[84:85], v[48:49], v[46:47] op_sel:[1,1] op_sel_hi:[0,1]
	s_delay_alu instid0(VALU_DEP_1) | instskip(SKIP_1) | instid1(VALU_DEP_2)
	v_pk_fma_f32 v[86:87], v[48:49], v[46:47], v[84:85] op_sel_hi:[1,0,1]
	v_pk_fma_f32 v[46:47], v[48:49], v[46:47], v[84:85] neg_lo:[0,0,1] neg_hi:[0,0,1]
	v_mov_b32_e32 v47, v87
	s_delay_alu instid0(VALU_DEP_1)
	v_pk_add_f32 v[44:45], v[44:45], v[46:47]
.LBB163_765:                            ;   in Loop: Header=BB163_3 Depth=1
	s_or_b32 exec_lo, exec_lo, s10
	s_barrier_signal -1
	s_barrier_wait -1
	s_and_saveexec_b32 s10, s62
; %bb.766:                              ;   in Loop: Header=BB163_3 Depth=1
	ds_store_b64 v66, v[44:45]
; %bb.767:                              ;   in Loop: Header=BB163_3 Depth=1
	s_or_b32 exec_lo, exec_lo, s10
	s_wait_dscnt 0x0
	s_barrier_signal -1
	s_barrier_wait -1
	s_and_saveexec_b32 s10, s63
	s_cbranch_execz .LBB163_769
; %bb.768:                              ;   in Loop: Header=BB163_3 Depth=1
	ds_load_b64 v[46:47], v65 offset:31104
	ds_load_b64 v[48:49], v66
	s_wait_dscnt 0x0
	v_pk_mul_f32 v[84:85], v[48:49], v[46:47] op_sel:[1,1] op_sel_hi:[0,1]
	s_delay_alu instid0(VALU_DEP_1) | instskip(SKIP_1) | instid1(VALU_DEP_2)
	v_pk_fma_f32 v[86:87], v[48:49], v[46:47], v[84:85] op_sel_hi:[1,0,1]
	v_pk_fma_f32 v[46:47], v[48:49], v[46:47], v[84:85] neg_lo:[0,0,1] neg_hi:[0,0,1]
	v_mov_b32_e32 v47, v87
	s_delay_alu instid0(VALU_DEP_1)
	v_pk_add_f32 v[44:45], v[44:45], v[46:47]
.LBB163_769:                            ;   in Loop: Header=BB163_3 Depth=1
	;; [unrolled: 25-line block ×4, first 2 shown]
	s_or_b32 exec_lo, exec_lo, s10
	s_barrier_signal -1
	s_barrier_wait -1
	s_and_saveexec_b32 s10, s24
; %bb.778:                              ;   in Loop: Header=BB163_3 Depth=1
	ds_store_b64 v66, v[44:45]
; %bb.779:                              ;   in Loop: Header=BB163_3 Depth=1
	s_or_b32 exec_lo, exec_lo, s10
	s_wait_dscnt 0x0
	s_barrier_signal -1
	s_barrier_wait -1
	s_barrier_signal -1
	s_barrier_wait -1
	s_and_saveexec_b32 s10, s6
; %bb.780:                              ;   in Loop: Header=BB163_3 Depth=1
	v_pk_add_f32 v[44:45], v[44:45], 0 neg_lo:[1,1] neg_hi:[1,1]
	ds_store_b64 v67, v[44:45] offset:16768
; %bb.781:                              ;   in Loop: Header=BB163_3 Depth=1
	s_or_b32 exec_lo, exec_lo, s10
	s_wait_dscnt 0x0
	s_barrier_signal -1
	s_barrier_wait -1
	s_barrier_signal -1
	s_barrier_wait -1
	s_and_saveexec_b32 s10, s12
; %bb.782:                              ;   in Loop: Header=BB163_3 Depth=1
	v_add_nc_u32_e64 v0, 0x6000, 0
	ds_store_2addr_b64 v0, v[38:39], v[38:39] offset0:48 offset1:113
; %bb.783:                              ;   in Loop: Header=BB163_3 Depth=1
	s_or_b32 exec_lo, exec_lo, s10
	v_mov_b64_e32 v[44:45], 0
	s_wait_dscnt 0x0
	s_barrier_signal -1
	s_barrier_wait -1
	s_and_saveexec_b32 s10, s3
	s_cbranch_execz .LBB163_787
; %bb.784:                              ;   in Loop: Header=BB163_3 Depth=1
	ds_load_b64 v[44:45], v51 offset:24976
	ds_load_b64 v[46:47], v52 offset:24960
	s_wait_dscnt 0x0
	v_pk_mul_f32 v[48:49], v[46:47], v[44:45] op_sel:[1,1] op_sel_hi:[0,1]
	s_delay_alu instid0(VALU_DEP_1) | instskip(SKIP_1) | instid1(VALU_DEP_2)
	v_pk_fma_f32 v[84:85], v[46:47], v[44:45], v[48:49] op_sel_hi:[1,0,1]
	v_pk_fma_f32 v[44:45], v[46:47], v[44:45], v[48:49] neg_lo:[0,0,1] neg_hi:[0,0,1]
	v_mov_b32_e32 v45, v85
	s_delay_alu instid0(VALU_DEP_1)
	v_pk_add_f32 v[44:45], v[44:45], 0 op_sel_hi:[1,0]
	s_and_saveexec_b32 s11, s16
	s_cbranch_execz .LBB163_786
; %bb.785:                              ;   in Loop: Header=BB163_3 Depth=1
	ds_load_b64 v[46:47], v53 offset:25488
	ds_load_b64 v[48:49], v1 offset:24968
	s_wait_dscnt 0x0
	v_pk_mul_f32 v[84:85], v[48:49], v[46:47] op_sel:[1,1] op_sel_hi:[0,1]
	s_delay_alu instid0(VALU_DEP_1) | instskip(SKIP_1) | instid1(VALU_DEP_2)
	v_pk_fma_f32 v[86:87], v[48:49], v[46:47], v[84:85] op_sel_hi:[1,0,1]
	v_pk_fma_f32 v[46:47], v[48:49], v[46:47], v[84:85] neg_lo:[0,0,1] neg_hi:[0,0,1]
	v_mov_b32_e32 v47, v87
	s_delay_alu instid0(VALU_DEP_1)
	v_pk_add_f32 v[44:45], v[44:45], v[46:47]
.LBB163_786:                            ;   in Loop: Header=BB163_3 Depth=1
	s_or_b32 exec_lo, exec_lo, s11
	s_delay_alu instid0(VALU_DEP_1)
	v_pk_add_f32 v[44:45], v[44:45], 0 neg_lo:[1,1] neg_hi:[1,1]
.LBB163_787:                            ;   in Loop: Header=BB163_3 Depth=1
	s_or_b32 exec_lo, exec_lo, s10
	s_and_saveexec_b32 s10, s103
; %bb.788:                              ;   in Loop: Header=BB163_3 Depth=1
	ds_store_b64 v50, v[44:45]
; %bb.789:                              ;   in Loop: Header=BB163_3 Depth=1
	s_or_b32 exec_lo, exec_lo, s10
	s_wait_dscnt 0x0
	s_barrier_signal -1
	s_barrier_wait -1
	s_and_saveexec_b32 s10, s104
	s_cbranch_execz .LBB163_791
; %bb.790:                              ;   in Loop: Header=BB163_3 Depth=1
	ds_load_b64 v[46:47], v1 offset:26008
	ds_load_b64 v[48:49], v50
	s_wait_dscnt 0x0
	v_pk_mul_f32 v[84:85], v[48:49], v[46:47] op_sel:[1,1] op_sel_hi:[0,1]
	s_delay_alu instid0(VALU_DEP_1) | instskip(SKIP_1) | instid1(VALU_DEP_2)
	v_pk_fma_f32 v[86:87], v[48:49], v[46:47], v[84:85] op_sel_hi:[1,0,1]
	v_pk_fma_f32 v[46:47], v[48:49], v[46:47], v[84:85] neg_lo:[0,0,1] neg_hi:[0,0,1]
	v_mov_b32_e32 v47, v87
	s_delay_alu instid0(VALU_DEP_1)
	v_pk_add_f32 v[44:45], v[44:45], v[46:47]
.LBB163_791:                            ;   in Loop: Header=BB163_3 Depth=1
	s_or_b32 exec_lo, exec_lo, s10
	s_barrier_signal -1
	s_barrier_wait -1
	s_and_saveexec_b32 s10, s104
; %bb.792:                              ;   in Loop: Header=BB163_3 Depth=1
	ds_store_b64 v50, v[44:45]
; %bb.793:                              ;   in Loop: Header=BB163_3 Depth=1
	s_or_b32 exec_lo, exec_lo, s10
	s_wait_dscnt 0x0
	s_barrier_signal -1
	s_barrier_wait -1
	s_barrier_signal -1
	s_barrier_wait -1
	s_and_saveexec_b32 s10, s3
; %bb.794:                              ;   in Loop: Header=BB163_3 Depth=1
	v_pk_add_f32 v[44:45], v[44:45], 0 neg_lo:[1,1] neg_hi:[1,1]
	ds_store_b64 v51, v[44:45] offset:24976
; %bb.795:                              ;   in Loop: Header=BB163_3 Depth=1
	s_or_b32 exec_lo, exec_lo, s10
	s_wait_dscnt 0x0
	s_barrier_signal -1
	s_barrier_wait -1
	s_barrier_signal -1
	s_barrier_wait -1
	s_and_saveexec_b32 s10, s12
; %bb.796:                              ;   in Loop: Header=BB163_3 Depth=1
	v_add_nc_u32_e64 v0, 0x6000, 0
	ds_store_2addr_b64 v0, v[38:39], v[38:39] offset0:178 offset1:243
; %bb.797:                              ;   in Loop: Header=BB163_3 Depth=1
	s_or_b32 exec_lo, exec_lo, s10
	v_mov_b64_e32 v[44:45], 0
	s_wait_dscnt 0x0
	s_barrier_signal -1
	s_barrier_wait -1
	s_and_saveexec_b32 s10, s4
	s_cbranch_execz .LBB163_803
; %bb.798:                              ;   in Loop: Header=BB163_3 Depth=1
	ds_load_b64 v[44:45], v57 offset:24992
	ds_load_b64 v[46:47], v54 offset:24960
	s_wait_dscnt 0x0
	v_dual_mul_f32 v0, v47, v45 :: v_dual_mul_f32 v3, v46, v45
	s_delay_alu instid0(VALU_DEP_1) | instskip(NEXT) | instid1(VALU_DEP_1)
	v_dual_fma_f32 v0, v46, v44, -v0 :: v_dual_fmac_f32 v3, v47, v44
	v_dual_add_f32 v44, 0, v0 :: v_dual_add_f32 v45, 0, v3
	s_and_saveexec_b32 s11, s17
	s_cbranch_execnz .LBB163_1040
; %bb.799:                              ;   in Loop: Header=BB163_3 Depth=1
	s_or_b32 exec_lo, exec_lo, s11
	s_and_saveexec_b32 s11, s18
	s_cbranch_execnz .LBB163_1041
.LBB163_800:                            ;   in Loop: Header=BB163_3 Depth=1
	s_or_b32 exec_lo, exec_lo, s11
	s_and_saveexec_b32 s11, s3
	s_cbranch_execz .LBB163_802
.LBB163_801:                            ;   in Loop: Header=BB163_3 Depth=1
	ds_load_b64 v[46:47], v53 offset:26528
	ds_load_b64 v[48:49], v1 offset:24984
	s_wait_dscnt 0x0
	v_dual_mul_f32 v0, v49, v47 :: v_dual_mul_f32 v85, v48, v47
	s_delay_alu instid0(VALU_DEP_1) | instskip(NEXT) | instid1(VALU_DEP_1)
	v_dual_fma_f32 v84, v48, v46, -v0 :: v_dual_fmac_f32 v85, v49, v46
	v_pk_add_f32 v[44:45], v[44:45], v[84:85]
.LBB163_802:                            ;   in Loop: Header=BB163_3 Depth=1
	s_or_b32 exec_lo, exec_lo, s11
	s_delay_alu instid0(VALU_DEP_1)
	v_pk_add_f32 v[44:45], v[44:45], 0 neg_lo:[1,1] neg_hi:[1,1]
.LBB163_803:                            ;   in Loop: Header=BB163_3 Depth=1
	s_or_b32 exec_lo, exec_lo, s10
	s_and_saveexec_b32 s10, vcc_hi
; %bb.804:                              ;   in Loop: Header=BB163_3 Depth=1
	ds_store_b64 v55, v[44:45]
; %bb.805:                              ;   in Loop: Header=BB163_3 Depth=1
	s_or_b32 exec_lo, exec_lo, s10
	s_wait_dscnt 0x0
	s_barrier_signal -1
	s_barrier_wait -1
	s_and_saveexec_b32 s10, s43
	s_cbranch_execz .LBB163_807
; %bb.806:                              ;   in Loop: Header=BB163_3 Depth=1
	ds_load_b64 v[46:47], v56 offset:27040
	ds_load_b64 v[48:49], v55
	s_wait_dscnt 0x0
	v_pk_mul_f32 v[84:85], v[48:49], v[46:47] op_sel:[1,1] op_sel_hi:[0,1]
	s_delay_alu instid0(VALU_DEP_1) | instskip(SKIP_1) | instid1(VALU_DEP_2)
	v_pk_fma_f32 v[86:87], v[48:49], v[46:47], v[84:85] op_sel_hi:[1,0,1]
	v_pk_fma_f32 v[46:47], v[48:49], v[46:47], v[84:85] neg_lo:[0,0,1] neg_hi:[0,0,1]
	v_mov_b32_e32 v47, v87
	s_delay_alu instid0(VALU_DEP_1)
	v_pk_add_f32 v[44:45], v[44:45], v[46:47]
.LBB163_807:                            ;   in Loop: Header=BB163_3 Depth=1
	s_or_b32 exec_lo, exec_lo, s10
	s_barrier_signal -1
	s_barrier_wait -1
	s_and_saveexec_b32 s10, s44
; %bb.808:                              ;   in Loop: Header=BB163_3 Depth=1
	ds_store_b64 v55, v[44:45]
; %bb.809:                              ;   in Loop: Header=BB163_3 Depth=1
	s_or_b32 exec_lo, exec_lo, s10
	s_wait_dscnt 0x0
	s_barrier_signal -1
	s_barrier_wait -1
	s_and_saveexec_b32 s10, s45
	s_cbranch_execz .LBB163_811
; %bb.810:                              ;   in Loop: Header=BB163_3 Depth=1
	ds_load_b64 v[46:47], v56 offset:27552
	ds_load_b64 v[48:49], v55
	s_wait_dscnt 0x0
	v_pk_mul_f32 v[84:85], v[48:49], v[46:47] op_sel:[1,1] op_sel_hi:[0,1]
	s_delay_alu instid0(VALU_DEP_1) | instskip(SKIP_1) | instid1(VALU_DEP_2)
	v_pk_fma_f32 v[86:87], v[48:49], v[46:47], v[84:85] op_sel_hi:[1,0,1]
	v_pk_fma_f32 v[46:47], v[48:49], v[46:47], v[84:85] neg_lo:[0,0,1] neg_hi:[0,0,1]
	v_mov_b32_e32 v47, v87
	s_delay_alu instid0(VALU_DEP_1)
	v_pk_add_f32 v[44:45], v[44:45], v[46:47]
.LBB163_811:                            ;   in Loop: Header=BB163_3 Depth=1
	s_or_b32 exec_lo, exec_lo, s10
	s_barrier_signal -1
	s_barrier_wait -1
	s_and_saveexec_b32 s10, s46
	;; [unrolled: 25-line block ×3, first 2 shown]
; %bb.816:                              ;   in Loop: Header=BB163_3 Depth=1
	ds_store_b64 v55, v[44:45]
; %bb.817:                              ;   in Loop: Header=BB163_3 Depth=1
	s_or_b32 exec_lo, exec_lo, s10
	s_wait_dscnt 0x0
	s_barrier_signal -1
	s_barrier_wait -1
	s_barrier_signal -1
	s_barrier_wait -1
	s_and_saveexec_b32 s10, s4
; %bb.818:                              ;   in Loop: Header=BB163_3 Depth=1
	v_pk_add_f32 v[44:45], v[44:45], 0 neg_lo:[1,1] neg_hi:[1,1]
	ds_store_b64 v57, v[44:45] offset:24992
; %bb.819:                              ;   in Loop: Header=BB163_3 Depth=1
	s_or_b32 exec_lo, exec_lo, s10
	s_wait_dscnt 0x0
	s_barrier_signal -1
	s_barrier_wait -1
	s_barrier_signal -1
	s_barrier_wait -1
	s_and_saveexec_b32 s10, s12
; %bb.820:                              ;   in Loop: Header=BB163_3 Depth=1
	v_add_nc_u32_e64 v0, 0x6800, 0
	ds_store_2addr_b64 v0, v[38:39], v[38:39] offset0:52 offset1:117
; %bb.821:                              ;   in Loop: Header=BB163_3 Depth=1
	s_or_b32 exec_lo, exec_lo, s10
	v_mov_b64_e32 v[44:45], 0
	s_wait_dscnt 0x0
	s_barrier_signal -1
	s_barrier_wait -1
	s_and_saveexec_b32 s10, s3
	s_cbranch_execz .LBB163_825
; %bb.822:                              ;   in Loop: Header=BB163_3 Depth=1
	ds_load_b64 v[44:45], v51 offset:27056
	ds_load_b64 v[46:47], v52 offset:27040
	s_wait_dscnt 0x0
	v_pk_mul_f32 v[48:49], v[46:47], v[44:45] op_sel:[1,1] op_sel_hi:[0,1]
	s_delay_alu instid0(VALU_DEP_1) | instskip(SKIP_1) | instid1(VALU_DEP_2)
	v_pk_fma_f32 v[84:85], v[46:47], v[44:45], v[48:49] op_sel_hi:[1,0,1]
	v_pk_fma_f32 v[44:45], v[46:47], v[44:45], v[48:49] neg_lo:[0,0,1] neg_hi:[0,0,1]
	v_mov_b32_e32 v45, v85
	s_delay_alu instid0(VALU_DEP_1)
	v_pk_add_f32 v[44:45], v[44:45], 0 op_sel_hi:[1,0]
	s_and_saveexec_b32 s11, s16
	s_cbranch_execz .LBB163_824
; %bb.823:                              ;   in Loop: Header=BB163_3 Depth=1
	ds_load_b64 v[46:47], v53 offset:27568
	ds_load_b64 v[48:49], v1 offset:27048
	s_wait_dscnt 0x0
	v_pk_mul_f32 v[84:85], v[48:49], v[46:47] op_sel:[1,1] op_sel_hi:[0,1]
	s_delay_alu instid0(VALU_DEP_1) | instskip(SKIP_1) | instid1(VALU_DEP_2)
	v_pk_fma_f32 v[86:87], v[48:49], v[46:47], v[84:85] op_sel_hi:[1,0,1]
	v_pk_fma_f32 v[46:47], v[48:49], v[46:47], v[84:85] neg_lo:[0,0,1] neg_hi:[0,0,1]
	v_mov_b32_e32 v47, v87
	s_delay_alu instid0(VALU_DEP_1)
	v_pk_add_f32 v[44:45], v[44:45], v[46:47]
.LBB163_824:                            ;   in Loop: Header=BB163_3 Depth=1
	s_or_b32 exec_lo, exec_lo, s11
	s_delay_alu instid0(VALU_DEP_1)
	v_pk_add_f32 v[44:45], v[44:45], 0 neg_lo:[1,1] neg_hi:[1,1]
.LBB163_825:                            ;   in Loop: Header=BB163_3 Depth=1
	s_or_b32 exec_lo, exec_lo, s10
	s_and_saveexec_b32 s10, s103
; %bb.826:                              ;   in Loop: Header=BB163_3 Depth=1
	ds_store_b64 v50, v[44:45]
; %bb.827:                              ;   in Loop: Header=BB163_3 Depth=1
	s_or_b32 exec_lo, exec_lo, s10
	s_wait_dscnt 0x0
	s_barrier_signal -1
	s_barrier_wait -1
	s_and_saveexec_b32 s10, s104
	s_cbranch_execz .LBB163_829
; %bb.828:                              ;   in Loop: Header=BB163_3 Depth=1
	ds_load_b64 v[46:47], v1 offset:28088
	ds_load_b64 v[48:49], v50
	s_wait_dscnt 0x0
	v_pk_mul_f32 v[84:85], v[48:49], v[46:47] op_sel:[1,1] op_sel_hi:[0,1]
	s_delay_alu instid0(VALU_DEP_1) | instskip(SKIP_1) | instid1(VALU_DEP_2)
	v_pk_fma_f32 v[86:87], v[48:49], v[46:47], v[84:85] op_sel_hi:[1,0,1]
	v_pk_fma_f32 v[46:47], v[48:49], v[46:47], v[84:85] neg_lo:[0,0,1] neg_hi:[0,0,1]
	v_mov_b32_e32 v47, v87
	s_delay_alu instid0(VALU_DEP_1)
	v_pk_add_f32 v[44:45], v[44:45], v[46:47]
.LBB163_829:                            ;   in Loop: Header=BB163_3 Depth=1
	s_or_b32 exec_lo, exec_lo, s10
	s_barrier_signal -1
	s_barrier_wait -1
	s_and_saveexec_b32 s10, s104
; %bb.830:                              ;   in Loop: Header=BB163_3 Depth=1
	ds_store_b64 v50, v[44:45]
; %bb.831:                              ;   in Loop: Header=BB163_3 Depth=1
	s_or_b32 exec_lo, exec_lo, s10
	s_wait_dscnt 0x0
	s_barrier_signal -1
	s_barrier_wait -1
	s_barrier_signal -1
	s_barrier_wait -1
	s_and_saveexec_b32 s10, s3
; %bb.832:                              ;   in Loop: Header=BB163_3 Depth=1
	v_pk_add_f32 v[44:45], v[44:45], 0 neg_lo:[1,1] neg_hi:[1,1]
	ds_store_b64 v51, v[44:45] offset:27056
; %bb.833:                              ;   in Loop: Header=BB163_3 Depth=1
	s_or_b32 exec_lo, exec_lo, s10
	s_wait_dscnt 0x0
	s_barrier_signal -1
	s_barrier_wait -1
	s_barrier_signal -1
	s_barrier_wait -1
	s_and_saveexec_b32 s10, s12
; %bb.834:                              ;   in Loop: Header=BB163_3 Depth=1
	v_add_nc_u32_e64 v0, 0x6800, 0
	ds_store_2addr_b64 v0, v[38:39], v[38:39] offset0:182 offset1:247
; %bb.835:                              ;   in Loop: Header=BB163_3 Depth=1
	s_or_b32 exec_lo, exec_lo, s10
	v_mov_b64_e32 v[44:45], 0
	s_wait_dscnt 0x0
	s_barrier_signal -1
	s_barrier_wait -1
	s_and_saveexec_b32 s10, s5
	s_cbranch_execz .LBB163_845
; %bb.836:                              ;   in Loop: Header=BB163_3 Depth=1
	ds_load_b64 v[44:45], v62 offset:25024
	ds_load_b64 v[46:47], v59 offset:24960
	s_wait_dscnt 0x0
	v_dual_mul_f32 v0, v47, v45 :: v_dual_mul_f32 v3, v46, v45
	s_delay_alu instid0(VALU_DEP_1) | instskip(NEXT) | instid1(VALU_DEP_1)
	v_dual_fma_f32 v0, v46, v44, -v0 :: v_dual_fmac_f32 v3, v47, v44
	v_dual_add_f32 v44, 0, v0 :: v_dual_add_f32 v45, 0, v3
	s_and_saveexec_b32 s11, s19
	s_cbranch_execnz .LBB163_1042
; %bb.837:                              ;   in Loop: Header=BB163_3 Depth=1
	s_or_b32 exec_lo, exec_lo, s11
	s_and_saveexec_b32 s11, s20
	s_cbranch_execnz .LBB163_1043
.LBB163_838:                            ;   in Loop: Header=BB163_3 Depth=1
	s_or_b32 exec_lo, exec_lo, s11
	s_and_saveexec_b32 s11, s21
	s_cbranch_execnz .LBB163_1044
.LBB163_839:                            ;   in Loop: Header=BB163_3 Depth=1
	s_or_b32 exec_lo, exec_lo, s11
	s_and_saveexec_b32 s11, s22
	s_cbranch_execnz .LBB163_1045
.LBB163_840:                            ;   in Loop: Header=BB163_3 Depth=1
	s_or_b32 exec_lo, exec_lo, s11
	s_and_saveexec_b32 s11, s23
	s_cbranch_execnz .LBB163_1046
.LBB163_841:                            ;   in Loop: Header=BB163_3 Depth=1
	s_or_b32 exec_lo, exec_lo, s11
	s_and_saveexec_b32 s11, s4
	s_cbranch_execnz .LBB163_1047
.LBB163_842:                            ;   in Loop: Header=BB163_3 Depth=1
	s_or_b32 exec_lo, exec_lo, s11
	s_and_saveexec_b32 s11, s18
	s_cbranch_execz .LBB163_844
.LBB163_843:                            ;   in Loop: Header=BB163_3 Depth=1
	ds_load_b64 v[46:47], v53 offset:28608
	ds_load_b64 v[48:49], v1 offset:25016
	s_wait_dscnt 0x0
	v_pk_mul_f32 v[84:85], v[48:49], v[46:47] op_sel:[1,1] op_sel_hi:[0,1]
	s_delay_alu instid0(VALU_DEP_1) | instskip(SKIP_1) | instid1(VALU_DEP_2)
	v_pk_fma_f32 v[86:87], v[48:49], v[46:47], v[84:85] op_sel_hi:[1,0,1]
	v_pk_fma_f32 v[46:47], v[48:49], v[46:47], v[84:85] neg_lo:[0,0,1] neg_hi:[0,0,1]
	v_mov_b32_e32 v47, v87
	s_delay_alu instid0(VALU_DEP_1)
	v_pk_add_f32 v[44:45], v[44:45], v[46:47]
.LBB163_844:                            ;   in Loop: Header=BB163_3 Depth=1
	s_or_b32 exec_lo, exec_lo, s11
	s_delay_alu instid0(VALU_DEP_1)
	v_pk_add_f32 v[44:45], v[44:45], 0 neg_lo:[1,1] neg_hi:[1,1]
.LBB163_845:                            ;   in Loop: Header=BB163_3 Depth=1
	s_or_b32 exec_lo, exec_lo, s10
	s_and_saveexec_b32 s10, s48
; %bb.846:                              ;   in Loop: Header=BB163_3 Depth=1
	ds_store_b64 v61, v[44:45]
; %bb.847:                              ;   in Loop: Header=BB163_3 Depth=1
	s_or_b32 exec_lo, exec_lo, s10
	s_wait_dscnt 0x0
	s_barrier_signal -1
	s_barrier_wait -1
	s_and_saveexec_b32 s10, s49
	s_cbranch_execz .LBB163_849
; %bb.848:                              ;   in Loop: Header=BB163_3 Depth=1
	ds_load_b64 v[46:47], v60 offset:29120
	ds_load_b64 v[48:49], v61
	s_wait_dscnt 0x0
	v_pk_mul_f32 v[84:85], v[48:49], v[46:47] op_sel:[1,1] op_sel_hi:[0,1]
	s_delay_alu instid0(VALU_DEP_1) | instskip(SKIP_1) | instid1(VALU_DEP_2)
	v_pk_fma_f32 v[86:87], v[48:49], v[46:47], v[84:85] op_sel_hi:[1,0,1]
	v_pk_fma_f32 v[46:47], v[48:49], v[46:47], v[84:85] neg_lo:[0,0,1] neg_hi:[0,0,1]
	v_mov_b32_e32 v47, v87
	s_delay_alu instid0(VALU_DEP_1)
	v_pk_add_f32 v[44:45], v[44:45], v[46:47]
.LBB163_849:                            ;   in Loop: Header=BB163_3 Depth=1
	s_or_b32 exec_lo, exec_lo, s10
	s_barrier_signal -1
	s_barrier_wait -1
	s_and_saveexec_b32 s10, s50
; %bb.850:                              ;   in Loop: Header=BB163_3 Depth=1
	ds_store_b64 v61, v[44:45]
; %bb.851:                              ;   in Loop: Header=BB163_3 Depth=1
	s_or_b32 exec_lo, exec_lo, s10
	s_wait_dscnt 0x0
	s_barrier_signal -1
	s_barrier_wait -1
	s_and_saveexec_b32 s10, s51
	s_cbranch_execz .LBB163_853
; %bb.852:                              ;   in Loop: Header=BB163_3 Depth=1
	ds_load_b64 v[46:47], v60 offset:29632
	ds_load_b64 v[48:49], v61
	s_wait_dscnt 0x0
	v_dual_mul_f32 v0, v49, v47 :: v_dual_mul_f32 v3, v48, v47
	s_delay_alu instid0(VALU_DEP_1) | instskip(NEXT) | instid1(VALU_DEP_1)
	v_dual_fma_f32 v0, v48, v46, -v0 :: v_dual_fmac_f32 v3, v49, v46
	v_dual_add_f32 v44, v44, v0 :: v_dual_add_f32 v45, v45, v3
.LBB163_853:                            ;   in Loop: Header=BB163_3 Depth=1
	s_or_b32 exec_lo, exec_lo, s10
	s_barrier_signal -1
	s_barrier_wait -1
	s_and_saveexec_b32 s10, s52
; %bb.854:                              ;   in Loop: Header=BB163_3 Depth=1
	ds_store_b64 v61, v[44:45]
; %bb.855:                              ;   in Loop: Header=BB163_3 Depth=1
	s_or_b32 exec_lo, exec_lo, s10
	s_wait_dscnt 0x0
	s_barrier_signal -1
	s_barrier_wait -1
	s_and_saveexec_b32 s10, s53
	s_cbranch_execz .LBB163_857
; %bb.856:                              ;   in Loop: Header=BB163_3 Depth=1
	ds_load_b64 v[46:47], v60 offset:30144
	ds_load_b64 v[48:49], v61
	s_wait_dscnt 0x0
	v_dual_mul_f32 v0, v49, v47 :: v_dual_mul_f32 v85, v48, v47
	s_delay_alu instid0(VALU_DEP_1) | instskip(NEXT) | instid1(VALU_DEP_1)
	v_dual_fma_f32 v84, v48, v46, -v0 :: v_dual_fmac_f32 v85, v49, v46
	v_pk_add_f32 v[44:45], v[44:45], v[84:85]
.LBB163_857:                            ;   in Loop: Header=BB163_3 Depth=1
	s_or_b32 exec_lo, exec_lo, s10
	s_barrier_signal -1
	s_barrier_wait -1
	s_and_saveexec_b32 s10, s54
; %bb.858:                              ;   in Loop: Header=BB163_3 Depth=1
	ds_store_b64 v61, v[44:45]
; %bb.859:                              ;   in Loop: Header=BB163_3 Depth=1
	s_or_b32 exec_lo, exec_lo, s10
	s_wait_dscnt 0x0
	s_barrier_signal -1
	s_barrier_wait -1
	s_and_saveexec_b32 s10, s55
	s_cbranch_execz .LBB163_861
; %bb.860:                              ;   in Loop: Header=BB163_3 Depth=1
	ds_load_b64 v[46:47], v60 offset:30656
	ds_load_b64 v[48:49], v61
	s_wait_dscnt 0x0
	v_pk_mul_f32 v[84:85], v[48:49], v[46:47] op_sel:[1,1] op_sel_hi:[0,1]
	s_delay_alu instid0(VALU_DEP_1) | instskip(SKIP_1) | instid1(VALU_DEP_2)
	v_pk_fma_f32 v[86:87], v[48:49], v[46:47], v[84:85] op_sel_hi:[1,0,1]
	v_pk_fma_f32 v[46:47], v[48:49], v[46:47], v[84:85] neg_lo:[0,0,1] neg_hi:[0,0,1]
	v_mov_b32_e32 v47, v87
	s_delay_alu instid0(VALU_DEP_1)
	v_pk_add_f32 v[44:45], v[44:45], v[46:47]
.LBB163_861:                            ;   in Loop: Header=BB163_3 Depth=1
	s_or_b32 exec_lo, exec_lo, s10
	s_barrier_signal -1
	s_barrier_wait -1
	s_and_saveexec_b32 s10, s56
; %bb.862:                              ;   in Loop: Header=BB163_3 Depth=1
	ds_store_b64 v61, v[44:45]
; %bb.863:                              ;   in Loop: Header=BB163_3 Depth=1
	s_or_b32 exec_lo, exec_lo, s10
	s_wait_dscnt 0x0
	s_barrier_signal -1
	s_barrier_wait -1
	s_and_saveexec_b32 s10, s57
	s_cbranch_execz .LBB163_865
; %bb.864:                              ;   in Loop: Header=BB163_3 Depth=1
	ds_load_b64 v[46:47], v60 offset:31168
	ds_load_b64 v[48:49], v61
	s_wait_dscnt 0x0
	v_pk_mul_f32 v[84:85], v[48:49], v[46:47] op_sel:[1,1] op_sel_hi:[0,1]
	s_delay_alu instid0(VALU_DEP_1) | instskip(SKIP_1) | instid1(VALU_DEP_2)
	v_pk_fma_f32 v[86:87], v[48:49], v[46:47], v[84:85] op_sel_hi:[1,0,1]
	v_pk_fma_f32 v[46:47], v[48:49], v[46:47], v[84:85] neg_lo:[0,0,1] neg_hi:[0,0,1]
	v_mov_b32_e32 v47, v87
	s_delay_alu instid0(VALU_DEP_1)
	v_pk_add_f32 v[44:45], v[44:45], v[46:47]
.LBB163_865:                            ;   in Loop: Header=BB163_3 Depth=1
	;; [unrolled: 25-line block ×4, first 2 shown]
	s_or_b32 exec_lo, exec_lo, s10
	s_barrier_signal -1
	s_barrier_wait -1
	s_and_saveexec_b32 s10, s61
; %bb.874:                              ;   in Loop: Header=BB163_3 Depth=1
	ds_store_b64 v61, v[44:45]
; %bb.875:                              ;   in Loop: Header=BB163_3 Depth=1
	s_or_b32 exec_lo, exec_lo, s10
	s_wait_dscnt 0x0
	s_barrier_signal -1
	s_barrier_wait -1
	s_barrier_signal -1
	s_barrier_wait -1
	s_and_saveexec_b32 s10, s5
; %bb.876:                              ;   in Loop: Header=BB163_3 Depth=1
	v_pk_add_f32 v[44:45], v[44:45], 0 neg_lo:[1,1] neg_hi:[1,1]
	ds_store_b64 v62, v[44:45] offset:25024
; %bb.877:                              ;   in Loop: Header=BB163_3 Depth=1
	s_or_b32 exec_lo, exec_lo, s10
	s_wait_dscnt 0x0
	s_barrier_signal -1
	s_barrier_wait -1
	s_barrier_signal -1
	s_barrier_wait -1
	s_and_saveexec_b32 s10, s12
; %bb.878:                              ;   in Loop: Header=BB163_3 Depth=1
	v_add_nc_u32_e64 v0, 0x7000, 0
	ds_store_2addr_b64 v0, v[38:39], v[38:39] offset0:56 offset1:121
; %bb.879:                              ;   in Loop: Header=BB163_3 Depth=1
	s_or_b32 exec_lo, exec_lo, s10
	v_mov_b64_e32 v[44:45], 0
	s_wait_dscnt 0x0
	s_barrier_signal -1
	s_barrier_wait -1
	s_and_saveexec_b32 s10, s3
	s_cbranch_execz .LBB163_883
; %bb.880:                              ;   in Loop: Header=BB163_3 Depth=1
	ds_load_b64 v[44:45], v51 offset:29136
	ds_load_b64 v[46:47], v52 offset:29120
	s_wait_dscnt 0x0
	v_pk_mul_f32 v[48:49], v[46:47], v[44:45] op_sel:[1,1] op_sel_hi:[0,1]
	s_delay_alu instid0(VALU_DEP_1) | instskip(SKIP_1) | instid1(VALU_DEP_2)
	v_pk_fma_f32 v[84:85], v[46:47], v[44:45], v[48:49] op_sel_hi:[1,0,1]
	v_pk_fma_f32 v[44:45], v[46:47], v[44:45], v[48:49] neg_lo:[0,0,1] neg_hi:[0,0,1]
	v_mov_b32_e32 v45, v85
	s_delay_alu instid0(VALU_DEP_1)
	v_pk_add_f32 v[44:45], v[44:45], 0 op_sel_hi:[1,0]
	s_and_saveexec_b32 s11, s16
	s_cbranch_execz .LBB163_882
; %bb.881:                              ;   in Loop: Header=BB163_3 Depth=1
	ds_load_b64 v[46:47], v53 offset:29648
	ds_load_b64 v[48:49], v1 offset:29128
	s_wait_dscnt 0x0
	v_pk_mul_f32 v[84:85], v[48:49], v[46:47] op_sel:[1,1] op_sel_hi:[0,1]
	s_delay_alu instid0(VALU_DEP_1) | instskip(SKIP_1) | instid1(VALU_DEP_2)
	v_pk_fma_f32 v[86:87], v[48:49], v[46:47], v[84:85] op_sel_hi:[1,0,1]
	v_pk_fma_f32 v[46:47], v[48:49], v[46:47], v[84:85] neg_lo:[0,0,1] neg_hi:[0,0,1]
	v_mov_b32_e32 v47, v87
	s_delay_alu instid0(VALU_DEP_1)
	v_pk_add_f32 v[44:45], v[44:45], v[46:47]
.LBB163_882:                            ;   in Loop: Header=BB163_3 Depth=1
	s_or_b32 exec_lo, exec_lo, s11
	s_delay_alu instid0(VALU_DEP_1)
	v_pk_add_f32 v[44:45], v[44:45], 0 neg_lo:[1,1] neg_hi:[1,1]
.LBB163_883:                            ;   in Loop: Header=BB163_3 Depth=1
	s_or_b32 exec_lo, exec_lo, s10
	s_and_saveexec_b32 s10, s103
; %bb.884:                              ;   in Loop: Header=BB163_3 Depth=1
	ds_store_b64 v50, v[44:45]
; %bb.885:                              ;   in Loop: Header=BB163_3 Depth=1
	s_or_b32 exec_lo, exec_lo, s10
	s_wait_dscnt 0x0
	s_barrier_signal -1
	s_barrier_wait -1
	s_and_saveexec_b32 s10, s104
	s_cbranch_execz .LBB163_887
; %bb.886:                              ;   in Loop: Header=BB163_3 Depth=1
	ds_load_b64 v[46:47], v1 offset:30168
	ds_load_b64 v[48:49], v50
	s_wait_dscnt 0x0
	v_pk_mul_f32 v[84:85], v[48:49], v[46:47] op_sel:[1,1] op_sel_hi:[0,1]
	s_delay_alu instid0(VALU_DEP_1) | instskip(SKIP_1) | instid1(VALU_DEP_2)
	v_pk_fma_f32 v[86:87], v[48:49], v[46:47], v[84:85] op_sel_hi:[1,0,1]
	v_pk_fma_f32 v[46:47], v[48:49], v[46:47], v[84:85] neg_lo:[0,0,1] neg_hi:[0,0,1]
	v_mov_b32_e32 v47, v87
	s_delay_alu instid0(VALU_DEP_1)
	v_pk_add_f32 v[44:45], v[44:45], v[46:47]
.LBB163_887:                            ;   in Loop: Header=BB163_3 Depth=1
	s_or_b32 exec_lo, exec_lo, s10
	s_barrier_signal -1
	s_barrier_wait -1
	s_and_saveexec_b32 s10, s104
; %bb.888:                              ;   in Loop: Header=BB163_3 Depth=1
	ds_store_b64 v50, v[44:45]
; %bb.889:                              ;   in Loop: Header=BB163_3 Depth=1
	s_or_b32 exec_lo, exec_lo, s10
	s_wait_dscnt 0x0
	s_barrier_signal -1
	s_barrier_wait -1
	s_barrier_signal -1
	s_barrier_wait -1
	s_and_saveexec_b32 s10, s3
; %bb.890:                              ;   in Loop: Header=BB163_3 Depth=1
	v_pk_add_f32 v[44:45], v[44:45], 0 neg_lo:[1,1] neg_hi:[1,1]
	ds_store_b64 v51, v[44:45] offset:29136
; %bb.891:                              ;   in Loop: Header=BB163_3 Depth=1
	s_or_b32 exec_lo, exec_lo, s10
	s_wait_dscnt 0x0
	s_barrier_signal -1
	s_barrier_wait -1
	s_barrier_signal -1
	s_barrier_wait -1
	s_and_saveexec_b32 s10, s12
; %bb.892:                              ;   in Loop: Header=BB163_3 Depth=1
	v_add_nc_u32_e64 v0, 0x7000, 0
	ds_store_2addr_b64 v0, v[38:39], v[38:39] offset0:186 offset1:251
; %bb.893:                              ;   in Loop: Header=BB163_3 Depth=1
	s_or_b32 exec_lo, exec_lo, s10
	v_mov_b64_e32 v[44:45], 0
	s_wait_dscnt 0x0
	s_barrier_signal -1
	s_barrier_wait -1
	s_and_saveexec_b32 s10, s4
	s_cbranch_execz .LBB163_899
; %bb.894:                              ;   in Loop: Header=BB163_3 Depth=1
	ds_load_b64 v[44:45], v57 offset:29152
	ds_load_b64 v[46:47], v54 offset:29120
	s_wait_dscnt 0x0
	v_dual_mul_f32 v0, v47, v45 :: v_dual_mul_f32 v3, v46, v45
	s_delay_alu instid0(VALU_DEP_1) | instskip(NEXT) | instid1(VALU_DEP_1)
	v_dual_fma_f32 v0, v46, v44, -v0 :: v_dual_fmac_f32 v3, v47, v44
	v_dual_add_f32 v44, 0, v0 :: v_dual_add_f32 v45, 0, v3
	s_and_saveexec_b32 s11, s17
	s_cbranch_execnz .LBB163_1048
; %bb.895:                              ;   in Loop: Header=BB163_3 Depth=1
	s_or_b32 exec_lo, exec_lo, s11
	s_and_saveexec_b32 s11, s18
	s_cbranch_execnz .LBB163_1049
.LBB163_896:                            ;   in Loop: Header=BB163_3 Depth=1
	s_or_b32 exec_lo, exec_lo, s11
	s_and_saveexec_b32 s11, s3
	s_cbranch_execz .LBB163_898
.LBB163_897:                            ;   in Loop: Header=BB163_3 Depth=1
	ds_load_b64 v[46:47], v53 offset:30688
	ds_load_b64 v[48:49], v1 offset:29144
	s_wait_dscnt 0x0
	v_dual_mul_f32 v0, v49, v47 :: v_dual_mul_f32 v85, v48, v47
	s_delay_alu instid0(VALU_DEP_1) | instskip(NEXT) | instid1(VALU_DEP_1)
	v_dual_fma_f32 v84, v48, v46, -v0 :: v_dual_fmac_f32 v85, v49, v46
	v_pk_add_f32 v[44:45], v[44:45], v[84:85]
.LBB163_898:                            ;   in Loop: Header=BB163_3 Depth=1
	s_or_b32 exec_lo, exec_lo, s11
	s_delay_alu instid0(VALU_DEP_1)
	v_pk_add_f32 v[44:45], v[44:45], 0 neg_lo:[1,1] neg_hi:[1,1]
.LBB163_899:                            ;   in Loop: Header=BB163_3 Depth=1
	s_or_b32 exec_lo, exec_lo, s10
	s_and_saveexec_b32 s10, vcc_hi
; %bb.900:                              ;   in Loop: Header=BB163_3 Depth=1
	ds_store_b64 v55, v[44:45]
; %bb.901:                              ;   in Loop: Header=BB163_3 Depth=1
	s_or_b32 exec_lo, exec_lo, s10
	s_wait_dscnt 0x0
	s_barrier_signal -1
	s_barrier_wait -1
	s_and_saveexec_b32 s10, s43
	s_cbranch_execz .LBB163_903
; %bb.902:                              ;   in Loop: Header=BB163_3 Depth=1
	ds_load_b64 v[46:47], v56 offset:31200
	ds_load_b64 v[48:49], v55
	s_wait_dscnt 0x0
	v_pk_mul_f32 v[84:85], v[48:49], v[46:47] op_sel:[1,1] op_sel_hi:[0,1]
	s_delay_alu instid0(VALU_DEP_1) | instskip(SKIP_1) | instid1(VALU_DEP_2)
	v_pk_fma_f32 v[86:87], v[48:49], v[46:47], v[84:85] op_sel_hi:[1,0,1]
	v_pk_fma_f32 v[46:47], v[48:49], v[46:47], v[84:85] neg_lo:[0,0,1] neg_hi:[0,0,1]
	v_mov_b32_e32 v47, v87
	s_delay_alu instid0(VALU_DEP_1)
	v_pk_add_f32 v[44:45], v[44:45], v[46:47]
.LBB163_903:                            ;   in Loop: Header=BB163_3 Depth=1
	s_or_b32 exec_lo, exec_lo, s10
	s_barrier_signal -1
	s_barrier_wait -1
	s_and_saveexec_b32 s10, s44
; %bb.904:                              ;   in Loop: Header=BB163_3 Depth=1
	ds_store_b64 v55, v[44:45]
; %bb.905:                              ;   in Loop: Header=BB163_3 Depth=1
	s_or_b32 exec_lo, exec_lo, s10
	s_wait_dscnt 0x0
	s_barrier_signal -1
	s_barrier_wait -1
	s_and_saveexec_b32 s10, s45
	s_cbranch_execz .LBB163_907
; %bb.906:                              ;   in Loop: Header=BB163_3 Depth=1
	ds_load_b64 v[46:47], v56 offset:31712
	ds_load_b64 v[48:49], v55
	s_wait_dscnt 0x0
	v_pk_mul_f32 v[84:85], v[48:49], v[46:47] op_sel:[1,1] op_sel_hi:[0,1]
	s_delay_alu instid0(VALU_DEP_1) | instskip(SKIP_1) | instid1(VALU_DEP_2)
	v_pk_fma_f32 v[86:87], v[48:49], v[46:47], v[84:85] op_sel_hi:[1,0,1]
	v_pk_fma_f32 v[46:47], v[48:49], v[46:47], v[84:85] neg_lo:[0,0,1] neg_hi:[0,0,1]
	v_mov_b32_e32 v47, v87
	s_delay_alu instid0(VALU_DEP_1)
	v_pk_add_f32 v[44:45], v[44:45], v[46:47]
.LBB163_907:                            ;   in Loop: Header=BB163_3 Depth=1
	s_or_b32 exec_lo, exec_lo, s10
	s_barrier_signal -1
	s_barrier_wait -1
	s_and_saveexec_b32 s10, s46
; %bb.908:                              ;   in Loop: Header=BB163_3 Depth=1
	ds_store_b64 v55, v[44:45]
; %bb.909:                              ;   in Loop: Header=BB163_3 Depth=1
	s_or_b32 exec_lo, exec_lo, s10
	s_wait_dscnt 0x0
	s_barrier_signal -1
	s_barrier_wait -1
	s_and_saveexec_b32 s10, s47
	s_cbranch_execz .LBB163_911
; %bb.910:                              ;   in Loop: Header=BB163_3 Depth=1
	ds_load_b64 v[46:47], v1 offset:32248
	ds_load_b64 v[48:49], v55
	s_wait_dscnt 0x0
	v_pk_mul_f32 v[84:85], v[48:49], v[46:47] op_sel:[1,1] op_sel_hi:[0,1]
	s_delay_alu instid0(VALU_DEP_1) | instskip(SKIP_1) | instid1(VALU_DEP_2)
	v_pk_fma_f32 v[86:87], v[48:49], v[46:47], v[84:85] op_sel_hi:[1,0,1]
	v_pk_fma_f32 v[46:47], v[48:49], v[46:47], v[84:85] neg_lo:[0,0,1] neg_hi:[0,0,1]
	v_mov_b32_e32 v47, v87
	s_delay_alu instid0(VALU_DEP_1)
	v_pk_add_f32 v[44:45], v[44:45], v[46:47]
.LBB163_911:                            ;   in Loop: Header=BB163_3 Depth=1
	s_or_b32 exec_lo, exec_lo, s10
	s_barrier_signal -1
	s_barrier_wait -1
	s_and_saveexec_b32 s10, s47
; %bb.912:                              ;   in Loop: Header=BB163_3 Depth=1
	ds_store_b64 v55, v[44:45]
; %bb.913:                              ;   in Loop: Header=BB163_3 Depth=1
	s_or_b32 exec_lo, exec_lo, s10
	s_wait_dscnt 0x0
	s_barrier_signal -1
	s_barrier_wait -1
	s_barrier_signal -1
	s_barrier_wait -1
	s_and_saveexec_b32 s10, s4
; %bb.914:                              ;   in Loop: Header=BB163_3 Depth=1
	v_pk_add_f32 v[44:45], v[44:45], 0 neg_lo:[1,1] neg_hi:[1,1]
	ds_store_b64 v57, v[44:45] offset:29152
; %bb.915:                              ;   in Loop: Header=BB163_3 Depth=1
	s_or_b32 exec_lo, exec_lo, s10
	s_wait_dscnt 0x0
	s_barrier_signal -1
	s_barrier_wait -1
	s_barrier_signal -1
	s_barrier_wait -1
	s_and_saveexec_b32 s10, s12
; %bb.916:                              ;   in Loop: Header=BB163_3 Depth=1
	v_add_nc_u32_e64 v0, 0x7800, 0
	ds_store_2addr_b64 v0, v[38:39], v[38:39] offset0:60 offset1:125
; %bb.917:                              ;   in Loop: Header=BB163_3 Depth=1
	s_or_b32 exec_lo, exec_lo, s10
	v_mov_b64_e32 v[44:45], 0
	s_wait_dscnt 0x0
	s_barrier_signal -1
	s_barrier_wait -1
	s_and_saveexec_b32 s10, s3
	s_cbranch_execz .LBB163_921
; %bb.918:                              ;   in Loop: Header=BB163_3 Depth=1
	ds_load_b64 v[44:45], v51 offset:31216
	ds_load_b64 v[46:47], v52 offset:31200
	s_wait_dscnt 0x0
	v_pk_mul_f32 v[48:49], v[46:47], v[44:45] op_sel:[1,1] op_sel_hi:[0,1]
	s_delay_alu instid0(VALU_DEP_1) | instskip(SKIP_1) | instid1(VALU_DEP_2)
	v_pk_fma_f32 v[84:85], v[46:47], v[44:45], v[48:49] op_sel_hi:[1,0,1]
	v_pk_fma_f32 v[44:45], v[46:47], v[44:45], v[48:49] neg_lo:[0,0,1] neg_hi:[0,0,1]
	v_mov_b32_e32 v45, v85
	s_delay_alu instid0(VALU_DEP_1)
	v_pk_add_f32 v[44:45], v[44:45], 0 op_sel_hi:[1,0]
	s_and_saveexec_b32 s11, s16
	s_cbranch_execz .LBB163_920
; %bb.919:                              ;   in Loop: Header=BB163_3 Depth=1
	ds_load_b64 v[46:47], v53 offset:31728
	ds_load_b64 v[48:49], v1 offset:31208
	s_wait_dscnt 0x0
	v_pk_mul_f32 v[84:85], v[48:49], v[46:47] op_sel:[1,1] op_sel_hi:[0,1]
	s_delay_alu instid0(VALU_DEP_1) | instskip(SKIP_1) | instid1(VALU_DEP_2)
	v_pk_fma_f32 v[86:87], v[48:49], v[46:47], v[84:85] op_sel_hi:[1,0,1]
	v_pk_fma_f32 v[46:47], v[48:49], v[46:47], v[84:85] neg_lo:[0,0,1] neg_hi:[0,0,1]
	v_mov_b32_e32 v47, v87
	s_delay_alu instid0(VALU_DEP_1)
	v_pk_add_f32 v[44:45], v[44:45], v[46:47]
.LBB163_920:                            ;   in Loop: Header=BB163_3 Depth=1
	s_or_b32 exec_lo, exec_lo, s11
	s_delay_alu instid0(VALU_DEP_1)
	v_pk_add_f32 v[44:45], v[44:45], 0 neg_lo:[1,1] neg_hi:[1,1]
.LBB163_921:                            ;   in Loop: Header=BB163_3 Depth=1
	s_or_b32 exec_lo, exec_lo, s10
	s_and_saveexec_b32 s10, s103
; %bb.922:                              ;   in Loop: Header=BB163_3 Depth=1
	ds_store_b64 v50, v[44:45]
; %bb.923:                              ;   in Loop: Header=BB163_3 Depth=1
	s_or_b32 exec_lo, exec_lo, s10
	s_wait_dscnt 0x0
	s_barrier_signal -1
	s_barrier_wait -1
	s_and_saveexec_b32 s10, s104
	s_cbranch_execz .LBB163_925
; %bb.924:                              ;   in Loop: Header=BB163_3 Depth=1
	ds_load_b64 v[46:47], v1 offset:32248
	ds_load_b64 v[48:49], v50
	s_wait_dscnt 0x0
	v_pk_mul_f32 v[84:85], v[48:49], v[46:47] op_sel:[1,1] op_sel_hi:[0,1]
	s_delay_alu instid0(VALU_DEP_1) | instskip(SKIP_1) | instid1(VALU_DEP_2)
	v_pk_fma_f32 v[86:87], v[48:49], v[46:47], v[84:85] op_sel_hi:[1,0,1]
	v_pk_fma_f32 v[46:47], v[48:49], v[46:47], v[84:85] neg_lo:[0,0,1] neg_hi:[0,0,1]
	v_mov_b32_e32 v47, v87
	s_delay_alu instid0(VALU_DEP_1)
	v_pk_add_f32 v[44:45], v[44:45], v[46:47]
.LBB163_925:                            ;   in Loop: Header=BB163_3 Depth=1
	s_or_b32 exec_lo, exec_lo, s10
	s_barrier_signal -1
	s_barrier_wait -1
	s_and_saveexec_b32 s10, s104
; %bb.926:                              ;   in Loop: Header=BB163_3 Depth=1
	ds_store_b64 v50, v[44:45]
; %bb.927:                              ;   in Loop: Header=BB163_3 Depth=1
	s_or_b32 exec_lo, exec_lo, s10
	s_wait_dscnt 0x0
	s_barrier_signal -1
	s_barrier_wait -1
	s_barrier_signal -1
	s_barrier_wait -1
	s_and_saveexec_b32 s10, s3
; %bb.928:                              ;   in Loop: Header=BB163_3 Depth=1
	v_pk_add_f32 v[44:45], v[44:45], 0 neg_lo:[1,1] neg_hi:[1,1]
	ds_store_b64 v51, v[44:45] offset:31216
; %bb.929:                              ;   in Loop: Header=BB163_3 Depth=1
	s_or_b32 exec_lo, exec_lo, s10
	s_wait_dscnt 0x0
	s_barrier_signal -1
	s_barrier_wait -1
	s_barrier_signal -1
	s_barrier_wait -1
	s_and_saveexec_b32 s10, s12
; %bb.930:                              ;   in Loop: Header=BB163_3 Depth=1
	v_add_nc_u32_e64 v0, 0x7800, 0
	ds_store_2addr_b64 v0, v[38:39], v[38:39] offset0:190 offset1:255
; %bb.931:                              ;   in Loop: Header=BB163_3 Depth=1
	s_or_b32 exec_lo, exec_lo, s10
.LBB163_932:                            ;   in Loop: Header=BB163_3 Depth=1
	v_add_nc_u64_e32 v[42:43], s[74:75], v[42:43]
	v_mov_b64_e32 v[44:45], 0
	s_wait_dscnt 0x0
	s_barrier_signal -1
	s_barrier_wait -1
	s_wait_xcnt 0x0
	s_and_saveexec_b32 s10, s28
	s_cbranch_execz .LBB163_934
; %bb.933:                              ;   in Loop: Header=BB163_3 Depth=1
	v_lshl_add_u64 v[44:45], v[28:29], 3, v[42:43]
	v_readlane_b32 s0, v94, 23
	v_readlane_b32 s1, v94, 24
	flat_load_b64 v[44:45], v[44:45]
	v_mov_b64_e32 v[46:47], s[0:1]
	v_readlane_b32 s0, v94, 25
	v_readlane_b32 s1, v94, 26
	s_delay_alu instid0(VALU_DEP_1) | instskip(SKIP_1) | instid1(VALU_DEP_4)
	v_mov_b64_e32 v[48:49], s[0:1]
	s_wait_loadcnt_dscnt 0x0
	v_pk_mul_f32 v[46:47], v[46:47], v[44:45]
	s_delay_alu instid0(VALU_DEP_1)
	v_pk_fma_f32 v[44:45], v[48:49], v[44:45], v[46:47] op_sel:[0,0,1] op_sel_hi:[1,1,0] neg_lo:[1,0,0] neg_hi:[1,0,0]
.LBB163_934:                            ;   in Loop: Header=BB163_3 Depth=1
	s_or_b32 exec_lo, exec_lo, s10
	s_delay_alu instid0(SALU_CYCLE_1)
	s_and_not1_b32 vcc_lo, exec_lo, s30
	s_cbranch_vccnz .LBB163_953
; %bb.935:                              ;   in Loop: Header=BB163_3 Depth=1
	v_lshl_add_u64 v[40:41], v[8:9], 3, v[40:41]
	v_mov_b32_e32 v3, -1
	s_lshl_b64 s[10:11], s[76:77], 2
	s_delay_alu instid0(SALU_CYCLE_1)
	s_add_nc_u64 s[96:97], s[84:85], s[10:11]
	s_mov_b32 s10, 0
	s_branch .LBB163_937
.LBB163_936:                            ;   in Loop: Header=BB163_937 Depth=2
	s_or_b32 exec_lo, exec_lo, s11
	s_add_co_i32 s10, s10, 1
	s_delay_alu instid0(SALU_CYCLE_1)
	s_cmp_eq_u32 s10, s99
	s_cbranch_scc1 .LBB163_953
.LBB163_937:                            ;   Parent Loop BB163_3 Depth=1
                                        ; =>  This Loop Header: Depth=2
                                        ;       Child Loop BB163_939 Depth 3
	v_cmp_gt_i32_e32 vcc_lo, s10, v3
	s_and_b32 s66, s38, vcc_lo
	s_delay_alu instid0(SALU_CYCLE_1)
	s_and_saveexec_b32 s11, s66
	s_cbranch_execz .LBB163_940
; %bb.938:                              ;   in Loop: Header=BB163_937 Depth=2
	global_load_b32 v3, v1, s[96:97]
	s_wait_loadcnt 0x0
	v_cmp_le_i32_e32 vcc_lo, s10, v3
	s_cbranch_vccnz .LBB163_940
.LBB163_939:                            ;   Parent Loop BB163_3 Depth=1
                                        ;     Parent Loop BB163_937 Depth=2
                                        ; =>    This Inner Loop Header: Depth=3
	global_wb scope:SCOPE_DEV
	s_wait_storecnt 0x0
	global_inv scope:SCOPE_DEV
	global_load_b32 v3, v1, s[96:97]
	s_wait_loadcnt 0x0
	v_cmp_gt_i32_e32 vcc_lo, s10, v3
	s_cbranch_vccnz .LBB163_939
.LBB163_940:                            ;   in Loop: Header=BB163_937 Depth=2
	s_or_b32 exec_lo, exec_lo, s11
	s_lshl_b32 s66, s10, 6
	global_wb scope:SCOPE_DEV
	s_wait_storecnt 0x0
	global_inv scope:SCOPE_DEV
	s_wait_loadcnt 0x0
	s_barrier_signal -1
	s_barrier_wait -1
	s_and_saveexec_b32 s11, s39
	s_cbranch_execz .LBB163_945
; %bb.941:                              ;   in Loop: Header=BB163_937 Depth=2
	v_or_b32_e32 v0, s66, v6
	s_delay_alu instid0(VALU_DEP_1) | instskip(SKIP_1) | instid1(SALU_CYCLE_1)
	v_cmp_le_i32_e32 vcc_lo, s98, v0
	s_and_saveexec_b32 s1, vcc_lo
	s_xor_b32 vcc_lo, exec_lo, s1
; %bb.942:                              ;   in Loop: Header=BB163_937 Depth=2
	ds_store_b64 v77, v[36:37]
; %bb.943:                              ;   in Loop: Header=BB163_937 Depth=2
	s_and_not1_saveexec_b32 s0, vcc_lo
	s_cbranch_execz .LBB163_945
; %bb.944:                              ;   in Loop: Header=BB163_937 Depth=2
	v_mul_u64_e32 v[46:47], s[82:83], v[0:1]
	s_delay_alu instid0(VALU_DEP_1)
	v_lshl_add_u64 v[46:47], v[46:47], 3, v[42:43]
	flat_load_b64 v[46:47], v[46:47]
	s_wait_loadcnt_dscnt 0x0
	ds_store_b64 v77, v[46:47]
.LBB163_945:                            ;   in Loop: Header=BB163_937 Depth=2
	s_or_b32 exec_lo, exec_lo, s11
	v_add_nc_u32_e32 v0, s66, v2
	s_wait_dscnt 0x0
	v_cmp_eq_u32_e32 vcc_lo, s10, v5
	s_barrier_signal -1
	s_barrier_wait -1
	v_mul_u64_e32 v[46:47], s[78:79], v[0:1]
	v_cmp_gt_i32_e64 s66, s98, v0
	s_and_b32 s0, s2, s66
	v_lshl_add_u64 v[46:47], v[46:47], 3, v[40:41]
	s_and_saveexec_b32 s11, s0
	s_cbranch_execz .LBB163_947
; %bb.946:                              ;   in Loop: Header=BB163_937 Depth=2
	s_delay_alu instid0(VALU_DEP_1) | instskip(SKIP_4) | instid1(VALU_DEP_1)
	v_dual_cndmask_b32 v49, v47, v17 :: v_dual_cndmask_b32 v48, v46, v16
	ds_load_b64 v[84:85], v76
	flat_load_b64 v[48:49], v[48:49]
	s_wait_loadcnt_dscnt 0x0
	v_dual_mul_f32 v86, v85, v49 :: v_dual_mul_f32 v49, v84, v49
	v_dual_fma_f32 v84, v84, v48, -v86 :: v_dual_fmac_f32 v49, v85, v48
	s_delay_alu instid0(VALU_DEP_1)
	v_dual_add_f32 v44, v44, v84 :: v_dual_add_f32 v45, v45, v49
.LBB163_947:                            ;   in Loop: Header=BB163_937 Depth=2
	s_or_b32 exec_lo, exec_lo, s11
	v_add_nc_u32_e32 v48, 16, v0
	s_delay_alu instid0(VALU_DEP_1) | instskip(SKIP_1) | instid1(SALU_CYCLE_1)
	v_cmp_gt_i32_e64 s66, s98, v48
	s_and_b32 s0, s2, s66
	s_and_saveexec_b32 s11, s0
	s_cbranch_execz .LBB163_949
; %bb.948:                              ;   in Loop: Header=BB163_937 Depth=2
	v_add_nc_u64_e32 v[48:49], s[90:91], v[46:47]
	ds_load_b64 v[84:85], v76 offset:128
	v_dual_cndmask_b32 v49, v49, v19 :: v_dual_cndmask_b32 v48, v48, v18
	flat_load_b64 v[48:49], v[48:49]
	s_wait_loadcnt_dscnt 0x0
	v_dual_mul_f32 v86, v85, v49 :: v_dual_mul_f32 v49, v84, v49
	s_delay_alu instid0(VALU_DEP_1) | instskip(NEXT) | instid1(VALU_DEP_1)
	v_dual_fma_f32 v84, v84, v48, -v86 :: v_dual_fmac_f32 v49, v85, v48
	v_dual_add_f32 v44, v44, v84 :: v_dual_add_f32 v45, v45, v49
.LBB163_949:                            ;   in Loop: Header=BB163_937 Depth=2
	s_or_b32 exec_lo, exec_lo, s11
	v_add_nc_u32_e32 v48, 32, v0
	s_delay_alu instid0(VALU_DEP_1) | instskip(SKIP_1) | instid1(SALU_CYCLE_1)
	v_cmp_gt_i32_e64 s66, s98, v48
	s_and_b32 s0, s2, s66
	s_and_saveexec_b32 s11, s0
	s_cbranch_execz .LBB163_951
; %bb.950:                              ;   in Loop: Header=BB163_937 Depth=2
	v_add_nc_u64_e32 v[48:49], s[92:93], v[46:47]
	ds_load_b64 v[84:85], v76 offset:256
	v_dual_cndmask_b32 v49, v49, v21 :: v_dual_cndmask_b32 v48, v48, v20
	flat_load_b64 v[48:49], v[48:49]
	s_wait_loadcnt_dscnt 0x0
	v_dual_mul_f32 v86, v85, v49 :: v_dual_mul_f32 v87, v84, v49
	s_delay_alu instid0(VALU_DEP_1) | instskip(NEXT) | instid1(VALU_DEP_1)
	v_dual_fma_f32 v86, v84, v48, -v86 :: v_dual_fmac_f32 v87, v85, v48
	v_pk_add_f32 v[44:45], v[44:45], v[86:87]
.LBB163_951:                            ;   in Loop: Header=BB163_937 Depth=2
	s_or_b32 exec_lo, exec_lo, s11
	v_add_nc_u32_e32 v0, 48, v0
	s_delay_alu instid0(VALU_DEP_1) | instskip(SKIP_1) | instid1(SALU_CYCLE_1)
	v_cmp_gt_i32_e64 s66, s98, v0
	s_and_b32 s0, s2, s66
	s_and_saveexec_b32 s11, s0
	s_cbranch_execz .LBB163_936
; %bb.952:                              ;   in Loop: Header=BB163_937 Depth=2
	v_add_nc_u64_e32 v[46:47], s[94:95], v[46:47]
	ds_load_b64 v[48:49], v76 offset:384
	v_dual_cndmask_b32 v47, v47, v23 :: v_dual_cndmask_b32 v46, v46, v22
	flat_load_b64 v[46:47], v[46:47]
	s_wait_loadcnt_dscnt 0x0
	v_pk_mul_f32 v[84:85], v[48:49], v[46:47] op_sel:[1,1] op_sel_hi:[0,1]
	s_delay_alu instid0(VALU_DEP_1) | instskip(SKIP_1) | instid1(VALU_DEP_2)
	v_pk_fma_f32 v[86:87], v[48:49], v[46:47], v[84:85] op_sel_hi:[1,0,1]
	v_pk_fma_f32 v[46:47], v[48:49], v[46:47], v[84:85] neg_lo:[0,0,1] neg_hi:[0,0,1]
	v_mov_b32_e32 v47, v87
	s_delay_alu instid0(VALU_DEP_1)
	v_pk_add_f32 v[44:45], v[44:45], v[46:47]
	s_branch .LBB163_936
.LBB163_953:                            ;   in Loop: Header=BB163_3 Depth=1
	ds_store_b64 v78, v[44:45]
	s_wait_dscnt 0x0
	s_barrier_signal -1
	s_barrier_wait -1
	s_and_saveexec_b32 s10, s7
	s_cbranch_execz .LBB163_955
; %bb.954:                              ;   in Loop: Header=BB163_3 Depth=1
	ds_load_2addr_stride64_b64 v[46:49], v79 offset0:1 offset1:2
	ds_load_2addr_stride64_b64 v[84:87], v79 offset0:3 offset1:4
	;; [unrolled: 1-line block ×3, first 2 shown]
	s_wait_dscnt 0x2
	v_pk_add_f32 v[40:41], v[44:45], v[46:47]
	ds_load_2addr_stride64_b64 v[44:47], v79 offset0:7 offset1:8
	v_pk_add_f32 v[40:41], v[40:41], v[48:49]
	ds_load_b64 v[48:49], v79 offset:7680
	s_wait_dscnt 0x3
	v_pk_add_f32 v[40:41], v[40:41], v[84:85]
	s_delay_alu instid0(VALU_DEP_1) | instskip(SKIP_3) | instid1(VALU_DEP_1)
	v_pk_add_f32 v[40:41], v[40:41], v[86:87]
	ds_load_2addr_stride64_b64 v[84:87], v79 offset0:9 offset1:10
	s_wait_dscnt 0x3
	v_pk_add_f32 v[40:41], v[40:41], v[88:89]
	v_pk_add_f32 v[40:41], v[40:41], v[90:91]
	ds_load_2addr_stride64_b64 v[88:91], v79 offset0:11 offset1:12
	s_wait_dscnt 0x3
	v_pk_add_f32 v[40:41], v[40:41], v[44:45]
	s_delay_alu instid0(VALU_DEP_1) | instskip(SKIP_3) | instid1(VALU_DEP_1)
	v_pk_add_f32 v[40:41], v[40:41], v[46:47]
	ds_load_2addr_stride64_b64 v[44:47], v79 offset0:13 offset1:14
	s_wait_dscnt 0x2
	v_pk_add_f32 v[40:41], v[40:41], v[84:85]
	v_pk_add_f32 v[40:41], v[40:41], v[86:87]
	s_wait_dscnt 0x1
	s_delay_alu instid0(VALU_DEP_1) | instskip(NEXT) | instid1(VALU_DEP_1)
	v_pk_add_f32 v[40:41], v[40:41], v[88:89]
	v_pk_add_f32 v[40:41], v[40:41], v[90:91]
	s_wait_dscnt 0x0
	s_delay_alu instid0(VALU_DEP_1) | instskip(NEXT) | instid1(VALU_DEP_1)
	v_pk_add_f32 v[40:41], v[40:41], v[44:45]
	v_pk_add_f32 v[40:41], v[40:41], v[46:47]
	s_delay_alu instid0(VALU_DEP_1) | instskip(NEXT) | instid1(VALU_DEP_1)
	v_pk_add_f32 v[40:41], v[40:41], v[48:49]
	v_cndmask_b32_e64 v45, -v41, 0, s26
	s_delay_alu instid0(VALU_DEP_2)
	v_cndmask_b32_e64 v44, -v40, 0, s26
.LBB163_955:                            ;   in Loop: Header=BB163_3 Depth=1
	s_or_b32 exec_lo, exec_lo, s10
	s_delay_alu instid0(SALU_CYCLE_1)
	s_and_not1_b32 vcc_lo, exec_lo, s102
	s_cbranch_vccnz .LBB163_968
; %bb.956:                              ;   in Loop: Header=BB163_3 Depth=1
	s_and_saveexec_b32 s10, s7
; %bb.957:                              ;   in Loop: Header=BB163_3 Depth=1
	ds_store_b64 v81, v[44:45]
; %bb.958:                              ;   in Loop: Header=BB163_3 Depth=1
	s_or_b32 exec_lo, exec_lo, s10
	v_mov_b64_e32 v[40:41], 0
	s_wait_dscnt 0x0
	s_barrier_signal -1
	s_barrier_wait -1
	s_mov_b32 s10, exec_lo
	v_readlane_b32 s0, v93, 7
	s_and_b32 s0, s10, s0
	s_delay_alu instid0(SALU_CYCLE_1)
	s_mov_b32 exec_lo, s0
	s_cbranch_execz .LBB163_960
; %bb.959:                              ;   in Loop: Header=BB163_3 Depth=1
	ds_load_b64 v[40:41], v80
	ds_load_b64 v[46:47], v76
	s_wait_dscnt 0x0
	v_dual_mul_f32 v0, v47, v41 :: v_dual_mul_f32 v3, v46, v41
	s_delay_alu instid0(VALU_DEP_1) | instskip(NEXT) | instid1(VALU_DEP_1)
	v_dual_fma_f32 v0, v46, v40, -v0 :: v_dual_fmac_f32 v3, v47, v40
	v_dual_add_f32 v40, 0, v0 :: v_dual_add_f32 v41, 0, v3
.LBB163_960:                            ;   in Loop: Header=BB163_3 Depth=1
	s_or_b32 exec_lo, exec_lo, s10
	s_delay_alu instid0(SALU_CYCLE_1) | instskip(SKIP_2) | instid1(SALU_CYCLE_1)
	s_mov_b32 s10, exec_lo
	v_readlane_b32 s0, v94, 9
	s_and_b32 s0, s10, s0
	s_mov_b32 exec_lo, s0
	s_cbranch_execz .LBB163_962
; %bb.961:                              ;   in Loop: Header=BB163_3 Depth=1
	ds_load_b64 v[46:47], v80 offset:8192
	ds_load_b64 v[48:49], v76 offset:128
	s_wait_dscnt 0x0
	v_dual_mul_f32 v0, v49, v47 :: v_dual_mul_f32 v85, v48, v47
	s_delay_alu instid0(VALU_DEP_1) | instskip(NEXT) | instid1(VALU_DEP_1)
	v_dual_fma_f32 v84, v48, v46, -v0 :: v_dual_fmac_f32 v85, v49, v46
	v_pk_add_f32 v[40:41], v[40:41], v[84:85]
.LBB163_962:                            ;   in Loop: Header=BB163_3 Depth=1
	s_or_b32 exec_lo, exec_lo, s10
	s_delay_alu instid0(SALU_CYCLE_1) | instskip(SKIP_2) | instid1(SALU_CYCLE_1)
	s_mov_b32 s10, exec_lo
	v_readlane_b32 s0, v93, 3
	s_and_b32 s0, s10, s0
	s_mov_b32 exec_lo, s0
	s_cbranch_execz .LBB163_964
; %bb.963:                              ;   in Loop: Header=BB163_3 Depth=1
	ds_load_b64 v[46:47], v80 offset:16384
	ds_load_b64 v[48:49], v76 offset:256
	s_wait_dscnt 0x0
	v_pk_mul_f32 v[84:85], v[48:49], v[46:47] op_sel:[1,1] op_sel_hi:[0,1]
	s_delay_alu instid0(VALU_DEP_1) | instskip(SKIP_1) | instid1(VALU_DEP_2)
	v_pk_fma_f32 v[86:87], v[48:49], v[46:47], v[84:85] op_sel_hi:[1,0,1]
	v_pk_fma_f32 v[46:47], v[48:49], v[46:47], v[84:85] neg_lo:[0,0,1] neg_hi:[0,0,1]
	v_mov_b32_e32 v47, v87
	s_delay_alu instid0(VALU_DEP_1)
	v_pk_add_f32 v[40:41], v[40:41], v[46:47]
.LBB163_964:                            ;   in Loop: Header=BB163_3 Depth=1
	s_or_b32 exec_lo, exec_lo, s10
	s_delay_alu instid0(SALU_CYCLE_1) | instskip(SKIP_2) | instid1(SALU_CYCLE_1)
	s_mov_b32 s10, exec_lo
	v_readlane_b32 s0, v93, 8
	s_and_b32 s0, s10, s0
	s_mov_b32 exec_lo, s0
	s_cbranch_execz .LBB163_966
; %bb.965:                              ;   in Loop: Header=BB163_3 Depth=1
	ds_load_b64 v[46:47], v80 offset:24576
	ds_load_b64 v[48:49], v76 offset:384
	s_wait_dscnt 0x0
	v_pk_mul_f32 v[84:85], v[48:49], v[46:47] op_sel:[1,1] op_sel_hi:[0,1]
	s_delay_alu instid0(VALU_DEP_1) | instskip(SKIP_1) | instid1(VALU_DEP_2)
	v_pk_fma_f32 v[86:87], v[48:49], v[46:47], v[84:85] op_sel_hi:[1,0,1]
	v_pk_fma_f32 v[46:47], v[48:49], v[46:47], v[84:85] neg_lo:[0,0,1] neg_hi:[0,0,1]
	v_mov_b32_e32 v47, v87
	s_delay_alu instid0(VALU_DEP_1)
	v_pk_add_f32 v[40:41], v[40:41], v[46:47]
.LBB163_966:                            ;   in Loop: Header=BB163_3 Depth=1
	s_or_b32 exec_lo, exec_lo, s10
	s_mov_b32 s10, 0
	s_mov_b32 s66, 0
	ds_store_b64 v78, v[40:41]
	s_wait_dscnt 0x0
	s_barrier_signal -1
	s_barrier_wait -1
                                        ; implicit-def: $vgpr46_vgpr47
	s_and_saveexec_b32 s96, s7
	s_cbranch_execz .LBB163_992
; %bb.967:                              ;   in Loop: Header=BB163_3 Depth=1
	ds_load_2addr_stride64_b64 v[46:49], v79 offset0:1 offset1:2
	ds_load_2addr_stride64_b64 v[84:87], v79 offset0:3 offset1:4
	;; [unrolled: 1-line block ×3, first 2 shown]
	s_mov_b32 s66, exec_lo
	s_wait_dscnt 0x2
	v_pk_add_f32 v[40:41], v[40:41], v[46:47]
	s_delay_alu instid0(VALU_DEP_1) | instskip(SKIP_3) | instid1(VALU_DEP_1)
	v_pk_add_f32 v[40:41], v[40:41], v[48:49]
	ds_load_2addr_stride64_b64 v[46:49], v79 offset0:7 offset1:8
	s_wait_dscnt 0x2
	v_pk_add_f32 v[40:41], v[40:41], v[84:85]
	v_pk_add_f32 v[40:41], v[40:41], v[86:87]
	ds_load_2addr_stride64_b64 v[84:87], v79 offset0:9 offset1:10
	s_wait_dscnt 0x2
	v_pk_add_f32 v[40:41], v[40:41], v[88:89]
	s_delay_alu instid0(VALU_DEP_1) | instskip(SKIP_3) | instid1(VALU_DEP_1)
	v_pk_add_f32 v[40:41], v[40:41], v[90:91]
	ds_load_2addr_stride64_b64 v[88:91], v79 offset0:11 offset1:12
	s_wait_dscnt 0x2
	v_pk_add_f32 v[40:41], v[40:41], v[46:47]
	v_pk_add_f32 v[40:41], v[40:41], v[48:49]
	ds_load_2addr_stride64_b64 v[46:49], v79 offset0:13 offset1:14
	s_wait_dscnt 0x2
	v_pk_add_f32 v[40:41], v[40:41], v[84:85]
	ds_load_b64 v[84:85], v79 offset:7680
	v_pk_add_f32 v[40:41], v[40:41], v[86:87]
	s_wait_dscnt 0x2
	s_delay_alu instid0(VALU_DEP_1) | instskip(NEXT) | instid1(VALU_DEP_1)
	v_pk_add_f32 v[40:41], v[40:41], v[88:89]
	v_pk_add_f32 v[40:41], v[40:41], v[90:91]
	s_wait_dscnt 0x1
	s_delay_alu instid0(VALU_DEP_1) | instskip(NEXT) | instid1(VALU_DEP_1)
	v_pk_add_f32 v[40:41], v[40:41], v[46:47]
	v_pk_add_f32 v[40:41], v[40:41], v[48:49]
	s_wait_dscnt 0x0
	s_delay_alu instid0(VALU_DEP_1) | instskip(SKIP_1) | instid1(SALU_CYCLE_1)
	v_pk_add_f32 v[46:47], v[40:41], v[84:85]
	s_or_b32 exec_lo, exec_lo, s96
	s_and_b32 vcc_lo, exec_lo, s10
	s_cbranch_vccnz .LBB163_969
	s_branch .LBB163_993
.LBB163_968:                            ;   in Loop: Header=BB163_3 Depth=1
	s_mov_b32 s66, 0
                                        ; implicit-def: $vgpr46_vgpr47
	s_cbranch_execz .LBB163_993
.LBB163_969:                            ;   in Loop: Header=BB163_3 Depth=1
	v_dual_mov_b32 v0, v4 :: v_dual_mov_b32 v3, v53
	s_mov_b32 s10, 0
	s_branch .LBB163_971
.LBB163_970:                            ;   in Loop: Header=BB163_971 Depth=2
	s_or_b32 exec_lo, exec_lo, s11
	v_add_nc_u32_e32 v3, 0x800, v3
	v_add_nc_u32_e32 v0, -4, v0
	s_add_co_i32 s10, s10, 4
	s_delay_alu instid0(SALU_CYCLE_1)
	s_cmp_lg_u32 s10, 64
	s_barrier_signal -1
	s_barrier_wait -1
	s_cbranch_scc0 .LBB163_987
.LBB163_971:                            ;   Parent Loop BB163_3 Depth=1
                                        ; =>  This Inner Loop Header: Depth=2
	s_delay_alu instid0(VALU_DEP_1) | instskip(SKIP_1) | instid1(SALU_CYCLE_1)
	v_cmp_eq_u32_e32 vcc_lo, 0, v0
	s_and_b32 s0, s7, vcc_lo
	s_and_saveexec_b32 s11, s0
; %bb.972:                              ;   in Loop: Header=BB163_971 Depth=2
	ds_store_b64 v1, v[44:45] offset:41472
; %bb.973:                              ;   in Loop: Header=BB163_971 Depth=2
	s_or_b32 exec_lo, exec_lo, s11
	v_cmp_lt_u32_e32 vcc_lo, s10, v4
	s_wait_dscnt 0x0
	s_barrier_signal -1
	s_barrier_wait -1
	s_and_b32 s0, s7, vcc_lo
	s_delay_alu instid0(SALU_CYCLE_1)
	s_and_saveexec_b32 s11, s0
	s_cbranch_execz .LBB163_975
; %bb.974:                              ;   in Loop: Header=BB163_971 Depth=2
	ds_load_b64 v[40:41], v3
	ds_load_b64 v[46:47], v1 offset:41472
	s_wait_dscnt 0x0
	v_pk_mul_f32 v[48:49], v[46:47], v[40:41] op_sel:[1,1] op_sel_hi:[0,1]
	s_delay_alu instid0(VALU_DEP_1) | instskip(SKIP_1) | instid1(VALU_DEP_2)
	v_pk_fma_f32 v[84:85], v[46:47], v[40:41], v[48:49] op_sel_hi:[1,0,1]
	v_pk_fma_f32 v[40:41], v[46:47], v[40:41], v[48:49] neg_lo:[0,0,1] neg_hi:[0,0,1]
	v_mov_b32_e32 v41, v85
	s_delay_alu instid0(VALU_DEP_1)
	v_pk_add_f32 v[44:45], v[44:45], v[40:41]
.LBB163_975:                            ;   in Loop: Header=BB163_971 Depth=2
	s_or_b32 exec_lo, exec_lo, s11
	s_or_b32 s11, s10, 1
	s_delay_alu instid0(SALU_CYCLE_1) | instskip(SKIP_3) | instid1(SALU_CYCLE_1)
	v_cmp_eq_u32_e32 vcc_lo, s11, v4
	s_barrier_signal -1
	s_barrier_wait -1
	s_and_b32 s0, s7, vcc_lo
	s_and_saveexec_b32 s96, s0
; %bb.976:                              ;   in Loop: Header=BB163_971 Depth=2
	ds_store_b64 v1, v[44:45] offset:41472
; %bb.977:                              ;   in Loop: Header=BB163_971 Depth=2
	s_or_b32 exec_lo, exec_lo, s96
	v_cmp_lt_u32_e32 vcc_lo, s11, v4
	s_wait_dscnt 0x0
	s_barrier_signal -1
	s_barrier_wait -1
	s_and_b32 s0, s7, vcc_lo
	s_delay_alu instid0(SALU_CYCLE_1)
	s_and_saveexec_b32 s11, s0
	s_cbranch_execz .LBB163_979
; %bb.978:                              ;   in Loop: Header=BB163_971 Depth=2
	ds_load_b64 v[40:41], v3 offset:512
	ds_load_b64 v[46:47], v1 offset:41472
	s_wait_dscnt 0x0
	v_pk_mul_f32 v[48:49], v[46:47], v[40:41] op_sel:[1,1] op_sel_hi:[0,1]
	s_delay_alu instid0(VALU_DEP_1) | instskip(SKIP_1) | instid1(VALU_DEP_2)
	v_pk_fma_f32 v[84:85], v[46:47], v[40:41], v[48:49] op_sel_hi:[1,0,1]
	v_pk_fma_f32 v[40:41], v[46:47], v[40:41], v[48:49] neg_lo:[0,0,1] neg_hi:[0,0,1]
	v_mov_b32_e32 v41, v85
	s_delay_alu instid0(VALU_DEP_1)
	v_pk_add_f32 v[44:45], v[44:45], v[40:41]
.LBB163_979:                            ;   in Loop: Header=BB163_971 Depth=2
	s_or_b32 exec_lo, exec_lo, s11
	s_or_b32 s11, s10, 2
	s_delay_alu instid0(SALU_CYCLE_1) | instskip(SKIP_3) | instid1(SALU_CYCLE_1)
	v_cmp_eq_u32_e32 vcc_lo, s11, v4
	s_barrier_signal -1
	s_barrier_wait -1
	s_and_b32 s0, s7, vcc_lo
	s_and_saveexec_b32 s96, s0
; %bb.980:                              ;   in Loop: Header=BB163_971 Depth=2
	ds_store_b64 v1, v[44:45] offset:41472
; %bb.981:                              ;   in Loop: Header=BB163_971 Depth=2
	s_or_b32 exec_lo, exec_lo, s96
	v_cmp_lt_u32_e32 vcc_lo, s11, v4
	s_wait_dscnt 0x0
	s_barrier_signal -1
	s_barrier_wait -1
	s_and_b32 s0, s7, vcc_lo
	s_delay_alu instid0(SALU_CYCLE_1)
	s_and_saveexec_b32 s11, s0
	s_cbranch_execz .LBB163_983
; %bb.982:                              ;   in Loop: Header=BB163_971 Depth=2
	ds_load_b64 v[40:41], v3 offset:1024
	ds_load_b64 v[46:47], v1 offset:41472
	s_wait_dscnt 0x0
	v_pk_mul_f32 v[48:49], v[46:47], v[40:41] op_sel:[1,1] op_sel_hi:[0,1]
	s_delay_alu instid0(VALU_DEP_1) | instskip(SKIP_1) | instid1(VALU_DEP_2)
	v_pk_fma_f32 v[84:85], v[46:47], v[40:41], v[48:49] op_sel_hi:[1,0,1]
	v_pk_fma_f32 v[40:41], v[46:47], v[40:41], v[48:49] neg_lo:[0,0,1] neg_hi:[0,0,1]
	v_mov_b32_e32 v41, v85
	s_delay_alu instid0(VALU_DEP_1)
	v_pk_add_f32 v[44:45], v[44:45], v[40:41]
.LBB163_983:                            ;   in Loop: Header=BB163_971 Depth=2
	s_or_b32 exec_lo, exec_lo, s11
	s_or_b32 s11, s10, 3
	s_delay_alu instid0(SALU_CYCLE_1) | instskip(SKIP_3) | instid1(SALU_CYCLE_1)
	v_cmp_eq_u32_e32 vcc_lo, s11, v4
	s_barrier_signal -1
	s_barrier_wait -1
	s_and_b32 s0, s7, vcc_lo
	s_and_saveexec_b32 s96, s0
; %bb.984:                              ;   in Loop: Header=BB163_971 Depth=2
	ds_store_b64 v1, v[44:45] offset:41472
; %bb.985:                              ;   in Loop: Header=BB163_971 Depth=2
	s_or_b32 exec_lo, exec_lo, s96
	v_cmp_lt_u32_e32 vcc_lo, s11, v4
	s_wait_dscnt 0x0
	s_barrier_signal -1
	s_barrier_wait -1
	s_and_b32 s0, s7, vcc_lo
	s_delay_alu instid0(SALU_CYCLE_1)
	s_and_saveexec_b32 s11, s0
	s_cbranch_execz .LBB163_970
; %bb.986:                              ;   in Loop: Header=BB163_971 Depth=2
	ds_load_b64 v[40:41], v3 offset:1536
	ds_load_b64 v[46:47], v1 offset:41472
	s_wait_dscnt 0x0
	v_pk_mul_f32 v[48:49], v[46:47], v[40:41] op_sel:[1,1] op_sel_hi:[0,1]
	s_delay_alu instid0(VALU_DEP_1) | instskip(SKIP_1) | instid1(VALU_DEP_2)
	v_pk_fma_f32 v[84:85], v[46:47], v[40:41], v[48:49] op_sel_hi:[1,0,1]
	v_pk_fma_f32 v[40:41], v[46:47], v[40:41], v[48:49] neg_lo:[0,0,1] neg_hi:[0,0,1]
	v_mov_b32_e32 v41, v85
	s_delay_alu instid0(VALU_DEP_1)
	v_pk_add_f32 v[44:45], v[44:45], v[40:41]
	s_branch .LBB163_970
.LBB163_987:                            ;   in Loop: Header=BB163_3 Depth=1
	s_and_b32 vcc_lo, exec_lo, s101
	s_mov_b32 s10, -1
	s_cbranch_vccz .LBB163_989
; %bb.988:                              ;   in Loop: Header=BB163_3 Depth=1
	s_and_not1_b32 s0, s66, exec_lo
	s_and_b32 s1, s7, exec_lo
	s_mov_b32 s10, 0
	s_or_b32 s66, s0, s1
.LBB163_989:                            ;   in Loop: Header=BB163_3 Depth=1
	s_and_not1_b32 vcc_lo, exec_lo, s10
	s_cbranch_vccnz .LBB163_991
; %bb.990:                              ;   in Loop: Header=BB163_3 Depth=1
	v_readlane_b32 s1, v94, 10
	s_and_not1_b32 s0, s66, exec_lo
	s_and_b32 s1, s1, exec_lo
	s_delay_alu instid0(SALU_CYCLE_1)
	s_or_b32 s66, s0, s1
.LBB163_991:                            ;   in Loop: Header=BB163_3 Depth=1
	v_mov_b64_e32 v[40:41], v[12:13]
	s_and_saveexec_b32 s10, s66
	s_cbranch_execnz .LBB163_994
	s_branch .LBB163_995
.LBB163_992:                            ;   in Loop: Header=BB163_3 Depth=1
	s_or_b32 exec_lo, exec_lo, s96
	s_delay_alu instid0(SALU_CYCLE_1)
	s_and_b32 vcc_lo, exec_lo, s10
	s_cbranch_vccnz .LBB163_969
.LBB163_993:                            ;   in Loop: Header=BB163_3 Depth=1
	v_mov_b64_e32 v[44:45], v[46:47]
	v_mov_b64_e32 v[40:41], v[30:31]
	s_and_saveexec_b32 s10, s66
	s_cbranch_execz .LBB163_995
.LBB163_994:                            ;   in Loop: Header=BB163_3 Depth=1
	s_delay_alu instid0(VALU_DEP_1)
	v_lshl_add_u64 v[40:41], v[40:41], 3, v[42:43]
	flat_store_b64 v[40:41], v[44:45]
.LBB163_995:                            ;   in Loop: Header=BB163_3 Depth=1
	s_wait_xcnt 0x0
	s_or_b32 exec_lo, exec_lo, s10
	global_wb scope:SCOPE_DEV
	s_wait_storecnt_dscnt 0x0
	global_inv scope:SCOPE_DEV
	s_wait_loadcnt 0x0
	s_barrier_signal -1
	s_barrier_wait -1
	s_and_saveexec_b32 s10, s38
	s_cbranch_execz .LBB163_2
; %bb.996:                              ;   in Loop: Header=BB163_3 Depth=1
	s_lshl_b64 s[96:97], s[76:77], 2
	s_delay_alu instid0(SALU_CYCLE_1)
	s_add_nc_u64 s[96:97], s[84:85], s[96:97]
	global_load_b32 v0, v1, s[96:97]
	s_wait_loadcnt 0x0
	v_add_nc_u32_e32 v0, 1, v0
	global_store_b32 v1, v0, s[96:97]
	s_branch .LBB163_2
.LBB163_997:                            ;   in Loop: Header=BB163_3 Depth=1
	ds_load_b64 v[46:47], v58 offset:544
	ds_load_b64 v[48:49], v54 offset:8
	s_wait_dscnt 0x0
	v_dual_mul_f32 v0, v49, v47 :: v_dual_mul_f32 v3, v48, v47
	s_delay_alu instid0(VALU_DEP_1) | instskip(NEXT) | instid1(VALU_DEP_1)
	v_dual_fma_f32 v0, v48, v46, -v0 :: v_dual_fmac_f32 v3, v49, v46
	v_dual_add_f32 v44, v44, v0 :: v_dual_add_f32 v45, v45, v3
	s_or_b32 exec_lo, exec_lo, s11
	s_and_saveexec_b32 s11, s18
	s_cbranch_execz .LBB163_87
.LBB163_998:                            ;   in Loop: Header=BB163_3 Depth=1
	ds_load_b64 v[46:47], v57 offset:1056
	ds_load_b64 v[48:49], v54 offset:16
	s_wait_dscnt 0x0
	v_dual_mul_f32 v0, v49, v47 :: v_dual_mul_f32 v3, v48, v47
	s_delay_alu instid0(VALU_DEP_1) | instskip(NEXT) | instid1(VALU_DEP_1)
	v_dual_fma_f32 v0, v48, v46, -v0 :: v_dual_fmac_f32 v3, v49, v46
	v_dual_add_f32 v44, v44, v0 :: v_dual_add_f32 v45, v45, v3
	s_or_b32 exec_lo, exec_lo, s11
	s_and_saveexec_b32 s11, s3
	s_cbranch_execnz .LBB163_88
	s_branch .LBB163_89
.LBB163_999:                            ;   in Loop: Header=BB163_3 Depth=1
	ds_load_b64 v[46:47], v63 offset:576
	ds_load_b64 v[48:49], v59 offset:8
	s_wait_dscnt 0x0
	v_dual_mul_f32 v0, v49, v47 :: v_dual_mul_f32 v3, v48, v47
	s_delay_alu instid0(VALU_DEP_1) | instskip(NEXT) | instid1(VALU_DEP_1)
	v_dual_fma_f32 v0, v48, v46, -v0 :: v_dual_fmac_f32 v3, v49, v46
	v_dual_add_f32 v44, v44, v0 :: v_dual_add_f32 v45, v45, v3
	s_or_b32 exec_lo, exec_lo, s11
	s_and_saveexec_b32 s11, s20
	s_cbranch_execz .LBB163_125
.LBB163_1000:                           ;   in Loop: Header=BB163_3 Depth=1
	ds_load_b64 v[46:47], v63 offset:1088
	ds_load_b64 v[48:49], v59 offset:16
	s_wait_dscnt 0x0
	v_dual_mul_f32 v0, v49, v47 :: v_dual_mul_f32 v3, v48, v47
	s_delay_alu instid0(VALU_DEP_1) | instskip(NEXT) | instid1(VALU_DEP_1)
	v_dual_fma_f32 v0, v48, v46, -v0 :: v_dual_fmac_f32 v3, v49, v46
	v_dual_add_f32 v44, v44, v0 :: v_dual_add_f32 v45, v45, v3
	s_or_b32 exec_lo, exec_lo, s11
	s_and_saveexec_b32 s11, s21
	s_cbranch_execz .LBB163_126
.LBB163_1001:                           ;   in Loop: Header=BB163_3 Depth=1
	ds_load_b64 v[46:47], v63 offset:1600
	ds_load_b64 v[48:49], v59 offset:24
	s_wait_dscnt 0x0
	v_dual_mul_f32 v0, v49, v47 :: v_dual_mul_f32 v3, v48, v47
	s_delay_alu instid0(VALU_DEP_1) | instskip(NEXT) | instid1(VALU_DEP_1)
	v_dual_fma_f32 v0, v48, v46, -v0 :: v_dual_fmac_f32 v3, v49, v46
	v_dual_add_f32 v44, v44, v0 :: v_dual_add_f32 v45, v45, v3
	s_or_b32 exec_lo, exec_lo, s11
	s_and_saveexec_b32 s11, s22
	s_cbranch_execz .LBB163_127
.LBB163_1002:                           ;   in Loop: Header=BB163_3 Depth=1
	ds_load_b64 v[46:47], v62 offset:2112
	ds_load_b64 v[48:49], v59 offset:32
	s_wait_dscnt 0x0
	v_dual_mul_f32 v0, v49, v47 :: v_dual_mul_f32 v3, v48, v47
	s_delay_alu instid0(VALU_DEP_1) | instskip(NEXT) | instid1(VALU_DEP_1)
	v_dual_fma_f32 v0, v48, v46, -v0 :: v_dual_fmac_f32 v3, v49, v46
	v_dual_add_f32 v44, v44, v0 :: v_dual_add_f32 v45, v45, v3
	s_or_b32 exec_lo, exec_lo, s11
	s_and_saveexec_b32 s11, s23
	s_cbranch_execz .LBB163_128
.LBB163_1003:                           ;   in Loop: Header=BB163_3 Depth=1
	ds_load_b64 v[46:47], v63 offset:2624
	ds_load_b64 v[48:49], v59 offset:40
	s_wait_dscnt 0x0
	v_dual_mul_f32 v0, v49, v47 :: v_dual_mul_f32 v85, v48, v47
	s_delay_alu instid0(VALU_DEP_1) | instskip(NEXT) | instid1(VALU_DEP_1)
	v_dual_fma_f32 v84, v48, v46, -v0 :: v_dual_fmac_f32 v85, v49, v46
	v_pk_add_f32 v[44:45], v[44:45], v[84:85]
	s_or_b32 exec_lo, exec_lo, s11
	s_and_saveexec_b32 s11, s4
	s_cbranch_execz .LBB163_129
.LBB163_1004:                           ;   in Loop: Header=BB163_3 Depth=1
	ds_load_b64 v[46:47], v62 offset:3136
	ds_load_b64 v[48:49], v59 offset:48
	s_wait_dscnt 0x0
	v_pk_mul_f32 v[84:85], v[48:49], v[46:47] op_sel:[1,1] op_sel_hi:[0,1]
	s_delay_alu instid0(VALU_DEP_1) | instskip(SKIP_1) | instid1(VALU_DEP_2)
	v_pk_fma_f32 v[86:87], v[48:49], v[46:47], v[84:85] op_sel_hi:[1,0,1]
	v_pk_fma_f32 v[46:47], v[48:49], v[46:47], v[84:85] neg_lo:[0,0,1] neg_hi:[0,0,1]
	v_mov_b32_e32 v47, v87
	s_delay_alu instid0(VALU_DEP_1)
	v_pk_add_f32 v[44:45], v[44:45], v[46:47]
	s_or_b32 exec_lo, exec_lo, s11
	s_and_saveexec_b32 s11, s18
	s_cbranch_execnz .LBB163_130
	s_branch .LBB163_131
.LBB163_1005:                           ;   in Loop: Header=BB163_3 Depth=1
	ds_load_b64 v[46:47], v58 offset:4704
	ds_load_b64 v[48:49], v54 offset:4168
	s_wait_dscnt 0x0
	v_dual_mul_f32 v0, v49, v47 :: v_dual_mul_f32 v3, v48, v47
	s_delay_alu instid0(VALU_DEP_1) | instskip(NEXT) | instid1(VALU_DEP_1)
	v_dual_fma_f32 v0, v48, v46, -v0 :: v_dual_fmac_f32 v3, v49, v46
	v_dual_add_f32 v44, v44, v0 :: v_dual_add_f32 v45, v45, v3
	s_or_b32 exec_lo, exec_lo, s11
	s_and_saveexec_b32 s11, s18
	s_cbranch_execz .LBB163_183
.LBB163_1006:                           ;   in Loop: Header=BB163_3 Depth=1
	ds_load_b64 v[46:47], v57 offset:5216
	ds_load_b64 v[48:49], v54 offset:4176
	s_wait_dscnt 0x0
	v_dual_mul_f32 v0, v49, v47 :: v_dual_mul_f32 v3, v48, v47
	s_delay_alu instid0(VALU_DEP_1) | instskip(NEXT) | instid1(VALU_DEP_1)
	v_dual_fma_f32 v0, v48, v46, -v0 :: v_dual_fmac_f32 v3, v49, v46
	v_dual_add_f32 v44, v44, v0 :: v_dual_add_f32 v45, v45, v3
	s_or_b32 exec_lo, exec_lo, s11
	s_and_saveexec_b32 s11, s3
	s_cbranch_execnz .LBB163_184
	s_branch .LBB163_185
.LBB163_1007:                           ;   in Loop: Header=BB163_3 Depth=1
	ds_load_b64 v[46:47], v68 offset:5760
	ds_load_b64 v[48:49], v64 offset:88
	s_wait_dscnt 0x0
	v_dual_mul_f32 v0, v49, v47 :: v_dual_mul_f32 v3, v48, v47
	s_delay_alu instid0(VALU_DEP_1) | instskip(NEXT) | instid1(VALU_DEP_1)
	v_dual_fma_f32 v0, v48, v46, -v0 :: v_dual_fmac_f32 v3, v49, v46
	v_dual_add_f32 v44, v44, v0 :: v_dual_add_f32 v45, v45, v3
	s_or_b32 exec_lo, exec_lo, s10
	s_and_saveexec_b32 s10, s5
	s_cbranch_execz .LBB163_241
.LBB163_1008:                           ;   in Loop: Header=BB163_3 Depth=1
	ds_load_b64 v[46:47], v67 offset:6272
	ds_load_b64 v[48:49], v64 offset:96
	s_wait_dscnt 0x0
	v_dual_mul_f32 v0, v49, v47 :: v_dual_mul_f32 v3, v48, v47
	s_delay_alu instid0(VALU_DEP_1) | instskip(NEXT) | instid1(VALU_DEP_1)
	v_dual_fma_f32 v0, v48, v46, -v0 :: v_dual_fmac_f32 v3, v49, v46
	v_dual_add_f32 v44, v44, v0 :: v_dual_add_f32 v45, v45, v3
	s_or_b32 exec_lo, exec_lo, s10
	s_and_saveexec_b32 s10, s20
	s_cbranch_execz .LBB163_242
.LBB163_1009:                           ;   in Loop: Header=BB163_3 Depth=1
	ds_load_b64 v[46:47], v68 offset:6784
	ds_load_b64 v[48:49], v64 offset:104
	s_wait_dscnt 0x0
	v_dual_mul_f32 v0, v49, v47 :: v_dual_mul_f32 v3, v48, v47
	s_delay_alu instid0(VALU_DEP_1) | instskip(NEXT) | instid1(VALU_DEP_1)
	v_dual_fma_f32 v0, v48, v46, -v0 :: v_dual_fmac_f32 v3, v49, v46
	v_dual_add_f32 v44, v44, v0 :: v_dual_add_f32 v45, v45, v3
	s_or_b32 exec_lo, exec_lo, s10
	s_and_saveexec_b32 s10, s22
	s_cbranch_execz .LBB163_243
.LBB163_1010:                           ;   in Loop: Header=BB163_3 Depth=1
	ds_load_b64 v[46:47], v67 offset:7296
	ds_load_b64 v[48:49], v64 offset:112
	s_wait_dscnt 0x0
	v_dual_mul_f32 v0, v49, v47 :: v_dual_mul_f32 v3, v48, v47
	s_delay_alu instid0(VALU_DEP_1) | instskip(NEXT) | instid1(VALU_DEP_1)
	v_dual_fma_f32 v0, v48, v46, -v0 :: v_dual_fmac_f32 v3, v49, v46
	v_dual_add_f32 v44, v44, v0 :: v_dual_add_f32 v45, v45, v3
	s_or_b32 exec_lo, exec_lo, s10
	s_and_saveexec_b32 s10, s4
	s_cbranch_execnz .LBB163_244
	s_branch .LBB163_245
.LBB163_1011:                           ;   in Loop: Header=BB163_3 Depth=1
	ds_load_b64 v[46:47], v58 offset:8864
	ds_load_b64 v[48:49], v54 offset:8328
	s_wait_dscnt 0x0
	v_dual_mul_f32 v0, v49, v47 :: v_dual_mul_f32 v3, v48, v47
	s_delay_alu instid0(VALU_DEP_1) | instskip(NEXT) | instid1(VALU_DEP_1)
	v_dual_fma_f32 v0, v48, v46, -v0 :: v_dual_fmac_f32 v3, v49, v46
	v_dual_add_f32 v44, v44, v0 :: v_dual_add_f32 v45, v45, v3
	s_or_b32 exec_lo, exec_lo, s11
	s_and_saveexec_b32 s11, s18
	s_cbranch_execz .LBB163_329
.LBB163_1012:                           ;   in Loop: Header=BB163_3 Depth=1
	ds_load_b64 v[46:47], v57 offset:9376
	ds_load_b64 v[48:49], v54 offset:8336
	s_wait_dscnt 0x0
	v_dual_mul_f32 v0, v49, v47 :: v_dual_mul_f32 v3, v48, v47
	s_delay_alu instid0(VALU_DEP_1) | instskip(NEXT) | instid1(VALU_DEP_1)
	v_dual_fma_f32 v0, v48, v46, -v0 :: v_dual_fmac_f32 v3, v49, v46
	v_dual_add_f32 v44, v44, v0 :: v_dual_add_f32 v45, v45, v3
	s_or_b32 exec_lo, exec_lo, s11
	s_and_saveexec_b32 s11, s3
	s_cbranch_execnz .LBB163_330
	s_branch .LBB163_331
.LBB163_1013:                           ;   in Loop: Header=BB163_3 Depth=1
	ds_load_b64 v[46:47], v63 offset:8896
	ds_load_b64 v[48:49], v59 offset:8328
	s_wait_dscnt 0x0
	v_dual_mul_f32 v0, v49, v47 :: v_dual_mul_f32 v3, v48, v47
	s_delay_alu instid0(VALU_DEP_1) | instskip(NEXT) | instid1(VALU_DEP_1)
	v_dual_fma_f32 v0, v48, v46, -v0 :: v_dual_fmac_f32 v3, v49, v46
	v_dual_add_f32 v44, v44, v0 :: v_dual_add_f32 v45, v45, v3
	s_or_b32 exec_lo, exec_lo, s11
	s_and_saveexec_b32 s11, s20
	s_cbranch_execz .LBB163_367
.LBB163_1014:                           ;   in Loop: Header=BB163_3 Depth=1
	ds_load_b64 v[46:47], v63 offset:9408
	ds_load_b64 v[48:49], v59 offset:8336
	s_wait_dscnt 0x0
	v_dual_mul_f32 v0, v49, v47 :: v_dual_mul_f32 v3, v48, v47
	s_delay_alu instid0(VALU_DEP_1) | instskip(NEXT) | instid1(VALU_DEP_1)
	v_dual_fma_f32 v0, v48, v46, -v0 :: v_dual_fmac_f32 v3, v49, v46
	v_dual_add_f32 v44, v44, v0 :: v_dual_add_f32 v45, v45, v3
	s_or_b32 exec_lo, exec_lo, s11
	s_and_saveexec_b32 s11, s21
	s_cbranch_execz .LBB163_368
.LBB163_1015:                           ;   in Loop: Header=BB163_3 Depth=1
	ds_load_b64 v[46:47], v63 offset:9920
	ds_load_b64 v[48:49], v59 offset:8344
	s_wait_dscnt 0x0
	v_dual_mul_f32 v0, v49, v47 :: v_dual_mul_f32 v3, v48, v47
	s_delay_alu instid0(VALU_DEP_1) | instskip(NEXT) | instid1(VALU_DEP_1)
	v_dual_fma_f32 v0, v48, v46, -v0 :: v_dual_fmac_f32 v3, v49, v46
	v_dual_add_f32 v44, v44, v0 :: v_dual_add_f32 v45, v45, v3
	s_or_b32 exec_lo, exec_lo, s11
	s_and_saveexec_b32 s11, s22
	s_cbranch_execz .LBB163_369
.LBB163_1016:                           ;   in Loop: Header=BB163_3 Depth=1
	ds_load_b64 v[46:47], v62 offset:10432
	ds_load_b64 v[48:49], v59 offset:8352
	s_wait_dscnt 0x0
	v_dual_mul_f32 v0, v49, v47 :: v_dual_mul_f32 v3, v48, v47
	s_delay_alu instid0(VALU_DEP_1) | instskip(NEXT) | instid1(VALU_DEP_1)
	v_dual_fma_f32 v0, v48, v46, -v0 :: v_dual_fmac_f32 v3, v49, v46
	v_dual_add_f32 v44, v44, v0 :: v_dual_add_f32 v45, v45, v3
	s_or_b32 exec_lo, exec_lo, s11
	s_and_saveexec_b32 s11, s23
	s_cbranch_execz .LBB163_370
.LBB163_1017:                           ;   in Loop: Header=BB163_3 Depth=1
	ds_load_b64 v[46:47], v63 offset:10944
	ds_load_b64 v[48:49], v59 offset:8360
	s_wait_dscnt 0x0
	v_dual_mul_f32 v0, v49, v47 :: v_dual_mul_f32 v85, v48, v47
	s_delay_alu instid0(VALU_DEP_1) | instskip(NEXT) | instid1(VALU_DEP_1)
	v_dual_fma_f32 v84, v48, v46, -v0 :: v_dual_fmac_f32 v85, v49, v46
	v_pk_add_f32 v[44:45], v[44:45], v[84:85]
	s_or_b32 exec_lo, exec_lo, s11
	s_and_saveexec_b32 s11, s4
	s_cbranch_execz .LBB163_371
.LBB163_1018:                           ;   in Loop: Header=BB163_3 Depth=1
	ds_load_b64 v[46:47], v62 offset:11456
	ds_load_b64 v[48:49], v59 offset:8368
	s_wait_dscnt 0x0
	v_pk_mul_f32 v[84:85], v[48:49], v[46:47] op_sel:[1,1] op_sel_hi:[0,1]
	s_delay_alu instid0(VALU_DEP_1) | instskip(SKIP_1) | instid1(VALU_DEP_2)
	v_pk_fma_f32 v[86:87], v[48:49], v[46:47], v[84:85] op_sel_hi:[1,0,1]
	v_pk_fma_f32 v[46:47], v[48:49], v[46:47], v[84:85] neg_lo:[0,0,1] neg_hi:[0,0,1]
	v_mov_b32_e32 v47, v87
	s_delay_alu instid0(VALU_DEP_1)
	v_pk_add_f32 v[44:45], v[44:45], v[46:47]
	s_or_b32 exec_lo, exec_lo, s11
	s_and_saveexec_b32 s11, s18
	s_cbranch_execnz .LBB163_372
	s_branch .LBB163_373
.LBB163_1019:                           ;   in Loop: Header=BB163_3 Depth=1
	ds_load_b64 v[46:47], v58 offset:13024
	ds_load_b64 v[48:49], v54 offset:12488
	s_wait_dscnt 0x0
	v_dual_mul_f32 v0, v49, v47 :: v_dual_mul_f32 v3, v48, v47
	s_delay_alu instid0(VALU_DEP_1) | instskip(NEXT) | instid1(VALU_DEP_1)
	v_dual_fma_f32 v0, v48, v46, -v0 :: v_dual_fmac_f32 v3, v49, v46
	v_dual_add_f32 v44, v44, v0 :: v_dual_add_f32 v45, v45, v3
	s_or_b32 exec_lo, exec_lo, s11
	s_and_saveexec_b32 s11, s18
	s_cbranch_execz .LBB163_425
.LBB163_1020:                           ;   in Loop: Header=BB163_3 Depth=1
	ds_load_b64 v[46:47], v57 offset:13536
	ds_load_b64 v[48:49], v54 offset:12496
	s_wait_dscnt 0x0
	v_dual_mul_f32 v0, v49, v47 :: v_dual_mul_f32 v3, v48, v47
	s_delay_alu instid0(VALU_DEP_1) | instskip(NEXT) | instid1(VALU_DEP_1)
	v_dual_fma_f32 v0, v48, v46, -v0 :: v_dual_fmac_f32 v3, v49, v46
	v_dual_add_f32 v44, v44, v0 :: v_dual_add_f32 v45, v45, v3
	s_or_b32 exec_lo, exec_lo, s11
	s_and_saveexec_b32 s11, s3
	s_cbranch_execnz .LBB163_426
	s_branch .LBB163_427
.LBB163_1021:                           ;   in Loop: Header=BB163_3 Depth=1
	ds_load_b64 v[46:47], v3 offset:13568
	ds_load_b64 v[48:49], v0 offset:208
	s_wait_dscnt 0x0
	v_pk_mul_f32 v[84:85], v[48:49], v[46:47] op_sel:[1,1] op_sel_hi:[0,1]
	s_delay_alu instid0(VALU_DEP_1) | instskip(SKIP_1) | instid1(VALU_DEP_2)
	v_pk_fma_f32 v[86:87], v[48:49], v[46:47], v[84:85] op_sel_hi:[1,0,1]
	v_pk_fma_f32 v[46:47], v[48:49], v[46:47], v[84:85] neg_lo:[0,0,1] neg_hi:[0,0,1]
	v_mov_b32_e32 v47, v87
	s_delay_alu instid0(VALU_DEP_1)
	v_pk_add_f32 v[44:45], v[44:45], v[46:47]
	s_or_b32 exec_lo, exec_lo, s10
	s_and_saveexec_b32 s10, s13
	s_cbranch_execz .LBB163_513
.LBB163_1022:                           ;   in Loop: Header=BB163_3 Depth=1
	ds_load_b64 v[46:47], v3 offset:14080
	ds_load_b64 v[48:49], v0 offset:216
	s_wait_dscnt 0x0
	v_pk_mul_f32 v[84:85], v[48:49], v[46:47] op_sel:[1,1] op_sel_hi:[0,1]
	s_delay_alu instid0(VALU_DEP_1) | instskip(SKIP_1) | instid1(VALU_DEP_2)
	v_pk_fma_f32 v[86:87], v[48:49], v[46:47], v[84:85] op_sel_hi:[1,0,1]
	v_pk_fma_f32 v[46:47], v[48:49], v[46:47], v[84:85] neg_lo:[0,0,1] neg_hi:[0,0,1]
	v_mov_b32_e32 v47, v87
	s_delay_alu instid0(VALU_DEP_1)
	v_pk_add_f32 v[44:45], v[44:45], v[46:47]
	s_or_b32 exec_lo, exec_lo, s10
	s_and_saveexec_b32 s10, s14
	s_cbranch_execz .LBB163_514
.LBB163_1023:                           ;   in Loop: Header=BB163_3 Depth=1
	ds_load_b64 v[46:47], v3 offset:14592
	ds_load_b64 v[48:49], v0 offset:224
	s_wait_dscnt 0x0
	v_pk_mul_f32 v[84:85], v[48:49], v[46:47] op_sel:[1,1] op_sel_hi:[0,1]
	s_delay_alu instid0(VALU_DEP_1) | instskip(SKIP_1) | instid1(VALU_DEP_2)
	v_pk_fma_f32 v[86:87], v[48:49], v[46:47], v[84:85] op_sel_hi:[1,0,1]
	v_pk_fma_f32 v[46:47], v[48:49], v[46:47], v[84:85] neg_lo:[0,0,1] neg_hi:[0,0,1]
	v_mov_b32_e32 v47, v87
	s_delay_alu instid0(VALU_DEP_1)
	v_pk_add_f32 v[44:45], v[44:45], v[46:47]
	s_or_b32 exec_lo, exec_lo, s10
	s_and_saveexec_b32 s10, s15
	s_cbranch_execz .LBB163_515
.LBB163_1024:                           ;   in Loop: Header=BB163_3 Depth=1
	ds_load_b64 v[46:47], v3 offset:15104
	ds_load_b64 v[48:49], v0 offset:232
	s_wait_dscnt 0x0
	v_pk_mul_f32 v[84:85], v[48:49], v[46:47] op_sel:[1,1] op_sel_hi:[0,1]
	s_delay_alu instid0(VALU_DEP_1) | instskip(SKIP_1) | instid1(VALU_DEP_2)
	v_pk_fma_f32 v[86:87], v[48:49], v[46:47], v[84:85] op_sel_hi:[1,0,1]
	v_pk_fma_f32 v[46:47], v[48:49], v[46:47], v[84:85] neg_lo:[0,0,1] neg_hi:[0,0,1]
	v_mov_b32_e32 v47, v87
	s_delay_alu instid0(VALU_DEP_1)
	v_pk_add_f32 v[44:45], v[44:45], v[46:47]
	s_or_b32 exec_lo, exec_lo, s10
	s_and_saveexec_b32 s10, s5
	s_cbranch_execz .LBB163_516
.LBB163_1025:                           ;   in Loop: Header=BB163_3 Depth=1
	ds_load_b64 v[46:47], v3 offset:15616
	ds_load_b64 v[48:49], v0 offset:240
	s_wait_dscnt 0x0
	v_pk_mul_f32 v[84:85], v[48:49], v[46:47] op_sel:[1,1] op_sel_hi:[0,1]
	s_delay_alu instid0(VALU_DEP_1) | instskip(SKIP_1) | instid1(VALU_DEP_2)
	v_pk_fma_f32 v[86:87], v[48:49], v[46:47], v[84:85] op_sel_hi:[1,0,1]
	v_pk_fma_f32 v[46:47], v[48:49], v[46:47], v[84:85] neg_lo:[0,0,1] neg_hi:[0,0,1]
	v_mov_b32_e32 v47, v87
	s_delay_alu instid0(VALU_DEP_1)
	v_pk_add_f32 v[44:45], v[44:45], v[46:47]
	s_or_b32 exec_lo, exec_lo, s10
	s_and_saveexec_b32 s10, s22
	s_cbranch_execnz .LBB163_517
	s_branch .LBB163_518
.LBB163_1026:                           ;   in Loop: Header=BB163_3 Depth=1
	ds_load_b64 v[46:47], v58 offset:17184
	ds_load_b64 v[48:49], v54 offset:16648
	s_wait_dscnt 0x0
	v_dual_mul_f32 v0, v49, v47 :: v_dual_mul_f32 v3, v48, v47
	s_delay_alu instid0(VALU_DEP_1) | instskip(NEXT) | instid1(VALU_DEP_1)
	v_dual_fma_f32 v0, v48, v46, -v0 :: v_dual_fmac_f32 v3, v49, v46
	v_dual_add_f32 v44, v44, v0 :: v_dual_add_f32 v45, v45, v3
	s_or_b32 exec_lo, exec_lo, s11
	s_and_saveexec_b32 s11, s18
	s_cbranch_execz .LBB163_558
.LBB163_1027:                           ;   in Loop: Header=BB163_3 Depth=1
	ds_load_b64 v[46:47], v57 offset:17696
	ds_load_b64 v[48:49], v54 offset:16656
	s_wait_dscnt 0x0
	v_dual_mul_f32 v0, v49, v47 :: v_dual_mul_f32 v3, v48, v47
	s_delay_alu instid0(VALU_DEP_1) | instskip(NEXT) | instid1(VALU_DEP_1)
	v_dual_fma_f32 v0, v48, v46, -v0 :: v_dual_fmac_f32 v3, v49, v46
	v_dual_add_f32 v44, v44, v0 :: v_dual_add_f32 v45, v45, v3
	s_or_b32 exec_lo, exec_lo, s11
	s_and_saveexec_b32 s11, s3
	s_cbranch_execnz .LBB163_559
	s_branch .LBB163_560
.LBB163_1028:                           ;   in Loop: Header=BB163_3 Depth=1
	ds_load_b64 v[46:47], v63 offset:17216
	ds_load_b64 v[48:49], v59 offset:16648
	s_wait_dscnt 0x0
	v_dual_mul_f32 v0, v49, v47 :: v_dual_mul_f32 v3, v48, v47
	s_delay_alu instid0(VALU_DEP_1) | instskip(NEXT) | instid1(VALU_DEP_1)
	v_dual_fma_f32 v0, v48, v46, -v0 :: v_dual_fmac_f32 v3, v49, v46
	v_dual_add_f32 v44, v44, v0 :: v_dual_add_f32 v45, v45, v3
	s_or_b32 exec_lo, exec_lo, s11
	s_and_saveexec_b32 s11, s20
	s_cbranch_execz .LBB163_596
.LBB163_1029:                           ;   in Loop: Header=BB163_3 Depth=1
	ds_load_b64 v[46:47], v63 offset:17728
	ds_load_b64 v[48:49], v59 offset:16656
	s_wait_dscnt 0x0
	v_dual_mul_f32 v0, v49, v47 :: v_dual_mul_f32 v3, v48, v47
	s_delay_alu instid0(VALU_DEP_1) | instskip(NEXT) | instid1(VALU_DEP_1)
	v_dual_fma_f32 v0, v48, v46, -v0 :: v_dual_fmac_f32 v3, v49, v46
	v_dual_add_f32 v44, v44, v0 :: v_dual_add_f32 v45, v45, v3
	s_or_b32 exec_lo, exec_lo, s11
	s_and_saveexec_b32 s11, s21
	s_cbranch_execz .LBB163_597
.LBB163_1030:                           ;   in Loop: Header=BB163_3 Depth=1
	ds_load_b64 v[46:47], v63 offset:18240
	ds_load_b64 v[48:49], v59 offset:16664
	s_wait_dscnt 0x0
	v_dual_mul_f32 v0, v49, v47 :: v_dual_mul_f32 v3, v48, v47
	s_delay_alu instid0(VALU_DEP_1) | instskip(NEXT) | instid1(VALU_DEP_1)
	v_dual_fma_f32 v0, v48, v46, -v0 :: v_dual_fmac_f32 v3, v49, v46
	v_dual_add_f32 v44, v44, v0 :: v_dual_add_f32 v45, v45, v3
	s_or_b32 exec_lo, exec_lo, s11
	s_and_saveexec_b32 s11, s22
	s_cbranch_execz .LBB163_598
.LBB163_1031:                           ;   in Loop: Header=BB163_3 Depth=1
	ds_load_b64 v[46:47], v62 offset:18752
	ds_load_b64 v[48:49], v59 offset:16672
	s_wait_dscnt 0x0
	v_dual_mul_f32 v0, v49, v47 :: v_dual_mul_f32 v3, v48, v47
	s_delay_alu instid0(VALU_DEP_1) | instskip(NEXT) | instid1(VALU_DEP_1)
	v_dual_fma_f32 v0, v48, v46, -v0 :: v_dual_fmac_f32 v3, v49, v46
	v_dual_add_f32 v44, v44, v0 :: v_dual_add_f32 v45, v45, v3
	s_or_b32 exec_lo, exec_lo, s11
	s_and_saveexec_b32 s11, s23
	s_cbranch_execz .LBB163_599
.LBB163_1032:                           ;   in Loop: Header=BB163_3 Depth=1
	ds_load_b64 v[46:47], v63 offset:19264
	ds_load_b64 v[48:49], v59 offset:16680
	s_wait_dscnt 0x0
	v_dual_mul_f32 v0, v49, v47 :: v_dual_mul_f32 v85, v48, v47
	s_delay_alu instid0(VALU_DEP_1) | instskip(NEXT) | instid1(VALU_DEP_1)
	v_dual_fma_f32 v84, v48, v46, -v0 :: v_dual_fmac_f32 v85, v49, v46
	v_pk_add_f32 v[44:45], v[44:45], v[84:85]
	s_or_b32 exec_lo, exec_lo, s11
	s_and_saveexec_b32 s11, s4
	s_cbranch_execz .LBB163_600
.LBB163_1033:                           ;   in Loop: Header=BB163_3 Depth=1
	ds_load_b64 v[46:47], v62 offset:19776
	ds_load_b64 v[48:49], v59 offset:16688
	s_wait_dscnt 0x0
	v_pk_mul_f32 v[84:85], v[48:49], v[46:47] op_sel:[1,1] op_sel_hi:[0,1]
	s_delay_alu instid0(VALU_DEP_1) | instskip(SKIP_1) | instid1(VALU_DEP_2)
	v_pk_fma_f32 v[86:87], v[48:49], v[46:47], v[84:85] op_sel_hi:[1,0,1]
	v_pk_fma_f32 v[46:47], v[48:49], v[46:47], v[84:85] neg_lo:[0,0,1] neg_hi:[0,0,1]
	v_mov_b32_e32 v47, v87
	s_delay_alu instid0(VALU_DEP_1)
	v_pk_add_f32 v[44:45], v[44:45], v[46:47]
	s_or_b32 exec_lo, exec_lo, s11
	s_and_saveexec_b32 s11, s18
	s_cbranch_execnz .LBB163_601
	s_branch .LBB163_602
.LBB163_1034:                           ;   in Loop: Header=BB163_3 Depth=1
	ds_load_b64 v[46:47], v58 offset:21344
	ds_load_b64 v[48:49], v54 offset:20808
	s_wait_dscnt 0x0
	v_dual_mul_f32 v0, v49, v47 :: v_dual_mul_f32 v3, v48, v47
	s_delay_alu instid0(VALU_DEP_1) | instskip(NEXT) | instid1(VALU_DEP_1)
	v_dual_fma_f32 v0, v48, v46, -v0 :: v_dual_fmac_f32 v3, v49, v46
	v_dual_add_f32 v44, v44, v0 :: v_dual_add_f32 v45, v45, v3
	s_or_b32 exec_lo, exec_lo, s11
	s_and_saveexec_b32 s11, s18
	s_cbranch_execz .LBB163_654
.LBB163_1035:                           ;   in Loop: Header=BB163_3 Depth=1
	ds_load_b64 v[46:47], v57 offset:21856
	ds_load_b64 v[48:49], v54 offset:20816
	s_wait_dscnt 0x0
	v_dual_mul_f32 v0, v49, v47 :: v_dual_mul_f32 v3, v48, v47
	s_delay_alu instid0(VALU_DEP_1) | instskip(NEXT) | instid1(VALU_DEP_1)
	v_dual_fma_f32 v0, v48, v46, -v0 :: v_dual_fmac_f32 v3, v49, v46
	v_dual_add_f32 v44, v44, v0 :: v_dual_add_f32 v45, v45, v3
	s_or_b32 exec_lo, exec_lo, s11
	s_and_saveexec_b32 s11, s3
	s_cbranch_execnz .LBB163_655
	s_branch .LBB163_656
.LBB163_1036:                           ;   in Loop: Header=BB163_3 Depth=1
	ds_load_b64 v[46:47], v68 offset:22400
	ds_load_b64 v[48:49], v64 offset:16728
	s_wait_dscnt 0x0
	v_dual_mul_f32 v0, v49, v47 :: v_dual_mul_f32 v3, v48, v47
	s_delay_alu instid0(VALU_DEP_1) | instskip(NEXT) | instid1(VALU_DEP_1)
	v_dual_fma_f32 v0, v48, v46, -v0 :: v_dual_fmac_f32 v3, v49, v46
	v_dual_add_f32 v44, v44, v0 :: v_dual_add_f32 v45, v45, v3
	s_or_b32 exec_lo, exec_lo, s10
	s_and_saveexec_b32 s10, s5
	s_cbranch_execz .LBB163_712
.LBB163_1037:                           ;   in Loop: Header=BB163_3 Depth=1
	ds_load_b64 v[46:47], v67 offset:22912
	ds_load_b64 v[48:49], v64 offset:16736
	s_wait_dscnt 0x0
	v_dual_mul_f32 v0, v49, v47 :: v_dual_mul_f32 v3, v48, v47
	s_delay_alu instid0(VALU_DEP_1) | instskip(NEXT) | instid1(VALU_DEP_1)
	v_dual_fma_f32 v0, v48, v46, -v0 :: v_dual_fmac_f32 v3, v49, v46
	v_dual_add_f32 v44, v44, v0 :: v_dual_add_f32 v45, v45, v3
	s_or_b32 exec_lo, exec_lo, s10
	s_and_saveexec_b32 s10, s20
	s_cbranch_execz .LBB163_713
.LBB163_1038:                           ;   in Loop: Header=BB163_3 Depth=1
	ds_load_b64 v[46:47], v68 offset:23424
	ds_load_b64 v[48:49], v64 offset:16744
	s_wait_dscnt 0x0
	v_dual_mul_f32 v0, v49, v47 :: v_dual_mul_f32 v3, v48, v47
	s_delay_alu instid0(VALU_DEP_1) | instskip(NEXT) | instid1(VALU_DEP_1)
	v_dual_fma_f32 v0, v48, v46, -v0 :: v_dual_fmac_f32 v3, v49, v46
	v_dual_add_f32 v44, v44, v0 :: v_dual_add_f32 v45, v45, v3
	s_or_b32 exec_lo, exec_lo, s10
	s_and_saveexec_b32 s10, s22
	s_cbranch_execz .LBB163_714
.LBB163_1039:                           ;   in Loop: Header=BB163_3 Depth=1
	ds_load_b64 v[46:47], v67 offset:23936
	ds_load_b64 v[48:49], v64 offset:16752
	s_wait_dscnt 0x0
	v_dual_mul_f32 v0, v49, v47 :: v_dual_mul_f32 v3, v48, v47
	s_delay_alu instid0(VALU_DEP_1) | instskip(NEXT) | instid1(VALU_DEP_1)
	v_dual_fma_f32 v0, v48, v46, -v0 :: v_dual_fmac_f32 v3, v49, v46
	v_dual_add_f32 v44, v44, v0 :: v_dual_add_f32 v45, v45, v3
	s_or_b32 exec_lo, exec_lo, s10
	s_and_saveexec_b32 s10, s4
	s_cbranch_execnz .LBB163_715
	s_branch .LBB163_716
.LBB163_1040:                           ;   in Loop: Header=BB163_3 Depth=1
	ds_load_b64 v[46:47], v58 offset:25504
	ds_load_b64 v[48:49], v54 offset:24968
	s_wait_dscnt 0x0
	v_dual_mul_f32 v0, v49, v47 :: v_dual_mul_f32 v3, v48, v47
	s_delay_alu instid0(VALU_DEP_1) | instskip(NEXT) | instid1(VALU_DEP_1)
	v_dual_fma_f32 v0, v48, v46, -v0 :: v_dual_fmac_f32 v3, v49, v46
	v_dual_add_f32 v44, v44, v0 :: v_dual_add_f32 v45, v45, v3
	s_or_b32 exec_lo, exec_lo, s11
	s_and_saveexec_b32 s11, s18
	s_cbranch_execz .LBB163_800
.LBB163_1041:                           ;   in Loop: Header=BB163_3 Depth=1
	ds_load_b64 v[46:47], v57 offset:26016
	ds_load_b64 v[48:49], v54 offset:24976
	s_wait_dscnt 0x0
	v_dual_mul_f32 v0, v49, v47 :: v_dual_mul_f32 v3, v48, v47
	s_delay_alu instid0(VALU_DEP_1) | instskip(NEXT) | instid1(VALU_DEP_1)
	v_dual_fma_f32 v0, v48, v46, -v0 :: v_dual_fmac_f32 v3, v49, v46
	v_dual_add_f32 v44, v44, v0 :: v_dual_add_f32 v45, v45, v3
	s_or_b32 exec_lo, exec_lo, s11
	s_and_saveexec_b32 s11, s3
	s_cbranch_execnz .LBB163_801
	s_branch .LBB163_802
.LBB163_1042:                           ;   in Loop: Header=BB163_3 Depth=1
	ds_load_b64 v[46:47], v63 offset:25536
	ds_load_b64 v[48:49], v59 offset:24968
	s_wait_dscnt 0x0
	v_dual_mul_f32 v0, v49, v47 :: v_dual_mul_f32 v3, v48, v47
	s_delay_alu instid0(VALU_DEP_1) | instskip(NEXT) | instid1(VALU_DEP_1)
	v_dual_fma_f32 v0, v48, v46, -v0 :: v_dual_fmac_f32 v3, v49, v46
	v_dual_add_f32 v44, v44, v0 :: v_dual_add_f32 v45, v45, v3
	s_or_b32 exec_lo, exec_lo, s11
	s_and_saveexec_b32 s11, s20
	s_cbranch_execz .LBB163_838
.LBB163_1043:                           ;   in Loop: Header=BB163_3 Depth=1
	ds_load_b64 v[46:47], v63 offset:26048
	ds_load_b64 v[48:49], v59 offset:24976
	s_wait_dscnt 0x0
	v_dual_mul_f32 v0, v49, v47 :: v_dual_mul_f32 v3, v48, v47
	s_delay_alu instid0(VALU_DEP_1) | instskip(NEXT) | instid1(VALU_DEP_1)
	v_dual_fma_f32 v0, v48, v46, -v0 :: v_dual_fmac_f32 v3, v49, v46
	v_dual_add_f32 v44, v44, v0 :: v_dual_add_f32 v45, v45, v3
	s_or_b32 exec_lo, exec_lo, s11
	s_and_saveexec_b32 s11, s21
	s_cbranch_execz .LBB163_839
.LBB163_1044:                           ;   in Loop: Header=BB163_3 Depth=1
	ds_load_b64 v[46:47], v63 offset:26560
	ds_load_b64 v[48:49], v59 offset:24984
	s_wait_dscnt 0x0
	v_dual_mul_f32 v0, v49, v47 :: v_dual_mul_f32 v3, v48, v47
	s_delay_alu instid0(VALU_DEP_1) | instskip(NEXT) | instid1(VALU_DEP_1)
	v_dual_fma_f32 v0, v48, v46, -v0 :: v_dual_fmac_f32 v3, v49, v46
	v_dual_add_f32 v44, v44, v0 :: v_dual_add_f32 v45, v45, v3
	s_or_b32 exec_lo, exec_lo, s11
	s_and_saveexec_b32 s11, s22
	s_cbranch_execz .LBB163_840
.LBB163_1045:                           ;   in Loop: Header=BB163_3 Depth=1
	ds_load_b64 v[46:47], v62 offset:27072
	ds_load_b64 v[48:49], v59 offset:24992
	s_wait_dscnt 0x0
	v_dual_mul_f32 v0, v49, v47 :: v_dual_mul_f32 v3, v48, v47
	s_delay_alu instid0(VALU_DEP_1) | instskip(NEXT) | instid1(VALU_DEP_1)
	v_dual_fma_f32 v0, v48, v46, -v0 :: v_dual_fmac_f32 v3, v49, v46
	v_dual_add_f32 v44, v44, v0 :: v_dual_add_f32 v45, v45, v3
	s_or_b32 exec_lo, exec_lo, s11
	s_and_saveexec_b32 s11, s23
	s_cbranch_execz .LBB163_841
.LBB163_1046:                           ;   in Loop: Header=BB163_3 Depth=1
	ds_load_b64 v[46:47], v63 offset:27584
	ds_load_b64 v[48:49], v59 offset:25000
	s_wait_dscnt 0x0
	v_dual_mul_f32 v0, v49, v47 :: v_dual_mul_f32 v85, v48, v47
	s_delay_alu instid0(VALU_DEP_1) | instskip(NEXT) | instid1(VALU_DEP_1)
	v_dual_fma_f32 v84, v48, v46, -v0 :: v_dual_fmac_f32 v85, v49, v46
	v_pk_add_f32 v[44:45], v[44:45], v[84:85]
	s_or_b32 exec_lo, exec_lo, s11
	s_and_saveexec_b32 s11, s4
	s_cbranch_execz .LBB163_842
.LBB163_1047:                           ;   in Loop: Header=BB163_3 Depth=1
	ds_load_b64 v[46:47], v62 offset:28096
	ds_load_b64 v[48:49], v59 offset:25008
	s_wait_dscnt 0x0
	v_pk_mul_f32 v[84:85], v[48:49], v[46:47] op_sel:[1,1] op_sel_hi:[0,1]
	s_delay_alu instid0(VALU_DEP_1) | instskip(SKIP_1) | instid1(VALU_DEP_2)
	v_pk_fma_f32 v[86:87], v[48:49], v[46:47], v[84:85] op_sel_hi:[1,0,1]
	v_pk_fma_f32 v[46:47], v[48:49], v[46:47], v[84:85] neg_lo:[0,0,1] neg_hi:[0,0,1]
	v_mov_b32_e32 v47, v87
	s_delay_alu instid0(VALU_DEP_1)
	v_pk_add_f32 v[44:45], v[44:45], v[46:47]
	s_or_b32 exec_lo, exec_lo, s11
	s_and_saveexec_b32 s11, s18
	s_cbranch_execnz .LBB163_843
	s_branch .LBB163_844
.LBB163_1048:                           ;   in Loop: Header=BB163_3 Depth=1
	ds_load_b64 v[46:47], v58 offset:29664
	ds_load_b64 v[48:49], v54 offset:29128
	s_wait_dscnt 0x0
	v_dual_mul_f32 v0, v49, v47 :: v_dual_mul_f32 v3, v48, v47
	s_delay_alu instid0(VALU_DEP_1) | instskip(NEXT) | instid1(VALU_DEP_1)
	v_dual_fma_f32 v0, v48, v46, -v0 :: v_dual_fmac_f32 v3, v49, v46
	v_dual_add_f32 v44, v44, v0 :: v_dual_add_f32 v45, v45, v3
	s_or_b32 exec_lo, exec_lo, s11
	s_and_saveexec_b32 s11, s18
	s_cbranch_execz .LBB163_896
.LBB163_1049:                           ;   in Loop: Header=BB163_3 Depth=1
	ds_load_b64 v[46:47], v57 offset:30176
	ds_load_b64 v[48:49], v54 offset:29136
	s_wait_dscnt 0x0
	v_dual_mul_f32 v0, v49, v47 :: v_dual_mul_f32 v3, v48, v47
	s_delay_alu instid0(VALU_DEP_1) | instskip(NEXT) | instid1(VALU_DEP_1)
	v_dual_fma_f32 v0, v48, v46, -v0 :: v_dual_fmac_f32 v3, v49, v46
	v_dual_add_f32 v44, v44, v0 :: v_dual_add_f32 v45, v45, v3
	s_or_b32 exec_lo, exec_lo, s11
	s_and_saveexec_b32 s11, s3
	s_cbranch_execnz .LBB163_897
	s_branch .LBB163_898
.LBB163_1050:
	s_endpgm
	.section	.rodata,"a",@progbits
	.p2align	6, 0x0
	.amdhsa_kernel _ZL19rocblas_trsv_deviceILi64ELi16ELb1ELb0ELb0ELb1E19rocblas_complex_numIfES1_PKPKS1_PKPS1_EviT7_lllT6_T8_lllPii
		.amdhsa_group_segment_fixed_size 41480
		.amdhsa_private_segment_fixed_size 48
		.amdhsa_kernarg_size 352
		.amdhsa_user_sgpr_count 2
		.amdhsa_user_sgpr_dispatch_ptr 0
		.amdhsa_user_sgpr_queue_ptr 0
		.amdhsa_user_sgpr_kernarg_segment_ptr 1
		.amdhsa_user_sgpr_dispatch_id 0
		.amdhsa_user_sgpr_kernarg_preload_length 0
		.amdhsa_user_sgpr_kernarg_preload_offset 0
		.amdhsa_user_sgpr_private_segment_size 0
		.amdhsa_wavefront_size32 1
		.amdhsa_uses_dynamic_stack 0
		.amdhsa_enable_private_segment 1
		.amdhsa_system_sgpr_workgroup_id_x 1
		.amdhsa_system_sgpr_workgroup_id_y 0
		.amdhsa_system_sgpr_workgroup_id_z 1
		.amdhsa_system_sgpr_workgroup_info 0
		.amdhsa_system_vgpr_workitem_id 1
		.amdhsa_next_free_vgpr 95
		.amdhsa_next_free_sgpr 105
		.amdhsa_named_barrier_count 0
		.amdhsa_reserve_vcc 1
		.amdhsa_float_round_mode_32 0
		.amdhsa_float_round_mode_16_64 0
		.amdhsa_float_denorm_mode_32 3
		.amdhsa_float_denorm_mode_16_64 3
		.amdhsa_fp16_overflow 0
		.amdhsa_memory_ordered 1
		.amdhsa_forward_progress 1
		.amdhsa_inst_pref_size 255
		.amdhsa_round_robin_scheduling 0
		.amdhsa_exception_fp_ieee_invalid_op 0
		.amdhsa_exception_fp_denorm_src 0
		.amdhsa_exception_fp_ieee_div_zero 0
		.amdhsa_exception_fp_ieee_overflow 0
		.amdhsa_exception_fp_ieee_underflow 0
		.amdhsa_exception_fp_ieee_inexact 0
		.amdhsa_exception_int_div_zero 0
	.end_amdhsa_kernel
	.section	.text._ZL19rocblas_trsv_deviceILi64ELi16ELb1ELb0ELb0ELb1E19rocblas_complex_numIfES1_PKPKS1_PKPS1_EviT7_lllT6_T8_lllPii,"axG",@progbits,_ZL19rocblas_trsv_deviceILi64ELi16ELb1ELb0ELb0ELb1E19rocblas_complex_numIfES1_PKPKS1_PKPS1_EviT7_lllT6_T8_lllPii,comdat
.Lfunc_end163:
	.size	_ZL19rocblas_trsv_deviceILi64ELi16ELb1ELb0ELb0ELb1E19rocblas_complex_numIfES1_PKPKS1_PKPS1_EviT7_lllT6_T8_lllPii, .Lfunc_end163-_ZL19rocblas_trsv_deviceILi64ELi16ELb1ELb0ELb0ELb1E19rocblas_complex_numIfES1_PKPKS1_PKPS1_EviT7_lllT6_T8_lllPii
                                        ; -- End function
	.set _ZL19rocblas_trsv_deviceILi64ELi16ELb1ELb0ELb0ELb1E19rocblas_complex_numIfES1_PKPKS1_PKPS1_EviT7_lllT6_T8_lllPii.num_vgpr, 95
	.set _ZL19rocblas_trsv_deviceILi64ELi16ELb1ELb0ELb0ELb1E19rocblas_complex_numIfES1_PKPKS1_PKPS1_EviT7_lllT6_T8_lllPii.num_agpr, 0
	.set _ZL19rocblas_trsv_deviceILi64ELi16ELb1ELb0ELb0ELb1E19rocblas_complex_numIfES1_PKPKS1_PKPS1_EviT7_lllT6_T8_lllPii.numbered_sgpr, 105
	.set _ZL19rocblas_trsv_deviceILi64ELi16ELb1ELb0ELb0ELb1E19rocblas_complex_numIfES1_PKPKS1_PKPS1_EviT7_lllT6_T8_lllPii.num_named_barrier, 0
	.set _ZL19rocblas_trsv_deviceILi64ELi16ELb1ELb0ELb0ELb1E19rocblas_complex_numIfES1_PKPKS1_PKPS1_EviT7_lllT6_T8_lllPii.private_seg_size, 48
	.set _ZL19rocblas_trsv_deviceILi64ELi16ELb1ELb0ELb0ELb1E19rocblas_complex_numIfES1_PKPKS1_PKPS1_EviT7_lllT6_T8_lllPii.uses_vcc, 1
	.set _ZL19rocblas_trsv_deviceILi64ELi16ELb1ELb0ELb0ELb1E19rocblas_complex_numIfES1_PKPKS1_PKPS1_EviT7_lllT6_T8_lllPii.uses_flat_scratch, 0
	.set _ZL19rocblas_trsv_deviceILi64ELi16ELb1ELb0ELb0ELb1E19rocblas_complex_numIfES1_PKPKS1_PKPS1_EviT7_lllT6_T8_lllPii.has_dyn_sized_stack, 0
	.set _ZL19rocblas_trsv_deviceILi64ELi16ELb1ELb0ELb0ELb1E19rocblas_complex_numIfES1_PKPKS1_PKPS1_EviT7_lllT6_T8_lllPii.has_recursion, 0
	.set _ZL19rocblas_trsv_deviceILi64ELi16ELb1ELb0ELb0ELb1E19rocblas_complex_numIfES1_PKPKS1_PKPS1_EviT7_lllT6_T8_lllPii.has_indirect_call, 0
	.section	.AMDGPU.csdata,"",@progbits
; Kernel info:
; codeLenInByte = 34892
; TotalNumSgprs: 107
; NumVgprs: 95
; ScratchSize: 48
; MemoryBound: 0
; FloatMode: 240
; IeeeMode: 1
; LDSByteSize: 41480 bytes/workgroup (compile time only)
; SGPRBlocks: 0
; VGPRBlocks: 5
; NumSGPRsForWavesPerEU: 107
; NumVGPRsForWavesPerEU: 95
; NamedBarCnt: 0
; Occupancy: 10
; WaveLimiterHint : 1
; COMPUTE_PGM_RSRC2:SCRATCH_EN: 1
; COMPUTE_PGM_RSRC2:USER_SGPR: 2
; COMPUTE_PGM_RSRC2:TRAP_HANDLER: 0
; COMPUTE_PGM_RSRC2:TGID_X_EN: 1
; COMPUTE_PGM_RSRC2:TGID_Y_EN: 0
; COMPUTE_PGM_RSRC2:TGID_Z_EN: 1
; COMPUTE_PGM_RSRC2:TIDIG_COMP_CNT: 1
	.section	.text._ZL19rocblas_trsv_deviceILi64ELi16ELb1ELb1ELb0ELb1E19rocblas_complex_numIfES1_PKPKS1_PKPS1_EviT7_lllT6_T8_lllPii,"axG",@progbits,_ZL19rocblas_trsv_deviceILi64ELi16ELb1ELb1ELb0ELb1E19rocblas_complex_numIfES1_PKPKS1_PKPS1_EviT7_lllT6_T8_lllPii,comdat
	.globl	_ZL19rocblas_trsv_deviceILi64ELi16ELb1ELb1ELb0ELb1E19rocblas_complex_numIfES1_PKPKS1_PKPS1_EviT7_lllT6_T8_lllPii ; -- Begin function _ZL19rocblas_trsv_deviceILi64ELi16ELb1ELb1ELb0ELb1E19rocblas_complex_numIfES1_PKPKS1_PKPS1_EviT7_lllT6_T8_lllPii
	.p2align	8
	.type	_ZL19rocblas_trsv_deviceILi64ELi16ELb1ELb1ELb0ELb1E19rocblas_complex_numIfES1_PKPKS1_PKPS1_EviT7_lllT6_T8_lllPii,@function
_ZL19rocblas_trsv_deviceILi64ELi16ELb1ELb1ELb0ELb1E19rocblas_complex_numIfES1_PKPKS1_PKPS1_EviT7_lllT6_T8_lllPii: ; @_ZL19rocblas_trsv_deviceILi64ELi16ELb1ELb1ELb0ELb1E19rocblas_complex_numIfES1_PKPKS1_PKPS1_EviT7_lllT6_T8_lllPii
; %bb.0:
	s_load_b32 s6, s[0:1], 0x58
	s_bfe_u32 s2, ttmp6, 0x40014
	s_lshr_b32 s3, ttmp7, 16
	s_add_co_i32 s2, s2, 1
	s_bfe_u32 s5, ttmp6, 0x40008
	s_mul_i32 s4, s3, s2
	s_getreg_b32 s2, hwreg(HW_REG_IB_STS2, 6, 4)
	s_add_co_i32 s5, s5, s4
	s_cmp_eq_u32 s2, 0
	s_mov_b32 s73, 0
	s_cselect_b32 s72, s3, s5
                                        ; implicit-def: $vgpr106 : SGPR spill to VGPR lane
	s_wait_kmcnt 0x0
	s_cmp_ge_u32 s72, s6
	v_writelane_b32 v106, s6, 0
	s_cbranch_scc1 .LBB164_1112
; %bb.1:
	s_clause 0x2
	s_load_b32 s3, s[0:1], 0x6c
	s_load_b32 s89, s[0:1], 0x60
	;; [unrolled: 1-line block ×3, first 2 shown]
	s_bfe_u32 s5, ttmp6, 0x4000c
	s_and_b32 s4, ttmp6, 15
	s_add_co_i32 s5, s5, 1
	v_and_b32_e32 v4, 0x3ff, v0
	s_mul_i32 s5, ttmp9, s5
	v_bfe_u32 v6, v0, 10, 10
	s_add_co_i32 s4, s4, s5
	s_cmp_eq_u32 s2, 0
	s_clause 0x1
	s_load_b64 s[14:15], s[0:1], 0x18
	s_load_b64 s[36:37], s[0:1], 0x28
	s_cselect_b32 s88, ttmp9, s4
	v_dual_mov_b32 v3, 0 :: v_dual_lshlrev_b32 v7, 6, v4
	v_add_nc_u32_e32 v2, 16, v6
	v_lshl_add_u32 v36, v6, 6, v4
	v_cmp_gt_u32_e64 s6, 2, v4
	s_delay_alu instid0(VALU_DEP_4)
	v_dual_mov_b32 v9, v3 :: v_dual_add_nc_u32 v30, 32, v6
	v_add_nc_u32_e32 v32, 48, v6
	s_wait_kmcnt 0x0
	s_and_b32 s2, s3, 0xffff
	s_add_co_i32 s3, s74, -1
	s_ashr_i32 s75, s74, 31
	s_ashr_i32 s4, s3, 31
	s_lshr_b32 s5, s75, 26
	s_lshr_b32 s4, s4, 26
	s_add_co_i32 s5, s74, s5
	s_add_co_i32 s89, s89, -1
	s_add_co_i32 s3, s3, s4
	s_and_not1_b32 s5, s5, 63
	s_sub_co_i32 s55, s89, s88
	s_ashr_i32 s3, s3, 6
	s_sub_co_i32 s20, s74, s5
	s_cmp_eq_u32 s3, s55
	v_lshl_add_u32 v14, v2, 6, v4
	s_cselect_b32 s3, -1, 0
	s_cmp_lg_u32 s20, 0
	v_mad_u32_u24 v8, v6, s2, v4
	s_cselect_b32 s4, -1, 0
	s_clause 0x1
	s_load_b64 s[78:79], s[0:1], 0x40
	s_load_b64 s[80:81], s[0:1], 0x50
	s_and_b32 s21, s4, s3
	s_add_nc_u64 s[4:5], s[14:15], 1
	s_xor_b32 s90, s21, -1
	s_cmp_lg_u32 s88, 0
	v_cmp_gt_i32_e64 s8, s20, v4
	s_cselect_b32 s3, -1, 0
	s_lshl_b32 s18, s55, 6
	s_cmp_lt_i32 s88, 5
	v_dual_add_nc_u32 v26, s18, v6 :: v_dual_add_nc_u32 v22, s18, v4
	v_add_nc_u32_e32 v1, v6, v7
	v_add_nc_u32_e32 v5, v2, v7
	s_cselect_b32 vcc_lo, -1, 0
	s_delay_alu instid0(VALU_DEP_3) | instskip(NEXT) | instid1(VALU_DEP_3)
	v_add_nc_u32_e32 v10, 64, v26
	v_dual_ashrrev_i32 v23, 31, v22 :: v_dual_cndmask_b32 v27, v36, v1, vcc_lo
	s_or_b32 vcc_lo, vcc_lo, s21
	s_delay_alu instid0(SALU_CYCLE_1) | instskip(NEXT) | instid1(VALU_DEP_3)
	v_dual_cndmask_b32 v28, v14, v5, vcc_lo :: v_dual_bitop2_b32 v1, 1, v0 bitop3:0x40
	v_ashrrev_i32_e32 v11, 31, v10
	s_ashr_i32 s19, s18, 31
	v_writelane_b32 v106, s3, 1
	s_mul_u64 s[16:17], s[4:5], s[18:19]
	v_cmp_eq_u32_e64 s5, 1, v1
	v_dual_lshrrev_b32 v5, 10, v0 :: v_dual_lshlrev_b32 v15, 3, v1
	v_dual_lshrrev_b32 v14, 1, v36 :: v_dual_lshrrev_b32 v1, 2, v36
	v_cmp_gt_u32_e64 s3, 4, v36
	s_xor_b32 s4, s5, -1
	v_bitop3_b32 v37, v0, v5, 0x3ff bitop3:0xa8
	v_lshl_add_u32 v5, v14, 3, 0x8000
	v_lshl_or_b32 v48, v14, 9, v15
	v_mul_u32_u24_e32 v49, 0x208, v14
	v_dual_lshlrev_b32 v50, 3, v4 :: v_dual_lshlrev_b32 v15, 3, v1
	s_and_b32 s93, s4, s3
	v_cmp_eq_u32_e64 s4, 0, v6
	v_mul_u32_u24_e32 v51, 0x208, v1
	v_and_b32_e32 v14, 3, v0
	s_and_b32 s94, s5, s3
	v_cmp_gt_u32_e64 s5, 16, v36
	s_and_b32 s95, s4, s6
	v_dual_sub_nc_u32 v16, v51, v15 :: v_dual_lshlrev_b32 v52, 3, v14
	v_cmp_eq_u32_e64 s6, 0, v14
	v_cmp_ne_u32_e64 s7, 0, v14
	v_cmp_eq_u32_e64 s9, 1, v14
	v_cmp_eq_u32_e64 s10, 2, v14
	v_lshl_or_b32 v55, v1, 9, v52
	s_and_b32 s96, s6, s5
	v_cmp_lt_u32_e64 s6, 1, v14
	v_lshrrev_b32_e32 v1, 3, v36
	s_and_b32 s97, s7, s5
	v_cmp_eq_u32_e64 s7, 3, v14
	s_and_b32 s98, s9, s5
	s_and_b32 s99, s6, s5
	v_cmp_gt_u32_e64 s6, 4, v4
	v_mul_u32_u24_e32 v60, 0x208, v1
	v_and_b32_e32 v14, 7, v0
	s_and_b32 s101, s7, s5
	s_and_b32 s100, s10, s5
	;; [unrolled: 1-line block ×3, first 2 shown]
	v_cmp_gt_u32_e64 s6, 64, v36
	v_cmp_eq_u32_e64 s7, 0, v14
	v_cmp_ne_u32_e64 s9, 0, v14
	v_cmp_eq_u32_e64 s10, 1, v14
	v_cmp_eq_u32_e64 s11, 3, v14
	v_cmp_lt_u32_e64 s12, 3, v14
	s_and_b32 s103, s7, s6
	s_and_b32 s104, s9, s6
	v_cmp_lt_u32_e64 s7, 1, v14
	v_cmp_eq_u32_e64 s9, 2, v14
	s_and_b32 vcc_hi, s10, s6
	v_cmp_lt_u32_e64 s10, 2, v14
	v_dual_add_nc_u32 v56, v16, v52 :: v_dual_lshlrev_b32 v61, 3, v14
	s_and_b32 s38, s7, s6
	s_and_b32 s39, s9, s6
	v_cmp_eq_u32_e64 s7, 4, v14
	v_cmp_lt_u32_e64 s9, 4, v14
	s_and_b32 s40, s10, s6
	s_and_b32 s41, s11, s6
	;; [unrolled: 1-line block ×3, first 2 shown]
	v_cmp_eq_u32_e64 s10, 5, v14
	v_cmp_lt_u32_e64 s11, 5, v14
	v_cmp_eq_u32_e64 s12, 6, v14
	s_and_b32 s44, s7, s6
	s_and_b32 s45, s9, s6
	v_cmp_eq_u32_e64 s7, 7, v14
	v_cmp_gt_u32_e64 s9, 8, v4
	v_and_b32_e32 v14, 15, v0
	s_and_b32 s46, s10, s6
	s_and_b32 s47, s11, s6
	;; [unrolled: 1-line block ×4, first 2 shown]
	v_cmp_gt_u32_e64 s7, 0x100, v36
	v_cmp_eq_u32_e64 s9, 0, v14
	v_cmp_ne_u32_e64 s10, 0, v14
	v_cmp_eq_u32_e64 s11, 1, v14
	s_and_b32 s48, s12, s6
	v_cmp_eq_u32_e64 s12, 2, v14
	s_and_b32 s9, s9, s7
	s_and_b32 s10, s10, s7
	v_writelane_b32 v106, s9, 2
	v_cmp_lt_u32_e64 s9, 1, v14
	v_lshlrev_b32_e32 v70, 3, v14
	v_add_nc_u64_e32 v[24:25], s[18:19], v[8:9]
	v_add_nc_u32_e32 v9, v30, v7
	v_writelane_b32 v106, s10, 3
	s_and_b32 s10, s11, s7
	s_and_b32 s9, s9, s7
	v_cmp_lt_u32_e64 s11, 3, v14
	v_lshl_or_b32 v64, v1, 9, v61
	v_writelane_b32 v106, s10, 4
	v_cmp_lt_u32_e64 s10, 2, v14
	s_xor_b32 s92, vcc_lo, -1
	s_xor_b32 s56, s37, 0x80000000
	v_mul_u64_e32 v[12:13], s[14:15], v[22:23]
	v_writelane_b32 v106, s9, 5
	s_and_b32 s9, s12, s7
	s_and_b32 s10, s10, s7
	v_cmp_lt_u32_e64 s12, 4, v14
	v_cmp_gt_i32_e64 s2, s74, v22
	v_writelane_b32 v106, s9, 6
	v_cmp_eq_u32_e64 s9, 3, v14
	v_dual_mov_b32 v31, v3 :: v_dual_add_nc_u32 v34, 0x60, v26
	s_and_b32 s60, s12, s7
	v_writelane_b32 v106, s10, 7
	s_and_b32 s9, s9, s7
	v_cmp_eq_u32_e64 s10, 4, v14
	v_cmp_eq_u32_e64 s12, 7, v14
	v_mov_b32_e32 v33, v3
	v_writelane_b32 v106, s9, 8
	s_and_b32 s9, s11, s7
	s_and_b32 s59, s10, s7
	v_cmp_lt_u32_e64 s10, 5, v14
	v_cmp_eq_u32_e64 s11, 6, v14
	v_writelane_b32 v106, s9, 9
	v_cmp_eq_u32_e64 s9, 5, v14
	s_and_b32 s27, s12, s7
	s_and_b32 s13, s10, s7
	v_cmp_lt_u32_e64 s10, 7, v14
	s_and_b32 s23, s11, s7
	s_and_b32 s61, s9, s7
	v_cmp_lt_u32_e64 s9, 6, v14
	v_cmp_lt_u32_e64 s11, 8, v14
	s_and_b32 s29, s10, s7
	v_cmp_eq_u32_e64 s10, 9, v14
	v_cmp_lt_u32_e64 s12, 9, v14
	s_and_b32 s25, s9, s7
	v_cmp_eq_u32_e64 s9, 8, v14
	s_and_b32 s34, s11, s7
	s_and_b32 s42, s10, s7
	v_cmp_lt_u32_e64 s10, 10, v14
	s_and_b32 s82, s12, s7
	s_and_b32 s31, s9, s7
	v_cmp_eq_u32_e64 s9, 10, v14
	v_cmp_eq_u32_e64 s11, 11, v14
	;; [unrolled: 1-line block ×3, first 2 shown]
	s_and_b32 s76, s10, s7
	v_cmp_lt_u32_e64 s10, 12, v14
	s_and_b32 s83, s9, s7
	v_cmp_lt_u32_e64 s9, 11, v14
	s_and_b32 s77, s11, s7
	s_and_b32 s26, s12, s7
	v_cmp_lt_u32_e64 s11, 13, v14
	s_and_b32 s28, s10, s7
	s_and_b32 s24, s9, s7
	v_cmp_eq_u32_e64 s9, 13, v14
	v_cmp_eq_u32_e64 s10, 14, v14
	;; [unrolled: 1-line block ×3, first 2 shown]
	v_lshl_add_u32 v14, v30, 6, v4
	v_add_nc_u32_e32 v54, 0x8000, v15
	v_dual_lshrrev_b32 v1, 4, v36 :: v_dual_bitop2_b32 v15, -8, v36 bitop3:0x40
	s_and_b32 s30, s9, s7
	v_cmp_gt_u32_e64 s9, 16, v4
	s_and_b32 s91, s10, s7
	v_add_nc_u32_e32 v63, 0x8000, v15
	v_sub_nc_u32_e32 v15, v60, v15
	v_mul_u32_u24_e32 v68, 0x208, v1
	v_cmp_le_i32_e64 s10, s20, v4
	s_and_b32 s51, s4, s9
	v_cmp_gt_u32_e64 s9, 32, v4
	v_add_nc_u32_e32 v65, v15, v61
	v_lshlrev_b32_e32 v15, 3, v1
	s_and_b32 s52, s10, s21
	v_lshl_or_b32 v72, v1, 9, v70
	s_and_b32 s33, s11, s7
	s_delay_alu instid0(VALU_DEP_2)
	v_dual_lshrrev_b32 v1, 5, v36 :: v_dual_sub_nc_u32 v16, v68, v15
	v_add_nc_u32_e32 v71, 0x8000, v15
	s_xor_b32 s11, s52, -1
	s_and_b32 s9, s4, s9
	v_add_nc_u32_e32 v15, v32, v7
	v_dual_add_nc_u32 v73, v16, v70 :: v_dual_bitop2_b32 v74, 31, v0 bitop3:0x40
	v_lshl_add_u32 v16, v32, 6, v4
	s_and_b32 s63, s12, s7
	v_writelane_b32 v106, s9, 10
	s_and_b32 s53, s4, s11
	s_cmp_gt_i32 s88, 0
	v_dual_lshlrev_b32 v75, 3, v1 :: v_dual_lshlrev_b32 v76, 9, v1
	s_wait_kmcnt 0x0
	v_mul_u64_e32 v[0:1], s[78:79], v[22:23]
	s_cselect_b32 s54, -1, 0
	v_add_nc_u32_e32 v23, 0x50, v26
	v_dual_cndmask_b32 v35, v14, v9, vcc_lo :: v_dual_mov_b32 v7, v3
	v_dual_cndmask_b32 v39, v16, v15, vcc_lo :: v_dual_lshlrev_b32 v79, 3, v28
	v_cmp_le_i32_e32 vcc_lo, s20, v6
	v_cmp_gt_i32_e64 s12, s74, v10
	s_and_b32 s8, s4, s8
	s_clause 0x1
	s_load_b128 s[64:67], s[0:1], 0x8
	s_load_b128 s[68:71], s[0:1], 0x30
	v_writelane_b32 v106, s8, 11
	v_mul_u64_e32 v[14:15], s[14:15], v[30:31]
	v_mul_u64_e32 v[16:17], s[14:15], v[32:33]
	;; [unrolled: 1-line block ×4, first 2 shown]
	s_wait_xcnt 0x0
	v_cmp_le_i32_e64 s1, s20, v2
	s_or_b32 s14, vcc_lo, s10
	v_cmp_gt_i32_e32 vcc_lo, s74, v23
	s_and_b32 s8, s12, s2
	v_cmp_le_u32_e64 s0, v4, v6
	v_writelane_b32 v106, s8, 12
	s_or_b32 s15, s1, s10
	v_cmp_gt_i32_e64 s1, s74, v34
	s_and_b32 s8, vcc_lo, s2
	v_cmp_le_i32_e64 s9, s20, v30
	v_writelane_b32 v106, s8, 13
	v_cmp_le_i32_e64 s11, s20, v32
	s_and_b32 s1, s1, s2
	s_mov_b32 s57, s37
	s_or_b32 s9, s9, s10
	v_writelane_b32 v106, s1, 14
	s_or_b32 s1, s14, s0
	s_or_b32 s10, s11, s10
	s_mov_b32 s37, s36
	v_add_max_i32_e64 v40, 0x70, v26, v22
	v_writelane_b32 v106, s1, 15
	v_cmp_le_u32_e64 s1, v4, v2
	v_mul_u32_u24_e32 v29, 0x1f8, v4
	v_mul_i32_i24_e32 v38, 0xfffffe08, v4
	v_cmp_le_i32_e64 s11, s74, v40
	v_dual_lshlrev_b32 v2, 3, v4 :: v_dual_bitop2_b32 v41, v2, v4 bitop3:0x54
	s_or_b32 s8, s15, s1
	v_cmp_gt_u32_e64 s12, 64, v37
	v_writelane_b32 v106, s8, 16
	v_cmp_le_u32_e64 s8, v4, v30
	v_add_lshl_u32 v33, v29, v38, 2
	v_dual_lshlrev_b32 v86, 3, v74 :: v_dual_bitop2_b32 v38, v30, v4 bitop3:0x54
	v_mad_u32_u24 v53, 0x1f8, v4, v50
	s_or_b32 s9, s9, s8
                                        ; implicit-def: $vgpr97 : SGPR spill to VGPR lane
	v_mul_u64_e32 v[22:23], s[78:79], v[24:25]
	v_writelane_b32 v106, s9, 17
	v_cmp_le_u32_e64 s9, v4, v32
	v_mad_i32_i24 v57, 0xfffffe08, v4, v53
	v_mbcnt_lo_u32_b32 v24, -1, 0
	v_lshlrev_b32_e32 v78, 3, v27
	v_dual_lshlrev_b32 v80, 3, v35 :: v_dual_lshlrev_b32 v26, 3, v6
	s_or_b32 s10, s10, s9
	v_mad_u32_u24 v58, 0x1f8, v4, v57
	v_writelane_b32 v106, s10, 18
	v_dual_mov_b32 v34, 0 :: v_dual_lshlrev_b32 v35, 20, v24
	v_or_b32_e32 v84, 0xa000, v26
	s_delay_alu instid0(VALU_DEP_4)
	v_mad_i32_i24 v59, 0xfffffe08, v4, v58
	v_writelane_b32 v106, s56, 19
	v_add3_u32 v92, v50, v33, 0x7800
	v_add_nc_u64_e32 v[24:25], src_flat_scratch_base_lo, v[34:35]
	v_mov_b32_e32 v34, 8
	v_mad_u32_u24 v62, 0x1f8, v4, v59
	v_writelane_b32 v106, s57, 20
	v_cmp_lt_u32_e32 vcc_lo, 0x3ff, v36
	v_add_nc_u32_e32 v87, 0x8000, v75
	v_or_b32_e32 v88, v76, v86
	v_mad_i32_i24 v66, 0xfffffe08, v4, v62
	v_writelane_b32 v106, s36, 21
	v_lshl_add_u32 v89, v8, 3, 0xa000
	v_lshl_add_u32 v90, v36, 3, 0x8000
	v_add_nc_u32_e32 v91, 0x8000, v50
	v_mad_u32_u24 v67, 0x1f8, v4, v66
	v_writelane_b32 v106, s37, 22
	s_lshl_b64 s[84:85], s[16:17], 3
	v_add_nc_u32_e32 v94, v84, v50
	v_or_b32_e32 v95, 0x4100, v86
	v_mad_i32_i24 v69, 0xfffffe08, v4, v67
	v_writelane_b32 v106, s11, 23
	v_subrev_nc_u32_e32 v96, 63, v4
	v_cmp_eq_u32_e64 s11, 0, v37
	v_cmp_gt_u32_e64 s15, 2, v36
	v_mad_u32_u24 v7, 0x1f8, v4, v69
	v_writelane_b32 v106, s12, 24
	v_cmp_gt_u32_e64 s12, 64, v41
	v_cmp_gt_u32_e64 s16, 12, v36
	;; [unrolled: 1-line block ×3, first 2 shown]
	v_mad_i32_i24 v9, 0xfffffe08, v4, v7
	v_cmp_gt_u32_e64 s18, 56, v36
	v_writelane_b32 v106, s12, 25
	v_cmp_gt_u32_e64 s12, 64, v38
	v_cmp_gt_u32_e64 s19, 48, v36
	v_mad_u32_u24 v77, 0x1f8, v4, v9
	v_lshl_add_u32 v93, v6, 9, v9
	v_cmp_gt_u32_e64 s20, 40, v36
	v_writelane_b32 v106, s12, 26
	v_cmp_gt_u32_e64 s12, 0xf0, v36
	v_mad_i32_i24 v81, 0xfffffe08, v4, v77
	v_cmp_gt_u32_e64 s21, 32, v36
	v_cmp_gt_u32_e64 s22, 24, v36
	;; [unrolled: 1-line block ×3, first 2 shown]
	v_writelane_b32 v106, s12, 27
	v_cmp_gt_u32_e64 s12, 0xe0, v36
	v_mad_u32_u24 v83, 0x1f8, v4, v81
	v_dual_lshlrev_b32 v82, 3, v39 :: v_dual_bitop2_b32 v39, v32, v4 bitop3:0x54
	v_mov_b64_e32 v[32:33], 0
	s_delay_alu instid0(VALU_DEP_4)
	v_writelane_b32 v106, s12, 28
	v_cmp_gt_u32_e64 s12, 0xd0, v36
	v_add_nc_u32_e32 v85, v83, v26
	v_add_nc_u64_e32 v[26:27], src_flat_scratch_base_lo, v[34:35]
	v_mov_b32_e32 v34, 16
	v_cmp_eq_u32_e64 s36, 0, v8
	v_writelane_b32 v106, s12, 29
	v_cmp_gt_u32_e64 s12, 0xc0, v36
	v_cmp_gt_u32_e64 s37, 64, v8
	v_add_nc_u64_e32 v[28:29], src_flat_scratch_base_lo, v[34:35]
	v_mov_b32_e32 v34, 24
	s_add_co_i32 s55, s55, 1
	v_writelane_b32 v106, s12, 30
	v_cmp_gt_u32_e64 s12, 0xb0, v36
	s_xor_b32 s10, vcc_lo, -1
	v_add_nc_u64_e32 v[30:31], src_flat_scratch_base_lo, v[34:35]
	v_mov_b64_e32 v[34:35], 0x3f800000
	s_wait_kmcnt 0x0
	s_lshl_b64 s[66:67], s[66:67], 3
	v_writelane_b32 v106, s12, 31
	v_cmp_gt_u32_e64 s12, 0xa0, v36
	s_lshl_b64 s[70:71], s[70:71], 3
	v_writelane_b32 v97, s12, 0
	v_cmp_gt_u32_e64 s12, 0x90, v36
	s_delay_alu instid0(VALU_DEP_1) | instskip(SKIP_1) | instid1(VALU_DEP_1)
	v_writelane_b32 v97, s12, 1
	v_cmp_gt_u32_e64 s12, 0x80, v36
	v_writelane_b32 v97, s12, 2
	v_cmp_gt_u32_e64 s12, 0x70, v36
	s_delay_alu instid0(VALU_DEP_1) | instskip(SKIP_1) | instid1(VALU_DEP_1)
	v_writelane_b32 v97, s12, 3
	v_cmp_gt_u32_e64 s12, 0x60, v36
	;; [unrolled: 5-line block ×14, first 2 shown]
	v_writelane_b32 v97, s12, 28
	v_cmp_gt_u32_e64 s12, 0x120, v36
	s_delay_alu instid0(VALU_DEP_1)
	v_writelane_b32 v97, s12, 29
	s_branch .LBB164_3
.LBB164_2:                              ;   in Loop: Header=BB164_3 Depth=1
	s_wait_xcnt 0x0
	s_or_b32 exec_lo, exec_lo, s12
	v_readlane_b32 s12, v106, 0
	s_add_co_i32 s72, s72, 0x10000
	global_wb scope:SCOPE_DEV
	s_wait_storecnt 0x0
	global_inv scope:SCOPE_DEV
	s_cmp_lt_u32 s72, s12
	s_cbranch_scc0 .LBB164_1112
.LBB164_3:                              ; =>This Loop Header: Depth=1
                                        ;     Child Loop BB164_539 Depth 2
                                        ;     Child Loop BB164_987 Depth 2
                                        ;       Child Loop BB164_989 Depth 3
                                        ;     Child Loop BB164_1018 Depth 2
	v_mov_b32_e32 v38, s72
	v_readlane_b32 s12, v106, 1
	s_clause 0x1
	global_load_b64 v[36:37], v38, s[64:65] scale_offset
	global_load_b64 v[38:39], v38, s[68:69] scale_offset
	s_and_not1_b32 vcc_lo, exec_lo, s12
	s_wait_loadcnt 0x1
	v_add_nc_u64_e32 v[40:41], s[66:67], v[36:37]
	s_delay_alu instid0(VALU_DEP_1)
	v_lshl_add_u64 v[36:37], v[12:13], 3, v[40:41]
	s_cbranch_vccnz .LBB164_15
; %bb.4:                                ;   in Loop: Header=BB164_3 Depth=1
	s_delay_alu instid0(VALU_DEP_1)
	v_lshl_add_u64 v[42:43], v[10:11], 3, v[36:37]
	v_dual_mov_b32 v44, 0 :: v_dual_mov_b32 v46, 0
	v_mov_b32_e32 v47, 0
	s_wait_loadcnt 0x0
	s_barrier_signal -1
	s_barrier_wait -1
	s_wait_xcnt 0x0
	s_mov_b32 s12, exec_lo
	v_readlane_b32 s14, v106, 12
	s_and_b32 s14, s12, s14
	s_delay_alu instid0(SALU_CYCLE_1)
	s_mov_b32 exec_lo, s14
	s_cbranch_execz .LBB164_6
; %bb.5:                                ;   in Loop: Header=BB164_3 Depth=1
	flat_load_b64 v[46:47], v[42:43]
.LBB164_6:                              ;   in Loop: Header=BB164_3 Depth=1
	s_wait_xcnt 0x0
	s_or_b32 exec_lo, exec_lo, s12
	v_mov_b32_e32 v45, 0
	s_wait_loadcnt_dscnt 0x0
	scratch_store_b64 off, v[46:47], off
	s_wait_storecnt 0x0
	s_barrier_signal -1
	s_barrier_wait -1
	s_wait_xcnt 0x0
	s_mov_b32 s12, exec_lo
	v_readlane_b32 s14, v106, 13
	s_and_b32 s14, s12, s14
	s_delay_alu instid0(SALU_CYCLE_1)
	s_mov_b32 exec_lo, s14
	s_cbranch_execz .LBB164_8
; %bb.7:                                ;   in Loop: Header=BB164_3 Depth=1
	flat_load_b64 v[44:45], v[42:43] offset:128
.LBB164_8:                              ;   in Loop: Header=BB164_3 Depth=1
	s_wait_xcnt 0x0
	s_or_b32 exec_lo, exec_lo, s12
	s_wait_loadcnt_dscnt 0x0
	scratch_store_b64 off, v[44:45], off offset:8
	s_wait_xcnt 0x0
	v_dual_mov_b32 v44, 0 :: v_dual_mov_b32 v45, 0
	s_wait_storecnt 0x0
	s_barrier_signal -1
	s_barrier_wait -1
	s_mov_b32 s12, exec_lo
	v_readlane_b32 s14, v106, 14
	s_and_b32 s14, s12, s14
	s_delay_alu instid0(SALU_CYCLE_1)
	s_mov_b32 exec_lo, s14
	s_cbranch_execz .LBB164_10
; %bb.9:                                ;   in Loop: Header=BB164_3 Depth=1
	flat_load_b64 v[44:45], v[42:43] offset:256
.LBB164_10:                             ;   in Loop: Header=BB164_3 Depth=1
	s_wait_xcnt 0x0
	s_or_b32 exec_lo, exec_lo, s12
	s_wait_loadcnt_dscnt 0x0
	scratch_store_b64 off, v[44:45], off offset:16
	s_wait_storecnt 0x0
	s_barrier_signal -1
	s_barrier_wait -1
	s_wait_xcnt 0x0
	s_mov_b32 s12, exec_lo
	v_readlane_b32 s14, v106, 23
	s_and_b32 s14, s12, s14
	s_delay_alu instid0(SALU_CYCLE_1)
	s_xor_b32 s12, s14, s12
	s_mov_b32 exec_lo, s14
	s_cbranch_execz .LBB164_12
; %bb.11:                               ;   in Loop: Header=BB164_3 Depth=1
	scratch_store_b64 off, v[32:33], off offset:24
                                        ; implicit-def: $vgpr42_vgpr43
.LBB164_12:                             ;   in Loop: Header=BB164_3 Depth=1
	s_wait_xcnt 0x0
	s_and_not1_saveexec_b32 s12, s12
	s_cbranch_execz .LBB164_14
; %bb.13:                               ;   in Loop: Header=BB164_3 Depth=1
	flat_load_b64 v[42:43], v[42:43] offset:384
	s_wait_loadcnt_dscnt 0x0
	scratch_store_b64 off, v[42:43], off offset:24
.LBB164_14:                             ;   in Loop: Header=BB164_3 Depth=1
	s_wait_xcnt 0x0
	s_or_b32 exec_lo, exec_lo, s12
.LBB164_15:                             ;   in Loop: Header=BB164_3 Depth=1
	v_add_nc_u64_e32 v[40:41], s[84:85], v[40:41]
	s_and_not1_b32 vcc_lo, exec_lo, s90
	s_mov_b32 s12, -1
	s_delay_alu instid0(VALU_DEP_1)
	v_add_nc_u64_e32 v[40:41], v[40:41], v[2:3]
	s_cbranch_vccnz .LBB164_26
; %bb.16:                               ;   in Loop: Header=BB164_3 Depth=1
	s_wait_xcnt 0x0
	s_and_saveexec_b32 s12, s0
	s_delay_alu instid0(SALU_CYCLE_1)
	s_xor_b32 s12, exec_lo, s12
	s_cbranch_execnz .LBB164_1040
; %bb.17:                               ;   in Loop: Header=BB164_3 Depth=1
	s_and_not1_saveexec_b32 s12, s12
	s_cbranch_execnz .LBB164_1043
.LBB164_18:                             ;   in Loop: Header=BB164_3 Depth=1
	s_or_b32 exec_lo, exec_lo, s12
	s_and_saveexec_b32 s12, s1
	s_delay_alu instid0(SALU_CYCLE_1)
	s_xor_b32 s12, exec_lo, s12
	s_cbranch_execnz .LBB164_1044
.LBB164_19:                             ;   in Loop: Header=BB164_3 Depth=1
	s_and_not1_saveexec_b32 s12, s12
	s_cbranch_execnz .LBB164_1047
.LBB164_20:                             ;   in Loop: Header=BB164_3 Depth=1
	s_or_b32 exec_lo, exec_lo, s12
	s_and_saveexec_b32 s12, s8
	s_delay_alu instid0(SALU_CYCLE_1)
	s_xor_b32 s12, exec_lo, s12
	s_cbranch_execnz .LBB164_1048
.LBB164_21:                             ;   in Loop: Header=BB164_3 Depth=1
	s_and_not1_saveexec_b32 s12, s12
	s_cbranch_execnz .LBB164_1051
.LBB164_22:                             ;   in Loop: Header=BB164_3 Depth=1
	s_or_b32 exec_lo, exec_lo, s12
	s_and_saveexec_b32 s12, s9
	s_delay_alu instid0(SALU_CYCLE_1)
	s_xor_b32 s12, exec_lo, s12
	s_cbranch_execnz .LBB164_1052
.LBB164_23:                             ;   in Loop: Header=BB164_3 Depth=1
	s_and_not1_saveexec_b32 s12, s12
	s_cbranch_execz .LBB164_25
.LBB164_24:                             ;   in Loop: Header=BB164_3 Depth=1
	v_lshl_add_u64 v[42:43], v[16:17], 3, v[40:41]
	flat_load_b64 v[42:43], v[42:43]
	s_wait_loadcnt_dscnt 0x0
	v_pk_add_f32 v[42:43], v[42:43], 0 neg_lo:[1,1] neg_hi:[1,1]
	ds_store_b64 v82, v[42:43]
.LBB164_25:                             ;   in Loop: Header=BB164_3 Depth=1
	s_or_b32 exec_lo, exec_lo, s12
	s_mov_b32 s12, 0
.LBB164_26:                             ;   in Loop: Header=BB164_3 Depth=1
	s_delay_alu instid0(SALU_CYCLE_1)
	s_and_b32 vcc_lo, exec_lo, s12
	s_cbranch_vccz .LBB164_52
; %bb.27:                               ;   in Loop: Header=BB164_3 Depth=1
	s_wait_xcnt 0x0
	s_mov_b32 s12, exec_lo
	v_readlane_b32 s14, v106, 15
	s_and_b32 s14, s12, s14
	s_delay_alu instid0(SALU_CYCLE_1)
	s_xor_b32 s12, s14, s12
	s_mov_b32 exec_lo, s14
	s_cbranch_execz .LBB164_31
; %bb.28:                               ;   in Loop: Header=BB164_3 Depth=1
	s_mov_b32 s14, exec_lo
	v_readlane_b32 s56, v106, 24
	s_and_b32 s56, s14, s56
	s_delay_alu instid0(SALU_CYCLE_1)
	s_mov_b32 exec_lo, s56
; %bb.29:                               ;   in Loop: Header=BB164_3 Depth=1
	ds_store_b64 v85, v[32:33]
; %bb.30:                               ;   in Loop: Header=BB164_3 Depth=1
	s_or_b32 exec_lo, exec_lo, s14
.LBB164_31:                             ;   in Loop: Header=BB164_3 Depth=1
	s_and_not1_saveexec_b32 s12, s12
	s_cbranch_execz .LBB164_33
; %bb.32:                               ;   in Loop: Header=BB164_3 Depth=1
	v_lshl_add_u64 v[42:43], v[20:21], 3, v[40:41]
	flat_load_b64 v[42:43], v[42:43]
	s_wait_loadcnt_dscnt 0x0
	v_pk_add_f32 v[42:43], v[42:43], 0 neg_lo:[1,1] neg_hi:[1,1]
	ds_store_b64 v85, v[42:43]
.LBB164_33:                             ;   in Loop: Header=BB164_3 Depth=1
	s_or_b32 exec_lo, exec_lo, s12
	s_delay_alu instid0(SALU_CYCLE_1) | instskip(SKIP_2) | instid1(SALU_CYCLE_1)
	s_mov_b32 s12, exec_lo
	v_readlane_b32 s14, v106, 16
	s_and_b32 s14, s12, s14
	s_xor_b32 s12, s14, s12
	s_mov_b32 exec_lo, s14
	s_cbranch_execz .LBB164_37
; %bb.34:                               ;   in Loop: Header=BB164_3 Depth=1
	s_mov_b32 s14, exec_lo
	v_readlane_b32 s56, v106, 25
	s_and_b32 s56, s14, s56
	s_delay_alu instid0(SALU_CYCLE_1)
	s_mov_b32 exec_lo, s56
; %bb.35:                               ;   in Loop: Header=BB164_3 Depth=1
	ds_store_b64 v79, v[32:33]
; %bb.36:                               ;   in Loop: Header=BB164_3 Depth=1
	s_or_b32 exec_lo, exec_lo, s14
.LBB164_37:                             ;   in Loop: Header=BB164_3 Depth=1
	s_and_not1_saveexec_b32 s12, s12
	s_cbranch_execz .LBB164_39
; %bb.38:                               ;   in Loop: Header=BB164_3 Depth=1
	v_lshl_add_u64 v[42:43], v[18:19], 3, v[40:41]
	flat_load_b64 v[42:43], v[42:43]
	s_wait_loadcnt_dscnt 0x0
	v_pk_add_f32 v[42:43], v[42:43], 0 neg_lo:[1,1] neg_hi:[1,1]
	ds_store_b64 v79, v[42:43]
.LBB164_39:                             ;   in Loop: Header=BB164_3 Depth=1
	s_or_b32 exec_lo, exec_lo, s12
	s_delay_alu instid0(SALU_CYCLE_1) | instskip(SKIP_2) | instid1(SALU_CYCLE_1)
	s_mov_b32 s12, exec_lo
	v_readlane_b32 s14, v106, 17
	s_and_b32 s14, s12, s14
	;; [unrolled: 28-line block ×3, first 2 shown]
	s_xor_b32 s12, s14, s12
	s_mov_b32 exec_lo, s14
	s_cbranch_execz .LBB164_49
; %bb.46:                               ;   in Loop: Header=BB164_3 Depth=1
	s_mov_b32 s14, exec_lo
	v_readlane_b32 s56, v97, 10
	s_and_b32 s56, s14, s56
	s_delay_alu instid0(SALU_CYCLE_1)
	s_mov_b32 exec_lo, s56
; %bb.47:                               ;   in Loop: Header=BB164_3 Depth=1
	ds_store_b64 v82, v[32:33]
; %bb.48:                               ;   in Loop: Header=BB164_3 Depth=1
	s_or_b32 exec_lo, exec_lo, s14
                                        ; implicit-def: $vgpr40_vgpr41
.LBB164_49:                             ;   in Loop: Header=BB164_3 Depth=1
	s_and_not1_saveexec_b32 s12, s12
	s_cbranch_execz .LBB164_51
; %bb.50:                               ;   in Loop: Header=BB164_3 Depth=1
	v_lshl_add_u64 v[40:41], v[16:17], 3, v[40:41]
	flat_load_b64 v[40:41], v[40:41]
	s_wait_loadcnt_dscnt 0x0
	v_pk_add_f32 v[40:41], v[40:41], 0 neg_lo:[1,1] neg_hi:[1,1]
	ds_store_b64 v82, v[40:41]
.LBB164_51:                             ;   in Loop: Header=BB164_3 Depth=1
	s_or_b32 exec_lo, exec_lo, s12
.LBB164_52:                             ;   in Loop: Header=BB164_3 Depth=1
	s_delay_alu instid0(SALU_CYCLE_1)
	s_and_not1_b32 vcc_lo, exec_lo, s92
	s_wait_storecnt 0x0
	s_wait_loadcnt_dscnt 0x0
	s_barrier_signal -1
	s_barrier_wait -1
	s_cbranch_vccnz .LBB164_982
; %bb.53:                               ;   in Loop: Header=BB164_3 Depth=1
	s_and_saveexec_b32 s12, s11
	s_cbranch_execz .LBB164_55
; %bb.54:                               ;   in Loop: Header=BB164_3 Depth=1
	ds_load_b64 v[40:41], v3 offset:8
	ds_store_b64 v3, v[34:35] offset:520
	s_wait_dscnt 0x1
	ds_store_2addr_stride64_b64 v3, v[34:35], v[40:41] offset1:1
.LBB164_55:                             ;   in Loop: Header=BB164_3 Depth=1
	s_or_b32 exec_lo, exec_lo, s12
	v_mov_b64_e32 v[40:41], 0
	s_wait_dscnt 0x0
	s_barrier_signal -1
	s_barrier_wait -1
	s_and_saveexec_b32 s12, s3
	s_cbranch_execz .LBB164_59
; %bb.56:                               ;   in Loop: Header=BB164_3 Depth=1
	ds_load_b64 v[40:41], v48 offset:16
	ds_load_b64 v[42:43], v49
	s_wait_dscnt 0x0
	v_pk_mul_f32 v[44:45], v[42:43], v[40:41] op_sel:[1,1] op_sel_hi:[0,1]
	s_delay_alu instid0(VALU_DEP_1) | instskip(SKIP_1) | instid1(VALU_DEP_2)
	v_pk_fma_f32 v[46:47], v[42:43], v[40:41], v[44:45] op_sel_hi:[1,0,1]
	v_pk_fma_f32 v[40:41], v[42:43], v[40:41], v[44:45] neg_lo:[0,0,1] neg_hi:[0,0,1]
	v_mov_b32_e32 v41, v47
	s_delay_alu instid0(VALU_DEP_1)
	v_pk_add_f32 v[40:41], v[40:41], 0 op_sel_hi:[1,0]
	s_and_saveexec_b32 s14, s15
	s_cbranch_execz .LBB164_58
; %bb.57:                               ;   in Loop: Header=BB164_3 Depth=1
	ds_load_b64 v[42:43], v50 offset:528
	ds_load_b64 v[44:45], v3 offset:8
	s_wait_dscnt 0x0
	v_pk_mul_f32 v[46:47], v[44:45], v[42:43] op_sel:[1,1] op_sel_hi:[0,1]
	s_delay_alu instid0(VALU_DEP_1) | instskip(SKIP_1) | instid1(VALU_DEP_2)
	v_pk_fma_f32 v[98:99], v[44:45], v[42:43], v[46:47] op_sel_hi:[1,0,1]
	v_pk_fma_f32 v[42:43], v[44:45], v[42:43], v[46:47] neg_lo:[0,0,1] neg_hi:[0,0,1]
	v_mov_b32_e32 v43, v99
	s_delay_alu instid0(VALU_DEP_1)
	v_pk_add_f32 v[40:41], v[40:41], v[42:43]
.LBB164_58:                             ;   in Loop: Header=BB164_3 Depth=1
	s_or_b32 exec_lo, exec_lo, s14
	s_delay_alu instid0(VALU_DEP_1)
	v_pk_add_f32 v[40:41], v[40:41], 0 neg_lo:[1,1] neg_hi:[1,1]
.LBB164_59:                             ;   in Loop: Header=BB164_3 Depth=1
	s_or_b32 exec_lo, exec_lo, s12
	s_and_saveexec_b32 s12, s93
; %bb.60:                               ;   in Loop: Header=BB164_3 Depth=1
	ds_store_b64 v5, v[40:41]
; %bb.61:                               ;   in Loop: Header=BB164_3 Depth=1
	s_or_b32 exec_lo, exec_lo, s12
	s_wait_dscnt 0x0
	s_barrier_signal -1
	s_barrier_wait -1
	s_and_saveexec_b32 s12, s94
	s_cbranch_execz .LBB164_63
; %bb.62:                               ;   in Loop: Header=BB164_3 Depth=1
	ds_load_b64 v[42:43], v3 offset:1048
	ds_load_b64 v[44:45], v5
	s_wait_dscnt 0x0
	v_pk_mul_f32 v[46:47], v[44:45], v[42:43] op_sel:[1,1] op_sel_hi:[0,1]
	s_delay_alu instid0(VALU_DEP_1) | instskip(SKIP_1) | instid1(VALU_DEP_2)
	v_pk_fma_f32 v[98:99], v[44:45], v[42:43], v[46:47] op_sel_hi:[1,0,1]
	v_pk_fma_f32 v[42:43], v[44:45], v[42:43], v[46:47] neg_lo:[0,0,1] neg_hi:[0,0,1]
	v_mov_b32_e32 v43, v99
	s_delay_alu instid0(VALU_DEP_1)
	v_pk_add_f32 v[40:41], v[40:41], v[42:43]
.LBB164_63:                             ;   in Loop: Header=BB164_3 Depth=1
	s_or_b32 exec_lo, exec_lo, s12
	s_barrier_signal -1
	s_barrier_wait -1
	s_and_saveexec_b32 s12, s94
; %bb.64:                               ;   in Loop: Header=BB164_3 Depth=1
	ds_store_b64 v5, v[40:41]
; %bb.65:                               ;   in Loop: Header=BB164_3 Depth=1
	s_or_b32 exec_lo, exec_lo, s12
	s_wait_dscnt 0x0
	s_barrier_signal -1
	s_barrier_wait -1
	s_barrier_signal -1
	s_barrier_wait -1
	s_and_saveexec_b32 s12, s3
; %bb.66:                               ;   in Loop: Header=BB164_3 Depth=1
	v_pk_add_f32 v[40:41], v[40:41], 0 neg_lo:[1,1] neg_hi:[1,1]
	ds_store_b64 v48, v[40:41] offset:16
; %bb.67:                               ;   in Loop: Header=BB164_3 Depth=1
	s_or_b32 exec_lo, exec_lo, s12
	s_wait_dscnt 0x0
	s_barrier_signal -1
	s_barrier_wait -1
	s_barrier_signal -1
	s_barrier_wait -1
	s_and_saveexec_b32 s12, s95
	s_cbranch_execz .LBB164_69
; %bb.68:                               ;   in Loop: Header=BB164_3 Depth=1
	ds_load_b64 v[40:41], v53 offset:16
	s_wait_dscnt 0x0
	ds_store_b64 v50, v[40:41] offset:1024
	ds_load_b64 v[40:41], v53 offset:24
	s_wait_dscnt 0x0
	ds_store_b64 v50, v[40:41] offset:1536
.LBB164_69:                             ;   in Loop: Header=BB164_3 Depth=1
	s_or_b32 exec_lo, exec_lo, s12
	s_wait_dscnt 0x0
	s_barrier_signal -1
	s_barrier_wait -1
	s_and_saveexec_b32 s12, s11
	s_cbranch_execz .LBB164_71
; %bb.70:                               ;   in Loop: Header=BB164_3 Depth=1
	ds_load_b64 v[40:41], v3 offset:1048
	ds_store_b64 v3, v[34:35] offset:1560
	s_wait_dscnt 0x1
	ds_store_2addr_b64 v3, v[34:35], v[40:41] offset0:130 offset1:194
.LBB164_71:                             ;   in Loop: Header=BB164_3 Depth=1
	s_or_b32 exec_lo, exec_lo, s12
	v_mov_b64_e32 v[40:41], 0
	s_wait_dscnt 0x0
	s_barrier_signal -1
	s_barrier_wait -1
	s_and_saveexec_b32 s14, s5
	s_cbranch_execz .LBB164_77
; %bb.72:                               ;   in Loop: Header=BB164_3 Depth=1
	ds_load_b64 v[40:41], v55 offset:32
	ds_load_b64 v[42:43], v51
	s_wait_dscnt 0x0
	v_dual_mul_f32 v44, v43, v41 :: v_dual_mul_f32 v41, v42, v41
	s_delay_alu instid0(VALU_DEP_1) | instskip(NEXT) | instid1(VALU_DEP_1)
	v_dual_fma_f32 v42, v42, v40, -v44 :: v_dual_fmac_f32 v41, v43, v40
	v_dual_add_f32 v40, 0, v42 :: v_dual_add_f32 v41, 0, v41
	s_and_saveexec_b32 s12, s16
	s_cbranch_execnz .LBB164_1062
; %bb.73:                               ;   in Loop: Header=BB164_3 Depth=1
	s_or_b32 exec_lo, exec_lo, s12
	s_and_saveexec_b32 s12, s17
	s_cbranch_execnz .LBB164_1063
.LBB164_74:                             ;   in Loop: Header=BB164_3 Depth=1
	s_or_b32 exec_lo, exec_lo, s12
	s_and_saveexec_b32 s12, s3
	s_cbranch_execz .LBB164_76
.LBB164_75:                             ;   in Loop: Header=BB164_3 Depth=1
	ds_load_b64 v[42:43], v57 offset:1568
	ds_load_b64 v[44:45], v3 offset:24
	s_wait_dscnt 0x0
	v_dual_mul_f32 v46, v45, v43 :: v_dual_mul_f32 v47, v44, v43
	s_delay_alu instid0(VALU_DEP_1) | instskip(NEXT) | instid1(VALU_DEP_1)
	v_dual_fma_f32 v46, v44, v42, -v46 :: v_dual_fmac_f32 v47, v45, v42
	v_pk_add_f32 v[40:41], v[40:41], v[46:47]
.LBB164_76:                             ;   in Loop: Header=BB164_3 Depth=1
	s_or_b32 exec_lo, exec_lo, s12
	s_delay_alu instid0(VALU_DEP_1)
	v_pk_add_f32 v[40:41], v[40:41], 0 neg_lo:[1,1] neg_hi:[1,1]
.LBB164_77:                             ;   in Loop: Header=BB164_3 Depth=1
	s_or_b32 exec_lo, exec_lo, s14
	s_and_saveexec_b32 s12, s96
; %bb.78:                               ;   in Loop: Header=BB164_3 Depth=1
	ds_store_b64 v54, v[40:41]
; %bb.79:                               ;   in Loop: Header=BB164_3 Depth=1
	s_or_b32 exec_lo, exec_lo, s12
	s_wait_dscnt 0x0
	s_barrier_signal -1
	s_barrier_wait -1
	s_and_saveexec_b32 s12, s97
	s_cbranch_execz .LBB164_81
; %bb.80:                               ;   in Loop: Header=BB164_3 Depth=1
	ds_load_b64 v[42:43], v52 offset:2080
	ds_load_b64 v[44:45], v54
	s_wait_dscnt 0x0
	v_pk_mul_f32 v[46:47], v[44:45], v[42:43] op_sel:[1,1] op_sel_hi:[0,1]
	s_delay_alu instid0(VALU_DEP_1) | instskip(SKIP_1) | instid1(VALU_DEP_2)
	v_pk_fma_f32 v[98:99], v[44:45], v[42:43], v[46:47] op_sel_hi:[1,0,1]
	v_pk_fma_f32 v[42:43], v[44:45], v[42:43], v[46:47] neg_lo:[0,0,1] neg_hi:[0,0,1]
	v_mov_b32_e32 v43, v99
	s_delay_alu instid0(VALU_DEP_1)
	v_pk_add_f32 v[40:41], v[40:41], v[42:43]
.LBB164_81:                             ;   in Loop: Header=BB164_3 Depth=1
	s_or_b32 exec_lo, exec_lo, s12
	s_barrier_signal -1
	s_barrier_wait -1
	s_and_saveexec_b32 s12, s98
; %bb.82:                               ;   in Loop: Header=BB164_3 Depth=1
	ds_store_b64 v54, v[40:41]
; %bb.83:                               ;   in Loop: Header=BB164_3 Depth=1
	s_or_b32 exec_lo, exec_lo, s12
	s_wait_dscnt 0x0
	s_barrier_signal -1
	s_barrier_wait -1
	s_and_saveexec_b32 s12, s99
	s_cbranch_execz .LBB164_85
; %bb.84:                               ;   in Loop: Header=BB164_3 Depth=1
	ds_load_b64 v[42:43], v52 offset:2592
	ds_load_b64 v[44:45], v54
	s_wait_dscnt 0x0
	v_pk_mul_f32 v[46:47], v[44:45], v[42:43] op_sel:[1,1] op_sel_hi:[0,1]
	s_delay_alu instid0(VALU_DEP_1) | instskip(SKIP_1) | instid1(VALU_DEP_2)
	v_pk_fma_f32 v[98:99], v[44:45], v[42:43], v[46:47] op_sel_hi:[1,0,1]
	v_pk_fma_f32 v[42:43], v[44:45], v[42:43], v[46:47] neg_lo:[0,0,1] neg_hi:[0,0,1]
	v_mov_b32_e32 v43, v99
	s_delay_alu instid0(VALU_DEP_1)
	v_pk_add_f32 v[40:41], v[40:41], v[42:43]
.LBB164_85:                             ;   in Loop: Header=BB164_3 Depth=1
	s_or_b32 exec_lo, exec_lo, s12
	s_barrier_signal -1
	s_barrier_wait -1
	;; [unrolled: 25-line block ×3, first 2 shown]
	s_and_saveexec_b32 s12, s101
; %bb.90:                               ;   in Loop: Header=BB164_3 Depth=1
	ds_store_b64 v54, v[40:41]
; %bb.91:                               ;   in Loop: Header=BB164_3 Depth=1
	s_or_b32 exec_lo, exec_lo, s12
	s_wait_dscnt 0x0
	s_barrier_signal -1
	s_barrier_wait -1
	s_barrier_signal -1
	s_barrier_wait -1
	s_and_saveexec_b32 s12, s5
; %bb.92:                               ;   in Loop: Header=BB164_3 Depth=1
	v_pk_add_f32 v[40:41], v[40:41], 0 neg_lo:[1,1] neg_hi:[1,1]
	ds_store_b64 v55, v[40:41] offset:32
; %bb.93:                               ;   in Loop: Header=BB164_3 Depth=1
	s_or_b32 exec_lo, exec_lo, s12
	s_wait_dscnt 0x0
	s_barrier_signal -1
	s_barrier_wait -1
	s_barrier_signal -1
	s_barrier_wait -1
	s_and_saveexec_b32 s12, s102
	s_cbranch_execz .LBB164_95
; %bb.94:                               ;   in Loop: Header=BB164_3 Depth=1
	ds_load_b64 v[40:41], v58 offset:32
	s_wait_dscnt 0x0
	ds_store_b64 v59, v[40:41] offset:2048
	ds_load_b64 v[40:41], v58 offset:40
	s_wait_dscnt 0x0
	ds_store_b64 v59, v[40:41] offset:2560
	;; [unrolled: 3-line block ×4, first 2 shown]
.LBB164_95:                             ;   in Loop: Header=BB164_3 Depth=1
	s_or_b32 exec_lo, exec_lo, s12
	s_wait_dscnt 0x0
	s_barrier_signal -1
	s_barrier_wait -1
	s_and_saveexec_b32 s12, s11
	s_cbranch_execz .LBB164_97
; %bb.96:                               ;   in Loop: Header=BB164_3 Depth=1
	ds_load_b64 v[40:41], v3 offset:2088
	v_add_nc_u32_e64 v42, 32, 0
	ds_store_b64 v3, v[34:35] offset:2600
	s_wait_dscnt 0x1
	ds_store_2addr_stride64_b64 v42, v[34:35], v[40:41] offset0:4 offset1:5
.LBB164_97:                             ;   in Loop: Header=BB164_3 Depth=1
	s_or_b32 exec_lo, exec_lo, s12
	v_mov_b64_e32 v[40:41], 0
	s_wait_dscnt 0x0
	s_barrier_signal -1
	s_barrier_wait -1
	s_and_saveexec_b32 s12, s3
	s_cbranch_execz .LBB164_101
; %bb.98:                               ;   in Loop: Header=BB164_3 Depth=1
	ds_load_b64 v[40:41], v48 offset:2096
	ds_load_b64 v[42:43], v49 offset:2080
	s_wait_dscnt 0x0
	v_pk_mul_f32 v[44:45], v[42:43], v[40:41] op_sel:[1,1] op_sel_hi:[0,1]
	s_delay_alu instid0(VALU_DEP_1) | instskip(SKIP_1) | instid1(VALU_DEP_2)
	v_pk_fma_f32 v[46:47], v[42:43], v[40:41], v[44:45] op_sel_hi:[1,0,1]
	v_pk_fma_f32 v[40:41], v[42:43], v[40:41], v[44:45] neg_lo:[0,0,1] neg_hi:[0,0,1]
	v_mov_b32_e32 v41, v47
	s_delay_alu instid0(VALU_DEP_1)
	v_pk_add_f32 v[40:41], v[40:41], 0 op_sel_hi:[1,0]
	s_and_saveexec_b32 s14, s15
	s_cbranch_execz .LBB164_100
; %bb.99:                               ;   in Loop: Header=BB164_3 Depth=1
	ds_load_b64 v[42:43], v59 offset:2608
	ds_load_b64 v[44:45], v3 offset:2088
	s_wait_dscnt 0x0
	v_pk_mul_f32 v[46:47], v[44:45], v[42:43] op_sel:[1,1] op_sel_hi:[0,1]
	s_delay_alu instid0(VALU_DEP_1) | instskip(SKIP_1) | instid1(VALU_DEP_2)
	v_pk_fma_f32 v[98:99], v[44:45], v[42:43], v[46:47] op_sel_hi:[1,0,1]
	v_pk_fma_f32 v[42:43], v[44:45], v[42:43], v[46:47] neg_lo:[0,0,1] neg_hi:[0,0,1]
	v_mov_b32_e32 v43, v99
	s_delay_alu instid0(VALU_DEP_1)
	v_pk_add_f32 v[40:41], v[40:41], v[42:43]
.LBB164_100:                            ;   in Loop: Header=BB164_3 Depth=1
	s_or_b32 exec_lo, exec_lo, s14
	s_delay_alu instid0(VALU_DEP_1)
	v_pk_add_f32 v[40:41], v[40:41], 0 neg_lo:[1,1] neg_hi:[1,1]
.LBB164_101:                            ;   in Loop: Header=BB164_3 Depth=1
	s_or_b32 exec_lo, exec_lo, s12
	s_and_saveexec_b32 s12, s93
; %bb.102:                              ;   in Loop: Header=BB164_3 Depth=1
	ds_store_b64 v5, v[40:41]
; %bb.103:                              ;   in Loop: Header=BB164_3 Depth=1
	s_or_b32 exec_lo, exec_lo, s12
	s_wait_dscnt 0x0
	s_barrier_signal -1
	s_barrier_wait -1
	s_and_saveexec_b32 s12, s94
	s_cbranch_execz .LBB164_105
; %bb.104:                              ;   in Loop: Header=BB164_3 Depth=1
	ds_load_b64 v[42:43], v3 offset:3128
	ds_load_b64 v[44:45], v5
	s_wait_dscnt 0x0
	v_pk_mul_f32 v[46:47], v[44:45], v[42:43] op_sel:[1,1] op_sel_hi:[0,1]
	s_delay_alu instid0(VALU_DEP_1) | instskip(SKIP_1) | instid1(VALU_DEP_2)
	v_pk_fma_f32 v[98:99], v[44:45], v[42:43], v[46:47] op_sel_hi:[1,0,1]
	v_pk_fma_f32 v[42:43], v[44:45], v[42:43], v[46:47] neg_lo:[0,0,1] neg_hi:[0,0,1]
	v_mov_b32_e32 v43, v99
	s_delay_alu instid0(VALU_DEP_1)
	v_pk_add_f32 v[40:41], v[40:41], v[42:43]
.LBB164_105:                            ;   in Loop: Header=BB164_3 Depth=1
	s_or_b32 exec_lo, exec_lo, s12
	s_barrier_signal -1
	s_barrier_wait -1
	s_and_saveexec_b32 s12, s94
; %bb.106:                              ;   in Loop: Header=BB164_3 Depth=1
	ds_store_b64 v5, v[40:41]
; %bb.107:                              ;   in Loop: Header=BB164_3 Depth=1
	s_or_b32 exec_lo, exec_lo, s12
	s_wait_dscnt 0x0
	s_barrier_signal -1
	s_barrier_wait -1
	s_barrier_signal -1
	s_barrier_wait -1
	s_and_saveexec_b32 s12, s3
; %bb.108:                              ;   in Loop: Header=BB164_3 Depth=1
	v_pk_add_f32 v[40:41], v[40:41], 0 neg_lo:[1,1] neg_hi:[1,1]
	ds_store_b64 v48, v[40:41] offset:2096
; %bb.109:                              ;   in Loop: Header=BB164_3 Depth=1
	s_or_b32 exec_lo, exec_lo, s12
	s_wait_dscnt 0x0
	s_barrier_signal -1
	s_barrier_wait -1
	s_barrier_signal -1
	s_barrier_wait -1
	s_and_saveexec_b32 s12, s95
	s_cbranch_execz .LBB164_111
; %bb.110:                              ;   in Loop: Header=BB164_3 Depth=1
	ds_load_b64 v[40:41], v62 offset:2096
	s_wait_dscnt 0x0
	ds_store_b64 v59, v[40:41] offset:3104
	ds_load_b64 v[40:41], v62 offset:2104
	s_wait_dscnt 0x0
	ds_store_b64 v59, v[40:41] offset:3616
.LBB164_111:                            ;   in Loop: Header=BB164_3 Depth=1
	s_or_b32 exec_lo, exec_lo, s12
	s_wait_dscnt 0x0
	s_barrier_signal -1
	s_barrier_wait -1
	s_and_saveexec_b32 s12, s11
	s_cbranch_execz .LBB164_113
; %bb.112:                              ;   in Loop: Header=BB164_3 Depth=1
	ds_load_b64 v[40:41], v3 offset:3128
	v_add_nc_u32_e64 v42, 48, 0
	ds_store_b64 v3, v[34:35] offset:3640
	s_wait_dscnt 0x1
	ds_store_2addr_stride64_b64 v42, v[34:35], v[40:41] offset0:6 offset1:7
.LBB164_113:                            ;   in Loop: Header=BB164_3 Depth=1
	s_or_b32 exec_lo, exec_lo, s12
	v_mov_b64_e32 v[40:41], 0
	s_wait_dscnt 0x0
	s_barrier_signal -1
	s_barrier_wait -1
	s_and_saveexec_b32 s14, s6
	s_cbranch_execz .LBB164_123
; %bb.114:                              ;   in Loop: Header=BB164_3 Depth=1
	ds_load_b64 v[40:41], v64 offset:64
	ds_load_b64 v[42:43], v60
	s_wait_dscnt 0x0
	v_dual_mul_f32 v44, v43, v41 :: v_dual_mul_f32 v41, v42, v41
	s_delay_alu instid0(VALU_DEP_1) | instskip(NEXT) | instid1(VALU_DEP_1)
	v_dual_fma_f32 v42, v42, v40, -v44 :: v_dual_fmac_f32 v41, v43, v40
	v_dual_add_f32 v40, 0, v42 :: v_dual_add_f32 v41, 0, v41
	s_and_saveexec_b32 s12, s18
	s_cbranch_execnz .LBB164_1064
; %bb.115:                              ;   in Loop: Header=BB164_3 Depth=1
	s_or_b32 exec_lo, exec_lo, s12
	s_and_saveexec_b32 s12, s19
	s_cbranch_execnz .LBB164_1065
.LBB164_116:                            ;   in Loop: Header=BB164_3 Depth=1
	s_or_b32 exec_lo, exec_lo, s12
	s_and_saveexec_b32 s12, s20
	s_cbranch_execnz .LBB164_1066
.LBB164_117:                            ;   in Loop: Header=BB164_3 Depth=1
	s_or_b32 exec_lo, exec_lo, s12
	s_and_saveexec_b32 s12, s21
	s_cbranch_execnz .LBB164_1067
.LBB164_118:                            ;   in Loop: Header=BB164_3 Depth=1
	s_or_b32 exec_lo, exec_lo, s12
	s_and_saveexec_b32 s12, s22
	s_cbranch_execnz .LBB164_1068
.LBB164_119:                            ;   in Loop: Header=BB164_3 Depth=1
	s_or_b32 exec_lo, exec_lo, s12
	s_and_saveexec_b32 s12, s5
	s_cbranch_execnz .LBB164_1069
.LBB164_120:                            ;   in Loop: Header=BB164_3 Depth=1
	s_or_b32 exec_lo, exec_lo, s12
	s_and_saveexec_b32 s12, s17
	s_cbranch_execz .LBB164_122
.LBB164_121:                            ;   in Loop: Header=BB164_3 Depth=1
	ds_load_b64 v[42:43], v66 offset:3648
	ds_load_b64 v[44:45], v3 offset:56
	s_wait_dscnt 0x0
	v_pk_mul_f32 v[46:47], v[44:45], v[42:43] op_sel:[1,1] op_sel_hi:[0,1]
	s_delay_alu instid0(VALU_DEP_1) | instskip(SKIP_1) | instid1(VALU_DEP_2)
	v_pk_fma_f32 v[98:99], v[44:45], v[42:43], v[46:47] op_sel_hi:[1,0,1]
	v_pk_fma_f32 v[42:43], v[44:45], v[42:43], v[46:47] neg_lo:[0,0,1] neg_hi:[0,0,1]
	v_mov_b32_e32 v43, v99
	s_delay_alu instid0(VALU_DEP_1)
	v_pk_add_f32 v[40:41], v[40:41], v[42:43]
.LBB164_122:                            ;   in Loop: Header=BB164_3 Depth=1
	s_or_b32 exec_lo, exec_lo, s12
	s_delay_alu instid0(VALU_DEP_1)
	v_pk_add_f32 v[40:41], v[40:41], 0 neg_lo:[1,1] neg_hi:[1,1]
.LBB164_123:                            ;   in Loop: Header=BB164_3 Depth=1
	s_or_b32 exec_lo, exec_lo, s14
	s_and_saveexec_b32 s12, s103
; %bb.124:                              ;   in Loop: Header=BB164_3 Depth=1
	ds_store_b64 v63, v[40:41]
; %bb.125:                              ;   in Loop: Header=BB164_3 Depth=1
	s_or_b32 exec_lo, exec_lo, s12
	s_wait_dscnt 0x0
	s_barrier_signal -1
	s_barrier_wait -1
	s_and_saveexec_b32 s12, s104
	s_cbranch_execz .LBB164_127
; %bb.126:                              ;   in Loop: Header=BB164_3 Depth=1
	ds_load_b64 v[42:43], v61 offset:4160
	ds_load_b64 v[44:45], v63
	s_wait_dscnt 0x0
	v_pk_mul_f32 v[46:47], v[44:45], v[42:43] op_sel:[1,1] op_sel_hi:[0,1]
	s_delay_alu instid0(VALU_DEP_1) | instskip(SKIP_1) | instid1(VALU_DEP_2)
	v_pk_fma_f32 v[98:99], v[44:45], v[42:43], v[46:47] op_sel_hi:[1,0,1]
	v_pk_fma_f32 v[42:43], v[44:45], v[42:43], v[46:47] neg_lo:[0,0,1] neg_hi:[0,0,1]
	v_mov_b32_e32 v43, v99
	s_delay_alu instid0(VALU_DEP_1)
	v_pk_add_f32 v[40:41], v[40:41], v[42:43]
.LBB164_127:                            ;   in Loop: Header=BB164_3 Depth=1
	s_or_b32 exec_lo, exec_lo, s12
	s_barrier_signal -1
	s_barrier_wait -1
	s_and_saveexec_b32 s12, vcc_hi
; %bb.128:                              ;   in Loop: Header=BB164_3 Depth=1
	ds_store_b64 v63, v[40:41]
; %bb.129:                              ;   in Loop: Header=BB164_3 Depth=1
	s_or_b32 exec_lo, exec_lo, s12
	s_wait_dscnt 0x0
	s_barrier_signal -1
	s_barrier_wait -1
	s_and_saveexec_b32 s12, s38
	s_cbranch_execz .LBB164_131
; %bb.130:                              ;   in Loop: Header=BB164_3 Depth=1
	ds_load_b64 v[42:43], v61 offset:4672
	ds_load_b64 v[44:45], v63
	s_wait_dscnt 0x0
	v_dual_mul_f32 v46, v45, v43 :: v_dual_mul_f32 v43, v44, v43
	s_delay_alu instid0(VALU_DEP_1) | instskip(NEXT) | instid1(VALU_DEP_1)
	v_dual_fma_f32 v44, v44, v42, -v46 :: v_dual_fmac_f32 v43, v45, v42
	v_dual_add_f32 v40, v40, v44 :: v_dual_add_f32 v41, v41, v43
.LBB164_131:                            ;   in Loop: Header=BB164_3 Depth=1
	s_or_b32 exec_lo, exec_lo, s12
	s_barrier_signal -1
	s_barrier_wait -1
	s_and_saveexec_b32 s12, s39
; %bb.132:                              ;   in Loop: Header=BB164_3 Depth=1
	ds_store_b64 v63, v[40:41]
; %bb.133:                              ;   in Loop: Header=BB164_3 Depth=1
	s_or_b32 exec_lo, exec_lo, s12
	s_wait_dscnt 0x0
	s_barrier_signal -1
	s_barrier_wait -1
	s_and_saveexec_b32 s12, s40
	s_cbranch_execz .LBB164_135
; %bb.134:                              ;   in Loop: Header=BB164_3 Depth=1
	ds_load_b64 v[42:43], v61 offset:5184
	ds_load_b64 v[44:45], v63
	s_wait_dscnt 0x0
	v_dual_mul_f32 v46, v45, v43 :: v_dual_mul_f32 v47, v44, v43
	s_delay_alu instid0(VALU_DEP_1) | instskip(NEXT) | instid1(VALU_DEP_1)
	v_dual_fma_f32 v46, v44, v42, -v46 :: v_dual_fmac_f32 v47, v45, v42
	v_pk_add_f32 v[40:41], v[40:41], v[46:47]
.LBB164_135:                            ;   in Loop: Header=BB164_3 Depth=1
	s_or_b32 exec_lo, exec_lo, s12
	s_barrier_signal -1
	s_barrier_wait -1
	s_and_saveexec_b32 s12, s41
; %bb.136:                              ;   in Loop: Header=BB164_3 Depth=1
	ds_store_b64 v63, v[40:41]
; %bb.137:                              ;   in Loop: Header=BB164_3 Depth=1
	s_or_b32 exec_lo, exec_lo, s12
	s_wait_dscnt 0x0
	s_barrier_signal -1
	s_barrier_wait -1
	s_and_saveexec_b32 s12, s43
	s_cbranch_execz .LBB164_139
; %bb.138:                              ;   in Loop: Header=BB164_3 Depth=1
	ds_load_b64 v[42:43], v61 offset:5696
	ds_load_b64 v[44:45], v63
	s_wait_dscnt 0x0
	v_pk_mul_f32 v[46:47], v[44:45], v[42:43] op_sel:[1,1] op_sel_hi:[0,1]
	s_delay_alu instid0(VALU_DEP_1) | instskip(SKIP_1) | instid1(VALU_DEP_2)
	v_pk_fma_f32 v[98:99], v[44:45], v[42:43], v[46:47] op_sel_hi:[1,0,1]
	v_pk_fma_f32 v[42:43], v[44:45], v[42:43], v[46:47] neg_lo:[0,0,1] neg_hi:[0,0,1]
	v_mov_b32_e32 v43, v99
	s_delay_alu instid0(VALU_DEP_1)
	v_pk_add_f32 v[40:41], v[40:41], v[42:43]
.LBB164_139:                            ;   in Loop: Header=BB164_3 Depth=1
	s_or_b32 exec_lo, exec_lo, s12
	s_barrier_signal -1
	s_barrier_wait -1
	s_and_saveexec_b32 s12, s44
; %bb.140:                              ;   in Loop: Header=BB164_3 Depth=1
	ds_store_b64 v63, v[40:41]
; %bb.141:                              ;   in Loop: Header=BB164_3 Depth=1
	s_or_b32 exec_lo, exec_lo, s12
	s_wait_dscnt 0x0
	s_barrier_signal -1
	s_barrier_wait -1
	s_and_saveexec_b32 s12, s45
	s_cbranch_execz .LBB164_143
; %bb.142:                              ;   in Loop: Header=BB164_3 Depth=1
	ds_load_b64 v[42:43], v61 offset:6208
	ds_load_b64 v[44:45], v63
	s_wait_dscnt 0x0
	v_pk_mul_f32 v[46:47], v[44:45], v[42:43] op_sel:[1,1] op_sel_hi:[0,1]
	s_delay_alu instid0(VALU_DEP_1) | instskip(SKIP_1) | instid1(VALU_DEP_2)
	v_pk_fma_f32 v[98:99], v[44:45], v[42:43], v[46:47] op_sel_hi:[1,0,1]
	v_pk_fma_f32 v[42:43], v[44:45], v[42:43], v[46:47] neg_lo:[0,0,1] neg_hi:[0,0,1]
	v_mov_b32_e32 v43, v99
	s_delay_alu instid0(VALU_DEP_1)
	v_pk_add_f32 v[40:41], v[40:41], v[42:43]
.LBB164_143:                            ;   in Loop: Header=BB164_3 Depth=1
	;; [unrolled: 25-line block ×4, first 2 shown]
	s_or_b32 exec_lo, exec_lo, s12
	s_barrier_signal -1
	s_barrier_wait -1
	s_and_saveexec_b32 s12, s49
; %bb.152:                              ;   in Loop: Header=BB164_3 Depth=1
	ds_store_b64 v63, v[40:41]
; %bb.153:                              ;   in Loop: Header=BB164_3 Depth=1
	s_or_b32 exec_lo, exec_lo, s12
	s_wait_dscnt 0x0
	s_barrier_signal -1
	s_barrier_wait -1
	s_barrier_signal -1
	s_barrier_wait -1
	s_and_saveexec_b32 s12, s6
; %bb.154:                              ;   in Loop: Header=BB164_3 Depth=1
	v_pk_add_f32 v[40:41], v[40:41], 0 neg_lo:[1,1] neg_hi:[1,1]
	ds_store_b64 v64, v[40:41] offset:64
; %bb.155:                              ;   in Loop: Header=BB164_3 Depth=1
	s_or_b32 exec_lo, exec_lo, s12
	s_wait_dscnt 0x0
	s_barrier_signal -1
	s_barrier_wait -1
	s_barrier_signal -1
	s_barrier_wait -1
	s_and_saveexec_b32 s12, s50
	s_cbranch_execz .LBB164_157
; %bb.156:                              ;   in Loop: Header=BB164_3 Depth=1
	ds_load_b64 v[40:41], v67 offset:64
	s_wait_dscnt 0x0
	ds_store_b64 v69, v[40:41] offset:4096
	ds_load_b64 v[40:41], v67 offset:72
	s_wait_dscnt 0x0
	ds_store_b64 v69, v[40:41] offset:4608
	;; [unrolled: 3-line block ×8, first 2 shown]
.LBB164_157:                            ;   in Loop: Header=BB164_3 Depth=1
	s_or_b32 exec_lo, exec_lo, s12
	s_wait_dscnt 0x0
	s_barrier_signal -1
	s_barrier_wait -1
	s_and_saveexec_b32 s12, s11
	s_cbranch_execz .LBB164_159
; %bb.158:                              ;   in Loop: Header=BB164_3 Depth=1
	ds_load_b64 v[40:41], v3 offset:4168
	v_add_nc_u32_e64 v42, 64, 0
	ds_store_b64 v3, v[34:35] offset:4680
	s_wait_dscnt 0x1
	ds_store_2addr_stride64_b64 v42, v[34:35], v[40:41] offset0:8 offset1:9
.LBB164_159:                            ;   in Loop: Header=BB164_3 Depth=1
	s_or_b32 exec_lo, exec_lo, s12
	v_mov_b64_e32 v[40:41], 0
	s_wait_dscnt 0x0
	s_barrier_signal -1
	s_barrier_wait -1
	s_and_saveexec_b32 s12, s3
	s_cbranch_execz .LBB164_163
; %bb.160:                              ;   in Loop: Header=BB164_3 Depth=1
	ds_load_b64 v[40:41], v48 offset:4176
	ds_load_b64 v[42:43], v49 offset:4160
	s_wait_dscnt 0x0
	v_pk_mul_f32 v[44:45], v[42:43], v[40:41] op_sel:[1,1] op_sel_hi:[0,1]
	s_delay_alu instid0(VALU_DEP_1) | instskip(SKIP_1) | instid1(VALU_DEP_2)
	v_pk_fma_f32 v[46:47], v[42:43], v[40:41], v[44:45] op_sel_hi:[1,0,1]
	v_pk_fma_f32 v[40:41], v[42:43], v[40:41], v[44:45] neg_lo:[0,0,1] neg_hi:[0,0,1]
	v_mov_b32_e32 v41, v47
	s_delay_alu instid0(VALU_DEP_1)
	v_pk_add_f32 v[40:41], v[40:41], 0 op_sel_hi:[1,0]
	s_and_saveexec_b32 s14, s15
	s_cbranch_execz .LBB164_162
; %bb.161:                              ;   in Loop: Header=BB164_3 Depth=1
	ds_load_b64 v[42:43], v69 offset:4688
	ds_load_b64 v[44:45], v3 offset:4168
	s_wait_dscnt 0x0
	v_pk_mul_f32 v[46:47], v[44:45], v[42:43] op_sel:[1,1] op_sel_hi:[0,1]
	s_delay_alu instid0(VALU_DEP_1) | instskip(SKIP_1) | instid1(VALU_DEP_2)
	v_pk_fma_f32 v[98:99], v[44:45], v[42:43], v[46:47] op_sel_hi:[1,0,1]
	v_pk_fma_f32 v[42:43], v[44:45], v[42:43], v[46:47] neg_lo:[0,0,1] neg_hi:[0,0,1]
	v_mov_b32_e32 v43, v99
	s_delay_alu instid0(VALU_DEP_1)
	v_pk_add_f32 v[40:41], v[40:41], v[42:43]
.LBB164_162:                            ;   in Loop: Header=BB164_3 Depth=1
	s_or_b32 exec_lo, exec_lo, s14
	s_delay_alu instid0(VALU_DEP_1)
	v_pk_add_f32 v[40:41], v[40:41], 0 neg_lo:[1,1] neg_hi:[1,1]
.LBB164_163:                            ;   in Loop: Header=BB164_3 Depth=1
	s_or_b32 exec_lo, exec_lo, s12
	s_and_saveexec_b32 s12, s93
; %bb.164:                              ;   in Loop: Header=BB164_3 Depth=1
	ds_store_b64 v5, v[40:41]
; %bb.165:                              ;   in Loop: Header=BB164_3 Depth=1
	s_or_b32 exec_lo, exec_lo, s12
	s_wait_dscnt 0x0
	s_barrier_signal -1
	s_barrier_wait -1
	s_and_saveexec_b32 s12, s94
	s_cbranch_execz .LBB164_167
; %bb.166:                              ;   in Loop: Header=BB164_3 Depth=1
	ds_load_b64 v[42:43], v3 offset:5208
	ds_load_b64 v[44:45], v5
	s_wait_dscnt 0x0
	v_pk_mul_f32 v[46:47], v[44:45], v[42:43] op_sel:[1,1] op_sel_hi:[0,1]
	s_delay_alu instid0(VALU_DEP_1) | instskip(SKIP_1) | instid1(VALU_DEP_2)
	v_pk_fma_f32 v[98:99], v[44:45], v[42:43], v[46:47] op_sel_hi:[1,0,1]
	v_pk_fma_f32 v[42:43], v[44:45], v[42:43], v[46:47] neg_lo:[0,0,1] neg_hi:[0,0,1]
	v_mov_b32_e32 v43, v99
	s_delay_alu instid0(VALU_DEP_1)
	v_pk_add_f32 v[40:41], v[40:41], v[42:43]
.LBB164_167:                            ;   in Loop: Header=BB164_3 Depth=1
	s_or_b32 exec_lo, exec_lo, s12
	s_barrier_signal -1
	s_barrier_wait -1
	s_and_saveexec_b32 s12, s94
; %bb.168:                              ;   in Loop: Header=BB164_3 Depth=1
	ds_store_b64 v5, v[40:41]
; %bb.169:                              ;   in Loop: Header=BB164_3 Depth=1
	s_or_b32 exec_lo, exec_lo, s12
	s_wait_dscnt 0x0
	s_barrier_signal -1
	s_barrier_wait -1
	s_barrier_signal -1
	s_barrier_wait -1
	s_and_saveexec_b32 s12, s3
; %bb.170:                              ;   in Loop: Header=BB164_3 Depth=1
	v_pk_add_f32 v[40:41], v[40:41], 0 neg_lo:[1,1] neg_hi:[1,1]
	ds_store_b64 v48, v[40:41] offset:4176
; %bb.171:                              ;   in Loop: Header=BB164_3 Depth=1
	s_or_b32 exec_lo, exec_lo, s12
	s_wait_dscnt 0x0
	s_barrier_signal -1
	s_barrier_wait -1
	s_barrier_signal -1
	s_barrier_wait -1
	s_and_saveexec_b32 s12, s95
	s_cbranch_execz .LBB164_173
; %bb.172:                              ;   in Loop: Header=BB164_3 Depth=1
	ds_load_b64 v[40:41], v7 offset:4176
	s_wait_dscnt 0x0
	ds_store_b64 v69, v[40:41] offset:5184
	ds_load_b64 v[40:41], v7 offset:4184
	s_wait_dscnt 0x0
	ds_store_b64 v69, v[40:41] offset:5696
.LBB164_173:                            ;   in Loop: Header=BB164_3 Depth=1
	s_or_b32 exec_lo, exec_lo, s12
	s_wait_dscnt 0x0
	s_barrier_signal -1
	s_barrier_wait -1
	s_and_saveexec_b32 s12, s11
	s_cbranch_execz .LBB164_175
; %bb.174:                              ;   in Loop: Header=BB164_3 Depth=1
	ds_load_b64 v[40:41], v3 offset:5208
	v_add_nc_u32_e64 v42, 0x50, 0
	ds_store_b64 v3, v[34:35] offset:5720
	s_wait_dscnt 0x1
	ds_store_2addr_stride64_b64 v42, v[34:35], v[40:41] offset0:10 offset1:11
.LBB164_175:                            ;   in Loop: Header=BB164_3 Depth=1
	s_or_b32 exec_lo, exec_lo, s12
	v_mov_b64_e32 v[40:41], 0
	s_wait_dscnt 0x0
	s_barrier_signal -1
	s_barrier_wait -1
	s_and_saveexec_b32 s14, s5
	s_cbranch_execz .LBB164_181
; %bb.176:                              ;   in Loop: Header=BB164_3 Depth=1
	ds_load_b64 v[40:41], v55 offset:4192
	ds_load_b64 v[42:43], v51 offset:4160
	s_wait_dscnt 0x0
	v_dual_mul_f32 v44, v43, v41 :: v_dual_mul_f32 v41, v42, v41
	s_delay_alu instid0(VALU_DEP_1) | instskip(NEXT) | instid1(VALU_DEP_1)
	v_dual_fma_f32 v42, v42, v40, -v44 :: v_dual_fmac_f32 v41, v43, v40
	v_dual_add_f32 v40, 0, v42 :: v_dual_add_f32 v41, 0, v41
	s_and_saveexec_b32 s12, s16
	s_cbranch_execnz .LBB164_1070
; %bb.177:                              ;   in Loop: Header=BB164_3 Depth=1
	s_or_b32 exec_lo, exec_lo, s12
	s_and_saveexec_b32 s12, s17
	s_cbranch_execnz .LBB164_1071
.LBB164_178:                            ;   in Loop: Header=BB164_3 Depth=1
	s_or_b32 exec_lo, exec_lo, s12
	s_and_saveexec_b32 s12, s3
	s_cbranch_execz .LBB164_180
.LBB164_179:                            ;   in Loop: Header=BB164_3 Depth=1
	ds_load_b64 v[42:43], v9 offset:5728
	ds_load_b64 v[44:45], v3 offset:4184
	s_wait_dscnt 0x0
	v_dual_mul_f32 v46, v45, v43 :: v_dual_mul_f32 v47, v44, v43
	s_delay_alu instid0(VALU_DEP_1) | instskip(NEXT) | instid1(VALU_DEP_1)
	v_dual_fma_f32 v46, v44, v42, -v46 :: v_dual_fmac_f32 v47, v45, v42
	v_pk_add_f32 v[40:41], v[40:41], v[46:47]
.LBB164_180:                            ;   in Loop: Header=BB164_3 Depth=1
	s_or_b32 exec_lo, exec_lo, s12
	s_delay_alu instid0(VALU_DEP_1)
	v_pk_add_f32 v[40:41], v[40:41], 0 neg_lo:[1,1] neg_hi:[1,1]
.LBB164_181:                            ;   in Loop: Header=BB164_3 Depth=1
	s_or_b32 exec_lo, exec_lo, s14
	s_and_saveexec_b32 s12, s96
; %bb.182:                              ;   in Loop: Header=BB164_3 Depth=1
	ds_store_b64 v54, v[40:41]
; %bb.183:                              ;   in Loop: Header=BB164_3 Depth=1
	s_or_b32 exec_lo, exec_lo, s12
	s_wait_dscnt 0x0
	s_barrier_signal -1
	s_barrier_wait -1
	s_and_saveexec_b32 s12, s97
	s_cbranch_execz .LBB164_185
; %bb.184:                              ;   in Loop: Header=BB164_3 Depth=1
	ds_load_b64 v[42:43], v52 offset:6240
	ds_load_b64 v[44:45], v54
	s_wait_dscnt 0x0
	v_pk_mul_f32 v[46:47], v[44:45], v[42:43] op_sel:[1,1] op_sel_hi:[0,1]
	s_delay_alu instid0(VALU_DEP_1) | instskip(SKIP_1) | instid1(VALU_DEP_2)
	v_pk_fma_f32 v[98:99], v[44:45], v[42:43], v[46:47] op_sel_hi:[1,0,1]
	v_pk_fma_f32 v[42:43], v[44:45], v[42:43], v[46:47] neg_lo:[0,0,1] neg_hi:[0,0,1]
	v_mov_b32_e32 v43, v99
	s_delay_alu instid0(VALU_DEP_1)
	v_pk_add_f32 v[40:41], v[40:41], v[42:43]
.LBB164_185:                            ;   in Loop: Header=BB164_3 Depth=1
	s_or_b32 exec_lo, exec_lo, s12
	s_barrier_signal -1
	s_barrier_wait -1
	s_and_saveexec_b32 s12, s98
; %bb.186:                              ;   in Loop: Header=BB164_3 Depth=1
	ds_store_b64 v54, v[40:41]
; %bb.187:                              ;   in Loop: Header=BB164_3 Depth=1
	s_or_b32 exec_lo, exec_lo, s12
	s_wait_dscnt 0x0
	s_barrier_signal -1
	s_barrier_wait -1
	s_and_saveexec_b32 s12, s99
	s_cbranch_execz .LBB164_189
; %bb.188:                              ;   in Loop: Header=BB164_3 Depth=1
	ds_load_b64 v[42:43], v52 offset:6752
	ds_load_b64 v[44:45], v54
	s_wait_dscnt 0x0
	v_pk_mul_f32 v[46:47], v[44:45], v[42:43] op_sel:[1,1] op_sel_hi:[0,1]
	s_delay_alu instid0(VALU_DEP_1) | instskip(SKIP_1) | instid1(VALU_DEP_2)
	v_pk_fma_f32 v[98:99], v[44:45], v[42:43], v[46:47] op_sel_hi:[1,0,1]
	v_pk_fma_f32 v[42:43], v[44:45], v[42:43], v[46:47] neg_lo:[0,0,1] neg_hi:[0,0,1]
	v_mov_b32_e32 v43, v99
	s_delay_alu instid0(VALU_DEP_1)
	v_pk_add_f32 v[40:41], v[40:41], v[42:43]
.LBB164_189:                            ;   in Loop: Header=BB164_3 Depth=1
	s_or_b32 exec_lo, exec_lo, s12
	s_barrier_signal -1
	s_barrier_wait -1
	;; [unrolled: 25-line block ×3, first 2 shown]
	s_and_saveexec_b32 s12, s101
; %bb.194:                              ;   in Loop: Header=BB164_3 Depth=1
	ds_store_b64 v54, v[40:41]
; %bb.195:                              ;   in Loop: Header=BB164_3 Depth=1
	s_or_b32 exec_lo, exec_lo, s12
	s_wait_dscnt 0x0
	s_barrier_signal -1
	s_barrier_wait -1
	s_barrier_signal -1
	s_barrier_wait -1
	s_and_saveexec_b32 s12, s5
; %bb.196:                              ;   in Loop: Header=BB164_3 Depth=1
	v_pk_add_f32 v[40:41], v[40:41], 0 neg_lo:[1,1] neg_hi:[1,1]
	ds_store_b64 v55, v[40:41] offset:4192
; %bb.197:                              ;   in Loop: Header=BB164_3 Depth=1
	s_or_b32 exec_lo, exec_lo, s12
	s_wait_dscnt 0x0
	s_barrier_signal -1
	s_barrier_wait -1
	s_barrier_signal -1
	s_barrier_wait -1
	s_and_saveexec_b32 s12, s102
	s_cbranch_execz .LBB164_199
; %bb.198:                              ;   in Loop: Header=BB164_3 Depth=1
	ds_load_b64 v[40:41], v77 offset:4192
	s_wait_dscnt 0x0
	ds_store_b64 v81, v[40:41] offset:6208
	ds_load_b64 v[40:41], v77 offset:4200
	s_wait_dscnt 0x0
	ds_store_b64 v81, v[40:41] offset:6720
	;; [unrolled: 3-line block ×4, first 2 shown]
.LBB164_199:                            ;   in Loop: Header=BB164_3 Depth=1
	s_or_b32 exec_lo, exec_lo, s12
	s_wait_dscnt 0x0
	s_barrier_signal -1
	s_barrier_wait -1
	s_and_saveexec_b32 s12, s11
	s_cbranch_execz .LBB164_201
; %bb.200:                              ;   in Loop: Header=BB164_3 Depth=1
	ds_load_b64 v[40:41], v3 offset:6248
	v_add_nc_u32_e64 v42, 0x60, 0
	ds_store_b64 v3, v[34:35] offset:6760
	s_wait_dscnt 0x1
	ds_store_2addr_stride64_b64 v42, v[34:35], v[40:41] offset0:12 offset1:13
.LBB164_201:                            ;   in Loop: Header=BB164_3 Depth=1
	s_or_b32 exec_lo, exec_lo, s12
	v_mov_b64_e32 v[40:41], 0
	s_wait_dscnt 0x0
	s_barrier_signal -1
	s_barrier_wait -1
	s_and_saveexec_b32 s12, s3
	s_cbranch_execz .LBB164_205
; %bb.202:                              ;   in Loop: Header=BB164_3 Depth=1
	ds_load_b64 v[40:41], v48 offset:6256
	ds_load_b64 v[42:43], v49 offset:6240
	s_wait_dscnt 0x0
	v_pk_mul_f32 v[44:45], v[42:43], v[40:41] op_sel:[1,1] op_sel_hi:[0,1]
	s_delay_alu instid0(VALU_DEP_1) | instskip(SKIP_1) | instid1(VALU_DEP_2)
	v_pk_fma_f32 v[46:47], v[42:43], v[40:41], v[44:45] op_sel_hi:[1,0,1]
	v_pk_fma_f32 v[40:41], v[42:43], v[40:41], v[44:45] neg_lo:[0,0,1] neg_hi:[0,0,1]
	v_mov_b32_e32 v41, v47
	s_delay_alu instid0(VALU_DEP_1)
	v_pk_add_f32 v[40:41], v[40:41], 0 op_sel_hi:[1,0]
	s_and_saveexec_b32 s14, s15
	s_cbranch_execz .LBB164_204
; %bb.203:                              ;   in Loop: Header=BB164_3 Depth=1
	ds_load_b64 v[42:43], v81 offset:6768
	ds_load_b64 v[44:45], v3 offset:6248
	s_wait_dscnt 0x0
	v_pk_mul_f32 v[46:47], v[44:45], v[42:43] op_sel:[1,1] op_sel_hi:[0,1]
	s_delay_alu instid0(VALU_DEP_1) | instskip(SKIP_1) | instid1(VALU_DEP_2)
	v_pk_fma_f32 v[98:99], v[44:45], v[42:43], v[46:47] op_sel_hi:[1,0,1]
	v_pk_fma_f32 v[42:43], v[44:45], v[42:43], v[46:47] neg_lo:[0,0,1] neg_hi:[0,0,1]
	v_mov_b32_e32 v43, v99
	s_delay_alu instid0(VALU_DEP_1)
	v_pk_add_f32 v[40:41], v[40:41], v[42:43]
.LBB164_204:                            ;   in Loop: Header=BB164_3 Depth=1
	s_or_b32 exec_lo, exec_lo, s14
	s_delay_alu instid0(VALU_DEP_1)
	v_pk_add_f32 v[40:41], v[40:41], 0 neg_lo:[1,1] neg_hi:[1,1]
.LBB164_205:                            ;   in Loop: Header=BB164_3 Depth=1
	s_or_b32 exec_lo, exec_lo, s12
	s_and_saveexec_b32 s12, s93
; %bb.206:                              ;   in Loop: Header=BB164_3 Depth=1
	ds_store_b64 v5, v[40:41]
; %bb.207:                              ;   in Loop: Header=BB164_3 Depth=1
	s_or_b32 exec_lo, exec_lo, s12
	s_wait_dscnt 0x0
	s_barrier_signal -1
	s_barrier_wait -1
	s_and_saveexec_b32 s12, s94
	s_cbranch_execz .LBB164_209
; %bb.208:                              ;   in Loop: Header=BB164_3 Depth=1
	ds_load_b64 v[42:43], v3 offset:7288
	ds_load_b64 v[44:45], v5
	s_wait_dscnt 0x0
	v_pk_mul_f32 v[46:47], v[44:45], v[42:43] op_sel:[1,1] op_sel_hi:[0,1]
	s_delay_alu instid0(VALU_DEP_1) | instskip(SKIP_1) | instid1(VALU_DEP_2)
	v_pk_fma_f32 v[98:99], v[44:45], v[42:43], v[46:47] op_sel_hi:[1,0,1]
	v_pk_fma_f32 v[42:43], v[44:45], v[42:43], v[46:47] neg_lo:[0,0,1] neg_hi:[0,0,1]
	v_mov_b32_e32 v43, v99
	s_delay_alu instid0(VALU_DEP_1)
	v_pk_add_f32 v[40:41], v[40:41], v[42:43]
.LBB164_209:                            ;   in Loop: Header=BB164_3 Depth=1
	s_or_b32 exec_lo, exec_lo, s12
	s_barrier_signal -1
	s_barrier_wait -1
	s_and_saveexec_b32 s12, s94
; %bb.210:                              ;   in Loop: Header=BB164_3 Depth=1
	ds_store_b64 v5, v[40:41]
; %bb.211:                              ;   in Loop: Header=BB164_3 Depth=1
	s_or_b32 exec_lo, exec_lo, s12
	s_wait_dscnt 0x0
	s_barrier_signal -1
	s_barrier_wait -1
	s_barrier_signal -1
	s_barrier_wait -1
	s_and_saveexec_b32 s12, s3
; %bb.212:                              ;   in Loop: Header=BB164_3 Depth=1
	v_pk_add_f32 v[40:41], v[40:41], 0 neg_lo:[1,1] neg_hi:[1,1]
	ds_store_b64 v48, v[40:41] offset:6256
; %bb.213:                              ;   in Loop: Header=BB164_3 Depth=1
	s_or_b32 exec_lo, exec_lo, s12
	s_wait_dscnt 0x0
	s_barrier_signal -1
	s_barrier_wait -1
	s_barrier_signal -1
	s_barrier_wait -1
	s_and_saveexec_b32 s12, s95
	s_cbranch_execz .LBB164_215
; %bb.214:                              ;   in Loop: Header=BB164_3 Depth=1
	ds_load_b64 v[40:41], v83 offset:6256
	s_wait_dscnt 0x0
	ds_store_b64 v81, v[40:41] offset:7264
	ds_load_b64 v[40:41], v83 offset:6264
	s_wait_dscnt 0x0
	ds_store_b64 v81, v[40:41] offset:7776
.LBB164_215:                            ;   in Loop: Header=BB164_3 Depth=1
	s_or_b32 exec_lo, exec_lo, s12
	s_wait_dscnt 0x0
	s_barrier_signal -1
	s_barrier_wait -1
	s_and_saveexec_b32 s12, s11
	s_cbranch_execz .LBB164_217
; %bb.216:                              ;   in Loop: Header=BB164_3 Depth=1
	ds_load_b64 v[40:41], v3 offset:7288
	v_add_nc_u32_e64 v42, 0x70, 0
	ds_store_b64 v3, v[34:35] offset:7800
	s_wait_dscnt 0x1
	ds_store_2addr_stride64_b64 v42, v[34:35], v[40:41] offset0:14 offset1:15
.LBB164_217:                            ;   in Loop: Header=BB164_3 Depth=1
	s_or_b32 exec_lo, exec_lo, s12
	v_mov_b64_e32 v[40:41], 0
	s_wait_dscnt 0x0
	s_barrier_signal -1
	s_barrier_wait -1
	s_and_saveexec_b32 s62, s7
	s_cbranch_execz .LBB164_245
; %bb.218:                              ;   in Loop: Header=BB164_3 Depth=1
	ds_load_b64 v[40:41], v72 offset:128
	ds_load_b64 v[42:43], v68
	s_wait_dscnt 0x0
	v_dual_mul_f32 v44, v43, v41 :: v_dual_mul_f32 v41, v42, v41
	s_delay_alu instid0(VALU_DEP_1) | instskip(NEXT) | instid1(VALU_DEP_1)
	v_dual_fma_f32 v42, v42, v40, -v44 :: v_dual_fmac_f32 v41, v43, v40
	v_dual_add_f32 v40, 0, v42 :: v_dual_add_f32 v41, 0, v41
	s_mov_b32 s12, exec_lo
	v_readlane_b32 s14, v106, 27
	s_and_b32 s14, s12, s14
	s_delay_alu instid0(SALU_CYCLE_1)
	s_mov_b32 exec_lo, s14
	s_cbranch_execz .LBB164_220
; %bb.219:                              ;   in Loop: Header=BB164_3 Depth=1
	ds_load_b64 v[42:43], v73 offset:640
	ds_load_b64 v[44:45], v68 offset:8
	s_wait_dscnt 0x0
	v_dual_mul_f32 v46, v45, v43 :: v_dual_mul_f32 v43, v44, v43
	s_delay_alu instid0(VALU_DEP_1) | instskip(NEXT) | instid1(VALU_DEP_1)
	v_dual_fma_f32 v44, v44, v42, -v46 :: v_dual_fmac_f32 v43, v45, v42
	v_dual_add_f32 v40, v40, v44 :: v_dual_add_f32 v41, v41, v43
.LBB164_220:                            ;   in Loop: Header=BB164_3 Depth=1
	s_or_b32 exec_lo, exec_lo, s12
	s_delay_alu instid0(SALU_CYCLE_1) | instskip(SKIP_2) | instid1(SALU_CYCLE_1)
	s_mov_b32 s12, exec_lo
	v_readlane_b32 s14, v106, 28
	s_and_b32 s14, s12, s14
	s_mov_b32 exec_lo, s14
	s_cbranch_execz .LBB164_222
; %bb.221:                              ;   in Loop: Header=BB164_3 Depth=1
	ds_load_b64 v[42:43], v73 offset:1152
	ds_load_b64 v[44:45], v68 offset:16
	s_wait_dscnt 0x0
	v_dual_mul_f32 v46, v45, v43 :: v_dual_mul_f32 v43, v44, v43
	s_delay_alu instid0(VALU_DEP_1) | instskip(NEXT) | instid1(VALU_DEP_1)
	v_dual_fma_f32 v44, v44, v42, -v46 :: v_dual_fmac_f32 v43, v45, v42
	v_dual_add_f32 v40, v40, v44 :: v_dual_add_f32 v41, v41, v43
.LBB164_222:                            ;   in Loop: Header=BB164_3 Depth=1
	s_or_b32 exec_lo, exec_lo, s12
	s_delay_alu instid0(SALU_CYCLE_1) | instskip(SKIP_2) | instid1(SALU_CYCLE_1)
	s_mov_b32 s12, exec_lo
	v_readlane_b32 s14, v106, 29
	s_and_b32 s14, s12, s14
	;; [unrolled: 16-line block ×10, first 2 shown]
	s_mov_b32 exec_lo, s14
	s_cbranch_execnz .LBB164_1072
; %bb.239:                              ;   in Loop: Header=BB164_3 Depth=1
	s_or_b32 exec_lo, exec_lo, s12
	s_and_saveexec_b32 s12, s6
	s_cbranch_execnz .LBB164_1073
.LBB164_240:                            ;   in Loop: Header=BB164_3 Depth=1
	s_or_b32 exec_lo, exec_lo, s12
	s_and_saveexec_b32 s12, s19
	s_cbranch_execnz .LBB164_1074
.LBB164_241:                            ;   in Loop: Header=BB164_3 Depth=1
	s_or_b32 exec_lo, exec_lo, s12
	s_and_saveexec_b32 s12, s21
	s_cbranch_execnz .LBB164_1075
.LBB164_242:                            ;   in Loop: Header=BB164_3 Depth=1
	s_or_b32 exec_lo, exec_lo, s12
	s_and_saveexec_b32 s12, s5
	s_cbranch_execz .LBB164_244
.LBB164_243:                            ;   in Loop: Header=BB164_3 Depth=1
	ds_load_b64 v[42:43], v50 offset:7808
	ds_load_b64 v[44:45], v3 offset:120
	s_wait_dscnt 0x0
	v_dual_mul_f32 v46, v45, v43 :: v_dual_mul_f32 v47, v44, v43
	s_delay_alu instid0(VALU_DEP_1) | instskip(NEXT) | instid1(VALU_DEP_1)
	v_dual_fma_f32 v46, v44, v42, -v46 :: v_dual_fmac_f32 v47, v45, v42
	v_pk_add_f32 v[40:41], v[40:41], v[46:47]
.LBB164_244:                            ;   in Loop: Header=BB164_3 Depth=1
	s_or_b32 exec_lo, exec_lo, s12
	s_delay_alu instid0(VALU_DEP_1)
	v_pk_add_f32 v[40:41], v[40:41], 0 neg_lo:[1,1] neg_hi:[1,1]
.LBB164_245:                            ;   in Loop: Header=BB164_3 Depth=1
	s_or_b32 exec_lo, exec_lo, s62
	s_delay_alu instid0(SALU_CYCLE_1) | instskip(SKIP_2) | instid1(SALU_CYCLE_1)
	s_mov_b32 s12, exec_lo
	v_readlane_b32 s14, v106, 2
	s_and_b32 s14, s12, s14
	s_mov_b32 exec_lo, s14
; %bb.246:                              ;   in Loop: Header=BB164_3 Depth=1
	ds_store_b64 v71, v[40:41]
; %bb.247:                              ;   in Loop: Header=BB164_3 Depth=1
	s_or_b32 exec_lo, exec_lo, s12
	s_wait_dscnt 0x0
	s_barrier_signal -1
	s_barrier_wait -1
	s_mov_b32 s12, exec_lo
	v_readlane_b32 s14, v106, 3
	s_and_b32 s14, s12, s14
	s_delay_alu instid0(SALU_CYCLE_1)
	s_mov_b32 exec_lo, s14
	s_cbranch_execz .LBB164_249
; %bb.248:                              ;   in Loop: Header=BB164_3 Depth=1
	ds_load_b64 v[42:43], v70 offset:8320
	ds_load_b64 v[44:45], v71
	s_wait_dscnt 0x0
	v_pk_mul_f32 v[46:47], v[44:45], v[42:43] op_sel:[1,1] op_sel_hi:[0,1]
	s_delay_alu instid0(VALU_DEP_1) | instskip(SKIP_1) | instid1(VALU_DEP_2)
	v_pk_fma_f32 v[98:99], v[44:45], v[42:43], v[46:47] op_sel_hi:[1,0,1]
	v_pk_fma_f32 v[42:43], v[44:45], v[42:43], v[46:47] neg_lo:[0,0,1] neg_hi:[0,0,1]
	v_mov_b32_e32 v43, v99
	s_delay_alu instid0(VALU_DEP_1)
	v_pk_add_f32 v[40:41], v[40:41], v[42:43]
.LBB164_249:                            ;   in Loop: Header=BB164_3 Depth=1
	s_or_b32 exec_lo, exec_lo, s12
	s_barrier_signal -1
	s_barrier_wait -1
	s_mov_b32 s12, exec_lo
	v_readlane_b32 s14, v106, 4
	s_and_b32 s14, s12, s14
	s_delay_alu instid0(SALU_CYCLE_1)
	s_mov_b32 exec_lo, s14
; %bb.250:                              ;   in Loop: Header=BB164_3 Depth=1
	ds_store_b64 v71, v[40:41]
; %bb.251:                              ;   in Loop: Header=BB164_3 Depth=1
	s_or_b32 exec_lo, exec_lo, s12
	s_wait_dscnt 0x0
	s_barrier_signal -1
	s_barrier_wait -1
	s_mov_b32 s12, exec_lo
	v_readlane_b32 s14, v106, 5
	s_and_b32 s14, s12, s14
	s_delay_alu instid0(SALU_CYCLE_1)
	s_mov_b32 exec_lo, s14
	s_cbranch_execz .LBB164_253
; %bb.252:                              ;   in Loop: Header=BB164_3 Depth=1
	ds_load_b64 v[42:43], v70 offset:8832
	ds_load_b64 v[44:45], v71
	s_wait_dscnt 0x0
	v_pk_mul_f32 v[46:47], v[44:45], v[42:43] op_sel:[1,1] op_sel_hi:[0,1]
	s_delay_alu instid0(VALU_DEP_1) | instskip(SKIP_1) | instid1(VALU_DEP_2)
	v_pk_fma_f32 v[98:99], v[44:45], v[42:43], v[46:47] op_sel_hi:[1,0,1]
	v_pk_fma_f32 v[42:43], v[44:45], v[42:43], v[46:47] neg_lo:[0,0,1] neg_hi:[0,0,1]
	v_mov_b32_e32 v43, v99
	s_delay_alu instid0(VALU_DEP_1)
	v_pk_add_f32 v[40:41], v[40:41], v[42:43]
.LBB164_253:                            ;   in Loop: Header=BB164_3 Depth=1
	s_or_b32 exec_lo, exec_lo, s12
	s_barrier_signal -1
	s_barrier_wait -1
	s_mov_b32 s12, exec_lo
	v_readlane_b32 s14, v106, 6
	s_and_b32 s14, s12, s14
	s_delay_alu instid0(SALU_CYCLE_1)
	;; [unrolled: 33-line block ×3, first 2 shown]
	s_mov_b32 exec_lo, s14
; %bb.258:                              ;   in Loop: Header=BB164_3 Depth=1
	ds_store_b64 v71, v[40:41]
; %bb.259:                              ;   in Loop: Header=BB164_3 Depth=1
	s_or_b32 exec_lo, exec_lo, s12
	s_wait_dscnt 0x0
	s_barrier_signal -1
	s_barrier_wait -1
	s_mov_b32 s12, exec_lo
	v_readlane_b32 s14, v106, 9
	s_and_b32 s14, s12, s14
	s_delay_alu instid0(SALU_CYCLE_1)
	s_mov_b32 exec_lo, s14
	s_cbranch_execz .LBB164_261
; %bb.260:                              ;   in Loop: Header=BB164_3 Depth=1
	ds_load_b64 v[42:43], v70 offset:9856
	ds_load_b64 v[44:45], v71
	s_wait_dscnt 0x0
	v_dual_mul_f32 v46, v45, v43 :: v_dual_mul_f32 v43, v44, v43
	s_delay_alu instid0(VALU_DEP_1) | instskip(NEXT) | instid1(VALU_DEP_1)
	v_dual_fma_f32 v44, v44, v42, -v46 :: v_dual_fmac_f32 v43, v45, v42
	v_dual_add_f32 v40, v40, v44 :: v_dual_add_f32 v41, v41, v43
.LBB164_261:                            ;   in Loop: Header=BB164_3 Depth=1
	s_or_b32 exec_lo, exec_lo, s12
	s_barrier_signal -1
	s_barrier_wait -1
	s_and_saveexec_b32 s12, s59
; %bb.262:                              ;   in Loop: Header=BB164_3 Depth=1
	ds_store_b64 v71, v[40:41]
; %bb.263:                              ;   in Loop: Header=BB164_3 Depth=1
	s_or_b32 exec_lo, exec_lo, s12
	s_wait_dscnt 0x0
	s_barrier_signal -1
	s_barrier_wait -1
	s_and_saveexec_b32 s12, s60
	s_cbranch_execz .LBB164_265
; %bb.264:                              ;   in Loop: Header=BB164_3 Depth=1
	ds_load_b64 v[42:43], v70 offset:10368
	ds_load_b64 v[44:45], v71
	s_wait_dscnt 0x0
	v_dual_mul_f32 v46, v45, v43 :: v_dual_mul_f32 v47, v44, v43
	s_delay_alu instid0(VALU_DEP_1) | instskip(NEXT) | instid1(VALU_DEP_1)
	v_dual_fma_f32 v46, v44, v42, -v46 :: v_dual_fmac_f32 v47, v45, v42
	v_pk_add_f32 v[40:41], v[40:41], v[46:47]
.LBB164_265:                            ;   in Loop: Header=BB164_3 Depth=1
	s_or_b32 exec_lo, exec_lo, s12
	s_barrier_signal -1
	s_barrier_wait -1
	s_and_saveexec_b32 s12, s61
; %bb.266:                              ;   in Loop: Header=BB164_3 Depth=1
	ds_store_b64 v71, v[40:41]
; %bb.267:                              ;   in Loop: Header=BB164_3 Depth=1
	s_or_b32 exec_lo, exec_lo, s12
	s_wait_dscnt 0x0
	s_barrier_signal -1
	s_barrier_wait -1
	s_and_saveexec_b32 s12, s13
	s_cbranch_execz .LBB164_269
; %bb.268:                              ;   in Loop: Header=BB164_3 Depth=1
	ds_load_b64 v[42:43], v70 offset:10880
	ds_load_b64 v[44:45], v71
	s_wait_dscnt 0x0
	v_pk_mul_f32 v[46:47], v[44:45], v[42:43] op_sel:[1,1] op_sel_hi:[0,1]
	s_delay_alu instid0(VALU_DEP_1) | instskip(SKIP_1) | instid1(VALU_DEP_2)
	v_pk_fma_f32 v[98:99], v[44:45], v[42:43], v[46:47] op_sel_hi:[1,0,1]
	v_pk_fma_f32 v[42:43], v[44:45], v[42:43], v[46:47] neg_lo:[0,0,1] neg_hi:[0,0,1]
	v_mov_b32_e32 v43, v99
	s_delay_alu instid0(VALU_DEP_1)
	v_pk_add_f32 v[40:41], v[40:41], v[42:43]
.LBB164_269:                            ;   in Loop: Header=BB164_3 Depth=1
	s_or_b32 exec_lo, exec_lo, s12
	s_barrier_signal -1
	s_barrier_wait -1
	s_and_saveexec_b32 s12, s23
; %bb.270:                              ;   in Loop: Header=BB164_3 Depth=1
	ds_store_b64 v71, v[40:41]
; %bb.271:                              ;   in Loop: Header=BB164_3 Depth=1
	s_or_b32 exec_lo, exec_lo, s12
	s_wait_dscnt 0x0
	s_barrier_signal -1
	s_barrier_wait -1
	s_and_saveexec_b32 s12, s25
	s_cbranch_execz .LBB164_273
; %bb.272:                              ;   in Loop: Header=BB164_3 Depth=1
	ds_load_b64 v[42:43], v70 offset:11392
	ds_load_b64 v[44:45], v71
	s_wait_dscnt 0x0
	v_pk_mul_f32 v[46:47], v[44:45], v[42:43] op_sel:[1,1] op_sel_hi:[0,1]
	s_delay_alu instid0(VALU_DEP_1) | instskip(SKIP_1) | instid1(VALU_DEP_2)
	v_pk_fma_f32 v[98:99], v[44:45], v[42:43], v[46:47] op_sel_hi:[1,0,1]
	v_pk_fma_f32 v[42:43], v[44:45], v[42:43], v[46:47] neg_lo:[0,0,1] neg_hi:[0,0,1]
	v_mov_b32_e32 v43, v99
	s_delay_alu instid0(VALU_DEP_1)
	v_pk_add_f32 v[40:41], v[40:41], v[42:43]
.LBB164_273:                            ;   in Loop: Header=BB164_3 Depth=1
	;; [unrolled: 25-line block ×4, first 2 shown]
	s_or_b32 exec_lo, exec_lo, s12
	s_barrier_signal -1
	s_barrier_wait -1
	s_and_saveexec_b32 s12, s42
; %bb.282:                              ;   in Loop: Header=BB164_3 Depth=1
	ds_store_b64 v71, v[40:41]
; %bb.283:                              ;   in Loop: Header=BB164_3 Depth=1
	s_or_b32 exec_lo, exec_lo, s12
	s_wait_dscnt 0x0
	s_barrier_signal -1
	s_barrier_wait -1
	s_and_saveexec_b32 s12, s82
	s_cbranch_execz .LBB164_285
; %bb.284:                              ;   in Loop: Header=BB164_3 Depth=1
	ds_load_b64 v[42:43], v70 offset:12928
	ds_load_b64 v[44:45], v71
	s_wait_dscnt 0x0
	v_dual_mul_f32 v46, v45, v43 :: v_dual_mul_f32 v43, v44, v43
	s_delay_alu instid0(VALU_DEP_1) | instskip(NEXT) | instid1(VALU_DEP_1)
	v_dual_fma_f32 v44, v44, v42, -v46 :: v_dual_fmac_f32 v43, v45, v42
	v_dual_add_f32 v40, v40, v44 :: v_dual_add_f32 v41, v41, v43
.LBB164_285:                            ;   in Loop: Header=BB164_3 Depth=1
	s_or_b32 exec_lo, exec_lo, s12
	s_barrier_signal -1
	s_barrier_wait -1
	s_and_saveexec_b32 s12, s83
; %bb.286:                              ;   in Loop: Header=BB164_3 Depth=1
	ds_store_b64 v71, v[40:41]
; %bb.287:                              ;   in Loop: Header=BB164_3 Depth=1
	s_or_b32 exec_lo, exec_lo, s12
	s_wait_dscnt 0x0
	s_barrier_signal -1
	s_barrier_wait -1
	s_and_saveexec_b32 s12, s76
	s_cbranch_execz .LBB164_289
; %bb.288:                              ;   in Loop: Header=BB164_3 Depth=1
	ds_load_b64 v[42:43], v70 offset:13440
	ds_load_b64 v[44:45], v71
	s_wait_dscnt 0x0
	v_dual_mul_f32 v46, v45, v43 :: v_dual_mul_f32 v47, v44, v43
	s_delay_alu instid0(VALU_DEP_1) | instskip(NEXT) | instid1(VALU_DEP_1)
	v_dual_fma_f32 v46, v44, v42, -v46 :: v_dual_fmac_f32 v47, v45, v42
	v_pk_add_f32 v[40:41], v[40:41], v[46:47]
.LBB164_289:                            ;   in Loop: Header=BB164_3 Depth=1
	s_or_b32 exec_lo, exec_lo, s12
	s_barrier_signal -1
	s_barrier_wait -1
	s_and_saveexec_b32 s12, s77
; %bb.290:                              ;   in Loop: Header=BB164_3 Depth=1
	ds_store_b64 v71, v[40:41]
; %bb.291:                              ;   in Loop: Header=BB164_3 Depth=1
	s_or_b32 exec_lo, exec_lo, s12
	s_wait_dscnt 0x0
	s_barrier_signal -1
	s_barrier_wait -1
	s_and_saveexec_b32 s12, s24
	s_cbranch_execz .LBB164_293
; %bb.292:                              ;   in Loop: Header=BB164_3 Depth=1
	ds_load_b64 v[42:43], v70 offset:13952
	ds_load_b64 v[44:45], v71
	s_wait_dscnt 0x0
	v_pk_mul_f32 v[46:47], v[44:45], v[42:43] op_sel:[1,1] op_sel_hi:[0,1]
	s_delay_alu instid0(VALU_DEP_1) | instskip(SKIP_1) | instid1(VALU_DEP_2)
	v_pk_fma_f32 v[98:99], v[44:45], v[42:43], v[46:47] op_sel_hi:[1,0,1]
	v_pk_fma_f32 v[42:43], v[44:45], v[42:43], v[46:47] neg_lo:[0,0,1] neg_hi:[0,0,1]
	v_mov_b32_e32 v43, v99
	s_delay_alu instid0(VALU_DEP_1)
	v_pk_add_f32 v[40:41], v[40:41], v[42:43]
.LBB164_293:                            ;   in Loop: Header=BB164_3 Depth=1
	s_or_b32 exec_lo, exec_lo, s12
	s_barrier_signal -1
	s_barrier_wait -1
	s_and_saveexec_b32 s12, s26
; %bb.294:                              ;   in Loop: Header=BB164_3 Depth=1
	ds_store_b64 v71, v[40:41]
; %bb.295:                              ;   in Loop: Header=BB164_3 Depth=1
	s_or_b32 exec_lo, exec_lo, s12
	s_wait_dscnt 0x0
	s_barrier_signal -1
	s_barrier_wait -1
	s_and_saveexec_b32 s12, s28
	s_cbranch_execz .LBB164_297
; %bb.296:                              ;   in Loop: Header=BB164_3 Depth=1
	ds_load_b64 v[42:43], v70 offset:14464
	ds_load_b64 v[44:45], v71
	s_wait_dscnt 0x0
	v_pk_mul_f32 v[46:47], v[44:45], v[42:43] op_sel:[1,1] op_sel_hi:[0,1]
	s_delay_alu instid0(VALU_DEP_1) | instskip(SKIP_1) | instid1(VALU_DEP_2)
	v_pk_fma_f32 v[98:99], v[44:45], v[42:43], v[46:47] op_sel_hi:[1,0,1]
	v_pk_fma_f32 v[42:43], v[44:45], v[42:43], v[46:47] neg_lo:[0,0,1] neg_hi:[0,0,1]
	v_mov_b32_e32 v43, v99
	s_delay_alu instid0(VALU_DEP_1)
	v_pk_add_f32 v[40:41], v[40:41], v[42:43]
.LBB164_297:                            ;   in Loop: Header=BB164_3 Depth=1
	;; [unrolled: 25-line block ×4, first 2 shown]
	s_or_b32 exec_lo, exec_lo, s12
	s_barrier_signal -1
	s_barrier_wait -1
	s_and_saveexec_b32 s12, s63
; %bb.306:                              ;   in Loop: Header=BB164_3 Depth=1
	ds_store_b64 v71, v[40:41]
; %bb.307:                              ;   in Loop: Header=BB164_3 Depth=1
	s_or_b32 exec_lo, exec_lo, s12
	s_wait_dscnt 0x0
	s_barrier_signal -1
	s_barrier_wait -1
	s_barrier_signal -1
	s_barrier_wait -1
	s_and_saveexec_b32 s12, s7
; %bb.308:                              ;   in Loop: Header=BB164_3 Depth=1
	v_pk_add_f32 v[40:41], v[40:41], 0 neg_lo:[1,1] neg_hi:[1,1]
	ds_store_b64 v72, v[40:41] offset:128
; %bb.309:                              ;   in Loop: Header=BB164_3 Depth=1
	s_or_b32 exec_lo, exec_lo, s12
	s_wait_dscnt 0x0
	s_barrier_signal -1
	s_barrier_wait -1
	s_barrier_signal -1
	s_barrier_wait -1
	s_and_saveexec_b32 s12, s51
	s_cbranch_execz .LBB164_311
; %bb.310:                              ;   in Loop: Header=BB164_3 Depth=1
	ds_load_b64 v[40:41], v53 offset:128
	s_wait_dscnt 0x0
	ds_store_b64 v57, v[40:41] offset:8192
	ds_load_b64 v[40:41], v53 offset:136
	s_wait_dscnt 0x0
	ds_store_b64 v57, v[40:41] offset:8704
	ds_load_b64 v[40:41], v53 offset:144
	s_wait_dscnt 0x0
	ds_store_b64 v57, v[40:41] offset:9216
	ds_load_b64 v[40:41], v53 offset:152
	s_wait_dscnt 0x0
	ds_store_b64 v57, v[40:41] offset:9728
	ds_load_b64 v[40:41], v53 offset:160
	s_wait_dscnt 0x0
	ds_store_b64 v57, v[40:41] offset:10240
	ds_load_b64 v[40:41], v53 offset:168
	s_wait_dscnt 0x0
	ds_store_b64 v57, v[40:41] offset:10752
	ds_load_b64 v[40:41], v53 offset:176
	s_wait_dscnt 0x0
	ds_store_b64 v57, v[40:41] offset:11264
	ds_load_b64 v[40:41], v53 offset:184
	s_wait_dscnt 0x0
	ds_store_b64 v57, v[40:41] offset:11776
	ds_load_b64 v[40:41], v53 offset:192
	s_wait_dscnt 0x0
	ds_store_b64 v57, v[40:41] offset:12288
	ds_load_b64 v[40:41], v53 offset:200
	s_wait_dscnt 0x0
	ds_store_b64 v57, v[40:41] offset:12800
	ds_load_b64 v[40:41], v53 offset:208
	s_wait_dscnt 0x0
	ds_store_b64 v57, v[40:41] offset:13312
	ds_load_b64 v[40:41], v53 offset:216
	s_wait_dscnt 0x0
	ds_store_b64 v57, v[40:41] offset:13824
	ds_load_b64 v[40:41], v53 offset:224
	s_wait_dscnt 0x0
	ds_store_b64 v57, v[40:41] offset:14336
	ds_load_b64 v[40:41], v53 offset:232
	s_wait_dscnt 0x0
	ds_store_b64 v57, v[40:41] offset:14848
	ds_load_b64 v[40:41], v53 offset:240
	s_wait_dscnt 0x0
	ds_store_b64 v57, v[40:41] offset:15360
	ds_load_b64 v[40:41], v53 offset:248
	s_wait_dscnt 0x0
	ds_store_b64 v57, v[40:41] offset:15872
.LBB164_311:                            ;   in Loop: Header=BB164_3 Depth=1
	s_or_b32 exec_lo, exec_lo, s12
	s_wait_dscnt 0x0
	s_barrier_signal -1
	s_barrier_wait -1
	s_and_saveexec_b32 s12, s11
	s_cbranch_execz .LBB164_313
; %bb.312:                              ;   in Loop: Header=BB164_3 Depth=1
	ds_load_b64 v[40:41], v3 offset:8328
	v_add_nc_u32_e64 v42, 0x80, 0
	ds_store_b64 v3, v[34:35] offset:8840
	s_wait_dscnt 0x1
	ds_store_2addr_stride64_b64 v42, v[34:35], v[40:41] offset0:16 offset1:17
.LBB164_313:                            ;   in Loop: Header=BB164_3 Depth=1
	s_or_b32 exec_lo, exec_lo, s12
	v_mov_b64_e32 v[40:41], 0
	s_wait_dscnt 0x0
	s_barrier_signal -1
	s_barrier_wait -1
	s_and_saveexec_b32 s12, s3
	s_cbranch_execz .LBB164_317
; %bb.314:                              ;   in Loop: Header=BB164_3 Depth=1
	ds_load_b64 v[40:41], v48 offset:8336
	ds_load_b64 v[42:43], v49 offset:8320
	s_wait_dscnt 0x0
	v_pk_mul_f32 v[44:45], v[42:43], v[40:41] op_sel:[1,1] op_sel_hi:[0,1]
	s_delay_alu instid0(VALU_DEP_1) | instskip(SKIP_1) | instid1(VALU_DEP_2)
	v_pk_fma_f32 v[46:47], v[42:43], v[40:41], v[44:45] op_sel_hi:[1,0,1]
	v_pk_fma_f32 v[40:41], v[42:43], v[40:41], v[44:45] neg_lo:[0,0,1] neg_hi:[0,0,1]
	v_mov_b32_e32 v41, v47
	s_delay_alu instid0(VALU_DEP_1)
	v_pk_add_f32 v[40:41], v[40:41], 0 op_sel_hi:[1,0]
	s_and_saveexec_b32 s14, s15
	s_cbranch_execz .LBB164_316
; %bb.315:                              ;   in Loop: Header=BB164_3 Depth=1
	ds_load_b64 v[42:43], v50 offset:8848
	ds_load_b64 v[44:45], v3 offset:8328
	s_wait_dscnt 0x0
	v_pk_mul_f32 v[46:47], v[44:45], v[42:43] op_sel:[1,1] op_sel_hi:[0,1]
	s_delay_alu instid0(VALU_DEP_1) | instskip(SKIP_1) | instid1(VALU_DEP_2)
	v_pk_fma_f32 v[98:99], v[44:45], v[42:43], v[46:47] op_sel_hi:[1,0,1]
	v_pk_fma_f32 v[42:43], v[44:45], v[42:43], v[46:47] neg_lo:[0,0,1] neg_hi:[0,0,1]
	v_mov_b32_e32 v43, v99
	s_delay_alu instid0(VALU_DEP_1)
	v_pk_add_f32 v[40:41], v[40:41], v[42:43]
.LBB164_316:                            ;   in Loop: Header=BB164_3 Depth=1
	s_or_b32 exec_lo, exec_lo, s14
	s_delay_alu instid0(VALU_DEP_1)
	v_pk_add_f32 v[40:41], v[40:41], 0 neg_lo:[1,1] neg_hi:[1,1]
.LBB164_317:                            ;   in Loop: Header=BB164_3 Depth=1
	s_or_b32 exec_lo, exec_lo, s12
	s_and_saveexec_b32 s12, s93
; %bb.318:                              ;   in Loop: Header=BB164_3 Depth=1
	ds_store_b64 v5, v[40:41]
; %bb.319:                              ;   in Loop: Header=BB164_3 Depth=1
	s_or_b32 exec_lo, exec_lo, s12
	s_wait_dscnt 0x0
	s_barrier_signal -1
	s_barrier_wait -1
	s_and_saveexec_b32 s12, s94
	s_cbranch_execz .LBB164_321
; %bb.320:                              ;   in Loop: Header=BB164_3 Depth=1
	ds_load_b64 v[42:43], v3 offset:9368
	ds_load_b64 v[44:45], v5
	s_wait_dscnt 0x0
	v_pk_mul_f32 v[46:47], v[44:45], v[42:43] op_sel:[1,1] op_sel_hi:[0,1]
	s_delay_alu instid0(VALU_DEP_1) | instskip(SKIP_1) | instid1(VALU_DEP_2)
	v_pk_fma_f32 v[98:99], v[44:45], v[42:43], v[46:47] op_sel_hi:[1,0,1]
	v_pk_fma_f32 v[42:43], v[44:45], v[42:43], v[46:47] neg_lo:[0,0,1] neg_hi:[0,0,1]
	v_mov_b32_e32 v43, v99
	s_delay_alu instid0(VALU_DEP_1)
	v_pk_add_f32 v[40:41], v[40:41], v[42:43]
.LBB164_321:                            ;   in Loop: Header=BB164_3 Depth=1
	s_or_b32 exec_lo, exec_lo, s12
	s_barrier_signal -1
	s_barrier_wait -1
	s_and_saveexec_b32 s12, s94
; %bb.322:                              ;   in Loop: Header=BB164_3 Depth=1
	ds_store_b64 v5, v[40:41]
; %bb.323:                              ;   in Loop: Header=BB164_3 Depth=1
	s_or_b32 exec_lo, exec_lo, s12
	s_wait_dscnt 0x0
	s_barrier_signal -1
	s_barrier_wait -1
	s_barrier_signal -1
	s_barrier_wait -1
	s_and_saveexec_b32 s12, s3
; %bb.324:                              ;   in Loop: Header=BB164_3 Depth=1
	v_pk_add_f32 v[40:41], v[40:41], 0 neg_lo:[1,1] neg_hi:[1,1]
	ds_store_b64 v48, v[40:41] offset:8336
; %bb.325:                              ;   in Loop: Header=BB164_3 Depth=1
	s_or_b32 exec_lo, exec_lo, s12
	s_wait_dscnt 0x0
	s_barrier_signal -1
	s_barrier_wait -1
	s_barrier_signal -1
	s_barrier_wait -1
	s_and_saveexec_b32 s12, s95
	s_cbranch_execz .LBB164_327
; %bb.326:                              ;   in Loop: Header=BB164_3 Depth=1
	ds_load_b64 v[40:41], v53 offset:8336
	s_wait_dscnt 0x0
	ds_store_b64 v50, v[40:41] offset:9344
	ds_load_b64 v[40:41], v53 offset:8344
	s_wait_dscnt 0x0
	ds_store_b64 v50, v[40:41] offset:9856
.LBB164_327:                            ;   in Loop: Header=BB164_3 Depth=1
	s_or_b32 exec_lo, exec_lo, s12
	s_wait_dscnt 0x0
	s_barrier_signal -1
	s_barrier_wait -1
	s_and_saveexec_b32 s12, s11
	s_cbranch_execz .LBB164_329
; %bb.328:                              ;   in Loop: Header=BB164_3 Depth=1
	ds_load_b64 v[40:41], v3 offset:9368
	v_add_nc_u32_e64 v42, 0x90, 0
	ds_store_b64 v3, v[34:35] offset:9880
	s_wait_dscnt 0x1
	ds_store_2addr_stride64_b64 v42, v[34:35], v[40:41] offset0:18 offset1:19
.LBB164_329:                            ;   in Loop: Header=BB164_3 Depth=1
	s_or_b32 exec_lo, exec_lo, s12
	v_mov_b64_e32 v[40:41], 0
	s_wait_dscnt 0x0
	s_barrier_signal -1
	s_barrier_wait -1
	s_and_saveexec_b32 s14, s5
	s_cbranch_execz .LBB164_335
; %bb.330:                              ;   in Loop: Header=BB164_3 Depth=1
	ds_load_b64 v[40:41], v55 offset:8352
	ds_load_b64 v[42:43], v51 offset:8320
	s_wait_dscnt 0x0
	v_dual_mul_f32 v44, v43, v41 :: v_dual_mul_f32 v41, v42, v41
	s_delay_alu instid0(VALU_DEP_1) | instskip(NEXT) | instid1(VALU_DEP_1)
	v_dual_fma_f32 v42, v42, v40, -v44 :: v_dual_fmac_f32 v41, v43, v40
	v_dual_add_f32 v40, 0, v42 :: v_dual_add_f32 v41, 0, v41
	s_and_saveexec_b32 s12, s16
	s_cbranch_execnz .LBB164_1076
; %bb.331:                              ;   in Loop: Header=BB164_3 Depth=1
	s_or_b32 exec_lo, exec_lo, s12
	s_and_saveexec_b32 s12, s17
	s_cbranch_execnz .LBB164_1077
.LBB164_332:                            ;   in Loop: Header=BB164_3 Depth=1
	s_or_b32 exec_lo, exec_lo, s12
	s_and_saveexec_b32 s12, s3
	s_cbranch_execz .LBB164_334
.LBB164_333:                            ;   in Loop: Header=BB164_3 Depth=1
	ds_load_b64 v[42:43], v57 offset:9888
	ds_load_b64 v[44:45], v3 offset:8344
	s_wait_dscnt 0x0
	v_dual_mul_f32 v46, v45, v43 :: v_dual_mul_f32 v47, v44, v43
	s_delay_alu instid0(VALU_DEP_1) | instskip(NEXT) | instid1(VALU_DEP_1)
	v_dual_fma_f32 v46, v44, v42, -v46 :: v_dual_fmac_f32 v47, v45, v42
	v_pk_add_f32 v[40:41], v[40:41], v[46:47]
.LBB164_334:                            ;   in Loop: Header=BB164_3 Depth=1
	s_or_b32 exec_lo, exec_lo, s12
	s_delay_alu instid0(VALU_DEP_1)
	v_pk_add_f32 v[40:41], v[40:41], 0 neg_lo:[1,1] neg_hi:[1,1]
.LBB164_335:                            ;   in Loop: Header=BB164_3 Depth=1
	s_or_b32 exec_lo, exec_lo, s14
	s_and_saveexec_b32 s12, s96
; %bb.336:                              ;   in Loop: Header=BB164_3 Depth=1
	ds_store_b64 v54, v[40:41]
; %bb.337:                              ;   in Loop: Header=BB164_3 Depth=1
	s_or_b32 exec_lo, exec_lo, s12
	s_wait_dscnt 0x0
	s_barrier_signal -1
	s_barrier_wait -1
	s_and_saveexec_b32 s12, s97
	s_cbranch_execz .LBB164_339
; %bb.338:                              ;   in Loop: Header=BB164_3 Depth=1
	ds_load_b64 v[42:43], v52 offset:10400
	ds_load_b64 v[44:45], v54
	s_wait_dscnt 0x0
	v_pk_mul_f32 v[46:47], v[44:45], v[42:43] op_sel:[1,1] op_sel_hi:[0,1]
	s_delay_alu instid0(VALU_DEP_1) | instskip(SKIP_1) | instid1(VALU_DEP_2)
	v_pk_fma_f32 v[98:99], v[44:45], v[42:43], v[46:47] op_sel_hi:[1,0,1]
	v_pk_fma_f32 v[42:43], v[44:45], v[42:43], v[46:47] neg_lo:[0,0,1] neg_hi:[0,0,1]
	v_mov_b32_e32 v43, v99
	s_delay_alu instid0(VALU_DEP_1)
	v_pk_add_f32 v[40:41], v[40:41], v[42:43]
.LBB164_339:                            ;   in Loop: Header=BB164_3 Depth=1
	s_or_b32 exec_lo, exec_lo, s12
	s_barrier_signal -1
	s_barrier_wait -1
	s_and_saveexec_b32 s12, s98
; %bb.340:                              ;   in Loop: Header=BB164_3 Depth=1
	ds_store_b64 v54, v[40:41]
; %bb.341:                              ;   in Loop: Header=BB164_3 Depth=1
	s_or_b32 exec_lo, exec_lo, s12
	s_wait_dscnt 0x0
	s_barrier_signal -1
	s_barrier_wait -1
	s_and_saveexec_b32 s12, s99
	s_cbranch_execz .LBB164_343
; %bb.342:                              ;   in Loop: Header=BB164_3 Depth=1
	ds_load_b64 v[42:43], v52 offset:10912
	ds_load_b64 v[44:45], v54
	s_wait_dscnt 0x0
	v_pk_mul_f32 v[46:47], v[44:45], v[42:43] op_sel:[1,1] op_sel_hi:[0,1]
	s_delay_alu instid0(VALU_DEP_1) | instskip(SKIP_1) | instid1(VALU_DEP_2)
	v_pk_fma_f32 v[98:99], v[44:45], v[42:43], v[46:47] op_sel_hi:[1,0,1]
	v_pk_fma_f32 v[42:43], v[44:45], v[42:43], v[46:47] neg_lo:[0,0,1] neg_hi:[0,0,1]
	v_mov_b32_e32 v43, v99
	s_delay_alu instid0(VALU_DEP_1)
	v_pk_add_f32 v[40:41], v[40:41], v[42:43]
.LBB164_343:                            ;   in Loop: Header=BB164_3 Depth=1
	s_or_b32 exec_lo, exec_lo, s12
	s_barrier_signal -1
	s_barrier_wait -1
	;; [unrolled: 25-line block ×3, first 2 shown]
	s_and_saveexec_b32 s12, s101
; %bb.348:                              ;   in Loop: Header=BB164_3 Depth=1
	ds_store_b64 v54, v[40:41]
; %bb.349:                              ;   in Loop: Header=BB164_3 Depth=1
	s_or_b32 exec_lo, exec_lo, s12
	s_wait_dscnt 0x0
	s_barrier_signal -1
	s_barrier_wait -1
	s_barrier_signal -1
	s_barrier_wait -1
	s_and_saveexec_b32 s12, s5
; %bb.350:                              ;   in Loop: Header=BB164_3 Depth=1
	v_pk_add_f32 v[40:41], v[40:41], 0 neg_lo:[1,1] neg_hi:[1,1]
	ds_store_b64 v55, v[40:41] offset:8352
; %bb.351:                              ;   in Loop: Header=BB164_3 Depth=1
	s_or_b32 exec_lo, exec_lo, s12
	s_wait_dscnt 0x0
	s_barrier_signal -1
	s_barrier_wait -1
	s_barrier_signal -1
	s_barrier_wait -1
	s_and_saveexec_b32 s12, s102
	s_cbranch_execz .LBB164_353
; %bb.352:                              ;   in Loop: Header=BB164_3 Depth=1
	ds_load_b64 v[40:41], v58 offset:8352
	s_wait_dscnt 0x0
	ds_store_b64 v59, v[40:41] offset:10368
	ds_load_b64 v[40:41], v58 offset:8360
	s_wait_dscnt 0x0
	ds_store_b64 v59, v[40:41] offset:10880
	;; [unrolled: 3-line block ×4, first 2 shown]
.LBB164_353:                            ;   in Loop: Header=BB164_3 Depth=1
	s_or_b32 exec_lo, exec_lo, s12
	s_wait_dscnt 0x0
	s_barrier_signal -1
	s_barrier_wait -1
	s_and_saveexec_b32 s12, s11
	s_cbranch_execz .LBB164_355
; %bb.354:                              ;   in Loop: Header=BB164_3 Depth=1
	ds_load_b64 v[40:41], v3 offset:10408
	v_add_nc_u32_e64 v42, 0xa0, 0
	ds_store_b64 v3, v[34:35] offset:10920
	s_wait_dscnt 0x1
	ds_store_2addr_stride64_b64 v42, v[34:35], v[40:41] offset0:20 offset1:21
.LBB164_355:                            ;   in Loop: Header=BB164_3 Depth=1
	s_or_b32 exec_lo, exec_lo, s12
	v_mov_b64_e32 v[40:41], 0
	s_wait_dscnt 0x0
	s_barrier_signal -1
	s_barrier_wait -1
	s_and_saveexec_b32 s12, s3
	s_cbranch_execz .LBB164_359
; %bb.356:                              ;   in Loop: Header=BB164_3 Depth=1
	ds_load_b64 v[40:41], v48 offset:10416
	ds_load_b64 v[42:43], v49 offset:10400
	s_wait_dscnt 0x0
	v_pk_mul_f32 v[44:45], v[42:43], v[40:41] op_sel:[1,1] op_sel_hi:[0,1]
	s_delay_alu instid0(VALU_DEP_1) | instskip(SKIP_1) | instid1(VALU_DEP_2)
	v_pk_fma_f32 v[46:47], v[42:43], v[40:41], v[44:45] op_sel_hi:[1,0,1]
	v_pk_fma_f32 v[40:41], v[42:43], v[40:41], v[44:45] neg_lo:[0,0,1] neg_hi:[0,0,1]
	v_mov_b32_e32 v41, v47
	s_delay_alu instid0(VALU_DEP_1)
	v_pk_add_f32 v[40:41], v[40:41], 0 op_sel_hi:[1,0]
	s_and_saveexec_b32 s14, s15
	s_cbranch_execz .LBB164_358
; %bb.357:                              ;   in Loop: Header=BB164_3 Depth=1
	ds_load_b64 v[42:43], v59 offset:10928
	ds_load_b64 v[44:45], v3 offset:10408
	s_wait_dscnt 0x0
	v_pk_mul_f32 v[46:47], v[44:45], v[42:43] op_sel:[1,1] op_sel_hi:[0,1]
	s_delay_alu instid0(VALU_DEP_1) | instskip(SKIP_1) | instid1(VALU_DEP_2)
	v_pk_fma_f32 v[98:99], v[44:45], v[42:43], v[46:47] op_sel_hi:[1,0,1]
	v_pk_fma_f32 v[42:43], v[44:45], v[42:43], v[46:47] neg_lo:[0,0,1] neg_hi:[0,0,1]
	v_mov_b32_e32 v43, v99
	s_delay_alu instid0(VALU_DEP_1)
	v_pk_add_f32 v[40:41], v[40:41], v[42:43]
.LBB164_358:                            ;   in Loop: Header=BB164_3 Depth=1
	s_or_b32 exec_lo, exec_lo, s14
	s_delay_alu instid0(VALU_DEP_1)
	v_pk_add_f32 v[40:41], v[40:41], 0 neg_lo:[1,1] neg_hi:[1,1]
.LBB164_359:                            ;   in Loop: Header=BB164_3 Depth=1
	s_or_b32 exec_lo, exec_lo, s12
	s_and_saveexec_b32 s12, s93
; %bb.360:                              ;   in Loop: Header=BB164_3 Depth=1
	ds_store_b64 v5, v[40:41]
; %bb.361:                              ;   in Loop: Header=BB164_3 Depth=1
	s_or_b32 exec_lo, exec_lo, s12
	s_wait_dscnt 0x0
	s_barrier_signal -1
	s_barrier_wait -1
	s_and_saveexec_b32 s12, s94
	s_cbranch_execz .LBB164_363
; %bb.362:                              ;   in Loop: Header=BB164_3 Depth=1
	ds_load_b64 v[42:43], v3 offset:11448
	ds_load_b64 v[44:45], v5
	s_wait_dscnt 0x0
	v_pk_mul_f32 v[46:47], v[44:45], v[42:43] op_sel:[1,1] op_sel_hi:[0,1]
	s_delay_alu instid0(VALU_DEP_1) | instskip(SKIP_1) | instid1(VALU_DEP_2)
	v_pk_fma_f32 v[98:99], v[44:45], v[42:43], v[46:47] op_sel_hi:[1,0,1]
	v_pk_fma_f32 v[42:43], v[44:45], v[42:43], v[46:47] neg_lo:[0,0,1] neg_hi:[0,0,1]
	v_mov_b32_e32 v43, v99
	s_delay_alu instid0(VALU_DEP_1)
	v_pk_add_f32 v[40:41], v[40:41], v[42:43]
.LBB164_363:                            ;   in Loop: Header=BB164_3 Depth=1
	s_or_b32 exec_lo, exec_lo, s12
	s_barrier_signal -1
	s_barrier_wait -1
	s_and_saveexec_b32 s12, s94
; %bb.364:                              ;   in Loop: Header=BB164_3 Depth=1
	ds_store_b64 v5, v[40:41]
; %bb.365:                              ;   in Loop: Header=BB164_3 Depth=1
	s_or_b32 exec_lo, exec_lo, s12
	s_wait_dscnt 0x0
	s_barrier_signal -1
	s_barrier_wait -1
	s_barrier_signal -1
	s_barrier_wait -1
	s_and_saveexec_b32 s12, s3
; %bb.366:                              ;   in Loop: Header=BB164_3 Depth=1
	v_pk_add_f32 v[40:41], v[40:41], 0 neg_lo:[1,1] neg_hi:[1,1]
	ds_store_b64 v48, v[40:41] offset:10416
; %bb.367:                              ;   in Loop: Header=BB164_3 Depth=1
	s_or_b32 exec_lo, exec_lo, s12
	s_wait_dscnt 0x0
	s_barrier_signal -1
	s_barrier_wait -1
	s_barrier_signal -1
	s_barrier_wait -1
	s_and_saveexec_b32 s12, s95
	s_cbranch_execz .LBB164_369
; %bb.368:                              ;   in Loop: Header=BB164_3 Depth=1
	ds_load_b64 v[40:41], v62 offset:10416
	s_wait_dscnt 0x0
	ds_store_b64 v59, v[40:41] offset:11424
	ds_load_b64 v[40:41], v62 offset:10424
	s_wait_dscnt 0x0
	ds_store_b64 v59, v[40:41] offset:11936
.LBB164_369:                            ;   in Loop: Header=BB164_3 Depth=1
	s_or_b32 exec_lo, exec_lo, s12
	s_wait_dscnt 0x0
	s_barrier_signal -1
	s_barrier_wait -1
	s_and_saveexec_b32 s12, s11
	s_cbranch_execz .LBB164_371
; %bb.370:                              ;   in Loop: Header=BB164_3 Depth=1
	ds_load_b64 v[40:41], v3 offset:11448
	v_add_nc_u32_e64 v42, 0xb0, 0
	ds_store_b64 v3, v[34:35] offset:11960
	s_wait_dscnt 0x1
	ds_store_2addr_stride64_b64 v42, v[34:35], v[40:41] offset0:22 offset1:23
.LBB164_371:                            ;   in Loop: Header=BB164_3 Depth=1
	s_or_b32 exec_lo, exec_lo, s12
	v_mov_b64_e32 v[40:41], 0
	s_wait_dscnt 0x0
	s_barrier_signal -1
	s_barrier_wait -1
	s_and_saveexec_b32 s14, s6
	s_cbranch_execz .LBB164_381
; %bb.372:                              ;   in Loop: Header=BB164_3 Depth=1
	ds_load_b64 v[40:41], v64 offset:8384
	ds_load_b64 v[42:43], v60 offset:8320
	s_wait_dscnt 0x0
	v_dual_mul_f32 v44, v43, v41 :: v_dual_mul_f32 v41, v42, v41
	s_delay_alu instid0(VALU_DEP_1) | instskip(NEXT) | instid1(VALU_DEP_1)
	v_dual_fma_f32 v42, v42, v40, -v44 :: v_dual_fmac_f32 v41, v43, v40
	v_dual_add_f32 v40, 0, v42 :: v_dual_add_f32 v41, 0, v41
	s_and_saveexec_b32 s12, s18
	s_cbranch_execnz .LBB164_1078
; %bb.373:                              ;   in Loop: Header=BB164_3 Depth=1
	s_or_b32 exec_lo, exec_lo, s12
	s_and_saveexec_b32 s12, s19
	s_cbranch_execnz .LBB164_1079
.LBB164_374:                            ;   in Loop: Header=BB164_3 Depth=1
	s_or_b32 exec_lo, exec_lo, s12
	s_and_saveexec_b32 s12, s20
	s_cbranch_execnz .LBB164_1080
.LBB164_375:                            ;   in Loop: Header=BB164_3 Depth=1
	s_or_b32 exec_lo, exec_lo, s12
	s_and_saveexec_b32 s12, s21
	s_cbranch_execnz .LBB164_1081
.LBB164_376:                            ;   in Loop: Header=BB164_3 Depth=1
	s_or_b32 exec_lo, exec_lo, s12
	s_and_saveexec_b32 s12, s22
	s_cbranch_execnz .LBB164_1082
.LBB164_377:                            ;   in Loop: Header=BB164_3 Depth=1
	s_or_b32 exec_lo, exec_lo, s12
	s_and_saveexec_b32 s12, s5
	s_cbranch_execnz .LBB164_1083
.LBB164_378:                            ;   in Loop: Header=BB164_3 Depth=1
	s_or_b32 exec_lo, exec_lo, s12
	s_and_saveexec_b32 s12, s17
	s_cbranch_execz .LBB164_380
.LBB164_379:                            ;   in Loop: Header=BB164_3 Depth=1
	ds_load_b64 v[42:43], v50 offset:11968
	ds_load_b64 v[44:45], v3 offset:8376
	s_wait_dscnt 0x0
	v_pk_mul_f32 v[46:47], v[44:45], v[42:43] op_sel:[1,1] op_sel_hi:[0,1]
	s_delay_alu instid0(VALU_DEP_1) | instskip(SKIP_1) | instid1(VALU_DEP_2)
	v_pk_fma_f32 v[98:99], v[44:45], v[42:43], v[46:47] op_sel_hi:[1,0,1]
	v_pk_fma_f32 v[42:43], v[44:45], v[42:43], v[46:47] neg_lo:[0,0,1] neg_hi:[0,0,1]
	v_mov_b32_e32 v43, v99
	s_delay_alu instid0(VALU_DEP_1)
	v_pk_add_f32 v[40:41], v[40:41], v[42:43]
.LBB164_380:                            ;   in Loop: Header=BB164_3 Depth=1
	s_or_b32 exec_lo, exec_lo, s12
	s_delay_alu instid0(VALU_DEP_1)
	v_pk_add_f32 v[40:41], v[40:41], 0 neg_lo:[1,1] neg_hi:[1,1]
.LBB164_381:                            ;   in Loop: Header=BB164_3 Depth=1
	s_or_b32 exec_lo, exec_lo, s14
	s_and_saveexec_b32 s12, s103
; %bb.382:                              ;   in Loop: Header=BB164_3 Depth=1
	ds_store_b64 v63, v[40:41]
; %bb.383:                              ;   in Loop: Header=BB164_3 Depth=1
	s_or_b32 exec_lo, exec_lo, s12
	s_wait_dscnt 0x0
	s_barrier_signal -1
	s_barrier_wait -1
	s_and_saveexec_b32 s12, s104
	s_cbranch_execz .LBB164_385
; %bb.384:                              ;   in Loop: Header=BB164_3 Depth=1
	ds_load_b64 v[42:43], v61 offset:12480
	ds_load_b64 v[44:45], v63
	s_wait_dscnt 0x0
	v_pk_mul_f32 v[46:47], v[44:45], v[42:43] op_sel:[1,1] op_sel_hi:[0,1]
	s_delay_alu instid0(VALU_DEP_1) | instskip(SKIP_1) | instid1(VALU_DEP_2)
	v_pk_fma_f32 v[98:99], v[44:45], v[42:43], v[46:47] op_sel_hi:[1,0,1]
	v_pk_fma_f32 v[42:43], v[44:45], v[42:43], v[46:47] neg_lo:[0,0,1] neg_hi:[0,0,1]
	v_mov_b32_e32 v43, v99
	s_delay_alu instid0(VALU_DEP_1)
	v_pk_add_f32 v[40:41], v[40:41], v[42:43]
.LBB164_385:                            ;   in Loop: Header=BB164_3 Depth=1
	s_or_b32 exec_lo, exec_lo, s12
	s_barrier_signal -1
	s_barrier_wait -1
	s_and_saveexec_b32 s12, vcc_hi
; %bb.386:                              ;   in Loop: Header=BB164_3 Depth=1
	ds_store_b64 v63, v[40:41]
; %bb.387:                              ;   in Loop: Header=BB164_3 Depth=1
	s_or_b32 exec_lo, exec_lo, s12
	s_wait_dscnt 0x0
	s_barrier_signal -1
	s_barrier_wait -1
	s_and_saveexec_b32 s12, s38
	s_cbranch_execz .LBB164_389
; %bb.388:                              ;   in Loop: Header=BB164_3 Depth=1
	ds_load_b64 v[42:43], v61 offset:12992
	ds_load_b64 v[44:45], v63
	s_wait_dscnt 0x0
	v_dual_mul_f32 v46, v45, v43 :: v_dual_mul_f32 v43, v44, v43
	s_delay_alu instid0(VALU_DEP_1) | instskip(NEXT) | instid1(VALU_DEP_1)
	v_dual_fma_f32 v44, v44, v42, -v46 :: v_dual_fmac_f32 v43, v45, v42
	v_dual_add_f32 v40, v40, v44 :: v_dual_add_f32 v41, v41, v43
.LBB164_389:                            ;   in Loop: Header=BB164_3 Depth=1
	s_or_b32 exec_lo, exec_lo, s12
	s_barrier_signal -1
	s_barrier_wait -1
	s_and_saveexec_b32 s12, s39
; %bb.390:                              ;   in Loop: Header=BB164_3 Depth=1
	ds_store_b64 v63, v[40:41]
; %bb.391:                              ;   in Loop: Header=BB164_3 Depth=1
	s_or_b32 exec_lo, exec_lo, s12
	s_wait_dscnt 0x0
	s_barrier_signal -1
	s_barrier_wait -1
	s_and_saveexec_b32 s12, s40
	s_cbranch_execz .LBB164_393
; %bb.392:                              ;   in Loop: Header=BB164_3 Depth=1
	ds_load_b64 v[42:43], v61 offset:13504
	ds_load_b64 v[44:45], v63
	s_wait_dscnt 0x0
	v_dual_mul_f32 v46, v45, v43 :: v_dual_mul_f32 v47, v44, v43
	s_delay_alu instid0(VALU_DEP_1) | instskip(NEXT) | instid1(VALU_DEP_1)
	v_dual_fma_f32 v46, v44, v42, -v46 :: v_dual_fmac_f32 v47, v45, v42
	v_pk_add_f32 v[40:41], v[40:41], v[46:47]
.LBB164_393:                            ;   in Loop: Header=BB164_3 Depth=1
	s_or_b32 exec_lo, exec_lo, s12
	s_barrier_signal -1
	s_barrier_wait -1
	s_and_saveexec_b32 s12, s41
; %bb.394:                              ;   in Loop: Header=BB164_3 Depth=1
	ds_store_b64 v63, v[40:41]
; %bb.395:                              ;   in Loop: Header=BB164_3 Depth=1
	s_or_b32 exec_lo, exec_lo, s12
	s_wait_dscnt 0x0
	s_barrier_signal -1
	s_barrier_wait -1
	s_and_saveexec_b32 s12, s43
	s_cbranch_execz .LBB164_397
; %bb.396:                              ;   in Loop: Header=BB164_3 Depth=1
	ds_load_b64 v[42:43], v61 offset:14016
	ds_load_b64 v[44:45], v63
	s_wait_dscnt 0x0
	v_pk_mul_f32 v[46:47], v[44:45], v[42:43] op_sel:[1,1] op_sel_hi:[0,1]
	s_delay_alu instid0(VALU_DEP_1) | instskip(SKIP_1) | instid1(VALU_DEP_2)
	v_pk_fma_f32 v[98:99], v[44:45], v[42:43], v[46:47] op_sel_hi:[1,0,1]
	v_pk_fma_f32 v[42:43], v[44:45], v[42:43], v[46:47] neg_lo:[0,0,1] neg_hi:[0,0,1]
	v_mov_b32_e32 v43, v99
	s_delay_alu instid0(VALU_DEP_1)
	v_pk_add_f32 v[40:41], v[40:41], v[42:43]
.LBB164_397:                            ;   in Loop: Header=BB164_3 Depth=1
	s_or_b32 exec_lo, exec_lo, s12
	s_barrier_signal -1
	s_barrier_wait -1
	s_and_saveexec_b32 s12, s44
; %bb.398:                              ;   in Loop: Header=BB164_3 Depth=1
	ds_store_b64 v63, v[40:41]
; %bb.399:                              ;   in Loop: Header=BB164_3 Depth=1
	s_or_b32 exec_lo, exec_lo, s12
	s_wait_dscnt 0x0
	s_barrier_signal -1
	s_barrier_wait -1
	s_and_saveexec_b32 s12, s45
	s_cbranch_execz .LBB164_401
; %bb.400:                              ;   in Loop: Header=BB164_3 Depth=1
	ds_load_b64 v[42:43], v61 offset:14528
	ds_load_b64 v[44:45], v63
	s_wait_dscnt 0x0
	v_pk_mul_f32 v[46:47], v[44:45], v[42:43] op_sel:[1,1] op_sel_hi:[0,1]
	s_delay_alu instid0(VALU_DEP_1) | instskip(SKIP_1) | instid1(VALU_DEP_2)
	v_pk_fma_f32 v[98:99], v[44:45], v[42:43], v[46:47] op_sel_hi:[1,0,1]
	v_pk_fma_f32 v[42:43], v[44:45], v[42:43], v[46:47] neg_lo:[0,0,1] neg_hi:[0,0,1]
	v_mov_b32_e32 v43, v99
	s_delay_alu instid0(VALU_DEP_1)
	v_pk_add_f32 v[40:41], v[40:41], v[42:43]
.LBB164_401:                            ;   in Loop: Header=BB164_3 Depth=1
	;; [unrolled: 25-line block ×4, first 2 shown]
	s_or_b32 exec_lo, exec_lo, s12
	s_barrier_signal -1
	s_barrier_wait -1
	s_and_saveexec_b32 s12, s49
; %bb.410:                              ;   in Loop: Header=BB164_3 Depth=1
	ds_store_b64 v63, v[40:41]
; %bb.411:                              ;   in Loop: Header=BB164_3 Depth=1
	s_or_b32 exec_lo, exec_lo, s12
	s_wait_dscnt 0x0
	s_barrier_signal -1
	s_barrier_wait -1
	s_barrier_signal -1
	s_barrier_wait -1
	s_and_saveexec_b32 s12, s6
; %bb.412:                              ;   in Loop: Header=BB164_3 Depth=1
	v_pk_add_f32 v[40:41], v[40:41], 0 neg_lo:[1,1] neg_hi:[1,1]
	ds_store_b64 v64, v[40:41] offset:8384
; %bb.413:                              ;   in Loop: Header=BB164_3 Depth=1
	s_or_b32 exec_lo, exec_lo, s12
	s_wait_dscnt 0x0
	s_barrier_signal -1
	s_barrier_wait -1
	s_barrier_signal -1
	s_barrier_wait -1
	s_and_saveexec_b32 s12, s50
	s_cbranch_execz .LBB164_415
; %bb.414:                              ;   in Loop: Header=BB164_3 Depth=1
	ds_load_b64 v[40:41], v53 offset:8384
	s_wait_dscnt 0x0
	ds_store_b64 v57, v[40:41] offset:12416
	ds_load_b64 v[40:41], v53 offset:8392
	s_wait_dscnt 0x0
	ds_store_b64 v57, v[40:41] offset:12928
	;; [unrolled: 3-line block ×8, first 2 shown]
.LBB164_415:                            ;   in Loop: Header=BB164_3 Depth=1
	s_or_b32 exec_lo, exec_lo, s12
	s_wait_dscnt 0x0
	s_barrier_signal -1
	s_barrier_wait -1
	s_and_saveexec_b32 s12, s11
	s_cbranch_execz .LBB164_417
; %bb.416:                              ;   in Loop: Header=BB164_3 Depth=1
	ds_load_b64 v[40:41], v3 offset:12488
	v_add_nc_u32_e64 v42, 0xc0, 0
	ds_store_b64 v3, v[34:35] offset:13000
	s_wait_dscnt 0x1
	ds_store_2addr_stride64_b64 v42, v[34:35], v[40:41] offset0:24 offset1:25
.LBB164_417:                            ;   in Loop: Header=BB164_3 Depth=1
	s_or_b32 exec_lo, exec_lo, s12
	v_mov_b64_e32 v[40:41], 0
	s_wait_dscnt 0x0
	s_barrier_signal -1
	s_barrier_wait -1
	s_and_saveexec_b32 s12, s3
	s_cbranch_execz .LBB164_421
; %bb.418:                              ;   in Loop: Header=BB164_3 Depth=1
	ds_load_b64 v[40:41], v48 offset:12496
	ds_load_b64 v[42:43], v49 offset:12480
	s_wait_dscnt 0x0
	v_pk_mul_f32 v[44:45], v[42:43], v[40:41] op_sel:[1,1] op_sel_hi:[0,1]
	s_delay_alu instid0(VALU_DEP_1) | instskip(SKIP_1) | instid1(VALU_DEP_2)
	v_pk_fma_f32 v[46:47], v[42:43], v[40:41], v[44:45] op_sel_hi:[1,0,1]
	v_pk_fma_f32 v[40:41], v[42:43], v[40:41], v[44:45] neg_lo:[0,0,1] neg_hi:[0,0,1]
	v_mov_b32_e32 v41, v47
	s_delay_alu instid0(VALU_DEP_1)
	v_pk_add_f32 v[40:41], v[40:41], 0 op_sel_hi:[1,0]
	s_and_saveexec_b32 s14, s15
	s_cbranch_execz .LBB164_420
; %bb.419:                              ;   in Loop: Header=BB164_3 Depth=1
	ds_load_b64 v[42:43], v57 offset:13008
	ds_load_b64 v[44:45], v3 offset:12488
	s_wait_dscnt 0x0
	v_pk_mul_f32 v[46:47], v[44:45], v[42:43] op_sel:[1,1] op_sel_hi:[0,1]
	s_delay_alu instid0(VALU_DEP_1) | instskip(SKIP_1) | instid1(VALU_DEP_2)
	v_pk_fma_f32 v[98:99], v[44:45], v[42:43], v[46:47] op_sel_hi:[1,0,1]
	v_pk_fma_f32 v[42:43], v[44:45], v[42:43], v[46:47] neg_lo:[0,0,1] neg_hi:[0,0,1]
	v_mov_b32_e32 v43, v99
	s_delay_alu instid0(VALU_DEP_1)
	v_pk_add_f32 v[40:41], v[40:41], v[42:43]
.LBB164_420:                            ;   in Loop: Header=BB164_3 Depth=1
	s_or_b32 exec_lo, exec_lo, s14
	s_delay_alu instid0(VALU_DEP_1)
	v_pk_add_f32 v[40:41], v[40:41], 0 neg_lo:[1,1] neg_hi:[1,1]
.LBB164_421:                            ;   in Loop: Header=BB164_3 Depth=1
	s_or_b32 exec_lo, exec_lo, s12
	s_and_saveexec_b32 s12, s93
; %bb.422:                              ;   in Loop: Header=BB164_3 Depth=1
	ds_store_b64 v5, v[40:41]
; %bb.423:                              ;   in Loop: Header=BB164_3 Depth=1
	s_or_b32 exec_lo, exec_lo, s12
	s_wait_dscnt 0x0
	s_barrier_signal -1
	s_barrier_wait -1
	s_and_saveexec_b32 s12, s94
	s_cbranch_execz .LBB164_425
; %bb.424:                              ;   in Loop: Header=BB164_3 Depth=1
	ds_load_b64 v[42:43], v3 offset:13528
	ds_load_b64 v[44:45], v5
	s_wait_dscnt 0x0
	v_pk_mul_f32 v[46:47], v[44:45], v[42:43] op_sel:[1,1] op_sel_hi:[0,1]
	s_delay_alu instid0(VALU_DEP_1) | instskip(SKIP_1) | instid1(VALU_DEP_2)
	v_pk_fma_f32 v[98:99], v[44:45], v[42:43], v[46:47] op_sel_hi:[1,0,1]
	v_pk_fma_f32 v[42:43], v[44:45], v[42:43], v[46:47] neg_lo:[0,0,1] neg_hi:[0,0,1]
	v_mov_b32_e32 v43, v99
	s_delay_alu instid0(VALU_DEP_1)
	v_pk_add_f32 v[40:41], v[40:41], v[42:43]
.LBB164_425:                            ;   in Loop: Header=BB164_3 Depth=1
	s_or_b32 exec_lo, exec_lo, s12
	s_barrier_signal -1
	s_barrier_wait -1
	s_and_saveexec_b32 s12, s94
; %bb.426:                              ;   in Loop: Header=BB164_3 Depth=1
	ds_store_b64 v5, v[40:41]
; %bb.427:                              ;   in Loop: Header=BB164_3 Depth=1
	s_or_b32 exec_lo, exec_lo, s12
	s_wait_dscnt 0x0
	s_barrier_signal -1
	s_barrier_wait -1
	s_barrier_signal -1
	s_barrier_wait -1
	s_and_saveexec_b32 s12, s3
; %bb.428:                              ;   in Loop: Header=BB164_3 Depth=1
	v_pk_add_f32 v[40:41], v[40:41], 0 neg_lo:[1,1] neg_hi:[1,1]
	ds_store_b64 v48, v[40:41] offset:12496
; %bb.429:                              ;   in Loop: Header=BB164_3 Depth=1
	s_or_b32 exec_lo, exec_lo, s12
	s_wait_dscnt 0x0
	s_barrier_signal -1
	s_barrier_wait -1
	s_barrier_signal -1
	s_barrier_wait -1
	s_and_saveexec_b32 s12, s95
	s_cbranch_execz .LBB164_431
; %bb.430:                              ;   in Loop: Header=BB164_3 Depth=1
	ds_load_b64 v[40:41], v58 offset:12496
	s_wait_dscnt 0x0
	ds_store_b64 v57, v[40:41] offset:13504
	ds_load_b64 v[40:41], v58 offset:12504
	s_wait_dscnt 0x0
	ds_store_b64 v57, v[40:41] offset:14016
.LBB164_431:                            ;   in Loop: Header=BB164_3 Depth=1
	s_or_b32 exec_lo, exec_lo, s12
	s_wait_dscnt 0x0
	s_barrier_signal -1
	s_barrier_wait -1
	s_and_saveexec_b32 s12, s11
	s_cbranch_execz .LBB164_433
; %bb.432:                              ;   in Loop: Header=BB164_3 Depth=1
	ds_load_b64 v[40:41], v3 offset:13528
	v_add_nc_u32_e64 v42, 0xd0, 0
	ds_store_b64 v3, v[34:35] offset:14040
	s_wait_dscnt 0x1
	ds_store_2addr_stride64_b64 v42, v[34:35], v[40:41] offset0:26 offset1:27
.LBB164_433:                            ;   in Loop: Header=BB164_3 Depth=1
	s_or_b32 exec_lo, exec_lo, s12
	v_mov_b64_e32 v[40:41], 0
	s_wait_dscnt 0x0
	s_barrier_signal -1
	s_barrier_wait -1
	s_and_saveexec_b32 s14, s5
	s_cbranch_execz .LBB164_439
; %bb.434:                              ;   in Loop: Header=BB164_3 Depth=1
	ds_load_b64 v[40:41], v55 offset:12512
	ds_load_b64 v[42:43], v51 offset:12480
	s_wait_dscnt 0x0
	v_dual_mul_f32 v44, v43, v41 :: v_dual_mul_f32 v41, v42, v41
	s_delay_alu instid0(VALU_DEP_1) | instskip(NEXT) | instid1(VALU_DEP_1)
	v_dual_fma_f32 v42, v42, v40, -v44 :: v_dual_fmac_f32 v41, v43, v40
	v_dual_add_f32 v40, 0, v42 :: v_dual_add_f32 v41, 0, v41
	s_and_saveexec_b32 s12, s16
	s_cbranch_execnz .LBB164_1084
; %bb.435:                              ;   in Loop: Header=BB164_3 Depth=1
	s_or_b32 exec_lo, exec_lo, s12
	s_and_saveexec_b32 s12, s17
	s_cbranch_execnz .LBB164_1085
.LBB164_436:                            ;   in Loop: Header=BB164_3 Depth=1
	s_or_b32 exec_lo, exec_lo, s12
	s_and_saveexec_b32 s12, s3
	s_cbranch_execz .LBB164_438
.LBB164_437:                            ;   in Loop: Header=BB164_3 Depth=1
	ds_load_b64 v[42:43], v59 offset:14048
	ds_load_b64 v[44:45], v3 offset:12504
	s_wait_dscnt 0x0
	v_dual_mul_f32 v46, v45, v43 :: v_dual_mul_f32 v47, v44, v43
	s_delay_alu instid0(VALU_DEP_1) | instskip(NEXT) | instid1(VALU_DEP_1)
	v_dual_fma_f32 v46, v44, v42, -v46 :: v_dual_fmac_f32 v47, v45, v42
	v_pk_add_f32 v[40:41], v[40:41], v[46:47]
.LBB164_438:                            ;   in Loop: Header=BB164_3 Depth=1
	s_or_b32 exec_lo, exec_lo, s12
	s_delay_alu instid0(VALU_DEP_1)
	v_pk_add_f32 v[40:41], v[40:41], 0 neg_lo:[1,1] neg_hi:[1,1]
.LBB164_439:                            ;   in Loop: Header=BB164_3 Depth=1
	s_or_b32 exec_lo, exec_lo, s14
	s_and_saveexec_b32 s12, s96
; %bb.440:                              ;   in Loop: Header=BB164_3 Depth=1
	ds_store_b64 v54, v[40:41]
; %bb.441:                              ;   in Loop: Header=BB164_3 Depth=1
	s_or_b32 exec_lo, exec_lo, s12
	s_wait_dscnt 0x0
	s_barrier_signal -1
	s_barrier_wait -1
	s_and_saveexec_b32 s12, s97
	s_cbranch_execz .LBB164_443
; %bb.442:                              ;   in Loop: Header=BB164_3 Depth=1
	ds_load_b64 v[42:43], v52 offset:14560
	ds_load_b64 v[44:45], v54
	s_wait_dscnt 0x0
	v_pk_mul_f32 v[46:47], v[44:45], v[42:43] op_sel:[1,1] op_sel_hi:[0,1]
	s_delay_alu instid0(VALU_DEP_1) | instskip(SKIP_1) | instid1(VALU_DEP_2)
	v_pk_fma_f32 v[98:99], v[44:45], v[42:43], v[46:47] op_sel_hi:[1,0,1]
	v_pk_fma_f32 v[42:43], v[44:45], v[42:43], v[46:47] neg_lo:[0,0,1] neg_hi:[0,0,1]
	v_mov_b32_e32 v43, v99
	s_delay_alu instid0(VALU_DEP_1)
	v_pk_add_f32 v[40:41], v[40:41], v[42:43]
.LBB164_443:                            ;   in Loop: Header=BB164_3 Depth=1
	s_or_b32 exec_lo, exec_lo, s12
	s_barrier_signal -1
	s_barrier_wait -1
	s_and_saveexec_b32 s12, s98
; %bb.444:                              ;   in Loop: Header=BB164_3 Depth=1
	ds_store_b64 v54, v[40:41]
; %bb.445:                              ;   in Loop: Header=BB164_3 Depth=1
	s_or_b32 exec_lo, exec_lo, s12
	s_wait_dscnt 0x0
	s_barrier_signal -1
	s_barrier_wait -1
	s_and_saveexec_b32 s12, s99
	s_cbranch_execz .LBB164_447
; %bb.446:                              ;   in Loop: Header=BB164_3 Depth=1
	ds_load_b64 v[42:43], v52 offset:15072
	ds_load_b64 v[44:45], v54
	s_wait_dscnt 0x0
	v_pk_mul_f32 v[46:47], v[44:45], v[42:43] op_sel:[1,1] op_sel_hi:[0,1]
	s_delay_alu instid0(VALU_DEP_1) | instskip(SKIP_1) | instid1(VALU_DEP_2)
	v_pk_fma_f32 v[98:99], v[44:45], v[42:43], v[46:47] op_sel_hi:[1,0,1]
	v_pk_fma_f32 v[42:43], v[44:45], v[42:43], v[46:47] neg_lo:[0,0,1] neg_hi:[0,0,1]
	v_mov_b32_e32 v43, v99
	s_delay_alu instid0(VALU_DEP_1)
	v_pk_add_f32 v[40:41], v[40:41], v[42:43]
.LBB164_447:                            ;   in Loop: Header=BB164_3 Depth=1
	s_or_b32 exec_lo, exec_lo, s12
	s_barrier_signal -1
	s_barrier_wait -1
	;; [unrolled: 25-line block ×3, first 2 shown]
	s_and_saveexec_b32 s12, s101
; %bb.452:                              ;   in Loop: Header=BB164_3 Depth=1
	ds_store_b64 v54, v[40:41]
; %bb.453:                              ;   in Loop: Header=BB164_3 Depth=1
	s_or_b32 exec_lo, exec_lo, s12
	s_wait_dscnt 0x0
	s_barrier_signal -1
	s_barrier_wait -1
	s_barrier_signal -1
	s_barrier_wait -1
	s_and_saveexec_b32 s12, s5
; %bb.454:                              ;   in Loop: Header=BB164_3 Depth=1
	v_pk_add_f32 v[40:41], v[40:41], 0 neg_lo:[1,1] neg_hi:[1,1]
	ds_store_b64 v55, v[40:41] offset:12512
; %bb.455:                              ;   in Loop: Header=BB164_3 Depth=1
	s_or_b32 exec_lo, exec_lo, s12
	s_wait_dscnt 0x0
	s_barrier_signal -1
	s_barrier_wait -1
	s_barrier_signal -1
	s_barrier_wait -1
	s_and_saveexec_b32 s12, s102
	s_cbranch_execz .LBB164_457
; %bb.456:                              ;   in Loop: Header=BB164_3 Depth=1
	ds_load_b64 v[40:41], v62 offset:12512
	s_wait_dscnt 0x0
	ds_store_b64 v66, v[40:41] offset:14528
	ds_load_b64 v[40:41], v62 offset:12520
	s_wait_dscnt 0x0
	ds_store_b64 v66, v[40:41] offset:15040
	;; [unrolled: 3-line block ×4, first 2 shown]
.LBB164_457:                            ;   in Loop: Header=BB164_3 Depth=1
	s_or_b32 exec_lo, exec_lo, s12
	s_wait_dscnt 0x0
	s_barrier_signal -1
	s_barrier_wait -1
	s_and_saveexec_b32 s12, s11
	s_cbranch_execz .LBB164_459
; %bb.458:                              ;   in Loop: Header=BB164_3 Depth=1
	ds_load_b64 v[40:41], v3 offset:14568
	v_add_nc_u32_e64 v42, 0xe0, 0
	ds_store_b64 v3, v[34:35] offset:15080
	s_wait_dscnt 0x1
	ds_store_2addr_stride64_b64 v42, v[34:35], v[40:41] offset0:28 offset1:29
.LBB164_459:                            ;   in Loop: Header=BB164_3 Depth=1
	s_or_b32 exec_lo, exec_lo, s12
	v_mov_b64_e32 v[40:41], 0
	s_wait_dscnt 0x0
	s_barrier_signal -1
	s_barrier_wait -1
	s_and_saveexec_b32 s12, s3
	s_cbranch_execz .LBB164_463
; %bb.460:                              ;   in Loop: Header=BB164_3 Depth=1
	ds_load_b64 v[40:41], v48 offset:14576
	ds_load_b64 v[42:43], v49 offset:14560
	s_wait_dscnt 0x0
	v_pk_mul_f32 v[44:45], v[42:43], v[40:41] op_sel:[1,1] op_sel_hi:[0,1]
	s_delay_alu instid0(VALU_DEP_1) | instskip(SKIP_1) | instid1(VALU_DEP_2)
	v_pk_fma_f32 v[46:47], v[42:43], v[40:41], v[44:45] op_sel_hi:[1,0,1]
	v_pk_fma_f32 v[40:41], v[42:43], v[40:41], v[44:45] neg_lo:[0,0,1] neg_hi:[0,0,1]
	v_mov_b32_e32 v41, v47
	s_delay_alu instid0(VALU_DEP_1)
	v_pk_add_f32 v[40:41], v[40:41], 0 op_sel_hi:[1,0]
	s_and_saveexec_b32 s14, s15
	s_cbranch_execz .LBB164_462
; %bb.461:                              ;   in Loop: Header=BB164_3 Depth=1
	ds_load_b64 v[42:43], v66 offset:15088
	ds_load_b64 v[44:45], v3 offset:14568
	s_wait_dscnt 0x0
	v_pk_mul_f32 v[46:47], v[44:45], v[42:43] op_sel:[1,1] op_sel_hi:[0,1]
	s_delay_alu instid0(VALU_DEP_1) | instskip(SKIP_1) | instid1(VALU_DEP_2)
	v_pk_fma_f32 v[98:99], v[44:45], v[42:43], v[46:47] op_sel_hi:[1,0,1]
	v_pk_fma_f32 v[42:43], v[44:45], v[42:43], v[46:47] neg_lo:[0,0,1] neg_hi:[0,0,1]
	v_mov_b32_e32 v43, v99
	s_delay_alu instid0(VALU_DEP_1)
	v_pk_add_f32 v[40:41], v[40:41], v[42:43]
.LBB164_462:                            ;   in Loop: Header=BB164_3 Depth=1
	s_or_b32 exec_lo, exec_lo, s14
	s_delay_alu instid0(VALU_DEP_1)
	v_pk_add_f32 v[40:41], v[40:41], 0 neg_lo:[1,1] neg_hi:[1,1]
.LBB164_463:                            ;   in Loop: Header=BB164_3 Depth=1
	s_or_b32 exec_lo, exec_lo, s12
	s_and_saveexec_b32 s12, s93
; %bb.464:                              ;   in Loop: Header=BB164_3 Depth=1
	ds_store_b64 v5, v[40:41]
; %bb.465:                              ;   in Loop: Header=BB164_3 Depth=1
	s_or_b32 exec_lo, exec_lo, s12
	s_wait_dscnt 0x0
	s_barrier_signal -1
	s_barrier_wait -1
	s_and_saveexec_b32 s12, s94
	s_cbranch_execz .LBB164_467
; %bb.466:                              ;   in Loop: Header=BB164_3 Depth=1
	ds_load_b64 v[42:43], v3 offset:15608
	ds_load_b64 v[44:45], v5
	s_wait_dscnt 0x0
	v_pk_mul_f32 v[46:47], v[44:45], v[42:43] op_sel:[1,1] op_sel_hi:[0,1]
	s_delay_alu instid0(VALU_DEP_1) | instskip(SKIP_1) | instid1(VALU_DEP_2)
	v_pk_fma_f32 v[98:99], v[44:45], v[42:43], v[46:47] op_sel_hi:[1,0,1]
	v_pk_fma_f32 v[42:43], v[44:45], v[42:43], v[46:47] neg_lo:[0,0,1] neg_hi:[0,0,1]
	v_mov_b32_e32 v43, v99
	s_delay_alu instid0(VALU_DEP_1)
	v_pk_add_f32 v[40:41], v[40:41], v[42:43]
.LBB164_467:                            ;   in Loop: Header=BB164_3 Depth=1
	s_or_b32 exec_lo, exec_lo, s12
	s_barrier_signal -1
	s_barrier_wait -1
	s_and_saveexec_b32 s12, s94
; %bb.468:                              ;   in Loop: Header=BB164_3 Depth=1
	ds_store_b64 v5, v[40:41]
; %bb.469:                              ;   in Loop: Header=BB164_3 Depth=1
	s_or_b32 exec_lo, exec_lo, s12
	s_wait_dscnt 0x0
	s_barrier_signal -1
	s_barrier_wait -1
	s_barrier_signal -1
	s_barrier_wait -1
	s_and_saveexec_b32 s12, s3
; %bb.470:                              ;   in Loop: Header=BB164_3 Depth=1
	v_pk_add_f32 v[40:41], v[40:41], 0 neg_lo:[1,1] neg_hi:[1,1]
	ds_store_b64 v48, v[40:41] offset:14576
; %bb.471:                              ;   in Loop: Header=BB164_3 Depth=1
	s_or_b32 exec_lo, exec_lo, s12
	s_wait_dscnt 0x0
	s_barrier_signal -1
	s_barrier_wait -1
	s_barrier_signal -1
	s_barrier_wait -1
	s_and_saveexec_b32 s12, s95
	s_cbranch_execz .LBB164_473
; %bb.472:                              ;   in Loop: Header=BB164_3 Depth=1
	ds_load_b64 v[40:41], v67 offset:14576
	s_wait_dscnt 0x0
	ds_store_b64 v66, v[40:41] offset:15584
	ds_load_b64 v[40:41], v67 offset:14584
	s_wait_dscnt 0x0
	ds_store_b64 v66, v[40:41] offset:16096
.LBB164_473:                            ;   in Loop: Header=BB164_3 Depth=1
	s_or_b32 exec_lo, exec_lo, s12
	s_wait_dscnt 0x0
	s_barrier_signal -1
	s_barrier_wait -1
	s_and_saveexec_b32 s12, s11
	s_cbranch_execz .LBB164_475
; %bb.474:                              ;   in Loop: Header=BB164_3 Depth=1
	ds_load_b64 v[40:41], v3 offset:15608
	v_add_nc_u32_e64 v42, 0xf0, 0
	ds_store_b64 v3, v[34:35] offset:16120
	s_wait_dscnt 0x1
	ds_store_2addr_stride64_b64 v42, v[34:35], v[40:41] offset0:30 offset1:31
.LBB164_475:                            ;   in Loop: Header=BB164_3 Depth=1
	s_or_b32 exec_lo, exec_lo, s12
	v_mov_b64_e32 v[40:41], 0
	s_wait_dscnt 0x0
	s_barrier_signal -1
	s_barrier_wait -1
	s_and_saveexec_b32 s62, s35
	s_cbranch_execz .LBB164_537
; %bb.476:                              ;   in Loop: Header=BB164_3 Depth=1
	v_dual_add_nc_u32 v43, v86, v76 :: v_dual_add_nc_u32 v42, v76, v75
	ds_load_b64 v[40:41], v43 offset:256
	ds_load_b64 v[44:45], v42
	s_wait_dscnt 0x0
	v_pk_mul_f32 v[46:47], v[44:45], v[40:41] op_sel:[1,1] op_sel_hi:[0,1]
	s_delay_alu instid0(VALU_DEP_1) | instskip(SKIP_1) | instid1(VALU_DEP_2)
	v_pk_fma_f32 v[98:99], v[44:45], v[40:41], v[46:47] op_sel_hi:[1,0,1]
	v_pk_fma_f32 v[40:41], v[44:45], v[40:41], v[46:47] neg_lo:[0,0,1] neg_hi:[0,0,1]
	v_mov_b32_e32 v41, v99
	s_delay_alu instid0(VALU_DEP_1) | instskip(SKIP_3) | instid1(SALU_CYCLE_1)
	v_pk_add_f32 v[40:41], v[40:41], 0 op_sel_hi:[1,0]
	s_mov_b32 s12, exec_lo
	v_readlane_b32 s14, v97, 6
	s_and_b32 s14, s12, s14
	s_mov_b32 exec_lo, s14
	s_cbranch_execz .LBB164_478
; %bb.477:                              ;   in Loop: Header=BB164_3 Depth=1
	ds_load_b64 v[44:45], v43 offset:768
	ds_load_b64 v[46:47], v42 offset:8
	s_wait_dscnt 0x0
	v_pk_mul_f32 v[98:99], v[46:47], v[44:45] op_sel:[1,1] op_sel_hi:[0,1]
	s_delay_alu instid0(VALU_DEP_1) | instskip(SKIP_1) | instid1(VALU_DEP_2)
	v_pk_fma_f32 v[100:101], v[46:47], v[44:45], v[98:99] op_sel_hi:[1,0,1]
	v_pk_fma_f32 v[44:45], v[46:47], v[44:45], v[98:99] neg_lo:[0,0,1] neg_hi:[0,0,1]
	v_mov_b32_e32 v45, v101
	s_delay_alu instid0(VALU_DEP_1)
	v_pk_add_f32 v[40:41], v[40:41], v[44:45]
.LBB164_478:                            ;   in Loop: Header=BB164_3 Depth=1
	s_or_b32 exec_lo, exec_lo, s12
	s_delay_alu instid0(SALU_CYCLE_1) | instskip(SKIP_2) | instid1(SALU_CYCLE_1)
	s_mov_b32 s12, exec_lo
	v_readlane_b32 s14, v97, 7
	s_and_b32 s14, s12, s14
	s_mov_b32 exec_lo, s14
	s_cbranch_execz .LBB164_480
; %bb.479:                              ;   in Loop: Header=BB164_3 Depth=1
	ds_load_b64 v[44:45], v43 offset:1280
	ds_load_b64 v[46:47], v42 offset:16
	s_wait_dscnt 0x0
	v_pk_mul_f32 v[98:99], v[46:47], v[44:45] op_sel:[1,1] op_sel_hi:[0,1]
	s_delay_alu instid0(VALU_DEP_1) | instskip(SKIP_1) | instid1(VALU_DEP_2)
	v_pk_fma_f32 v[100:101], v[46:47], v[44:45], v[98:99] op_sel_hi:[1,0,1]
	v_pk_fma_f32 v[44:45], v[46:47], v[44:45], v[98:99] neg_lo:[0,0,1] neg_hi:[0,0,1]
	v_mov_b32_e32 v45, v101
	s_delay_alu instid0(VALU_DEP_1)
	v_pk_add_f32 v[40:41], v[40:41], v[44:45]
.LBB164_480:                            ;   in Loop: Header=BB164_3 Depth=1
	s_or_b32 exec_lo, exec_lo, s12
	s_delay_alu instid0(SALU_CYCLE_1) | instskip(SKIP_2) | instid1(SALU_CYCLE_1)
	;; [unrolled: 19-line block ×22, first 2 shown]
	s_mov_b32 s12, exec_lo
	v_readlane_b32 s14, v97, 29
	s_and_b32 s14, s12, s14
	s_mov_b32 exec_lo, s14
	s_cbranch_execz .LBB164_522
; %bb.521:                              ;   in Loop: Header=BB164_3 Depth=1
	ds_load_b64 v[44:45], v43 offset:12032
	ds_load_b64 v[46:47], v42 offset:184
	s_wait_dscnt 0x0
	v_pk_mul_f32 v[98:99], v[46:47], v[44:45] op_sel:[1,1] op_sel_hi:[0,1]
	s_delay_alu instid0(VALU_DEP_1) | instskip(SKIP_1) | instid1(VALU_DEP_2)
	v_pk_fma_f32 v[100:101], v[46:47], v[44:45], v[98:99] op_sel_hi:[1,0,1]
	v_pk_fma_f32 v[44:45], v[46:47], v[44:45], v[98:99] neg_lo:[0,0,1] neg_hi:[0,0,1]
	v_mov_b32_e32 v45, v101
	s_delay_alu instid0(VALU_DEP_1)
	v_pk_add_f32 v[40:41], v[40:41], v[44:45]
.LBB164_522:                            ;   in Loop: Header=BB164_3 Depth=1
	s_or_b32 exec_lo, exec_lo, s12
	s_and_saveexec_b32 s12, s7
	s_cbranch_execz .LBB164_524
; %bb.523:                              ;   in Loop: Header=BB164_3 Depth=1
	ds_load_b64 v[44:45], v43 offset:12544
	ds_load_b64 v[46:47], v42 offset:192
	s_wait_dscnt 0x0
	v_pk_mul_f32 v[98:99], v[46:47], v[44:45] op_sel:[1,1] op_sel_hi:[0,1]
	s_delay_alu instid0(VALU_DEP_1) | instskip(SKIP_1) | instid1(VALU_DEP_2)
	v_pk_fma_f32 v[100:101], v[46:47], v[44:45], v[98:99] op_sel_hi:[1,0,1]
	v_pk_fma_f32 v[44:45], v[46:47], v[44:45], v[98:99] neg_lo:[0,0,1] neg_hi:[0,0,1]
	v_mov_b32_e32 v45, v101
	s_delay_alu instid0(VALU_DEP_1)
	v_pk_add_f32 v[40:41], v[40:41], v[44:45]
.LBB164_524:                            ;   in Loop: Header=BB164_3 Depth=1
	s_or_b32 exec_lo, exec_lo, s12
	s_delay_alu instid0(SALU_CYCLE_1) | instskip(SKIP_2) | instid1(SALU_CYCLE_1)
	s_mov_b32 s12, exec_lo
	v_readlane_b32 s14, v106, 28
	s_and_b32 s14, s12, s14
	s_mov_b32 exec_lo, s14
	s_cbranch_execz .LBB164_526
; %bb.525:                              ;   in Loop: Header=BB164_3 Depth=1
	ds_load_b64 v[44:45], v43 offset:13056
	ds_load_b64 v[46:47], v42 offset:200
	s_wait_dscnt 0x0
	v_pk_mul_f32 v[98:99], v[46:47], v[44:45] op_sel:[1,1] op_sel_hi:[0,1]
	s_delay_alu instid0(VALU_DEP_1) | instskip(SKIP_1) | instid1(VALU_DEP_2)
	v_pk_fma_f32 v[100:101], v[46:47], v[44:45], v[98:99] op_sel_hi:[1,0,1]
	v_pk_fma_f32 v[44:45], v[46:47], v[44:45], v[98:99] neg_lo:[0,0,1] neg_hi:[0,0,1]
	v_mov_b32_e32 v45, v101
	s_delay_alu instid0(VALU_DEP_1)
	v_pk_add_f32 v[40:41], v[40:41], v[44:45]
.LBB164_526:                            ;   in Loop: Header=BB164_3 Depth=1
	s_or_b32 exec_lo, exec_lo, s12
	s_delay_alu instid0(SALU_CYCLE_1) | instskip(SKIP_2) | instid1(SALU_CYCLE_1)
	s_mov_b32 s12, exec_lo
	v_readlane_b32 s14, v106, 30
	s_and_b32 s14, s12, s14
	s_mov_b32 exec_lo, s14
	;; [unrolled: 19-line block ×5, first 2 shown]
	s_cbranch_execnz .LBB164_1086
; %bb.533:                              ;   in Loop: Header=BB164_3 Depth=1
	s_or_b32 exec_lo, exec_lo, s12
	s_and_saveexec_b32 s12, s6
	s_cbranch_execnz .LBB164_1087
.LBB164_534:                            ;   in Loop: Header=BB164_3 Depth=1
	s_or_b32 exec_lo, exec_lo, s12
	s_and_saveexec_b32 s12, s21
	s_cbranch_execz .LBB164_536
.LBB164_535:                            ;   in Loop: Header=BB164_3 Depth=1
	ds_load_b64 v[44:45], v86 offset:16128
	ds_load_b64 v[42:43], v42 offset:248
	s_wait_dscnt 0x0
	v_pk_mul_f32 v[46:47], v[42:43], v[44:45] op_sel:[1,1] op_sel_hi:[0,1]
	s_delay_alu instid0(VALU_DEP_1) | instskip(SKIP_1) | instid1(VALU_DEP_2)
	v_pk_fma_f32 v[98:99], v[42:43], v[44:45], v[46:47] op_sel_hi:[1,0,1]
	v_pk_fma_f32 v[42:43], v[42:43], v[44:45], v[46:47] neg_lo:[0,0,1] neg_hi:[0,0,1]
	v_mov_b32_e32 v43, v99
	s_delay_alu instid0(VALU_DEP_1)
	v_pk_add_f32 v[40:41], v[40:41], v[42:43]
.LBB164_536:                            ;   in Loop: Header=BB164_3 Depth=1
	s_or_b32 exec_lo, exec_lo, s12
	s_delay_alu instid0(VALU_DEP_1)
	v_pk_add_f32 v[40:41], v[40:41], 0 neg_lo:[1,1] neg_hi:[1,1]
.LBB164_537:                            ;   in Loop: Header=BB164_3 Depth=1
	s_or_b32 exec_lo, exec_lo, s62
	v_dual_mov_b32 v42, v74 :: v_dual_mov_b32 v43, v95
	s_mov_b32 s14, 0
	s_branch .LBB164_539
.LBB164_538:                            ;   in Loop: Header=BB164_539 Depth=2
	s_or_b32 exec_lo, exec_lo, s12
	v_add_nc_u32_e32 v43, 0x800, v43
	v_add_nc_u32_e32 v42, -4, v42
	s_add_co_i32 s14, s14, 4
	s_delay_alu instid0(SALU_CYCLE_1)
	s_cmp_eq_u32 s14, 32
	s_barrier_signal -1
	s_barrier_wait -1
	s_cbranch_scc1 .LBB164_555
.LBB164_539:                            ;   Parent Loop BB164_3 Depth=1
                                        ; =>  This Inner Loop Header: Depth=2
	s_delay_alu instid0(VALU_DEP_1) | instskip(SKIP_1) | instid1(SALU_CYCLE_1)
	v_cmp_eq_u32_e32 vcc_lo, 0, v42
	s_and_b32 s56, s10, vcc_lo
	s_and_saveexec_b32 s12, s56
; %bb.540:                              ;   in Loop: Header=BB164_539 Depth=2
	ds_store_b64 v87, v[40:41]
; %bb.541:                              ;   in Loop: Header=BB164_539 Depth=2
	s_or_b32 exec_lo, exec_lo, s12
	v_cmp_lt_u32_e32 vcc_lo, s14, v74
	s_wait_dscnt 0x0
	s_barrier_signal -1
	s_barrier_wait -1
	s_and_b32 s56, s10, vcc_lo
	s_delay_alu instid0(SALU_CYCLE_1)
	s_and_saveexec_b32 s12, s56
	s_cbranch_execz .LBB164_543
; %bb.542:                              ;   in Loop: Header=BB164_539 Depth=2
	ds_load_b64 v[44:45], v43
	ds_load_b64 v[46:47], v87
	s_wait_dscnt 0x0
	v_pk_mul_f32 v[98:99], v[46:47], v[44:45] op_sel:[1,1] op_sel_hi:[0,1]
	s_delay_alu instid0(VALU_DEP_1) | instskip(SKIP_1) | instid1(VALU_DEP_2)
	v_pk_fma_f32 v[100:101], v[46:47], v[44:45], v[98:99] op_sel_hi:[1,0,1]
	v_pk_fma_f32 v[44:45], v[46:47], v[44:45], v[98:99] neg_lo:[0,0,1] neg_hi:[0,0,1]
	v_mov_b32_e32 v45, v101
	s_delay_alu instid0(VALU_DEP_1)
	v_pk_add_f32 v[40:41], v[40:41], v[44:45]
.LBB164_543:                            ;   in Loop: Header=BB164_539 Depth=2
	s_or_b32 exec_lo, exec_lo, s12
	s_or_b32 s12, s14, 1
	s_delay_alu instid0(SALU_CYCLE_1) | instskip(SKIP_3) | instid1(SALU_CYCLE_1)
	v_cmp_eq_u32_e32 vcc_lo, s12, v74
	s_barrier_signal -1
	s_barrier_wait -1
	s_and_b32 s62, s10, vcc_lo
	s_and_saveexec_b32 s56, s62
; %bb.544:                              ;   in Loop: Header=BB164_539 Depth=2
	ds_store_b64 v87, v[40:41]
; %bb.545:                              ;   in Loop: Header=BB164_539 Depth=2
	s_or_b32 exec_lo, exec_lo, s56
	v_cmp_lt_u32_e32 vcc_lo, s12, v74
	s_wait_dscnt 0x0
	s_barrier_signal -1
	s_barrier_wait -1
	s_and_b32 s56, s10, vcc_lo
	s_delay_alu instid0(SALU_CYCLE_1)
	s_and_saveexec_b32 s12, s56
	s_cbranch_execz .LBB164_547
; %bb.546:                              ;   in Loop: Header=BB164_539 Depth=2
	ds_load_b64 v[44:45], v43 offset:512
	ds_load_b64 v[46:47], v87
	s_wait_dscnt 0x0
	v_pk_mul_f32 v[98:99], v[46:47], v[44:45] op_sel:[1,1] op_sel_hi:[0,1]
	s_delay_alu instid0(VALU_DEP_1) | instskip(SKIP_1) | instid1(VALU_DEP_2)
	v_pk_fma_f32 v[100:101], v[46:47], v[44:45], v[98:99] op_sel_hi:[1,0,1]
	v_pk_fma_f32 v[44:45], v[46:47], v[44:45], v[98:99] neg_lo:[0,0,1] neg_hi:[0,0,1]
	v_mov_b32_e32 v45, v101
	s_delay_alu instid0(VALU_DEP_1)
	v_pk_add_f32 v[40:41], v[40:41], v[44:45]
.LBB164_547:                            ;   in Loop: Header=BB164_539 Depth=2
	s_or_b32 exec_lo, exec_lo, s12
	s_or_b32 s12, s14, 2
	s_delay_alu instid0(SALU_CYCLE_1) | instskip(SKIP_3) | instid1(SALU_CYCLE_1)
	v_cmp_eq_u32_e32 vcc_lo, s12, v74
	s_barrier_signal -1
	s_barrier_wait -1
	s_and_b32 s62, s10, vcc_lo
	s_and_saveexec_b32 s56, s62
; %bb.548:                              ;   in Loop: Header=BB164_539 Depth=2
	ds_store_b64 v87, v[40:41]
; %bb.549:                              ;   in Loop: Header=BB164_539 Depth=2
	s_or_b32 exec_lo, exec_lo, s56
	v_cmp_lt_u32_e32 vcc_lo, s12, v74
	s_wait_dscnt 0x0
	s_barrier_signal -1
	s_barrier_wait -1
	s_and_b32 s56, s10, vcc_lo
	s_delay_alu instid0(SALU_CYCLE_1)
	s_and_saveexec_b32 s12, s56
	s_cbranch_execz .LBB164_551
; %bb.550:                              ;   in Loop: Header=BB164_539 Depth=2
	ds_load_b64 v[44:45], v43 offset:1024
	ds_load_b64 v[46:47], v87
	s_wait_dscnt 0x0
	v_pk_mul_f32 v[98:99], v[46:47], v[44:45] op_sel:[1,1] op_sel_hi:[0,1]
	s_delay_alu instid0(VALU_DEP_1) | instskip(SKIP_1) | instid1(VALU_DEP_2)
	v_pk_fma_f32 v[100:101], v[46:47], v[44:45], v[98:99] op_sel_hi:[1,0,1]
	v_pk_fma_f32 v[44:45], v[46:47], v[44:45], v[98:99] neg_lo:[0,0,1] neg_hi:[0,0,1]
	v_mov_b32_e32 v45, v101
	s_delay_alu instid0(VALU_DEP_1)
	v_pk_add_f32 v[40:41], v[40:41], v[44:45]
.LBB164_551:                            ;   in Loop: Header=BB164_539 Depth=2
	s_or_b32 exec_lo, exec_lo, s12
	s_or_b32 s12, s14, 3
	s_delay_alu instid0(SALU_CYCLE_1) | instskip(SKIP_3) | instid1(SALU_CYCLE_1)
	v_cmp_eq_u32_e32 vcc_lo, s12, v74
	s_barrier_signal -1
	s_barrier_wait -1
	s_and_b32 s62, s10, vcc_lo
	s_and_saveexec_b32 s56, s62
; %bb.552:                              ;   in Loop: Header=BB164_539 Depth=2
	ds_store_b64 v87, v[40:41]
; %bb.553:                              ;   in Loop: Header=BB164_539 Depth=2
	s_or_b32 exec_lo, exec_lo, s56
	v_cmp_lt_u32_e32 vcc_lo, s12, v74
	s_wait_dscnt 0x0
	s_barrier_signal -1
	s_barrier_wait -1
	s_and_b32 s56, s10, vcc_lo
	s_delay_alu instid0(SALU_CYCLE_1)
	s_and_saveexec_b32 s12, s56
	s_cbranch_execz .LBB164_538
; %bb.554:                              ;   in Loop: Header=BB164_539 Depth=2
	ds_load_b64 v[44:45], v43 offset:1536
	ds_load_b64 v[46:47], v87
	s_wait_dscnt 0x0
	v_pk_mul_f32 v[98:99], v[46:47], v[44:45] op_sel:[1,1] op_sel_hi:[0,1]
	s_delay_alu instid0(VALU_DEP_1) | instskip(SKIP_1) | instid1(VALU_DEP_2)
	v_pk_fma_f32 v[100:101], v[46:47], v[44:45], v[98:99] op_sel_hi:[1,0,1]
	v_pk_fma_f32 v[44:45], v[46:47], v[44:45], v[98:99] neg_lo:[0,0,1] neg_hi:[0,0,1]
	v_mov_b32_e32 v45, v101
	s_delay_alu instid0(VALU_DEP_1)
	v_pk_add_f32 v[40:41], v[40:41], v[44:45]
	s_branch .LBB164_538
.LBB164_555:                            ;   in Loop: Header=BB164_3 Depth=1
	s_and_saveexec_b32 s12, s35
; %bb.556:                              ;   in Loop: Header=BB164_3 Depth=1
	v_pk_add_f32 v[40:41], v[40:41], 0 neg_lo:[1,1] neg_hi:[1,1]
	ds_store_b64 v88, v[40:41] offset:256
; %bb.557:                              ;   in Loop: Header=BB164_3 Depth=1
	s_or_b32 exec_lo, exec_lo, s12
	s_wait_dscnt 0x0
	s_barrier_signal -1
	s_barrier_wait -1
	s_barrier_signal -1
	s_barrier_wait -1
	s_mov_b32 s14, exec_lo
	v_readlane_b32 s12, v106, 10
	s_and_b32 s12, s14, s12
	s_delay_alu instid0(SALU_CYCLE_1)
	s_mov_b32 exec_lo, s12
	s_cbranch_execz .LBB164_559
; %bb.558:                              ;   in Loop: Header=BB164_3 Depth=1
	ds_load_b64 v[40:41], v67 offset:256
	s_wait_dscnt 0x0
	ds_store_b64 v69, v[40:41] offset:16384
	ds_load_b64 v[40:41], v67 offset:264
	s_wait_dscnt 0x0
	ds_store_b64 v69, v[40:41] offset:16896
	;; [unrolled: 3-line block ×32, first 2 shown]
.LBB164_559:                            ;   in Loop: Header=BB164_3 Depth=1
	s_or_b32 exec_lo, exec_lo, s14
	s_wait_dscnt 0x0
	s_barrier_signal -1
	s_barrier_wait -1
	s_and_saveexec_b32 s12, s11
	s_cbranch_execz .LBB164_561
; %bb.560:                              ;   in Loop: Header=BB164_3 Depth=1
	ds_load_b64 v[40:41], v3 offset:16648
	v_add_nc_u32_e64 v42, 0x100, 0
	ds_store_b64 v3, v[34:35] offset:17160
	s_wait_dscnt 0x1
	ds_store_2addr_stride64_b64 v42, v[34:35], v[40:41] offset0:32 offset1:33
.LBB164_561:                            ;   in Loop: Header=BB164_3 Depth=1
	s_or_b32 exec_lo, exec_lo, s12
	v_mov_b64_e32 v[40:41], 0
	s_wait_dscnt 0x0
	s_barrier_signal -1
	s_barrier_wait -1
	s_and_saveexec_b32 s12, s3
	s_cbranch_execz .LBB164_565
; %bb.562:                              ;   in Loop: Header=BB164_3 Depth=1
	ds_load_b64 v[40:41], v48 offset:16656
	ds_load_b64 v[42:43], v49 offset:16640
	s_wait_dscnt 0x0
	v_pk_mul_f32 v[44:45], v[42:43], v[40:41] op_sel:[1,1] op_sel_hi:[0,1]
	s_delay_alu instid0(VALU_DEP_1) | instskip(SKIP_1) | instid1(VALU_DEP_2)
	v_pk_fma_f32 v[46:47], v[42:43], v[40:41], v[44:45] op_sel_hi:[1,0,1]
	v_pk_fma_f32 v[40:41], v[42:43], v[40:41], v[44:45] neg_lo:[0,0,1] neg_hi:[0,0,1]
	v_mov_b32_e32 v41, v47
	s_delay_alu instid0(VALU_DEP_1)
	v_pk_add_f32 v[40:41], v[40:41], 0 op_sel_hi:[1,0]
	s_and_saveexec_b32 s14, s15
	s_cbranch_execz .LBB164_564
; %bb.563:                              ;   in Loop: Header=BB164_3 Depth=1
	ds_load_b64 v[42:43], v50 offset:17168
	ds_load_b64 v[44:45], v3 offset:16648
	s_wait_dscnt 0x0
	v_pk_mul_f32 v[46:47], v[44:45], v[42:43] op_sel:[1,1] op_sel_hi:[0,1]
	s_delay_alu instid0(VALU_DEP_1) | instskip(SKIP_1) | instid1(VALU_DEP_2)
	v_pk_fma_f32 v[98:99], v[44:45], v[42:43], v[46:47] op_sel_hi:[1,0,1]
	v_pk_fma_f32 v[42:43], v[44:45], v[42:43], v[46:47] neg_lo:[0,0,1] neg_hi:[0,0,1]
	v_mov_b32_e32 v43, v99
	s_delay_alu instid0(VALU_DEP_1)
	v_pk_add_f32 v[40:41], v[40:41], v[42:43]
.LBB164_564:                            ;   in Loop: Header=BB164_3 Depth=1
	s_or_b32 exec_lo, exec_lo, s14
	s_delay_alu instid0(VALU_DEP_1)
	v_pk_add_f32 v[40:41], v[40:41], 0 neg_lo:[1,1] neg_hi:[1,1]
.LBB164_565:                            ;   in Loop: Header=BB164_3 Depth=1
	s_or_b32 exec_lo, exec_lo, s12
	s_and_saveexec_b32 s12, s93
; %bb.566:                              ;   in Loop: Header=BB164_3 Depth=1
	ds_store_b64 v5, v[40:41]
; %bb.567:                              ;   in Loop: Header=BB164_3 Depth=1
	s_or_b32 exec_lo, exec_lo, s12
	s_wait_dscnt 0x0
	s_barrier_signal -1
	s_barrier_wait -1
	s_and_saveexec_b32 s12, s94
	s_cbranch_execz .LBB164_569
; %bb.568:                              ;   in Loop: Header=BB164_3 Depth=1
	ds_load_b64 v[42:43], v3 offset:17688
	ds_load_b64 v[44:45], v5
	s_wait_dscnt 0x0
	v_pk_mul_f32 v[46:47], v[44:45], v[42:43] op_sel:[1,1] op_sel_hi:[0,1]
	s_delay_alu instid0(VALU_DEP_1) | instskip(SKIP_1) | instid1(VALU_DEP_2)
	v_pk_fma_f32 v[98:99], v[44:45], v[42:43], v[46:47] op_sel_hi:[1,0,1]
	v_pk_fma_f32 v[42:43], v[44:45], v[42:43], v[46:47] neg_lo:[0,0,1] neg_hi:[0,0,1]
	v_mov_b32_e32 v43, v99
	s_delay_alu instid0(VALU_DEP_1)
	v_pk_add_f32 v[40:41], v[40:41], v[42:43]
.LBB164_569:                            ;   in Loop: Header=BB164_3 Depth=1
	s_or_b32 exec_lo, exec_lo, s12
	s_barrier_signal -1
	s_barrier_wait -1
	s_and_saveexec_b32 s12, s94
; %bb.570:                              ;   in Loop: Header=BB164_3 Depth=1
	ds_store_b64 v5, v[40:41]
; %bb.571:                              ;   in Loop: Header=BB164_3 Depth=1
	s_or_b32 exec_lo, exec_lo, s12
	s_wait_dscnt 0x0
	s_barrier_signal -1
	s_barrier_wait -1
	s_barrier_signal -1
	s_barrier_wait -1
	s_and_saveexec_b32 s12, s3
; %bb.572:                              ;   in Loop: Header=BB164_3 Depth=1
	v_pk_add_f32 v[40:41], v[40:41], 0 neg_lo:[1,1] neg_hi:[1,1]
	ds_store_b64 v48, v[40:41] offset:16656
; %bb.573:                              ;   in Loop: Header=BB164_3 Depth=1
	s_or_b32 exec_lo, exec_lo, s12
	s_wait_dscnt 0x0
	s_barrier_signal -1
	s_barrier_wait -1
	s_barrier_signal -1
	s_barrier_wait -1
	s_and_saveexec_b32 s12, s95
	s_cbranch_execz .LBB164_575
; %bb.574:                              ;   in Loop: Header=BB164_3 Depth=1
	ds_load_b64 v[40:41], v53 offset:16656
	s_wait_dscnt 0x0
	ds_store_b64 v50, v[40:41] offset:17664
	ds_load_b64 v[40:41], v53 offset:16664
	s_wait_dscnt 0x0
	ds_store_b64 v50, v[40:41] offset:18176
.LBB164_575:                            ;   in Loop: Header=BB164_3 Depth=1
	s_or_b32 exec_lo, exec_lo, s12
	s_wait_dscnt 0x0
	s_barrier_signal -1
	s_barrier_wait -1
	s_and_saveexec_b32 s12, s11
	s_cbranch_execz .LBB164_577
; %bb.576:                              ;   in Loop: Header=BB164_3 Depth=1
	ds_load_b64 v[40:41], v3 offset:17688
	v_add_nc_u32_e64 v42, 0x110, 0
	ds_store_b64 v3, v[34:35] offset:18200
	s_wait_dscnt 0x1
	ds_store_2addr_stride64_b64 v42, v[34:35], v[40:41] offset0:34 offset1:35
.LBB164_577:                            ;   in Loop: Header=BB164_3 Depth=1
	s_or_b32 exec_lo, exec_lo, s12
	v_mov_b64_e32 v[40:41], 0
	s_wait_dscnt 0x0
	s_barrier_signal -1
	s_barrier_wait -1
	s_and_saveexec_b32 s14, s5
	s_cbranch_execz .LBB164_583
; %bb.578:                              ;   in Loop: Header=BB164_3 Depth=1
	ds_load_b64 v[40:41], v55 offset:16672
	ds_load_b64 v[42:43], v51 offset:16640
	s_wait_dscnt 0x0
	v_dual_mul_f32 v44, v43, v41 :: v_dual_mul_f32 v41, v42, v41
	s_delay_alu instid0(VALU_DEP_1) | instskip(NEXT) | instid1(VALU_DEP_1)
	v_dual_fma_f32 v42, v42, v40, -v44 :: v_dual_fmac_f32 v41, v43, v40
	v_dual_add_f32 v40, 0, v42 :: v_dual_add_f32 v41, 0, v41
	s_and_saveexec_b32 s12, s16
	s_cbranch_execnz .LBB164_1088
; %bb.579:                              ;   in Loop: Header=BB164_3 Depth=1
	s_or_b32 exec_lo, exec_lo, s12
	s_and_saveexec_b32 s12, s17
	s_cbranch_execnz .LBB164_1089
.LBB164_580:                            ;   in Loop: Header=BB164_3 Depth=1
	s_or_b32 exec_lo, exec_lo, s12
	s_and_saveexec_b32 s12, s3
	s_cbranch_execz .LBB164_582
.LBB164_581:                            ;   in Loop: Header=BB164_3 Depth=1
	ds_load_b64 v[42:43], v57 offset:18208
	ds_load_b64 v[44:45], v3 offset:16664
	s_wait_dscnt 0x0
	v_dual_mul_f32 v46, v45, v43 :: v_dual_mul_f32 v47, v44, v43
	s_delay_alu instid0(VALU_DEP_1) | instskip(NEXT) | instid1(VALU_DEP_1)
	v_dual_fma_f32 v46, v44, v42, -v46 :: v_dual_fmac_f32 v47, v45, v42
	v_pk_add_f32 v[40:41], v[40:41], v[46:47]
.LBB164_582:                            ;   in Loop: Header=BB164_3 Depth=1
	s_or_b32 exec_lo, exec_lo, s12
	s_delay_alu instid0(VALU_DEP_1)
	v_pk_add_f32 v[40:41], v[40:41], 0 neg_lo:[1,1] neg_hi:[1,1]
.LBB164_583:                            ;   in Loop: Header=BB164_3 Depth=1
	s_or_b32 exec_lo, exec_lo, s14
	s_and_saveexec_b32 s12, s96
; %bb.584:                              ;   in Loop: Header=BB164_3 Depth=1
	ds_store_b64 v54, v[40:41]
; %bb.585:                              ;   in Loop: Header=BB164_3 Depth=1
	s_or_b32 exec_lo, exec_lo, s12
	s_wait_dscnt 0x0
	s_barrier_signal -1
	s_barrier_wait -1
	s_and_saveexec_b32 s12, s97
	s_cbranch_execz .LBB164_587
; %bb.586:                              ;   in Loop: Header=BB164_3 Depth=1
	ds_load_b64 v[42:43], v52 offset:18720
	ds_load_b64 v[44:45], v54
	s_wait_dscnt 0x0
	v_pk_mul_f32 v[46:47], v[44:45], v[42:43] op_sel:[1,1] op_sel_hi:[0,1]
	s_delay_alu instid0(VALU_DEP_1) | instskip(SKIP_1) | instid1(VALU_DEP_2)
	v_pk_fma_f32 v[98:99], v[44:45], v[42:43], v[46:47] op_sel_hi:[1,0,1]
	v_pk_fma_f32 v[42:43], v[44:45], v[42:43], v[46:47] neg_lo:[0,0,1] neg_hi:[0,0,1]
	v_mov_b32_e32 v43, v99
	s_delay_alu instid0(VALU_DEP_1)
	v_pk_add_f32 v[40:41], v[40:41], v[42:43]
.LBB164_587:                            ;   in Loop: Header=BB164_3 Depth=1
	s_or_b32 exec_lo, exec_lo, s12
	s_barrier_signal -1
	s_barrier_wait -1
	s_and_saveexec_b32 s12, s98
; %bb.588:                              ;   in Loop: Header=BB164_3 Depth=1
	ds_store_b64 v54, v[40:41]
; %bb.589:                              ;   in Loop: Header=BB164_3 Depth=1
	s_or_b32 exec_lo, exec_lo, s12
	s_wait_dscnt 0x0
	s_barrier_signal -1
	s_barrier_wait -1
	s_and_saveexec_b32 s12, s99
	s_cbranch_execz .LBB164_591
; %bb.590:                              ;   in Loop: Header=BB164_3 Depth=1
	ds_load_b64 v[42:43], v52 offset:19232
	ds_load_b64 v[44:45], v54
	s_wait_dscnt 0x0
	v_pk_mul_f32 v[46:47], v[44:45], v[42:43] op_sel:[1,1] op_sel_hi:[0,1]
	s_delay_alu instid0(VALU_DEP_1) | instskip(SKIP_1) | instid1(VALU_DEP_2)
	v_pk_fma_f32 v[98:99], v[44:45], v[42:43], v[46:47] op_sel_hi:[1,0,1]
	v_pk_fma_f32 v[42:43], v[44:45], v[42:43], v[46:47] neg_lo:[0,0,1] neg_hi:[0,0,1]
	v_mov_b32_e32 v43, v99
	s_delay_alu instid0(VALU_DEP_1)
	v_pk_add_f32 v[40:41], v[40:41], v[42:43]
.LBB164_591:                            ;   in Loop: Header=BB164_3 Depth=1
	s_or_b32 exec_lo, exec_lo, s12
	s_barrier_signal -1
	s_barrier_wait -1
	s_and_saveexec_b32 s12, s100
; %bb.592:                              ;   in Loop: Header=BB164_3 Depth=1
	ds_store_b64 v54, v[40:41]
; %bb.593:                              ;   in Loop: Header=BB164_3 Depth=1
	s_or_b32 exec_lo, exec_lo, s12
	s_wait_dscnt 0x0
	s_barrier_signal -1
	s_barrier_wait -1
	s_and_saveexec_b32 s12, s101
	s_cbranch_execz .LBB164_595
; %bb.594:                              ;   in Loop: Header=BB164_3 Depth=1
	ds_load_b64 v[42:43], v3 offset:19768
	ds_load_b64 v[44:45], v54
	s_wait_dscnt 0x0
	v_pk_mul_f32 v[46:47], v[44:45], v[42:43] op_sel:[1,1] op_sel_hi:[0,1]
	s_delay_alu instid0(VALU_DEP_1) | instskip(SKIP_1) | instid1(VALU_DEP_2)
	v_pk_fma_f32 v[98:99], v[44:45], v[42:43], v[46:47] op_sel_hi:[1,0,1]
	v_pk_fma_f32 v[42:43], v[44:45], v[42:43], v[46:47] neg_lo:[0,0,1] neg_hi:[0,0,1]
	v_mov_b32_e32 v43, v99
	s_delay_alu instid0(VALU_DEP_1)
	v_pk_add_f32 v[40:41], v[40:41], v[42:43]
.LBB164_595:                            ;   in Loop: Header=BB164_3 Depth=1
	s_or_b32 exec_lo, exec_lo, s12
	s_barrier_signal -1
	s_barrier_wait -1
	s_and_saveexec_b32 s12, s101
; %bb.596:                              ;   in Loop: Header=BB164_3 Depth=1
	ds_store_b64 v54, v[40:41]
; %bb.597:                              ;   in Loop: Header=BB164_3 Depth=1
	s_or_b32 exec_lo, exec_lo, s12
	s_wait_dscnt 0x0
	s_barrier_signal -1
	s_barrier_wait -1
	s_barrier_signal -1
	s_barrier_wait -1
	s_and_saveexec_b32 s12, s5
; %bb.598:                              ;   in Loop: Header=BB164_3 Depth=1
	v_pk_add_f32 v[40:41], v[40:41], 0 neg_lo:[1,1] neg_hi:[1,1]
	ds_store_b64 v55, v[40:41] offset:16672
; %bb.599:                              ;   in Loop: Header=BB164_3 Depth=1
	s_or_b32 exec_lo, exec_lo, s12
	s_wait_dscnt 0x0
	s_barrier_signal -1
	s_barrier_wait -1
	s_barrier_signal -1
	s_barrier_wait -1
	s_and_saveexec_b32 s12, s102
	s_cbranch_execz .LBB164_601
; %bb.600:                              ;   in Loop: Header=BB164_3 Depth=1
	ds_load_b64 v[40:41], v58 offset:16672
	s_wait_dscnt 0x0
	ds_store_b64 v59, v[40:41] offset:18688
	ds_load_b64 v[40:41], v58 offset:16680
	s_wait_dscnt 0x0
	ds_store_b64 v59, v[40:41] offset:19200
	;; [unrolled: 3-line block ×4, first 2 shown]
.LBB164_601:                            ;   in Loop: Header=BB164_3 Depth=1
	s_or_b32 exec_lo, exec_lo, s12
	s_wait_dscnt 0x0
	s_barrier_signal -1
	s_barrier_wait -1
	s_and_saveexec_b32 s12, s11
	s_cbranch_execz .LBB164_603
; %bb.602:                              ;   in Loop: Header=BB164_3 Depth=1
	ds_load_b64 v[40:41], v3 offset:18728
	v_add_nc_u32_e64 v42, 0x120, 0
	ds_store_b64 v3, v[34:35] offset:19240
	s_wait_dscnt 0x1
	ds_store_2addr_stride64_b64 v42, v[34:35], v[40:41] offset0:36 offset1:37
.LBB164_603:                            ;   in Loop: Header=BB164_3 Depth=1
	s_or_b32 exec_lo, exec_lo, s12
	v_mov_b64_e32 v[40:41], 0
	s_wait_dscnt 0x0
	s_barrier_signal -1
	s_barrier_wait -1
	s_and_saveexec_b32 s12, s3
	s_cbranch_execz .LBB164_607
; %bb.604:                              ;   in Loop: Header=BB164_3 Depth=1
	ds_load_b64 v[40:41], v48 offset:18736
	ds_load_b64 v[42:43], v49 offset:18720
	s_wait_dscnt 0x0
	v_pk_mul_f32 v[44:45], v[42:43], v[40:41] op_sel:[1,1] op_sel_hi:[0,1]
	s_delay_alu instid0(VALU_DEP_1) | instskip(SKIP_1) | instid1(VALU_DEP_2)
	v_pk_fma_f32 v[46:47], v[42:43], v[40:41], v[44:45] op_sel_hi:[1,0,1]
	v_pk_fma_f32 v[40:41], v[42:43], v[40:41], v[44:45] neg_lo:[0,0,1] neg_hi:[0,0,1]
	v_mov_b32_e32 v41, v47
	s_delay_alu instid0(VALU_DEP_1)
	v_pk_add_f32 v[40:41], v[40:41], 0 op_sel_hi:[1,0]
	s_and_saveexec_b32 s14, s15
	s_cbranch_execz .LBB164_606
; %bb.605:                              ;   in Loop: Header=BB164_3 Depth=1
	ds_load_b64 v[42:43], v59 offset:19248
	ds_load_b64 v[44:45], v3 offset:18728
	s_wait_dscnt 0x0
	v_pk_mul_f32 v[46:47], v[44:45], v[42:43] op_sel:[1,1] op_sel_hi:[0,1]
	s_delay_alu instid0(VALU_DEP_1) | instskip(SKIP_1) | instid1(VALU_DEP_2)
	v_pk_fma_f32 v[98:99], v[44:45], v[42:43], v[46:47] op_sel_hi:[1,0,1]
	v_pk_fma_f32 v[42:43], v[44:45], v[42:43], v[46:47] neg_lo:[0,0,1] neg_hi:[0,0,1]
	v_mov_b32_e32 v43, v99
	s_delay_alu instid0(VALU_DEP_1)
	v_pk_add_f32 v[40:41], v[40:41], v[42:43]
.LBB164_606:                            ;   in Loop: Header=BB164_3 Depth=1
	s_or_b32 exec_lo, exec_lo, s14
	s_delay_alu instid0(VALU_DEP_1)
	v_pk_add_f32 v[40:41], v[40:41], 0 neg_lo:[1,1] neg_hi:[1,1]
.LBB164_607:                            ;   in Loop: Header=BB164_3 Depth=1
	s_or_b32 exec_lo, exec_lo, s12
	s_and_saveexec_b32 s12, s93
; %bb.608:                              ;   in Loop: Header=BB164_3 Depth=1
	ds_store_b64 v5, v[40:41]
; %bb.609:                              ;   in Loop: Header=BB164_3 Depth=1
	s_or_b32 exec_lo, exec_lo, s12
	s_wait_dscnt 0x0
	s_barrier_signal -1
	s_barrier_wait -1
	s_and_saveexec_b32 s12, s94
	s_cbranch_execz .LBB164_611
; %bb.610:                              ;   in Loop: Header=BB164_3 Depth=1
	ds_load_b64 v[42:43], v3 offset:19768
	ds_load_b64 v[44:45], v5
	s_wait_dscnt 0x0
	v_pk_mul_f32 v[46:47], v[44:45], v[42:43] op_sel:[1,1] op_sel_hi:[0,1]
	s_delay_alu instid0(VALU_DEP_1) | instskip(SKIP_1) | instid1(VALU_DEP_2)
	v_pk_fma_f32 v[98:99], v[44:45], v[42:43], v[46:47] op_sel_hi:[1,0,1]
	v_pk_fma_f32 v[42:43], v[44:45], v[42:43], v[46:47] neg_lo:[0,0,1] neg_hi:[0,0,1]
	v_mov_b32_e32 v43, v99
	s_delay_alu instid0(VALU_DEP_1)
	v_pk_add_f32 v[40:41], v[40:41], v[42:43]
.LBB164_611:                            ;   in Loop: Header=BB164_3 Depth=1
	s_or_b32 exec_lo, exec_lo, s12
	s_barrier_signal -1
	s_barrier_wait -1
	s_and_saveexec_b32 s12, s94
; %bb.612:                              ;   in Loop: Header=BB164_3 Depth=1
	ds_store_b64 v5, v[40:41]
; %bb.613:                              ;   in Loop: Header=BB164_3 Depth=1
	s_or_b32 exec_lo, exec_lo, s12
	s_wait_dscnt 0x0
	s_barrier_signal -1
	s_barrier_wait -1
	s_barrier_signal -1
	s_barrier_wait -1
	s_and_saveexec_b32 s12, s3
; %bb.614:                              ;   in Loop: Header=BB164_3 Depth=1
	v_pk_add_f32 v[40:41], v[40:41], 0 neg_lo:[1,1] neg_hi:[1,1]
	ds_store_b64 v48, v[40:41] offset:18736
; %bb.615:                              ;   in Loop: Header=BB164_3 Depth=1
	s_or_b32 exec_lo, exec_lo, s12
	s_wait_dscnt 0x0
	s_barrier_signal -1
	s_barrier_wait -1
	s_barrier_signal -1
	s_barrier_wait -1
	s_and_saveexec_b32 s12, s95
	s_cbranch_execz .LBB164_617
; %bb.616:                              ;   in Loop: Header=BB164_3 Depth=1
	ds_load_b64 v[40:41], v62 offset:18736
	s_wait_dscnt 0x0
	ds_store_b64 v59, v[40:41] offset:19744
	ds_load_b64 v[40:41], v62 offset:18744
	s_wait_dscnt 0x0
	ds_store_b64 v59, v[40:41] offset:20256
.LBB164_617:                            ;   in Loop: Header=BB164_3 Depth=1
	s_or_b32 exec_lo, exec_lo, s12
	s_wait_dscnt 0x0
	s_barrier_signal -1
	s_barrier_wait -1
	s_and_saveexec_b32 s12, s11
	s_cbranch_execz .LBB164_619
; %bb.618:                              ;   in Loop: Header=BB164_3 Depth=1
	ds_load_b64 v[40:41], v3 offset:19768
	v_add_nc_u32_e64 v42, 0x130, 0
	ds_store_b64 v3, v[34:35] offset:20280
	s_wait_dscnt 0x1
	ds_store_2addr_stride64_b64 v42, v[34:35], v[40:41] offset0:38 offset1:39
.LBB164_619:                            ;   in Loop: Header=BB164_3 Depth=1
	s_or_b32 exec_lo, exec_lo, s12
	v_mov_b64_e32 v[40:41], 0
	s_wait_dscnt 0x0
	s_barrier_signal -1
	s_barrier_wait -1
	s_and_saveexec_b32 s14, s6
	s_cbranch_execz .LBB164_629
; %bb.620:                              ;   in Loop: Header=BB164_3 Depth=1
	ds_load_b64 v[40:41], v64 offset:16704
	ds_load_b64 v[42:43], v60 offset:16640
	s_wait_dscnt 0x0
	v_dual_mul_f32 v44, v43, v41 :: v_dual_mul_f32 v41, v42, v41
	s_delay_alu instid0(VALU_DEP_1) | instskip(NEXT) | instid1(VALU_DEP_1)
	v_dual_fma_f32 v42, v42, v40, -v44 :: v_dual_fmac_f32 v41, v43, v40
	v_dual_add_f32 v40, 0, v42 :: v_dual_add_f32 v41, 0, v41
	s_and_saveexec_b32 s12, s18
	s_cbranch_execnz .LBB164_1090
; %bb.621:                              ;   in Loop: Header=BB164_3 Depth=1
	s_or_b32 exec_lo, exec_lo, s12
	s_and_saveexec_b32 s12, s19
	s_cbranch_execnz .LBB164_1091
.LBB164_622:                            ;   in Loop: Header=BB164_3 Depth=1
	s_or_b32 exec_lo, exec_lo, s12
	s_and_saveexec_b32 s12, s20
	s_cbranch_execnz .LBB164_1092
.LBB164_623:                            ;   in Loop: Header=BB164_3 Depth=1
	s_or_b32 exec_lo, exec_lo, s12
	s_and_saveexec_b32 s12, s21
	s_cbranch_execnz .LBB164_1093
.LBB164_624:                            ;   in Loop: Header=BB164_3 Depth=1
	s_or_b32 exec_lo, exec_lo, s12
	s_and_saveexec_b32 s12, s22
	s_cbranch_execnz .LBB164_1094
.LBB164_625:                            ;   in Loop: Header=BB164_3 Depth=1
	s_or_b32 exec_lo, exec_lo, s12
	s_and_saveexec_b32 s12, s5
	s_cbranch_execnz .LBB164_1095
.LBB164_626:                            ;   in Loop: Header=BB164_3 Depth=1
	s_or_b32 exec_lo, exec_lo, s12
	s_and_saveexec_b32 s12, s17
	s_cbranch_execz .LBB164_628
.LBB164_627:                            ;   in Loop: Header=BB164_3 Depth=1
	ds_load_b64 v[42:43], v50 offset:20288
	ds_load_b64 v[44:45], v3 offset:16696
	s_wait_dscnt 0x0
	v_pk_mul_f32 v[46:47], v[44:45], v[42:43] op_sel:[1,1] op_sel_hi:[0,1]
	s_delay_alu instid0(VALU_DEP_1) | instskip(SKIP_1) | instid1(VALU_DEP_2)
	v_pk_fma_f32 v[98:99], v[44:45], v[42:43], v[46:47] op_sel_hi:[1,0,1]
	v_pk_fma_f32 v[42:43], v[44:45], v[42:43], v[46:47] neg_lo:[0,0,1] neg_hi:[0,0,1]
	v_mov_b32_e32 v43, v99
	s_delay_alu instid0(VALU_DEP_1)
	v_pk_add_f32 v[40:41], v[40:41], v[42:43]
.LBB164_628:                            ;   in Loop: Header=BB164_3 Depth=1
	s_or_b32 exec_lo, exec_lo, s12
	s_delay_alu instid0(VALU_DEP_1)
	v_pk_add_f32 v[40:41], v[40:41], 0 neg_lo:[1,1] neg_hi:[1,1]
.LBB164_629:                            ;   in Loop: Header=BB164_3 Depth=1
	s_or_b32 exec_lo, exec_lo, s14
	s_and_saveexec_b32 s12, s103
; %bb.630:                              ;   in Loop: Header=BB164_3 Depth=1
	ds_store_b64 v63, v[40:41]
; %bb.631:                              ;   in Loop: Header=BB164_3 Depth=1
	s_or_b32 exec_lo, exec_lo, s12
	s_wait_dscnt 0x0
	s_barrier_signal -1
	s_barrier_wait -1
	s_and_saveexec_b32 s12, s104
	s_cbranch_execz .LBB164_633
; %bb.632:                              ;   in Loop: Header=BB164_3 Depth=1
	ds_load_b64 v[42:43], v61 offset:20800
	ds_load_b64 v[44:45], v63
	s_wait_dscnt 0x0
	v_pk_mul_f32 v[46:47], v[44:45], v[42:43] op_sel:[1,1] op_sel_hi:[0,1]
	s_delay_alu instid0(VALU_DEP_1) | instskip(SKIP_1) | instid1(VALU_DEP_2)
	v_pk_fma_f32 v[98:99], v[44:45], v[42:43], v[46:47] op_sel_hi:[1,0,1]
	v_pk_fma_f32 v[42:43], v[44:45], v[42:43], v[46:47] neg_lo:[0,0,1] neg_hi:[0,0,1]
	v_mov_b32_e32 v43, v99
	s_delay_alu instid0(VALU_DEP_1)
	v_pk_add_f32 v[40:41], v[40:41], v[42:43]
.LBB164_633:                            ;   in Loop: Header=BB164_3 Depth=1
	s_or_b32 exec_lo, exec_lo, s12
	s_barrier_signal -1
	s_barrier_wait -1
	s_and_saveexec_b32 s12, vcc_hi
; %bb.634:                              ;   in Loop: Header=BB164_3 Depth=1
	ds_store_b64 v63, v[40:41]
; %bb.635:                              ;   in Loop: Header=BB164_3 Depth=1
	s_or_b32 exec_lo, exec_lo, s12
	s_wait_dscnt 0x0
	s_barrier_signal -1
	s_barrier_wait -1
	s_and_saveexec_b32 s12, s38
	s_cbranch_execz .LBB164_637
; %bb.636:                              ;   in Loop: Header=BB164_3 Depth=1
	ds_load_b64 v[42:43], v61 offset:21312
	ds_load_b64 v[44:45], v63
	s_wait_dscnt 0x0
	v_dual_mul_f32 v46, v45, v43 :: v_dual_mul_f32 v43, v44, v43
	s_delay_alu instid0(VALU_DEP_1) | instskip(NEXT) | instid1(VALU_DEP_1)
	v_dual_fma_f32 v44, v44, v42, -v46 :: v_dual_fmac_f32 v43, v45, v42
	v_dual_add_f32 v40, v40, v44 :: v_dual_add_f32 v41, v41, v43
.LBB164_637:                            ;   in Loop: Header=BB164_3 Depth=1
	s_or_b32 exec_lo, exec_lo, s12
	s_barrier_signal -1
	s_barrier_wait -1
	s_and_saveexec_b32 s12, s39
; %bb.638:                              ;   in Loop: Header=BB164_3 Depth=1
	ds_store_b64 v63, v[40:41]
; %bb.639:                              ;   in Loop: Header=BB164_3 Depth=1
	s_or_b32 exec_lo, exec_lo, s12
	s_wait_dscnt 0x0
	s_barrier_signal -1
	s_barrier_wait -1
	s_and_saveexec_b32 s12, s40
	s_cbranch_execz .LBB164_641
; %bb.640:                              ;   in Loop: Header=BB164_3 Depth=1
	ds_load_b64 v[42:43], v61 offset:21824
	ds_load_b64 v[44:45], v63
	s_wait_dscnt 0x0
	v_dual_mul_f32 v46, v45, v43 :: v_dual_mul_f32 v47, v44, v43
	s_delay_alu instid0(VALU_DEP_1) | instskip(NEXT) | instid1(VALU_DEP_1)
	v_dual_fma_f32 v46, v44, v42, -v46 :: v_dual_fmac_f32 v47, v45, v42
	v_pk_add_f32 v[40:41], v[40:41], v[46:47]
.LBB164_641:                            ;   in Loop: Header=BB164_3 Depth=1
	s_or_b32 exec_lo, exec_lo, s12
	s_barrier_signal -1
	s_barrier_wait -1
	s_and_saveexec_b32 s12, s41
; %bb.642:                              ;   in Loop: Header=BB164_3 Depth=1
	ds_store_b64 v63, v[40:41]
; %bb.643:                              ;   in Loop: Header=BB164_3 Depth=1
	s_or_b32 exec_lo, exec_lo, s12
	s_wait_dscnt 0x0
	s_barrier_signal -1
	s_barrier_wait -1
	s_and_saveexec_b32 s12, s43
	s_cbranch_execz .LBB164_645
; %bb.644:                              ;   in Loop: Header=BB164_3 Depth=1
	ds_load_b64 v[42:43], v61 offset:22336
	ds_load_b64 v[44:45], v63
	s_wait_dscnt 0x0
	v_pk_mul_f32 v[46:47], v[44:45], v[42:43] op_sel:[1,1] op_sel_hi:[0,1]
	s_delay_alu instid0(VALU_DEP_1) | instskip(SKIP_1) | instid1(VALU_DEP_2)
	v_pk_fma_f32 v[98:99], v[44:45], v[42:43], v[46:47] op_sel_hi:[1,0,1]
	v_pk_fma_f32 v[42:43], v[44:45], v[42:43], v[46:47] neg_lo:[0,0,1] neg_hi:[0,0,1]
	v_mov_b32_e32 v43, v99
	s_delay_alu instid0(VALU_DEP_1)
	v_pk_add_f32 v[40:41], v[40:41], v[42:43]
.LBB164_645:                            ;   in Loop: Header=BB164_3 Depth=1
	s_or_b32 exec_lo, exec_lo, s12
	s_barrier_signal -1
	s_barrier_wait -1
	s_and_saveexec_b32 s12, s44
; %bb.646:                              ;   in Loop: Header=BB164_3 Depth=1
	ds_store_b64 v63, v[40:41]
; %bb.647:                              ;   in Loop: Header=BB164_3 Depth=1
	s_or_b32 exec_lo, exec_lo, s12
	s_wait_dscnt 0x0
	s_barrier_signal -1
	s_barrier_wait -1
	s_and_saveexec_b32 s12, s45
	s_cbranch_execz .LBB164_649
; %bb.648:                              ;   in Loop: Header=BB164_3 Depth=1
	ds_load_b64 v[42:43], v61 offset:22848
	ds_load_b64 v[44:45], v63
	s_wait_dscnt 0x0
	v_pk_mul_f32 v[46:47], v[44:45], v[42:43] op_sel:[1,1] op_sel_hi:[0,1]
	s_delay_alu instid0(VALU_DEP_1) | instskip(SKIP_1) | instid1(VALU_DEP_2)
	v_pk_fma_f32 v[98:99], v[44:45], v[42:43], v[46:47] op_sel_hi:[1,0,1]
	v_pk_fma_f32 v[42:43], v[44:45], v[42:43], v[46:47] neg_lo:[0,0,1] neg_hi:[0,0,1]
	v_mov_b32_e32 v43, v99
	s_delay_alu instid0(VALU_DEP_1)
	v_pk_add_f32 v[40:41], v[40:41], v[42:43]
.LBB164_649:                            ;   in Loop: Header=BB164_3 Depth=1
	;; [unrolled: 25-line block ×4, first 2 shown]
	s_or_b32 exec_lo, exec_lo, s12
	s_barrier_signal -1
	s_barrier_wait -1
	s_and_saveexec_b32 s12, s49
; %bb.658:                              ;   in Loop: Header=BB164_3 Depth=1
	ds_store_b64 v63, v[40:41]
; %bb.659:                              ;   in Loop: Header=BB164_3 Depth=1
	s_or_b32 exec_lo, exec_lo, s12
	s_wait_dscnt 0x0
	s_barrier_signal -1
	s_barrier_wait -1
	s_barrier_signal -1
	s_barrier_wait -1
	s_and_saveexec_b32 s12, s6
; %bb.660:                              ;   in Loop: Header=BB164_3 Depth=1
	v_pk_add_f32 v[40:41], v[40:41], 0 neg_lo:[1,1] neg_hi:[1,1]
	ds_store_b64 v64, v[40:41] offset:16704
; %bb.661:                              ;   in Loop: Header=BB164_3 Depth=1
	s_or_b32 exec_lo, exec_lo, s12
	s_wait_dscnt 0x0
	s_barrier_signal -1
	s_barrier_wait -1
	s_barrier_signal -1
	s_barrier_wait -1
	s_and_saveexec_b32 s12, s50
	s_cbranch_execz .LBB164_663
; %bb.662:                              ;   in Loop: Header=BB164_3 Depth=1
	ds_load_b64 v[40:41], v53 offset:16704
	s_wait_dscnt 0x0
	ds_store_b64 v57, v[40:41] offset:20736
	ds_load_b64 v[40:41], v53 offset:16712
	s_wait_dscnt 0x0
	ds_store_b64 v57, v[40:41] offset:21248
	;; [unrolled: 3-line block ×8, first 2 shown]
.LBB164_663:                            ;   in Loop: Header=BB164_3 Depth=1
	s_or_b32 exec_lo, exec_lo, s12
	s_wait_dscnt 0x0
	s_barrier_signal -1
	s_barrier_wait -1
	s_and_saveexec_b32 s12, s11
	s_cbranch_execz .LBB164_665
; %bb.664:                              ;   in Loop: Header=BB164_3 Depth=1
	ds_load_b64 v[40:41], v3 offset:20808
	v_add_nc_u32_e64 v42, 0x140, 0
	ds_store_b64 v3, v[34:35] offset:21320
	s_wait_dscnt 0x1
	ds_store_2addr_stride64_b64 v42, v[34:35], v[40:41] offset0:40 offset1:41
.LBB164_665:                            ;   in Loop: Header=BB164_3 Depth=1
	s_or_b32 exec_lo, exec_lo, s12
	v_mov_b64_e32 v[40:41], 0
	s_wait_dscnt 0x0
	s_barrier_signal -1
	s_barrier_wait -1
	s_and_saveexec_b32 s12, s3
	s_cbranch_execz .LBB164_669
; %bb.666:                              ;   in Loop: Header=BB164_3 Depth=1
	ds_load_b64 v[40:41], v48 offset:20816
	ds_load_b64 v[42:43], v49 offset:20800
	s_wait_dscnt 0x0
	v_pk_mul_f32 v[44:45], v[42:43], v[40:41] op_sel:[1,1] op_sel_hi:[0,1]
	s_delay_alu instid0(VALU_DEP_1) | instskip(SKIP_1) | instid1(VALU_DEP_2)
	v_pk_fma_f32 v[46:47], v[42:43], v[40:41], v[44:45] op_sel_hi:[1,0,1]
	v_pk_fma_f32 v[40:41], v[42:43], v[40:41], v[44:45] neg_lo:[0,0,1] neg_hi:[0,0,1]
	v_mov_b32_e32 v41, v47
	s_delay_alu instid0(VALU_DEP_1)
	v_pk_add_f32 v[40:41], v[40:41], 0 op_sel_hi:[1,0]
	s_and_saveexec_b32 s14, s15
	s_cbranch_execz .LBB164_668
; %bb.667:                              ;   in Loop: Header=BB164_3 Depth=1
	ds_load_b64 v[42:43], v57 offset:21328
	ds_load_b64 v[44:45], v3 offset:20808
	s_wait_dscnt 0x0
	v_pk_mul_f32 v[46:47], v[44:45], v[42:43] op_sel:[1,1] op_sel_hi:[0,1]
	s_delay_alu instid0(VALU_DEP_1) | instskip(SKIP_1) | instid1(VALU_DEP_2)
	v_pk_fma_f32 v[98:99], v[44:45], v[42:43], v[46:47] op_sel_hi:[1,0,1]
	v_pk_fma_f32 v[42:43], v[44:45], v[42:43], v[46:47] neg_lo:[0,0,1] neg_hi:[0,0,1]
	v_mov_b32_e32 v43, v99
	s_delay_alu instid0(VALU_DEP_1)
	v_pk_add_f32 v[40:41], v[40:41], v[42:43]
.LBB164_668:                            ;   in Loop: Header=BB164_3 Depth=1
	s_or_b32 exec_lo, exec_lo, s14
	s_delay_alu instid0(VALU_DEP_1)
	v_pk_add_f32 v[40:41], v[40:41], 0 neg_lo:[1,1] neg_hi:[1,1]
.LBB164_669:                            ;   in Loop: Header=BB164_3 Depth=1
	s_or_b32 exec_lo, exec_lo, s12
	s_and_saveexec_b32 s12, s93
; %bb.670:                              ;   in Loop: Header=BB164_3 Depth=1
	ds_store_b64 v5, v[40:41]
; %bb.671:                              ;   in Loop: Header=BB164_3 Depth=1
	s_or_b32 exec_lo, exec_lo, s12
	s_wait_dscnt 0x0
	s_barrier_signal -1
	s_barrier_wait -1
	s_and_saveexec_b32 s12, s94
	s_cbranch_execz .LBB164_673
; %bb.672:                              ;   in Loop: Header=BB164_3 Depth=1
	ds_load_b64 v[42:43], v3 offset:21848
	ds_load_b64 v[44:45], v5
	s_wait_dscnt 0x0
	v_pk_mul_f32 v[46:47], v[44:45], v[42:43] op_sel:[1,1] op_sel_hi:[0,1]
	s_delay_alu instid0(VALU_DEP_1) | instskip(SKIP_1) | instid1(VALU_DEP_2)
	v_pk_fma_f32 v[98:99], v[44:45], v[42:43], v[46:47] op_sel_hi:[1,0,1]
	v_pk_fma_f32 v[42:43], v[44:45], v[42:43], v[46:47] neg_lo:[0,0,1] neg_hi:[0,0,1]
	v_mov_b32_e32 v43, v99
	s_delay_alu instid0(VALU_DEP_1)
	v_pk_add_f32 v[40:41], v[40:41], v[42:43]
.LBB164_673:                            ;   in Loop: Header=BB164_3 Depth=1
	s_or_b32 exec_lo, exec_lo, s12
	s_barrier_signal -1
	s_barrier_wait -1
	s_and_saveexec_b32 s12, s94
; %bb.674:                              ;   in Loop: Header=BB164_3 Depth=1
	ds_store_b64 v5, v[40:41]
; %bb.675:                              ;   in Loop: Header=BB164_3 Depth=1
	s_or_b32 exec_lo, exec_lo, s12
	s_wait_dscnt 0x0
	s_barrier_signal -1
	s_barrier_wait -1
	s_barrier_signal -1
	s_barrier_wait -1
	s_and_saveexec_b32 s12, s3
; %bb.676:                              ;   in Loop: Header=BB164_3 Depth=1
	v_pk_add_f32 v[40:41], v[40:41], 0 neg_lo:[1,1] neg_hi:[1,1]
	ds_store_b64 v48, v[40:41] offset:20816
; %bb.677:                              ;   in Loop: Header=BB164_3 Depth=1
	s_or_b32 exec_lo, exec_lo, s12
	s_wait_dscnt 0x0
	s_barrier_signal -1
	s_barrier_wait -1
	s_barrier_signal -1
	s_barrier_wait -1
	s_and_saveexec_b32 s12, s95
	s_cbranch_execz .LBB164_679
; %bb.678:                              ;   in Loop: Header=BB164_3 Depth=1
	ds_load_b64 v[40:41], v58 offset:20816
	s_wait_dscnt 0x0
	ds_store_b64 v57, v[40:41] offset:21824
	ds_load_b64 v[40:41], v58 offset:20824
	s_wait_dscnt 0x0
	ds_store_b64 v57, v[40:41] offset:22336
.LBB164_679:                            ;   in Loop: Header=BB164_3 Depth=1
	s_or_b32 exec_lo, exec_lo, s12
	s_wait_dscnt 0x0
	s_barrier_signal -1
	s_barrier_wait -1
	s_and_saveexec_b32 s12, s11
	s_cbranch_execz .LBB164_681
; %bb.680:                              ;   in Loop: Header=BB164_3 Depth=1
	ds_load_b64 v[40:41], v3 offset:21848
	v_add_nc_u32_e64 v42, 0x150, 0
	ds_store_b64 v3, v[34:35] offset:22360
	s_wait_dscnt 0x1
	ds_store_2addr_stride64_b64 v42, v[34:35], v[40:41] offset0:42 offset1:43
.LBB164_681:                            ;   in Loop: Header=BB164_3 Depth=1
	s_or_b32 exec_lo, exec_lo, s12
	v_mov_b64_e32 v[40:41], 0
	s_wait_dscnt 0x0
	s_barrier_signal -1
	s_barrier_wait -1
	s_and_saveexec_b32 s14, s5
	s_cbranch_execz .LBB164_687
; %bb.682:                              ;   in Loop: Header=BB164_3 Depth=1
	ds_load_b64 v[40:41], v55 offset:20832
	ds_load_b64 v[42:43], v51 offset:20800
	s_wait_dscnt 0x0
	v_dual_mul_f32 v44, v43, v41 :: v_dual_mul_f32 v41, v42, v41
	s_delay_alu instid0(VALU_DEP_1) | instskip(NEXT) | instid1(VALU_DEP_1)
	v_dual_fma_f32 v42, v42, v40, -v44 :: v_dual_fmac_f32 v41, v43, v40
	v_dual_add_f32 v40, 0, v42 :: v_dual_add_f32 v41, 0, v41
	s_and_saveexec_b32 s12, s16
	s_cbranch_execnz .LBB164_1096
; %bb.683:                              ;   in Loop: Header=BB164_3 Depth=1
	s_or_b32 exec_lo, exec_lo, s12
	s_and_saveexec_b32 s12, s17
	s_cbranch_execnz .LBB164_1097
.LBB164_684:                            ;   in Loop: Header=BB164_3 Depth=1
	s_or_b32 exec_lo, exec_lo, s12
	s_and_saveexec_b32 s12, s3
	s_cbranch_execz .LBB164_686
.LBB164_685:                            ;   in Loop: Header=BB164_3 Depth=1
	ds_load_b64 v[42:43], v59 offset:22368
	ds_load_b64 v[44:45], v3 offset:20824
	s_wait_dscnt 0x0
	v_dual_mul_f32 v46, v45, v43 :: v_dual_mul_f32 v47, v44, v43
	s_delay_alu instid0(VALU_DEP_1) | instskip(NEXT) | instid1(VALU_DEP_1)
	v_dual_fma_f32 v46, v44, v42, -v46 :: v_dual_fmac_f32 v47, v45, v42
	v_pk_add_f32 v[40:41], v[40:41], v[46:47]
.LBB164_686:                            ;   in Loop: Header=BB164_3 Depth=1
	s_or_b32 exec_lo, exec_lo, s12
	s_delay_alu instid0(VALU_DEP_1)
	v_pk_add_f32 v[40:41], v[40:41], 0 neg_lo:[1,1] neg_hi:[1,1]
.LBB164_687:                            ;   in Loop: Header=BB164_3 Depth=1
	s_or_b32 exec_lo, exec_lo, s14
	s_and_saveexec_b32 s12, s96
; %bb.688:                              ;   in Loop: Header=BB164_3 Depth=1
	ds_store_b64 v54, v[40:41]
; %bb.689:                              ;   in Loop: Header=BB164_3 Depth=1
	s_or_b32 exec_lo, exec_lo, s12
	s_wait_dscnt 0x0
	s_barrier_signal -1
	s_barrier_wait -1
	s_and_saveexec_b32 s12, s97
	s_cbranch_execz .LBB164_691
; %bb.690:                              ;   in Loop: Header=BB164_3 Depth=1
	ds_load_b64 v[42:43], v52 offset:22880
	ds_load_b64 v[44:45], v54
	s_wait_dscnt 0x0
	v_pk_mul_f32 v[46:47], v[44:45], v[42:43] op_sel:[1,1] op_sel_hi:[0,1]
	s_delay_alu instid0(VALU_DEP_1) | instskip(SKIP_1) | instid1(VALU_DEP_2)
	v_pk_fma_f32 v[98:99], v[44:45], v[42:43], v[46:47] op_sel_hi:[1,0,1]
	v_pk_fma_f32 v[42:43], v[44:45], v[42:43], v[46:47] neg_lo:[0,0,1] neg_hi:[0,0,1]
	v_mov_b32_e32 v43, v99
	s_delay_alu instid0(VALU_DEP_1)
	v_pk_add_f32 v[40:41], v[40:41], v[42:43]
.LBB164_691:                            ;   in Loop: Header=BB164_3 Depth=1
	s_or_b32 exec_lo, exec_lo, s12
	s_barrier_signal -1
	s_barrier_wait -1
	s_and_saveexec_b32 s12, s98
; %bb.692:                              ;   in Loop: Header=BB164_3 Depth=1
	ds_store_b64 v54, v[40:41]
; %bb.693:                              ;   in Loop: Header=BB164_3 Depth=1
	s_or_b32 exec_lo, exec_lo, s12
	s_wait_dscnt 0x0
	s_barrier_signal -1
	s_barrier_wait -1
	s_and_saveexec_b32 s12, s99
	s_cbranch_execz .LBB164_695
; %bb.694:                              ;   in Loop: Header=BB164_3 Depth=1
	ds_load_b64 v[42:43], v52 offset:23392
	ds_load_b64 v[44:45], v54
	s_wait_dscnt 0x0
	v_pk_mul_f32 v[46:47], v[44:45], v[42:43] op_sel:[1,1] op_sel_hi:[0,1]
	s_delay_alu instid0(VALU_DEP_1) | instskip(SKIP_1) | instid1(VALU_DEP_2)
	v_pk_fma_f32 v[98:99], v[44:45], v[42:43], v[46:47] op_sel_hi:[1,0,1]
	v_pk_fma_f32 v[42:43], v[44:45], v[42:43], v[46:47] neg_lo:[0,0,1] neg_hi:[0,0,1]
	v_mov_b32_e32 v43, v99
	s_delay_alu instid0(VALU_DEP_1)
	v_pk_add_f32 v[40:41], v[40:41], v[42:43]
.LBB164_695:                            ;   in Loop: Header=BB164_3 Depth=1
	s_or_b32 exec_lo, exec_lo, s12
	s_barrier_signal -1
	s_barrier_wait -1
	;; [unrolled: 25-line block ×3, first 2 shown]
	s_and_saveexec_b32 s12, s101
; %bb.700:                              ;   in Loop: Header=BB164_3 Depth=1
	ds_store_b64 v54, v[40:41]
; %bb.701:                              ;   in Loop: Header=BB164_3 Depth=1
	s_or_b32 exec_lo, exec_lo, s12
	s_wait_dscnt 0x0
	s_barrier_signal -1
	s_barrier_wait -1
	s_barrier_signal -1
	s_barrier_wait -1
	s_and_saveexec_b32 s12, s5
; %bb.702:                              ;   in Loop: Header=BB164_3 Depth=1
	v_pk_add_f32 v[40:41], v[40:41], 0 neg_lo:[1,1] neg_hi:[1,1]
	ds_store_b64 v55, v[40:41] offset:20832
; %bb.703:                              ;   in Loop: Header=BB164_3 Depth=1
	s_or_b32 exec_lo, exec_lo, s12
	s_wait_dscnt 0x0
	s_barrier_signal -1
	s_barrier_wait -1
	s_barrier_signal -1
	s_barrier_wait -1
	s_and_saveexec_b32 s12, s102
	s_cbranch_execz .LBB164_705
; %bb.704:                              ;   in Loop: Header=BB164_3 Depth=1
	ds_load_b64 v[40:41], v62 offset:20832
	s_wait_dscnt 0x0
	ds_store_b64 v66, v[40:41] offset:22848
	ds_load_b64 v[40:41], v62 offset:20840
	s_wait_dscnt 0x0
	ds_store_b64 v66, v[40:41] offset:23360
	;; [unrolled: 3-line block ×4, first 2 shown]
.LBB164_705:                            ;   in Loop: Header=BB164_3 Depth=1
	s_or_b32 exec_lo, exec_lo, s12
	s_wait_dscnt 0x0
	s_barrier_signal -1
	s_barrier_wait -1
	s_and_saveexec_b32 s12, s11
	s_cbranch_execz .LBB164_707
; %bb.706:                              ;   in Loop: Header=BB164_3 Depth=1
	ds_load_b64 v[40:41], v3 offset:22888
	v_add_nc_u32_e64 v42, 0x160, 0
	ds_store_b64 v3, v[34:35] offset:23400
	s_wait_dscnt 0x1
	ds_store_2addr_stride64_b64 v42, v[34:35], v[40:41] offset0:44 offset1:45
.LBB164_707:                            ;   in Loop: Header=BB164_3 Depth=1
	s_or_b32 exec_lo, exec_lo, s12
	v_mov_b64_e32 v[40:41], 0
	s_wait_dscnt 0x0
	s_barrier_signal -1
	s_barrier_wait -1
	s_and_saveexec_b32 s12, s3
	s_cbranch_execz .LBB164_711
; %bb.708:                              ;   in Loop: Header=BB164_3 Depth=1
	ds_load_b64 v[40:41], v48 offset:22896
	ds_load_b64 v[42:43], v49 offset:22880
	s_wait_dscnt 0x0
	v_pk_mul_f32 v[44:45], v[42:43], v[40:41] op_sel:[1,1] op_sel_hi:[0,1]
	s_delay_alu instid0(VALU_DEP_1) | instskip(SKIP_1) | instid1(VALU_DEP_2)
	v_pk_fma_f32 v[46:47], v[42:43], v[40:41], v[44:45] op_sel_hi:[1,0,1]
	v_pk_fma_f32 v[40:41], v[42:43], v[40:41], v[44:45] neg_lo:[0,0,1] neg_hi:[0,0,1]
	v_mov_b32_e32 v41, v47
	s_delay_alu instid0(VALU_DEP_1)
	v_pk_add_f32 v[40:41], v[40:41], 0 op_sel_hi:[1,0]
	s_and_saveexec_b32 s14, s15
	s_cbranch_execz .LBB164_710
; %bb.709:                              ;   in Loop: Header=BB164_3 Depth=1
	ds_load_b64 v[42:43], v66 offset:23408
	ds_load_b64 v[44:45], v3 offset:22888
	s_wait_dscnt 0x0
	v_pk_mul_f32 v[46:47], v[44:45], v[42:43] op_sel:[1,1] op_sel_hi:[0,1]
	s_delay_alu instid0(VALU_DEP_1) | instskip(SKIP_1) | instid1(VALU_DEP_2)
	v_pk_fma_f32 v[98:99], v[44:45], v[42:43], v[46:47] op_sel_hi:[1,0,1]
	v_pk_fma_f32 v[42:43], v[44:45], v[42:43], v[46:47] neg_lo:[0,0,1] neg_hi:[0,0,1]
	v_mov_b32_e32 v43, v99
	s_delay_alu instid0(VALU_DEP_1)
	v_pk_add_f32 v[40:41], v[40:41], v[42:43]
.LBB164_710:                            ;   in Loop: Header=BB164_3 Depth=1
	s_or_b32 exec_lo, exec_lo, s14
	s_delay_alu instid0(VALU_DEP_1)
	v_pk_add_f32 v[40:41], v[40:41], 0 neg_lo:[1,1] neg_hi:[1,1]
.LBB164_711:                            ;   in Loop: Header=BB164_3 Depth=1
	s_or_b32 exec_lo, exec_lo, s12
	s_and_saveexec_b32 s12, s93
; %bb.712:                              ;   in Loop: Header=BB164_3 Depth=1
	ds_store_b64 v5, v[40:41]
; %bb.713:                              ;   in Loop: Header=BB164_3 Depth=1
	s_or_b32 exec_lo, exec_lo, s12
	s_wait_dscnt 0x0
	s_barrier_signal -1
	s_barrier_wait -1
	s_and_saveexec_b32 s12, s94
	s_cbranch_execz .LBB164_715
; %bb.714:                              ;   in Loop: Header=BB164_3 Depth=1
	ds_load_b64 v[42:43], v3 offset:23928
	ds_load_b64 v[44:45], v5
	s_wait_dscnt 0x0
	v_pk_mul_f32 v[46:47], v[44:45], v[42:43] op_sel:[1,1] op_sel_hi:[0,1]
	s_delay_alu instid0(VALU_DEP_1) | instskip(SKIP_1) | instid1(VALU_DEP_2)
	v_pk_fma_f32 v[98:99], v[44:45], v[42:43], v[46:47] op_sel_hi:[1,0,1]
	v_pk_fma_f32 v[42:43], v[44:45], v[42:43], v[46:47] neg_lo:[0,0,1] neg_hi:[0,0,1]
	v_mov_b32_e32 v43, v99
	s_delay_alu instid0(VALU_DEP_1)
	v_pk_add_f32 v[40:41], v[40:41], v[42:43]
.LBB164_715:                            ;   in Loop: Header=BB164_3 Depth=1
	s_or_b32 exec_lo, exec_lo, s12
	s_barrier_signal -1
	s_barrier_wait -1
	s_and_saveexec_b32 s12, s94
; %bb.716:                              ;   in Loop: Header=BB164_3 Depth=1
	ds_store_b64 v5, v[40:41]
; %bb.717:                              ;   in Loop: Header=BB164_3 Depth=1
	s_or_b32 exec_lo, exec_lo, s12
	s_wait_dscnt 0x0
	s_barrier_signal -1
	s_barrier_wait -1
	s_barrier_signal -1
	s_barrier_wait -1
	s_and_saveexec_b32 s12, s3
; %bb.718:                              ;   in Loop: Header=BB164_3 Depth=1
	v_pk_add_f32 v[40:41], v[40:41], 0 neg_lo:[1,1] neg_hi:[1,1]
	ds_store_b64 v48, v[40:41] offset:22896
; %bb.719:                              ;   in Loop: Header=BB164_3 Depth=1
	s_or_b32 exec_lo, exec_lo, s12
	s_wait_dscnt 0x0
	s_barrier_signal -1
	s_barrier_wait -1
	s_barrier_signal -1
	s_barrier_wait -1
	s_and_saveexec_b32 s12, s95
	s_cbranch_execz .LBB164_721
; %bb.720:                              ;   in Loop: Header=BB164_3 Depth=1
	ds_load_b64 v[40:41], v67 offset:22896
	s_wait_dscnt 0x0
	ds_store_b64 v66, v[40:41] offset:23904
	ds_load_b64 v[40:41], v67 offset:22904
	s_wait_dscnt 0x0
	ds_store_b64 v66, v[40:41] offset:24416
.LBB164_721:                            ;   in Loop: Header=BB164_3 Depth=1
	s_or_b32 exec_lo, exec_lo, s12
	s_wait_dscnt 0x0
	s_barrier_signal -1
	s_barrier_wait -1
	s_and_saveexec_b32 s12, s11
	s_cbranch_execz .LBB164_723
; %bb.722:                              ;   in Loop: Header=BB164_3 Depth=1
	ds_load_b64 v[40:41], v3 offset:23928
	v_add_nc_u32_e64 v42, 0x170, 0
	ds_store_b64 v3, v[34:35] offset:24440
	s_wait_dscnt 0x1
	ds_store_2addr_stride64_b64 v42, v[34:35], v[40:41] offset0:46 offset1:47
.LBB164_723:                            ;   in Loop: Header=BB164_3 Depth=1
	s_or_b32 exec_lo, exec_lo, s12
	v_mov_b64_e32 v[40:41], 0
	s_wait_dscnt 0x0
	s_barrier_signal -1
	s_barrier_wait -1
	s_and_saveexec_b32 s62, s7
	s_cbranch_execz .LBB164_751
; %bb.724:                              ;   in Loop: Header=BB164_3 Depth=1
	ds_load_b64 v[40:41], v72 offset:16768
	ds_load_b64 v[42:43], v68 offset:16640
	s_wait_dscnt 0x0
	v_dual_mul_f32 v44, v43, v41 :: v_dual_mul_f32 v41, v42, v41
	s_delay_alu instid0(VALU_DEP_1) | instskip(NEXT) | instid1(VALU_DEP_1)
	v_dual_fma_f32 v42, v42, v40, -v44 :: v_dual_fmac_f32 v41, v43, v40
	v_dual_add_f32 v40, 0, v42 :: v_dual_add_f32 v41, 0, v41
	s_mov_b32 s12, exec_lo
	v_readlane_b32 s14, v106, 27
	s_and_b32 s14, s12, s14
	s_delay_alu instid0(SALU_CYCLE_1)
	s_mov_b32 exec_lo, s14
	s_cbranch_execz .LBB164_726
; %bb.725:                              ;   in Loop: Header=BB164_3 Depth=1
	ds_load_b64 v[42:43], v73 offset:17280
	ds_load_b64 v[44:45], v68 offset:16648
	s_wait_dscnt 0x0
	v_dual_mul_f32 v46, v45, v43 :: v_dual_mul_f32 v43, v44, v43
	s_delay_alu instid0(VALU_DEP_1) | instskip(NEXT) | instid1(VALU_DEP_1)
	v_dual_fma_f32 v44, v44, v42, -v46 :: v_dual_fmac_f32 v43, v45, v42
	v_dual_add_f32 v40, v40, v44 :: v_dual_add_f32 v41, v41, v43
.LBB164_726:                            ;   in Loop: Header=BB164_3 Depth=1
	s_or_b32 exec_lo, exec_lo, s12
	s_delay_alu instid0(SALU_CYCLE_1) | instskip(SKIP_2) | instid1(SALU_CYCLE_1)
	s_mov_b32 s12, exec_lo
	v_readlane_b32 s14, v106, 28
	s_and_b32 s14, s12, s14
	s_mov_b32 exec_lo, s14
	s_cbranch_execz .LBB164_728
; %bb.727:                              ;   in Loop: Header=BB164_3 Depth=1
	ds_load_b64 v[42:43], v73 offset:17792
	ds_load_b64 v[44:45], v68 offset:16656
	s_wait_dscnt 0x0
	v_dual_mul_f32 v46, v45, v43 :: v_dual_mul_f32 v43, v44, v43
	s_delay_alu instid0(VALU_DEP_1) | instskip(NEXT) | instid1(VALU_DEP_1)
	v_dual_fma_f32 v44, v44, v42, -v46 :: v_dual_fmac_f32 v43, v45, v42
	v_dual_add_f32 v40, v40, v44 :: v_dual_add_f32 v41, v41, v43
.LBB164_728:                            ;   in Loop: Header=BB164_3 Depth=1
	s_or_b32 exec_lo, exec_lo, s12
	s_delay_alu instid0(SALU_CYCLE_1) | instskip(SKIP_2) | instid1(SALU_CYCLE_1)
	s_mov_b32 s12, exec_lo
	v_readlane_b32 s14, v106, 29
	s_and_b32 s14, s12, s14
	s_mov_b32 exec_lo, s14
	s_cbranch_execz .LBB164_730
; %bb.729:                              ;   in Loop: Header=BB164_3 Depth=1
	ds_load_b64 v[42:43], v73 offset:18304
	ds_load_b64 v[44:45], v68 offset:16664
	s_wait_dscnt 0x0
	v_dual_mul_f32 v46, v45, v43 :: v_dual_mul_f32 v43, v44, v43
	s_delay_alu instid0(VALU_DEP_1) | instskip(NEXT) | instid1(VALU_DEP_1)
	v_dual_fma_f32 v44, v44, v42, -v46 :: v_dual_fmac_f32 v43, v45, v42
	v_dual_add_f32 v40, v40, v44 :: v_dual_add_f32 v41, v41, v43
.LBB164_730:                            ;   in Loop: Header=BB164_3 Depth=1
	s_or_b32 exec_lo, exec_lo, s12
	s_delay_alu instid0(SALU_CYCLE_1) | instskip(SKIP_2) | instid1(SALU_CYCLE_1)
	s_mov_b32 s12, exec_lo
	v_readlane_b32 s14, v106, 30
	s_and_b32 s14, s12, s14
	s_mov_b32 exec_lo, s14
	s_cbranch_execz .LBB164_732
; %bb.731:                              ;   in Loop: Header=BB164_3 Depth=1
	ds_load_b64 v[42:43], v73 offset:18816
	ds_load_b64 v[44:45], v68 offset:16672
	s_wait_dscnt 0x0
	v_dual_mul_f32 v46, v45, v43 :: v_dual_mul_f32 v43, v44, v43
	s_delay_alu instid0(VALU_DEP_1) | instskip(NEXT) | instid1(VALU_DEP_1)
	v_dual_fma_f32 v44, v44, v42, -v46 :: v_dual_fmac_f32 v43, v45, v42
	v_dual_add_f32 v40, v40, v44 :: v_dual_add_f32 v41, v41, v43
.LBB164_732:                            ;   in Loop: Header=BB164_3 Depth=1
	s_or_b32 exec_lo, exec_lo, s12
	s_delay_alu instid0(SALU_CYCLE_1) | instskip(SKIP_2) | instid1(SALU_CYCLE_1)
	s_mov_b32 s12, exec_lo
	v_readlane_b32 s14, v106, 31
	s_and_b32 s14, s12, s14
	s_mov_b32 exec_lo, s14
	s_cbranch_execz .LBB164_734
; %bb.733:                              ;   in Loop: Header=BB164_3 Depth=1
	ds_load_b64 v[42:43], v73 offset:19328
	ds_load_b64 v[44:45], v68 offset:16680
	s_wait_dscnt 0x0
	v_dual_mul_f32 v46, v45, v43 :: v_dual_mul_f32 v43, v44, v43
	s_delay_alu instid0(VALU_DEP_1) | instskip(NEXT) | instid1(VALU_DEP_1)
	v_dual_fma_f32 v44, v44, v42, -v46 :: v_dual_fmac_f32 v43, v45, v42
	v_dual_add_f32 v40, v40, v44 :: v_dual_add_f32 v41, v41, v43
.LBB164_734:                            ;   in Loop: Header=BB164_3 Depth=1
	s_or_b32 exec_lo, exec_lo, s12
	s_delay_alu instid0(SALU_CYCLE_1) | instskip(SKIP_2) | instid1(SALU_CYCLE_1)
	s_mov_b32 s12, exec_lo
	v_readlane_b32 s14, v97, 0
	s_and_b32 s14, s12, s14
	s_mov_b32 exec_lo, s14
	s_cbranch_execz .LBB164_736
; %bb.735:                              ;   in Loop: Header=BB164_3 Depth=1
	ds_load_b64 v[42:43], v73 offset:19840
	ds_load_b64 v[44:45], v68 offset:16688
	s_wait_dscnt 0x0
	v_dual_mul_f32 v46, v45, v43 :: v_dual_mul_f32 v43, v44, v43
	s_delay_alu instid0(VALU_DEP_1) | instskip(NEXT) | instid1(VALU_DEP_1)
	v_dual_fma_f32 v44, v44, v42, -v46 :: v_dual_fmac_f32 v43, v45, v42
	v_dual_add_f32 v40, v40, v44 :: v_dual_add_f32 v41, v41, v43
.LBB164_736:                            ;   in Loop: Header=BB164_3 Depth=1
	s_or_b32 exec_lo, exec_lo, s12
	s_delay_alu instid0(SALU_CYCLE_1) | instskip(SKIP_2) | instid1(SALU_CYCLE_1)
	s_mov_b32 s12, exec_lo
	v_readlane_b32 s14, v97, 1
	s_and_b32 s14, s12, s14
	s_mov_b32 exec_lo, s14
	s_cbranch_execz .LBB164_738
; %bb.737:                              ;   in Loop: Header=BB164_3 Depth=1
	ds_load_b64 v[42:43], v73 offset:20352
	ds_load_b64 v[44:45], v68 offset:16696
	s_wait_dscnt 0x0
	v_dual_mul_f32 v46, v45, v43 :: v_dual_mul_f32 v43, v44, v43
	s_delay_alu instid0(VALU_DEP_1) | instskip(NEXT) | instid1(VALU_DEP_1)
	v_dual_fma_f32 v44, v44, v42, -v46 :: v_dual_fmac_f32 v43, v45, v42
	v_dual_add_f32 v40, v40, v44 :: v_dual_add_f32 v41, v41, v43
.LBB164_738:                            ;   in Loop: Header=BB164_3 Depth=1
	s_or_b32 exec_lo, exec_lo, s12
	s_delay_alu instid0(SALU_CYCLE_1) | instskip(SKIP_2) | instid1(SALU_CYCLE_1)
	s_mov_b32 s12, exec_lo
	v_readlane_b32 s14, v97, 2
	s_and_b32 s14, s12, s14
	s_mov_b32 exec_lo, s14
	s_cbranch_execz .LBB164_740
; %bb.739:                              ;   in Loop: Header=BB164_3 Depth=1
	ds_load_b64 v[42:43], v72 offset:20864
	ds_load_b64 v[44:45], v68 offset:16704
	s_wait_dscnt 0x0
	v_dual_mul_f32 v46, v45, v43 :: v_dual_mul_f32 v43, v44, v43
	s_delay_alu instid0(VALU_DEP_1) | instskip(NEXT) | instid1(VALU_DEP_1)
	v_dual_fma_f32 v44, v44, v42, -v46 :: v_dual_fmac_f32 v43, v45, v42
	v_dual_add_f32 v40, v40, v44 :: v_dual_add_f32 v41, v41, v43
.LBB164_740:                            ;   in Loop: Header=BB164_3 Depth=1
	s_or_b32 exec_lo, exec_lo, s12
	s_delay_alu instid0(SALU_CYCLE_1) | instskip(SKIP_2) | instid1(SALU_CYCLE_1)
	s_mov_b32 s12, exec_lo
	v_readlane_b32 s14, v97, 3
	s_and_b32 s14, s12, s14
	s_mov_b32 exec_lo, s14
	s_cbranch_execz .LBB164_742
; %bb.741:                              ;   in Loop: Header=BB164_3 Depth=1
	ds_load_b64 v[42:43], v73 offset:21376
	ds_load_b64 v[44:45], v68 offset:16712
	s_wait_dscnt 0x0
	v_dual_mul_f32 v46, v45, v43 :: v_dual_mul_f32 v43, v44, v43
	s_delay_alu instid0(VALU_DEP_1) | instskip(NEXT) | instid1(VALU_DEP_1)
	v_dual_fma_f32 v44, v44, v42, -v46 :: v_dual_fmac_f32 v43, v45, v42
	v_dual_add_f32 v40, v40, v44 :: v_dual_add_f32 v41, v41, v43
.LBB164_742:                            ;   in Loop: Header=BB164_3 Depth=1
	s_or_b32 exec_lo, exec_lo, s12
	s_delay_alu instid0(SALU_CYCLE_1) | instskip(SKIP_2) | instid1(SALU_CYCLE_1)
	s_mov_b32 s12, exec_lo
	v_readlane_b32 s14, v97, 4
	s_and_b32 s14, s12, s14
	s_mov_b32 exec_lo, s14
	s_cbranch_execz .LBB164_744
; %bb.743:                              ;   in Loop: Header=BB164_3 Depth=1
	ds_load_b64 v[42:43], v73 offset:21888
	ds_load_b64 v[44:45], v68 offset:16720
	s_wait_dscnt 0x0
	v_dual_mul_f32 v46, v45, v43 :: v_dual_mul_f32 v43, v44, v43
	s_delay_alu instid0(VALU_DEP_1) | instskip(NEXT) | instid1(VALU_DEP_1)
	v_dual_fma_f32 v44, v44, v42, -v46 :: v_dual_fmac_f32 v43, v45, v42
	v_dual_add_f32 v40, v40, v44 :: v_dual_add_f32 v41, v41, v43
.LBB164_744:                            ;   in Loop: Header=BB164_3 Depth=1
	s_or_b32 exec_lo, exec_lo, s12
	s_delay_alu instid0(SALU_CYCLE_1) | instskip(SKIP_2) | instid1(SALU_CYCLE_1)
	s_mov_b32 s12, exec_lo
	v_readlane_b32 s14, v97, 5
	s_and_b32 s14, s12, s14
	s_mov_b32 exec_lo, s14
	s_cbranch_execnz .LBB164_1098
; %bb.745:                              ;   in Loop: Header=BB164_3 Depth=1
	s_or_b32 exec_lo, exec_lo, s12
	s_and_saveexec_b32 s12, s6
	s_cbranch_execnz .LBB164_1099
.LBB164_746:                            ;   in Loop: Header=BB164_3 Depth=1
	s_or_b32 exec_lo, exec_lo, s12
	s_and_saveexec_b32 s12, s19
	s_cbranch_execnz .LBB164_1100
.LBB164_747:                            ;   in Loop: Header=BB164_3 Depth=1
	s_or_b32 exec_lo, exec_lo, s12
	s_and_saveexec_b32 s12, s21
	s_cbranch_execnz .LBB164_1101
.LBB164_748:                            ;   in Loop: Header=BB164_3 Depth=1
	s_or_b32 exec_lo, exec_lo, s12
	s_and_saveexec_b32 s12, s5
	s_cbranch_execz .LBB164_750
.LBB164_749:                            ;   in Loop: Header=BB164_3 Depth=1
	ds_load_b64 v[42:43], v50 offset:24448
	ds_load_b64 v[44:45], v3 offset:16760
	s_wait_dscnt 0x0
	v_dual_mul_f32 v46, v45, v43 :: v_dual_mul_f32 v47, v44, v43
	s_delay_alu instid0(VALU_DEP_1) | instskip(NEXT) | instid1(VALU_DEP_1)
	v_dual_fma_f32 v46, v44, v42, -v46 :: v_dual_fmac_f32 v47, v45, v42
	v_pk_add_f32 v[40:41], v[40:41], v[46:47]
.LBB164_750:                            ;   in Loop: Header=BB164_3 Depth=1
	s_or_b32 exec_lo, exec_lo, s12
	s_delay_alu instid0(VALU_DEP_1)
	v_pk_add_f32 v[40:41], v[40:41], 0 neg_lo:[1,1] neg_hi:[1,1]
.LBB164_751:                            ;   in Loop: Header=BB164_3 Depth=1
	s_or_b32 exec_lo, exec_lo, s62
	s_delay_alu instid0(SALU_CYCLE_1) | instskip(SKIP_2) | instid1(SALU_CYCLE_1)
	s_mov_b32 s12, exec_lo
	v_readlane_b32 s14, v106, 2
	s_and_b32 s14, s12, s14
	s_mov_b32 exec_lo, s14
; %bb.752:                              ;   in Loop: Header=BB164_3 Depth=1
	ds_store_b64 v71, v[40:41]
; %bb.753:                              ;   in Loop: Header=BB164_3 Depth=1
	s_or_b32 exec_lo, exec_lo, s12
	s_wait_dscnt 0x0
	s_barrier_signal -1
	s_barrier_wait -1
	s_mov_b32 s12, exec_lo
	v_readlane_b32 s14, v106, 3
	s_and_b32 s14, s12, s14
	s_delay_alu instid0(SALU_CYCLE_1)
	s_mov_b32 exec_lo, s14
	s_cbranch_execz .LBB164_755
; %bb.754:                              ;   in Loop: Header=BB164_3 Depth=1
	ds_load_b64 v[42:43], v70 offset:24960
	ds_load_b64 v[44:45], v71
	s_wait_dscnt 0x0
	v_pk_mul_f32 v[46:47], v[44:45], v[42:43] op_sel:[1,1] op_sel_hi:[0,1]
	s_delay_alu instid0(VALU_DEP_1) | instskip(SKIP_1) | instid1(VALU_DEP_2)
	v_pk_fma_f32 v[98:99], v[44:45], v[42:43], v[46:47] op_sel_hi:[1,0,1]
	v_pk_fma_f32 v[42:43], v[44:45], v[42:43], v[46:47] neg_lo:[0,0,1] neg_hi:[0,0,1]
	v_mov_b32_e32 v43, v99
	s_delay_alu instid0(VALU_DEP_1)
	v_pk_add_f32 v[40:41], v[40:41], v[42:43]
.LBB164_755:                            ;   in Loop: Header=BB164_3 Depth=1
	s_or_b32 exec_lo, exec_lo, s12
	s_barrier_signal -1
	s_barrier_wait -1
	s_mov_b32 s12, exec_lo
	v_readlane_b32 s14, v106, 4
	s_and_b32 s14, s12, s14
	s_delay_alu instid0(SALU_CYCLE_1)
	s_mov_b32 exec_lo, s14
; %bb.756:                              ;   in Loop: Header=BB164_3 Depth=1
	ds_store_b64 v71, v[40:41]
; %bb.757:                              ;   in Loop: Header=BB164_3 Depth=1
	s_or_b32 exec_lo, exec_lo, s12
	s_wait_dscnt 0x0
	s_barrier_signal -1
	s_barrier_wait -1
	s_mov_b32 s12, exec_lo
	v_readlane_b32 s14, v106, 5
	s_and_b32 s14, s12, s14
	s_delay_alu instid0(SALU_CYCLE_1)
	s_mov_b32 exec_lo, s14
	s_cbranch_execz .LBB164_759
; %bb.758:                              ;   in Loop: Header=BB164_3 Depth=1
	ds_load_b64 v[42:43], v70 offset:25472
	ds_load_b64 v[44:45], v71
	s_wait_dscnt 0x0
	v_pk_mul_f32 v[46:47], v[44:45], v[42:43] op_sel:[1,1] op_sel_hi:[0,1]
	s_delay_alu instid0(VALU_DEP_1) | instskip(SKIP_1) | instid1(VALU_DEP_2)
	v_pk_fma_f32 v[98:99], v[44:45], v[42:43], v[46:47] op_sel_hi:[1,0,1]
	v_pk_fma_f32 v[42:43], v[44:45], v[42:43], v[46:47] neg_lo:[0,0,1] neg_hi:[0,0,1]
	v_mov_b32_e32 v43, v99
	s_delay_alu instid0(VALU_DEP_1)
	v_pk_add_f32 v[40:41], v[40:41], v[42:43]
.LBB164_759:                            ;   in Loop: Header=BB164_3 Depth=1
	s_or_b32 exec_lo, exec_lo, s12
	s_barrier_signal -1
	s_barrier_wait -1
	s_mov_b32 s12, exec_lo
	v_readlane_b32 s14, v106, 6
	s_and_b32 s14, s12, s14
	s_delay_alu instid0(SALU_CYCLE_1)
	;; [unrolled: 33-line block ×3, first 2 shown]
	s_mov_b32 exec_lo, s14
; %bb.764:                              ;   in Loop: Header=BB164_3 Depth=1
	ds_store_b64 v71, v[40:41]
; %bb.765:                              ;   in Loop: Header=BB164_3 Depth=1
	s_or_b32 exec_lo, exec_lo, s12
	s_wait_dscnt 0x0
	s_barrier_signal -1
	s_barrier_wait -1
	s_mov_b32 s12, exec_lo
	v_readlane_b32 s14, v106, 9
	s_and_b32 s14, s12, s14
	s_delay_alu instid0(SALU_CYCLE_1)
	s_mov_b32 exec_lo, s14
	s_cbranch_execz .LBB164_767
; %bb.766:                              ;   in Loop: Header=BB164_3 Depth=1
	ds_load_b64 v[42:43], v70 offset:26496
	ds_load_b64 v[44:45], v71
	s_wait_dscnt 0x0
	v_dual_mul_f32 v46, v45, v43 :: v_dual_mul_f32 v43, v44, v43
	s_delay_alu instid0(VALU_DEP_1) | instskip(NEXT) | instid1(VALU_DEP_1)
	v_dual_fma_f32 v44, v44, v42, -v46 :: v_dual_fmac_f32 v43, v45, v42
	v_dual_add_f32 v40, v40, v44 :: v_dual_add_f32 v41, v41, v43
.LBB164_767:                            ;   in Loop: Header=BB164_3 Depth=1
	s_or_b32 exec_lo, exec_lo, s12
	s_barrier_signal -1
	s_barrier_wait -1
	s_and_saveexec_b32 s12, s59
; %bb.768:                              ;   in Loop: Header=BB164_3 Depth=1
	ds_store_b64 v71, v[40:41]
; %bb.769:                              ;   in Loop: Header=BB164_3 Depth=1
	s_or_b32 exec_lo, exec_lo, s12
	s_wait_dscnt 0x0
	s_barrier_signal -1
	s_barrier_wait -1
	s_and_saveexec_b32 s12, s60
	s_cbranch_execz .LBB164_771
; %bb.770:                              ;   in Loop: Header=BB164_3 Depth=1
	ds_load_b64 v[42:43], v70 offset:27008
	ds_load_b64 v[44:45], v71
	s_wait_dscnt 0x0
	v_dual_mul_f32 v46, v45, v43 :: v_dual_mul_f32 v47, v44, v43
	s_delay_alu instid0(VALU_DEP_1) | instskip(NEXT) | instid1(VALU_DEP_1)
	v_dual_fma_f32 v46, v44, v42, -v46 :: v_dual_fmac_f32 v47, v45, v42
	v_pk_add_f32 v[40:41], v[40:41], v[46:47]
.LBB164_771:                            ;   in Loop: Header=BB164_3 Depth=1
	s_or_b32 exec_lo, exec_lo, s12
	s_barrier_signal -1
	s_barrier_wait -1
	s_and_saveexec_b32 s12, s61
; %bb.772:                              ;   in Loop: Header=BB164_3 Depth=1
	ds_store_b64 v71, v[40:41]
; %bb.773:                              ;   in Loop: Header=BB164_3 Depth=1
	s_or_b32 exec_lo, exec_lo, s12
	s_wait_dscnt 0x0
	s_barrier_signal -1
	s_barrier_wait -1
	s_and_saveexec_b32 s12, s13
	s_cbranch_execz .LBB164_775
; %bb.774:                              ;   in Loop: Header=BB164_3 Depth=1
	ds_load_b64 v[42:43], v70 offset:27520
	ds_load_b64 v[44:45], v71
	s_wait_dscnt 0x0
	v_pk_mul_f32 v[46:47], v[44:45], v[42:43] op_sel:[1,1] op_sel_hi:[0,1]
	s_delay_alu instid0(VALU_DEP_1) | instskip(SKIP_1) | instid1(VALU_DEP_2)
	v_pk_fma_f32 v[98:99], v[44:45], v[42:43], v[46:47] op_sel_hi:[1,0,1]
	v_pk_fma_f32 v[42:43], v[44:45], v[42:43], v[46:47] neg_lo:[0,0,1] neg_hi:[0,0,1]
	v_mov_b32_e32 v43, v99
	s_delay_alu instid0(VALU_DEP_1)
	v_pk_add_f32 v[40:41], v[40:41], v[42:43]
.LBB164_775:                            ;   in Loop: Header=BB164_3 Depth=1
	s_or_b32 exec_lo, exec_lo, s12
	s_barrier_signal -1
	s_barrier_wait -1
	s_and_saveexec_b32 s12, s23
; %bb.776:                              ;   in Loop: Header=BB164_3 Depth=1
	ds_store_b64 v71, v[40:41]
; %bb.777:                              ;   in Loop: Header=BB164_3 Depth=1
	s_or_b32 exec_lo, exec_lo, s12
	s_wait_dscnt 0x0
	s_barrier_signal -1
	s_barrier_wait -1
	s_and_saveexec_b32 s12, s25
	s_cbranch_execz .LBB164_779
; %bb.778:                              ;   in Loop: Header=BB164_3 Depth=1
	ds_load_b64 v[42:43], v70 offset:28032
	ds_load_b64 v[44:45], v71
	s_wait_dscnt 0x0
	v_pk_mul_f32 v[46:47], v[44:45], v[42:43] op_sel:[1,1] op_sel_hi:[0,1]
	s_delay_alu instid0(VALU_DEP_1) | instskip(SKIP_1) | instid1(VALU_DEP_2)
	v_pk_fma_f32 v[98:99], v[44:45], v[42:43], v[46:47] op_sel_hi:[1,0,1]
	v_pk_fma_f32 v[42:43], v[44:45], v[42:43], v[46:47] neg_lo:[0,0,1] neg_hi:[0,0,1]
	v_mov_b32_e32 v43, v99
	s_delay_alu instid0(VALU_DEP_1)
	v_pk_add_f32 v[40:41], v[40:41], v[42:43]
.LBB164_779:                            ;   in Loop: Header=BB164_3 Depth=1
	;; [unrolled: 25-line block ×4, first 2 shown]
	s_or_b32 exec_lo, exec_lo, s12
	s_barrier_signal -1
	s_barrier_wait -1
	s_and_saveexec_b32 s12, s42
; %bb.788:                              ;   in Loop: Header=BB164_3 Depth=1
	ds_store_b64 v71, v[40:41]
; %bb.789:                              ;   in Loop: Header=BB164_3 Depth=1
	s_or_b32 exec_lo, exec_lo, s12
	s_wait_dscnt 0x0
	s_barrier_signal -1
	s_barrier_wait -1
	s_and_saveexec_b32 s12, s82
	s_cbranch_execz .LBB164_791
; %bb.790:                              ;   in Loop: Header=BB164_3 Depth=1
	ds_load_b64 v[42:43], v70 offset:29568
	ds_load_b64 v[44:45], v71
	s_wait_dscnt 0x0
	v_dual_mul_f32 v46, v45, v43 :: v_dual_mul_f32 v43, v44, v43
	s_delay_alu instid0(VALU_DEP_1) | instskip(NEXT) | instid1(VALU_DEP_1)
	v_dual_fma_f32 v44, v44, v42, -v46 :: v_dual_fmac_f32 v43, v45, v42
	v_dual_add_f32 v40, v40, v44 :: v_dual_add_f32 v41, v41, v43
.LBB164_791:                            ;   in Loop: Header=BB164_3 Depth=1
	s_or_b32 exec_lo, exec_lo, s12
	s_barrier_signal -1
	s_barrier_wait -1
	s_and_saveexec_b32 s12, s83
; %bb.792:                              ;   in Loop: Header=BB164_3 Depth=1
	ds_store_b64 v71, v[40:41]
; %bb.793:                              ;   in Loop: Header=BB164_3 Depth=1
	s_or_b32 exec_lo, exec_lo, s12
	s_wait_dscnt 0x0
	s_barrier_signal -1
	s_barrier_wait -1
	s_and_saveexec_b32 s12, s76
	s_cbranch_execz .LBB164_795
; %bb.794:                              ;   in Loop: Header=BB164_3 Depth=1
	ds_load_b64 v[42:43], v70 offset:30080
	ds_load_b64 v[44:45], v71
	s_wait_dscnt 0x0
	v_dual_mul_f32 v46, v45, v43 :: v_dual_mul_f32 v47, v44, v43
	s_delay_alu instid0(VALU_DEP_1) | instskip(NEXT) | instid1(VALU_DEP_1)
	v_dual_fma_f32 v46, v44, v42, -v46 :: v_dual_fmac_f32 v47, v45, v42
	v_pk_add_f32 v[40:41], v[40:41], v[46:47]
.LBB164_795:                            ;   in Loop: Header=BB164_3 Depth=1
	s_or_b32 exec_lo, exec_lo, s12
	s_barrier_signal -1
	s_barrier_wait -1
	s_and_saveexec_b32 s12, s77
; %bb.796:                              ;   in Loop: Header=BB164_3 Depth=1
	ds_store_b64 v71, v[40:41]
; %bb.797:                              ;   in Loop: Header=BB164_3 Depth=1
	s_or_b32 exec_lo, exec_lo, s12
	s_wait_dscnt 0x0
	s_barrier_signal -1
	s_barrier_wait -1
	s_and_saveexec_b32 s12, s24
	s_cbranch_execz .LBB164_799
; %bb.798:                              ;   in Loop: Header=BB164_3 Depth=1
	ds_load_b64 v[42:43], v70 offset:30592
	ds_load_b64 v[44:45], v71
	s_wait_dscnt 0x0
	v_pk_mul_f32 v[46:47], v[44:45], v[42:43] op_sel:[1,1] op_sel_hi:[0,1]
	s_delay_alu instid0(VALU_DEP_1) | instskip(SKIP_1) | instid1(VALU_DEP_2)
	v_pk_fma_f32 v[98:99], v[44:45], v[42:43], v[46:47] op_sel_hi:[1,0,1]
	v_pk_fma_f32 v[42:43], v[44:45], v[42:43], v[46:47] neg_lo:[0,0,1] neg_hi:[0,0,1]
	v_mov_b32_e32 v43, v99
	s_delay_alu instid0(VALU_DEP_1)
	v_pk_add_f32 v[40:41], v[40:41], v[42:43]
.LBB164_799:                            ;   in Loop: Header=BB164_3 Depth=1
	s_or_b32 exec_lo, exec_lo, s12
	s_barrier_signal -1
	s_barrier_wait -1
	s_and_saveexec_b32 s12, s26
; %bb.800:                              ;   in Loop: Header=BB164_3 Depth=1
	ds_store_b64 v71, v[40:41]
; %bb.801:                              ;   in Loop: Header=BB164_3 Depth=1
	s_or_b32 exec_lo, exec_lo, s12
	s_wait_dscnt 0x0
	s_barrier_signal -1
	s_barrier_wait -1
	s_and_saveexec_b32 s12, s28
	s_cbranch_execz .LBB164_803
; %bb.802:                              ;   in Loop: Header=BB164_3 Depth=1
	ds_load_b64 v[42:43], v70 offset:31104
	ds_load_b64 v[44:45], v71
	s_wait_dscnt 0x0
	v_pk_mul_f32 v[46:47], v[44:45], v[42:43] op_sel:[1,1] op_sel_hi:[0,1]
	s_delay_alu instid0(VALU_DEP_1) | instskip(SKIP_1) | instid1(VALU_DEP_2)
	v_pk_fma_f32 v[98:99], v[44:45], v[42:43], v[46:47] op_sel_hi:[1,0,1]
	v_pk_fma_f32 v[42:43], v[44:45], v[42:43], v[46:47] neg_lo:[0,0,1] neg_hi:[0,0,1]
	v_mov_b32_e32 v43, v99
	s_delay_alu instid0(VALU_DEP_1)
	v_pk_add_f32 v[40:41], v[40:41], v[42:43]
.LBB164_803:                            ;   in Loop: Header=BB164_3 Depth=1
	;; [unrolled: 25-line block ×4, first 2 shown]
	s_or_b32 exec_lo, exec_lo, s12
	s_barrier_signal -1
	s_barrier_wait -1
	s_and_saveexec_b32 s12, s63
; %bb.812:                              ;   in Loop: Header=BB164_3 Depth=1
	ds_store_b64 v71, v[40:41]
; %bb.813:                              ;   in Loop: Header=BB164_3 Depth=1
	s_or_b32 exec_lo, exec_lo, s12
	s_wait_dscnt 0x0
	s_barrier_signal -1
	s_barrier_wait -1
	s_barrier_signal -1
	s_barrier_wait -1
	s_and_saveexec_b32 s12, s7
; %bb.814:                              ;   in Loop: Header=BB164_3 Depth=1
	v_pk_add_f32 v[40:41], v[40:41], 0 neg_lo:[1,1] neg_hi:[1,1]
	ds_store_b64 v72, v[40:41] offset:16768
; %bb.815:                              ;   in Loop: Header=BB164_3 Depth=1
	s_or_b32 exec_lo, exec_lo, s12
	s_wait_dscnt 0x0
	s_barrier_signal -1
	s_barrier_wait -1
	s_barrier_signal -1
	s_barrier_wait -1
	s_and_saveexec_b32 s12, s51
	s_cbranch_execz .LBB164_817
; %bb.816:                              ;   in Loop: Header=BB164_3 Depth=1
	ds_load_b64 v[40:41], v53 offset:16768
	s_wait_dscnt 0x0
	ds_store_b64 v57, v[40:41] offset:24832
	ds_load_b64 v[40:41], v53 offset:16776
	s_wait_dscnt 0x0
	ds_store_b64 v57, v[40:41] offset:25344
	;; [unrolled: 3-line block ×16, first 2 shown]
.LBB164_817:                            ;   in Loop: Header=BB164_3 Depth=1
	s_or_b32 exec_lo, exec_lo, s12
	s_wait_dscnt 0x0
	s_barrier_signal -1
	s_barrier_wait -1
	s_and_saveexec_b32 s12, s11
	s_cbranch_execz .LBB164_819
; %bb.818:                              ;   in Loop: Header=BB164_3 Depth=1
	ds_load_b64 v[40:41], v3 offset:24968
	v_add_nc_u32_e64 v42, 0x180, 0
	ds_store_b64 v3, v[34:35] offset:25480
	s_wait_dscnt 0x1
	ds_store_2addr_stride64_b64 v42, v[34:35], v[40:41] offset0:48 offset1:49
.LBB164_819:                            ;   in Loop: Header=BB164_3 Depth=1
	s_or_b32 exec_lo, exec_lo, s12
	v_mov_b64_e32 v[40:41], 0
	s_wait_dscnt 0x0
	s_barrier_signal -1
	s_barrier_wait -1
	s_and_saveexec_b32 s12, s3
	s_cbranch_execz .LBB164_823
; %bb.820:                              ;   in Loop: Header=BB164_3 Depth=1
	ds_load_b64 v[40:41], v48 offset:24976
	ds_load_b64 v[42:43], v49 offset:24960
	s_wait_dscnt 0x0
	v_pk_mul_f32 v[44:45], v[42:43], v[40:41] op_sel:[1,1] op_sel_hi:[0,1]
	s_delay_alu instid0(VALU_DEP_1) | instskip(SKIP_1) | instid1(VALU_DEP_2)
	v_pk_fma_f32 v[46:47], v[42:43], v[40:41], v[44:45] op_sel_hi:[1,0,1]
	v_pk_fma_f32 v[40:41], v[42:43], v[40:41], v[44:45] neg_lo:[0,0,1] neg_hi:[0,0,1]
	v_mov_b32_e32 v41, v47
	s_delay_alu instid0(VALU_DEP_1)
	v_pk_add_f32 v[40:41], v[40:41], 0 op_sel_hi:[1,0]
	s_and_saveexec_b32 s14, s15
	s_cbranch_execz .LBB164_822
; %bb.821:                              ;   in Loop: Header=BB164_3 Depth=1
	ds_load_b64 v[42:43], v50 offset:25488
	ds_load_b64 v[44:45], v3 offset:24968
	s_wait_dscnt 0x0
	v_pk_mul_f32 v[46:47], v[44:45], v[42:43] op_sel:[1,1] op_sel_hi:[0,1]
	s_delay_alu instid0(VALU_DEP_1) | instskip(SKIP_1) | instid1(VALU_DEP_2)
	v_pk_fma_f32 v[98:99], v[44:45], v[42:43], v[46:47] op_sel_hi:[1,0,1]
	v_pk_fma_f32 v[42:43], v[44:45], v[42:43], v[46:47] neg_lo:[0,0,1] neg_hi:[0,0,1]
	v_mov_b32_e32 v43, v99
	s_delay_alu instid0(VALU_DEP_1)
	v_pk_add_f32 v[40:41], v[40:41], v[42:43]
.LBB164_822:                            ;   in Loop: Header=BB164_3 Depth=1
	s_or_b32 exec_lo, exec_lo, s14
	s_delay_alu instid0(VALU_DEP_1)
	v_pk_add_f32 v[40:41], v[40:41], 0 neg_lo:[1,1] neg_hi:[1,1]
.LBB164_823:                            ;   in Loop: Header=BB164_3 Depth=1
	s_or_b32 exec_lo, exec_lo, s12
	s_and_saveexec_b32 s12, s93
; %bb.824:                              ;   in Loop: Header=BB164_3 Depth=1
	ds_store_b64 v5, v[40:41]
; %bb.825:                              ;   in Loop: Header=BB164_3 Depth=1
	s_or_b32 exec_lo, exec_lo, s12
	s_wait_dscnt 0x0
	s_barrier_signal -1
	s_barrier_wait -1
	s_and_saveexec_b32 s12, s94
	s_cbranch_execz .LBB164_827
; %bb.826:                              ;   in Loop: Header=BB164_3 Depth=1
	ds_load_b64 v[42:43], v3 offset:26008
	ds_load_b64 v[44:45], v5
	s_wait_dscnt 0x0
	v_pk_mul_f32 v[46:47], v[44:45], v[42:43] op_sel:[1,1] op_sel_hi:[0,1]
	s_delay_alu instid0(VALU_DEP_1) | instskip(SKIP_1) | instid1(VALU_DEP_2)
	v_pk_fma_f32 v[98:99], v[44:45], v[42:43], v[46:47] op_sel_hi:[1,0,1]
	v_pk_fma_f32 v[42:43], v[44:45], v[42:43], v[46:47] neg_lo:[0,0,1] neg_hi:[0,0,1]
	v_mov_b32_e32 v43, v99
	s_delay_alu instid0(VALU_DEP_1)
	v_pk_add_f32 v[40:41], v[40:41], v[42:43]
.LBB164_827:                            ;   in Loop: Header=BB164_3 Depth=1
	s_or_b32 exec_lo, exec_lo, s12
	s_barrier_signal -1
	s_barrier_wait -1
	s_and_saveexec_b32 s12, s94
; %bb.828:                              ;   in Loop: Header=BB164_3 Depth=1
	ds_store_b64 v5, v[40:41]
; %bb.829:                              ;   in Loop: Header=BB164_3 Depth=1
	s_or_b32 exec_lo, exec_lo, s12
	s_wait_dscnt 0x0
	s_barrier_signal -1
	s_barrier_wait -1
	s_barrier_signal -1
	s_barrier_wait -1
	s_and_saveexec_b32 s12, s3
; %bb.830:                              ;   in Loop: Header=BB164_3 Depth=1
	v_pk_add_f32 v[40:41], v[40:41], 0 neg_lo:[1,1] neg_hi:[1,1]
	ds_store_b64 v48, v[40:41] offset:24976
; %bb.831:                              ;   in Loop: Header=BB164_3 Depth=1
	s_or_b32 exec_lo, exec_lo, s12
	s_wait_dscnt 0x0
	s_barrier_signal -1
	s_barrier_wait -1
	s_barrier_signal -1
	s_barrier_wait -1
	s_and_saveexec_b32 s12, s95
	s_cbranch_execz .LBB164_833
; %bb.832:                              ;   in Loop: Header=BB164_3 Depth=1
	ds_load_b64 v[40:41], v53 offset:24976
	s_wait_dscnt 0x0
	ds_store_b64 v50, v[40:41] offset:25984
	ds_load_b64 v[40:41], v53 offset:24984
	s_wait_dscnt 0x0
	ds_store_b64 v50, v[40:41] offset:26496
.LBB164_833:                            ;   in Loop: Header=BB164_3 Depth=1
	s_or_b32 exec_lo, exec_lo, s12
	s_wait_dscnt 0x0
	s_barrier_signal -1
	s_barrier_wait -1
	s_and_saveexec_b32 s12, s11
	s_cbranch_execz .LBB164_835
; %bb.834:                              ;   in Loop: Header=BB164_3 Depth=1
	ds_load_b64 v[40:41], v3 offset:26008
	v_add_nc_u32_e64 v42, 0x190, 0
	ds_store_b64 v3, v[34:35] offset:26520
	s_wait_dscnt 0x1
	ds_store_2addr_stride64_b64 v42, v[34:35], v[40:41] offset0:50 offset1:51
.LBB164_835:                            ;   in Loop: Header=BB164_3 Depth=1
	s_or_b32 exec_lo, exec_lo, s12
	v_mov_b64_e32 v[40:41], 0
	s_wait_dscnt 0x0
	s_barrier_signal -1
	s_barrier_wait -1
	s_and_saveexec_b32 s14, s5
	s_cbranch_execz .LBB164_841
; %bb.836:                              ;   in Loop: Header=BB164_3 Depth=1
	ds_load_b64 v[40:41], v55 offset:24992
	ds_load_b64 v[42:43], v51 offset:24960
	s_wait_dscnt 0x0
	v_dual_mul_f32 v44, v43, v41 :: v_dual_mul_f32 v41, v42, v41
	s_delay_alu instid0(VALU_DEP_1) | instskip(NEXT) | instid1(VALU_DEP_1)
	v_dual_fma_f32 v42, v42, v40, -v44 :: v_dual_fmac_f32 v41, v43, v40
	v_dual_add_f32 v40, 0, v42 :: v_dual_add_f32 v41, 0, v41
	s_and_saveexec_b32 s12, s16
	s_cbranch_execnz .LBB164_1102
; %bb.837:                              ;   in Loop: Header=BB164_3 Depth=1
	s_or_b32 exec_lo, exec_lo, s12
	s_and_saveexec_b32 s12, s17
	s_cbranch_execnz .LBB164_1103
.LBB164_838:                            ;   in Loop: Header=BB164_3 Depth=1
	s_or_b32 exec_lo, exec_lo, s12
	s_and_saveexec_b32 s12, s3
	s_cbranch_execz .LBB164_840
.LBB164_839:                            ;   in Loop: Header=BB164_3 Depth=1
	ds_load_b64 v[42:43], v57 offset:26528
	ds_load_b64 v[44:45], v3 offset:24984
	s_wait_dscnt 0x0
	v_dual_mul_f32 v46, v45, v43 :: v_dual_mul_f32 v47, v44, v43
	s_delay_alu instid0(VALU_DEP_1) | instskip(NEXT) | instid1(VALU_DEP_1)
	v_dual_fma_f32 v46, v44, v42, -v46 :: v_dual_fmac_f32 v47, v45, v42
	v_pk_add_f32 v[40:41], v[40:41], v[46:47]
.LBB164_840:                            ;   in Loop: Header=BB164_3 Depth=1
	s_or_b32 exec_lo, exec_lo, s12
	s_delay_alu instid0(VALU_DEP_1)
	v_pk_add_f32 v[40:41], v[40:41], 0 neg_lo:[1,1] neg_hi:[1,1]
.LBB164_841:                            ;   in Loop: Header=BB164_3 Depth=1
	s_or_b32 exec_lo, exec_lo, s14
	s_and_saveexec_b32 s12, s96
; %bb.842:                              ;   in Loop: Header=BB164_3 Depth=1
	ds_store_b64 v54, v[40:41]
; %bb.843:                              ;   in Loop: Header=BB164_3 Depth=1
	s_or_b32 exec_lo, exec_lo, s12
	s_wait_dscnt 0x0
	s_barrier_signal -1
	s_barrier_wait -1
	s_and_saveexec_b32 s12, s97
	s_cbranch_execz .LBB164_845
; %bb.844:                              ;   in Loop: Header=BB164_3 Depth=1
	ds_load_b64 v[42:43], v52 offset:27040
	ds_load_b64 v[44:45], v54
	s_wait_dscnt 0x0
	v_pk_mul_f32 v[46:47], v[44:45], v[42:43] op_sel:[1,1] op_sel_hi:[0,1]
	s_delay_alu instid0(VALU_DEP_1) | instskip(SKIP_1) | instid1(VALU_DEP_2)
	v_pk_fma_f32 v[98:99], v[44:45], v[42:43], v[46:47] op_sel_hi:[1,0,1]
	v_pk_fma_f32 v[42:43], v[44:45], v[42:43], v[46:47] neg_lo:[0,0,1] neg_hi:[0,0,1]
	v_mov_b32_e32 v43, v99
	s_delay_alu instid0(VALU_DEP_1)
	v_pk_add_f32 v[40:41], v[40:41], v[42:43]
.LBB164_845:                            ;   in Loop: Header=BB164_3 Depth=1
	s_or_b32 exec_lo, exec_lo, s12
	s_barrier_signal -1
	s_barrier_wait -1
	s_and_saveexec_b32 s12, s98
; %bb.846:                              ;   in Loop: Header=BB164_3 Depth=1
	ds_store_b64 v54, v[40:41]
; %bb.847:                              ;   in Loop: Header=BB164_3 Depth=1
	s_or_b32 exec_lo, exec_lo, s12
	s_wait_dscnt 0x0
	s_barrier_signal -1
	s_barrier_wait -1
	s_and_saveexec_b32 s12, s99
	s_cbranch_execz .LBB164_849
; %bb.848:                              ;   in Loop: Header=BB164_3 Depth=1
	ds_load_b64 v[42:43], v52 offset:27552
	ds_load_b64 v[44:45], v54
	s_wait_dscnt 0x0
	v_pk_mul_f32 v[46:47], v[44:45], v[42:43] op_sel:[1,1] op_sel_hi:[0,1]
	s_delay_alu instid0(VALU_DEP_1) | instskip(SKIP_1) | instid1(VALU_DEP_2)
	v_pk_fma_f32 v[98:99], v[44:45], v[42:43], v[46:47] op_sel_hi:[1,0,1]
	v_pk_fma_f32 v[42:43], v[44:45], v[42:43], v[46:47] neg_lo:[0,0,1] neg_hi:[0,0,1]
	v_mov_b32_e32 v43, v99
	s_delay_alu instid0(VALU_DEP_1)
	v_pk_add_f32 v[40:41], v[40:41], v[42:43]
.LBB164_849:                            ;   in Loop: Header=BB164_3 Depth=1
	s_or_b32 exec_lo, exec_lo, s12
	s_barrier_signal -1
	s_barrier_wait -1
	;; [unrolled: 25-line block ×3, first 2 shown]
	s_and_saveexec_b32 s12, s101
; %bb.854:                              ;   in Loop: Header=BB164_3 Depth=1
	ds_store_b64 v54, v[40:41]
; %bb.855:                              ;   in Loop: Header=BB164_3 Depth=1
	s_or_b32 exec_lo, exec_lo, s12
	s_wait_dscnt 0x0
	s_barrier_signal -1
	s_barrier_wait -1
	s_barrier_signal -1
	s_barrier_wait -1
	s_and_saveexec_b32 s12, s5
; %bb.856:                              ;   in Loop: Header=BB164_3 Depth=1
	v_pk_add_f32 v[40:41], v[40:41], 0 neg_lo:[1,1] neg_hi:[1,1]
	ds_store_b64 v55, v[40:41] offset:24992
; %bb.857:                              ;   in Loop: Header=BB164_3 Depth=1
	s_or_b32 exec_lo, exec_lo, s12
	s_wait_dscnt 0x0
	s_barrier_signal -1
	s_barrier_wait -1
	s_barrier_signal -1
	s_barrier_wait -1
	s_and_saveexec_b32 s12, s102
	s_cbranch_execz .LBB164_859
; %bb.858:                              ;   in Loop: Header=BB164_3 Depth=1
	ds_load_b64 v[40:41], v58 offset:24992
	s_wait_dscnt 0x0
	ds_store_b64 v59, v[40:41] offset:27008
	ds_load_b64 v[40:41], v58 offset:25000
	s_wait_dscnt 0x0
	ds_store_b64 v59, v[40:41] offset:27520
	;; [unrolled: 3-line block ×4, first 2 shown]
.LBB164_859:                            ;   in Loop: Header=BB164_3 Depth=1
	s_or_b32 exec_lo, exec_lo, s12
	s_wait_dscnt 0x0
	s_barrier_signal -1
	s_barrier_wait -1
	s_and_saveexec_b32 s12, s11
	s_cbranch_execz .LBB164_861
; %bb.860:                              ;   in Loop: Header=BB164_3 Depth=1
	ds_load_b64 v[40:41], v3 offset:27048
	v_add_nc_u32_e64 v42, 0x1a0, 0
	ds_store_b64 v3, v[34:35] offset:27560
	s_wait_dscnt 0x1
	ds_store_2addr_stride64_b64 v42, v[34:35], v[40:41] offset0:52 offset1:53
.LBB164_861:                            ;   in Loop: Header=BB164_3 Depth=1
	s_or_b32 exec_lo, exec_lo, s12
	v_mov_b64_e32 v[40:41], 0
	s_wait_dscnt 0x0
	s_barrier_signal -1
	s_barrier_wait -1
	s_and_saveexec_b32 s12, s3
	s_cbranch_execz .LBB164_865
; %bb.862:                              ;   in Loop: Header=BB164_3 Depth=1
	ds_load_b64 v[40:41], v48 offset:27056
	ds_load_b64 v[42:43], v49 offset:27040
	s_wait_dscnt 0x0
	v_pk_mul_f32 v[44:45], v[42:43], v[40:41] op_sel:[1,1] op_sel_hi:[0,1]
	s_delay_alu instid0(VALU_DEP_1) | instskip(SKIP_1) | instid1(VALU_DEP_2)
	v_pk_fma_f32 v[46:47], v[42:43], v[40:41], v[44:45] op_sel_hi:[1,0,1]
	v_pk_fma_f32 v[40:41], v[42:43], v[40:41], v[44:45] neg_lo:[0,0,1] neg_hi:[0,0,1]
	v_mov_b32_e32 v41, v47
	s_delay_alu instid0(VALU_DEP_1)
	v_pk_add_f32 v[40:41], v[40:41], 0 op_sel_hi:[1,0]
	s_and_saveexec_b32 s14, s15
	s_cbranch_execz .LBB164_864
; %bb.863:                              ;   in Loop: Header=BB164_3 Depth=1
	ds_load_b64 v[42:43], v59 offset:27568
	ds_load_b64 v[44:45], v3 offset:27048
	s_wait_dscnt 0x0
	v_pk_mul_f32 v[46:47], v[44:45], v[42:43] op_sel:[1,1] op_sel_hi:[0,1]
	s_delay_alu instid0(VALU_DEP_1) | instskip(SKIP_1) | instid1(VALU_DEP_2)
	v_pk_fma_f32 v[98:99], v[44:45], v[42:43], v[46:47] op_sel_hi:[1,0,1]
	v_pk_fma_f32 v[42:43], v[44:45], v[42:43], v[46:47] neg_lo:[0,0,1] neg_hi:[0,0,1]
	v_mov_b32_e32 v43, v99
	s_delay_alu instid0(VALU_DEP_1)
	v_pk_add_f32 v[40:41], v[40:41], v[42:43]
.LBB164_864:                            ;   in Loop: Header=BB164_3 Depth=1
	s_or_b32 exec_lo, exec_lo, s14
	s_delay_alu instid0(VALU_DEP_1)
	v_pk_add_f32 v[40:41], v[40:41], 0 neg_lo:[1,1] neg_hi:[1,1]
.LBB164_865:                            ;   in Loop: Header=BB164_3 Depth=1
	s_or_b32 exec_lo, exec_lo, s12
	s_and_saveexec_b32 s12, s93
; %bb.866:                              ;   in Loop: Header=BB164_3 Depth=1
	ds_store_b64 v5, v[40:41]
; %bb.867:                              ;   in Loop: Header=BB164_3 Depth=1
	s_or_b32 exec_lo, exec_lo, s12
	s_wait_dscnt 0x0
	s_barrier_signal -1
	s_barrier_wait -1
	s_and_saveexec_b32 s12, s94
	s_cbranch_execz .LBB164_869
; %bb.868:                              ;   in Loop: Header=BB164_3 Depth=1
	ds_load_b64 v[42:43], v3 offset:28088
	ds_load_b64 v[44:45], v5
	s_wait_dscnt 0x0
	v_pk_mul_f32 v[46:47], v[44:45], v[42:43] op_sel:[1,1] op_sel_hi:[0,1]
	s_delay_alu instid0(VALU_DEP_1) | instskip(SKIP_1) | instid1(VALU_DEP_2)
	v_pk_fma_f32 v[98:99], v[44:45], v[42:43], v[46:47] op_sel_hi:[1,0,1]
	v_pk_fma_f32 v[42:43], v[44:45], v[42:43], v[46:47] neg_lo:[0,0,1] neg_hi:[0,0,1]
	v_mov_b32_e32 v43, v99
	s_delay_alu instid0(VALU_DEP_1)
	v_pk_add_f32 v[40:41], v[40:41], v[42:43]
.LBB164_869:                            ;   in Loop: Header=BB164_3 Depth=1
	s_or_b32 exec_lo, exec_lo, s12
	s_barrier_signal -1
	s_barrier_wait -1
	s_and_saveexec_b32 s12, s94
; %bb.870:                              ;   in Loop: Header=BB164_3 Depth=1
	ds_store_b64 v5, v[40:41]
; %bb.871:                              ;   in Loop: Header=BB164_3 Depth=1
	s_or_b32 exec_lo, exec_lo, s12
	s_wait_dscnt 0x0
	s_barrier_signal -1
	s_barrier_wait -1
	s_barrier_signal -1
	s_barrier_wait -1
	s_and_saveexec_b32 s12, s3
; %bb.872:                              ;   in Loop: Header=BB164_3 Depth=1
	v_pk_add_f32 v[40:41], v[40:41], 0 neg_lo:[1,1] neg_hi:[1,1]
	ds_store_b64 v48, v[40:41] offset:27056
; %bb.873:                              ;   in Loop: Header=BB164_3 Depth=1
	s_or_b32 exec_lo, exec_lo, s12
	s_wait_dscnt 0x0
	s_barrier_signal -1
	s_barrier_wait -1
	s_barrier_signal -1
	s_barrier_wait -1
	s_and_saveexec_b32 s12, s95
	s_cbranch_execz .LBB164_875
; %bb.874:                              ;   in Loop: Header=BB164_3 Depth=1
	ds_load_b64 v[40:41], v62 offset:27056
	s_wait_dscnt 0x0
	ds_store_b64 v59, v[40:41] offset:28064
	ds_load_b64 v[40:41], v62 offset:27064
	s_wait_dscnt 0x0
	ds_store_b64 v59, v[40:41] offset:28576
.LBB164_875:                            ;   in Loop: Header=BB164_3 Depth=1
	s_or_b32 exec_lo, exec_lo, s12
	s_wait_dscnt 0x0
	s_barrier_signal -1
	s_barrier_wait -1
	s_and_saveexec_b32 s12, s11
	s_cbranch_execz .LBB164_877
; %bb.876:                              ;   in Loop: Header=BB164_3 Depth=1
	ds_load_b64 v[40:41], v3 offset:28088
	v_add_nc_u32_e64 v42, 0x1b0, 0
	ds_store_b64 v3, v[34:35] offset:28600
	s_wait_dscnt 0x1
	ds_store_2addr_stride64_b64 v42, v[34:35], v[40:41] offset0:54 offset1:55
.LBB164_877:                            ;   in Loop: Header=BB164_3 Depth=1
	s_or_b32 exec_lo, exec_lo, s12
	v_mov_b64_e32 v[40:41], 0
	s_wait_dscnt 0x0
	s_barrier_signal -1
	s_barrier_wait -1
	s_and_saveexec_b32 s14, s6
	s_cbranch_execz .LBB164_887
; %bb.878:                              ;   in Loop: Header=BB164_3 Depth=1
	ds_load_b64 v[40:41], v64 offset:25024
	ds_load_b64 v[42:43], v60 offset:24960
	s_wait_dscnt 0x0
	v_dual_mul_f32 v44, v43, v41 :: v_dual_mul_f32 v41, v42, v41
	s_delay_alu instid0(VALU_DEP_1) | instskip(NEXT) | instid1(VALU_DEP_1)
	v_dual_fma_f32 v42, v42, v40, -v44 :: v_dual_fmac_f32 v41, v43, v40
	v_dual_add_f32 v40, 0, v42 :: v_dual_add_f32 v41, 0, v41
	s_and_saveexec_b32 s12, s18
	s_cbranch_execnz .LBB164_1104
; %bb.879:                              ;   in Loop: Header=BB164_3 Depth=1
	s_or_b32 exec_lo, exec_lo, s12
	s_and_saveexec_b32 s12, s19
	s_cbranch_execnz .LBB164_1105
.LBB164_880:                            ;   in Loop: Header=BB164_3 Depth=1
	s_or_b32 exec_lo, exec_lo, s12
	s_and_saveexec_b32 s12, s20
	s_cbranch_execnz .LBB164_1106
.LBB164_881:                            ;   in Loop: Header=BB164_3 Depth=1
	s_or_b32 exec_lo, exec_lo, s12
	s_and_saveexec_b32 s12, s21
	s_cbranch_execnz .LBB164_1107
.LBB164_882:                            ;   in Loop: Header=BB164_3 Depth=1
	s_or_b32 exec_lo, exec_lo, s12
	s_and_saveexec_b32 s12, s22
	s_cbranch_execnz .LBB164_1108
.LBB164_883:                            ;   in Loop: Header=BB164_3 Depth=1
	s_or_b32 exec_lo, exec_lo, s12
	s_and_saveexec_b32 s12, s5
	s_cbranch_execnz .LBB164_1109
.LBB164_884:                            ;   in Loop: Header=BB164_3 Depth=1
	s_or_b32 exec_lo, exec_lo, s12
	s_and_saveexec_b32 s12, s17
	s_cbranch_execz .LBB164_886
.LBB164_885:                            ;   in Loop: Header=BB164_3 Depth=1
	ds_load_b64 v[42:43], v50 offset:28608
	ds_load_b64 v[44:45], v3 offset:25016
	s_wait_dscnt 0x0
	v_pk_mul_f32 v[46:47], v[44:45], v[42:43] op_sel:[1,1] op_sel_hi:[0,1]
	s_delay_alu instid0(VALU_DEP_1) | instskip(SKIP_1) | instid1(VALU_DEP_2)
	v_pk_fma_f32 v[98:99], v[44:45], v[42:43], v[46:47] op_sel_hi:[1,0,1]
	v_pk_fma_f32 v[42:43], v[44:45], v[42:43], v[46:47] neg_lo:[0,0,1] neg_hi:[0,0,1]
	v_mov_b32_e32 v43, v99
	s_delay_alu instid0(VALU_DEP_1)
	v_pk_add_f32 v[40:41], v[40:41], v[42:43]
.LBB164_886:                            ;   in Loop: Header=BB164_3 Depth=1
	s_or_b32 exec_lo, exec_lo, s12
	s_delay_alu instid0(VALU_DEP_1)
	v_pk_add_f32 v[40:41], v[40:41], 0 neg_lo:[1,1] neg_hi:[1,1]
.LBB164_887:                            ;   in Loop: Header=BB164_3 Depth=1
	s_or_b32 exec_lo, exec_lo, s14
	s_and_saveexec_b32 s12, s103
; %bb.888:                              ;   in Loop: Header=BB164_3 Depth=1
	ds_store_b64 v63, v[40:41]
; %bb.889:                              ;   in Loop: Header=BB164_3 Depth=1
	s_or_b32 exec_lo, exec_lo, s12
	s_wait_dscnt 0x0
	s_barrier_signal -1
	s_barrier_wait -1
	s_and_saveexec_b32 s12, s104
	s_cbranch_execz .LBB164_891
; %bb.890:                              ;   in Loop: Header=BB164_3 Depth=1
	ds_load_b64 v[42:43], v61 offset:29120
	ds_load_b64 v[44:45], v63
	s_wait_dscnt 0x0
	v_pk_mul_f32 v[46:47], v[44:45], v[42:43] op_sel:[1,1] op_sel_hi:[0,1]
	s_delay_alu instid0(VALU_DEP_1) | instskip(SKIP_1) | instid1(VALU_DEP_2)
	v_pk_fma_f32 v[98:99], v[44:45], v[42:43], v[46:47] op_sel_hi:[1,0,1]
	v_pk_fma_f32 v[42:43], v[44:45], v[42:43], v[46:47] neg_lo:[0,0,1] neg_hi:[0,0,1]
	v_mov_b32_e32 v43, v99
	s_delay_alu instid0(VALU_DEP_1)
	v_pk_add_f32 v[40:41], v[40:41], v[42:43]
.LBB164_891:                            ;   in Loop: Header=BB164_3 Depth=1
	s_or_b32 exec_lo, exec_lo, s12
	s_barrier_signal -1
	s_barrier_wait -1
	s_and_saveexec_b32 s12, vcc_hi
; %bb.892:                              ;   in Loop: Header=BB164_3 Depth=1
	ds_store_b64 v63, v[40:41]
; %bb.893:                              ;   in Loop: Header=BB164_3 Depth=1
	s_or_b32 exec_lo, exec_lo, s12
	s_wait_dscnt 0x0
	s_barrier_signal -1
	s_barrier_wait -1
	s_and_saveexec_b32 s12, s38
	s_cbranch_execz .LBB164_895
; %bb.894:                              ;   in Loop: Header=BB164_3 Depth=1
	ds_load_b64 v[42:43], v61 offset:29632
	ds_load_b64 v[44:45], v63
	s_wait_dscnt 0x0
	v_dual_mul_f32 v46, v45, v43 :: v_dual_mul_f32 v43, v44, v43
	s_delay_alu instid0(VALU_DEP_1) | instskip(NEXT) | instid1(VALU_DEP_1)
	v_dual_fma_f32 v44, v44, v42, -v46 :: v_dual_fmac_f32 v43, v45, v42
	v_dual_add_f32 v40, v40, v44 :: v_dual_add_f32 v41, v41, v43
.LBB164_895:                            ;   in Loop: Header=BB164_3 Depth=1
	s_or_b32 exec_lo, exec_lo, s12
	s_barrier_signal -1
	s_barrier_wait -1
	s_and_saveexec_b32 s12, s39
; %bb.896:                              ;   in Loop: Header=BB164_3 Depth=1
	ds_store_b64 v63, v[40:41]
; %bb.897:                              ;   in Loop: Header=BB164_3 Depth=1
	s_or_b32 exec_lo, exec_lo, s12
	s_wait_dscnt 0x0
	s_barrier_signal -1
	s_barrier_wait -1
	s_and_saveexec_b32 s12, s40
	s_cbranch_execz .LBB164_899
; %bb.898:                              ;   in Loop: Header=BB164_3 Depth=1
	ds_load_b64 v[42:43], v61 offset:30144
	ds_load_b64 v[44:45], v63
	s_wait_dscnt 0x0
	v_dual_mul_f32 v46, v45, v43 :: v_dual_mul_f32 v47, v44, v43
	s_delay_alu instid0(VALU_DEP_1) | instskip(NEXT) | instid1(VALU_DEP_1)
	v_dual_fma_f32 v46, v44, v42, -v46 :: v_dual_fmac_f32 v47, v45, v42
	v_pk_add_f32 v[40:41], v[40:41], v[46:47]
.LBB164_899:                            ;   in Loop: Header=BB164_3 Depth=1
	s_or_b32 exec_lo, exec_lo, s12
	s_barrier_signal -1
	s_barrier_wait -1
	s_and_saveexec_b32 s12, s41
; %bb.900:                              ;   in Loop: Header=BB164_3 Depth=1
	ds_store_b64 v63, v[40:41]
; %bb.901:                              ;   in Loop: Header=BB164_3 Depth=1
	s_or_b32 exec_lo, exec_lo, s12
	s_wait_dscnt 0x0
	s_barrier_signal -1
	s_barrier_wait -1
	s_and_saveexec_b32 s12, s43
	s_cbranch_execz .LBB164_903
; %bb.902:                              ;   in Loop: Header=BB164_3 Depth=1
	ds_load_b64 v[42:43], v61 offset:30656
	ds_load_b64 v[44:45], v63
	s_wait_dscnt 0x0
	v_pk_mul_f32 v[46:47], v[44:45], v[42:43] op_sel:[1,1] op_sel_hi:[0,1]
	s_delay_alu instid0(VALU_DEP_1) | instskip(SKIP_1) | instid1(VALU_DEP_2)
	v_pk_fma_f32 v[98:99], v[44:45], v[42:43], v[46:47] op_sel_hi:[1,0,1]
	v_pk_fma_f32 v[42:43], v[44:45], v[42:43], v[46:47] neg_lo:[0,0,1] neg_hi:[0,0,1]
	v_mov_b32_e32 v43, v99
	s_delay_alu instid0(VALU_DEP_1)
	v_pk_add_f32 v[40:41], v[40:41], v[42:43]
.LBB164_903:                            ;   in Loop: Header=BB164_3 Depth=1
	s_or_b32 exec_lo, exec_lo, s12
	s_barrier_signal -1
	s_barrier_wait -1
	s_and_saveexec_b32 s12, s44
; %bb.904:                              ;   in Loop: Header=BB164_3 Depth=1
	ds_store_b64 v63, v[40:41]
; %bb.905:                              ;   in Loop: Header=BB164_3 Depth=1
	s_or_b32 exec_lo, exec_lo, s12
	s_wait_dscnt 0x0
	s_barrier_signal -1
	s_barrier_wait -1
	s_and_saveexec_b32 s12, s45
	s_cbranch_execz .LBB164_907
; %bb.906:                              ;   in Loop: Header=BB164_3 Depth=1
	ds_load_b64 v[42:43], v61 offset:31168
	ds_load_b64 v[44:45], v63
	s_wait_dscnt 0x0
	v_pk_mul_f32 v[46:47], v[44:45], v[42:43] op_sel:[1,1] op_sel_hi:[0,1]
	s_delay_alu instid0(VALU_DEP_1) | instskip(SKIP_1) | instid1(VALU_DEP_2)
	v_pk_fma_f32 v[98:99], v[44:45], v[42:43], v[46:47] op_sel_hi:[1,0,1]
	v_pk_fma_f32 v[42:43], v[44:45], v[42:43], v[46:47] neg_lo:[0,0,1] neg_hi:[0,0,1]
	v_mov_b32_e32 v43, v99
	s_delay_alu instid0(VALU_DEP_1)
	v_pk_add_f32 v[40:41], v[40:41], v[42:43]
.LBB164_907:                            ;   in Loop: Header=BB164_3 Depth=1
	;; [unrolled: 25-line block ×4, first 2 shown]
	s_or_b32 exec_lo, exec_lo, s12
	s_barrier_signal -1
	s_barrier_wait -1
	s_and_saveexec_b32 s12, s49
; %bb.916:                              ;   in Loop: Header=BB164_3 Depth=1
	ds_store_b64 v63, v[40:41]
; %bb.917:                              ;   in Loop: Header=BB164_3 Depth=1
	s_or_b32 exec_lo, exec_lo, s12
	s_wait_dscnt 0x0
	s_barrier_signal -1
	s_barrier_wait -1
	s_barrier_signal -1
	s_barrier_wait -1
	s_and_saveexec_b32 s12, s6
; %bb.918:                              ;   in Loop: Header=BB164_3 Depth=1
	v_pk_add_f32 v[40:41], v[40:41], 0 neg_lo:[1,1] neg_hi:[1,1]
	ds_store_b64 v64, v[40:41] offset:25024
; %bb.919:                              ;   in Loop: Header=BB164_3 Depth=1
	s_or_b32 exec_lo, exec_lo, s12
	s_wait_dscnt 0x0
	s_barrier_signal -1
	s_barrier_wait -1
	s_barrier_signal -1
	s_barrier_wait -1
	s_and_saveexec_b32 s12, s50
	s_cbranch_execz .LBB164_921
; %bb.920:                              ;   in Loop: Header=BB164_3 Depth=1
	ds_load_b64 v[40:41], v53 offset:25024
	s_wait_dscnt 0x0
	ds_store_b64 v57, v[40:41] offset:29056
	ds_load_b64 v[40:41], v53 offset:25032
	s_wait_dscnt 0x0
	ds_store_b64 v57, v[40:41] offset:29568
	;; [unrolled: 3-line block ×8, first 2 shown]
.LBB164_921:                            ;   in Loop: Header=BB164_3 Depth=1
	s_or_b32 exec_lo, exec_lo, s12
	s_wait_dscnt 0x0
	s_barrier_signal -1
	s_barrier_wait -1
	s_and_saveexec_b32 s12, s11
	s_cbranch_execz .LBB164_923
; %bb.922:                              ;   in Loop: Header=BB164_3 Depth=1
	ds_load_b64 v[40:41], v3 offset:29128
	v_add_nc_u32_e64 v42, 0x1c0, 0
	ds_store_b64 v3, v[34:35] offset:29640
	s_wait_dscnt 0x1
	ds_store_2addr_stride64_b64 v42, v[34:35], v[40:41] offset0:56 offset1:57
.LBB164_923:                            ;   in Loop: Header=BB164_3 Depth=1
	s_or_b32 exec_lo, exec_lo, s12
	v_mov_b64_e32 v[40:41], 0
	s_wait_dscnt 0x0
	s_barrier_signal -1
	s_barrier_wait -1
	s_and_saveexec_b32 s12, s3
	s_cbranch_execz .LBB164_927
; %bb.924:                              ;   in Loop: Header=BB164_3 Depth=1
	ds_load_b64 v[40:41], v48 offset:29136
	ds_load_b64 v[42:43], v49 offset:29120
	s_wait_dscnt 0x0
	v_pk_mul_f32 v[44:45], v[42:43], v[40:41] op_sel:[1,1] op_sel_hi:[0,1]
	s_delay_alu instid0(VALU_DEP_1) | instskip(SKIP_1) | instid1(VALU_DEP_2)
	v_pk_fma_f32 v[46:47], v[42:43], v[40:41], v[44:45] op_sel_hi:[1,0,1]
	v_pk_fma_f32 v[40:41], v[42:43], v[40:41], v[44:45] neg_lo:[0,0,1] neg_hi:[0,0,1]
	v_mov_b32_e32 v41, v47
	s_delay_alu instid0(VALU_DEP_1)
	v_pk_add_f32 v[40:41], v[40:41], 0 op_sel_hi:[1,0]
	s_and_saveexec_b32 s14, s15
	s_cbranch_execz .LBB164_926
; %bb.925:                              ;   in Loop: Header=BB164_3 Depth=1
	ds_load_b64 v[42:43], v57 offset:29648
	ds_load_b64 v[44:45], v3 offset:29128
	s_wait_dscnt 0x0
	v_pk_mul_f32 v[46:47], v[44:45], v[42:43] op_sel:[1,1] op_sel_hi:[0,1]
	s_delay_alu instid0(VALU_DEP_1) | instskip(SKIP_1) | instid1(VALU_DEP_2)
	v_pk_fma_f32 v[98:99], v[44:45], v[42:43], v[46:47] op_sel_hi:[1,0,1]
	v_pk_fma_f32 v[42:43], v[44:45], v[42:43], v[46:47] neg_lo:[0,0,1] neg_hi:[0,0,1]
	v_mov_b32_e32 v43, v99
	s_delay_alu instid0(VALU_DEP_1)
	v_pk_add_f32 v[40:41], v[40:41], v[42:43]
.LBB164_926:                            ;   in Loop: Header=BB164_3 Depth=1
	s_or_b32 exec_lo, exec_lo, s14
	s_delay_alu instid0(VALU_DEP_1)
	v_pk_add_f32 v[40:41], v[40:41], 0 neg_lo:[1,1] neg_hi:[1,1]
.LBB164_927:                            ;   in Loop: Header=BB164_3 Depth=1
	s_or_b32 exec_lo, exec_lo, s12
	s_and_saveexec_b32 s12, s93
; %bb.928:                              ;   in Loop: Header=BB164_3 Depth=1
	ds_store_b64 v5, v[40:41]
; %bb.929:                              ;   in Loop: Header=BB164_3 Depth=1
	s_or_b32 exec_lo, exec_lo, s12
	s_wait_dscnt 0x0
	s_barrier_signal -1
	s_barrier_wait -1
	s_and_saveexec_b32 s12, s94
	s_cbranch_execz .LBB164_931
; %bb.930:                              ;   in Loop: Header=BB164_3 Depth=1
	ds_load_b64 v[42:43], v3 offset:30168
	ds_load_b64 v[44:45], v5
	s_wait_dscnt 0x0
	v_pk_mul_f32 v[46:47], v[44:45], v[42:43] op_sel:[1,1] op_sel_hi:[0,1]
	s_delay_alu instid0(VALU_DEP_1) | instskip(SKIP_1) | instid1(VALU_DEP_2)
	v_pk_fma_f32 v[98:99], v[44:45], v[42:43], v[46:47] op_sel_hi:[1,0,1]
	v_pk_fma_f32 v[42:43], v[44:45], v[42:43], v[46:47] neg_lo:[0,0,1] neg_hi:[0,0,1]
	v_mov_b32_e32 v43, v99
	s_delay_alu instid0(VALU_DEP_1)
	v_pk_add_f32 v[40:41], v[40:41], v[42:43]
.LBB164_931:                            ;   in Loop: Header=BB164_3 Depth=1
	s_or_b32 exec_lo, exec_lo, s12
	s_barrier_signal -1
	s_barrier_wait -1
	s_and_saveexec_b32 s12, s94
; %bb.932:                              ;   in Loop: Header=BB164_3 Depth=1
	ds_store_b64 v5, v[40:41]
; %bb.933:                              ;   in Loop: Header=BB164_3 Depth=1
	s_or_b32 exec_lo, exec_lo, s12
	s_wait_dscnt 0x0
	s_barrier_signal -1
	s_barrier_wait -1
	s_barrier_signal -1
	s_barrier_wait -1
	s_and_saveexec_b32 s12, s3
; %bb.934:                              ;   in Loop: Header=BB164_3 Depth=1
	v_pk_add_f32 v[40:41], v[40:41], 0 neg_lo:[1,1] neg_hi:[1,1]
	ds_store_b64 v48, v[40:41] offset:29136
; %bb.935:                              ;   in Loop: Header=BB164_3 Depth=1
	s_or_b32 exec_lo, exec_lo, s12
	s_wait_dscnt 0x0
	s_barrier_signal -1
	s_barrier_wait -1
	s_barrier_signal -1
	s_barrier_wait -1
	s_and_saveexec_b32 s12, s95
	s_cbranch_execz .LBB164_937
; %bb.936:                              ;   in Loop: Header=BB164_3 Depth=1
	ds_load_b64 v[40:41], v58 offset:29136
	s_wait_dscnt 0x0
	ds_store_b64 v57, v[40:41] offset:30144
	ds_load_b64 v[40:41], v58 offset:29144
	s_wait_dscnt 0x0
	ds_store_b64 v57, v[40:41] offset:30656
.LBB164_937:                            ;   in Loop: Header=BB164_3 Depth=1
	s_or_b32 exec_lo, exec_lo, s12
	s_wait_dscnt 0x0
	s_barrier_signal -1
	s_barrier_wait -1
	s_and_saveexec_b32 s12, s11
	s_cbranch_execz .LBB164_939
; %bb.938:                              ;   in Loop: Header=BB164_3 Depth=1
	ds_load_b64 v[40:41], v3 offset:30168
	v_add_nc_u32_e64 v42, 0x1d0, 0
	ds_store_b64 v3, v[34:35] offset:30680
	s_wait_dscnt 0x1
	ds_store_2addr_stride64_b64 v42, v[34:35], v[40:41] offset0:58 offset1:59
.LBB164_939:                            ;   in Loop: Header=BB164_3 Depth=1
	s_or_b32 exec_lo, exec_lo, s12
	v_mov_b64_e32 v[40:41], 0
	s_wait_dscnt 0x0
	s_barrier_signal -1
	s_barrier_wait -1
	s_and_saveexec_b32 s14, s5
	s_cbranch_execz .LBB164_945
; %bb.940:                              ;   in Loop: Header=BB164_3 Depth=1
	ds_load_b64 v[40:41], v55 offset:29152
	ds_load_b64 v[42:43], v51 offset:29120
	s_wait_dscnt 0x0
	v_dual_mul_f32 v44, v43, v41 :: v_dual_mul_f32 v41, v42, v41
	s_delay_alu instid0(VALU_DEP_1) | instskip(NEXT) | instid1(VALU_DEP_1)
	v_dual_fma_f32 v42, v42, v40, -v44 :: v_dual_fmac_f32 v41, v43, v40
	v_dual_add_f32 v40, 0, v42 :: v_dual_add_f32 v41, 0, v41
	s_and_saveexec_b32 s12, s16
	s_cbranch_execnz .LBB164_1110
; %bb.941:                              ;   in Loop: Header=BB164_3 Depth=1
	s_or_b32 exec_lo, exec_lo, s12
	s_and_saveexec_b32 s12, s17
	s_cbranch_execnz .LBB164_1111
.LBB164_942:                            ;   in Loop: Header=BB164_3 Depth=1
	s_or_b32 exec_lo, exec_lo, s12
	s_and_saveexec_b32 s12, s3
	s_cbranch_execz .LBB164_944
.LBB164_943:                            ;   in Loop: Header=BB164_3 Depth=1
	ds_load_b64 v[42:43], v59 offset:30688
	ds_load_b64 v[44:45], v3 offset:29144
	s_wait_dscnt 0x0
	v_dual_mul_f32 v46, v45, v43 :: v_dual_mul_f32 v47, v44, v43
	s_delay_alu instid0(VALU_DEP_1) | instskip(NEXT) | instid1(VALU_DEP_1)
	v_dual_fma_f32 v46, v44, v42, -v46 :: v_dual_fmac_f32 v47, v45, v42
	v_pk_add_f32 v[40:41], v[40:41], v[46:47]
.LBB164_944:                            ;   in Loop: Header=BB164_3 Depth=1
	s_or_b32 exec_lo, exec_lo, s12
	s_delay_alu instid0(VALU_DEP_1)
	v_pk_add_f32 v[40:41], v[40:41], 0 neg_lo:[1,1] neg_hi:[1,1]
.LBB164_945:                            ;   in Loop: Header=BB164_3 Depth=1
	s_or_b32 exec_lo, exec_lo, s14
	s_and_saveexec_b32 s12, s96
; %bb.946:                              ;   in Loop: Header=BB164_3 Depth=1
	ds_store_b64 v54, v[40:41]
; %bb.947:                              ;   in Loop: Header=BB164_3 Depth=1
	s_or_b32 exec_lo, exec_lo, s12
	s_wait_dscnt 0x0
	s_barrier_signal -1
	s_barrier_wait -1
	s_and_saveexec_b32 s12, s97
	s_cbranch_execz .LBB164_949
; %bb.948:                              ;   in Loop: Header=BB164_3 Depth=1
	ds_load_b64 v[42:43], v52 offset:31200
	ds_load_b64 v[44:45], v54
	s_wait_dscnt 0x0
	v_pk_mul_f32 v[46:47], v[44:45], v[42:43] op_sel:[1,1] op_sel_hi:[0,1]
	s_delay_alu instid0(VALU_DEP_1) | instskip(SKIP_1) | instid1(VALU_DEP_2)
	v_pk_fma_f32 v[98:99], v[44:45], v[42:43], v[46:47] op_sel_hi:[1,0,1]
	v_pk_fma_f32 v[42:43], v[44:45], v[42:43], v[46:47] neg_lo:[0,0,1] neg_hi:[0,0,1]
	v_mov_b32_e32 v43, v99
	s_delay_alu instid0(VALU_DEP_1)
	v_pk_add_f32 v[40:41], v[40:41], v[42:43]
.LBB164_949:                            ;   in Loop: Header=BB164_3 Depth=1
	s_or_b32 exec_lo, exec_lo, s12
	s_barrier_signal -1
	s_barrier_wait -1
	s_and_saveexec_b32 s12, s98
; %bb.950:                              ;   in Loop: Header=BB164_3 Depth=1
	ds_store_b64 v54, v[40:41]
; %bb.951:                              ;   in Loop: Header=BB164_3 Depth=1
	s_or_b32 exec_lo, exec_lo, s12
	s_wait_dscnt 0x0
	s_barrier_signal -1
	s_barrier_wait -1
	s_and_saveexec_b32 s12, s99
	s_cbranch_execz .LBB164_953
; %bb.952:                              ;   in Loop: Header=BB164_3 Depth=1
	ds_load_b64 v[42:43], v52 offset:31712
	ds_load_b64 v[44:45], v54
	s_wait_dscnt 0x0
	v_pk_mul_f32 v[46:47], v[44:45], v[42:43] op_sel:[1,1] op_sel_hi:[0,1]
	s_delay_alu instid0(VALU_DEP_1) | instskip(SKIP_1) | instid1(VALU_DEP_2)
	v_pk_fma_f32 v[98:99], v[44:45], v[42:43], v[46:47] op_sel_hi:[1,0,1]
	v_pk_fma_f32 v[42:43], v[44:45], v[42:43], v[46:47] neg_lo:[0,0,1] neg_hi:[0,0,1]
	v_mov_b32_e32 v43, v99
	s_delay_alu instid0(VALU_DEP_1)
	v_pk_add_f32 v[40:41], v[40:41], v[42:43]
.LBB164_953:                            ;   in Loop: Header=BB164_3 Depth=1
	s_or_b32 exec_lo, exec_lo, s12
	s_barrier_signal -1
	s_barrier_wait -1
	;; [unrolled: 25-line block ×3, first 2 shown]
	s_and_saveexec_b32 s12, s101
; %bb.958:                              ;   in Loop: Header=BB164_3 Depth=1
	ds_store_b64 v54, v[40:41]
; %bb.959:                              ;   in Loop: Header=BB164_3 Depth=1
	s_or_b32 exec_lo, exec_lo, s12
	s_wait_dscnt 0x0
	s_barrier_signal -1
	s_barrier_wait -1
	s_barrier_signal -1
	s_barrier_wait -1
	s_and_saveexec_b32 s12, s5
; %bb.960:                              ;   in Loop: Header=BB164_3 Depth=1
	v_pk_add_f32 v[40:41], v[40:41], 0 neg_lo:[1,1] neg_hi:[1,1]
	ds_store_b64 v55, v[40:41] offset:29152
; %bb.961:                              ;   in Loop: Header=BB164_3 Depth=1
	s_or_b32 exec_lo, exec_lo, s12
	s_wait_dscnt 0x0
	s_barrier_signal -1
	s_barrier_wait -1
	s_barrier_signal -1
	s_barrier_wait -1
	s_and_saveexec_b32 s12, s102
	s_cbranch_execz .LBB164_963
; %bb.962:                              ;   in Loop: Header=BB164_3 Depth=1
	ds_load_b64 v[40:41], v62 offset:29152
	s_wait_dscnt 0x0
	ds_store_b64 v66, v[40:41] offset:31168
	ds_load_b64 v[40:41], v62 offset:29160
	s_wait_dscnt 0x0
	ds_store_b64 v66, v[40:41] offset:31680
	;; [unrolled: 3-line block ×4, first 2 shown]
.LBB164_963:                            ;   in Loop: Header=BB164_3 Depth=1
	s_or_b32 exec_lo, exec_lo, s12
	s_wait_dscnt 0x0
	s_barrier_signal -1
	s_barrier_wait -1
	s_and_saveexec_b32 s12, s11
	s_cbranch_execz .LBB164_965
; %bb.964:                              ;   in Loop: Header=BB164_3 Depth=1
	ds_load_b64 v[40:41], v3 offset:31208
	v_add_nc_u32_e64 v42, 0x1e0, 0
	ds_store_b64 v3, v[34:35] offset:31720
	s_wait_dscnt 0x1
	ds_store_2addr_stride64_b64 v42, v[34:35], v[40:41] offset0:60 offset1:61
.LBB164_965:                            ;   in Loop: Header=BB164_3 Depth=1
	s_or_b32 exec_lo, exec_lo, s12
	v_mov_b64_e32 v[40:41], 0
	s_wait_dscnt 0x0
	s_barrier_signal -1
	s_barrier_wait -1
	s_and_saveexec_b32 s12, s3
	s_cbranch_execz .LBB164_969
; %bb.966:                              ;   in Loop: Header=BB164_3 Depth=1
	ds_load_b64 v[40:41], v48 offset:31216
	ds_load_b64 v[42:43], v49 offset:31200
	s_wait_dscnt 0x0
	v_pk_mul_f32 v[44:45], v[42:43], v[40:41] op_sel:[1,1] op_sel_hi:[0,1]
	s_delay_alu instid0(VALU_DEP_1) | instskip(SKIP_1) | instid1(VALU_DEP_2)
	v_pk_fma_f32 v[46:47], v[42:43], v[40:41], v[44:45] op_sel_hi:[1,0,1]
	v_pk_fma_f32 v[40:41], v[42:43], v[40:41], v[44:45] neg_lo:[0,0,1] neg_hi:[0,0,1]
	v_mov_b32_e32 v41, v47
	s_delay_alu instid0(VALU_DEP_1)
	v_pk_add_f32 v[40:41], v[40:41], 0 op_sel_hi:[1,0]
	s_and_saveexec_b32 s14, s15
	s_cbranch_execz .LBB164_968
; %bb.967:                              ;   in Loop: Header=BB164_3 Depth=1
	ds_load_b64 v[42:43], v66 offset:31728
	ds_load_b64 v[44:45], v3 offset:31208
	s_wait_dscnt 0x0
	v_pk_mul_f32 v[46:47], v[44:45], v[42:43] op_sel:[1,1] op_sel_hi:[0,1]
	s_delay_alu instid0(VALU_DEP_1) | instskip(SKIP_1) | instid1(VALU_DEP_2)
	v_pk_fma_f32 v[98:99], v[44:45], v[42:43], v[46:47] op_sel_hi:[1,0,1]
	v_pk_fma_f32 v[42:43], v[44:45], v[42:43], v[46:47] neg_lo:[0,0,1] neg_hi:[0,0,1]
	v_mov_b32_e32 v43, v99
	s_delay_alu instid0(VALU_DEP_1)
	v_pk_add_f32 v[40:41], v[40:41], v[42:43]
.LBB164_968:                            ;   in Loop: Header=BB164_3 Depth=1
	s_or_b32 exec_lo, exec_lo, s14
	s_delay_alu instid0(VALU_DEP_1)
	v_pk_add_f32 v[40:41], v[40:41], 0 neg_lo:[1,1] neg_hi:[1,1]
.LBB164_969:                            ;   in Loop: Header=BB164_3 Depth=1
	s_or_b32 exec_lo, exec_lo, s12
	s_and_saveexec_b32 s12, s93
; %bb.970:                              ;   in Loop: Header=BB164_3 Depth=1
	ds_store_b64 v5, v[40:41]
; %bb.971:                              ;   in Loop: Header=BB164_3 Depth=1
	s_or_b32 exec_lo, exec_lo, s12
	s_wait_dscnt 0x0
	s_barrier_signal -1
	s_barrier_wait -1
	s_and_saveexec_b32 s12, s94
	s_cbranch_execz .LBB164_973
; %bb.972:                              ;   in Loop: Header=BB164_3 Depth=1
	ds_load_b64 v[42:43], v3 offset:32248
	ds_load_b64 v[44:45], v5
	s_wait_dscnt 0x0
	v_pk_mul_f32 v[46:47], v[44:45], v[42:43] op_sel:[1,1] op_sel_hi:[0,1]
	s_delay_alu instid0(VALU_DEP_1) | instskip(SKIP_1) | instid1(VALU_DEP_2)
	v_pk_fma_f32 v[98:99], v[44:45], v[42:43], v[46:47] op_sel_hi:[1,0,1]
	v_pk_fma_f32 v[42:43], v[44:45], v[42:43], v[46:47] neg_lo:[0,0,1] neg_hi:[0,0,1]
	v_mov_b32_e32 v43, v99
	s_delay_alu instid0(VALU_DEP_1)
	v_pk_add_f32 v[40:41], v[40:41], v[42:43]
.LBB164_973:                            ;   in Loop: Header=BB164_3 Depth=1
	s_or_b32 exec_lo, exec_lo, s12
	s_barrier_signal -1
	s_barrier_wait -1
	s_and_saveexec_b32 s12, s94
; %bb.974:                              ;   in Loop: Header=BB164_3 Depth=1
	ds_store_b64 v5, v[40:41]
; %bb.975:                              ;   in Loop: Header=BB164_3 Depth=1
	s_or_b32 exec_lo, exec_lo, s12
	s_wait_dscnt 0x0
	s_barrier_signal -1
	s_barrier_wait -1
	s_barrier_signal -1
	s_barrier_wait -1
	s_and_saveexec_b32 s12, s3
; %bb.976:                              ;   in Loop: Header=BB164_3 Depth=1
	v_pk_add_f32 v[40:41], v[40:41], 0 neg_lo:[1,1] neg_hi:[1,1]
	ds_store_b64 v48, v[40:41] offset:31216
; %bb.977:                              ;   in Loop: Header=BB164_3 Depth=1
	s_or_b32 exec_lo, exec_lo, s12
	s_wait_dscnt 0x0
	s_barrier_signal -1
	s_barrier_wait -1
	s_barrier_signal -1
	s_barrier_wait -1
	s_and_saveexec_b32 s12, s95
	s_cbranch_execz .LBB164_979
; %bb.978:                              ;   in Loop: Header=BB164_3 Depth=1
	ds_load_b64 v[40:41], v67 offset:31216
	s_wait_dscnt 0x0
	ds_store_b64 v66, v[40:41] offset:32224
	ds_load_b64 v[40:41], v67 offset:31224
	s_wait_dscnt 0x0
	ds_store_b64 v66, v[40:41] offset:32736
.LBB164_979:                            ;   in Loop: Header=BB164_3 Depth=1
	s_or_b32 exec_lo, exec_lo, s12
	s_wait_dscnt 0x0
	s_barrier_signal -1
	s_barrier_wait -1
	s_and_saveexec_b32 s12, s11
	s_cbranch_execz .LBB164_981
; %bb.980:                              ;   in Loop: Header=BB164_3 Depth=1
	ds_load_b64 v[40:41], v3 offset:32248
	v_add_nc_u32_e64 v42, 0x1f0, 0
	ds_store_b64 v3, v[34:35] offset:32760
	s_wait_dscnt 0x1
	ds_store_2addr_stride64_b64 v42, v[34:35], v[40:41] offset0:62 offset1:63
.LBB164_981:                            ;   in Loop: Header=BB164_3 Depth=1
	s_or_b32 exec_lo, exec_lo, s12
.LBB164_982:                            ;   in Loop: Header=BB164_3 Depth=1
	v_add_nc_u64_e32 v[38:39], s[70:71], v[38:39]
	v_mov_b64_e32 v[40:41], 0
	s_wait_dscnt 0x0
	s_barrier_signal -1
	s_barrier_wait -1
	s_and_saveexec_b32 s12, s53
	s_cbranch_execz .LBB164_984
; %bb.983:                              ;   in Loop: Header=BB164_3 Depth=1
	v_lshl_add_u64 v[40:41], v[0:1], 3, v[38:39]
	v_readlane_b32 s56, v106, 19
	v_readlane_b32 s57, v106, 20
	flat_load_b64 v[40:41], v[40:41]
	v_mov_b64_e32 v[42:43], s[56:57]
	v_readlane_b32 s56, v106, 21
	v_readlane_b32 s57, v106, 22
	s_delay_alu instid0(VALU_DEP_1) | instskip(SKIP_1) | instid1(VALU_DEP_4)
	v_mov_b64_e32 v[44:45], s[56:57]
	s_wait_loadcnt_dscnt 0x0
	v_pk_mul_f32 v[42:43], v[42:43], v[40:41]
	s_delay_alu instid0(VALU_DEP_1)
	v_pk_fma_f32 v[40:41], v[44:45], v[40:41], v[42:43] op_sel:[0,0,1] op_sel_hi:[1,1,0] neg_lo:[1,0,0] neg_hi:[1,0,0]
.LBB164_984:                            ;   in Loop: Header=BB164_3 Depth=1
	s_or_b32 exec_lo, exec_lo, s12
	s_delay_alu instid0(SALU_CYCLE_1)
	s_and_not1_b32 vcc_lo, exec_lo, s54
	s_cbranch_vccnz .LBB164_1003
; %bb.985:                              ;   in Loop: Header=BB164_3 Depth=1
	v_mov_b32_e32 v46, -1
	s_lshl_b64 s[86:87], s[72:73], 2
	s_mov_b32 s14, 0
	s_add_nc_u64 s[86:87], s[80:81], s[86:87]
	s_branch .LBB164_987
.LBB164_986:                            ;   in Loop: Header=BB164_987 Depth=2
	s_or_b32 exec_lo, exec_lo, s12
	s_add_co_i32 s14, s14, 1
	s_delay_alu instid0(SALU_CYCLE_1)
	s_cmp_eq_u32 s14, s88
	s_cbranch_scc1 .LBB164_1003
.LBB164_987:                            ;   Parent Loop BB164_3 Depth=1
                                        ; =>  This Loop Header: Depth=2
                                        ;       Child Loop BB164_989 Depth 3
	v_cmp_gt_i32_e32 vcc_lo, s14, v46
	s_and_b32 s56, s36, vcc_lo
	s_delay_alu instid0(SALU_CYCLE_1)
	s_and_saveexec_b32 s12, s56
	s_cbranch_execz .LBB164_990
; %bb.988:                              ;   in Loop: Header=BB164_987 Depth=2
	global_load_b32 v46, v3, s[86:87]
	s_wait_loadcnt 0x0
	v_cmp_le_i32_e32 vcc_lo, s14, v46
	s_cbranch_vccnz .LBB164_990
.LBB164_989:                            ;   Parent Loop BB164_3 Depth=1
                                        ;     Parent Loop BB164_987 Depth=2
                                        ; =>    This Inner Loop Header: Depth=3
	global_wb scope:SCOPE_DEV
	s_wait_storecnt 0x0
	global_inv scope:SCOPE_DEV
	global_load_b32 v46, v3, s[86:87]
	s_wait_loadcnt 0x0
	v_cmp_gt_i32_e32 vcc_lo, s14, v46
	s_cbranch_vccnz .LBB164_989
.LBB164_990:                            ;   in Loop: Header=BB164_987 Depth=2
	s_or_b32 exec_lo, exec_lo, s12
	s_sub_co_i32 s12, s89, s14
	global_wb scope:SCOPE_DEV
	s_wait_storecnt 0x0
	global_inv scope:SCOPE_DEV
	s_lshl_b32 s62, s12, 6
	s_wait_loadcnt 0x0
	s_barrier_signal -1
	s_barrier_wait -1
	s_and_saveexec_b32 s56, s37
	s_cbranch_execz .LBB164_995
; %bb.991:                              ;   in Loop: Header=BB164_987 Depth=2
	s_ashr_i32 vcc_lo, s62, 31
	s_delay_alu instid0(SALU_CYCLE_1) | instskip(NEXT) | instid1(VALU_DEP_1)
	v_dual_mov_b32 v43, vcc_lo :: v_dual_bitop2_b32 v42, s62, v8 bitop3:0x54
	v_cmp_le_i64_e32 vcc_lo, s[74:75], v[42:43]
	s_and_saveexec_b32 s57, vcc_lo
	s_delay_alu instid0(SALU_CYCLE_1)
	s_xor_b32 vcc_lo, exec_lo, s57
; %bb.992:                              ;   in Loop: Header=BB164_987 Depth=2
	ds_store_b64 v89, v[32:33]
                                        ; implicit-def: $vgpr42_vgpr43
; %bb.993:                              ;   in Loop: Header=BB164_987 Depth=2
	s_and_not1_saveexec_b32 s57, vcc_lo
	s_cbranch_execz .LBB164_995
; %bb.994:                              ;   in Loop: Header=BB164_987 Depth=2
	v_mul_u64_e32 v[42:43], s[78:79], v[42:43]
	s_delay_alu instid0(VALU_DEP_1)
	v_lshl_add_u64 v[42:43], v[42:43], 3, v[38:39]
	flat_load_b64 v[42:43], v[42:43]
	s_wait_loadcnt_dscnt 0x0
	ds_store_b64 v89, v[42:43]
.LBB164_995:                            ;   in Loop: Header=BB164_987 Depth=2
	s_or_b32 exec_lo, exec_lo, s56
	v_add_nc_u32_e32 v42, s62, v6
	s_cmp_eq_u32 s12, s55
	s_wait_dscnt 0x0
	s_cselect_b32 vcc_lo, -1, 0
	s_barrier_signal -1
	v_ashrrev_i32_e32 v43, 31, v42
	v_cmp_gt_i32_e64 s62, s74, v42
	s_barrier_wait -1
	s_delay_alu instid0(VALU_DEP_2) | instskip(SKIP_1) | instid1(SALU_CYCLE_1)
	v_lshl_add_u64 v[44:45], v[42:43], 3, v[36:37]
	s_and_b32 s56, s62, s2
	s_and_saveexec_b32 s12, s56
	s_cbranch_execz .LBB164_997
; %bb.996:                              ;   in Loop: Header=BB164_987 Depth=2
	s_delay_alu instid0(VALU_DEP_1) | instskip(SKIP_4) | instid1(VALU_DEP_1)
	v_dual_cndmask_b32 v99, v45, v25 :: v_dual_cndmask_b32 v98, v44, v24
	ds_load_b64 v[100:101], v84
	flat_load_b64 v[98:99], v[98:99]
	s_wait_loadcnt_dscnt 0x0
	v_dual_mul_f32 v43, v101, v99 :: v_dual_mul_f32 v47, v100, v99
	v_fmac_f32_e32 v47, v101, v98
	s_delay_alu instid0(VALU_DEP_1) | instskip(NEXT) | instid1(VALU_DEP_1)
	v_dual_fma_f32 v43, v100, v98, -v43 :: v_dual_add_f32 v41, v41, v47
	v_add_f32_e32 v40, v40, v43
.LBB164_997:                            ;   in Loop: Header=BB164_987 Depth=2
	s_or_b32 exec_lo, exec_lo, s12
	v_add_nc_u32_e32 v43, 16, v42
	s_delay_alu instid0(VALU_DEP_1) | instskip(SKIP_1) | instid1(SALU_CYCLE_1)
	v_cmp_gt_i32_e64 s62, s74, v43
	s_and_b32 s56, s62, s2
	s_and_saveexec_b32 s12, s56
	s_cbranch_execz .LBB164_999
; %bb.998:                              ;   in Loop: Header=BB164_987 Depth=2
	v_add_nc_u64_e32 v[98:99], 0x80, v[44:45]
	ds_load_b64 v[100:101], v84 offset:128
	v_dual_cndmask_b32 v99, v99, v27 :: v_dual_cndmask_b32 v98, v98, v26
	flat_load_b64 v[98:99], v[98:99]
	s_wait_loadcnt_dscnt 0x0
	v_dual_mul_f32 v43, v101, v99 :: v_dual_mul_f32 v47, v100, v99
	s_delay_alu instid0(VALU_DEP_1) | instskip(NEXT) | instid1(VALU_DEP_1)
	v_fmac_f32_e32 v47, v101, v98
	v_dual_fma_f32 v43, v100, v98, -v43 :: v_dual_add_f32 v41, v41, v47
	s_delay_alu instid0(VALU_DEP_1)
	v_add_f32_e32 v40, v40, v43
.LBB164_999:                            ;   in Loop: Header=BB164_987 Depth=2
	s_or_b32 exec_lo, exec_lo, s12
	v_add_nc_u32_e32 v43, 32, v42
	s_delay_alu instid0(VALU_DEP_1) | instskip(SKIP_1) | instid1(SALU_CYCLE_1)
	v_cmp_gt_i32_e64 s62, s74, v43
	s_and_b32 s56, s62, s2
	s_and_saveexec_b32 s12, s56
	s_cbranch_execz .LBB164_1001
; %bb.1000:                             ;   in Loop: Header=BB164_987 Depth=2
	v_add_nc_u64_e32 v[98:99], 0x100, v[44:45]
	ds_load_b64 v[100:101], v84 offset:256
	v_dual_cndmask_b32 v99, v99, v29 :: v_dual_cndmask_b32 v98, v98, v28
	flat_load_b64 v[98:99], v[98:99]
	s_wait_loadcnt_dscnt 0x0
	v_dual_mul_f32 v43, v101, v99 :: v_dual_mul_f32 v103, v100, v99
	s_delay_alu instid0(VALU_DEP_1) | instskip(NEXT) | instid1(VALU_DEP_2)
	v_fma_f32 v102, v100, v98, -v43
	v_fmac_f32_e32 v103, v101, v98
	s_delay_alu instid0(VALU_DEP_1)
	v_pk_add_f32 v[40:41], v[40:41], v[102:103]
.LBB164_1001:                           ;   in Loop: Header=BB164_987 Depth=2
	s_or_b32 exec_lo, exec_lo, s12
	v_add_nc_u32_e32 v42, 48, v42
	s_delay_alu instid0(VALU_DEP_1) | instskip(SKIP_1) | instid1(SALU_CYCLE_1)
	v_cmp_gt_i32_e64 s62, s74, v42
	s_and_b32 s56, s62, s2
	s_and_saveexec_b32 s12, s56
	s_cbranch_execz .LBB164_986
; %bb.1002:                             ;   in Loop: Header=BB164_987 Depth=2
	v_add_nc_u64_e32 v[42:43], 0x180, v[44:45]
	ds_load_b64 v[44:45], v84 offset:384
	v_dual_cndmask_b32 v43, v43, v31 :: v_dual_cndmask_b32 v42, v42, v30
	flat_load_b64 v[42:43], v[42:43]
	s_wait_loadcnt_dscnt 0x0
	v_pk_mul_f32 v[98:99], v[44:45], v[42:43] op_sel:[1,1] op_sel_hi:[0,1]
	s_delay_alu instid0(VALU_DEP_1) | instskip(SKIP_1) | instid1(VALU_DEP_2)
	v_pk_fma_f32 v[100:101], v[44:45], v[42:43], v[98:99] op_sel_hi:[1,0,1]
	v_pk_fma_f32 v[42:43], v[44:45], v[42:43], v[98:99] neg_lo:[0,0,1] neg_hi:[0,0,1]
	v_mov_b32_e32 v43, v101
	s_delay_alu instid0(VALU_DEP_1)
	v_pk_add_f32 v[40:41], v[40:41], v[42:43]
	s_branch .LBB164_986
.LBB164_1003:                           ;   in Loop: Header=BB164_3 Depth=1
	ds_store_b64 v90, v[40:41]
	s_wait_dscnt 0x0
	s_barrier_signal -1
	s_barrier_wait -1
	s_and_saveexec_b32 s12, s4
	s_cbranch_execz .LBB164_1005
; %bb.1004:                             ;   in Loop: Header=BB164_3 Depth=1
	ds_load_2addr_stride64_b64 v[42:45], v91 offset0:1 offset1:2
	ds_load_2addr_stride64_b64 v[98:101], v91 offset0:3 offset1:4
	;; [unrolled: 1-line block ×3, first 2 shown]
	s_wait_dscnt 0x2
	v_pk_add_f32 v[36:37], v[40:41], v[42:43]
	ds_load_2addr_stride64_b64 v[40:43], v91 offset0:7 offset1:8
	v_pk_add_f32 v[36:37], v[36:37], v[44:45]
	ds_load_2addr_stride64_b64 v[44:47], v91 offset0:9 offset1:10
	s_wait_dscnt 0x3
	v_pk_add_f32 v[36:37], v[36:37], v[98:99]
	s_delay_alu instid0(VALU_DEP_1) | instskip(SKIP_3) | instid1(VALU_DEP_1)
	v_pk_add_f32 v[36:37], v[36:37], v[100:101]
	ds_load_2addr_stride64_b64 v[98:101], v91 offset0:11 offset1:12
	s_wait_dscnt 0x3
	v_pk_add_f32 v[36:37], v[36:37], v[102:103]
	v_pk_add_f32 v[36:37], v[36:37], v[104:105]
	s_wait_dscnt 0x2
	s_delay_alu instid0(VALU_DEP_1) | instskip(NEXT) | instid1(VALU_DEP_1)
	v_pk_add_f32 v[36:37], v[36:37], v[40:41]
	v_pk_add_f32 v[36:37], v[36:37], v[42:43]
	ds_load_2addr_stride64_b64 v[40:43], v91 offset0:13 offset1:14
	s_wait_dscnt 0x2
	v_pk_add_f32 v[36:37], v[36:37], v[44:45]
	ds_load_b64 v[44:45], v91 offset:7680
	v_pk_add_f32 v[36:37], v[36:37], v[46:47]
	s_wait_dscnt 0x2
	s_delay_alu instid0(VALU_DEP_1) | instskip(NEXT) | instid1(VALU_DEP_1)
	v_pk_add_f32 v[36:37], v[36:37], v[98:99]
	v_pk_add_f32 v[36:37], v[36:37], v[100:101]
	s_wait_dscnt 0x1
	s_delay_alu instid0(VALU_DEP_1) | instskip(NEXT) | instid1(VALU_DEP_1)
	v_pk_add_f32 v[36:37], v[36:37], v[40:41]
	;; [unrolled: 4-line block ×3, first 2 shown]
	v_cndmask_b32_e64 v41, -v37, 0, s52
	s_delay_alu instid0(VALU_DEP_2)
	v_cndmask_b32_e64 v40, -v36, 0, s52
.LBB164_1005:                           ;   in Loop: Header=BB164_3 Depth=1
	s_or_b32 exec_lo, exec_lo, s12
	s_delay_alu instid0(SALU_CYCLE_1)
	s_and_not1_b32 vcc_lo, exec_lo, s92
	s_cbranch_vccnz .LBB164_1015
; %bb.1006:                             ;   in Loop: Header=BB164_3 Depth=1
	s_and_saveexec_b32 s12, s4
; %bb.1007:                             ;   in Loop: Header=BB164_3 Depth=1
	ds_store_b64 v94, v[40:41]
; %bb.1008:                             ;   in Loop: Header=BB164_3 Depth=1
	s_or_b32 exec_lo, exec_lo, s12
	v_mov_b64_e32 v[36:37], 0
	s_wait_dscnt 0x0
	s_barrier_signal -1
	s_barrier_wait -1
	s_and_saveexec_b32 s12, s0
	s_cbranch_execnz .LBB164_1055
; %bb.1009:                             ;   in Loop: Header=BB164_3 Depth=1
	s_or_b32 exec_lo, exec_lo, s12
	s_and_saveexec_b32 s12, s1
	s_cbranch_execnz .LBB164_1056
.LBB164_1010:                           ;   in Loop: Header=BB164_3 Depth=1
	s_or_b32 exec_lo, exec_lo, s12
	s_and_saveexec_b32 s12, s8
	s_cbranch_execnz .LBB164_1057
.LBB164_1011:                           ;   in Loop: Header=BB164_3 Depth=1
	s_or_b32 exec_lo, exec_lo, s12
	s_and_saveexec_b32 s12, s9
	s_cbranch_execz .LBB164_1013
.LBB164_1012:                           ;   in Loop: Header=BB164_3 Depth=1
	ds_load_b64 v[42:43], v93 offset:24576
	ds_load_b64 v[44:45], v84 offset:384
	s_wait_dscnt 0x0
	v_pk_mul_f32 v[46:47], v[44:45], v[42:43] op_sel:[1,1] op_sel_hi:[0,1]
	s_delay_alu instid0(VALU_DEP_1) | instskip(SKIP_1) | instid1(VALU_DEP_2)
	v_pk_fma_f32 v[98:99], v[44:45], v[42:43], v[46:47] op_sel_hi:[1,0,1]
	v_pk_fma_f32 v[42:43], v[44:45], v[42:43], v[46:47] neg_lo:[0,0,1] neg_hi:[0,0,1]
	v_mov_b32_e32 v43, v99
	s_delay_alu instid0(VALU_DEP_1)
	v_pk_add_f32 v[36:37], v[36:37], v[42:43]
.LBB164_1013:                           ;   in Loop: Header=BB164_3 Depth=1
	s_or_b32 exec_lo, exec_lo, s12
	s_mov_b32 s14, 0
	s_mov_b32 s62, 0
	ds_store_b64 v90, v[36:37]
	s_wait_dscnt 0x0
	s_barrier_signal -1
	s_barrier_wait -1
                                        ; implicit-def: $vgpr42_vgpr43
	s_and_saveexec_b32 s12, s4
	s_cbranch_execz .LBB164_1058
; %bb.1014:                             ;   in Loop: Header=BB164_3 Depth=1
	ds_load_2addr_stride64_b64 v[42:45], v91 offset0:1 offset1:2
	ds_load_2addr_stride64_b64 v[98:101], v91 offset0:3 offset1:4
	;; [unrolled: 1-line block ×3, first 2 shown]
	ds_load_b64 v[46:47], v91 offset:7680
	s_mov_b32 s62, exec_lo
	s_wait_dscnt 0x3
	v_pk_add_f32 v[36:37], v[36:37], v[42:43]
	s_delay_alu instid0(VALU_DEP_1) | instskip(SKIP_3) | instid1(VALU_DEP_1)
	v_pk_add_f32 v[36:37], v[36:37], v[44:45]
	ds_load_2addr_stride64_b64 v[42:45], v91 offset0:7 offset1:8
	s_wait_dscnt 0x3
	v_pk_add_f32 v[36:37], v[36:37], v[98:99]
	v_pk_add_f32 v[36:37], v[36:37], v[100:101]
	ds_load_2addr_stride64_b64 v[98:101], v91 offset0:9 offset1:10
	s_wait_dscnt 0x3
	v_pk_add_f32 v[36:37], v[36:37], v[102:103]
	s_delay_alu instid0(VALU_DEP_1) | instskip(SKIP_3) | instid1(VALU_DEP_1)
	v_pk_add_f32 v[36:37], v[36:37], v[104:105]
	ds_load_2addr_stride64_b64 v[102:105], v91 offset0:11 offset1:12
	s_wait_dscnt 0x2
	v_pk_add_f32 v[36:37], v[36:37], v[42:43]
	v_pk_add_f32 v[36:37], v[36:37], v[44:45]
	ds_load_2addr_stride64_b64 v[42:45], v91 offset0:13 offset1:14
	s_wait_dscnt 0x2
	v_pk_add_f32 v[36:37], v[36:37], v[98:99]
	s_delay_alu instid0(VALU_DEP_1) | instskip(SKIP_1) | instid1(VALU_DEP_1)
	v_pk_add_f32 v[36:37], v[36:37], v[100:101]
	s_wait_dscnt 0x1
	v_pk_add_f32 v[36:37], v[36:37], v[102:103]
	s_delay_alu instid0(VALU_DEP_1) | instskip(SKIP_1) | instid1(VALU_DEP_1)
	v_pk_add_f32 v[36:37], v[36:37], v[104:105]
	s_wait_dscnt 0x0
	v_pk_add_f32 v[36:37], v[36:37], v[42:43]
	s_delay_alu instid0(VALU_DEP_1) | instskip(NEXT) | instid1(VALU_DEP_1)
	v_pk_add_f32 v[36:37], v[36:37], v[44:45]
	v_pk_add_f32 v[42:43], v[36:37], v[46:47]
	s_or_b32 exec_lo, exec_lo, s12
	s_delay_alu instid0(SALU_CYCLE_1)
	s_and_b32 vcc_lo, exec_lo, s14
	s_cbranch_vccnz .LBB164_1016
	s_branch .LBB164_1059
.LBB164_1015:                           ;   in Loop: Header=BB164_3 Depth=1
	s_mov_b32 s62, 0
                                        ; implicit-def: $vgpr42_vgpr43
	s_cbranch_execz .LBB164_1059
.LBB164_1016:                           ;   in Loop: Header=BB164_3 Depth=1
	v_dual_mov_b32 v36, v96 :: v_dual_mov_b32 v37, v92
	s_mov_b32 s14, 63
	s_branch .LBB164_1018
.LBB164_1017:                           ;   in Loop: Header=BB164_1018 Depth=2
	s_or_b32 exec_lo, exec_lo, s56
	v_add_nc_u32_e32 v37, 0xfffff800, v37
	v_add_nc_u32_e32 v36, 4, v36
	s_add_co_i32 s14, s14, -4
	s_cmp_lg_u32 s12, 0
	s_barrier_signal -1
	s_barrier_wait -1
	s_cbranch_scc0 .LBB164_1034
.LBB164_1018:                           ;   Parent Loop BB164_3 Depth=1
                                        ; =>  This Inner Loop Header: Depth=2
	s_delay_alu instid0(VALU_DEP_1) | instskip(SKIP_1) | instid1(SALU_CYCLE_1)
	v_cmp_eq_u32_e32 vcc_lo, 0, v36
	s_and_b32 s56, s4, vcc_lo
	s_and_saveexec_b32 s12, s56
; %bb.1019:                             ;   in Loop: Header=BB164_1018 Depth=2
	ds_store_b64 v3, v[40:41] offset:41472
; %bb.1020:                             ;   in Loop: Header=BB164_1018 Depth=2
	s_or_b32 exec_lo, exec_lo, s12
	v_cmp_gt_u32_e32 vcc_lo, s14, v4
	s_wait_dscnt 0x0
	s_barrier_signal -1
	s_barrier_wait -1
	s_and_b32 s56, s4, vcc_lo
	s_delay_alu instid0(SALU_CYCLE_1)
	s_and_saveexec_b32 s12, s56
	s_cbranch_execz .LBB164_1022
; %bb.1021:                             ;   in Loop: Header=BB164_1018 Depth=2
	ds_load_b64 v[42:43], v37 offset:1536
	ds_load_b64 v[44:45], v3 offset:41472
	s_wait_dscnt 0x0
	v_pk_mul_f32 v[46:47], v[44:45], v[42:43] op_sel:[1,1] op_sel_hi:[0,1]
	s_delay_alu instid0(VALU_DEP_1) | instskip(SKIP_1) | instid1(VALU_DEP_2)
	v_pk_fma_f32 v[98:99], v[44:45], v[42:43], v[46:47] op_sel_hi:[1,0,1]
	v_pk_fma_f32 v[42:43], v[44:45], v[42:43], v[46:47] neg_lo:[0,0,1] neg_hi:[0,0,1]
	v_mov_b32_e32 v43, v99
	s_delay_alu instid0(VALU_DEP_1)
	v_pk_add_f32 v[40:41], v[40:41], v[42:43]
.LBB164_1022:                           ;   in Loop: Header=BB164_1018 Depth=2
	s_or_b32 exec_lo, exec_lo, s12
	s_add_co_i32 s12, s14, -1
	s_delay_alu instid0(SALU_CYCLE_1) | instskip(SKIP_3) | instid1(SALU_CYCLE_1)
	v_cmp_eq_u32_e32 vcc_lo, s12, v4
	s_barrier_signal -1
	s_barrier_wait -1
	s_and_b32 s57, s4, vcc_lo
	s_and_saveexec_b32 s56, s57
; %bb.1023:                             ;   in Loop: Header=BB164_1018 Depth=2
	ds_store_b64 v3, v[40:41] offset:41472
; %bb.1024:                             ;   in Loop: Header=BB164_1018 Depth=2
	s_or_b32 exec_lo, exec_lo, s56
	v_cmp_gt_u32_e32 vcc_lo, s12, v4
	s_wait_dscnt 0x0
	s_barrier_signal -1
	s_barrier_wait -1
	s_and_b32 s56, s4, vcc_lo
	s_delay_alu instid0(SALU_CYCLE_1)
	s_and_saveexec_b32 s12, s56
	s_cbranch_execz .LBB164_1026
; %bb.1025:                             ;   in Loop: Header=BB164_1018 Depth=2
	ds_load_b64 v[42:43], v37 offset:1024
	ds_load_b64 v[44:45], v3 offset:41472
	s_wait_dscnt 0x0
	v_pk_mul_f32 v[46:47], v[44:45], v[42:43] op_sel:[1,1] op_sel_hi:[0,1]
	s_delay_alu instid0(VALU_DEP_1) | instskip(SKIP_1) | instid1(VALU_DEP_2)
	v_pk_fma_f32 v[98:99], v[44:45], v[42:43], v[46:47] op_sel_hi:[1,0,1]
	v_pk_fma_f32 v[42:43], v[44:45], v[42:43], v[46:47] neg_lo:[0,0,1] neg_hi:[0,0,1]
	v_mov_b32_e32 v43, v99
	s_delay_alu instid0(VALU_DEP_1)
	v_pk_add_f32 v[40:41], v[40:41], v[42:43]
.LBB164_1026:                           ;   in Loop: Header=BB164_1018 Depth=2
	s_or_b32 exec_lo, exec_lo, s12
	s_add_co_i32 s12, s14, -2
	s_delay_alu instid0(SALU_CYCLE_1) | instskip(SKIP_3) | instid1(SALU_CYCLE_1)
	v_cmp_eq_u32_e32 vcc_lo, s12, v4
	s_barrier_signal -1
	s_barrier_wait -1
	;; [unrolled: 32-line block ×3, first 2 shown]
	s_and_b32 s57, s4, vcc_lo
	s_and_saveexec_b32 s56, s57
; %bb.1031:                             ;   in Loop: Header=BB164_1018 Depth=2
	ds_store_b64 v3, v[40:41] offset:41472
; %bb.1032:                             ;   in Loop: Header=BB164_1018 Depth=2
	s_or_b32 exec_lo, exec_lo, s56
	v_cmp_gt_u32_e32 vcc_lo, s12, v4
	s_wait_dscnt 0x0
	s_barrier_signal -1
	s_barrier_wait -1
	s_and_b32 s57, s4, vcc_lo
	s_delay_alu instid0(SALU_CYCLE_1)
	s_and_saveexec_b32 s56, s57
	s_cbranch_execz .LBB164_1017
; %bb.1033:                             ;   in Loop: Header=BB164_1018 Depth=2
	ds_load_b64 v[42:43], v37
	ds_load_b64 v[44:45], v3 offset:41472
	s_wait_dscnt 0x0
	v_pk_mul_f32 v[46:47], v[44:45], v[42:43] op_sel:[1,1] op_sel_hi:[0,1]
	s_delay_alu instid0(VALU_DEP_1) | instskip(SKIP_1) | instid1(VALU_DEP_2)
	v_pk_fma_f32 v[98:99], v[44:45], v[42:43], v[46:47] op_sel_hi:[1,0,1]
	v_pk_fma_f32 v[42:43], v[44:45], v[42:43], v[46:47] neg_lo:[0,0,1] neg_hi:[0,0,1]
	v_mov_b32_e32 v43, v99
	s_delay_alu instid0(VALU_DEP_1)
	v_pk_add_f32 v[40:41], v[40:41], v[42:43]
	s_branch .LBB164_1017
.LBB164_1034:                           ;   in Loop: Header=BB164_3 Depth=1
	s_and_b32 vcc_lo, exec_lo, s90
	s_mov_b32 s12, -1
	s_cbranch_vccnz .LBB164_1060
; %bb.1035:                             ;   in Loop: Header=BB164_3 Depth=1
	s_and_not1_b32 vcc_lo, exec_lo, s12
	s_cbranch_vccz .LBB164_1061
.LBB164_1036:                           ;   in Loop: Header=BB164_3 Depth=1
	s_and_saveexec_b32 s12, s62
	s_cbranch_execz .LBB164_1038
.LBB164_1037:                           ;   in Loop: Header=BB164_3 Depth=1
	v_lshl_add_u64 v[36:37], v[22:23], 3, v[38:39]
	flat_store_b64 v[36:37], v[40:41]
.LBB164_1038:                           ;   in Loop: Header=BB164_3 Depth=1
	s_wait_xcnt 0x0
	s_or_b32 exec_lo, exec_lo, s12
	global_wb scope:SCOPE_DEV
	s_wait_storecnt_dscnt 0x0
	global_inv scope:SCOPE_DEV
	s_wait_loadcnt 0x0
	s_barrier_signal -1
	s_barrier_wait -1
	s_and_saveexec_b32 s12, s36
	s_cbranch_execz .LBB164_2
; %bb.1039:                             ;   in Loop: Header=BB164_3 Depth=1
	s_lshl_b64 s[86:87], s[72:73], 2
	s_delay_alu instid0(SALU_CYCLE_1)
	s_add_nc_u64 s[86:87], s[80:81], s[86:87]
	global_load_b32 v36, v3, s[86:87]
	s_wait_loadcnt 0x0
	v_add_nc_u32_e32 v36, 1, v36
	global_store_b32 v3, v36, s[86:87]
	s_branch .LBB164_2
.LBB164_1040:                           ;   in Loop: Header=BB164_3 Depth=1
	s_mov_b32 s14, exec_lo
	v_readlane_b32 s56, v106, 24
	s_and_b32 s56, s14, s56
	s_delay_alu instid0(SALU_CYCLE_1)
	s_mov_b32 exec_lo, s56
; %bb.1041:                             ;   in Loop: Header=BB164_3 Depth=1
	ds_store_b64 v78, v[32:33]
; %bb.1042:                             ;   in Loop: Header=BB164_3 Depth=1
	s_or_b32 exec_lo, exec_lo, s14
	s_and_not1_saveexec_b32 s12, s12
	s_cbranch_execz .LBB164_18
.LBB164_1043:                           ;   in Loop: Header=BB164_3 Depth=1
	v_lshl_add_u64 v[42:43], v[20:21], 3, v[40:41]
	flat_load_b64 v[42:43], v[42:43]
	s_wait_loadcnt_dscnt 0x0
	v_pk_add_f32 v[42:43], v[42:43], 0 neg_lo:[1,1] neg_hi:[1,1]
	ds_store_b64 v78, v[42:43]
	s_or_b32 exec_lo, exec_lo, s12
	s_and_saveexec_b32 s12, s1
	s_delay_alu instid0(SALU_CYCLE_1)
	s_xor_b32 s12, exec_lo, s12
	s_cbranch_execz .LBB164_19
.LBB164_1044:                           ;   in Loop: Header=BB164_3 Depth=1
	s_mov_b32 s14, exec_lo
	v_readlane_b32 s56, v106, 25
	s_and_b32 s56, s14, s56
	s_delay_alu instid0(SALU_CYCLE_1)
	s_mov_b32 exec_lo, s56
; %bb.1045:                             ;   in Loop: Header=BB164_3 Depth=1
	ds_store_b64 v79, v[32:33]
; %bb.1046:                             ;   in Loop: Header=BB164_3 Depth=1
	s_or_b32 exec_lo, exec_lo, s14
	s_and_not1_saveexec_b32 s12, s12
	s_cbranch_execz .LBB164_20
.LBB164_1047:                           ;   in Loop: Header=BB164_3 Depth=1
	v_lshl_add_u64 v[42:43], v[18:19], 3, v[40:41]
	flat_load_b64 v[42:43], v[42:43]
	s_wait_loadcnt_dscnt 0x0
	v_pk_add_f32 v[42:43], v[42:43], 0 neg_lo:[1,1] neg_hi:[1,1]
	ds_store_b64 v79, v[42:43]
	s_or_b32 exec_lo, exec_lo, s12
	s_and_saveexec_b32 s12, s8
	s_delay_alu instid0(SALU_CYCLE_1)
	s_xor_b32 s12, exec_lo, s12
	s_cbranch_execz .LBB164_21
.LBB164_1048:                           ;   in Loop: Header=BB164_3 Depth=1
	s_mov_b32 s14, exec_lo
	v_readlane_b32 s56, v106, 26
	s_and_b32 s56, s14, s56
	s_delay_alu instid0(SALU_CYCLE_1)
	s_mov_b32 exec_lo, s56
; %bb.1049:                             ;   in Loop: Header=BB164_3 Depth=1
	ds_store_b64 v80, v[32:33]
; %bb.1050:                             ;   in Loop: Header=BB164_3 Depth=1
	s_or_b32 exec_lo, exec_lo, s14
	s_and_not1_saveexec_b32 s12, s12
	s_cbranch_execz .LBB164_22
.LBB164_1051:                           ;   in Loop: Header=BB164_3 Depth=1
	v_lshl_add_u64 v[42:43], v[14:15], 3, v[40:41]
	flat_load_b64 v[42:43], v[42:43]
	s_wait_loadcnt_dscnt 0x0
	v_pk_add_f32 v[42:43], v[42:43], 0 neg_lo:[1,1] neg_hi:[1,1]
	ds_store_b64 v80, v[42:43]
	s_or_b32 exec_lo, exec_lo, s12
	s_and_saveexec_b32 s12, s9
	s_delay_alu instid0(SALU_CYCLE_1)
	s_xor_b32 s12, exec_lo, s12
	s_cbranch_execz .LBB164_23
.LBB164_1052:                           ;   in Loop: Header=BB164_3 Depth=1
	s_mov_b32 s14, exec_lo
	v_readlane_b32 s56, v97, 10
	s_and_b32 s56, s14, s56
	s_delay_alu instid0(SALU_CYCLE_1)
	s_mov_b32 exec_lo, s56
; %bb.1053:                             ;   in Loop: Header=BB164_3 Depth=1
	ds_store_b64 v82, v[32:33]
; %bb.1054:                             ;   in Loop: Header=BB164_3 Depth=1
	s_or_b32 exec_lo, exec_lo, s14
	s_and_not1_saveexec_b32 s12, s12
	s_cbranch_execnz .LBB164_24
	s_branch .LBB164_25
.LBB164_1055:                           ;   in Loop: Header=BB164_3 Depth=1
	ds_load_b64 v[36:37], v93
	ds_load_b64 v[42:43], v84
	s_wait_dscnt 0x0
	v_dual_mul_f32 v44, v43, v37 :: v_dual_mul_f32 v37, v42, v37
	s_delay_alu instid0(VALU_DEP_1) | instskip(NEXT) | instid1(VALU_DEP_1)
	v_dual_fma_f32 v42, v42, v36, -v44 :: v_dual_fmac_f32 v37, v43, v36
	v_dual_add_f32 v36, 0, v42 :: v_dual_add_f32 v37, 0, v37
	s_or_b32 exec_lo, exec_lo, s12
	s_and_saveexec_b32 s12, s1
	s_cbranch_execz .LBB164_1010
.LBB164_1056:                           ;   in Loop: Header=BB164_3 Depth=1
	ds_load_b64 v[42:43], v93 offset:8192
	ds_load_b64 v[44:45], v84 offset:128
	s_wait_dscnt 0x0
	v_dual_mul_f32 v46, v45, v43 :: v_dual_mul_f32 v47, v44, v43
	s_delay_alu instid0(VALU_DEP_1) | instskip(NEXT) | instid1(VALU_DEP_1)
	v_dual_fma_f32 v46, v44, v42, -v46 :: v_dual_fmac_f32 v47, v45, v42
	v_pk_add_f32 v[36:37], v[36:37], v[46:47]
	s_or_b32 exec_lo, exec_lo, s12
	s_and_saveexec_b32 s12, s8
	s_cbranch_execz .LBB164_1011
.LBB164_1057:                           ;   in Loop: Header=BB164_3 Depth=1
	ds_load_b64 v[42:43], v93 offset:16384
	ds_load_b64 v[44:45], v84 offset:256
	s_wait_dscnt 0x0
	v_pk_mul_f32 v[46:47], v[44:45], v[42:43] op_sel:[1,1] op_sel_hi:[0,1]
	s_delay_alu instid0(VALU_DEP_1) | instskip(SKIP_1) | instid1(VALU_DEP_2)
	v_pk_fma_f32 v[98:99], v[44:45], v[42:43], v[46:47] op_sel_hi:[1,0,1]
	v_pk_fma_f32 v[42:43], v[44:45], v[42:43], v[46:47] neg_lo:[0,0,1] neg_hi:[0,0,1]
	v_mov_b32_e32 v43, v99
	s_delay_alu instid0(VALU_DEP_1)
	v_pk_add_f32 v[36:37], v[36:37], v[42:43]
	s_or_b32 exec_lo, exec_lo, s12
	s_and_saveexec_b32 s12, s9
	s_cbranch_execnz .LBB164_1012
	s_branch .LBB164_1013
.LBB164_1058:                           ;   in Loop: Header=BB164_3 Depth=1
	s_or_b32 exec_lo, exec_lo, s12
	s_delay_alu instid0(SALU_CYCLE_1)
	s_and_b32 vcc_lo, exec_lo, s14
	s_cbranch_vccnz .LBB164_1016
.LBB164_1059:                           ;   in Loop: Header=BB164_3 Depth=1
	v_mov_b64_e32 v[40:41], v[42:43]
	s_and_saveexec_b32 s12, s62
	s_cbranch_execnz .LBB164_1037
	s_branch .LBB164_1038
.LBB164_1060:                           ;   in Loop: Header=BB164_3 Depth=1
	s_and_not1_b32 s14, s62, exec_lo
	s_and_b32 s56, s4, exec_lo
	s_delay_alu instid0(SALU_CYCLE_1)
	s_or_b32 s62, s14, s56
	s_cbranch_execnz .LBB164_1036
.LBB164_1061:                           ;   in Loop: Header=BB164_3 Depth=1
	v_readlane_b32 s14, v106, 11
	s_and_not1_b32 s12, s62, exec_lo
	s_and_b32 s14, s14, exec_lo
	s_delay_alu instid0(SALU_CYCLE_1) | instskip(NEXT) | instid1(SALU_CYCLE_1)
	s_or_b32 s62, s12, s14
	s_and_saveexec_b32 s12, s62
	s_cbranch_execnz .LBB164_1037
	s_branch .LBB164_1038
.LBB164_1062:                           ;   in Loop: Header=BB164_3 Depth=1
	ds_load_b64 v[42:43], v56 offset:544
	ds_load_b64 v[44:45], v51 offset:8
	s_wait_dscnt 0x0
	v_dual_mul_f32 v46, v45, v43 :: v_dual_mul_f32 v43, v44, v43
	s_delay_alu instid0(VALU_DEP_1) | instskip(NEXT) | instid1(VALU_DEP_1)
	v_dual_fma_f32 v44, v44, v42, -v46 :: v_dual_fmac_f32 v43, v45, v42
	v_dual_add_f32 v40, v40, v44 :: v_dual_add_f32 v41, v41, v43
	s_or_b32 exec_lo, exec_lo, s12
	s_and_saveexec_b32 s12, s17
	s_cbranch_execz .LBB164_74
.LBB164_1063:                           ;   in Loop: Header=BB164_3 Depth=1
	ds_load_b64 v[42:43], v55 offset:1056
	ds_load_b64 v[44:45], v51 offset:16
	s_wait_dscnt 0x0
	v_dual_mul_f32 v46, v45, v43 :: v_dual_mul_f32 v43, v44, v43
	s_delay_alu instid0(VALU_DEP_1) | instskip(NEXT) | instid1(VALU_DEP_1)
	v_dual_fma_f32 v44, v44, v42, -v46 :: v_dual_fmac_f32 v43, v45, v42
	v_dual_add_f32 v40, v40, v44 :: v_dual_add_f32 v41, v41, v43
	s_or_b32 exec_lo, exec_lo, s12
	s_and_saveexec_b32 s12, s3
	s_cbranch_execnz .LBB164_75
	s_branch .LBB164_76
.LBB164_1064:                           ;   in Loop: Header=BB164_3 Depth=1
	ds_load_b64 v[42:43], v65 offset:576
	ds_load_b64 v[44:45], v60 offset:8
	s_wait_dscnt 0x0
	v_dual_mul_f32 v46, v45, v43 :: v_dual_mul_f32 v43, v44, v43
	s_delay_alu instid0(VALU_DEP_1) | instskip(NEXT) | instid1(VALU_DEP_1)
	v_dual_fma_f32 v44, v44, v42, -v46 :: v_dual_fmac_f32 v43, v45, v42
	v_dual_add_f32 v40, v40, v44 :: v_dual_add_f32 v41, v41, v43
	s_or_b32 exec_lo, exec_lo, s12
	s_and_saveexec_b32 s12, s19
	s_cbranch_execz .LBB164_116
.LBB164_1065:                           ;   in Loop: Header=BB164_3 Depth=1
	ds_load_b64 v[42:43], v65 offset:1088
	ds_load_b64 v[44:45], v60 offset:16
	s_wait_dscnt 0x0
	v_dual_mul_f32 v46, v45, v43 :: v_dual_mul_f32 v43, v44, v43
	s_delay_alu instid0(VALU_DEP_1) | instskip(NEXT) | instid1(VALU_DEP_1)
	v_dual_fma_f32 v44, v44, v42, -v46 :: v_dual_fmac_f32 v43, v45, v42
	v_dual_add_f32 v40, v40, v44 :: v_dual_add_f32 v41, v41, v43
	s_or_b32 exec_lo, exec_lo, s12
	s_and_saveexec_b32 s12, s20
	s_cbranch_execz .LBB164_117
.LBB164_1066:                           ;   in Loop: Header=BB164_3 Depth=1
	ds_load_b64 v[42:43], v65 offset:1600
	ds_load_b64 v[44:45], v60 offset:24
	s_wait_dscnt 0x0
	v_dual_mul_f32 v46, v45, v43 :: v_dual_mul_f32 v43, v44, v43
	s_delay_alu instid0(VALU_DEP_1) | instskip(NEXT) | instid1(VALU_DEP_1)
	v_dual_fma_f32 v44, v44, v42, -v46 :: v_dual_fmac_f32 v43, v45, v42
	v_dual_add_f32 v40, v40, v44 :: v_dual_add_f32 v41, v41, v43
	s_or_b32 exec_lo, exec_lo, s12
	s_and_saveexec_b32 s12, s21
	s_cbranch_execz .LBB164_118
.LBB164_1067:                           ;   in Loop: Header=BB164_3 Depth=1
	ds_load_b64 v[42:43], v64 offset:2112
	ds_load_b64 v[44:45], v60 offset:32
	s_wait_dscnt 0x0
	v_dual_mul_f32 v46, v45, v43 :: v_dual_mul_f32 v43, v44, v43
	s_delay_alu instid0(VALU_DEP_1) | instskip(NEXT) | instid1(VALU_DEP_1)
	v_dual_fma_f32 v44, v44, v42, -v46 :: v_dual_fmac_f32 v43, v45, v42
	v_dual_add_f32 v40, v40, v44 :: v_dual_add_f32 v41, v41, v43
	s_or_b32 exec_lo, exec_lo, s12
	s_and_saveexec_b32 s12, s22
	s_cbranch_execz .LBB164_119
.LBB164_1068:                           ;   in Loop: Header=BB164_3 Depth=1
	ds_load_b64 v[42:43], v65 offset:2624
	ds_load_b64 v[44:45], v60 offset:40
	s_wait_dscnt 0x0
	v_dual_mul_f32 v46, v45, v43 :: v_dual_mul_f32 v47, v44, v43
	s_delay_alu instid0(VALU_DEP_1) | instskip(NEXT) | instid1(VALU_DEP_1)
	v_dual_fma_f32 v46, v44, v42, -v46 :: v_dual_fmac_f32 v47, v45, v42
	v_pk_add_f32 v[40:41], v[40:41], v[46:47]
	s_or_b32 exec_lo, exec_lo, s12
	s_and_saveexec_b32 s12, s5
	s_cbranch_execz .LBB164_120
.LBB164_1069:                           ;   in Loop: Header=BB164_3 Depth=1
	ds_load_b64 v[42:43], v64 offset:3136
	ds_load_b64 v[44:45], v60 offset:48
	s_wait_dscnt 0x0
	v_pk_mul_f32 v[46:47], v[44:45], v[42:43] op_sel:[1,1] op_sel_hi:[0,1]
	s_delay_alu instid0(VALU_DEP_1) | instskip(SKIP_1) | instid1(VALU_DEP_2)
	v_pk_fma_f32 v[98:99], v[44:45], v[42:43], v[46:47] op_sel_hi:[1,0,1]
	v_pk_fma_f32 v[42:43], v[44:45], v[42:43], v[46:47] neg_lo:[0,0,1] neg_hi:[0,0,1]
	v_mov_b32_e32 v43, v99
	s_delay_alu instid0(VALU_DEP_1)
	v_pk_add_f32 v[40:41], v[40:41], v[42:43]
	s_or_b32 exec_lo, exec_lo, s12
	s_and_saveexec_b32 s12, s17
	s_cbranch_execnz .LBB164_121
	s_branch .LBB164_122
.LBB164_1070:                           ;   in Loop: Header=BB164_3 Depth=1
	ds_load_b64 v[42:43], v56 offset:4704
	ds_load_b64 v[44:45], v51 offset:4168
	s_wait_dscnt 0x0
	v_dual_mul_f32 v46, v45, v43 :: v_dual_mul_f32 v43, v44, v43
	s_delay_alu instid0(VALU_DEP_1) | instskip(NEXT) | instid1(VALU_DEP_1)
	v_dual_fma_f32 v44, v44, v42, -v46 :: v_dual_fmac_f32 v43, v45, v42
	v_dual_add_f32 v40, v40, v44 :: v_dual_add_f32 v41, v41, v43
	s_or_b32 exec_lo, exec_lo, s12
	s_and_saveexec_b32 s12, s17
	s_cbranch_execz .LBB164_178
.LBB164_1071:                           ;   in Loop: Header=BB164_3 Depth=1
	ds_load_b64 v[42:43], v55 offset:5216
	ds_load_b64 v[44:45], v51 offset:4176
	s_wait_dscnt 0x0
	v_dual_mul_f32 v46, v45, v43 :: v_dual_mul_f32 v43, v44, v43
	s_delay_alu instid0(VALU_DEP_1) | instskip(NEXT) | instid1(VALU_DEP_1)
	v_dual_fma_f32 v44, v44, v42, -v46 :: v_dual_fmac_f32 v43, v45, v42
	v_dual_add_f32 v40, v40, v44 :: v_dual_add_f32 v41, v41, v43
	s_or_b32 exec_lo, exec_lo, s12
	s_and_saveexec_b32 s12, s3
	s_cbranch_execnz .LBB164_179
	s_branch .LBB164_180
.LBB164_1072:                           ;   in Loop: Header=BB164_3 Depth=1
	ds_load_b64 v[42:43], v73 offset:5760
	ds_load_b64 v[44:45], v68 offset:88
	s_wait_dscnt 0x0
	v_dual_mul_f32 v46, v45, v43 :: v_dual_mul_f32 v43, v44, v43
	s_delay_alu instid0(VALU_DEP_1) | instskip(NEXT) | instid1(VALU_DEP_1)
	v_dual_fma_f32 v44, v44, v42, -v46 :: v_dual_fmac_f32 v43, v45, v42
	v_dual_add_f32 v40, v40, v44 :: v_dual_add_f32 v41, v41, v43
	s_or_b32 exec_lo, exec_lo, s12
	s_and_saveexec_b32 s12, s6
	s_cbranch_execz .LBB164_240
.LBB164_1073:                           ;   in Loop: Header=BB164_3 Depth=1
	ds_load_b64 v[42:43], v72 offset:6272
	ds_load_b64 v[44:45], v68 offset:96
	s_wait_dscnt 0x0
	v_dual_mul_f32 v46, v45, v43 :: v_dual_mul_f32 v43, v44, v43
	s_delay_alu instid0(VALU_DEP_1) | instskip(NEXT) | instid1(VALU_DEP_1)
	v_dual_fma_f32 v44, v44, v42, -v46 :: v_dual_fmac_f32 v43, v45, v42
	v_dual_add_f32 v40, v40, v44 :: v_dual_add_f32 v41, v41, v43
	s_or_b32 exec_lo, exec_lo, s12
	s_and_saveexec_b32 s12, s19
	s_cbranch_execz .LBB164_241
.LBB164_1074:                           ;   in Loop: Header=BB164_3 Depth=1
	ds_load_b64 v[42:43], v73 offset:6784
	ds_load_b64 v[44:45], v68 offset:104
	s_wait_dscnt 0x0
	v_dual_mul_f32 v46, v45, v43 :: v_dual_mul_f32 v43, v44, v43
	s_delay_alu instid0(VALU_DEP_1) | instskip(NEXT) | instid1(VALU_DEP_1)
	v_dual_fma_f32 v44, v44, v42, -v46 :: v_dual_fmac_f32 v43, v45, v42
	v_dual_add_f32 v40, v40, v44 :: v_dual_add_f32 v41, v41, v43
	s_or_b32 exec_lo, exec_lo, s12
	s_and_saveexec_b32 s12, s21
	s_cbranch_execz .LBB164_242
.LBB164_1075:                           ;   in Loop: Header=BB164_3 Depth=1
	ds_load_b64 v[42:43], v72 offset:7296
	ds_load_b64 v[44:45], v68 offset:112
	s_wait_dscnt 0x0
	v_dual_mul_f32 v46, v45, v43 :: v_dual_mul_f32 v43, v44, v43
	s_delay_alu instid0(VALU_DEP_1) | instskip(NEXT) | instid1(VALU_DEP_1)
	v_dual_fma_f32 v44, v44, v42, -v46 :: v_dual_fmac_f32 v43, v45, v42
	v_dual_add_f32 v40, v40, v44 :: v_dual_add_f32 v41, v41, v43
	s_or_b32 exec_lo, exec_lo, s12
	s_and_saveexec_b32 s12, s5
	s_cbranch_execnz .LBB164_243
	s_branch .LBB164_244
.LBB164_1076:                           ;   in Loop: Header=BB164_3 Depth=1
	ds_load_b64 v[42:43], v56 offset:8864
	ds_load_b64 v[44:45], v51 offset:8328
	s_wait_dscnt 0x0
	v_dual_mul_f32 v46, v45, v43 :: v_dual_mul_f32 v43, v44, v43
	s_delay_alu instid0(VALU_DEP_1) | instskip(NEXT) | instid1(VALU_DEP_1)
	v_dual_fma_f32 v44, v44, v42, -v46 :: v_dual_fmac_f32 v43, v45, v42
	v_dual_add_f32 v40, v40, v44 :: v_dual_add_f32 v41, v41, v43
	s_or_b32 exec_lo, exec_lo, s12
	s_and_saveexec_b32 s12, s17
	s_cbranch_execz .LBB164_332
.LBB164_1077:                           ;   in Loop: Header=BB164_3 Depth=1
	ds_load_b64 v[42:43], v55 offset:9376
	ds_load_b64 v[44:45], v51 offset:8336
	s_wait_dscnt 0x0
	v_dual_mul_f32 v46, v45, v43 :: v_dual_mul_f32 v43, v44, v43
	s_delay_alu instid0(VALU_DEP_1) | instskip(NEXT) | instid1(VALU_DEP_1)
	v_dual_fma_f32 v44, v44, v42, -v46 :: v_dual_fmac_f32 v43, v45, v42
	v_dual_add_f32 v40, v40, v44 :: v_dual_add_f32 v41, v41, v43
	s_or_b32 exec_lo, exec_lo, s12
	s_and_saveexec_b32 s12, s3
	s_cbranch_execnz .LBB164_333
	s_branch .LBB164_334
.LBB164_1078:                           ;   in Loop: Header=BB164_3 Depth=1
	ds_load_b64 v[42:43], v65 offset:8896
	ds_load_b64 v[44:45], v60 offset:8328
	s_wait_dscnt 0x0
	v_dual_mul_f32 v46, v45, v43 :: v_dual_mul_f32 v43, v44, v43
	s_delay_alu instid0(VALU_DEP_1) | instskip(NEXT) | instid1(VALU_DEP_1)
	v_dual_fma_f32 v44, v44, v42, -v46 :: v_dual_fmac_f32 v43, v45, v42
	v_dual_add_f32 v40, v40, v44 :: v_dual_add_f32 v41, v41, v43
	s_or_b32 exec_lo, exec_lo, s12
	s_and_saveexec_b32 s12, s19
	s_cbranch_execz .LBB164_374
.LBB164_1079:                           ;   in Loop: Header=BB164_3 Depth=1
	ds_load_b64 v[42:43], v65 offset:9408
	ds_load_b64 v[44:45], v60 offset:8336
	s_wait_dscnt 0x0
	v_dual_mul_f32 v46, v45, v43 :: v_dual_mul_f32 v43, v44, v43
	s_delay_alu instid0(VALU_DEP_1) | instskip(NEXT) | instid1(VALU_DEP_1)
	v_dual_fma_f32 v44, v44, v42, -v46 :: v_dual_fmac_f32 v43, v45, v42
	v_dual_add_f32 v40, v40, v44 :: v_dual_add_f32 v41, v41, v43
	s_or_b32 exec_lo, exec_lo, s12
	s_and_saveexec_b32 s12, s20
	s_cbranch_execz .LBB164_375
.LBB164_1080:                           ;   in Loop: Header=BB164_3 Depth=1
	ds_load_b64 v[42:43], v65 offset:9920
	ds_load_b64 v[44:45], v60 offset:8344
	s_wait_dscnt 0x0
	v_dual_mul_f32 v46, v45, v43 :: v_dual_mul_f32 v43, v44, v43
	s_delay_alu instid0(VALU_DEP_1) | instskip(NEXT) | instid1(VALU_DEP_1)
	v_dual_fma_f32 v44, v44, v42, -v46 :: v_dual_fmac_f32 v43, v45, v42
	v_dual_add_f32 v40, v40, v44 :: v_dual_add_f32 v41, v41, v43
	s_or_b32 exec_lo, exec_lo, s12
	s_and_saveexec_b32 s12, s21
	s_cbranch_execz .LBB164_376
.LBB164_1081:                           ;   in Loop: Header=BB164_3 Depth=1
	ds_load_b64 v[42:43], v64 offset:10432
	ds_load_b64 v[44:45], v60 offset:8352
	s_wait_dscnt 0x0
	v_dual_mul_f32 v46, v45, v43 :: v_dual_mul_f32 v43, v44, v43
	s_delay_alu instid0(VALU_DEP_1) | instskip(NEXT) | instid1(VALU_DEP_1)
	v_dual_fma_f32 v44, v44, v42, -v46 :: v_dual_fmac_f32 v43, v45, v42
	v_dual_add_f32 v40, v40, v44 :: v_dual_add_f32 v41, v41, v43
	s_or_b32 exec_lo, exec_lo, s12
	s_and_saveexec_b32 s12, s22
	s_cbranch_execz .LBB164_377
.LBB164_1082:                           ;   in Loop: Header=BB164_3 Depth=1
	ds_load_b64 v[42:43], v65 offset:10944
	ds_load_b64 v[44:45], v60 offset:8360
	s_wait_dscnt 0x0
	v_dual_mul_f32 v46, v45, v43 :: v_dual_mul_f32 v47, v44, v43
	s_delay_alu instid0(VALU_DEP_1) | instskip(NEXT) | instid1(VALU_DEP_1)
	v_dual_fma_f32 v46, v44, v42, -v46 :: v_dual_fmac_f32 v47, v45, v42
	v_pk_add_f32 v[40:41], v[40:41], v[46:47]
	s_or_b32 exec_lo, exec_lo, s12
	s_and_saveexec_b32 s12, s5
	s_cbranch_execz .LBB164_378
.LBB164_1083:                           ;   in Loop: Header=BB164_3 Depth=1
	ds_load_b64 v[42:43], v64 offset:11456
	ds_load_b64 v[44:45], v60 offset:8368
	s_wait_dscnt 0x0
	v_pk_mul_f32 v[46:47], v[44:45], v[42:43] op_sel:[1,1] op_sel_hi:[0,1]
	s_delay_alu instid0(VALU_DEP_1) | instskip(SKIP_1) | instid1(VALU_DEP_2)
	v_pk_fma_f32 v[98:99], v[44:45], v[42:43], v[46:47] op_sel_hi:[1,0,1]
	v_pk_fma_f32 v[42:43], v[44:45], v[42:43], v[46:47] neg_lo:[0,0,1] neg_hi:[0,0,1]
	v_mov_b32_e32 v43, v99
	s_delay_alu instid0(VALU_DEP_1)
	v_pk_add_f32 v[40:41], v[40:41], v[42:43]
	s_or_b32 exec_lo, exec_lo, s12
	s_and_saveexec_b32 s12, s17
	s_cbranch_execnz .LBB164_379
	s_branch .LBB164_380
.LBB164_1084:                           ;   in Loop: Header=BB164_3 Depth=1
	ds_load_b64 v[42:43], v56 offset:13024
	ds_load_b64 v[44:45], v51 offset:12488
	s_wait_dscnt 0x0
	v_dual_mul_f32 v46, v45, v43 :: v_dual_mul_f32 v43, v44, v43
	s_delay_alu instid0(VALU_DEP_1) | instskip(NEXT) | instid1(VALU_DEP_1)
	v_dual_fma_f32 v44, v44, v42, -v46 :: v_dual_fmac_f32 v43, v45, v42
	v_dual_add_f32 v40, v40, v44 :: v_dual_add_f32 v41, v41, v43
	s_or_b32 exec_lo, exec_lo, s12
	s_and_saveexec_b32 s12, s17
	s_cbranch_execz .LBB164_436
.LBB164_1085:                           ;   in Loop: Header=BB164_3 Depth=1
	ds_load_b64 v[42:43], v55 offset:13536
	ds_load_b64 v[44:45], v51 offset:12496
	s_wait_dscnt 0x0
	v_dual_mul_f32 v46, v45, v43 :: v_dual_mul_f32 v43, v44, v43
	s_delay_alu instid0(VALU_DEP_1) | instskip(NEXT) | instid1(VALU_DEP_1)
	v_dual_fma_f32 v44, v44, v42, -v46 :: v_dual_fmac_f32 v43, v45, v42
	v_dual_add_f32 v40, v40, v44 :: v_dual_add_f32 v41, v41, v43
	s_or_b32 exec_lo, exec_lo, s12
	s_and_saveexec_b32 s12, s3
	s_cbranch_execnz .LBB164_437
	s_branch .LBB164_438
.LBB164_1086:                           ;   in Loop: Header=BB164_3 Depth=1
	ds_load_b64 v[44:45], v43 offset:15104
	ds_load_b64 v[46:47], v42 offset:232
	s_wait_dscnt 0x0
	v_pk_mul_f32 v[98:99], v[46:47], v[44:45] op_sel:[1,1] op_sel_hi:[0,1]
	s_delay_alu instid0(VALU_DEP_1) | instskip(SKIP_1) | instid1(VALU_DEP_2)
	v_pk_fma_f32 v[100:101], v[46:47], v[44:45], v[98:99] op_sel_hi:[1,0,1]
	v_pk_fma_f32 v[44:45], v[46:47], v[44:45], v[98:99] neg_lo:[0,0,1] neg_hi:[0,0,1]
	v_mov_b32_e32 v45, v101
	s_delay_alu instid0(VALU_DEP_1)
	v_pk_add_f32 v[40:41], v[40:41], v[44:45]
	s_or_b32 exec_lo, exec_lo, s12
	s_and_saveexec_b32 s12, s6
	s_cbranch_execz .LBB164_534
.LBB164_1087:                           ;   in Loop: Header=BB164_3 Depth=1
	ds_load_b64 v[44:45], v43 offset:15616
	ds_load_b64 v[46:47], v42 offset:240
	s_wait_dscnt 0x0
	v_pk_mul_f32 v[98:99], v[46:47], v[44:45] op_sel:[1,1] op_sel_hi:[0,1]
	s_delay_alu instid0(VALU_DEP_1) | instskip(SKIP_1) | instid1(VALU_DEP_2)
	v_pk_fma_f32 v[100:101], v[46:47], v[44:45], v[98:99] op_sel_hi:[1,0,1]
	v_pk_fma_f32 v[44:45], v[46:47], v[44:45], v[98:99] neg_lo:[0,0,1] neg_hi:[0,0,1]
	v_mov_b32_e32 v45, v101
	s_delay_alu instid0(VALU_DEP_1)
	v_pk_add_f32 v[40:41], v[40:41], v[44:45]
	s_or_b32 exec_lo, exec_lo, s12
	s_and_saveexec_b32 s12, s21
	s_cbranch_execnz .LBB164_535
	s_branch .LBB164_536
.LBB164_1088:                           ;   in Loop: Header=BB164_3 Depth=1
	ds_load_b64 v[42:43], v56 offset:17184
	ds_load_b64 v[44:45], v51 offset:16648
	s_wait_dscnt 0x0
	v_dual_mul_f32 v46, v45, v43 :: v_dual_mul_f32 v43, v44, v43
	s_delay_alu instid0(VALU_DEP_1) | instskip(NEXT) | instid1(VALU_DEP_1)
	v_dual_fma_f32 v44, v44, v42, -v46 :: v_dual_fmac_f32 v43, v45, v42
	v_dual_add_f32 v40, v40, v44 :: v_dual_add_f32 v41, v41, v43
	s_or_b32 exec_lo, exec_lo, s12
	s_and_saveexec_b32 s12, s17
	s_cbranch_execz .LBB164_580
.LBB164_1089:                           ;   in Loop: Header=BB164_3 Depth=1
	ds_load_b64 v[42:43], v55 offset:17696
	ds_load_b64 v[44:45], v51 offset:16656
	s_wait_dscnt 0x0
	v_dual_mul_f32 v46, v45, v43 :: v_dual_mul_f32 v43, v44, v43
	s_delay_alu instid0(VALU_DEP_1) | instskip(NEXT) | instid1(VALU_DEP_1)
	v_dual_fma_f32 v44, v44, v42, -v46 :: v_dual_fmac_f32 v43, v45, v42
	v_dual_add_f32 v40, v40, v44 :: v_dual_add_f32 v41, v41, v43
	s_or_b32 exec_lo, exec_lo, s12
	s_and_saveexec_b32 s12, s3
	s_cbranch_execnz .LBB164_581
	s_branch .LBB164_582
.LBB164_1090:                           ;   in Loop: Header=BB164_3 Depth=1
	ds_load_b64 v[42:43], v65 offset:17216
	ds_load_b64 v[44:45], v60 offset:16648
	s_wait_dscnt 0x0
	v_dual_mul_f32 v46, v45, v43 :: v_dual_mul_f32 v43, v44, v43
	s_delay_alu instid0(VALU_DEP_1) | instskip(NEXT) | instid1(VALU_DEP_1)
	v_dual_fma_f32 v44, v44, v42, -v46 :: v_dual_fmac_f32 v43, v45, v42
	v_dual_add_f32 v40, v40, v44 :: v_dual_add_f32 v41, v41, v43
	s_or_b32 exec_lo, exec_lo, s12
	s_and_saveexec_b32 s12, s19
	s_cbranch_execz .LBB164_622
.LBB164_1091:                           ;   in Loop: Header=BB164_3 Depth=1
	ds_load_b64 v[42:43], v65 offset:17728
	ds_load_b64 v[44:45], v60 offset:16656
	s_wait_dscnt 0x0
	v_dual_mul_f32 v46, v45, v43 :: v_dual_mul_f32 v43, v44, v43
	s_delay_alu instid0(VALU_DEP_1) | instskip(NEXT) | instid1(VALU_DEP_1)
	v_dual_fma_f32 v44, v44, v42, -v46 :: v_dual_fmac_f32 v43, v45, v42
	v_dual_add_f32 v40, v40, v44 :: v_dual_add_f32 v41, v41, v43
	s_or_b32 exec_lo, exec_lo, s12
	s_and_saveexec_b32 s12, s20
	s_cbranch_execz .LBB164_623
.LBB164_1092:                           ;   in Loop: Header=BB164_3 Depth=1
	ds_load_b64 v[42:43], v65 offset:18240
	ds_load_b64 v[44:45], v60 offset:16664
	s_wait_dscnt 0x0
	v_dual_mul_f32 v46, v45, v43 :: v_dual_mul_f32 v43, v44, v43
	s_delay_alu instid0(VALU_DEP_1) | instskip(NEXT) | instid1(VALU_DEP_1)
	v_dual_fma_f32 v44, v44, v42, -v46 :: v_dual_fmac_f32 v43, v45, v42
	v_dual_add_f32 v40, v40, v44 :: v_dual_add_f32 v41, v41, v43
	s_or_b32 exec_lo, exec_lo, s12
	s_and_saveexec_b32 s12, s21
	s_cbranch_execz .LBB164_624
.LBB164_1093:                           ;   in Loop: Header=BB164_3 Depth=1
	ds_load_b64 v[42:43], v64 offset:18752
	ds_load_b64 v[44:45], v60 offset:16672
	s_wait_dscnt 0x0
	v_dual_mul_f32 v46, v45, v43 :: v_dual_mul_f32 v43, v44, v43
	s_delay_alu instid0(VALU_DEP_1) | instskip(NEXT) | instid1(VALU_DEP_1)
	v_dual_fma_f32 v44, v44, v42, -v46 :: v_dual_fmac_f32 v43, v45, v42
	v_dual_add_f32 v40, v40, v44 :: v_dual_add_f32 v41, v41, v43
	s_or_b32 exec_lo, exec_lo, s12
	s_and_saveexec_b32 s12, s22
	s_cbranch_execz .LBB164_625
.LBB164_1094:                           ;   in Loop: Header=BB164_3 Depth=1
	ds_load_b64 v[42:43], v65 offset:19264
	ds_load_b64 v[44:45], v60 offset:16680
	s_wait_dscnt 0x0
	v_dual_mul_f32 v46, v45, v43 :: v_dual_mul_f32 v47, v44, v43
	s_delay_alu instid0(VALU_DEP_1) | instskip(NEXT) | instid1(VALU_DEP_1)
	v_dual_fma_f32 v46, v44, v42, -v46 :: v_dual_fmac_f32 v47, v45, v42
	v_pk_add_f32 v[40:41], v[40:41], v[46:47]
	s_or_b32 exec_lo, exec_lo, s12
	s_and_saveexec_b32 s12, s5
	s_cbranch_execz .LBB164_626
.LBB164_1095:                           ;   in Loop: Header=BB164_3 Depth=1
	ds_load_b64 v[42:43], v64 offset:19776
	ds_load_b64 v[44:45], v60 offset:16688
	s_wait_dscnt 0x0
	v_pk_mul_f32 v[46:47], v[44:45], v[42:43] op_sel:[1,1] op_sel_hi:[0,1]
	s_delay_alu instid0(VALU_DEP_1) | instskip(SKIP_1) | instid1(VALU_DEP_2)
	v_pk_fma_f32 v[98:99], v[44:45], v[42:43], v[46:47] op_sel_hi:[1,0,1]
	v_pk_fma_f32 v[42:43], v[44:45], v[42:43], v[46:47] neg_lo:[0,0,1] neg_hi:[0,0,1]
	v_mov_b32_e32 v43, v99
	s_delay_alu instid0(VALU_DEP_1)
	v_pk_add_f32 v[40:41], v[40:41], v[42:43]
	s_or_b32 exec_lo, exec_lo, s12
	s_and_saveexec_b32 s12, s17
	s_cbranch_execnz .LBB164_627
	s_branch .LBB164_628
.LBB164_1096:                           ;   in Loop: Header=BB164_3 Depth=1
	ds_load_b64 v[42:43], v56 offset:21344
	ds_load_b64 v[44:45], v51 offset:20808
	s_wait_dscnt 0x0
	v_dual_mul_f32 v46, v45, v43 :: v_dual_mul_f32 v43, v44, v43
	s_delay_alu instid0(VALU_DEP_1) | instskip(NEXT) | instid1(VALU_DEP_1)
	v_dual_fma_f32 v44, v44, v42, -v46 :: v_dual_fmac_f32 v43, v45, v42
	v_dual_add_f32 v40, v40, v44 :: v_dual_add_f32 v41, v41, v43
	s_or_b32 exec_lo, exec_lo, s12
	s_and_saveexec_b32 s12, s17
	s_cbranch_execz .LBB164_684
.LBB164_1097:                           ;   in Loop: Header=BB164_3 Depth=1
	ds_load_b64 v[42:43], v55 offset:21856
	ds_load_b64 v[44:45], v51 offset:20816
	s_wait_dscnt 0x0
	v_dual_mul_f32 v46, v45, v43 :: v_dual_mul_f32 v43, v44, v43
	s_delay_alu instid0(VALU_DEP_1) | instskip(NEXT) | instid1(VALU_DEP_1)
	v_dual_fma_f32 v44, v44, v42, -v46 :: v_dual_fmac_f32 v43, v45, v42
	v_dual_add_f32 v40, v40, v44 :: v_dual_add_f32 v41, v41, v43
	s_or_b32 exec_lo, exec_lo, s12
	s_and_saveexec_b32 s12, s3
	s_cbranch_execnz .LBB164_685
	s_branch .LBB164_686
.LBB164_1098:                           ;   in Loop: Header=BB164_3 Depth=1
	ds_load_b64 v[42:43], v73 offset:22400
	ds_load_b64 v[44:45], v68 offset:16728
	s_wait_dscnt 0x0
	v_dual_mul_f32 v46, v45, v43 :: v_dual_mul_f32 v43, v44, v43
	s_delay_alu instid0(VALU_DEP_1) | instskip(NEXT) | instid1(VALU_DEP_1)
	v_dual_fma_f32 v44, v44, v42, -v46 :: v_dual_fmac_f32 v43, v45, v42
	v_dual_add_f32 v40, v40, v44 :: v_dual_add_f32 v41, v41, v43
	s_or_b32 exec_lo, exec_lo, s12
	s_and_saveexec_b32 s12, s6
	s_cbranch_execz .LBB164_746
.LBB164_1099:                           ;   in Loop: Header=BB164_3 Depth=1
	ds_load_b64 v[42:43], v72 offset:22912
	ds_load_b64 v[44:45], v68 offset:16736
	s_wait_dscnt 0x0
	v_dual_mul_f32 v46, v45, v43 :: v_dual_mul_f32 v43, v44, v43
	s_delay_alu instid0(VALU_DEP_1) | instskip(NEXT) | instid1(VALU_DEP_1)
	v_dual_fma_f32 v44, v44, v42, -v46 :: v_dual_fmac_f32 v43, v45, v42
	v_dual_add_f32 v40, v40, v44 :: v_dual_add_f32 v41, v41, v43
	s_or_b32 exec_lo, exec_lo, s12
	s_and_saveexec_b32 s12, s19
	s_cbranch_execz .LBB164_747
.LBB164_1100:                           ;   in Loop: Header=BB164_3 Depth=1
	ds_load_b64 v[42:43], v73 offset:23424
	ds_load_b64 v[44:45], v68 offset:16744
	s_wait_dscnt 0x0
	v_dual_mul_f32 v46, v45, v43 :: v_dual_mul_f32 v43, v44, v43
	s_delay_alu instid0(VALU_DEP_1) | instskip(NEXT) | instid1(VALU_DEP_1)
	v_dual_fma_f32 v44, v44, v42, -v46 :: v_dual_fmac_f32 v43, v45, v42
	v_dual_add_f32 v40, v40, v44 :: v_dual_add_f32 v41, v41, v43
	s_or_b32 exec_lo, exec_lo, s12
	s_and_saveexec_b32 s12, s21
	s_cbranch_execz .LBB164_748
.LBB164_1101:                           ;   in Loop: Header=BB164_3 Depth=1
	ds_load_b64 v[42:43], v72 offset:23936
	ds_load_b64 v[44:45], v68 offset:16752
	s_wait_dscnt 0x0
	v_dual_mul_f32 v46, v45, v43 :: v_dual_mul_f32 v43, v44, v43
	s_delay_alu instid0(VALU_DEP_1) | instskip(NEXT) | instid1(VALU_DEP_1)
	v_dual_fma_f32 v44, v44, v42, -v46 :: v_dual_fmac_f32 v43, v45, v42
	v_dual_add_f32 v40, v40, v44 :: v_dual_add_f32 v41, v41, v43
	s_or_b32 exec_lo, exec_lo, s12
	s_and_saveexec_b32 s12, s5
	s_cbranch_execnz .LBB164_749
	s_branch .LBB164_750
.LBB164_1102:                           ;   in Loop: Header=BB164_3 Depth=1
	ds_load_b64 v[42:43], v56 offset:25504
	ds_load_b64 v[44:45], v51 offset:24968
	s_wait_dscnt 0x0
	v_dual_mul_f32 v46, v45, v43 :: v_dual_mul_f32 v43, v44, v43
	s_delay_alu instid0(VALU_DEP_1) | instskip(NEXT) | instid1(VALU_DEP_1)
	v_dual_fma_f32 v44, v44, v42, -v46 :: v_dual_fmac_f32 v43, v45, v42
	v_dual_add_f32 v40, v40, v44 :: v_dual_add_f32 v41, v41, v43
	s_or_b32 exec_lo, exec_lo, s12
	s_and_saveexec_b32 s12, s17
	s_cbranch_execz .LBB164_838
.LBB164_1103:                           ;   in Loop: Header=BB164_3 Depth=1
	ds_load_b64 v[42:43], v55 offset:26016
	ds_load_b64 v[44:45], v51 offset:24976
	s_wait_dscnt 0x0
	v_dual_mul_f32 v46, v45, v43 :: v_dual_mul_f32 v43, v44, v43
	s_delay_alu instid0(VALU_DEP_1) | instskip(NEXT) | instid1(VALU_DEP_1)
	v_dual_fma_f32 v44, v44, v42, -v46 :: v_dual_fmac_f32 v43, v45, v42
	v_dual_add_f32 v40, v40, v44 :: v_dual_add_f32 v41, v41, v43
	s_or_b32 exec_lo, exec_lo, s12
	s_and_saveexec_b32 s12, s3
	s_cbranch_execnz .LBB164_839
	s_branch .LBB164_840
.LBB164_1104:                           ;   in Loop: Header=BB164_3 Depth=1
	ds_load_b64 v[42:43], v65 offset:25536
	ds_load_b64 v[44:45], v60 offset:24968
	s_wait_dscnt 0x0
	v_dual_mul_f32 v46, v45, v43 :: v_dual_mul_f32 v43, v44, v43
	s_delay_alu instid0(VALU_DEP_1) | instskip(NEXT) | instid1(VALU_DEP_1)
	v_dual_fma_f32 v44, v44, v42, -v46 :: v_dual_fmac_f32 v43, v45, v42
	v_dual_add_f32 v40, v40, v44 :: v_dual_add_f32 v41, v41, v43
	s_or_b32 exec_lo, exec_lo, s12
	s_and_saveexec_b32 s12, s19
	s_cbranch_execz .LBB164_880
.LBB164_1105:                           ;   in Loop: Header=BB164_3 Depth=1
	ds_load_b64 v[42:43], v65 offset:26048
	ds_load_b64 v[44:45], v60 offset:24976
	s_wait_dscnt 0x0
	v_dual_mul_f32 v46, v45, v43 :: v_dual_mul_f32 v43, v44, v43
	s_delay_alu instid0(VALU_DEP_1) | instskip(NEXT) | instid1(VALU_DEP_1)
	v_dual_fma_f32 v44, v44, v42, -v46 :: v_dual_fmac_f32 v43, v45, v42
	v_dual_add_f32 v40, v40, v44 :: v_dual_add_f32 v41, v41, v43
	s_or_b32 exec_lo, exec_lo, s12
	s_and_saveexec_b32 s12, s20
	s_cbranch_execz .LBB164_881
.LBB164_1106:                           ;   in Loop: Header=BB164_3 Depth=1
	ds_load_b64 v[42:43], v65 offset:26560
	ds_load_b64 v[44:45], v60 offset:24984
	s_wait_dscnt 0x0
	v_dual_mul_f32 v46, v45, v43 :: v_dual_mul_f32 v43, v44, v43
	s_delay_alu instid0(VALU_DEP_1) | instskip(NEXT) | instid1(VALU_DEP_1)
	v_dual_fma_f32 v44, v44, v42, -v46 :: v_dual_fmac_f32 v43, v45, v42
	v_dual_add_f32 v40, v40, v44 :: v_dual_add_f32 v41, v41, v43
	s_or_b32 exec_lo, exec_lo, s12
	s_and_saveexec_b32 s12, s21
	s_cbranch_execz .LBB164_882
.LBB164_1107:                           ;   in Loop: Header=BB164_3 Depth=1
	ds_load_b64 v[42:43], v64 offset:27072
	ds_load_b64 v[44:45], v60 offset:24992
	s_wait_dscnt 0x0
	v_dual_mul_f32 v46, v45, v43 :: v_dual_mul_f32 v43, v44, v43
	s_delay_alu instid0(VALU_DEP_1) | instskip(NEXT) | instid1(VALU_DEP_1)
	v_dual_fma_f32 v44, v44, v42, -v46 :: v_dual_fmac_f32 v43, v45, v42
	v_dual_add_f32 v40, v40, v44 :: v_dual_add_f32 v41, v41, v43
	s_or_b32 exec_lo, exec_lo, s12
	s_and_saveexec_b32 s12, s22
	s_cbranch_execz .LBB164_883
.LBB164_1108:                           ;   in Loop: Header=BB164_3 Depth=1
	ds_load_b64 v[42:43], v65 offset:27584
	ds_load_b64 v[44:45], v60 offset:25000
	s_wait_dscnt 0x0
	v_dual_mul_f32 v46, v45, v43 :: v_dual_mul_f32 v47, v44, v43
	s_delay_alu instid0(VALU_DEP_1) | instskip(NEXT) | instid1(VALU_DEP_1)
	v_dual_fma_f32 v46, v44, v42, -v46 :: v_dual_fmac_f32 v47, v45, v42
	v_pk_add_f32 v[40:41], v[40:41], v[46:47]
	s_or_b32 exec_lo, exec_lo, s12
	s_and_saveexec_b32 s12, s5
	s_cbranch_execz .LBB164_884
.LBB164_1109:                           ;   in Loop: Header=BB164_3 Depth=1
	ds_load_b64 v[42:43], v64 offset:28096
	ds_load_b64 v[44:45], v60 offset:25008
	s_wait_dscnt 0x0
	v_pk_mul_f32 v[46:47], v[44:45], v[42:43] op_sel:[1,1] op_sel_hi:[0,1]
	s_delay_alu instid0(VALU_DEP_1) | instskip(SKIP_1) | instid1(VALU_DEP_2)
	v_pk_fma_f32 v[98:99], v[44:45], v[42:43], v[46:47] op_sel_hi:[1,0,1]
	v_pk_fma_f32 v[42:43], v[44:45], v[42:43], v[46:47] neg_lo:[0,0,1] neg_hi:[0,0,1]
	v_mov_b32_e32 v43, v99
	s_delay_alu instid0(VALU_DEP_1)
	v_pk_add_f32 v[40:41], v[40:41], v[42:43]
	s_or_b32 exec_lo, exec_lo, s12
	s_and_saveexec_b32 s12, s17
	s_cbranch_execnz .LBB164_885
	s_branch .LBB164_886
.LBB164_1110:                           ;   in Loop: Header=BB164_3 Depth=1
	ds_load_b64 v[42:43], v56 offset:29664
	ds_load_b64 v[44:45], v51 offset:29128
	s_wait_dscnt 0x0
	v_dual_mul_f32 v46, v45, v43 :: v_dual_mul_f32 v43, v44, v43
	s_delay_alu instid0(VALU_DEP_1) | instskip(NEXT) | instid1(VALU_DEP_1)
	v_dual_fma_f32 v44, v44, v42, -v46 :: v_dual_fmac_f32 v43, v45, v42
	v_dual_add_f32 v40, v40, v44 :: v_dual_add_f32 v41, v41, v43
	s_or_b32 exec_lo, exec_lo, s12
	s_and_saveexec_b32 s12, s17
	s_cbranch_execz .LBB164_942
.LBB164_1111:                           ;   in Loop: Header=BB164_3 Depth=1
	ds_load_b64 v[42:43], v55 offset:30176
	ds_load_b64 v[44:45], v51 offset:29136
	s_wait_dscnt 0x0
	v_dual_mul_f32 v46, v45, v43 :: v_dual_mul_f32 v43, v44, v43
	s_delay_alu instid0(VALU_DEP_1) | instskip(NEXT) | instid1(VALU_DEP_1)
	v_dual_fma_f32 v44, v44, v42, -v46 :: v_dual_fmac_f32 v43, v45, v42
	v_dual_add_f32 v40, v40, v44 :: v_dual_add_f32 v41, v41, v43
	s_or_b32 exec_lo, exec_lo, s12
	s_and_saveexec_b32 s12, s3
	s_cbranch_execnz .LBB164_943
	s_branch .LBB164_944
.LBB164_1112:
	s_endpgm
	.section	.rodata,"a",@progbits
	.p2align	6, 0x0
	.amdhsa_kernel _ZL19rocblas_trsv_deviceILi64ELi16ELb1ELb1ELb0ELb1E19rocblas_complex_numIfES1_PKPKS1_PKPS1_EviT7_lllT6_T8_lllPii
		.amdhsa_group_segment_fixed_size 41480
		.amdhsa_private_segment_fixed_size 48
		.amdhsa_kernarg_size 352
		.amdhsa_user_sgpr_count 2
		.amdhsa_user_sgpr_dispatch_ptr 0
		.amdhsa_user_sgpr_queue_ptr 0
		.amdhsa_user_sgpr_kernarg_segment_ptr 1
		.amdhsa_user_sgpr_dispatch_id 0
		.amdhsa_user_sgpr_kernarg_preload_length 0
		.amdhsa_user_sgpr_kernarg_preload_offset 0
		.amdhsa_user_sgpr_private_segment_size 0
		.amdhsa_wavefront_size32 1
		.amdhsa_uses_dynamic_stack 0
		.amdhsa_enable_private_segment 1
		.amdhsa_system_sgpr_workgroup_id_x 1
		.amdhsa_system_sgpr_workgroup_id_y 0
		.amdhsa_system_sgpr_workgroup_id_z 1
		.amdhsa_system_sgpr_workgroup_info 0
		.amdhsa_system_vgpr_workitem_id 1
		.amdhsa_next_free_vgpr 107
		.amdhsa_next_free_sgpr 105
		.amdhsa_named_barrier_count 0
		.amdhsa_reserve_vcc 1
		.amdhsa_float_round_mode_32 0
		.amdhsa_float_round_mode_16_64 0
		.amdhsa_float_denorm_mode_32 3
		.amdhsa_float_denorm_mode_16_64 3
		.amdhsa_fp16_overflow 0
		.amdhsa_memory_ordered 1
		.amdhsa_forward_progress 1
		.amdhsa_inst_pref_size 255
		.amdhsa_round_robin_scheduling 0
		.amdhsa_exception_fp_ieee_invalid_op 0
		.amdhsa_exception_fp_denorm_src 0
		.amdhsa_exception_fp_ieee_div_zero 0
		.amdhsa_exception_fp_ieee_overflow 0
		.amdhsa_exception_fp_ieee_underflow 0
		.amdhsa_exception_fp_ieee_inexact 0
		.amdhsa_exception_int_div_zero 0
	.end_amdhsa_kernel
	.section	.text._ZL19rocblas_trsv_deviceILi64ELi16ELb1ELb1ELb0ELb1E19rocblas_complex_numIfES1_PKPKS1_PKPS1_EviT7_lllT6_T8_lllPii,"axG",@progbits,_ZL19rocblas_trsv_deviceILi64ELi16ELb1ELb1ELb0ELb1E19rocblas_complex_numIfES1_PKPKS1_PKPS1_EviT7_lllT6_T8_lllPii,comdat
.Lfunc_end164:
	.size	_ZL19rocblas_trsv_deviceILi64ELi16ELb1ELb1ELb0ELb1E19rocblas_complex_numIfES1_PKPKS1_PKPS1_EviT7_lllT6_T8_lllPii, .Lfunc_end164-_ZL19rocblas_trsv_deviceILi64ELi16ELb1ELb1ELb0ELb1E19rocblas_complex_numIfES1_PKPKS1_PKPS1_EviT7_lllT6_T8_lllPii
                                        ; -- End function
	.set _ZL19rocblas_trsv_deviceILi64ELi16ELb1ELb1ELb0ELb1E19rocblas_complex_numIfES1_PKPKS1_PKPS1_EviT7_lllT6_T8_lllPii.num_vgpr, 107
	.set _ZL19rocblas_trsv_deviceILi64ELi16ELb1ELb1ELb0ELb1E19rocblas_complex_numIfES1_PKPKS1_PKPS1_EviT7_lllT6_T8_lllPii.num_agpr, 0
	.set _ZL19rocblas_trsv_deviceILi64ELi16ELb1ELb1ELb0ELb1E19rocblas_complex_numIfES1_PKPKS1_PKPS1_EviT7_lllT6_T8_lllPii.numbered_sgpr, 105
	.set _ZL19rocblas_trsv_deviceILi64ELi16ELb1ELb1ELb0ELb1E19rocblas_complex_numIfES1_PKPKS1_PKPS1_EviT7_lllT6_T8_lllPii.num_named_barrier, 0
	.set _ZL19rocblas_trsv_deviceILi64ELi16ELb1ELb1ELb0ELb1E19rocblas_complex_numIfES1_PKPKS1_PKPS1_EviT7_lllT6_T8_lllPii.private_seg_size, 48
	.set _ZL19rocblas_trsv_deviceILi64ELi16ELb1ELb1ELb0ELb1E19rocblas_complex_numIfES1_PKPKS1_PKPS1_EviT7_lllT6_T8_lllPii.uses_vcc, 1
	.set _ZL19rocblas_trsv_deviceILi64ELi16ELb1ELb1ELb0ELb1E19rocblas_complex_numIfES1_PKPKS1_PKPS1_EviT7_lllT6_T8_lllPii.uses_flat_scratch, 0
	.set _ZL19rocblas_trsv_deviceILi64ELi16ELb1ELb1ELb0ELb1E19rocblas_complex_numIfES1_PKPKS1_PKPS1_EviT7_lllT6_T8_lllPii.has_dyn_sized_stack, 0
	.set _ZL19rocblas_trsv_deviceILi64ELi16ELb1ELb1ELb0ELb1E19rocblas_complex_numIfES1_PKPKS1_PKPS1_EviT7_lllT6_T8_lllPii.has_recursion, 0
	.set _ZL19rocblas_trsv_deviceILi64ELi16ELb1ELb1ELb0ELb1E19rocblas_complex_numIfES1_PKPKS1_PKPS1_EviT7_lllT6_T8_lllPii.has_indirect_call, 0
	.section	.AMDGPU.csdata,"",@progbits
; Kernel info:
; codeLenInByte = 40928
; TotalNumSgprs: 107
; NumVgprs: 107
; ScratchSize: 48
; MemoryBound: 0
; FloatMode: 240
; IeeeMode: 1
; LDSByteSize: 41480 bytes/workgroup (compile time only)
; SGPRBlocks: 0
; VGPRBlocks: 6
; NumSGPRsForWavesPerEU: 107
; NumVGPRsForWavesPerEU: 107
; NamedBarCnt: 0
; Occupancy: 9
; WaveLimiterHint : 1
; COMPUTE_PGM_RSRC2:SCRATCH_EN: 1
; COMPUTE_PGM_RSRC2:USER_SGPR: 2
; COMPUTE_PGM_RSRC2:TRAP_HANDLER: 0
; COMPUTE_PGM_RSRC2:TGID_X_EN: 1
; COMPUTE_PGM_RSRC2:TGID_Y_EN: 0
; COMPUTE_PGM_RSRC2:TGID_Z_EN: 1
; COMPUTE_PGM_RSRC2:TIDIG_COMP_CNT: 1
	.section	.text._ZL19rocblas_trsv_deviceILi64ELi16ELb1ELb1ELb1ELb1E19rocblas_complex_numIfES1_PKPKS1_PKPS1_EviT7_lllT6_T8_lllPii,"axG",@progbits,_ZL19rocblas_trsv_deviceILi64ELi16ELb1ELb1ELb1ELb1E19rocblas_complex_numIfES1_PKPKS1_PKPS1_EviT7_lllT6_T8_lllPii,comdat
	.globl	_ZL19rocblas_trsv_deviceILi64ELi16ELb1ELb1ELb1ELb1E19rocblas_complex_numIfES1_PKPKS1_PKPS1_EviT7_lllT6_T8_lllPii ; -- Begin function _ZL19rocblas_trsv_deviceILi64ELi16ELb1ELb1ELb1ELb1E19rocblas_complex_numIfES1_PKPKS1_PKPS1_EviT7_lllT6_T8_lllPii
	.p2align	8
	.type	_ZL19rocblas_trsv_deviceILi64ELi16ELb1ELb1ELb1ELb1E19rocblas_complex_numIfES1_PKPKS1_PKPS1_EviT7_lllT6_T8_lllPii,@function
_ZL19rocblas_trsv_deviceILi64ELi16ELb1ELb1ELb1ELb1E19rocblas_complex_numIfES1_PKPKS1_PKPS1_EviT7_lllT6_T8_lllPii: ; @_ZL19rocblas_trsv_deviceILi64ELi16ELb1ELb1ELb1ELb1E19rocblas_complex_numIfES1_PKPKS1_PKPS1_EviT7_lllT6_T8_lllPii
; %bb.0:
	s_load_b32 s61, s[0:1], 0x58
	s_bfe_u32 s2, ttmp6, 0x40014
	s_lshr_b32 s3, ttmp7, 16
	s_add_co_i32 s2, s2, 1
	s_bfe_u32 s5, ttmp6, 0x40008
	s_mul_i32 s4, s3, s2
	s_getreg_b32 s2, hwreg(HW_REG_IB_STS2, 6, 4)
	s_add_co_i32 s5, s5, s4
	s_cmp_eq_u32 s2, 0
	s_mov_b32 s63, 0
	s_cselect_b32 s62, s3, s5
	s_wait_kmcnt 0x0
	s_cmp_ge_u32 s62, s61
	s_cbranch_scc1 .LBB165_1126
; %bb.1:
	s_clause 0x2
	s_load_b32 s3, s[0:1], 0x6c
	s_load_b32 s87, s[0:1], 0x60
	;; [unrolled: 1-line block ×3, first 2 shown]
	s_bfe_u32 s5, ttmp6, 0x4000c
	s_and_b32 s4, ttmp6, 15
	s_add_co_i32 s5, s5, 1
	s_clause 0x1
	s_load_b64 s[14:15], s[0:1], 0x18
	s_load_b64 s[52:53], s[0:1], 0x28
	s_mul_i32 s5, ttmp9, s5
	v_and_b32_e32 v4, 0x3ff, v0
	s_add_co_i32 s4, s4, s5
	s_cmp_eq_u32 s2, 0
	v_mov_b32_e32 v3, 0
	s_cselect_b32 s86, ttmp9, s4
	v_bfe_u32 v6, v0, 10, 10
	v_lshlrev_b32_e32 v1, 6, v4
                                        ; implicit-def: $vgpr107 : SGPR spill to VGPR lane
	v_cmp_gt_u32_e64 s6, 2, v4
	v_mov_b32_e32 v9, v3
	v_cmp_gt_u32_e64 s13, 32, v4
	v_add_nc_u32_e32 v2, 16, v6
	v_lshl_add_u32 v29, v6, 6, v4
	s_wait_kmcnt 0x0
	s_and_b32 s2, s3, 0xffff
	s_add_co_i32 s87, s87, -1
	s_add_co_i32 s3, s72, -1
	s_ashr_i32 s73, s72, 31
	s_ashr_i32 s4, s3, 31
	s_lshr_b32 s5, s73, 26
	s_lshr_b32 s4, s4, 26
	s_add_co_i32 s5, s72, s5
	s_add_co_i32 s3, s3, s4
	s_and_not1_b32 s5, s5, 63
	s_sub_co_i32 s20, s87, s86
	s_ashr_i32 s3, s3, 6
	s_sub_co_i32 s21, s72, s5
	s_cmp_eq_u32 s3, s20
	v_lshl_add_u32 v15, v2, 6, v4
	s_cselect_b32 s3, -1, 0
	s_cmp_lg_u32 s21, 0
	v_mad_u32_u24 v8, v6, s2, v4
	s_cselect_b32 s4, -1, 0
	s_clause 0x1
	s_load_b64 s[76:77], s[0:1], 0x40
	s_load_b64 s[78:79], s[0:1], 0x50
	s_and_b32 s34, s4, s3
	s_add_nc_u64 s[4:5], s[14:15], 1
	s_xor_b32 s88, s34, -1
	s_cmp_lg_u32 s86, 0
	s_clause 0x1
	s_load_b128 s[64:67], s[0:1], 0x8
	s_load_b128 s[68:71], s[0:1], 0x30
	s_cselect_b32 s3, -1, 0
	s_lshl_b32 s18, s20, 6
	s_cmp_lt_i32 s86, 5
	v_dual_add_nc_u32 v7, s18, v6 :: v_dual_add_nc_u32 v20, s18, v4
	v_add_nc_u32_e32 v5, v6, v1
	v_add_nc_u32_e32 v14, v2, v1
	s_cselect_b32 vcc_lo, -1, 0
	s_delay_alu instid0(VALU_DEP_3) | instskip(SKIP_3) | instid1(VALU_DEP_3)
	v_add_nc_u32_e32 v10, 64, v7
	s_or_b32 s8, vcc_lo, s34
	v_dual_cndmask_b32 v24, v29, v5 :: v_dual_ashrrev_i32 v21, 31, v20
	v_dual_cndmask_b32 v25, v15, v14, s8 :: v_dual_bitop2_b32 v5, 1, v0 bitop3:0x40
	v_ashrrev_i32_e32 v11, 31, v10
	s_ashr_i32 s19, s18, 31
	v_writelane_b32 v107, s3, 0
	s_mul_u64 s[16:17], s[4:5], s[18:19]
	v_cmp_eq_u32_e64 s5, 1, v5
	v_dual_lshrrev_b32 v14, 10, v0 :: v_dual_lshrrev_b32 v15, 1, v29
	v_dual_lshlrev_b32 v16, 3, v5 :: v_dual_lshlrev_b32 v51, 3, v4
	v_cmp_gt_u32_e64 s3, 4, v29
	s_xor_b32 s4, s5, -1
	v_bitop3_b32 v31, v0, v14, 0x3ff bitop3:0xa8
	v_lshl_add_u32 v5, v15, 3, 0x8000
	v_lshl_or_b32 v49, v15, 9, v16
	v_mul_u32_u24_e32 v50, 0x208, v15
	v_dual_lshrrev_b32 v14, 2, v29 :: v_dual_bitop2_b32 v15, 3, v0 bitop3:0x40
	s_and_b32 s91, s4, s3
	v_cmp_eq_u32_e64 s4, 0, v6
	s_and_b32 s92, s5, s3
	v_dual_lshlrev_b32 v16, 3, v14 :: v_dual_lshlrev_b32 v53, 3, v15
	v_mul_u32_u24_e32 v52, 0x208, v14
	s_and_b32 s93, s4, s6
	v_cmp_gt_u32_e64 s5, 16, v29
	v_cmp_eq_u32_e64 s6, 0, v15
	v_cmp_ne_u32_e64 s7, 0, v15
	v_sub_nc_u32_e32 v18, v52, v16
	v_add_nc_u32_e32 v55, 0x8000, v16
	v_cmp_eq_u32_e64 s9, 1, v15
	s_and_b32 s94, s6, s5
	v_cmp_eq_u32_e64 s6, 2, v15
	v_cmp_lt_u32_e64 s10, 1, v15
	s_and_b32 s95, s7, s5
	v_cmp_gt_u32_e64 s7, 4, v4
	v_and_b32_e32 v16, 7, v0
	s_and_b32 s98, s6, s5
	v_cmp_eq_u32_e64 s6, 3, v15
	v_lshrrev_b32_e32 v15, 3, v29
	v_add_nc_u32_e32 v57, v18, v53
	s_and_b32 s100, s4, s7
	v_cmp_eq_u32_e64 s7, 0, v16
	s_and_b32 s99, s6, s5
	v_cmp_gt_u32_e64 s6, 64, v29
	s_and_b32 s96, s9, s5
	v_cmp_ne_u32_e64 s9, 0, v16
	s_and_b32 s97, s10, s5
	v_cmp_eq_u32_e64 s10, 1, v16
	s_and_b32 s101, s7, s6
	v_cmp_lt_u32_e64 s7, 1, v16
	s_and_b32 s102, s9, s6
	v_cmp_eq_u32_e64 s9, 2, v16
	v_dual_lshlrev_b32 v62, 3, v16 :: v_dual_bitop2_b32 v18, -8, v29 bitop3:0x40
	s_and_b32 s104, s7, s6
	v_cmp_eq_u32_e64 s7, 3, v16
	v_mul_u32_u24_e32 v61, 0x208, v15
	s_and_b32 s103, s10, s6
	v_cmp_lt_u32_e64 s10, 2, v16
	s_and_b32 vcc_hi, s9, s6
	v_cmp_lt_u32_e64 s9, 3, v16
	s_and_b32 s38, s7, s6
	v_cmp_lt_u32_e64 s7, 4, v16
	v_sub_nc_u32_e32 v19, v61, v18
	s_and_b32 s37, s10, s6
	v_cmp_eq_u32_e64 s10, 4, v16
	s_and_b32 s39, s9, s6
	v_cmp_eq_u32_e64 s9, 5, v16
	s_and_b32 s42, s7, s6
	v_cmp_lt_u32_e64 s7, 5, v16
	v_lshl_or_b32 v65, v15, 9, v62
	s_and_b32 s40, s10, s6
	v_cmp_eq_u32_e64 s10, 6, v16
	s_and_b32 s43, s9, s6
	v_cmp_eq_u32_e64 s9, 7, v16
	s_and_b32 s44, s7, s6
	v_dual_lshrrev_b32 v15, 4, v29 :: v_dual_add_nc_u32 v66, v19, v62
	v_and_b32_e32 v16, 15, v0
	v_cmp_gt_u32_e64 s7, 8, v4
	s_and_b32 s46, s9, s6
	s_and_b32 s45, s10, s6
	v_dual_mov_b32 v33, v3 :: v_dual_add_nc_u32 v64, 0x8000, v18
	s_and_b32 s47, s4, s7
	v_cmp_gt_u32_e64 s7, 0x100, v29
	v_cmp_eq_u32_e64 s9, 0, v16
	v_cmp_ne_u32_e64 s10, 0, v16
	v_cmp_eq_u32_e64 s11, 2, v16
	v_cmp_lt_u32_e64 s12, 2, v16
	v_dual_lshlrev_b32 v18, 3, v15 :: v_dual_lshlrev_b32 v74, 3, v16
	s_and_b32 s9, s9, s7
	s_and_b32 s10, s10, s7
	v_writelane_b32 v107, s9, 1
	v_cmp_eq_u32_e64 s9, 1, v16
	v_mul_u32_u24_e32 v72, 0x208, v15
	v_lshl_or_b32 v76, v15, 9, v74
	v_lshrrev_b32_e32 v15, 5, v29
	v_writelane_b32 v107, s10, 2
	v_cmp_lt_u32_e64 s10, 1, v16
	s_and_b32 s9, s9, s7
	v_dual_sub_nc_u32 v19, v72, v18 :: v_dual_bitop2_b32 v78, 31, v0 bitop3:0x40
	v_writelane_b32 v107, s9, 3
	s_and_b32 s10, s10, s7
	v_cmp_eq_u32_e64 s9, 3, v16
	s_delay_alu instid0(VALU_DEP_3)
	v_dual_add_nc_u32 v77, v19, v74 :: v_dual_lshlrev_b32 v79, 3, v15
	v_add_nc_u32_e32 v32, 32, v6
	v_writelane_b32 v107, s10, 4
	s_and_b32 s10, s11, s7
	s_and_b32 s9, s9, s7
	v_cmp_lt_u32_e64 s11, 4, v16
	v_dual_mov_b32 v35, v3 :: v_dual_add_nc_u32 v0, 0x50, v7
	v_writelane_b32 v107, s10, 5
	s_and_b32 s10, s12, s7
	v_cmp_eq_u32_e64 s12, 5, v16
	s_and_b32 s57, s11, s7
	v_cmp_eq_u32_e64 s11, 7, v16
	v_writelane_b32 v107, s10, 6
	v_cmp_lt_u32_e64 s10, 3, v16
	s_and_b32 s58, s12, s7
	v_cmp_lt_u32_e64 s12, 7, v16
	s_and_b32 s24, s11, s7
	v_writelane_b32 v107, s9, 7
	v_cmp_eq_u32_e64 s9, 4, v16
	s_and_b32 s10, s10, s7
	s_and_b32 s26, s12, s7
	v_cmp_lt_u32_e64 s11, 9, v16
	v_writelane_b32 v107, s10, 8
	v_cmp_lt_u32_e64 s10, 5, v16
	s_and_b32 s9, s9, s7
	v_cmp_eq_u32_e64 s12, 10, v16
	s_and_b32 s41, s11, s7
	v_writelane_b32 v107, s9, 9
	v_cmp_eq_u32_e64 s9, 6, v16
	s_and_b32 s59, s10, s7
	v_cmp_lt_u32_e64 s10, 6, v16
	s_and_b32 s80, s12, s7
	v_cmp_eq_u32_e64 s11, 12, v16
	s_and_b32 s60, s9, s7
	v_cmp_eq_u32_e64 s9, 8, v16
	s_and_b32 s22, s10, s7
	v_cmp_lt_u32_e64 s10, 8, v16
	v_cmp_lt_u32_e64 s12, 12, v16
	s_and_b32 s23, s11, s7
	s_and_b32 s28, s9, s7
	v_cmp_eq_u32_e64 s9, 9, v16
	s_and_b32 s30, s10, s7
	v_cmp_lt_u32_e64 s10, 10, v16
	s_and_b32 s25, s12, s7
	v_cmp_eq_u32_e64 s11, 15, v16
	s_and_b32 s33, s9, s7
	v_cmp_eq_u32_e64 s9, 11, v16
	s_and_b32 s81, s10, s7
	v_cmp_lt_u32_e64 s10, 11, v16
	v_cmp_gt_u32_e64 s12, 16, v4
	v_add_nc_u32_e32 v34, 48, v6
	s_and_b32 s74, s9, s7
	v_cmp_eq_u32_e64 s9, 13, v16
	s_and_b32 s75, s10, s7
	v_cmp_lt_u32_e64 s10, 13, v16
	s_and_b32 s48, s4, s12
	v_lshlrev_b32_e32 v80, 9, v15
	s_and_b32 s27, s9, s7
	v_cmp_eq_u32_e64 s9, 14, v16
	s_and_b32 s29, s10, s7
	v_add_nc_u32_e32 v16, 0x60, v7
	v_add_nc_u32_e32 v7, 0x70, v7
	v_cmp_gt_i32_e64 s10, s72, v0
	v_add_nc_u32_e32 v0, v32, v1
	s_and_b32 s31, s9, s7
	v_cmp_le_i32_e64 s9, s21, v4
	v_cmp_gt_i32_e64 s12, s72, v7
	v_lshl_add_u32 v7, v32, 6, v4
	v_add_nc_u32_e32 v1, v34, v1
	v_lshl_add_u32 v15, v34, 6, v4
	s_and_b32 s49, s9, s34
	s_xor_b32 s90, s8, -1
	v_cmp_gt_i32_e32 vcc_lo, s21, v4
	v_dual_cndmask_b32 v26, v7, v0, s8 :: v_dual_lshlrev_b32 v81, 3, v25
	s_xor_b32 s34, s49, -1
	s_and_b32 s13, s4, s13
	v_cndmask_b32_e64 v27, v15, v1, s8
	v_cmp_le_i32_e64 s8, s21, v6
	s_and_b32 s89, s11, s7
	v_writelane_b32 v107, s13, 10
	s_and_b32 s50, s4, s34
	s_xor_b32 s34, s53, 0x80000000
	s_cmp_gt_i32 s86, 0
	v_cmp_gt_i32_e64 s2, s72, v20
	v_add_nc_u64_e32 v[22:23], s[18:19], v[8:9]
	s_cselect_b32 s51, -1, 0
	s_or_b32 s18, s8, s9
	v_cmp_gt_i32_e64 s8, s72, v10
	s_wait_xcnt 0x0
	s_and_b32 s0, s4, vcc_lo
	v_mov_b32_e32 v7, v3
	v_writelane_b32 v107, s0, 11
	v_cmp_gt_i32_e64 s11, s72, v16
	s_and_b32 s0, s8, s2
	v_cmp_le_i32_e64 s13, s21, v2
	v_mul_u32_u24_e32 v17, 0x1f8, v4
	v_writelane_b32 v107, s0, 12
	s_and_b32 s0, s10, s2
	v_lshl_or_b32 v56, v14, 9, v53
	v_mul_i32_i24_e32 v14, 0xfffffe08, v4
	s_or_b32 s19, s13, s9
	v_writelane_b32 v107, s0, 13
	s_and_b32 s0, s11, s2
	v_mul_u64_e32 v[12:13], s[14:15], v[20:21]
	v_add_nc_u32_e32 v75, 0x8000, v18
	v_add_lshl_u32 v36, v17, v14, 2
	v_writelane_b32 v107, s0, 14
	s_and_b32 s0, s12, s2
	v_mul_u64_e32 v[0:1], s[14:15], v[32:33]
	v_mul_u64_e32 v[14:15], s[14:15], v[34:35]
	v_mul_u64_e32 v[16:17], s[14:15], v[2:3]
	v_writelane_b32 v107, s0, 15
	v_cmp_le_u32_e64 s0, v4, v6
	v_mul_u64_e32 v[18:19], s[14:15], v[6:7]
	v_cmp_le_i32_e64 s14, s21, v32
	v_cmp_le_i32_e64 s15, s21, v34
	s_mov_b32 s35, s53
	s_or_b32 s1, s18, s0
	s_mov_b32 s53, s52
	v_writelane_b32 v107, s1, 16
	v_cmp_le_u32_e64 s1, v4, v2
	s_or_b32 s14, s14, s9
	s_or_b32 s15, s15, s9
	v_dual_lshlrev_b32 v2, 3, v4 :: v_dual_bitop2_b32 v37, v2, v4 bitop3:0x54
	s_or_b32 s8, s19, s1
	v_cmp_gt_u32_e64 s11, 64, v31
	v_writelane_b32 v107, s8, 17
	v_cmp_le_u32_e64 s8, v4, v32
	v_dual_lshlrev_b32 v87, 3, v78 :: v_dual_bitop2_b32 v33, v32, v4 bitop3:0x54
                                        ; implicit-def: $vgpr106 : SGPR spill to VGPR lane
	v_dual_lshlrev_b32 v9, 3, v24 :: v_dual_lshlrev_b32 v24, 3, v6
	v_lshlrev_b32_e32 v84, 3, v27
	s_or_b32 s9, s14, s8
	v_mad_u32_u24 v54, 0x1f8, v4, v51
	v_writelane_b32 v107, s9, 18
	v_cmp_le_u32_e64 s9, v4, v34
	v_or_b32_e32 v85, 0xa000, v24
	v_or_b32_e32 v35, v34, v4
	v_mad_i32_i24 v58, 0xfffffe08, v4, v54
	s_wait_kmcnt 0x0
	v_mul_u64_e32 v[20:21], s[76:77], v[20:21]
	s_or_b32 s10, s15, s9
	v_add_nc_u32_e32 v94, v85, v51
	v_writelane_b32 v107, s10, 19
	v_mad_u32_u24 v59, 0x1f8, v4, v58
	v_mul_u64_e32 v[22:23], s[76:77], v[22:23]
	v_cmp_lt_u32_e32 vcc_lo, 0x3ff, v29
	s_add_co_i32 s13, s20, 1
	v_writelane_b32 v107, s34, 20
	v_mad_i32_i24 v60, 0xfffffe08, v4, v59
	v_add_nc_u32_e32 v88, 0x8000, v79
	v_or_b32_e32 v89, v80, v87
	v_lshl_add_u32 v90, v8, 3, 0xa000
	v_writelane_b32 v107, s35, 21
	v_mad_u32_u24 v63, 0x1f8, v4, v60
	v_lshl_add_u32 v91, v29, 3, 0x8000
	v_add_nc_u32_e32 v92, 0x8000, v51
	v_add3_u32 v95, v51, v36, 0x7800
	v_writelane_b32 v107, s52, 22
	v_mad_i32_i24 v67, 0xfffffe08, v4, v63
	s_lshl_b64 s[82:83], s[16:17], 3
	v_or_b32_e32 v96, 0x4100, v87
	v_subrev_nc_u32_e32 v97, 63, v4
	v_writelane_b32 v107, s53, 23
	v_mad_u32_u24 v68, 0x1f8, v4, v67
	v_cmp_eq_u32_e64 s10, 0, v31
	v_cmp_gt_u32_e64 s14, 2, v29
	v_cmp_gt_u32_e64 s15, 12, v29
	v_writelane_b32 v107, s11, 24
	v_cmp_gt_u32_e64 s11, 64, v37
	v_mad_i32_i24 v69, 0xfffffe08, v4, v68
	v_cmp_gt_u32_e64 s16, 8, v29
	v_cmp_gt_u32_e64 s17, 56, v29
	;; [unrolled: 1-line block ×3, first 2 shown]
	v_writelane_b32 v107, s11, 25
	v_cmp_gt_u32_e64 s11, 64, v33
	v_mad_u32_u24 v70, 0x1f8, v4, v69
	v_cmp_gt_u32_e64 s19, 40, v29
	v_cmp_gt_u32_e64 s20, 32, v29
	;; [unrolled: 1-line block ×3, first 2 shown]
	v_writelane_b32 v107, s11, 26
	v_cmp_gt_u32_e64 s11, 0xf0, v29
	v_mad_i32_i24 v71, 0xfffffe08, v4, v70
	v_cmp_gt_u32_e64 s34, 0x400, v29
	v_cmp_eq_u32_e64 s35, 0, v8
	v_cmp_gt_u32_e64 s36, 64, v8
	v_writelane_b32 v107, s11, 27
	v_cmp_gt_u32_e64 s11, 0xe0, v29
	v_mad_u32_u24 v73, 0x1f8, v4, v71
	v_lshl_add_u32 v93, v6, 9, v71
	s_xor_b32 s12, vcc_lo, -1
	s_lshl_b64 s[66:67], s[66:67], 3
	v_writelane_b32 v107, s11, 28
	v_cmp_gt_u32_e64 s11, 0xd0, v29
	v_mad_i32_i24 v7, 0xfffffe08, v4, v73
	s_lshl_b64 s[70:71], s[70:71], 3
                                        ; implicit-def: $vgpr28
                                        ; implicit-def: $vgpr30
                                        ; implicit-def: $vgpr32
                                        ; implicit-def: $vgpr34
	v_writelane_b32 v107, s11, 29
	v_cmp_gt_u32_e64 s11, 0xc0, v29
	s_delay_alu instid0(VALU_DEP_3) | instskip(SKIP_2) | instid1(VALU_DEP_4)
	v_mad_u32_u24 v82, 0x1f8, v4, v7
	v_lshlrev_b32_e32 v83, 3, v26
	v_mov_b64_e32 v[26:27], 0x3f800000
	v_writelane_b32 v107, s11, 30
	v_cmp_gt_u32_e64 s11, 0xb0, v29
	v_add_nc_u32_e32 v86, v82, v24
	v_mov_b64_e32 v[24:25], 0
	s_delay_alu instid0(VALU_DEP_3) | instskip(SKIP_1) | instid1(VALU_DEP_1)
	v_writelane_b32 v107, s11, 31
	v_cmp_gt_u32_e64 s11, 0xa0, v29
	v_writelane_b32 v106, s11, 0
	v_cmp_gt_u32_e64 s11, 0x90, v29
	s_delay_alu instid0(VALU_DEP_1) | instskip(SKIP_1) | instid1(VALU_DEP_1)
	v_writelane_b32 v106, s11, 1
	v_cmp_gt_u32_e64 s11, 0x80, v29
	v_writelane_b32 v106, s11, 2
	v_cmp_gt_u32_e64 s11, 0x70, v29
	s_delay_alu instid0(VALU_DEP_1) | instskip(SKIP_1) | instid1(VALU_DEP_1)
	v_writelane_b32 v106, s11, 3
	v_cmp_gt_u32_e64 s11, 0x60, v29
	v_writelane_b32 v106, s11, 4
	v_cmp_gt_u32_e64 s11, 0x50, v29
	s_delay_alu instid0(VALU_DEP_1) | instskip(SKIP_1) | instid1(VALU_DEP_1)
	v_writelane_b32 v106, s11, 5
	v_cmp_gt_u32_e64 s11, 0x3e0, v29
	v_writelane_b32 v106, s11, 6
	v_cmp_gt_u32_e64 s11, 0x3c0, v29
	s_delay_alu instid0(VALU_DEP_1) | instskip(SKIP_1) | instid1(VALU_DEP_1)
	v_writelane_b32 v106, s11, 7
	v_cmp_gt_u32_e64 s11, 0x3a0, v29
	v_writelane_b32 v106, s11, 8
	v_cmp_gt_u32_e64 s11, 0x380, v29
	s_delay_alu instid0(VALU_DEP_1) | instskip(SKIP_1) | instid1(VALU_DEP_1)
	v_writelane_b32 v106, s11, 9
	v_cmp_gt_u32_e64 s11, 64, v35
	v_writelane_b32 v106, s11, 10
	v_cmp_gt_u32_e64 s11, 0x360, v29
	s_delay_alu instid0(VALU_DEP_1) | instskip(SKIP_1) | instid1(VALU_DEP_1)
	v_writelane_b32 v106, s11, 11
	v_cmp_gt_u32_e64 s11, 0x340, v29
	v_writelane_b32 v106, s11, 12
	v_cmp_gt_u32_e64 s11, 0x320, v29
	s_delay_alu instid0(VALU_DEP_1) | instskip(SKIP_1) | instid1(VALU_DEP_1)
	v_writelane_b32 v106, s11, 13
	v_cmp_gt_u32_e64 s11, 0x300, v29
	v_writelane_b32 v106, s11, 14
	v_cmp_gt_u32_e64 s11, 0x2e0, v29
	s_delay_alu instid0(VALU_DEP_1) | instskip(SKIP_1) | instid1(VALU_DEP_1)
	v_writelane_b32 v106, s11, 15
	v_cmp_gt_u32_e64 s11, 0x2c0, v29
	v_writelane_b32 v106, s11, 16
	v_cmp_gt_u32_e64 s11, 0x2a0, v29
	s_delay_alu instid0(VALU_DEP_1) | instskip(SKIP_1) | instid1(VALU_DEP_1)
	v_writelane_b32 v106, s11, 17
	v_cmp_gt_u32_e64 s11, 0x280, v29
	v_writelane_b32 v106, s11, 18
	v_cmp_gt_u32_e64 s11, 0x260, v29
	s_delay_alu instid0(VALU_DEP_1) | instskip(SKIP_1) | instid1(VALU_DEP_1)
	v_writelane_b32 v106, s11, 19
	v_cmp_gt_u32_e64 s11, 0x240, v29
	v_writelane_b32 v106, s11, 20
	v_cmp_gt_u32_e64 s11, 0x220, v29
	s_delay_alu instid0(VALU_DEP_1) | instskip(SKIP_1) | instid1(VALU_DEP_1)
	v_writelane_b32 v106, s11, 21
	v_cmp_gt_u32_e64 s11, 0x200, v29
	v_writelane_b32 v106, s11, 22
	v_cmp_gt_u32_e64 s11, 0x1e0, v29
	s_delay_alu instid0(VALU_DEP_1) | instskip(SKIP_1) | instid1(VALU_DEP_1)
	v_writelane_b32 v106, s11, 23
	v_cmp_gt_u32_e64 s11, 0x1c0, v29
	v_writelane_b32 v106, s11, 24
	v_cmp_gt_u32_e64 s11, 0x1a0, v29
	s_delay_alu instid0(VALU_DEP_1) | instskip(SKIP_1) | instid1(VALU_DEP_1)
	v_writelane_b32 v106, s11, 25
	v_cmp_gt_u32_e64 s11, 0x180, v29
	v_writelane_b32 v106, s11, 26
	v_cmp_gt_u32_e64 s11, 0x160, v29
	s_delay_alu instid0(VALU_DEP_1) | instskip(SKIP_1) | instid1(VALU_DEP_1)
	v_writelane_b32 v106, s11, 27
	v_cmp_gt_u32_e64 s11, 0x140, v29
	v_writelane_b32 v106, s11, 28
	v_cmp_gt_u32_e64 s11, 0x120, v29
	s_delay_alu instid0(VALU_DEP_1)
	v_writelane_b32 v106, s11, 29
	s_branch .LBB165_3
.LBB165_2:                              ;   in Loop: Header=BB165_3 Depth=1
	s_wait_xcnt 0x0
	s_or_b32 exec_lo, exec_lo, s11
	s_add_co_i32 s62, s62, 0x10000
	global_wb scope:SCOPE_DEV
	s_wait_storecnt 0x0
	global_inv scope:SCOPE_DEV
	s_cmp_lt_u32 s62, s61
	s_cbranch_scc0 .LBB165_1126
.LBB165_3:                              ; =>This Loop Header: Depth=1
                                        ;     Child Loop BB165_537 Depth 2
                                        ;     Child Loop BB165_986 Depth 2
                                        ;       Child Loop BB165_988 Depth 3
                                        ;     Child Loop BB165_1032 Depth 2
	v_mov_b32_e32 v38, s62
	v_readlane_b32 s11, v107, 0
	s_clause 0x1
	global_load_b64 v[36:37], v38, s[64:65] scale_offset
	global_load_b64 v[38:39], v38, s[68:69] scale_offset
	s_and_not1_b32 vcc_lo, exec_lo, s11
	s_wait_loadcnt 0x1
	v_add_nc_u64_e32 v[40:41], s[66:67], v[36:37]
	s_delay_alu instid0(VALU_DEP_1)
	v_lshl_add_u64 v[36:37], v[12:13], 3, v[40:41]
	s_cbranch_vccnz .LBB165_13
; %bb.4:                                ;   in Loop: Header=BB165_3 Depth=1
	s_delay_alu instid0(VALU_DEP_1)
	v_lshl_add_u64 v[42:43], v[10:11], 3, v[36:37]
	v_dual_mov_b32 v30, 0 :: v_dual_mov_b32 v28, 0
	v_mov_b32_e32 v29, 0
	s_wait_loadcnt 0x0
	s_barrier_signal -1
	s_barrier_wait -1
	s_wait_xcnt 0x0
	s_mov_b32 s11, exec_lo
	v_readlane_b32 s52, v107, 12
	s_and_b32 s52, s11, s52
	s_delay_alu instid0(SALU_CYCLE_1)
	s_mov_b32 exec_lo, s52
	s_cbranch_execz .LBB165_6
; %bb.5:                                ;   in Loop: Header=BB165_3 Depth=1
	flat_load_b64 v[28:29], v[42:43]
.LBB165_6:                              ;   in Loop: Header=BB165_3 Depth=1
	s_wait_xcnt 0x0
	s_or_b32 exec_lo, exec_lo, s11
	v_mov_b32_e32 v31, 0
	s_wait_loadcnt_dscnt 0x0
	s_barrier_signal -1
	s_barrier_wait -1
	s_mov_b32 s11, exec_lo
	v_readlane_b32 s52, v107, 13
	s_and_b32 s52, s11, s52
	s_delay_alu instid0(SALU_CYCLE_1)
	s_mov_b32 exec_lo, s52
	s_cbranch_execz .LBB165_8
; %bb.7:                                ;   in Loop: Header=BB165_3 Depth=1
	flat_load_b64 v[30:31], v[42:43] offset:128
.LBB165_8:                              ;   in Loop: Header=BB165_3 Depth=1
	s_wait_xcnt 0x0
	s_or_b32 exec_lo, exec_lo, s11
	v_dual_mov_b32 v35, 0 :: v_dual_mov_b32 v32, 0
	v_mov_b32_e32 v33, 0
	s_wait_loadcnt_dscnt 0x0
	s_barrier_signal -1
	s_barrier_wait -1
	s_mov_b32 s11, exec_lo
	v_readlane_b32 s52, v107, 14
	s_and_b32 s52, s11, s52
	s_delay_alu instid0(SALU_CYCLE_1)
	s_mov_b32 exec_lo, s52
	s_cbranch_execz .LBB165_10
; %bb.9:                                ;   in Loop: Header=BB165_3 Depth=1
	flat_load_b64 v[32:33], v[42:43] offset:256
.LBB165_10:                             ;   in Loop: Header=BB165_3 Depth=1
	s_wait_xcnt 0x0
	s_or_b32 exec_lo, exec_lo, s11
	v_mov_b32_e32 v34, 0
	s_wait_loadcnt_dscnt 0x0
	s_barrier_signal -1
	s_barrier_wait -1
	s_mov_b32 s11, exec_lo
	v_readlane_b32 s52, v107, 15
	s_and_b32 s52, s11, s52
	s_delay_alu instid0(SALU_CYCLE_1)
	s_mov_b32 exec_lo, s52
	s_cbranch_execz .LBB165_12
; %bb.11:                               ;   in Loop: Header=BB165_3 Depth=1
	flat_load_b64 v[34:35], v[42:43] offset:384
.LBB165_12:                             ;   in Loop: Header=BB165_3 Depth=1
	s_wait_xcnt 0x0
	s_or_b32 exec_lo, exec_lo, s11
.LBB165_13:                             ;   in Loop: Header=BB165_3 Depth=1
	v_add_nc_u64_e32 v[40:41], s[82:83], v[40:41]
	s_and_not1_b32 vcc_lo, exec_lo, s88
	s_mov_b32 s11, -1
	s_delay_alu instid0(VALU_DEP_1)
	v_add_nc_u64_e32 v[40:41], v[40:41], v[2:3]
	s_cbranch_vccnz .LBB165_24
; %bb.14:                               ;   in Loop: Header=BB165_3 Depth=1
	s_wait_xcnt 0x0
	s_and_saveexec_b32 s11, s0
	s_delay_alu instid0(SALU_CYCLE_1)
	s_xor_b32 s11, exec_lo, s11
	s_cbranch_execnz .LBB165_1054
; %bb.15:                               ;   in Loop: Header=BB165_3 Depth=1
	s_and_not1_saveexec_b32 s11, s11
	s_cbranch_execnz .LBB165_1057
.LBB165_16:                             ;   in Loop: Header=BB165_3 Depth=1
	s_or_b32 exec_lo, exec_lo, s11
	s_and_saveexec_b32 s11, s1
	s_delay_alu instid0(SALU_CYCLE_1)
	s_xor_b32 s11, exec_lo, s11
	s_cbranch_execnz .LBB165_1058
.LBB165_17:                             ;   in Loop: Header=BB165_3 Depth=1
	s_and_not1_saveexec_b32 s11, s11
	s_cbranch_execnz .LBB165_1061
.LBB165_18:                             ;   in Loop: Header=BB165_3 Depth=1
	s_or_b32 exec_lo, exec_lo, s11
	s_and_saveexec_b32 s11, s8
	s_delay_alu instid0(SALU_CYCLE_1)
	s_xor_b32 s11, exec_lo, s11
	s_cbranch_execnz .LBB165_1062
.LBB165_19:                             ;   in Loop: Header=BB165_3 Depth=1
	s_and_not1_saveexec_b32 s11, s11
	s_cbranch_execnz .LBB165_1065
.LBB165_20:                             ;   in Loop: Header=BB165_3 Depth=1
	s_or_b32 exec_lo, exec_lo, s11
	s_and_saveexec_b32 s11, s9
	s_delay_alu instid0(SALU_CYCLE_1)
	s_xor_b32 s11, exec_lo, s11
	s_cbranch_execnz .LBB165_1066
.LBB165_21:                             ;   in Loop: Header=BB165_3 Depth=1
	s_and_not1_saveexec_b32 s11, s11
	s_cbranch_execz .LBB165_23
.LBB165_22:                             ;   in Loop: Header=BB165_3 Depth=1
	v_lshl_add_u64 v[42:43], v[14:15], 3, v[40:41]
	flat_load_b64 v[42:43], v[42:43]
	s_wait_loadcnt_dscnt 0x0
	v_xor_b32_e32 v42, 0x80000000, v42
	ds_store_b64 v84, v[42:43]
.LBB165_23:                             ;   in Loop: Header=BB165_3 Depth=1
	s_or_b32 exec_lo, exec_lo, s11
	s_mov_b32 s11, 0
.LBB165_24:                             ;   in Loop: Header=BB165_3 Depth=1
	s_delay_alu instid0(SALU_CYCLE_1)
	s_and_b32 vcc_lo, exec_lo, s11
	s_cbranch_vccz .LBB165_50
; %bb.25:                               ;   in Loop: Header=BB165_3 Depth=1
	s_wait_xcnt 0x0
	s_mov_b32 s11, exec_lo
	v_readlane_b32 s52, v107, 16
	s_and_b32 s52, s11, s52
	s_delay_alu instid0(SALU_CYCLE_1)
	s_xor_b32 s11, s52, s11
	s_mov_b32 exec_lo, s52
	s_cbranch_execz .LBB165_29
; %bb.26:                               ;   in Loop: Header=BB165_3 Depth=1
	s_mov_b32 s52, exec_lo
	v_readlane_b32 s53, v107, 24
	s_and_b32 s53, s52, s53
	s_delay_alu instid0(SALU_CYCLE_1)
	s_mov_b32 exec_lo, s53
; %bb.27:                               ;   in Loop: Header=BB165_3 Depth=1
	ds_store_b64 v86, v[24:25]
; %bb.28:                               ;   in Loop: Header=BB165_3 Depth=1
	s_or_b32 exec_lo, exec_lo, s52
.LBB165_29:                             ;   in Loop: Header=BB165_3 Depth=1
	s_and_not1_saveexec_b32 s11, s11
	s_cbranch_execz .LBB165_31
; %bb.30:                               ;   in Loop: Header=BB165_3 Depth=1
	v_lshl_add_u64 v[42:43], v[18:19], 3, v[40:41]
	flat_load_b64 v[42:43], v[42:43]
	s_wait_loadcnt_dscnt 0x0
	v_xor_b32_e32 v42, 0x80000000, v42
	ds_store_b64 v86, v[42:43]
.LBB165_31:                             ;   in Loop: Header=BB165_3 Depth=1
	s_or_b32 exec_lo, exec_lo, s11
	s_delay_alu instid0(SALU_CYCLE_1) | instskip(SKIP_2) | instid1(SALU_CYCLE_1)
	s_mov_b32 s11, exec_lo
	v_readlane_b32 s52, v107, 17
	s_and_b32 s52, s11, s52
	s_xor_b32 s11, s52, s11
	s_mov_b32 exec_lo, s52
	s_cbranch_execz .LBB165_35
; %bb.32:                               ;   in Loop: Header=BB165_3 Depth=1
	s_mov_b32 s52, exec_lo
	v_readlane_b32 s53, v107, 25
	s_and_b32 s53, s52, s53
	s_delay_alu instid0(SALU_CYCLE_1)
	s_mov_b32 exec_lo, s53
; %bb.33:                               ;   in Loop: Header=BB165_3 Depth=1
	ds_store_b64 v81, v[24:25]
; %bb.34:                               ;   in Loop: Header=BB165_3 Depth=1
	s_or_b32 exec_lo, exec_lo, s52
.LBB165_35:                             ;   in Loop: Header=BB165_3 Depth=1
	s_and_not1_saveexec_b32 s11, s11
	s_cbranch_execz .LBB165_37
; %bb.36:                               ;   in Loop: Header=BB165_3 Depth=1
	v_lshl_add_u64 v[42:43], v[16:17], 3, v[40:41]
	flat_load_b64 v[42:43], v[42:43]
	s_wait_loadcnt_dscnt 0x0
	v_xor_b32_e32 v42, 0x80000000, v42
	ds_store_b64 v81, v[42:43]
.LBB165_37:                             ;   in Loop: Header=BB165_3 Depth=1
	s_or_b32 exec_lo, exec_lo, s11
	s_delay_alu instid0(SALU_CYCLE_1) | instskip(SKIP_2) | instid1(SALU_CYCLE_1)
	s_mov_b32 s11, exec_lo
	v_readlane_b32 s52, v107, 18
	s_and_b32 s52, s11, s52
	;; [unrolled: 28-line block ×3, first 2 shown]
	s_xor_b32 s11, s52, s11
	s_mov_b32 exec_lo, s52
	s_cbranch_execz .LBB165_47
; %bb.44:                               ;   in Loop: Header=BB165_3 Depth=1
	s_mov_b32 s52, exec_lo
	v_readlane_b32 s53, v106, 10
	s_and_b32 s53, s52, s53
	s_delay_alu instid0(SALU_CYCLE_1)
	s_mov_b32 exec_lo, s53
; %bb.45:                               ;   in Loop: Header=BB165_3 Depth=1
	ds_store_b64 v84, v[24:25]
; %bb.46:                               ;   in Loop: Header=BB165_3 Depth=1
	s_or_b32 exec_lo, exec_lo, s52
                                        ; implicit-def: $vgpr40_vgpr41
.LBB165_47:                             ;   in Loop: Header=BB165_3 Depth=1
	s_and_not1_saveexec_b32 s11, s11
	s_cbranch_execz .LBB165_49
; %bb.48:                               ;   in Loop: Header=BB165_3 Depth=1
	v_lshl_add_u64 v[40:41], v[14:15], 3, v[40:41]
	flat_load_b64 v[40:41], v[40:41]
	s_wait_loadcnt_dscnt 0x0
	v_xor_b32_e32 v40, 0x80000000, v40
	ds_store_b64 v84, v[40:41]
.LBB165_49:                             ;   in Loop: Header=BB165_3 Depth=1
	s_or_b32 exec_lo, exec_lo, s11
.LBB165_50:                             ;   in Loop: Header=BB165_3 Depth=1
	s_delay_alu instid0(SALU_CYCLE_1)
	s_and_not1_b32 vcc_lo, exec_lo, s90
	s_wait_loadcnt_dscnt 0x0
	s_barrier_signal -1
	s_barrier_wait -1
	s_cbranch_vccnz .LBB165_980
; %bb.51:                               ;   in Loop: Header=BB165_3 Depth=1
	s_and_saveexec_b32 s11, s10
	s_cbranch_execz .LBB165_53
; %bb.52:                               ;   in Loop: Header=BB165_3 Depth=1
	ds_load_b64 v[40:41], v3 offset:8
	ds_store_b64 v3, v[26:27] offset:520
	s_wait_dscnt 0x1
	ds_store_2addr_stride64_b64 v3, v[26:27], v[40:41] offset1:1
.LBB165_53:                             ;   in Loop: Header=BB165_3 Depth=1
	s_or_b32 exec_lo, exec_lo, s11
	v_mov_b64_e32 v[40:41], 0
	s_wait_dscnt 0x0
	s_barrier_signal -1
	s_barrier_wait -1
	s_and_saveexec_b32 s11, s3
	s_cbranch_execz .LBB165_57
; %bb.54:                               ;   in Loop: Header=BB165_3 Depth=1
	ds_load_b64 v[40:41], v49 offset:16
	ds_load_b64 v[42:43], v50
	s_wait_dscnt 0x0
	v_pk_mul_f32 v[44:45], v[42:43], v[40:41] op_sel:[1,1] op_sel_hi:[0,1]
	s_delay_alu instid0(VALU_DEP_1) | instskip(SKIP_1) | instid1(VALU_DEP_2)
	v_pk_fma_f32 v[46:47], v[42:43], v[40:41], v[44:45] op_sel_hi:[1,0,1]
	v_pk_fma_f32 v[40:41], v[42:43], v[40:41], v[44:45] neg_lo:[0,0,1] neg_hi:[0,0,1]
	v_mov_b32_e32 v41, v47
	s_delay_alu instid0(VALU_DEP_1)
	v_pk_add_f32 v[40:41], v[40:41], 0 op_sel_hi:[1,0]
	s_and_saveexec_b32 s52, s14
	s_cbranch_execz .LBB165_56
; %bb.55:                               ;   in Loop: Header=BB165_3 Depth=1
	ds_load_b64 v[42:43], v51 offset:528
	ds_load_b64 v[44:45], v3 offset:8
	s_wait_dscnt 0x0
	v_pk_mul_f32 v[46:47], v[44:45], v[42:43] op_sel:[1,1] op_sel_hi:[0,1]
	s_delay_alu instid0(VALU_DEP_1) | instskip(SKIP_1) | instid1(VALU_DEP_2)
	v_pk_fma_f32 v[98:99], v[44:45], v[42:43], v[46:47] op_sel_hi:[1,0,1]
	v_pk_fma_f32 v[42:43], v[44:45], v[42:43], v[46:47] neg_lo:[0,0,1] neg_hi:[0,0,1]
	v_mov_b32_e32 v43, v99
	s_delay_alu instid0(VALU_DEP_1)
	v_pk_add_f32 v[40:41], v[40:41], v[42:43]
.LBB165_56:                             ;   in Loop: Header=BB165_3 Depth=1
	s_or_b32 exec_lo, exec_lo, s52
	s_delay_alu instid0(VALU_DEP_1)
	v_pk_add_f32 v[40:41], v[40:41], 0 neg_lo:[1,1] neg_hi:[1,1]
.LBB165_57:                             ;   in Loop: Header=BB165_3 Depth=1
	s_or_b32 exec_lo, exec_lo, s11
	s_and_saveexec_b32 s11, s91
; %bb.58:                               ;   in Loop: Header=BB165_3 Depth=1
	ds_store_b64 v5, v[40:41]
; %bb.59:                               ;   in Loop: Header=BB165_3 Depth=1
	s_or_b32 exec_lo, exec_lo, s11
	s_wait_dscnt 0x0
	s_barrier_signal -1
	s_barrier_wait -1
	s_and_saveexec_b32 s11, s92
	s_cbranch_execz .LBB165_61
; %bb.60:                               ;   in Loop: Header=BB165_3 Depth=1
	ds_load_b64 v[42:43], v3 offset:1048
	ds_load_b64 v[44:45], v5
	s_wait_dscnt 0x0
	v_pk_mul_f32 v[46:47], v[44:45], v[42:43] op_sel:[1,1] op_sel_hi:[0,1]
	s_delay_alu instid0(VALU_DEP_1) | instskip(SKIP_1) | instid1(VALU_DEP_2)
	v_pk_fma_f32 v[98:99], v[44:45], v[42:43], v[46:47] op_sel_hi:[1,0,1]
	v_pk_fma_f32 v[42:43], v[44:45], v[42:43], v[46:47] neg_lo:[0,0,1] neg_hi:[0,0,1]
	v_mov_b32_e32 v43, v99
	s_delay_alu instid0(VALU_DEP_1)
	v_pk_add_f32 v[40:41], v[40:41], v[42:43]
.LBB165_61:                             ;   in Loop: Header=BB165_3 Depth=1
	s_or_b32 exec_lo, exec_lo, s11
	s_barrier_signal -1
	s_barrier_wait -1
	s_and_saveexec_b32 s11, s92
; %bb.62:                               ;   in Loop: Header=BB165_3 Depth=1
	ds_store_b64 v5, v[40:41]
; %bb.63:                               ;   in Loop: Header=BB165_3 Depth=1
	s_or_b32 exec_lo, exec_lo, s11
	s_wait_dscnt 0x0
	s_barrier_signal -1
	s_barrier_wait -1
	s_barrier_signal -1
	s_barrier_wait -1
	s_and_saveexec_b32 s11, s3
; %bb.64:                               ;   in Loop: Header=BB165_3 Depth=1
	v_pk_add_f32 v[40:41], v[40:41], 0 neg_lo:[1,1] neg_hi:[1,1]
	ds_store_b64 v49, v[40:41] offset:16
; %bb.65:                               ;   in Loop: Header=BB165_3 Depth=1
	s_or_b32 exec_lo, exec_lo, s11
	s_wait_dscnt 0x0
	s_barrier_signal -1
	s_barrier_wait -1
	s_barrier_signal -1
	s_barrier_wait -1
	s_and_saveexec_b32 s11, s93
	s_cbranch_execz .LBB165_67
; %bb.66:                               ;   in Loop: Header=BB165_3 Depth=1
	ds_load_b64 v[40:41], v54 offset:16
	s_wait_dscnt 0x0
	ds_store_b64 v51, v[40:41] offset:1024
	ds_load_b64 v[40:41], v54 offset:24
	s_wait_dscnt 0x0
	ds_store_b64 v51, v[40:41] offset:1536
.LBB165_67:                             ;   in Loop: Header=BB165_3 Depth=1
	s_or_b32 exec_lo, exec_lo, s11
	s_wait_dscnt 0x0
	s_barrier_signal -1
	s_barrier_wait -1
	s_and_saveexec_b32 s11, s10
	s_cbranch_execz .LBB165_69
; %bb.68:                               ;   in Loop: Header=BB165_3 Depth=1
	ds_load_b64 v[40:41], v3 offset:1048
	ds_store_b64 v3, v[26:27] offset:1560
	s_wait_dscnt 0x1
	ds_store_2addr_b64 v3, v[26:27], v[40:41] offset0:130 offset1:194
.LBB165_69:                             ;   in Loop: Header=BB165_3 Depth=1
	s_or_b32 exec_lo, exec_lo, s11
	v_mov_b64_e32 v[40:41], 0
	s_wait_dscnt 0x0
	s_barrier_signal -1
	s_barrier_wait -1
	s_and_saveexec_b32 s11, s5
	s_cbranch_execz .LBB165_75
; %bb.70:                               ;   in Loop: Header=BB165_3 Depth=1
	ds_load_b64 v[40:41], v56 offset:32
	ds_load_b64 v[42:43], v52
	s_wait_dscnt 0x0
	v_dual_mul_f32 v44, v43, v41 :: v_dual_mul_f32 v41, v42, v41
	s_delay_alu instid0(VALU_DEP_1) | instskip(NEXT) | instid1(VALU_DEP_1)
	v_dual_fma_f32 v42, v42, v40, -v44 :: v_dual_fmac_f32 v41, v43, v40
	v_dual_add_f32 v40, 0, v42 :: v_dual_add_f32 v41, 0, v41
	s_and_saveexec_b32 s52, s15
	s_cbranch_execnz .LBB165_1076
; %bb.71:                               ;   in Loop: Header=BB165_3 Depth=1
	s_or_b32 exec_lo, exec_lo, s52
	s_and_saveexec_b32 s52, s16
	s_cbranch_execnz .LBB165_1077
.LBB165_72:                             ;   in Loop: Header=BB165_3 Depth=1
	s_or_b32 exec_lo, exec_lo, s52
	s_and_saveexec_b32 s52, s3
	s_cbranch_execz .LBB165_74
.LBB165_73:                             ;   in Loop: Header=BB165_3 Depth=1
	ds_load_b64 v[42:43], v58 offset:1568
	ds_load_b64 v[44:45], v3 offset:24
	s_wait_dscnt 0x0
	v_dual_mul_f32 v46, v45, v43 :: v_dual_mul_f32 v47, v44, v43
	s_delay_alu instid0(VALU_DEP_1) | instskip(NEXT) | instid1(VALU_DEP_1)
	v_dual_fma_f32 v46, v44, v42, -v46 :: v_dual_fmac_f32 v47, v45, v42
	v_pk_add_f32 v[40:41], v[40:41], v[46:47]
.LBB165_74:                             ;   in Loop: Header=BB165_3 Depth=1
	s_or_b32 exec_lo, exec_lo, s52
	s_delay_alu instid0(VALU_DEP_1)
	v_pk_add_f32 v[40:41], v[40:41], 0 neg_lo:[1,1] neg_hi:[1,1]
.LBB165_75:                             ;   in Loop: Header=BB165_3 Depth=1
	s_or_b32 exec_lo, exec_lo, s11
	s_and_saveexec_b32 s11, s94
; %bb.76:                               ;   in Loop: Header=BB165_3 Depth=1
	ds_store_b64 v55, v[40:41]
; %bb.77:                               ;   in Loop: Header=BB165_3 Depth=1
	s_or_b32 exec_lo, exec_lo, s11
	s_wait_dscnt 0x0
	s_barrier_signal -1
	s_barrier_wait -1
	s_and_saveexec_b32 s11, s95
	s_cbranch_execz .LBB165_79
; %bb.78:                               ;   in Loop: Header=BB165_3 Depth=1
	ds_load_b64 v[42:43], v53 offset:2080
	ds_load_b64 v[44:45], v55
	s_wait_dscnt 0x0
	v_pk_mul_f32 v[46:47], v[44:45], v[42:43] op_sel:[1,1] op_sel_hi:[0,1]
	s_delay_alu instid0(VALU_DEP_1) | instskip(SKIP_1) | instid1(VALU_DEP_2)
	v_pk_fma_f32 v[98:99], v[44:45], v[42:43], v[46:47] op_sel_hi:[1,0,1]
	v_pk_fma_f32 v[42:43], v[44:45], v[42:43], v[46:47] neg_lo:[0,0,1] neg_hi:[0,0,1]
	v_mov_b32_e32 v43, v99
	s_delay_alu instid0(VALU_DEP_1)
	v_pk_add_f32 v[40:41], v[40:41], v[42:43]
.LBB165_79:                             ;   in Loop: Header=BB165_3 Depth=1
	s_or_b32 exec_lo, exec_lo, s11
	s_barrier_signal -1
	s_barrier_wait -1
	s_and_saveexec_b32 s11, s96
; %bb.80:                               ;   in Loop: Header=BB165_3 Depth=1
	ds_store_b64 v55, v[40:41]
; %bb.81:                               ;   in Loop: Header=BB165_3 Depth=1
	s_or_b32 exec_lo, exec_lo, s11
	s_wait_dscnt 0x0
	s_barrier_signal -1
	s_barrier_wait -1
	s_and_saveexec_b32 s11, s97
	s_cbranch_execz .LBB165_83
; %bb.82:                               ;   in Loop: Header=BB165_3 Depth=1
	ds_load_b64 v[42:43], v53 offset:2592
	ds_load_b64 v[44:45], v55
	s_wait_dscnt 0x0
	v_pk_mul_f32 v[46:47], v[44:45], v[42:43] op_sel:[1,1] op_sel_hi:[0,1]
	s_delay_alu instid0(VALU_DEP_1) | instskip(SKIP_1) | instid1(VALU_DEP_2)
	v_pk_fma_f32 v[98:99], v[44:45], v[42:43], v[46:47] op_sel_hi:[1,0,1]
	v_pk_fma_f32 v[42:43], v[44:45], v[42:43], v[46:47] neg_lo:[0,0,1] neg_hi:[0,0,1]
	v_mov_b32_e32 v43, v99
	s_delay_alu instid0(VALU_DEP_1)
	v_pk_add_f32 v[40:41], v[40:41], v[42:43]
.LBB165_83:                             ;   in Loop: Header=BB165_3 Depth=1
	s_or_b32 exec_lo, exec_lo, s11
	s_barrier_signal -1
	s_barrier_wait -1
	;; [unrolled: 25-line block ×3, first 2 shown]
	s_and_saveexec_b32 s11, s99
; %bb.88:                               ;   in Loop: Header=BB165_3 Depth=1
	ds_store_b64 v55, v[40:41]
; %bb.89:                               ;   in Loop: Header=BB165_3 Depth=1
	s_or_b32 exec_lo, exec_lo, s11
	s_wait_dscnt 0x0
	s_barrier_signal -1
	s_barrier_wait -1
	s_barrier_signal -1
	s_barrier_wait -1
	s_and_saveexec_b32 s11, s5
; %bb.90:                               ;   in Loop: Header=BB165_3 Depth=1
	v_pk_add_f32 v[40:41], v[40:41], 0 neg_lo:[1,1] neg_hi:[1,1]
	ds_store_b64 v56, v[40:41] offset:32
; %bb.91:                               ;   in Loop: Header=BB165_3 Depth=1
	s_or_b32 exec_lo, exec_lo, s11
	s_wait_dscnt 0x0
	s_barrier_signal -1
	s_barrier_wait -1
	s_barrier_signal -1
	s_barrier_wait -1
	s_and_saveexec_b32 s11, s100
	s_cbranch_execz .LBB165_93
; %bb.92:                               ;   in Loop: Header=BB165_3 Depth=1
	ds_load_b64 v[40:41], v59 offset:32
	s_wait_dscnt 0x0
	ds_store_b64 v60, v[40:41] offset:2048
	ds_load_b64 v[40:41], v59 offset:40
	s_wait_dscnt 0x0
	ds_store_b64 v60, v[40:41] offset:2560
	;; [unrolled: 3-line block ×4, first 2 shown]
.LBB165_93:                             ;   in Loop: Header=BB165_3 Depth=1
	s_or_b32 exec_lo, exec_lo, s11
	s_wait_dscnt 0x0
	s_barrier_signal -1
	s_barrier_wait -1
	s_and_saveexec_b32 s11, s10
	s_cbranch_execz .LBB165_95
; %bb.94:                               ;   in Loop: Header=BB165_3 Depth=1
	ds_load_b64 v[40:41], v3 offset:2088
	v_add_nc_u32_e64 v42, 32, 0
	ds_store_b64 v3, v[26:27] offset:2600
	s_wait_dscnt 0x1
	ds_store_2addr_stride64_b64 v42, v[26:27], v[40:41] offset0:4 offset1:5
.LBB165_95:                             ;   in Loop: Header=BB165_3 Depth=1
	s_or_b32 exec_lo, exec_lo, s11
	v_mov_b64_e32 v[40:41], 0
	s_wait_dscnt 0x0
	s_barrier_signal -1
	s_barrier_wait -1
	s_and_saveexec_b32 s11, s3
	s_cbranch_execz .LBB165_99
; %bb.96:                               ;   in Loop: Header=BB165_3 Depth=1
	ds_load_b64 v[40:41], v49 offset:2096
	ds_load_b64 v[42:43], v50 offset:2080
	s_wait_dscnt 0x0
	v_pk_mul_f32 v[44:45], v[42:43], v[40:41] op_sel:[1,1] op_sel_hi:[0,1]
	s_delay_alu instid0(VALU_DEP_1) | instskip(SKIP_1) | instid1(VALU_DEP_2)
	v_pk_fma_f32 v[46:47], v[42:43], v[40:41], v[44:45] op_sel_hi:[1,0,1]
	v_pk_fma_f32 v[40:41], v[42:43], v[40:41], v[44:45] neg_lo:[0,0,1] neg_hi:[0,0,1]
	v_mov_b32_e32 v41, v47
	s_delay_alu instid0(VALU_DEP_1)
	v_pk_add_f32 v[40:41], v[40:41], 0 op_sel_hi:[1,0]
	s_and_saveexec_b32 s52, s14
	s_cbranch_execz .LBB165_98
; %bb.97:                               ;   in Loop: Header=BB165_3 Depth=1
	ds_load_b64 v[42:43], v60 offset:2608
	ds_load_b64 v[44:45], v3 offset:2088
	s_wait_dscnt 0x0
	v_pk_mul_f32 v[46:47], v[44:45], v[42:43] op_sel:[1,1] op_sel_hi:[0,1]
	s_delay_alu instid0(VALU_DEP_1) | instskip(SKIP_1) | instid1(VALU_DEP_2)
	v_pk_fma_f32 v[98:99], v[44:45], v[42:43], v[46:47] op_sel_hi:[1,0,1]
	v_pk_fma_f32 v[42:43], v[44:45], v[42:43], v[46:47] neg_lo:[0,0,1] neg_hi:[0,0,1]
	v_mov_b32_e32 v43, v99
	s_delay_alu instid0(VALU_DEP_1)
	v_pk_add_f32 v[40:41], v[40:41], v[42:43]
.LBB165_98:                             ;   in Loop: Header=BB165_3 Depth=1
	s_or_b32 exec_lo, exec_lo, s52
	s_delay_alu instid0(VALU_DEP_1)
	v_pk_add_f32 v[40:41], v[40:41], 0 neg_lo:[1,1] neg_hi:[1,1]
.LBB165_99:                             ;   in Loop: Header=BB165_3 Depth=1
	s_or_b32 exec_lo, exec_lo, s11
	s_and_saveexec_b32 s11, s91
; %bb.100:                              ;   in Loop: Header=BB165_3 Depth=1
	ds_store_b64 v5, v[40:41]
; %bb.101:                              ;   in Loop: Header=BB165_3 Depth=1
	s_or_b32 exec_lo, exec_lo, s11
	s_wait_dscnt 0x0
	s_barrier_signal -1
	s_barrier_wait -1
	s_and_saveexec_b32 s11, s92
	s_cbranch_execz .LBB165_103
; %bb.102:                              ;   in Loop: Header=BB165_3 Depth=1
	ds_load_b64 v[42:43], v3 offset:3128
	ds_load_b64 v[44:45], v5
	s_wait_dscnt 0x0
	v_pk_mul_f32 v[46:47], v[44:45], v[42:43] op_sel:[1,1] op_sel_hi:[0,1]
	s_delay_alu instid0(VALU_DEP_1) | instskip(SKIP_1) | instid1(VALU_DEP_2)
	v_pk_fma_f32 v[98:99], v[44:45], v[42:43], v[46:47] op_sel_hi:[1,0,1]
	v_pk_fma_f32 v[42:43], v[44:45], v[42:43], v[46:47] neg_lo:[0,0,1] neg_hi:[0,0,1]
	v_mov_b32_e32 v43, v99
	s_delay_alu instid0(VALU_DEP_1)
	v_pk_add_f32 v[40:41], v[40:41], v[42:43]
.LBB165_103:                            ;   in Loop: Header=BB165_3 Depth=1
	s_or_b32 exec_lo, exec_lo, s11
	s_barrier_signal -1
	s_barrier_wait -1
	s_and_saveexec_b32 s11, s92
; %bb.104:                              ;   in Loop: Header=BB165_3 Depth=1
	ds_store_b64 v5, v[40:41]
; %bb.105:                              ;   in Loop: Header=BB165_3 Depth=1
	s_or_b32 exec_lo, exec_lo, s11
	s_wait_dscnt 0x0
	s_barrier_signal -1
	s_barrier_wait -1
	s_barrier_signal -1
	s_barrier_wait -1
	s_and_saveexec_b32 s11, s3
; %bb.106:                              ;   in Loop: Header=BB165_3 Depth=1
	v_pk_add_f32 v[40:41], v[40:41], 0 neg_lo:[1,1] neg_hi:[1,1]
	ds_store_b64 v49, v[40:41] offset:2096
; %bb.107:                              ;   in Loop: Header=BB165_3 Depth=1
	s_or_b32 exec_lo, exec_lo, s11
	s_wait_dscnt 0x0
	s_barrier_signal -1
	s_barrier_wait -1
	s_barrier_signal -1
	s_barrier_wait -1
	s_and_saveexec_b32 s11, s93
	s_cbranch_execz .LBB165_109
; %bb.108:                              ;   in Loop: Header=BB165_3 Depth=1
	ds_load_b64 v[40:41], v63 offset:2096
	s_wait_dscnt 0x0
	ds_store_b64 v60, v[40:41] offset:3104
	ds_load_b64 v[40:41], v63 offset:2104
	s_wait_dscnt 0x0
	ds_store_b64 v60, v[40:41] offset:3616
.LBB165_109:                            ;   in Loop: Header=BB165_3 Depth=1
	s_or_b32 exec_lo, exec_lo, s11
	s_wait_dscnt 0x0
	s_barrier_signal -1
	s_barrier_wait -1
	s_and_saveexec_b32 s11, s10
	s_cbranch_execz .LBB165_111
; %bb.110:                              ;   in Loop: Header=BB165_3 Depth=1
	ds_load_b64 v[40:41], v3 offset:3128
	v_add_nc_u32_e64 v42, 48, 0
	ds_store_b64 v3, v[26:27] offset:3640
	s_wait_dscnt 0x1
	ds_store_2addr_stride64_b64 v42, v[26:27], v[40:41] offset0:6 offset1:7
.LBB165_111:                            ;   in Loop: Header=BB165_3 Depth=1
	s_or_b32 exec_lo, exec_lo, s11
	v_mov_b64_e32 v[40:41], 0
	s_wait_dscnt 0x0
	s_barrier_signal -1
	s_barrier_wait -1
	s_and_saveexec_b32 s11, s6
	s_cbranch_execz .LBB165_121
; %bb.112:                              ;   in Loop: Header=BB165_3 Depth=1
	ds_load_b64 v[40:41], v65 offset:64
	ds_load_b64 v[42:43], v61
	s_wait_dscnt 0x0
	v_dual_mul_f32 v44, v43, v41 :: v_dual_mul_f32 v41, v42, v41
	s_delay_alu instid0(VALU_DEP_1) | instskip(NEXT) | instid1(VALU_DEP_1)
	v_dual_fma_f32 v42, v42, v40, -v44 :: v_dual_fmac_f32 v41, v43, v40
	v_dual_add_f32 v40, 0, v42 :: v_dual_add_f32 v41, 0, v41
	s_and_saveexec_b32 s52, s17
	s_cbranch_execnz .LBB165_1078
; %bb.113:                              ;   in Loop: Header=BB165_3 Depth=1
	s_or_b32 exec_lo, exec_lo, s52
	s_and_saveexec_b32 s52, s18
	s_cbranch_execnz .LBB165_1079
.LBB165_114:                            ;   in Loop: Header=BB165_3 Depth=1
	s_or_b32 exec_lo, exec_lo, s52
	s_and_saveexec_b32 s52, s19
	s_cbranch_execnz .LBB165_1080
.LBB165_115:                            ;   in Loop: Header=BB165_3 Depth=1
	s_or_b32 exec_lo, exec_lo, s52
	s_and_saveexec_b32 s52, s20
	s_cbranch_execnz .LBB165_1081
.LBB165_116:                            ;   in Loop: Header=BB165_3 Depth=1
	s_or_b32 exec_lo, exec_lo, s52
	s_and_saveexec_b32 s52, s21
	s_cbranch_execnz .LBB165_1082
.LBB165_117:                            ;   in Loop: Header=BB165_3 Depth=1
	s_or_b32 exec_lo, exec_lo, s52
	s_and_saveexec_b32 s52, s5
	s_cbranch_execnz .LBB165_1083
.LBB165_118:                            ;   in Loop: Header=BB165_3 Depth=1
	s_or_b32 exec_lo, exec_lo, s52
	s_and_saveexec_b32 s52, s16
	s_cbranch_execz .LBB165_120
.LBB165_119:                            ;   in Loop: Header=BB165_3 Depth=1
	ds_load_b64 v[42:43], v67 offset:3648
	ds_load_b64 v[44:45], v3 offset:56
	s_wait_dscnt 0x0
	v_pk_mul_f32 v[46:47], v[44:45], v[42:43] op_sel:[1,1] op_sel_hi:[0,1]
	s_delay_alu instid0(VALU_DEP_1) | instskip(SKIP_1) | instid1(VALU_DEP_2)
	v_pk_fma_f32 v[98:99], v[44:45], v[42:43], v[46:47] op_sel_hi:[1,0,1]
	v_pk_fma_f32 v[42:43], v[44:45], v[42:43], v[46:47] neg_lo:[0,0,1] neg_hi:[0,0,1]
	v_mov_b32_e32 v43, v99
	s_delay_alu instid0(VALU_DEP_1)
	v_pk_add_f32 v[40:41], v[40:41], v[42:43]
.LBB165_120:                            ;   in Loop: Header=BB165_3 Depth=1
	s_or_b32 exec_lo, exec_lo, s52
	s_delay_alu instid0(VALU_DEP_1)
	v_pk_add_f32 v[40:41], v[40:41], 0 neg_lo:[1,1] neg_hi:[1,1]
.LBB165_121:                            ;   in Loop: Header=BB165_3 Depth=1
	s_or_b32 exec_lo, exec_lo, s11
	s_and_saveexec_b32 s11, s101
; %bb.122:                              ;   in Loop: Header=BB165_3 Depth=1
	ds_store_b64 v64, v[40:41]
; %bb.123:                              ;   in Loop: Header=BB165_3 Depth=1
	s_or_b32 exec_lo, exec_lo, s11
	s_wait_dscnt 0x0
	s_barrier_signal -1
	s_barrier_wait -1
	s_and_saveexec_b32 s11, s102
	s_cbranch_execz .LBB165_125
; %bb.124:                              ;   in Loop: Header=BB165_3 Depth=1
	ds_load_b64 v[42:43], v62 offset:4160
	ds_load_b64 v[44:45], v64
	s_wait_dscnt 0x0
	v_pk_mul_f32 v[46:47], v[44:45], v[42:43] op_sel:[1,1] op_sel_hi:[0,1]
	s_delay_alu instid0(VALU_DEP_1) | instskip(SKIP_1) | instid1(VALU_DEP_2)
	v_pk_fma_f32 v[98:99], v[44:45], v[42:43], v[46:47] op_sel_hi:[1,0,1]
	v_pk_fma_f32 v[42:43], v[44:45], v[42:43], v[46:47] neg_lo:[0,0,1] neg_hi:[0,0,1]
	v_mov_b32_e32 v43, v99
	s_delay_alu instid0(VALU_DEP_1)
	v_pk_add_f32 v[40:41], v[40:41], v[42:43]
.LBB165_125:                            ;   in Loop: Header=BB165_3 Depth=1
	s_or_b32 exec_lo, exec_lo, s11
	s_barrier_signal -1
	s_barrier_wait -1
	s_and_saveexec_b32 s11, s103
; %bb.126:                              ;   in Loop: Header=BB165_3 Depth=1
	ds_store_b64 v64, v[40:41]
; %bb.127:                              ;   in Loop: Header=BB165_3 Depth=1
	s_or_b32 exec_lo, exec_lo, s11
	s_wait_dscnt 0x0
	s_barrier_signal -1
	s_barrier_wait -1
	s_and_saveexec_b32 s11, s104
	s_cbranch_execz .LBB165_129
; %bb.128:                              ;   in Loop: Header=BB165_3 Depth=1
	ds_load_b64 v[42:43], v62 offset:4672
	ds_load_b64 v[44:45], v64
	s_wait_dscnt 0x0
	v_dual_mul_f32 v46, v45, v43 :: v_dual_mul_f32 v43, v44, v43
	s_delay_alu instid0(VALU_DEP_1) | instskip(NEXT) | instid1(VALU_DEP_1)
	v_dual_fma_f32 v44, v44, v42, -v46 :: v_dual_fmac_f32 v43, v45, v42
	v_dual_add_f32 v40, v40, v44 :: v_dual_add_f32 v41, v41, v43
.LBB165_129:                            ;   in Loop: Header=BB165_3 Depth=1
	s_or_b32 exec_lo, exec_lo, s11
	s_barrier_signal -1
	s_barrier_wait -1
	s_and_saveexec_b32 s11, vcc_hi
; %bb.130:                              ;   in Loop: Header=BB165_3 Depth=1
	ds_store_b64 v64, v[40:41]
; %bb.131:                              ;   in Loop: Header=BB165_3 Depth=1
	s_or_b32 exec_lo, exec_lo, s11
	s_wait_dscnt 0x0
	s_barrier_signal -1
	s_barrier_wait -1
	s_and_saveexec_b32 s11, s37
	s_cbranch_execz .LBB165_133
; %bb.132:                              ;   in Loop: Header=BB165_3 Depth=1
	ds_load_b64 v[42:43], v62 offset:5184
	ds_load_b64 v[44:45], v64
	s_wait_dscnt 0x0
	v_dual_mul_f32 v46, v45, v43 :: v_dual_mul_f32 v47, v44, v43
	s_delay_alu instid0(VALU_DEP_1) | instskip(NEXT) | instid1(VALU_DEP_1)
	v_dual_fma_f32 v46, v44, v42, -v46 :: v_dual_fmac_f32 v47, v45, v42
	v_pk_add_f32 v[40:41], v[40:41], v[46:47]
.LBB165_133:                            ;   in Loop: Header=BB165_3 Depth=1
	s_or_b32 exec_lo, exec_lo, s11
	s_barrier_signal -1
	s_barrier_wait -1
	s_and_saveexec_b32 s11, s38
; %bb.134:                              ;   in Loop: Header=BB165_3 Depth=1
	ds_store_b64 v64, v[40:41]
; %bb.135:                              ;   in Loop: Header=BB165_3 Depth=1
	s_or_b32 exec_lo, exec_lo, s11
	s_wait_dscnt 0x0
	s_barrier_signal -1
	s_barrier_wait -1
	s_and_saveexec_b32 s11, s39
	s_cbranch_execz .LBB165_137
; %bb.136:                              ;   in Loop: Header=BB165_3 Depth=1
	ds_load_b64 v[42:43], v62 offset:5696
	ds_load_b64 v[44:45], v64
	s_wait_dscnt 0x0
	v_pk_mul_f32 v[46:47], v[44:45], v[42:43] op_sel:[1,1] op_sel_hi:[0,1]
	s_delay_alu instid0(VALU_DEP_1) | instskip(SKIP_1) | instid1(VALU_DEP_2)
	v_pk_fma_f32 v[98:99], v[44:45], v[42:43], v[46:47] op_sel_hi:[1,0,1]
	v_pk_fma_f32 v[42:43], v[44:45], v[42:43], v[46:47] neg_lo:[0,0,1] neg_hi:[0,0,1]
	v_mov_b32_e32 v43, v99
	s_delay_alu instid0(VALU_DEP_1)
	v_pk_add_f32 v[40:41], v[40:41], v[42:43]
.LBB165_137:                            ;   in Loop: Header=BB165_3 Depth=1
	s_or_b32 exec_lo, exec_lo, s11
	s_barrier_signal -1
	s_barrier_wait -1
	s_and_saveexec_b32 s11, s40
; %bb.138:                              ;   in Loop: Header=BB165_3 Depth=1
	ds_store_b64 v64, v[40:41]
; %bb.139:                              ;   in Loop: Header=BB165_3 Depth=1
	s_or_b32 exec_lo, exec_lo, s11
	s_wait_dscnt 0x0
	s_barrier_signal -1
	s_barrier_wait -1
	s_and_saveexec_b32 s11, s42
	s_cbranch_execz .LBB165_141
; %bb.140:                              ;   in Loop: Header=BB165_3 Depth=1
	ds_load_b64 v[42:43], v62 offset:6208
	ds_load_b64 v[44:45], v64
	s_wait_dscnt 0x0
	v_pk_mul_f32 v[46:47], v[44:45], v[42:43] op_sel:[1,1] op_sel_hi:[0,1]
	s_delay_alu instid0(VALU_DEP_1) | instskip(SKIP_1) | instid1(VALU_DEP_2)
	v_pk_fma_f32 v[98:99], v[44:45], v[42:43], v[46:47] op_sel_hi:[1,0,1]
	v_pk_fma_f32 v[42:43], v[44:45], v[42:43], v[46:47] neg_lo:[0,0,1] neg_hi:[0,0,1]
	v_mov_b32_e32 v43, v99
	s_delay_alu instid0(VALU_DEP_1)
	v_pk_add_f32 v[40:41], v[40:41], v[42:43]
.LBB165_141:                            ;   in Loop: Header=BB165_3 Depth=1
	;; [unrolled: 25-line block ×4, first 2 shown]
	s_or_b32 exec_lo, exec_lo, s11
	s_barrier_signal -1
	s_barrier_wait -1
	s_and_saveexec_b32 s11, s46
; %bb.150:                              ;   in Loop: Header=BB165_3 Depth=1
	ds_store_b64 v64, v[40:41]
; %bb.151:                              ;   in Loop: Header=BB165_3 Depth=1
	s_or_b32 exec_lo, exec_lo, s11
	s_wait_dscnt 0x0
	s_barrier_signal -1
	s_barrier_wait -1
	s_barrier_signal -1
	s_barrier_wait -1
	s_and_saveexec_b32 s11, s6
; %bb.152:                              ;   in Loop: Header=BB165_3 Depth=1
	v_pk_add_f32 v[40:41], v[40:41], 0 neg_lo:[1,1] neg_hi:[1,1]
	ds_store_b64 v65, v[40:41] offset:64
; %bb.153:                              ;   in Loop: Header=BB165_3 Depth=1
	s_or_b32 exec_lo, exec_lo, s11
	s_wait_dscnt 0x0
	s_barrier_signal -1
	s_barrier_wait -1
	s_barrier_signal -1
	s_barrier_wait -1
	s_and_saveexec_b32 s11, s47
	s_cbranch_execz .LBB165_155
; %bb.154:                              ;   in Loop: Header=BB165_3 Depth=1
	ds_load_b64 v[40:41], v68 offset:64
	s_wait_dscnt 0x0
	ds_store_b64 v69, v[40:41] offset:4096
	ds_load_b64 v[40:41], v68 offset:72
	s_wait_dscnt 0x0
	ds_store_b64 v69, v[40:41] offset:4608
	;; [unrolled: 3-line block ×8, first 2 shown]
.LBB165_155:                            ;   in Loop: Header=BB165_3 Depth=1
	s_or_b32 exec_lo, exec_lo, s11
	s_wait_dscnt 0x0
	s_barrier_signal -1
	s_barrier_wait -1
	s_and_saveexec_b32 s11, s10
	s_cbranch_execz .LBB165_157
; %bb.156:                              ;   in Loop: Header=BB165_3 Depth=1
	ds_load_b64 v[40:41], v3 offset:4168
	v_add_nc_u32_e64 v42, 64, 0
	ds_store_b64 v3, v[26:27] offset:4680
	s_wait_dscnt 0x1
	ds_store_2addr_stride64_b64 v42, v[26:27], v[40:41] offset0:8 offset1:9
.LBB165_157:                            ;   in Loop: Header=BB165_3 Depth=1
	s_or_b32 exec_lo, exec_lo, s11
	v_mov_b64_e32 v[40:41], 0
	s_wait_dscnt 0x0
	s_barrier_signal -1
	s_barrier_wait -1
	s_and_saveexec_b32 s11, s3
	s_cbranch_execz .LBB165_161
; %bb.158:                              ;   in Loop: Header=BB165_3 Depth=1
	ds_load_b64 v[40:41], v49 offset:4176
	ds_load_b64 v[42:43], v50 offset:4160
	s_wait_dscnt 0x0
	v_pk_mul_f32 v[44:45], v[42:43], v[40:41] op_sel:[1,1] op_sel_hi:[0,1]
	s_delay_alu instid0(VALU_DEP_1) | instskip(SKIP_1) | instid1(VALU_DEP_2)
	v_pk_fma_f32 v[46:47], v[42:43], v[40:41], v[44:45] op_sel_hi:[1,0,1]
	v_pk_fma_f32 v[40:41], v[42:43], v[40:41], v[44:45] neg_lo:[0,0,1] neg_hi:[0,0,1]
	v_mov_b32_e32 v41, v47
	s_delay_alu instid0(VALU_DEP_1)
	v_pk_add_f32 v[40:41], v[40:41], 0 op_sel_hi:[1,0]
	s_and_saveexec_b32 s52, s14
	s_cbranch_execz .LBB165_160
; %bb.159:                              ;   in Loop: Header=BB165_3 Depth=1
	ds_load_b64 v[42:43], v69 offset:4688
	ds_load_b64 v[44:45], v3 offset:4168
	s_wait_dscnt 0x0
	v_pk_mul_f32 v[46:47], v[44:45], v[42:43] op_sel:[1,1] op_sel_hi:[0,1]
	s_delay_alu instid0(VALU_DEP_1) | instskip(SKIP_1) | instid1(VALU_DEP_2)
	v_pk_fma_f32 v[98:99], v[44:45], v[42:43], v[46:47] op_sel_hi:[1,0,1]
	v_pk_fma_f32 v[42:43], v[44:45], v[42:43], v[46:47] neg_lo:[0,0,1] neg_hi:[0,0,1]
	v_mov_b32_e32 v43, v99
	s_delay_alu instid0(VALU_DEP_1)
	v_pk_add_f32 v[40:41], v[40:41], v[42:43]
.LBB165_160:                            ;   in Loop: Header=BB165_3 Depth=1
	s_or_b32 exec_lo, exec_lo, s52
	s_delay_alu instid0(VALU_DEP_1)
	v_pk_add_f32 v[40:41], v[40:41], 0 neg_lo:[1,1] neg_hi:[1,1]
.LBB165_161:                            ;   in Loop: Header=BB165_3 Depth=1
	s_or_b32 exec_lo, exec_lo, s11
	s_and_saveexec_b32 s11, s91
; %bb.162:                              ;   in Loop: Header=BB165_3 Depth=1
	ds_store_b64 v5, v[40:41]
; %bb.163:                              ;   in Loop: Header=BB165_3 Depth=1
	s_or_b32 exec_lo, exec_lo, s11
	s_wait_dscnt 0x0
	s_barrier_signal -1
	s_barrier_wait -1
	s_and_saveexec_b32 s11, s92
	s_cbranch_execz .LBB165_165
; %bb.164:                              ;   in Loop: Header=BB165_3 Depth=1
	ds_load_b64 v[42:43], v3 offset:5208
	ds_load_b64 v[44:45], v5
	s_wait_dscnt 0x0
	v_pk_mul_f32 v[46:47], v[44:45], v[42:43] op_sel:[1,1] op_sel_hi:[0,1]
	s_delay_alu instid0(VALU_DEP_1) | instskip(SKIP_1) | instid1(VALU_DEP_2)
	v_pk_fma_f32 v[98:99], v[44:45], v[42:43], v[46:47] op_sel_hi:[1,0,1]
	v_pk_fma_f32 v[42:43], v[44:45], v[42:43], v[46:47] neg_lo:[0,0,1] neg_hi:[0,0,1]
	v_mov_b32_e32 v43, v99
	s_delay_alu instid0(VALU_DEP_1)
	v_pk_add_f32 v[40:41], v[40:41], v[42:43]
.LBB165_165:                            ;   in Loop: Header=BB165_3 Depth=1
	s_or_b32 exec_lo, exec_lo, s11
	s_barrier_signal -1
	s_barrier_wait -1
	s_and_saveexec_b32 s11, s92
; %bb.166:                              ;   in Loop: Header=BB165_3 Depth=1
	ds_store_b64 v5, v[40:41]
; %bb.167:                              ;   in Loop: Header=BB165_3 Depth=1
	s_or_b32 exec_lo, exec_lo, s11
	s_wait_dscnt 0x0
	s_barrier_signal -1
	s_barrier_wait -1
	s_barrier_signal -1
	s_barrier_wait -1
	s_and_saveexec_b32 s11, s3
; %bb.168:                              ;   in Loop: Header=BB165_3 Depth=1
	v_pk_add_f32 v[40:41], v[40:41], 0 neg_lo:[1,1] neg_hi:[1,1]
	ds_store_b64 v49, v[40:41] offset:4176
; %bb.169:                              ;   in Loop: Header=BB165_3 Depth=1
	s_or_b32 exec_lo, exec_lo, s11
	s_wait_dscnt 0x0
	s_barrier_signal -1
	s_barrier_wait -1
	s_barrier_signal -1
	s_barrier_wait -1
	s_and_saveexec_b32 s11, s93
	s_cbranch_execz .LBB165_171
; %bb.170:                              ;   in Loop: Header=BB165_3 Depth=1
	ds_load_b64 v[40:41], v70 offset:4176
	s_wait_dscnt 0x0
	ds_store_b64 v69, v[40:41] offset:5184
	ds_load_b64 v[40:41], v70 offset:4184
	s_wait_dscnt 0x0
	ds_store_b64 v69, v[40:41] offset:5696
.LBB165_171:                            ;   in Loop: Header=BB165_3 Depth=1
	s_or_b32 exec_lo, exec_lo, s11
	s_wait_dscnt 0x0
	s_barrier_signal -1
	s_barrier_wait -1
	s_and_saveexec_b32 s11, s10
	s_cbranch_execz .LBB165_173
; %bb.172:                              ;   in Loop: Header=BB165_3 Depth=1
	ds_load_b64 v[40:41], v3 offset:5208
	v_add_nc_u32_e64 v42, 0x50, 0
	ds_store_b64 v3, v[26:27] offset:5720
	s_wait_dscnt 0x1
	ds_store_2addr_stride64_b64 v42, v[26:27], v[40:41] offset0:10 offset1:11
.LBB165_173:                            ;   in Loop: Header=BB165_3 Depth=1
	s_or_b32 exec_lo, exec_lo, s11
	v_mov_b64_e32 v[40:41], 0
	s_wait_dscnt 0x0
	s_barrier_signal -1
	s_barrier_wait -1
	s_and_saveexec_b32 s11, s5
	s_cbranch_execz .LBB165_179
; %bb.174:                              ;   in Loop: Header=BB165_3 Depth=1
	ds_load_b64 v[40:41], v56 offset:4192
	ds_load_b64 v[42:43], v52 offset:4160
	s_wait_dscnt 0x0
	v_dual_mul_f32 v44, v43, v41 :: v_dual_mul_f32 v41, v42, v41
	s_delay_alu instid0(VALU_DEP_1) | instskip(NEXT) | instid1(VALU_DEP_1)
	v_dual_fma_f32 v42, v42, v40, -v44 :: v_dual_fmac_f32 v41, v43, v40
	v_dual_add_f32 v40, 0, v42 :: v_dual_add_f32 v41, 0, v41
	s_and_saveexec_b32 s52, s15
	s_cbranch_execnz .LBB165_1084
; %bb.175:                              ;   in Loop: Header=BB165_3 Depth=1
	s_or_b32 exec_lo, exec_lo, s52
	s_and_saveexec_b32 s52, s16
	s_cbranch_execnz .LBB165_1085
.LBB165_176:                            ;   in Loop: Header=BB165_3 Depth=1
	s_or_b32 exec_lo, exec_lo, s52
	s_and_saveexec_b32 s52, s3
	s_cbranch_execz .LBB165_178
.LBB165_177:                            ;   in Loop: Header=BB165_3 Depth=1
	ds_load_b64 v[42:43], v71 offset:5728
	ds_load_b64 v[44:45], v3 offset:4184
	s_wait_dscnt 0x0
	v_dual_mul_f32 v46, v45, v43 :: v_dual_mul_f32 v47, v44, v43
	s_delay_alu instid0(VALU_DEP_1) | instskip(NEXT) | instid1(VALU_DEP_1)
	v_dual_fma_f32 v46, v44, v42, -v46 :: v_dual_fmac_f32 v47, v45, v42
	v_pk_add_f32 v[40:41], v[40:41], v[46:47]
.LBB165_178:                            ;   in Loop: Header=BB165_3 Depth=1
	s_or_b32 exec_lo, exec_lo, s52
	s_delay_alu instid0(VALU_DEP_1)
	v_pk_add_f32 v[40:41], v[40:41], 0 neg_lo:[1,1] neg_hi:[1,1]
.LBB165_179:                            ;   in Loop: Header=BB165_3 Depth=1
	s_or_b32 exec_lo, exec_lo, s11
	s_and_saveexec_b32 s11, s94
; %bb.180:                              ;   in Loop: Header=BB165_3 Depth=1
	ds_store_b64 v55, v[40:41]
; %bb.181:                              ;   in Loop: Header=BB165_3 Depth=1
	s_or_b32 exec_lo, exec_lo, s11
	s_wait_dscnt 0x0
	s_barrier_signal -1
	s_barrier_wait -1
	s_and_saveexec_b32 s11, s95
	s_cbranch_execz .LBB165_183
; %bb.182:                              ;   in Loop: Header=BB165_3 Depth=1
	ds_load_b64 v[42:43], v53 offset:6240
	ds_load_b64 v[44:45], v55
	s_wait_dscnt 0x0
	v_pk_mul_f32 v[46:47], v[44:45], v[42:43] op_sel:[1,1] op_sel_hi:[0,1]
	s_delay_alu instid0(VALU_DEP_1) | instskip(SKIP_1) | instid1(VALU_DEP_2)
	v_pk_fma_f32 v[98:99], v[44:45], v[42:43], v[46:47] op_sel_hi:[1,0,1]
	v_pk_fma_f32 v[42:43], v[44:45], v[42:43], v[46:47] neg_lo:[0,0,1] neg_hi:[0,0,1]
	v_mov_b32_e32 v43, v99
	s_delay_alu instid0(VALU_DEP_1)
	v_pk_add_f32 v[40:41], v[40:41], v[42:43]
.LBB165_183:                            ;   in Loop: Header=BB165_3 Depth=1
	s_or_b32 exec_lo, exec_lo, s11
	s_barrier_signal -1
	s_barrier_wait -1
	s_and_saveexec_b32 s11, s96
; %bb.184:                              ;   in Loop: Header=BB165_3 Depth=1
	ds_store_b64 v55, v[40:41]
; %bb.185:                              ;   in Loop: Header=BB165_3 Depth=1
	s_or_b32 exec_lo, exec_lo, s11
	s_wait_dscnt 0x0
	s_barrier_signal -1
	s_barrier_wait -1
	s_and_saveexec_b32 s11, s97
	s_cbranch_execz .LBB165_187
; %bb.186:                              ;   in Loop: Header=BB165_3 Depth=1
	ds_load_b64 v[42:43], v53 offset:6752
	ds_load_b64 v[44:45], v55
	s_wait_dscnt 0x0
	v_pk_mul_f32 v[46:47], v[44:45], v[42:43] op_sel:[1,1] op_sel_hi:[0,1]
	s_delay_alu instid0(VALU_DEP_1) | instskip(SKIP_1) | instid1(VALU_DEP_2)
	v_pk_fma_f32 v[98:99], v[44:45], v[42:43], v[46:47] op_sel_hi:[1,0,1]
	v_pk_fma_f32 v[42:43], v[44:45], v[42:43], v[46:47] neg_lo:[0,0,1] neg_hi:[0,0,1]
	v_mov_b32_e32 v43, v99
	s_delay_alu instid0(VALU_DEP_1)
	v_pk_add_f32 v[40:41], v[40:41], v[42:43]
.LBB165_187:                            ;   in Loop: Header=BB165_3 Depth=1
	s_or_b32 exec_lo, exec_lo, s11
	s_barrier_signal -1
	s_barrier_wait -1
	;; [unrolled: 25-line block ×3, first 2 shown]
	s_and_saveexec_b32 s11, s99
; %bb.192:                              ;   in Loop: Header=BB165_3 Depth=1
	ds_store_b64 v55, v[40:41]
; %bb.193:                              ;   in Loop: Header=BB165_3 Depth=1
	s_or_b32 exec_lo, exec_lo, s11
	s_wait_dscnt 0x0
	s_barrier_signal -1
	s_barrier_wait -1
	s_barrier_signal -1
	s_barrier_wait -1
	s_and_saveexec_b32 s11, s5
; %bb.194:                              ;   in Loop: Header=BB165_3 Depth=1
	v_pk_add_f32 v[40:41], v[40:41], 0 neg_lo:[1,1] neg_hi:[1,1]
	ds_store_b64 v56, v[40:41] offset:4192
; %bb.195:                              ;   in Loop: Header=BB165_3 Depth=1
	s_or_b32 exec_lo, exec_lo, s11
	s_wait_dscnt 0x0
	s_barrier_signal -1
	s_barrier_wait -1
	s_barrier_signal -1
	s_barrier_wait -1
	s_and_saveexec_b32 s11, s100
	s_cbranch_execz .LBB165_197
; %bb.196:                              ;   in Loop: Header=BB165_3 Depth=1
	ds_load_b64 v[40:41], v73 offset:4192
	s_wait_dscnt 0x0
	ds_store_b64 v7, v[40:41] offset:6208
	ds_load_b64 v[40:41], v73 offset:4200
	s_wait_dscnt 0x0
	ds_store_b64 v7, v[40:41] offset:6720
	;; [unrolled: 3-line block ×4, first 2 shown]
.LBB165_197:                            ;   in Loop: Header=BB165_3 Depth=1
	s_or_b32 exec_lo, exec_lo, s11
	s_wait_dscnt 0x0
	s_barrier_signal -1
	s_barrier_wait -1
	s_and_saveexec_b32 s11, s10
	s_cbranch_execz .LBB165_199
; %bb.198:                              ;   in Loop: Header=BB165_3 Depth=1
	ds_load_b64 v[40:41], v3 offset:6248
	v_add_nc_u32_e64 v42, 0x60, 0
	ds_store_b64 v3, v[26:27] offset:6760
	s_wait_dscnt 0x1
	ds_store_2addr_stride64_b64 v42, v[26:27], v[40:41] offset0:12 offset1:13
.LBB165_199:                            ;   in Loop: Header=BB165_3 Depth=1
	s_or_b32 exec_lo, exec_lo, s11
	v_mov_b64_e32 v[40:41], 0
	s_wait_dscnt 0x0
	s_barrier_signal -1
	s_barrier_wait -1
	s_and_saveexec_b32 s11, s3
	s_cbranch_execz .LBB165_203
; %bb.200:                              ;   in Loop: Header=BB165_3 Depth=1
	ds_load_b64 v[40:41], v49 offset:6256
	ds_load_b64 v[42:43], v50 offset:6240
	s_wait_dscnt 0x0
	v_pk_mul_f32 v[44:45], v[42:43], v[40:41] op_sel:[1,1] op_sel_hi:[0,1]
	s_delay_alu instid0(VALU_DEP_1) | instskip(SKIP_1) | instid1(VALU_DEP_2)
	v_pk_fma_f32 v[46:47], v[42:43], v[40:41], v[44:45] op_sel_hi:[1,0,1]
	v_pk_fma_f32 v[40:41], v[42:43], v[40:41], v[44:45] neg_lo:[0,0,1] neg_hi:[0,0,1]
	v_mov_b32_e32 v41, v47
	s_delay_alu instid0(VALU_DEP_1)
	v_pk_add_f32 v[40:41], v[40:41], 0 op_sel_hi:[1,0]
	s_and_saveexec_b32 s52, s14
	s_cbranch_execz .LBB165_202
; %bb.201:                              ;   in Loop: Header=BB165_3 Depth=1
	ds_load_b64 v[42:43], v7 offset:6768
	ds_load_b64 v[44:45], v3 offset:6248
	s_wait_dscnt 0x0
	v_pk_mul_f32 v[46:47], v[44:45], v[42:43] op_sel:[1,1] op_sel_hi:[0,1]
	s_delay_alu instid0(VALU_DEP_1) | instskip(SKIP_1) | instid1(VALU_DEP_2)
	v_pk_fma_f32 v[98:99], v[44:45], v[42:43], v[46:47] op_sel_hi:[1,0,1]
	v_pk_fma_f32 v[42:43], v[44:45], v[42:43], v[46:47] neg_lo:[0,0,1] neg_hi:[0,0,1]
	v_mov_b32_e32 v43, v99
	s_delay_alu instid0(VALU_DEP_1)
	v_pk_add_f32 v[40:41], v[40:41], v[42:43]
.LBB165_202:                            ;   in Loop: Header=BB165_3 Depth=1
	s_or_b32 exec_lo, exec_lo, s52
	s_delay_alu instid0(VALU_DEP_1)
	v_pk_add_f32 v[40:41], v[40:41], 0 neg_lo:[1,1] neg_hi:[1,1]
.LBB165_203:                            ;   in Loop: Header=BB165_3 Depth=1
	s_or_b32 exec_lo, exec_lo, s11
	s_and_saveexec_b32 s11, s91
; %bb.204:                              ;   in Loop: Header=BB165_3 Depth=1
	ds_store_b64 v5, v[40:41]
; %bb.205:                              ;   in Loop: Header=BB165_3 Depth=1
	s_or_b32 exec_lo, exec_lo, s11
	s_wait_dscnt 0x0
	s_barrier_signal -1
	s_barrier_wait -1
	s_and_saveexec_b32 s11, s92
	s_cbranch_execz .LBB165_207
; %bb.206:                              ;   in Loop: Header=BB165_3 Depth=1
	ds_load_b64 v[42:43], v3 offset:7288
	ds_load_b64 v[44:45], v5
	s_wait_dscnt 0x0
	v_pk_mul_f32 v[46:47], v[44:45], v[42:43] op_sel:[1,1] op_sel_hi:[0,1]
	s_delay_alu instid0(VALU_DEP_1) | instskip(SKIP_1) | instid1(VALU_DEP_2)
	v_pk_fma_f32 v[98:99], v[44:45], v[42:43], v[46:47] op_sel_hi:[1,0,1]
	v_pk_fma_f32 v[42:43], v[44:45], v[42:43], v[46:47] neg_lo:[0,0,1] neg_hi:[0,0,1]
	v_mov_b32_e32 v43, v99
	s_delay_alu instid0(VALU_DEP_1)
	v_pk_add_f32 v[40:41], v[40:41], v[42:43]
.LBB165_207:                            ;   in Loop: Header=BB165_3 Depth=1
	s_or_b32 exec_lo, exec_lo, s11
	s_barrier_signal -1
	s_barrier_wait -1
	s_and_saveexec_b32 s11, s92
; %bb.208:                              ;   in Loop: Header=BB165_3 Depth=1
	ds_store_b64 v5, v[40:41]
; %bb.209:                              ;   in Loop: Header=BB165_3 Depth=1
	s_or_b32 exec_lo, exec_lo, s11
	s_wait_dscnt 0x0
	s_barrier_signal -1
	s_barrier_wait -1
	s_barrier_signal -1
	s_barrier_wait -1
	s_and_saveexec_b32 s11, s3
; %bb.210:                              ;   in Loop: Header=BB165_3 Depth=1
	v_pk_add_f32 v[40:41], v[40:41], 0 neg_lo:[1,1] neg_hi:[1,1]
	ds_store_b64 v49, v[40:41] offset:6256
; %bb.211:                              ;   in Loop: Header=BB165_3 Depth=1
	s_or_b32 exec_lo, exec_lo, s11
	s_wait_dscnt 0x0
	s_barrier_signal -1
	s_barrier_wait -1
	s_barrier_signal -1
	s_barrier_wait -1
	s_and_saveexec_b32 s11, s93
	s_cbranch_execz .LBB165_213
; %bb.212:                              ;   in Loop: Header=BB165_3 Depth=1
	ds_load_b64 v[40:41], v82 offset:6256
	s_wait_dscnt 0x0
	ds_store_b64 v7, v[40:41] offset:7264
	ds_load_b64 v[40:41], v82 offset:6264
	s_wait_dscnt 0x0
	ds_store_b64 v7, v[40:41] offset:7776
.LBB165_213:                            ;   in Loop: Header=BB165_3 Depth=1
	s_or_b32 exec_lo, exec_lo, s11
	s_wait_dscnt 0x0
	s_barrier_signal -1
	s_barrier_wait -1
	s_and_saveexec_b32 s11, s10
	s_cbranch_execz .LBB165_215
; %bb.214:                              ;   in Loop: Header=BB165_3 Depth=1
	ds_load_b64 v[40:41], v3 offset:7288
	v_add_nc_u32_e64 v42, 0x70, 0
	ds_store_b64 v3, v[26:27] offset:7800
	s_wait_dscnt 0x1
	ds_store_2addr_stride64_b64 v42, v[26:27], v[40:41] offset0:14 offset1:15
.LBB165_215:                            ;   in Loop: Header=BB165_3 Depth=1
	s_or_b32 exec_lo, exec_lo, s11
	v_mov_b64_e32 v[40:41], 0
	s_wait_dscnt 0x0
	s_barrier_signal -1
	s_barrier_wait -1
	s_and_saveexec_b32 s84, s7
	s_cbranch_execz .LBB165_243
; %bb.216:                              ;   in Loop: Header=BB165_3 Depth=1
	ds_load_b64 v[40:41], v76 offset:128
	ds_load_b64 v[42:43], v72
	s_wait_dscnt 0x0
	v_dual_mul_f32 v44, v43, v41 :: v_dual_mul_f32 v41, v42, v41
	s_delay_alu instid0(VALU_DEP_1) | instskip(NEXT) | instid1(VALU_DEP_1)
	v_dual_fma_f32 v42, v42, v40, -v44 :: v_dual_fmac_f32 v41, v43, v40
	v_dual_add_f32 v40, 0, v42 :: v_dual_add_f32 v41, 0, v41
	s_mov_b32 s11, exec_lo
	v_readlane_b32 s52, v107, 27
	s_and_b32 s52, s11, s52
	s_delay_alu instid0(SALU_CYCLE_1)
	s_mov_b32 exec_lo, s52
	s_cbranch_execz .LBB165_218
; %bb.217:                              ;   in Loop: Header=BB165_3 Depth=1
	ds_load_b64 v[42:43], v77 offset:640
	ds_load_b64 v[44:45], v72 offset:8
	s_wait_dscnt 0x0
	v_dual_mul_f32 v46, v45, v43 :: v_dual_mul_f32 v43, v44, v43
	s_delay_alu instid0(VALU_DEP_1) | instskip(NEXT) | instid1(VALU_DEP_1)
	v_dual_fma_f32 v44, v44, v42, -v46 :: v_dual_fmac_f32 v43, v45, v42
	v_dual_add_f32 v40, v40, v44 :: v_dual_add_f32 v41, v41, v43
.LBB165_218:                            ;   in Loop: Header=BB165_3 Depth=1
	s_or_b32 exec_lo, exec_lo, s11
	s_delay_alu instid0(SALU_CYCLE_1) | instskip(SKIP_2) | instid1(SALU_CYCLE_1)
	s_mov_b32 s11, exec_lo
	v_readlane_b32 s52, v107, 28
	s_and_b32 s52, s11, s52
	s_mov_b32 exec_lo, s52
	s_cbranch_execz .LBB165_220
; %bb.219:                              ;   in Loop: Header=BB165_3 Depth=1
	ds_load_b64 v[42:43], v77 offset:1152
	ds_load_b64 v[44:45], v72 offset:16
	s_wait_dscnt 0x0
	v_dual_mul_f32 v46, v45, v43 :: v_dual_mul_f32 v43, v44, v43
	s_delay_alu instid0(VALU_DEP_1) | instskip(NEXT) | instid1(VALU_DEP_1)
	v_dual_fma_f32 v44, v44, v42, -v46 :: v_dual_fmac_f32 v43, v45, v42
	v_dual_add_f32 v40, v40, v44 :: v_dual_add_f32 v41, v41, v43
.LBB165_220:                            ;   in Loop: Header=BB165_3 Depth=1
	s_or_b32 exec_lo, exec_lo, s11
	s_delay_alu instid0(SALU_CYCLE_1) | instskip(SKIP_2) | instid1(SALU_CYCLE_1)
	s_mov_b32 s11, exec_lo
	v_readlane_b32 s52, v107, 29
	s_and_b32 s52, s11, s52
	;; [unrolled: 16-line block ×10, first 2 shown]
	s_mov_b32 exec_lo, s52
	s_cbranch_execnz .LBB165_1086
; %bb.237:                              ;   in Loop: Header=BB165_3 Depth=1
	s_or_b32 exec_lo, exec_lo, s11
	s_and_saveexec_b32 s11, s6
	s_cbranch_execnz .LBB165_1087
.LBB165_238:                            ;   in Loop: Header=BB165_3 Depth=1
	s_or_b32 exec_lo, exec_lo, s11
	s_and_saveexec_b32 s11, s18
	s_cbranch_execnz .LBB165_1088
.LBB165_239:                            ;   in Loop: Header=BB165_3 Depth=1
	s_or_b32 exec_lo, exec_lo, s11
	s_and_saveexec_b32 s11, s20
	s_cbranch_execnz .LBB165_1089
.LBB165_240:                            ;   in Loop: Header=BB165_3 Depth=1
	s_or_b32 exec_lo, exec_lo, s11
	s_and_saveexec_b32 s11, s5
	s_cbranch_execz .LBB165_242
.LBB165_241:                            ;   in Loop: Header=BB165_3 Depth=1
	ds_load_b64 v[42:43], v51 offset:7808
	ds_load_b64 v[44:45], v3 offset:120
	s_wait_dscnt 0x0
	v_dual_mul_f32 v46, v45, v43 :: v_dual_mul_f32 v47, v44, v43
	s_delay_alu instid0(VALU_DEP_1) | instskip(NEXT) | instid1(VALU_DEP_1)
	v_dual_fma_f32 v46, v44, v42, -v46 :: v_dual_fmac_f32 v47, v45, v42
	v_pk_add_f32 v[40:41], v[40:41], v[46:47]
.LBB165_242:                            ;   in Loop: Header=BB165_3 Depth=1
	s_or_b32 exec_lo, exec_lo, s11
	s_delay_alu instid0(VALU_DEP_1)
	v_pk_add_f32 v[40:41], v[40:41], 0 neg_lo:[1,1] neg_hi:[1,1]
.LBB165_243:                            ;   in Loop: Header=BB165_3 Depth=1
	s_or_b32 exec_lo, exec_lo, s84
	s_delay_alu instid0(SALU_CYCLE_1) | instskip(SKIP_2) | instid1(SALU_CYCLE_1)
	s_mov_b32 s11, exec_lo
	v_readlane_b32 s52, v107, 1
	s_and_b32 s52, s11, s52
	s_mov_b32 exec_lo, s52
; %bb.244:                              ;   in Loop: Header=BB165_3 Depth=1
	ds_store_b64 v75, v[40:41]
; %bb.245:                              ;   in Loop: Header=BB165_3 Depth=1
	s_or_b32 exec_lo, exec_lo, s11
	s_wait_dscnt 0x0
	s_barrier_signal -1
	s_barrier_wait -1
	s_mov_b32 s11, exec_lo
	v_readlane_b32 s52, v107, 2
	s_and_b32 s52, s11, s52
	s_delay_alu instid0(SALU_CYCLE_1)
	s_mov_b32 exec_lo, s52
	s_cbranch_execz .LBB165_247
; %bb.246:                              ;   in Loop: Header=BB165_3 Depth=1
	ds_load_b64 v[42:43], v74 offset:8320
	ds_load_b64 v[44:45], v75
	s_wait_dscnt 0x0
	v_pk_mul_f32 v[46:47], v[44:45], v[42:43] op_sel:[1,1] op_sel_hi:[0,1]
	s_delay_alu instid0(VALU_DEP_1) | instskip(SKIP_1) | instid1(VALU_DEP_2)
	v_pk_fma_f32 v[98:99], v[44:45], v[42:43], v[46:47] op_sel_hi:[1,0,1]
	v_pk_fma_f32 v[42:43], v[44:45], v[42:43], v[46:47] neg_lo:[0,0,1] neg_hi:[0,0,1]
	v_mov_b32_e32 v43, v99
	s_delay_alu instid0(VALU_DEP_1)
	v_pk_add_f32 v[40:41], v[40:41], v[42:43]
.LBB165_247:                            ;   in Loop: Header=BB165_3 Depth=1
	s_or_b32 exec_lo, exec_lo, s11
	s_barrier_signal -1
	s_barrier_wait -1
	s_mov_b32 s11, exec_lo
	v_readlane_b32 s52, v107, 3
	s_and_b32 s52, s11, s52
	s_delay_alu instid0(SALU_CYCLE_1)
	s_mov_b32 exec_lo, s52
; %bb.248:                              ;   in Loop: Header=BB165_3 Depth=1
	ds_store_b64 v75, v[40:41]
; %bb.249:                              ;   in Loop: Header=BB165_3 Depth=1
	s_or_b32 exec_lo, exec_lo, s11
	s_wait_dscnt 0x0
	s_barrier_signal -1
	s_barrier_wait -1
	s_mov_b32 s11, exec_lo
	v_readlane_b32 s52, v107, 4
	s_and_b32 s52, s11, s52
	s_delay_alu instid0(SALU_CYCLE_1)
	s_mov_b32 exec_lo, s52
	s_cbranch_execz .LBB165_251
; %bb.250:                              ;   in Loop: Header=BB165_3 Depth=1
	ds_load_b64 v[42:43], v74 offset:8832
	ds_load_b64 v[44:45], v75
	s_wait_dscnt 0x0
	v_pk_mul_f32 v[46:47], v[44:45], v[42:43] op_sel:[1,1] op_sel_hi:[0,1]
	s_delay_alu instid0(VALU_DEP_1) | instskip(SKIP_1) | instid1(VALU_DEP_2)
	v_pk_fma_f32 v[98:99], v[44:45], v[42:43], v[46:47] op_sel_hi:[1,0,1]
	v_pk_fma_f32 v[42:43], v[44:45], v[42:43], v[46:47] neg_lo:[0,0,1] neg_hi:[0,0,1]
	v_mov_b32_e32 v43, v99
	s_delay_alu instid0(VALU_DEP_1)
	v_pk_add_f32 v[40:41], v[40:41], v[42:43]
.LBB165_251:                            ;   in Loop: Header=BB165_3 Depth=1
	s_or_b32 exec_lo, exec_lo, s11
	s_barrier_signal -1
	s_barrier_wait -1
	s_mov_b32 s11, exec_lo
	v_readlane_b32 s52, v107, 5
	s_and_b32 s52, s11, s52
	s_delay_alu instid0(SALU_CYCLE_1)
	;; [unrolled: 33-line block ×3, first 2 shown]
	s_mov_b32 exec_lo, s52
; %bb.256:                              ;   in Loop: Header=BB165_3 Depth=1
	ds_store_b64 v75, v[40:41]
; %bb.257:                              ;   in Loop: Header=BB165_3 Depth=1
	s_or_b32 exec_lo, exec_lo, s11
	s_wait_dscnt 0x0
	s_barrier_signal -1
	s_barrier_wait -1
	s_mov_b32 s11, exec_lo
	v_readlane_b32 s52, v107, 8
	s_and_b32 s52, s11, s52
	s_delay_alu instid0(SALU_CYCLE_1)
	s_mov_b32 exec_lo, s52
	s_cbranch_execz .LBB165_259
; %bb.258:                              ;   in Loop: Header=BB165_3 Depth=1
	ds_load_b64 v[42:43], v74 offset:9856
	ds_load_b64 v[44:45], v75
	s_wait_dscnt 0x0
	v_dual_mul_f32 v46, v45, v43 :: v_dual_mul_f32 v43, v44, v43
	s_delay_alu instid0(VALU_DEP_1) | instskip(NEXT) | instid1(VALU_DEP_1)
	v_dual_fma_f32 v44, v44, v42, -v46 :: v_dual_fmac_f32 v43, v45, v42
	v_dual_add_f32 v40, v40, v44 :: v_dual_add_f32 v41, v41, v43
.LBB165_259:                            ;   in Loop: Header=BB165_3 Depth=1
	s_or_b32 exec_lo, exec_lo, s11
	s_barrier_signal -1
	s_barrier_wait -1
	s_mov_b32 s11, exec_lo
	v_readlane_b32 s52, v107, 9
	s_and_b32 s52, s11, s52
	s_delay_alu instid0(SALU_CYCLE_1)
	s_mov_b32 exec_lo, s52
; %bb.260:                              ;   in Loop: Header=BB165_3 Depth=1
	ds_store_b64 v75, v[40:41]
; %bb.261:                              ;   in Loop: Header=BB165_3 Depth=1
	s_or_b32 exec_lo, exec_lo, s11
	s_wait_dscnt 0x0
	s_barrier_signal -1
	s_barrier_wait -1
	s_and_saveexec_b32 s11, s57
	s_cbranch_execz .LBB165_263
; %bb.262:                              ;   in Loop: Header=BB165_3 Depth=1
	ds_load_b64 v[42:43], v74 offset:10368
	ds_load_b64 v[44:45], v75
	s_wait_dscnt 0x0
	v_dual_mul_f32 v46, v45, v43 :: v_dual_mul_f32 v47, v44, v43
	s_delay_alu instid0(VALU_DEP_1) | instskip(NEXT) | instid1(VALU_DEP_1)
	v_dual_fma_f32 v46, v44, v42, -v46 :: v_dual_fmac_f32 v47, v45, v42
	v_pk_add_f32 v[40:41], v[40:41], v[46:47]
.LBB165_263:                            ;   in Loop: Header=BB165_3 Depth=1
	s_or_b32 exec_lo, exec_lo, s11
	s_barrier_signal -1
	s_barrier_wait -1
	s_and_saveexec_b32 s11, s58
; %bb.264:                              ;   in Loop: Header=BB165_3 Depth=1
	ds_store_b64 v75, v[40:41]
; %bb.265:                              ;   in Loop: Header=BB165_3 Depth=1
	s_or_b32 exec_lo, exec_lo, s11
	s_wait_dscnt 0x0
	s_barrier_signal -1
	s_barrier_wait -1
	s_and_saveexec_b32 s11, s59
	s_cbranch_execz .LBB165_267
; %bb.266:                              ;   in Loop: Header=BB165_3 Depth=1
	ds_load_b64 v[42:43], v74 offset:10880
	ds_load_b64 v[44:45], v75
	s_wait_dscnt 0x0
	v_pk_mul_f32 v[46:47], v[44:45], v[42:43] op_sel:[1,1] op_sel_hi:[0,1]
	s_delay_alu instid0(VALU_DEP_1) | instskip(SKIP_1) | instid1(VALU_DEP_2)
	v_pk_fma_f32 v[98:99], v[44:45], v[42:43], v[46:47] op_sel_hi:[1,0,1]
	v_pk_fma_f32 v[42:43], v[44:45], v[42:43], v[46:47] neg_lo:[0,0,1] neg_hi:[0,0,1]
	v_mov_b32_e32 v43, v99
	s_delay_alu instid0(VALU_DEP_1)
	v_pk_add_f32 v[40:41], v[40:41], v[42:43]
.LBB165_267:                            ;   in Loop: Header=BB165_3 Depth=1
	s_or_b32 exec_lo, exec_lo, s11
	s_barrier_signal -1
	s_barrier_wait -1
	s_and_saveexec_b32 s11, s60
; %bb.268:                              ;   in Loop: Header=BB165_3 Depth=1
	ds_store_b64 v75, v[40:41]
; %bb.269:                              ;   in Loop: Header=BB165_3 Depth=1
	s_or_b32 exec_lo, exec_lo, s11
	s_wait_dscnt 0x0
	s_barrier_signal -1
	s_barrier_wait -1
	s_and_saveexec_b32 s11, s22
	s_cbranch_execz .LBB165_271
; %bb.270:                              ;   in Loop: Header=BB165_3 Depth=1
	ds_load_b64 v[42:43], v74 offset:11392
	ds_load_b64 v[44:45], v75
	s_wait_dscnt 0x0
	v_pk_mul_f32 v[46:47], v[44:45], v[42:43] op_sel:[1,1] op_sel_hi:[0,1]
	s_delay_alu instid0(VALU_DEP_1) | instskip(SKIP_1) | instid1(VALU_DEP_2)
	v_pk_fma_f32 v[98:99], v[44:45], v[42:43], v[46:47] op_sel_hi:[1,0,1]
	v_pk_fma_f32 v[42:43], v[44:45], v[42:43], v[46:47] neg_lo:[0,0,1] neg_hi:[0,0,1]
	v_mov_b32_e32 v43, v99
	s_delay_alu instid0(VALU_DEP_1)
	v_pk_add_f32 v[40:41], v[40:41], v[42:43]
.LBB165_271:                            ;   in Loop: Header=BB165_3 Depth=1
	s_or_b32 exec_lo, exec_lo, s11
	s_barrier_signal -1
	s_barrier_wait -1
	s_and_saveexec_b32 s11, s24
; %bb.272:                              ;   in Loop: Header=BB165_3 Depth=1
	ds_store_b64 v75, v[40:41]
; %bb.273:                              ;   in Loop: Header=BB165_3 Depth=1
	s_or_b32 exec_lo, exec_lo, s11
	s_wait_dscnt 0x0
	s_barrier_signal -1
	s_barrier_wait -1
	s_and_saveexec_b32 s11, s26
	s_cbranch_execz .LBB165_275
; %bb.274:                              ;   in Loop: Header=BB165_3 Depth=1
	ds_load_b64 v[42:43], v74 offset:11904
	ds_load_b64 v[44:45], v75
	s_wait_dscnt 0x0
	v_pk_mul_f32 v[46:47], v[44:45], v[42:43] op_sel:[1,1] op_sel_hi:[0,1]
	s_delay_alu instid0(VALU_DEP_1) | instskip(SKIP_1) | instid1(VALU_DEP_2)
	v_pk_fma_f32 v[98:99], v[44:45], v[42:43], v[46:47] op_sel_hi:[1,0,1]
	v_pk_fma_f32 v[42:43], v[44:45], v[42:43], v[46:47] neg_lo:[0,0,1] neg_hi:[0,0,1]
	v_mov_b32_e32 v43, v99
	s_delay_alu instid0(VALU_DEP_1)
	v_pk_add_f32 v[40:41], v[40:41], v[42:43]
.LBB165_275:                            ;   in Loop: Header=BB165_3 Depth=1
	s_or_b32 exec_lo, exec_lo, s11
	s_barrier_signal -1
	s_barrier_wait -1
	s_and_saveexec_b32 s11, s28
; %bb.276:                              ;   in Loop: Header=BB165_3 Depth=1
	ds_store_b64 v75, v[40:41]
; %bb.277:                              ;   in Loop: Header=BB165_3 Depth=1
	s_or_b32 exec_lo, exec_lo, s11
	s_wait_dscnt 0x0
	s_barrier_signal -1
	s_barrier_wait -1
	s_and_saveexec_b32 s11, s30
	s_cbranch_execz .LBB165_279
; %bb.278:                              ;   in Loop: Header=BB165_3 Depth=1
	ds_load_b64 v[42:43], v74 offset:12416
	ds_load_b64 v[44:45], v75
	s_wait_dscnt 0x0
	v_pk_mul_f32 v[46:47], v[44:45], v[42:43] op_sel:[1,1] op_sel_hi:[0,1]
	s_delay_alu instid0(VALU_DEP_1) | instskip(SKIP_1) | instid1(VALU_DEP_2)
	v_pk_fma_f32 v[98:99], v[44:45], v[42:43], v[46:47] op_sel_hi:[1,0,1]
	v_pk_fma_f32 v[42:43], v[44:45], v[42:43], v[46:47] neg_lo:[0,0,1] neg_hi:[0,0,1]
	v_mov_b32_e32 v43, v99
	s_delay_alu instid0(VALU_DEP_1)
	v_pk_add_f32 v[40:41], v[40:41], v[42:43]
.LBB165_279:                            ;   in Loop: Header=BB165_3 Depth=1
	s_or_b32 exec_lo, exec_lo, s11
	s_barrier_signal -1
	s_barrier_wait -1
	s_and_saveexec_b32 s11, s33
; %bb.280:                              ;   in Loop: Header=BB165_3 Depth=1
	ds_store_b64 v75, v[40:41]
; %bb.281:                              ;   in Loop: Header=BB165_3 Depth=1
	s_or_b32 exec_lo, exec_lo, s11
	s_wait_dscnt 0x0
	s_barrier_signal -1
	s_barrier_wait -1
	s_and_saveexec_b32 s11, s41
	s_cbranch_execz .LBB165_283
; %bb.282:                              ;   in Loop: Header=BB165_3 Depth=1
	ds_load_b64 v[42:43], v74 offset:12928
	ds_load_b64 v[44:45], v75
	s_wait_dscnt 0x0
	v_dual_mul_f32 v46, v45, v43 :: v_dual_mul_f32 v43, v44, v43
	s_delay_alu instid0(VALU_DEP_1) | instskip(NEXT) | instid1(VALU_DEP_1)
	v_dual_fma_f32 v44, v44, v42, -v46 :: v_dual_fmac_f32 v43, v45, v42
	v_dual_add_f32 v40, v40, v44 :: v_dual_add_f32 v41, v41, v43
.LBB165_283:                            ;   in Loop: Header=BB165_3 Depth=1
	s_or_b32 exec_lo, exec_lo, s11
	s_barrier_signal -1
	s_barrier_wait -1
	s_and_saveexec_b32 s11, s80
; %bb.284:                              ;   in Loop: Header=BB165_3 Depth=1
	ds_store_b64 v75, v[40:41]
; %bb.285:                              ;   in Loop: Header=BB165_3 Depth=1
	s_or_b32 exec_lo, exec_lo, s11
	s_wait_dscnt 0x0
	s_barrier_signal -1
	s_barrier_wait -1
	s_and_saveexec_b32 s11, s81
	s_cbranch_execz .LBB165_287
; %bb.286:                              ;   in Loop: Header=BB165_3 Depth=1
	ds_load_b64 v[42:43], v74 offset:13440
	ds_load_b64 v[44:45], v75
	s_wait_dscnt 0x0
	v_dual_mul_f32 v46, v45, v43 :: v_dual_mul_f32 v47, v44, v43
	s_delay_alu instid0(VALU_DEP_1) | instskip(NEXT) | instid1(VALU_DEP_1)
	v_dual_fma_f32 v46, v44, v42, -v46 :: v_dual_fmac_f32 v47, v45, v42
	v_pk_add_f32 v[40:41], v[40:41], v[46:47]
.LBB165_287:                            ;   in Loop: Header=BB165_3 Depth=1
	s_or_b32 exec_lo, exec_lo, s11
	s_barrier_signal -1
	s_barrier_wait -1
	s_and_saveexec_b32 s11, s74
; %bb.288:                              ;   in Loop: Header=BB165_3 Depth=1
	ds_store_b64 v75, v[40:41]
; %bb.289:                              ;   in Loop: Header=BB165_3 Depth=1
	s_or_b32 exec_lo, exec_lo, s11
	s_wait_dscnt 0x0
	s_barrier_signal -1
	s_barrier_wait -1
	s_and_saveexec_b32 s11, s75
	s_cbranch_execz .LBB165_291
; %bb.290:                              ;   in Loop: Header=BB165_3 Depth=1
	ds_load_b64 v[42:43], v74 offset:13952
	ds_load_b64 v[44:45], v75
	s_wait_dscnt 0x0
	v_pk_mul_f32 v[46:47], v[44:45], v[42:43] op_sel:[1,1] op_sel_hi:[0,1]
	s_delay_alu instid0(VALU_DEP_1) | instskip(SKIP_1) | instid1(VALU_DEP_2)
	v_pk_fma_f32 v[98:99], v[44:45], v[42:43], v[46:47] op_sel_hi:[1,0,1]
	v_pk_fma_f32 v[42:43], v[44:45], v[42:43], v[46:47] neg_lo:[0,0,1] neg_hi:[0,0,1]
	v_mov_b32_e32 v43, v99
	s_delay_alu instid0(VALU_DEP_1)
	v_pk_add_f32 v[40:41], v[40:41], v[42:43]
.LBB165_291:                            ;   in Loop: Header=BB165_3 Depth=1
	s_or_b32 exec_lo, exec_lo, s11
	s_barrier_signal -1
	s_barrier_wait -1
	s_and_saveexec_b32 s11, s23
; %bb.292:                              ;   in Loop: Header=BB165_3 Depth=1
	ds_store_b64 v75, v[40:41]
; %bb.293:                              ;   in Loop: Header=BB165_3 Depth=1
	s_or_b32 exec_lo, exec_lo, s11
	s_wait_dscnt 0x0
	s_barrier_signal -1
	s_barrier_wait -1
	s_and_saveexec_b32 s11, s25
	s_cbranch_execz .LBB165_295
; %bb.294:                              ;   in Loop: Header=BB165_3 Depth=1
	ds_load_b64 v[42:43], v74 offset:14464
	ds_load_b64 v[44:45], v75
	s_wait_dscnt 0x0
	v_pk_mul_f32 v[46:47], v[44:45], v[42:43] op_sel:[1,1] op_sel_hi:[0,1]
	s_delay_alu instid0(VALU_DEP_1) | instskip(SKIP_1) | instid1(VALU_DEP_2)
	v_pk_fma_f32 v[98:99], v[44:45], v[42:43], v[46:47] op_sel_hi:[1,0,1]
	v_pk_fma_f32 v[42:43], v[44:45], v[42:43], v[46:47] neg_lo:[0,0,1] neg_hi:[0,0,1]
	v_mov_b32_e32 v43, v99
	s_delay_alu instid0(VALU_DEP_1)
	v_pk_add_f32 v[40:41], v[40:41], v[42:43]
.LBB165_295:                            ;   in Loop: Header=BB165_3 Depth=1
	;; [unrolled: 25-line block ×4, first 2 shown]
	s_or_b32 exec_lo, exec_lo, s11
	s_barrier_signal -1
	s_barrier_wait -1
	s_and_saveexec_b32 s11, s89
; %bb.304:                              ;   in Loop: Header=BB165_3 Depth=1
	ds_store_b64 v75, v[40:41]
; %bb.305:                              ;   in Loop: Header=BB165_3 Depth=1
	s_or_b32 exec_lo, exec_lo, s11
	s_wait_dscnt 0x0
	s_barrier_signal -1
	s_barrier_wait -1
	s_barrier_signal -1
	s_barrier_wait -1
	s_and_saveexec_b32 s11, s7
; %bb.306:                              ;   in Loop: Header=BB165_3 Depth=1
	v_pk_add_f32 v[40:41], v[40:41], 0 neg_lo:[1,1] neg_hi:[1,1]
	ds_store_b64 v76, v[40:41] offset:128
; %bb.307:                              ;   in Loop: Header=BB165_3 Depth=1
	s_or_b32 exec_lo, exec_lo, s11
	s_wait_dscnt 0x0
	s_barrier_signal -1
	s_barrier_wait -1
	s_barrier_signal -1
	s_barrier_wait -1
	s_and_saveexec_b32 s11, s48
	s_cbranch_execz .LBB165_309
; %bb.308:                              ;   in Loop: Header=BB165_3 Depth=1
	ds_load_b64 v[40:41], v54 offset:128
	s_wait_dscnt 0x0
	ds_store_b64 v58, v[40:41] offset:8192
	ds_load_b64 v[40:41], v54 offset:136
	s_wait_dscnt 0x0
	ds_store_b64 v58, v[40:41] offset:8704
	;; [unrolled: 3-line block ×16, first 2 shown]
.LBB165_309:                            ;   in Loop: Header=BB165_3 Depth=1
	s_or_b32 exec_lo, exec_lo, s11
	s_wait_dscnt 0x0
	s_barrier_signal -1
	s_barrier_wait -1
	s_and_saveexec_b32 s11, s10
	s_cbranch_execz .LBB165_311
; %bb.310:                              ;   in Loop: Header=BB165_3 Depth=1
	ds_load_b64 v[40:41], v3 offset:8328
	v_add_nc_u32_e64 v42, 0x80, 0
	ds_store_b64 v3, v[26:27] offset:8840
	s_wait_dscnt 0x1
	ds_store_2addr_stride64_b64 v42, v[26:27], v[40:41] offset0:16 offset1:17
.LBB165_311:                            ;   in Loop: Header=BB165_3 Depth=1
	s_or_b32 exec_lo, exec_lo, s11
	v_mov_b64_e32 v[40:41], 0
	s_wait_dscnt 0x0
	s_barrier_signal -1
	s_barrier_wait -1
	s_and_saveexec_b32 s11, s3
	s_cbranch_execz .LBB165_315
; %bb.312:                              ;   in Loop: Header=BB165_3 Depth=1
	ds_load_b64 v[40:41], v49 offset:8336
	ds_load_b64 v[42:43], v50 offset:8320
	s_wait_dscnt 0x0
	v_pk_mul_f32 v[44:45], v[42:43], v[40:41] op_sel:[1,1] op_sel_hi:[0,1]
	s_delay_alu instid0(VALU_DEP_1) | instskip(SKIP_1) | instid1(VALU_DEP_2)
	v_pk_fma_f32 v[46:47], v[42:43], v[40:41], v[44:45] op_sel_hi:[1,0,1]
	v_pk_fma_f32 v[40:41], v[42:43], v[40:41], v[44:45] neg_lo:[0,0,1] neg_hi:[0,0,1]
	v_mov_b32_e32 v41, v47
	s_delay_alu instid0(VALU_DEP_1)
	v_pk_add_f32 v[40:41], v[40:41], 0 op_sel_hi:[1,0]
	s_and_saveexec_b32 s52, s14
	s_cbranch_execz .LBB165_314
; %bb.313:                              ;   in Loop: Header=BB165_3 Depth=1
	ds_load_b64 v[42:43], v51 offset:8848
	ds_load_b64 v[44:45], v3 offset:8328
	s_wait_dscnt 0x0
	v_pk_mul_f32 v[46:47], v[44:45], v[42:43] op_sel:[1,1] op_sel_hi:[0,1]
	s_delay_alu instid0(VALU_DEP_1) | instskip(SKIP_1) | instid1(VALU_DEP_2)
	v_pk_fma_f32 v[98:99], v[44:45], v[42:43], v[46:47] op_sel_hi:[1,0,1]
	v_pk_fma_f32 v[42:43], v[44:45], v[42:43], v[46:47] neg_lo:[0,0,1] neg_hi:[0,0,1]
	v_mov_b32_e32 v43, v99
	s_delay_alu instid0(VALU_DEP_1)
	v_pk_add_f32 v[40:41], v[40:41], v[42:43]
.LBB165_314:                            ;   in Loop: Header=BB165_3 Depth=1
	s_or_b32 exec_lo, exec_lo, s52
	s_delay_alu instid0(VALU_DEP_1)
	v_pk_add_f32 v[40:41], v[40:41], 0 neg_lo:[1,1] neg_hi:[1,1]
.LBB165_315:                            ;   in Loop: Header=BB165_3 Depth=1
	s_or_b32 exec_lo, exec_lo, s11
	s_and_saveexec_b32 s11, s91
; %bb.316:                              ;   in Loop: Header=BB165_3 Depth=1
	ds_store_b64 v5, v[40:41]
; %bb.317:                              ;   in Loop: Header=BB165_3 Depth=1
	s_or_b32 exec_lo, exec_lo, s11
	s_wait_dscnt 0x0
	s_barrier_signal -1
	s_barrier_wait -1
	s_and_saveexec_b32 s11, s92
	s_cbranch_execz .LBB165_319
; %bb.318:                              ;   in Loop: Header=BB165_3 Depth=1
	ds_load_b64 v[42:43], v3 offset:9368
	ds_load_b64 v[44:45], v5
	s_wait_dscnt 0x0
	v_pk_mul_f32 v[46:47], v[44:45], v[42:43] op_sel:[1,1] op_sel_hi:[0,1]
	s_delay_alu instid0(VALU_DEP_1) | instskip(SKIP_1) | instid1(VALU_DEP_2)
	v_pk_fma_f32 v[98:99], v[44:45], v[42:43], v[46:47] op_sel_hi:[1,0,1]
	v_pk_fma_f32 v[42:43], v[44:45], v[42:43], v[46:47] neg_lo:[0,0,1] neg_hi:[0,0,1]
	v_mov_b32_e32 v43, v99
	s_delay_alu instid0(VALU_DEP_1)
	v_pk_add_f32 v[40:41], v[40:41], v[42:43]
.LBB165_319:                            ;   in Loop: Header=BB165_3 Depth=1
	s_or_b32 exec_lo, exec_lo, s11
	s_barrier_signal -1
	s_barrier_wait -1
	s_and_saveexec_b32 s11, s92
; %bb.320:                              ;   in Loop: Header=BB165_3 Depth=1
	ds_store_b64 v5, v[40:41]
; %bb.321:                              ;   in Loop: Header=BB165_3 Depth=1
	s_or_b32 exec_lo, exec_lo, s11
	s_wait_dscnt 0x0
	s_barrier_signal -1
	s_barrier_wait -1
	s_barrier_signal -1
	s_barrier_wait -1
	s_and_saveexec_b32 s11, s3
; %bb.322:                              ;   in Loop: Header=BB165_3 Depth=1
	v_pk_add_f32 v[40:41], v[40:41], 0 neg_lo:[1,1] neg_hi:[1,1]
	ds_store_b64 v49, v[40:41] offset:8336
; %bb.323:                              ;   in Loop: Header=BB165_3 Depth=1
	s_or_b32 exec_lo, exec_lo, s11
	s_wait_dscnt 0x0
	s_barrier_signal -1
	s_barrier_wait -1
	s_barrier_signal -1
	s_barrier_wait -1
	s_and_saveexec_b32 s11, s93
	s_cbranch_execz .LBB165_325
; %bb.324:                              ;   in Loop: Header=BB165_3 Depth=1
	ds_load_b64 v[40:41], v54 offset:8336
	s_wait_dscnt 0x0
	ds_store_b64 v51, v[40:41] offset:9344
	ds_load_b64 v[40:41], v54 offset:8344
	s_wait_dscnt 0x0
	ds_store_b64 v51, v[40:41] offset:9856
.LBB165_325:                            ;   in Loop: Header=BB165_3 Depth=1
	s_or_b32 exec_lo, exec_lo, s11
	s_wait_dscnt 0x0
	s_barrier_signal -1
	s_barrier_wait -1
	s_and_saveexec_b32 s11, s10
	s_cbranch_execz .LBB165_327
; %bb.326:                              ;   in Loop: Header=BB165_3 Depth=1
	ds_load_b64 v[40:41], v3 offset:9368
	v_add_nc_u32_e64 v42, 0x90, 0
	ds_store_b64 v3, v[26:27] offset:9880
	s_wait_dscnt 0x1
	ds_store_2addr_stride64_b64 v42, v[26:27], v[40:41] offset0:18 offset1:19
.LBB165_327:                            ;   in Loop: Header=BB165_3 Depth=1
	s_or_b32 exec_lo, exec_lo, s11
	v_mov_b64_e32 v[40:41], 0
	s_wait_dscnt 0x0
	s_barrier_signal -1
	s_barrier_wait -1
	s_and_saveexec_b32 s11, s5
	s_cbranch_execz .LBB165_333
; %bb.328:                              ;   in Loop: Header=BB165_3 Depth=1
	ds_load_b64 v[40:41], v56 offset:8352
	ds_load_b64 v[42:43], v52 offset:8320
	s_wait_dscnt 0x0
	v_dual_mul_f32 v44, v43, v41 :: v_dual_mul_f32 v41, v42, v41
	s_delay_alu instid0(VALU_DEP_1) | instskip(NEXT) | instid1(VALU_DEP_1)
	v_dual_fma_f32 v42, v42, v40, -v44 :: v_dual_fmac_f32 v41, v43, v40
	v_dual_add_f32 v40, 0, v42 :: v_dual_add_f32 v41, 0, v41
	s_and_saveexec_b32 s52, s15
	s_cbranch_execnz .LBB165_1090
; %bb.329:                              ;   in Loop: Header=BB165_3 Depth=1
	s_or_b32 exec_lo, exec_lo, s52
	s_and_saveexec_b32 s52, s16
	s_cbranch_execnz .LBB165_1091
.LBB165_330:                            ;   in Loop: Header=BB165_3 Depth=1
	s_or_b32 exec_lo, exec_lo, s52
	s_and_saveexec_b32 s52, s3
	s_cbranch_execz .LBB165_332
.LBB165_331:                            ;   in Loop: Header=BB165_3 Depth=1
	ds_load_b64 v[42:43], v58 offset:9888
	ds_load_b64 v[44:45], v3 offset:8344
	s_wait_dscnt 0x0
	v_dual_mul_f32 v46, v45, v43 :: v_dual_mul_f32 v47, v44, v43
	s_delay_alu instid0(VALU_DEP_1) | instskip(NEXT) | instid1(VALU_DEP_1)
	v_dual_fma_f32 v46, v44, v42, -v46 :: v_dual_fmac_f32 v47, v45, v42
	v_pk_add_f32 v[40:41], v[40:41], v[46:47]
.LBB165_332:                            ;   in Loop: Header=BB165_3 Depth=1
	s_or_b32 exec_lo, exec_lo, s52
	s_delay_alu instid0(VALU_DEP_1)
	v_pk_add_f32 v[40:41], v[40:41], 0 neg_lo:[1,1] neg_hi:[1,1]
.LBB165_333:                            ;   in Loop: Header=BB165_3 Depth=1
	s_or_b32 exec_lo, exec_lo, s11
	s_and_saveexec_b32 s11, s94
; %bb.334:                              ;   in Loop: Header=BB165_3 Depth=1
	ds_store_b64 v55, v[40:41]
; %bb.335:                              ;   in Loop: Header=BB165_3 Depth=1
	s_or_b32 exec_lo, exec_lo, s11
	s_wait_dscnt 0x0
	s_barrier_signal -1
	s_barrier_wait -1
	s_and_saveexec_b32 s11, s95
	s_cbranch_execz .LBB165_337
; %bb.336:                              ;   in Loop: Header=BB165_3 Depth=1
	ds_load_b64 v[42:43], v53 offset:10400
	ds_load_b64 v[44:45], v55
	s_wait_dscnt 0x0
	v_pk_mul_f32 v[46:47], v[44:45], v[42:43] op_sel:[1,1] op_sel_hi:[0,1]
	s_delay_alu instid0(VALU_DEP_1) | instskip(SKIP_1) | instid1(VALU_DEP_2)
	v_pk_fma_f32 v[98:99], v[44:45], v[42:43], v[46:47] op_sel_hi:[1,0,1]
	v_pk_fma_f32 v[42:43], v[44:45], v[42:43], v[46:47] neg_lo:[0,0,1] neg_hi:[0,0,1]
	v_mov_b32_e32 v43, v99
	s_delay_alu instid0(VALU_DEP_1)
	v_pk_add_f32 v[40:41], v[40:41], v[42:43]
.LBB165_337:                            ;   in Loop: Header=BB165_3 Depth=1
	s_or_b32 exec_lo, exec_lo, s11
	s_barrier_signal -1
	s_barrier_wait -1
	s_and_saveexec_b32 s11, s96
; %bb.338:                              ;   in Loop: Header=BB165_3 Depth=1
	ds_store_b64 v55, v[40:41]
; %bb.339:                              ;   in Loop: Header=BB165_3 Depth=1
	s_or_b32 exec_lo, exec_lo, s11
	s_wait_dscnt 0x0
	s_barrier_signal -1
	s_barrier_wait -1
	s_and_saveexec_b32 s11, s97
	s_cbranch_execz .LBB165_341
; %bb.340:                              ;   in Loop: Header=BB165_3 Depth=1
	ds_load_b64 v[42:43], v53 offset:10912
	ds_load_b64 v[44:45], v55
	s_wait_dscnt 0x0
	v_pk_mul_f32 v[46:47], v[44:45], v[42:43] op_sel:[1,1] op_sel_hi:[0,1]
	s_delay_alu instid0(VALU_DEP_1) | instskip(SKIP_1) | instid1(VALU_DEP_2)
	v_pk_fma_f32 v[98:99], v[44:45], v[42:43], v[46:47] op_sel_hi:[1,0,1]
	v_pk_fma_f32 v[42:43], v[44:45], v[42:43], v[46:47] neg_lo:[0,0,1] neg_hi:[0,0,1]
	v_mov_b32_e32 v43, v99
	s_delay_alu instid0(VALU_DEP_1)
	v_pk_add_f32 v[40:41], v[40:41], v[42:43]
.LBB165_341:                            ;   in Loop: Header=BB165_3 Depth=1
	s_or_b32 exec_lo, exec_lo, s11
	s_barrier_signal -1
	s_barrier_wait -1
	;; [unrolled: 25-line block ×3, first 2 shown]
	s_and_saveexec_b32 s11, s99
; %bb.346:                              ;   in Loop: Header=BB165_3 Depth=1
	ds_store_b64 v55, v[40:41]
; %bb.347:                              ;   in Loop: Header=BB165_3 Depth=1
	s_or_b32 exec_lo, exec_lo, s11
	s_wait_dscnt 0x0
	s_barrier_signal -1
	s_barrier_wait -1
	s_barrier_signal -1
	s_barrier_wait -1
	s_and_saveexec_b32 s11, s5
; %bb.348:                              ;   in Loop: Header=BB165_3 Depth=1
	v_pk_add_f32 v[40:41], v[40:41], 0 neg_lo:[1,1] neg_hi:[1,1]
	ds_store_b64 v56, v[40:41] offset:8352
; %bb.349:                              ;   in Loop: Header=BB165_3 Depth=1
	s_or_b32 exec_lo, exec_lo, s11
	s_wait_dscnt 0x0
	s_barrier_signal -1
	s_barrier_wait -1
	s_barrier_signal -1
	s_barrier_wait -1
	s_and_saveexec_b32 s11, s100
	s_cbranch_execz .LBB165_351
; %bb.350:                              ;   in Loop: Header=BB165_3 Depth=1
	ds_load_b64 v[40:41], v59 offset:8352
	s_wait_dscnt 0x0
	ds_store_b64 v60, v[40:41] offset:10368
	ds_load_b64 v[40:41], v59 offset:8360
	s_wait_dscnt 0x0
	ds_store_b64 v60, v[40:41] offset:10880
	;; [unrolled: 3-line block ×4, first 2 shown]
.LBB165_351:                            ;   in Loop: Header=BB165_3 Depth=1
	s_or_b32 exec_lo, exec_lo, s11
	s_wait_dscnt 0x0
	s_barrier_signal -1
	s_barrier_wait -1
	s_and_saveexec_b32 s11, s10
	s_cbranch_execz .LBB165_353
; %bb.352:                              ;   in Loop: Header=BB165_3 Depth=1
	ds_load_b64 v[40:41], v3 offset:10408
	v_add_nc_u32_e64 v42, 0xa0, 0
	ds_store_b64 v3, v[26:27] offset:10920
	s_wait_dscnt 0x1
	ds_store_2addr_stride64_b64 v42, v[26:27], v[40:41] offset0:20 offset1:21
.LBB165_353:                            ;   in Loop: Header=BB165_3 Depth=1
	s_or_b32 exec_lo, exec_lo, s11
	v_mov_b64_e32 v[40:41], 0
	s_wait_dscnt 0x0
	s_barrier_signal -1
	s_barrier_wait -1
	s_and_saveexec_b32 s11, s3
	s_cbranch_execz .LBB165_357
; %bb.354:                              ;   in Loop: Header=BB165_3 Depth=1
	ds_load_b64 v[40:41], v49 offset:10416
	ds_load_b64 v[42:43], v50 offset:10400
	s_wait_dscnt 0x0
	v_pk_mul_f32 v[44:45], v[42:43], v[40:41] op_sel:[1,1] op_sel_hi:[0,1]
	s_delay_alu instid0(VALU_DEP_1) | instskip(SKIP_1) | instid1(VALU_DEP_2)
	v_pk_fma_f32 v[46:47], v[42:43], v[40:41], v[44:45] op_sel_hi:[1,0,1]
	v_pk_fma_f32 v[40:41], v[42:43], v[40:41], v[44:45] neg_lo:[0,0,1] neg_hi:[0,0,1]
	v_mov_b32_e32 v41, v47
	s_delay_alu instid0(VALU_DEP_1)
	v_pk_add_f32 v[40:41], v[40:41], 0 op_sel_hi:[1,0]
	s_and_saveexec_b32 s52, s14
	s_cbranch_execz .LBB165_356
; %bb.355:                              ;   in Loop: Header=BB165_3 Depth=1
	ds_load_b64 v[42:43], v60 offset:10928
	ds_load_b64 v[44:45], v3 offset:10408
	s_wait_dscnt 0x0
	v_pk_mul_f32 v[46:47], v[44:45], v[42:43] op_sel:[1,1] op_sel_hi:[0,1]
	s_delay_alu instid0(VALU_DEP_1) | instskip(SKIP_1) | instid1(VALU_DEP_2)
	v_pk_fma_f32 v[98:99], v[44:45], v[42:43], v[46:47] op_sel_hi:[1,0,1]
	v_pk_fma_f32 v[42:43], v[44:45], v[42:43], v[46:47] neg_lo:[0,0,1] neg_hi:[0,0,1]
	v_mov_b32_e32 v43, v99
	s_delay_alu instid0(VALU_DEP_1)
	v_pk_add_f32 v[40:41], v[40:41], v[42:43]
.LBB165_356:                            ;   in Loop: Header=BB165_3 Depth=1
	s_or_b32 exec_lo, exec_lo, s52
	s_delay_alu instid0(VALU_DEP_1)
	v_pk_add_f32 v[40:41], v[40:41], 0 neg_lo:[1,1] neg_hi:[1,1]
.LBB165_357:                            ;   in Loop: Header=BB165_3 Depth=1
	s_or_b32 exec_lo, exec_lo, s11
	s_and_saveexec_b32 s11, s91
; %bb.358:                              ;   in Loop: Header=BB165_3 Depth=1
	ds_store_b64 v5, v[40:41]
; %bb.359:                              ;   in Loop: Header=BB165_3 Depth=1
	s_or_b32 exec_lo, exec_lo, s11
	s_wait_dscnt 0x0
	s_barrier_signal -1
	s_barrier_wait -1
	s_and_saveexec_b32 s11, s92
	s_cbranch_execz .LBB165_361
; %bb.360:                              ;   in Loop: Header=BB165_3 Depth=1
	ds_load_b64 v[42:43], v3 offset:11448
	ds_load_b64 v[44:45], v5
	s_wait_dscnt 0x0
	v_pk_mul_f32 v[46:47], v[44:45], v[42:43] op_sel:[1,1] op_sel_hi:[0,1]
	s_delay_alu instid0(VALU_DEP_1) | instskip(SKIP_1) | instid1(VALU_DEP_2)
	v_pk_fma_f32 v[98:99], v[44:45], v[42:43], v[46:47] op_sel_hi:[1,0,1]
	v_pk_fma_f32 v[42:43], v[44:45], v[42:43], v[46:47] neg_lo:[0,0,1] neg_hi:[0,0,1]
	v_mov_b32_e32 v43, v99
	s_delay_alu instid0(VALU_DEP_1)
	v_pk_add_f32 v[40:41], v[40:41], v[42:43]
.LBB165_361:                            ;   in Loop: Header=BB165_3 Depth=1
	s_or_b32 exec_lo, exec_lo, s11
	s_barrier_signal -1
	s_barrier_wait -1
	s_and_saveexec_b32 s11, s92
; %bb.362:                              ;   in Loop: Header=BB165_3 Depth=1
	ds_store_b64 v5, v[40:41]
; %bb.363:                              ;   in Loop: Header=BB165_3 Depth=1
	s_or_b32 exec_lo, exec_lo, s11
	s_wait_dscnt 0x0
	s_barrier_signal -1
	s_barrier_wait -1
	s_barrier_signal -1
	s_barrier_wait -1
	s_and_saveexec_b32 s11, s3
; %bb.364:                              ;   in Loop: Header=BB165_3 Depth=1
	v_pk_add_f32 v[40:41], v[40:41], 0 neg_lo:[1,1] neg_hi:[1,1]
	ds_store_b64 v49, v[40:41] offset:10416
; %bb.365:                              ;   in Loop: Header=BB165_3 Depth=1
	s_or_b32 exec_lo, exec_lo, s11
	s_wait_dscnt 0x0
	s_barrier_signal -1
	s_barrier_wait -1
	s_barrier_signal -1
	s_barrier_wait -1
	s_and_saveexec_b32 s11, s93
	s_cbranch_execz .LBB165_367
; %bb.366:                              ;   in Loop: Header=BB165_3 Depth=1
	ds_load_b64 v[40:41], v63 offset:10416
	s_wait_dscnt 0x0
	ds_store_b64 v60, v[40:41] offset:11424
	ds_load_b64 v[40:41], v63 offset:10424
	s_wait_dscnt 0x0
	ds_store_b64 v60, v[40:41] offset:11936
.LBB165_367:                            ;   in Loop: Header=BB165_3 Depth=1
	s_or_b32 exec_lo, exec_lo, s11
	s_wait_dscnt 0x0
	s_barrier_signal -1
	s_barrier_wait -1
	s_and_saveexec_b32 s11, s10
	s_cbranch_execz .LBB165_369
; %bb.368:                              ;   in Loop: Header=BB165_3 Depth=1
	ds_load_b64 v[40:41], v3 offset:11448
	v_add_nc_u32_e64 v42, 0xb0, 0
	ds_store_b64 v3, v[26:27] offset:11960
	s_wait_dscnt 0x1
	ds_store_2addr_stride64_b64 v42, v[26:27], v[40:41] offset0:22 offset1:23
.LBB165_369:                            ;   in Loop: Header=BB165_3 Depth=1
	s_or_b32 exec_lo, exec_lo, s11
	v_mov_b64_e32 v[40:41], 0
	s_wait_dscnt 0x0
	s_barrier_signal -1
	s_barrier_wait -1
	s_and_saveexec_b32 s11, s6
	s_cbranch_execz .LBB165_379
; %bb.370:                              ;   in Loop: Header=BB165_3 Depth=1
	ds_load_b64 v[40:41], v65 offset:8384
	ds_load_b64 v[42:43], v61 offset:8320
	s_wait_dscnt 0x0
	v_dual_mul_f32 v44, v43, v41 :: v_dual_mul_f32 v41, v42, v41
	s_delay_alu instid0(VALU_DEP_1) | instskip(NEXT) | instid1(VALU_DEP_1)
	v_dual_fma_f32 v42, v42, v40, -v44 :: v_dual_fmac_f32 v41, v43, v40
	v_dual_add_f32 v40, 0, v42 :: v_dual_add_f32 v41, 0, v41
	s_and_saveexec_b32 s52, s17
	s_cbranch_execnz .LBB165_1092
; %bb.371:                              ;   in Loop: Header=BB165_3 Depth=1
	s_or_b32 exec_lo, exec_lo, s52
	s_and_saveexec_b32 s52, s18
	s_cbranch_execnz .LBB165_1093
.LBB165_372:                            ;   in Loop: Header=BB165_3 Depth=1
	s_or_b32 exec_lo, exec_lo, s52
	s_and_saveexec_b32 s52, s19
	s_cbranch_execnz .LBB165_1094
.LBB165_373:                            ;   in Loop: Header=BB165_3 Depth=1
	s_or_b32 exec_lo, exec_lo, s52
	s_and_saveexec_b32 s52, s20
	s_cbranch_execnz .LBB165_1095
.LBB165_374:                            ;   in Loop: Header=BB165_3 Depth=1
	s_or_b32 exec_lo, exec_lo, s52
	s_and_saveexec_b32 s52, s21
	s_cbranch_execnz .LBB165_1096
.LBB165_375:                            ;   in Loop: Header=BB165_3 Depth=1
	s_or_b32 exec_lo, exec_lo, s52
	s_and_saveexec_b32 s52, s5
	s_cbranch_execnz .LBB165_1097
.LBB165_376:                            ;   in Loop: Header=BB165_3 Depth=1
	s_or_b32 exec_lo, exec_lo, s52
	s_and_saveexec_b32 s52, s16
	s_cbranch_execz .LBB165_378
.LBB165_377:                            ;   in Loop: Header=BB165_3 Depth=1
	ds_load_b64 v[42:43], v51 offset:11968
	ds_load_b64 v[44:45], v3 offset:8376
	s_wait_dscnt 0x0
	v_pk_mul_f32 v[46:47], v[44:45], v[42:43] op_sel:[1,1] op_sel_hi:[0,1]
	s_delay_alu instid0(VALU_DEP_1) | instskip(SKIP_1) | instid1(VALU_DEP_2)
	v_pk_fma_f32 v[98:99], v[44:45], v[42:43], v[46:47] op_sel_hi:[1,0,1]
	v_pk_fma_f32 v[42:43], v[44:45], v[42:43], v[46:47] neg_lo:[0,0,1] neg_hi:[0,0,1]
	v_mov_b32_e32 v43, v99
	s_delay_alu instid0(VALU_DEP_1)
	v_pk_add_f32 v[40:41], v[40:41], v[42:43]
.LBB165_378:                            ;   in Loop: Header=BB165_3 Depth=1
	s_or_b32 exec_lo, exec_lo, s52
	s_delay_alu instid0(VALU_DEP_1)
	v_pk_add_f32 v[40:41], v[40:41], 0 neg_lo:[1,1] neg_hi:[1,1]
.LBB165_379:                            ;   in Loop: Header=BB165_3 Depth=1
	s_or_b32 exec_lo, exec_lo, s11
	s_and_saveexec_b32 s11, s101
; %bb.380:                              ;   in Loop: Header=BB165_3 Depth=1
	ds_store_b64 v64, v[40:41]
; %bb.381:                              ;   in Loop: Header=BB165_3 Depth=1
	s_or_b32 exec_lo, exec_lo, s11
	s_wait_dscnt 0x0
	s_barrier_signal -1
	s_barrier_wait -1
	s_and_saveexec_b32 s11, s102
	s_cbranch_execz .LBB165_383
; %bb.382:                              ;   in Loop: Header=BB165_3 Depth=1
	ds_load_b64 v[42:43], v62 offset:12480
	ds_load_b64 v[44:45], v64
	s_wait_dscnt 0x0
	v_pk_mul_f32 v[46:47], v[44:45], v[42:43] op_sel:[1,1] op_sel_hi:[0,1]
	s_delay_alu instid0(VALU_DEP_1) | instskip(SKIP_1) | instid1(VALU_DEP_2)
	v_pk_fma_f32 v[98:99], v[44:45], v[42:43], v[46:47] op_sel_hi:[1,0,1]
	v_pk_fma_f32 v[42:43], v[44:45], v[42:43], v[46:47] neg_lo:[0,0,1] neg_hi:[0,0,1]
	v_mov_b32_e32 v43, v99
	s_delay_alu instid0(VALU_DEP_1)
	v_pk_add_f32 v[40:41], v[40:41], v[42:43]
.LBB165_383:                            ;   in Loop: Header=BB165_3 Depth=1
	s_or_b32 exec_lo, exec_lo, s11
	s_barrier_signal -1
	s_barrier_wait -1
	s_and_saveexec_b32 s11, s103
; %bb.384:                              ;   in Loop: Header=BB165_3 Depth=1
	ds_store_b64 v64, v[40:41]
; %bb.385:                              ;   in Loop: Header=BB165_3 Depth=1
	s_or_b32 exec_lo, exec_lo, s11
	s_wait_dscnt 0x0
	s_barrier_signal -1
	s_barrier_wait -1
	s_and_saveexec_b32 s11, s104
	s_cbranch_execz .LBB165_387
; %bb.386:                              ;   in Loop: Header=BB165_3 Depth=1
	ds_load_b64 v[42:43], v62 offset:12992
	ds_load_b64 v[44:45], v64
	s_wait_dscnt 0x0
	v_dual_mul_f32 v46, v45, v43 :: v_dual_mul_f32 v43, v44, v43
	s_delay_alu instid0(VALU_DEP_1) | instskip(NEXT) | instid1(VALU_DEP_1)
	v_dual_fma_f32 v44, v44, v42, -v46 :: v_dual_fmac_f32 v43, v45, v42
	v_dual_add_f32 v40, v40, v44 :: v_dual_add_f32 v41, v41, v43
.LBB165_387:                            ;   in Loop: Header=BB165_3 Depth=1
	s_or_b32 exec_lo, exec_lo, s11
	s_barrier_signal -1
	s_barrier_wait -1
	s_and_saveexec_b32 s11, vcc_hi
; %bb.388:                              ;   in Loop: Header=BB165_3 Depth=1
	ds_store_b64 v64, v[40:41]
; %bb.389:                              ;   in Loop: Header=BB165_3 Depth=1
	s_or_b32 exec_lo, exec_lo, s11
	s_wait_dscnt 0x0
	s_barrier_signal -1
	s_barrier_wait -1
	s_and_saveexec_b32 s11, s37
	s_cbranch_execz .LBB165_391
; %bb.390:                              ;   in Loop: Header=BB165_3 Depth=1
	ds_load_b64 v[42:43], v62 offset:13504
	ds_load_b64 v[44:45], v64
	s_wait_dscnt 0x0
	v_dual_mul_f32 v46, v45, v43 :: v_dual_mul_f32 v47, v44, v43
	s_delay_alu instid0(VALU_DEP_1) | instskip(NEXT) | instid1(VALU_DEP_1)
	v_dual_fma_f32 v46, v44, v42, -v46 :: v_dual_fmac_f32 v47, v45, v42
	v_pk_add_f32 v[40:41], v[40:41], v[46:47]
.LBB165_391:                            ;   in Loop: Header=BB165_3 Depth=1
	s_or_b32 exec_lo, exec_lo, s11
	s_barrier_signal -1
	s_barrier_wait -1
	s_and_saveexec_b32 s11, s38
; %bb.392:                              ;   in Loop: Header=BB165_3 Depth=1
	ds_store_b64 v64, v[40:41]
; %bb.393:                              ;   in Loop: Header=BB165_3 Depth=1
	s_or_b32 exec_lo, exec_lo, s11
	s_wait_dscnt 0x0
	s_barrier_signal -1
	s_barrier_wait -1
	s_and_saveexec_b32 s11, s39
	s_cbranch_execz .LBB165_395
; %bb.394:                              ;   in Loop: Header=BB165_3 Depth=1
	ds_load_b64 v[42:43], v62 offset:14016
	ds_load_b64 v[44:45], v64
	s_wait_dscnt 0x0
	v_pk_mul_f32 v[46:47], v[44:45], v[42:43] op_sel:[1,1] op_sel_hi:[0,1]
	s_delay_alu instid0(VALU_DEP_1) | instskip(SKIP_1) | instid1(VALU_DEP_2)
	v_pk_fma_f32 v[98:99], v[44:45], v[42:43], v[46:47] op_sel_hi:[1,0,1]
	v_pk_fma_f32 v[42:43], v[44:45], v[42:43], v[46:47] neg_lo:[0,0,1] neg_hi:[0,0,1]
	v_mov_b32_e32 v43, v99
	s_delay_alu instid0(VALU_DEP_1)
	v_pk_add_f32 v[40:41], v[40:41], v[42:43]
.LBB165_395:                            ;   in Loop: Header=BB165_3 Depth=1
	s_or_b32 exec_lo, exec_lo, s11
	s_barrier_signal -1
	s_barrier_wait -1
	s_and_saveexec_b32 s11, s40
; %bb.396:                              ;   in Loop: Header=BB165_3 Depth=1
	ds_store_b64 v64, v[40:41]
; %bb.397:                              ;   in Loop: Header=BB165_3 Depth=1
	s_or_b32 exec_lo, exec_lo, s11
	s_wait_dscnt 0x0
	s_barrier_signal -1
	s_barrier_wait -1
	s_and_saveexec_b32 s11, s42
	s_cbranch_execz .LBB165_399
; %bb.398:                              ;   in Loop: Header=BB165_3 Depth=1
	ds_load_b64 v[42:43], v62 offset:14528
	ds_load_b64 v[44:45], v64
	s_wait_dscnt 0x0
	v_pk_mul_f32 v[46:47], v[44:45], v[42:43] op_sel:[1,1] op_sel_hi:[0,1]
	s_delay_alu instid0(VALU_DEP_1) | instskip(SKIP_1) | instid1(VALU_DEP_2)
	v_pk_fma_f32 v[98:99], v[44:45], v[42:43], v[46:47] op_sel_hi:[1,0,1]
	v_pk_fma_f32 v[42:43], v[44:45], v[42:43], v[46:47] neg_lo:[0,0,1] neg_hi:[0,0,1]
	v_mov_b32_e32 v43, v99
	s_delay_alu instid0(VALU_DEP_1)
	v_pk_add_f32 v[40:41], v[40:41], v[42:43]
.LBB165_399:                            ;   in Loop: Header=BB165_3 Depth=1
	;; [unrolled: 25-line block ×4, first 2 shown]
	s_or_b32 exec_lo, exec_lo, s11
	s_barrier_signal -1
	s_barrier_wait -1
	s_and_saveexec_b32 s11, s46
; %bb.408:                              ;   in Loop: Header=BB165_3 Depth=1
	ds_store_b64 v64, v[40:41]
; %bb.409:                              ;   in Loop: Header=BB165_3 Depth=1
	s_or_b32 exec_lo, exec_lo, s11
	s_wait_dscnt 0x0
	s_barrier_signal -1
	s_barrier_wait -1
	s_barrier_signal -1
	s_barrier_wait -1
	s_and_saveexec_b32 s11, s6
; %bb.410:                              ;   in Loop: Header=BB165_3 Depth=1
	v_pk_add_f32 v[40:41], v[40:41], 0 neg_lo:[1,1] neg_hi:[1,1]
	ds_store_b64 v65, v[40:41] offset:8384
; %bb.411:                              ;   in Loop: Header=BB165_3 Depth=1
	s_or_b32 exec_lo, exec_lo, s11
	s_wait_dscnt 0x0
	s_barrier_signal -1
	s_barrier_wait -1
	s_barrier_signal -1
	s_barrier_wait -1
	s_and_saveexec_b32 s11, s47
	s_cbranch_execz .LBB165_413
; %bb.412:                              ;   in Loop: Header=BB165_3 Depth=1
	ds_load_b64 v[40:41], v54 offset:8384
	s_wait_dscnt 0x0
	ds_store_b64 v58, v[40:41] offset:12416
	ds_load_b64 v[40:41], v54 offset:8392
	s_wait_dscnt 0x0
	ds_store_b64 v58, v[40:41] offset:12928
	;; [unrolled: 3-line block ×8, first 2 shown]
.LBB165_413:                            ;   in Loop: Header=BB165_3 Depth=1
	s_or_b32 exec_lo, exec_lo, s11
	s_wait_dscnt 0x0
	s_barrier_signal -1
	s_barrier_wait -1
	s_and_saveexec_b32 s11, s10
	s_cbranch_execz .LBB165_415
; %bb.414:                              ;   in Loop: Header=BB165_3 Depth=1
	ds_load_b64 v[40:41], v3 offset:12488
	v_add_nc_u32_e64 v42, 0xc0, 0
	ds_store_b64 v3, v[26:27] offset:13000
	s_wait_dscnt 0x1
	ds_store_2addr_stride64_b64 v42, v[26:27], v[40:41] offset0:24 offset1:25
.LBB165_415:                            ;   in Loop: Header=BB165_3 Depth=1
	s_or_b32 exec_lo, exec_lo, s11
	v_mov_b64_e32 v[40:41], 0
	s_wait_dscnt 0x0
	s_barrier_signal -1
	s_barrier_wait -1
	s_and_saveexec_b32 s11, s3
	s_cbranch_execz .LBB165_419
; %bb.416:                              ;   in Loop: Header=BB165_3 Depth=1
	ds_load_b64 v[40:41], v49 offset:12496
	ds_load_b64 v[42:43], v50 offset:12480
	s_wait_dscnt 0x0
	v_pk_mul_f32 v[44:45], v[42:43], v[40:41] op_sel:[1,1] op_sel_hi:[0,1]
	s_delay_alu instid0(VALU_DEP_1) | instskip(SKIP_1) | instid1(VALU_DEP_2)
	v_pk_fma_f32 v[46:47], v[42:43], v[40:41], v[44:45] op_sel_hi:[1,0,1]
	v_pk_fma_f32 v[40:41], v[42:43], v[40:41], v[44:45] neg_lo:[0,0,1] neg_hi:[0,0,1]
	v_mov_b32_e32 v41, v47
	s_delay_alu instid0(VALU_DEP_1)
	v_pk_add_f32 v[40:41], v[40:41], 0 op_sel_hi:[1,0]
	s_and_saveexec_b32 s52, s14
	s_cbranch_execz .LBB165_418
; %bb.417:                              ;   in Loop: Header=BB165_3 Depth=1
	ds_load_b64 v[42:43], v58 offset:13008
	ds_load_b64 v[44:45], v3 offset:12488
	s_wait_dscnt 0x0
	v_pk_mul_f32 v[46:47], v[44:45], v[42:43] op_sel:[1,1] op_sel_hi:[0,1]
	s_delay_alu instid0(VALU_DEP_1) | instskip(SKIP_1) | instid1(VALU_DEP_2)
	v_pk_fma_f32 v[98:99], v[44:45], v[42:43], v[46:47] op_sel_hi:[1,0,1]
	v_pk_fma_f32 v[42:43], v[44:45], v[42:43], v[46:47] neg_lo:[0,0,1] neg_hi:[0,0,1]
	v_mov_b32_e32 v43, v99
	s_delay_alu instid0(VALU_DEP_1)
	v_pk_add_f32 v[40:41], v[40:41], v[42:43]
.LBB165_418:                            ;   in Loop: Header=BB165_3 Depth=1
	s_or_b32 exec_lo, exec_lo, s52
	s_delay_alu instid0(VALU_DEP_1)
	v_pk_add_f32 v[40:41], v[40:41], 0 neg_lo:[1,1] neg_hi:[1,1]
.LBB165_419:                            ;   in Loop: Header=BB165_3 Depth=1
	s_or_b32 exec_lo, exec_lo, s11
	s_and_saveexec_b32 s11, s91
; %bb.420:                              ;   in Loop: Header=BB165_3 Depth=1
	ds_store_b64 v5, v[40:41]
; %bb.421:                              ;   in Loop: Header=BB165_3 Depth=1
	s_or_b32 exec_lo, exec_lo, s11
	s_wait_dscnt 0x0
	s_barrier_signal -1
	s_barrier_wait -1
	s_and_saveexec_b32 s11, s92
	s_cbranch_execz .LBB165_423
; %bb.422:                              ;   in Loop: Header=BB165_3 Depth=1
	ds_load_b64 v[42:43], v3 offset:13528
	ds_load_b64 v[44:45], v5
	s_wait_dscnt 0x0
	v_pk_mul_f32 v[46:47], v[44:45], v[42:43] op_sel:[1,1] op_sel_hi:[0,1]
	s_delay_alu instid0(VALU_DEP_1) | instskip(SKIP_1) | instid1(VALU_DEP_2)
	v_pk_fma_f32 v[98:99], v[44:45], v[42:43], v[46:47] op_sel_hi:[1,0,1]
	v_pk_fma_f32 v[42:43], v[44:45], v[42:43], v[46:47] neg_lo:[0,0,1] neg_hi:[0,0,1]
	v_mov_b32_e32 v43, v99
	s_delay_alu instid0(VALU_DEP_1)
	v_pk_add_f32 v[40:41], v[40:41], v[42:43]
.LBB165_423:                            ;   in Loop: Header=BB165_3 Depth=1
	s_or_b32 exec_lo, exec_lo, s11
	s_barrier_signal -1
	s_barrier_wait -1
	s_and_saveexec_b32 s11, s92
; %bb.424:                              ;   in Loop: Header=BB165_3 Depth=1
	ds_store_b64 v5, v[40:41]
; %bb.425:                              ;   in Loop: Header=BB165_3 Depth=1
	s_or_b32 exec_lo, exec_lo, s11
	s_wait_dscnt 0x0
	s_barrier_signal -1
	s_barrier_wait -1
	s_barrier_signal -1
	s_barrier_wait -1
	s_and_saveexec_b32 s11, s3
; %bb.426:                              ;   in Loop: Header=BB165_3 Depth=1
	v_pk_add_f32 v[40:41], v[40:41], 0 neg_lo:[1,1] neg_hi:[1,1]
	ds_store_b64 v49, v[40:41] offset:12496
; %bb.427:                              ;   in Loop: Header=BB165_3 Depth=1
	s_or_b32 exec_lo, exec_lo, s11
	s_wait_dscnt 0x0
	s_barrier_signal -1
	s_barrier_wait -1
	s_barrier_signal -1
	s_barrier_wait -1
	s_and_saveexec_b32 s11, s93
	s_cbranch_execz .LBB165_429
; %bb.428:                              ;   in Loop: Header=BB165_3 Depth=1
	ds_load_b64 v[40:41], v59 offset:12496
	s_wait_dscnt 0x0
	ds_store_b64 v58, v[40:41] offset:13504
	ds_load_b64 v[40:41], v59 offset:12504
	s_wait_dscnt 0x0
	ds_store_b64 v58, v[40:41] offset:14016
.LBB165_429:                            ;   in Loop: Header=BB165_3 Depth=1
	s_or_b32 exec_lo, exec_lo, s11
	s_wait_dscnt 0x0
	s_barrier_signal -1
	s_barrier_wait -1
	s_and_saveexec_b32 s11, s10
	s_cbranch_execz .LBB165_431
; %bb.430:                              ;   in Loop: Header=BB165_3 Depth=1
	ds_load_b64 v[40:41], v3 offset:13528
	v_add_nc_u32_e64 v42, 0xd0, 0
	ds_store_b64 v3, v[26:27] offset:14040
	s_wait_dscnt 0x1
	ds_store_2addr_stride64_b64 v42, v[26:27], v[40:41] offset0:26 offset1:27
.LBB165_431:                            ;   in Loop: Header=BB165_3 Depth=1
	s_or_b32 exec_lo, exec_lo, s11
	v_mov_b64_e32 v[40:41], 0
	s_wait_dscnt 0x0
	s_barrier_signal -1
	s_barrier_wait -1
	s_and_saveexec_b32 s11, s5
	s_cbranch_execz .LBB165_437
; %bb.432:                              ;   in Loop: Header=BB165_3 Depth=1
	ds_load_b64 v[40:41], v56 offset:12512
	ds_load_b64 v[42:43], v52 offset:12480
	s_wait_dscnt 0x0
	v_dual_mul_f32 v44, v43, v41 :: v_dual_mul_f32 v41, v42, v41
	s_delay_alu instid0(VALU_DEP_1) | instskip(NEXT) | instid1(VALU_DEP_1)
	v_dual_fma_f32 v42, v42, v40, -v44 :: v_dual_fmac_f32 v41, v43, v40
	v_dual_add_f32 v40, 0, v42 :: v_dual_add_f32 v41, 0, v41
	s_and_saveexec_b32 s52, s15
	s_cbranch_execnz .LBB165_1098
; %bb.433:                              ;   in Loop: Header=BB165_3 Depth=1
	s_or_b32 exec_lo, exec_lo, s52
	s_and_saveexec_b32 s52, s16
	s_cbranch_execnz .LBB165_1099
.LBB165_434:                            ;   in Loop: Header=BB165_3 Depth=1
	s_or_b32 exec_lo, exec_lo, s52
	s_and_saveexec_b32 s52, s3
	s_cbranch_execz .LBB165_436
.LBB165_435:                            ;   in Loop: Header=BB165_3 Depth=1
	ds_load_b64 v[42:43], v60 offset:14048
	ds_load_b64 v[44:45], v3 offset:12504
	s_wait_dscnt 0x0
	v_dual_mul_f32 v46, v45, v43 :: v_dual_mul_f32 v47, v44, v43
	s_delay_alu instid0(VALU_DEP_1) | instskip(NEXT) | instid1(VALU_DEP_1)
	v_dual_fma_f32 v46, v44, v42, -v46 :: v_dual_fmac_f32 v47, v45, v42
	v_pk_add_f32 v[40:41], v[40:41], v[46:47]
.LBB165_436:                            ;   in Loop: Header=BB165_3 Depth=1
	s_or_b32 exec_lo, exec_lo, s52
	s_delay_alu instid0(VALU_DEP_1)
	v_pk_add_f32 v[40:41], v[40:41], 0 neg_lo:[1,1] neg_hi:[1,1]
.LBB165_437:                            ;   in Loop: Header=BB165_3 Depth=1
	s_or_b32 exec_lo, exec_lo, s11
	s_and_saveexec_b32 s11, s94
; %bb.438:                              ;   in Loop: Header=BB165_3 Depth=1
	ds_store_b64 v55, v[40:41]
; %bb.439:                              ;   in Loop: Header=BB165_3 Depth=1
	s_or_b32 exec_lo, exec_lo, s11
	s_wait_dscnt 0x0
	s_barrier_signal -1
	s_barrier_wait -1
	s_and_saveexec_b32 s11, s95
	s_cbranch_execz .LBB165_441
; %bb.440:                              ;   in Loop: Header=BB165_3 Depth=1
	ds_load_b64 v[42:43], v53 offset:14560
	ds_load_b64 v[44:45], v55
	s_wait_dscnt 0x0
	v_pk_mul_f32 v[46:47], v[44:45], v[42:43] op_sel:[1,1] op_sel_hi:[0,1]
	s_delay_alu instid0(VALU_DEP_1) | instskip(SKIP_1) | instid1(VALU_DEP_2)
	v_pk_fma_f32 v[98:99], v[44:45], v[42:43], v[46:47] op_sel_hi:[1,0,1]
	v_pk_fma_f32 v[42:43], v[44:45], v[42:43], v[46:47] neg_lo:[0,0,1] neg_hi:[0,0,1]
	v_mov_b32_e32 v43, v99
	s_delay_alu instid0(VALU_DEP_1)
	v_pk_add_f32 v[40:41], v[40:41], v[42:43]
.LBB165_441:                            ;   in Loop: Header=BB165_3 Depth=1
	s_or_b32 exec_lo, exec_lo, s11
	s_barrier_signal -1
	s_barrier_wait -1
	s_and_saveexec_b32 s11, s96
; %bb.442:                              ;   in Loop: Header=BB165_3 Depth=1
	ds_store_b64 v55, v[40:41]
; %bb.443:                              ;   in Loop: Header=BB165_3 Depth=1
	s_or_b32 exec_lo, exec_lo, s11
	s_wait_dscnt 0x0
	s_barrier_signal -1
	s_barrier_wait -1
	s_and_saveexec_b32 s11, s97
	s_cbranch_execz .LBB165_445
; %bb.444:                              ;   in Loop: Header=BB165_3 Depth=1
	ds_load_b64 v[42:43], v53 offset:15072
	ds_load_b64 v[44:45], v55
	s_wait_dscnt 0x0
	v_pk_mul_f32 v[46:47], v[44:45], v[42:43] op_sel:[1,1] op_sel_hi:[0,1]
	s_delay_alu instid0(VALU_DEP_1) | instskip(SKIP_1) | instid1(VALU_DEP_2)
	v_pk_fma_f32 v[98:99], v[44:45], v[42:43], v[46:47] op_sel_hi:[1,0,1]
	v_pk_fma_f32 v[42:43], v[44:45], v[42:43], v[46:47] neg_lo:[0,0,1] neg_hi:[0,0,1]
	v_mov_b32_e32 v43, v99
	s_delay_alu instid0(VALU_DEP_1)
	v_pk_add_f32 v[40:41], v[40:41], v[42:43]
.LBB165_445:                            ;   in Loop: Header=BB165_3 Depth=1
	s_or_b32 exec_lo, exec_lo, s11
	s_barrier_signal -1
	s_barrier_wait -1
	;; [unrolled: 25-line block ×3, first 2 shown]
	s_and_saveexec_b32 s11, s99
; %bb.450:                              ;   in Loop: Header=BB165_3 Depth=1
	ds_store_b64 v55, v[40:41]
; %bb.451:                              ;   in Loop: Header=BB165_3 Depth=1
	s_or_b32 exec_lo, exec_lo, s11
	s_wait_dscnt 0x0
	s_barrier_signal -1
	s_barrier_wait -1
	s_barrier_signal -1
	s_barrier_wait -1
	s_and_saveexec_b32 s11, s5
; %bb.452:                              ;   in Loop: Header=BB165_3 Depth=1
	v_pk_add_f32 v[40:41], v[40:41], 0 neg_lo:[1,1] neg_hi:[1,1]
	ds_store_b64 v56, v[40:41] offset:12512
; %bb.453:                              ;   in Loop: Header=BB165_3 Depth=1
	s_or_b32 exec_lo, exec_lo, s11
	s_wait_dscnt 0x0
	s_barrier_signal -1
	s_barrier_wait -1
	s_barrier_signal -1
	s_barrier_wait -1
	s_and_saveexec_b32 s11, s100
	s_cbranch_execz .LBB165_455
; %bb.454:                              ;   in Loop: Header=BB165_3 Depth=1
	ds_load_b64 v[40:41], v63 offset:12512
	s_wait_dscnt 0x0
	ds_store_b64 v67, v[40:41] offset:14528
	ds_load_b64 v[40:41], v63 offset:12520
	s_wait_dscnt 0x0
	ds_store_b64 v67, v[40:41] offset:15040
	;; [unrolled: 3-line block ×4, first 2 shown]
.LBB165_455:                            ;   in Loop: Header=BB165_3 Depth=1
	s_or_b32 exec_lo, exec_lo, s11
	s_wait_dscnt 0x0
	s_barrier_signal -1
	s_barrier_wait -1
	s_and_saveexec_b32 s11, s10
	s_cbranch_execz .LBB165_457
; %bb.456:                              ;   in Loop: Header=BB165_3 Depth=1
	ds_load_b64 v[40:41], v3 offset:14568
	v_add_nc_u32_e64 v42, 0xe0, 0
	ds_store_b64 v3, v[26:27] offset:15080
	s_wait_dscnt 0x1
	ds_store_2addr_stride64_b64 v42, v[26:27], v[40:41] offset0:28 offset1:29
.LBB165_457:                            ;   in Loop: Header=BB165_3 Depth=1
	s_or_b32 exec_lo, exec_lo, s11
	v_mov_b64_e32 v[40:41], 0
	s_wait_dscnt 0x0
	s_barrier_signal -1
	s_barrier_wait -1
	s_and_saveexec_b32 s11, s3
	s_cbranch_execz .LBB165_461
; %bb.458:                              ;   in Loop: Header=BB165_3 Depth=1
	ds_load_b64 v[40:41], v49 offset:14576
	ds_load_b64 v[42:43], v50 offset:14560
	s_wait_dscnt 0x0
	v_pk_mul_f32 v[44:45], v[42:43], v[40:41] op_sel:[1,1] op_sel_hi:[0,1]
	s_delay_alu instid0(VALU_DEP_1) | instskip(SKIP_1) | instid1(VALU_DEP_2)
	v_pk_fma_f32 v[46:47], v[42:43], v[40:41], v[44:45] op_sel_hi:[1,0,1]
	v_pk_fma_f32 v[40:41], v[42:43], v[40:41], v[44:45] neg_lo:[0,0,1] neg_hi:[0,0,1]
	v_mov_b32_e32 v41, v47
	s_delay_alu instid0(VALU_DEP_1)
	v_pk_add_f32 v[40:41], v[40:41], 0 op_sel_hi:[1,0]
	s_and_saveexec_b32 s52, s14
	s_cbranch_execz .LBB165_460
; %bb.459:                              ;   in Loop: Header=BB165_3 Depth=1
	ds_load_b64 v[42:43], v67 offset:15088
	ds_load_b64 v[44:45], v3 offset:14568
	s_wait_dscnt 0x0
	v_pk_mul_f32 v[46:47], v[44:45], v[42:43] op_sel:[1,1] op_sel_hi:[0,1]
	s_delay_alu instid0(VALU_DEP_1) | instskip(SKIP_1) | instid1(VALU_DEP_2)
	v_pk_fma_f32 v[98:99], v[44:45], v[42:43], v[46:47] op_sel_hi:[1,0,1]
	v_pk_fma_f32 v[42:43], v[44:45], v[42:43], v[46:47] neg_lo:[0,0,1] neg_hi:[0,0,1]
	v_mov_b32_e32 v43, v99
	s_delay_alu instid0(VALU_DEP_1)
	v_pk_add_f32 v[40:41], v[40:41], v[42:43]
.LBB165_460:                            ;   in Loop: Header=BB165_3 Depth=1
	s_or_b32 exec_lo, exec_lo, s52
	s_delay_alu instid0(VALU_DEP_1)
	v_pk_add_f32 v[40:41], v[40:41], 0 neg_lo:[1,1] neg_hi:[1,1]
.LBB165_461:                            ;   in Loop: Header=BB165_3 Depth=1
	s_or_b32 exec_lo, exec_lo, s11
	s_and_saveexec_b32 s11, s91
; %bb.462:                              ;   in Loop: Header=BB165_3 Depth=1
	ds_store_b64 v5, v[40:41]
; %bb.463:                              ;   in Loop: Header=BB165_3 Depth=1
	s_or_b32 exec_lo, exec_lo, s11
	s_wait_dscnt 0x0
	s_barrier_signal -1
	s_barrier_wait -1
	s_and_saveexec_b32 s11, s92
	s_cbranch_execz .LBB165_465
; %bb.464:                              ;   in Loop: Header=BB165_3 Depth=1
	ds_load_b64 v[42:43], v3 offset:15608
	ds_load_b64 v[44:45], v5
	s_wait_dscnt 0x0
	v_pk_mul_f32 v[46:47], v[44:45], v[42:43] op_sel:[1,1] op_sel_hi:[0,1]
	s_delay_alu instid0(VALU_DEP_1) | instskip(SKIP_1) | instid1(VALU_DEP_2)
	v_pk_fma_f32 v[98:99], v[44:45], v[42:43], v[46:47] op_sel_hi:[1,0,1]
	v_pk_fma_f32 v[42:43], v[44:45], v[42:43], v[46:47] neg_lo:[0,0,1] neg_hi:[0,0,1]
	v_mov_b32_e32 v43, v99
	s_delay_alu instid0(VALU_DEP_1)
	v_pk_add_f32 v[40:41], v[40:41], v[42:43]
.LBB165_465:                            ;   in Loop: Header=BB165_3 Depth=1
	s_or_b32 exec_lo, exec_lo, s11
	s_barrier_signal -1
	s_barrier_wait -1
	s_and_saveexec_b32 s11, s92
; %bb.466:                              ;   in Loop: Header=BB165_3 Depth=1
	ds_store_b64 v5, v[40:41]
; %bb.467:                              ;   in Loop: Header=BB165_3 Depth=1
	s_or_b32 exec_lo, exec_lo, s11
	s_wait_dscnt 0x0
	s_barrier_signal -1
	s_barrier_wait -1
	s_barrier_signal -1
	s_barrier_wait -1
	s_and_saveexec_b32 s11, s3
; %bb.468:                              ;   in Loop: Header=BB165_3 Depth=1
	v_pk_add_f32 v[40:41], v[40:41], 0 neg_lo:[1,1] neg_hi:[1,1]
	ds_store_b64 v49, v[40:41] offset:14576
; %bb.469:                              ;   in Loop: Header=BB165_3 Depth=1
	s_or_b32 exec_lo, exec_lo, s11
	s_wait_dscnt 0x0
	s_barrier_signal -1
	s_barrier_wait -1
	s_barrier_signal -1
	s_barrier_wait -1
	s_and_saveexec_b32 s11, s93
	s_cbranch_execz .LBB165_471
; %bb.470:                              ;   in Loop: Header=BB165_3 Depth=1
	ds_load_b64 v[40:41], v68 offset:14576
	s_wait_dscnt 0x0
	ds_store_b64 v67, v[40:41] offset:15584
	ds_load_b64 v[40:41], v68 offset:14584
	s_wait_dscnt 0x0
	ds_store_b64 v67, v[40:41] offset:16096
.LBB165_471:                            ;   in Loop: Header=BB165_3 Depth=1
	s_or_b32 exec_lo, exec_lo, s11
	s_wait_dscnt 0x0
	s_barrier_signal -1
	s_barrier_wait -1
	s_and_saveexec_b32 s11, s10
	s_cbranch_execz .LBB165_473
; %bb.472:                              ;   in Loop: Header=BB165_3 Depth=1
	ds_load_b64 v[40:41], v3 offset:15608
	v_add_nc_u32_e64 v42, 0xf0, 0
	ds_store_b64 v3, v[26:27] offset:16120
	s_wait_dscnt 0x1
	ds_store_2addr_stride64_b64 v42, v[26:27], v[40:41] offset0:30 offset1:31
.LBB165_473:                            ;   in Loop: Header=BB165_3 Depth=1
	s_or_b32 exec_lo, exec_lo, s11
	v_mov_b64_e32 v[40:41], 0
	s_wait_dscnt 0x0
	s_barrier_signal -1
	s_barrier_wait -1
	s_and_saveexec_b32 s84, s34
	s_cbranch_execz .LBB165_535
; %bb.474:                              ;   in Loop: Header=BB165_3 Depth=1
	v_dual_add_nc_u32 v43, v87, v80 :: v_dual_add_nc_u32 v42, v80, v79
	ds_load_b64 v[40:41], v43 offset:256
	ds_load_b64 v[44:45], v42
	s_wait_dscnt 0x0
	v_pk_mul_f32 v[46:47], v[44:45], v[40:41] op_sel:[1,1] op_sel_hi:[0,1]
	s_delay_alu instid0(VALU_DEP_1) | instskip(SKIP_1) | instid1(VALU_DEP_2)
	v_pk_fma_f32 v[98:99], v[44:45], v[40:41], v[46:47] op_sel_hi:[1,0,1]
	v_pk_fma_f32 v[40:41], v[44:45], v[40:41], v[46:47] neg_lo:[0,0,1] neg_hi:[0,0,1]
	v_mov_b32_e32 v41, v99
	s_delay_alu instid0(VALU_DEP_1) | instskip(SKIP_3) | instid1(SALU_CYCLE_1)
	v_pk_add_f32 v[40:41], v[40:41], 0 op_sel_hi:[1,0]
	s_mov_b32 s11, exec_lo
	v_readlane_b32 s52, v106, 6
	s_and_b32 s52, s11, s52
	s_mov_b32 exec_lo, s52
	s_cbranch_execz .LBB165_476
; %bb.475:                              ;   in Loop: Header=BB165_3 Depth=1
	ds_load_b64 v[44:45], v43 offset:768
	ds_load_b64 v[46:47], v42 offset:8
	s_wait_dscnt 0x0
	v_pk_mul_f32 v[98:99], v[46:47], v[44:45] op_sel:[1,1] op_sel_hi:[0,1]
	s_delay_alu instid0(VALU_DEP_1) | instskip(SKIP_1) | instid1(VALU_DEP_2)
	v_pk_fma_f32 v[100:101], v[46:47], v[44:45], v[98:99] op_sel_hi:[1,0,1]
	v_pk_fma_f32 v[44:45], v[46:47], v[44:45], v[98:99] neg_lo:[0,0,1] neg_hi:[0,0,1]
	v_mov_b32_e32 v45, v101
	s_delay_alu instid0(VALU_DEP_1)
	v_pk_add_f32 v[40:41], v[40:41], v[44:45]
.LBB165_476:                            ;   in Loop: Header=BB165_3 Depth=1
	s_or_b32 exec_lo, exec_lo, s11
	s_delay_alu instid0(SALU_CYCLE_1) | instskip(SKIP_2) | instid1(SALU_CYCLE_1)
	s_mov_b32 s11, exec_lo
	v_readlane_b32 s52, v106, 7
	s_and_b32 s52, s11, s52
	s_mov_b32 exec_lo, s52
	s_cbranch_execz .LBB165_478
; %bb.477:                              ;   in Loop: Header=BB165_3 Depth=1
	ds_load_b64 v[44:45], v43 offset:1280
	ds_load_b64 v[46:47], v42 offset:16
	s_wait_dscnt 0x0
	v_pk_mul_f32 v[98:99], v[46:47], v[44:45] op_sel:[1,1] op_sel_hi:[0,1]
	s_delay_alu instid0(VALU_DEP_1) | instskip(SKIP_1) | instid1(VALU_DEP_2)
	v_pk_fma_f32 v[100:101], v[46:47], v[44:45], v[98:99] op_sel_hi:[1,0,1]
	v_pk_fma_f32 v[44:45], v[46:47], v[44:45], v[98:99] neg_lo:[0,0,1] neg_hi:[0,0,1]
	v_mov_b32_e32 v45, v101
	s_delay_alu instid0(VALU_DEP_1)
	v_pk_add_f32 v[40:41], v[40:41], v[44:45]
.LBB165_478:                            ;   in Loop: Header=BB165_3 Depth=1
	s_or_b32 exec_lo, exec_lo, s11
	s_delay_alu instid0(SALU_CYCLE_1) | instskip(SKIP_2) | instid1(SALU_CYCLE_1)
	;; [unrolled: 19-line block ×22, first 2 shown]
	s_mov_b32 s11, exec_lo
	v_readlane_b32 s52, v106, 29
	s_and_b32 s52, s11, s52
	s_mov_b32 exec_lo, s52
	s_cbranch_execz .LBB165_520
; %bb.519:                              ;   in Loop: Header=BB165_3 Depth=1
	ds_load_b64 v[44:45], v43 offset:12032
	ds_load_b64 v[46:47], v42 offset:184
	s_wait_dscnt 0x0
	v_pk_mul_f32 v[98:99], v[46:47], v[44:45] op_sel:[1,1] op_sel_hi:[0,1]
	s_delay_alu instid0(VALU_DEP_1) | instskip(SKIP_1) | instid1(VALU_DEP_2)
	v_pk_fma_f32 v[100:101], v[46:47], v[44:45], v[98:99] op_sel_hi:[1,0,1]
	v_pk_fma_f32 v[44:45], v[46:47], v[44:45], v[98:99] neg_lo:[0,0,1] neg_hi:[0,0,1]
	v_mov_b32_e32 v45, v101
	s_delay_alu instid0(VALU_DEP_1)
	v_pk_add_f32 v[40:41], v[40:41], v[44:45]
.LBB165_520:                            ;   in Loop: Header=BB165_3 Depth=1
	s_or_b32 exec_lo, exec_lo, s11
	s_and_saveexec_b32 s11, s7
	s_cbranch_execz .LBB165_522
; %bb.521:                              ;   in Loop: Header=BB165_3 Depth=1
	ds_load_b64 v[44:45], v43 offset:12544
	ds_load_b64 v[46:47], v42 offset:192
	s_wait_dscnt 0x0
	v_pk_mul_f32 v[98:99], v[46:47], v[44:45] op_sel:[1,1] op_sel_hi:[0,1]
	s_delay_alu instid0(VALU_DEP_1) | instskip(SKIP_1) | instid1(VALU_DEP_2)
	v_pk_fma_f32 v[100:101], v[46:47], v[44:45], v[98:99] op_sel_hi:[1,0,1]
	v_pk_fma_f32 v[44:45], v[46:47], v[44:45], v[98:99] neg_lo:[0,0,1] neg_hi:[0,0,1]
	v_mov_b32_e32 v45, v101
	s_delay_alu instid0(VALU_DEP_1)
	v_pk_add_f32 v[40:41], v[40:41], v[44:45]
.LBB165_522:                            ;   in Loop: Header=BB165_3 Depth=1
	s_or_b32 exec_lo, exec_lo, s11
	s_delay_alu instid0(SALU_CYCLE_1) | instskip(SKIP_2) | instid1(SALU_CYCLE_1)
	s_mov_b32 s11, exec_lo
	v_readlane_b32 s52, v107, 28
	s_and_b32 s52, s11, s52
	s_mov_b32 exec_lo, s52
	s_cbranch_execz .LBB165_524
; %bb.523:                              ;   in Loop: Header=BB165_3 Depth=1
	ds_load_b64 v[44:45], v43 offset:13056
	ds_load_b64 v[46:47], v42 offset:200
	s_wait_dscnt 0x0
	v_pk_mul_f32 v[98:99], v[46:47], v[44:45] op_sel:[1,1] op_sel_hi:[0,1]
	s_delay_alu instid0(VALU_DEP_1) | instskip(SKIP_1) | instid1(VALU_DEP_2)
	v_pk_fma_f32 v[100:101], v[46:47], v[44:45], v[98:99] op_sel_hi:[1,0,1]
	v_pk_fma_f32 v[44:45], v[46:47], v[44:45], v[98:99] neg_lo:[0,0,1] neg_hi:[0,0,1]
	v_mov_b32_e32 v45, v101
	s_delay_alu instid0(VALU_DEP_1)
	v_pk_add_f32 v[40:41], v[40:41], v[44:45]
.LBB165_524:                            ;   in Loop: Header=BB165_3 Depth=1
	s_or_b32 exec_lo, exec_lo, s11
	s_delay_alu instid0(SALU_CYCLE_1) | instskip(SKIP_2) | instid1(SALU_CYCLE_1)
	s_mov_b32 s11, exec_lo
	v_readlane_b32 s52, v107, 30
	s_and_b32 s52, s11, s52
	s_mov_b32 exec_lo, s52
	;; [unrolled: 19-line block ×5, first 2 shown]
	s_cbranch_execnz .LBB165_1100
; %bb.531:                              ;   in Loop: Header=BB165_3 Depth=1
	s_or_b32 exec_lo, exec_lo, s11
	s_and_saveexec_b32 s11, s6
	s_cbranch_execnz .LBB165_1101
.LBB165_532:                            ;   in Loop: Header=BB165_3 Depth=1
	s_or_b32 exec_lo, exec_lo, s11
	s_and_saveexec_b32 s11, s20
	s_cbranch_execz .LBB165_534
.LBB165_533:                            ;   in Loop: Header=BB165_3 Depth=1
	ds_load_b64 v[44:45], v87 offset:16128
	ds_load_b64 v[42:43], v42 offset:248
	s_wait_dscnt 0x0
	v_pk_mul_f32 v[46:47], v[42:43], v[44:45] op_sel:[1,1] op_sel_hi:[0,1]
	s_delay_alu instid0(VALU_DEP_1) | instskip(SKIP_1) | instid1(VALU_DEP_2)
	v_pk_fma_f32 v[98:99], v[42:43], v[44:45], v[46:47] op_sel_hi:[1,0,1]
	v_pk_fma_f32 v[42:43], v[42:43], v[44:45], v[46:47] neg_lo:[0,0,1] neg_hi:[0,0,1]
	v_mov_b32_e32 v43, v99
	s_delay_alu instid0(VALU_DEP_1)
	v_pk_add_f32 v[40:41], v[40:41], v[42:43]
.LBB165_534:                            ;   in Loop: Header=BB165_3 Depth=1
	s_or_b32 exec_lo, exec_lo, s11
	s_delay_alu instid0(VALU_DEP_1)
	v_pk_add_f32 v[40:41], v[40:41], 0 neg_lo:[1,1] neg_hi:[1,1]
.LBB165_535:                            ;   in Loop: Header=BB165_3 Depth=1
	s_or_b32 exec_lo, exec_lo, s84
	v_dual_mov_b32 v42, v78 :: v_dual_mov_b32 v43, v96
	s_mov_b32 s11, 0
	s_branch .LBB165_537
.LBB165_536:                            ;   in Loop: Header=BB165_537 Depth=2
	s_or_b32 exec_lo, exec_lo, s52
	v_add_nc_u32_e32 v43, 0x800, v43
	v_add_nc_u32_e32 v42, -4, v42
	s_add_co_i32 s11, s11, 4
	s_delay_alu instid0(SALU_CYCLE_1)
	s_cmp_eq_u32 s11, 32
	s_barrier_signal -1
	s_barrier_wait -1
	s_cbranch_scc1 .LBB165_553
.LBB165_537:                            ;   Parent Loop BB165_3 Depth=1
                                        ; =>  This Inner Loop Header: Depth=2
	s_delay_alu instid0(VALU_DEP_1) | instskip(SKIP_1) | instid1(SALU_CYCLE_1)
	v_cmp_eq_u32_e32 vcc_lo, 0, v42
	s_and_b32 s53, s12, vcc_lo
	s_and_saveexec_b32 s52, s53
; %bb.538:                              ;   in Loop: Header=BB165_537 Depth=2
	ds_store_b64 v88, v[40:41]
; %bb.539:                              ;   in Loop: Header=BB165_537 Depth=2
	s_or_b32 exec_lo, exec_lo, s52
	v_cmp_lt_u32_e32 vcc_lo, s11, v78
	s_wait_dscnt 0x0
	s_barrier_signal -1
	s_barrier_wait -1
	s_and_b32 s53, s12, vcc_lo
	s_delay_alu instid0(SALU_CYCLE_1)
	s_and_saveexec_b32 s52, s53
	s_cbranch_execz .LBB165_541
; %bb.540:                              ;   in Loop: Header=BB165_537 Depth=2
	ds_load_b64 v[44:45], v43
	ds_load_b64 v[46:47], v88
	s_wait_dscnt 0x0
	v_pk_mul_f32 v[98:99], v[46:47], v[44:45] op_sel:[1,1] op_sel_hi:[0,1]
	s_delay_alu instid0(VALU_DEP_1) | instskip(SKIP_1) | instid1(VALU_DEP_2)
	v_pk_fma_f32 v[100:101], v[46:47], v[44:45], v[98:99] op_sel_hi:[1,0,1]
	v_pk_fma_f32 v[44:45], v[46:47], v[44:45], v[98:99] neg_lo:[0,0,1] neg_hi:[0,0,1]
	v_mov_b32_e32 v45, v101
	s_delay_alu instid0(VALU_DEP_1)
	v_pk_add_f32 v[40:41], v[40:41], v[44:45]
.LBB165_541:                            ;   in Loop: Header=BB165_537 Depth=2
	s_or_b32 exec_lo, exec_lo, s52
	s_or_b32 s52, s11, 1
	s_delay_alu instid0(SALU_CYCLE_1) | instskip(SKIP_3) | instid1(SALU_CYCLE_1)
	v_cmp_eq_u32_e32 vcc_lo, s52, v78
	s_barrier_signal -1
	s_barrier_wait -1
	s_and_b32 s54, s12, vcc_lo
	s_and_saveexec_b32 s53, s54
; %bb.542:                              ;   in Loop: Header=BB165_537 Depth=2
	ds_store_b64 v88, v[40:41]
; %bb.543:                              ;   in Loop: Header=BB165_537 Depth=2
	s_or_b32 exec_lo, exec_lo, s53
	v_cmp_lt_u32_e32 vcc_lo, s52, v78
	s_wait_dscnt 0x0
	s_barrier_signal -1
	s_barrier_wait -1
	s_and_b32 s53, s12, vcc_lo
	s_delay_alu instid0(SALU_CYCLE_1)
	s_and_saveexec_b32 s52, s53
	s_cbranch_execz .LBB165_545
; %bb.544:                              ;   in Loop: Header=BB165_537 Depth=2
	ds_load_b64 v[44:45], v43 offset:512
	ds_load_b64 v[46:47], v88
	s_wait_dscnt 0x0
	v_pk_mul_f32 v[98:99], v[46:47], v[44:45] op_sel:[1,1] op_sel_hi:[0,1]
	s_delay_alu instid0(VALU_DEP_1) | instskip(SKIP_1) | instid1(VALU_DEP_2)
	v_pk_fma_f32 v[100:101], v[46:47], v[44:45], v[98:99] op_sel_hi:[1,0,1]
	v_pk_fma_f32 v[44:45], v[46:47], v[44:45], v[98:99] neg_lo:[0,0,1] neg_hi:[0,0,1]
	v_mov_b32_e32 v45, v101
	s_delay_alu instid0(VALU_DEP_1)
	v_pk_add_f32 v[40:41], v[40:41], v[44:45]
.LBB165_545:                            ;   in Loop: Header=BB165_537 Depth=2
	s_or_b32 exec_lo, exec_lo, s52
	s_or_b32 s52, s11, 2
	s_delay_alu instid0(SALU_CYCLE_1) | instskip(SKIP_3) | instid1(SALU_CYCLE_1)
	v_cmp_eq_u32_e32 vcc_lo, s52, v78
	s_barrier_signal -1
	s_barrier_wait -1
	s_and_b32 s54, s12, vcc_lo
	s_and_saveexec_b32 s53, s54
; %bb.546:                              ;   in Loop: Header=BB165_537 Depth=2
	ds_store_b64 v88, v[40:41]
; %bb.547:                              ;   in Loop: Header=BB165_537 Depth=2
	s_or_b32 exec_lo, exec_lo, s53
	v_cmp_lt_u32_e32 vcc_lo, s52, v78
	s_wait_dscnt 0x0
	s_barrier_signal -1
	s_barrier_wait -1
	s_and_b32 s53, s12, vcc_lo
	s_delay_alu instid0(SALU_CYCLE_1)
	s_and_saveexec_b32 s52, s53
	s_cbranch_execz .LBB165_549
; %bb.548:                              ;   in Loop: Header=BB165_537 Depth=2
	ds_load_b64 v[44:45], v43 offset:1024
	ds_load_b64 v[46:47], v88
	s_wait_dscnt 0x0
	v_pk_mul_f32 v[98:99], v[46:47], v[44:45] op_sel:[1,1] op_sel_hi:[0,1]
	s_delay_alu instid0(VALU_DEP_1) | instskip(SKIP_1) | instid1(VALU_DEP_2)
	v_pk_fma_f32 v[100:101], v[46:47], v[44:45], v[98:99] op_sel_hi:[1,0,1]
	v_pk_fma_f32 v[44:45], v[46:47], v[44:45], v[98:99] neg_lo:[0,0,1] neg_hi:[0,0,1]
	v_mov_b32_e32 v45, v101
	s_delay_alu instid0(VALU_DEP_1)
	v_pk_add_f32 v[40:41], v[40:41], v[44:45]
.LBB165_549:                            ;   in Loop: Header=BB165_537 Depth=2
	s_or_b32 exec_lo, exec_lo, s52
	s_or_b32 s52, s11, 3
	s_delay_alu instid0(SALU_CYCLE_1) | instskip(SKIP_3) | instid1(SALU_CYCLE_1)
	v_cmp_eq_u32_e32 vcc_lo, s52, v78
	s_barrier_signal -1
	s_barrier_wait -1
	s_and_b32 s54, s12, vcc_lo
	s_and_saveexec_b32 s53, s54
; %bb.550:                              ;   in Loop: Header=BB165_537 Depth=2
	ds_store_b64 v88, v[40:41]
; %bb.551:                              ;   in Loop: Header=BB165_537 Depth=2
	s_or_b32 exec_lo, exec_lo, s53
	v_cmp_lt_u32_e32 vcc_lo, s52, v78
	s_wait_dscnt 0x0
	s_barrier_signal -1
	s_barrier_wait -1
	s_and_b32 s53, s12, vcc_lo
	s_delay_alu instid0(SALU_CYCLE_1)
	s_and_saveexec_b32 s52, s53
	s_cbranch_execz .LBB165_536
; %bb.552:                              ;   in Loop: Header=BB165_537 Depth=2
	ds_load_b64 v[44:45], v43 offset:1536
	ds_load_b64 v[46:47], v88
	s_wait_dscnt 0x0
	v_pk_mul_f32 v[98:99], v[46:47], v[44:45] op_sel:[1,1] op_sel_hi:[0,1]
	s_delay_alu instid0(VALU_DEP_1) | instskip(SKIP_1) | instid1(VALU_DEP_2)
	v_pk_fma_f32 v[100:101], v[46:47], v[44:45], v[98:99] op_sel_hi:[1,0,1]
	v_pk_fma_f32 v[44:45], v[46:47], v[44:45], v[98:99] neg_lo:[0,0,1] neg_hi:[0,0,1]
	v_mov_b32_e32 v45, v101
	s_delay_alu instid0(VALU_DEP_1)
	v_pk_add_f32 v[40:41], v[40:41], v[44:45]
	s_branch .LBB165_536
.LBB165_553:                            ;   in Loop: Header=BB165_3 Depth=1
	s_and_saveexec_b32 s11, s34
; %bb.554:                              ;   in Loop: Header=BB165_3 Depth=1
	v_pk_add_f32 v[40:41], v[40:41], 0 neg_lo:[1,1] neg_hi:[1,1]
	ds_store_b64 v89, v[40:41] offset:256
; %bb.555:                              ;   in Loop: Header=BB165_3 Depth=1
	s_or_b32 exec_lo, exec_lo, s11
	s_wait_dscnt 0x0
	s_barrier_signal -1
	s_barrier_wait -1
	s_barrier_signal -1
	s_barrier_wait -1
	s_mov_b32 s11, exec_lo
	v_readlane_b32 s52, v107, 10
	s_and_b32 s52, s11, s52
	s_delay_alu instid0(SALU_CYCLE_1)
	s_mov_b32 exec_lo, s52
	s_cbranch_execz .LBB165_557
; %bb.556:                              ;   in Loop: Header=BB165_3 Depth=1
	ds_load_b64 v[40:41], v68 offset:256
	s_wait_dscnt 0x0
	ds_store_b64 v69, v[40:41] offset:16384
	ds_load_b64 v[40:41], v68 offset:264
	s_wait_dscnt 0x0
	ds_store_b64 v69, v[40:41] offset:16896
	;; [unrolled: 3-line block ×32, first 2 shown]
.LBB165_557:                            ;   in Loop: Header=BB165_3 Depth=1
	s_or_b32 exec_lo, exec_lo, s11
	s_wait_dscnt 0x0
	s_barrier_signal -1
	s_barrier_wait -1
	s_and_saveexec_b32 s11, s10
	s_cbranch_execz .LBB165_559
; %bb.558:                              ;   in Loop: Header=BB165_3 Depth=1
	ds_load_b64 v[40:41], v3 offset:16648
	v_add_nc_u32_e64 v42, 0x100, 0
	ds_store_b64 v3, v[26:27] offset:17160
	s_wait_dscnt 0x1
	ds_store_2addr_stride64_b64 v42, v[26:27], v[40:41] offset0:32 offset1:33
.LBB165_559:                            ;   in Loop: Header=BB165_3 Depth=1
	s_or_b32 exec_lo, exec_lo, s11
	v_mov_b64_e32 v[40:41], 0
	s_wait_dscnt 0x0
	s_barrier_signal -1
	s_barrier_wait -1
	s_and_saveexec_b32 s11, s3
	s_cbranch_execz .LBB165_563
; %bb.560:                              ;   in Loop: Header=BB165_3 Depth=1
	ds_load_b64 v[40:41], v49 offset:16656
	ds_load_b64 v[42:43], v50 offset:16640
	s_wait_dscnt 0x0
	v_pk_mul_f32 v[44:45], v[42:43], v[40:41] op_sel:[1,1] op_sel_hi:[0,1]
	s_delay_alu instid0(VALU_DEP_1) | instskip(SKIP_1) | instid1(VALU_DEP_2)
	v_pk_fma_f32 v[46:47], v[42:43], v[40:41], v[44:45] op_sel_hi:[1,0,1]
	v_pk_fma_f32 v[40:41], v[42:43], v[40:41], v[44:45] neg_lo:[0,0,1] neg_hi:[0,0,1]
	v_mov_b32_e32 v41, v47
	s_delay_alu instid0(VALU_DEP_1)
	v_pk_add_f32 v[40:41], v[40:41], 0 op_sel_hi:[1,0]
	s_and_saveexec_b32 s52, s14
	s_cbranch_execz .LBB165_562
; %bb.561:                              ;   in Loop: Header=BB165_3 Depth=1
	ds_load_b64 v[42:43], v51 offset:17168
	ds_load_b64 v[44:45], v3 offset:16648
	s_wait_dscnt 0x0
	v_pk_mul_f32 v[46:47], v[44:45], v[42:43] op_sel:[1,1] op_sel_hi:[0,1]
	s_delay_alu instid0(VALU_DEP_1) | instskip(SKIP_1) | instid1(VALU_DEP_2)
	v_pk_fma_f32 v[98:99], v[44:45], v[42:43], v[46:47] op_sel_hi:[1,0,1]
	v_pk_fma_f32 v[42:43], v[44:45], v[42:43], v[46:47] neg_lo:[0,0,1] neg_hi:[0,0,1]
	v_mov_b32_e32 v43, v99
	s_delay_alu instid0(VALU_DEP_1)
	v_pk_add_f32 v[40:41], v[40:41], v[42:43]
.LBB165_562:                            ;   in Loop: Header=BB165_3 Depth=1
	s_or_b32 exec_lo, exec_lo, s52
	s_delay_alu instid0(VALU_DEP_1)
	v_pk_add_f32 v[40:41], v[40:41], 0 neg_lo:[1,1] neg_hi:[1,1]
.LBB165_563:                            ;   in Loop: Header=BB165_3 Depth=1
	s_or_b32 exec_lo, exec_lo, s11
	s_and_saveexec_b32 s11, s91
; %bb.564:                              ;   in Loop: Header=BB165_3 Depth=1
	ds_store_b64 v5, v[40:41]
; %bb.565:                              ;   in Loop: Header=BB165_3 Depth=1
	s_or_b32 exec_lo, exec_lo, s11
	s_wait_dscnt 0x0
	s_barrier_signal -1
	s_barrier_wait -1
	s_and_saveexec_b32 s11, s92
	s_cbranch_execz .LBB165_567
; %bb.566:                              ;   in Loop: Header=BB165_3 Depth=1
	ds_load_b64 v[42:43], v3 offset:17688
	ds_load_b64 v[44:45], v5
	s_wait_dscnt 0x0
	v_pk_mul_f32 v[46:47], v[44:45], v[42:43] op_sel:[1,1] op_sel_hi:[0,1]
	s_delay_alu instid0(VALU_DEP_1) | instskip(SKIP_1) | instid1(VALU_DEP_2)
	v_pk_fma_f32 v[98:99], v[44:45], v[42:43], v[46:47] op_sel_hi:[1,0,1]
	v_pk_fma_f32 v[42:43], v[44:45], v[42:43], v[46:47] neg_lo:[0,0,1] neg_hi:[0,0,1]
	v_mov_b32_e32 v43, v99
	s_delay_alu instid0(VALU_DEP_1)
	v_pk_add_f32 v[40:41], v[40:41], v[42:43]
.LBB165_567:                            ;   in Loop: Header=BB165_3 Depth=1
	s_or_b32 exec_lo, exec_lo, s11
	s_barrier_signal -1
	s_barrier_wait -1
	s_and_saveexec_b32 s11, s92
; %bb.568:                              ;   in Loop: Header=BB165_3 Depth=1
	ds_store_b64 v5, v[40:41]
; %bb.569:                              ;   in Loop: Header=BB165_3 Depth=1
	s_or_b32 exec_lo, exec_lo, s11
	s_wait_dscnt 0x0
	s_barrier_signal -1
	s_barrier_wait -1
	s_barrier_signal -1
	s_barrier_wait -1
	s_and_saveexec_b32 s11, s3
; %bb.570:                              ;   in Loop: Header=BB165_3 Depth=1
	v_pk_add_f32 v[40:41], v[40:41], 0 neg_lo:[1,1] neg_hi:[1,1]
	ds_store_b64 v49, v[40:41] offset:16656
; %bb.571:                              ;   in Loop: Header=BB165_3 Depth=1
	s_or_b32 exec_lo, exec_lo, s11
	s_wait_dscnt 0x0
	s_barrier_signal -1
	s_barrier_wait -1
	s_barrier_signal -1
	s_barrier_wait -1
	s_and_saveexec_b32 s11, s93
	s_cbranch_execz .LBB165_573
; %bb.572:                              ;   in Loop: Header=BB165_3 Depth=1
	ds_load_b64 v[40:41], v54 offset:16656
	s_wait_dscnt 0x0
	ds_store_b64 v51, v[40:41] offset:17664
	ds_load_b64 v[40:41], v54 offset:16664
	s_wait_dscnt 0x0
	ds_store_b64 v51, v[40:41] offset:18176
.LBB165_573:                            ;   in Loop: Header=BB165_3 Depth=1
	s_or_b32 exec_lo, exec_lo, s11
	s_wait_dscnt 0x0
	s_barrier_signal -1
	s_barrier_wait -1
	s_and_saveexec_b32 s11, s10
	s_cbranch_execz .LBB165_575
; %bb.574:                              ;   in Loop: Header=BB165_3 Depth=1
	ds_load_b64 v[40:41], v3 offset:17688
	v_add_nc_u32_e64 v42, 0x110, 0
	ds_store_b64 v3, v[26:27] offset:18200
	s_wait_dscnt 0x1
	ds_store_2addr_stride64_b64 v42, v[26:27], v[40:41] offset0:34 offset1:35
.LBB165_575:                            ;   in Loop: Header=BB165_3 Depth=1
	s_or_b32 exec_lo, exec_lo, s11
	v_mov_b64_e32 v[40:41], 0
	s_wait_dscnt 0x0
	s_barrier_signal -1
	s_barrier_wait -1
	s_and_saveexec_b32 s11, s5
	s_cbranch_execz .LBB165_581
; %bb.576:                              ;   in Loop: Header=BB165_3 Depth=1
	ds_load_b64 v[40:41], v56 offset:16672
	ds_load_b64 v[42:43], v52 offset:16640
	s_wait_dscnt 0x0
	v_dual_mul_f32 v44, v43, v41 :: v_dual_mul_f32 v41, v42, v41
	s_delay_alu instid0(VALU_DEP_1) | instskip(NEXT) | instid1(VALU_DEP_1)
	v_dual_fma_f32 v42, v42, v40, -v44 :: v_dual_fmac_f32 v41, v43, v40
	v_dual_add_f32 v40, 0, v42 :: v_dual_add_f32 v41, 0, v41
	s_and_saveexec_b32 s52, s15
	s_cbranch_execnz .LBB165_1102
; %bb.577:                              ;   in Loop: Header=BB165_3 Depth=1
	s_or_b32 exec_lo, exec_lo, s52
	s_and_saveexec_b32 s52, s16
	s_cbranch_execnz .LBB165_1103
.LBB165_578:                            ;   in Loop: Header=BB165_3 Depth=1
	s_or_b32 exec_lo, exec_lo, s52
	s_and_saveexec_b32 s52, s3
	s_cbranch_execz .LBB165_580
.LBB165_579:                            ;   in Loop: Header=BB165_3 Depth=1
	ds_load_b64 v[42:43], v58 offset:18208
	ds_load_b64 v[44:45], v3 offset:16664
	s_wait_dscnt 0x0
	v_dual_mul_f32 v46, v45, v43 :: v_dual_mul_f32 v47, v44, v43
	s_delay_alu instid0(VALU_DEP_1) | instskip(NEXT) | instid1(VALU_DEP_1)
	v_dual_fma_f32 v46, v44, v42, -v46 :: v_dual_fmac_f32 v47, v45, v42
	v_pk_add_f32 v[40:41], v[40:41], v[46:47]
.LBB165_580:                            ;   in Loop: Header=BB165_3 Depth=1
	s_or_b32 exec_lo, exec_lo, s52
	s_delay_alu instid0(VALU_DEP_1)
	v_pk_add_f32 v[40:41], v[40:41], 0 neg_lo:[1,1] neg_hi:[1,1]
.LBB165_581:                            ;   in Loop: Header=BB165_3 Depth=1
	s_or_b32 exec_lo, exec_lo, s11
	s_and_saveexec_b32 s11, s94
; %bb.582:                              ;   in Loop: Header=BB165_3 Depth=1
	ds_store_b64 v55, v[40:41]
; %bb.583:                              ;   in Loop: Header=BB165_3 Depth=1
	s_or_b32 exec_lo, exec_lo, s11
	s_wait_dscnt 0x0
	s_barrier_signal -1
	s_barrier_wait -1
	s_and_saveexec_b32 s11, s95
	s_cbranch_execz .LBB165_585
; %bb.584:                              ;   in Loop: Header=BB165_3 Depth=1
	ds_load_b64 v[42:43], v53 offset:18720
	ds_load_b64 v[44:45], v55
	s_wait_dscnt 0x0
	v_pk_mul_f32 v[46:47], v[44:45], v[42:43] op_sel:[1,1] op_sel_hi:[0,1]
	s_delay_alu instid0(VALU_DEP_1) | instskip(SKIP_1) | instid1(VALU_DEP_2)
	v_pk_fma_f32 v[98:99], v[44:45], v[42:43], v[46:47] op_sel_hi:[1,0,1]
	v_pk_fma_f32 v[42:43], v[44:45], v[42:43], v[46:47] neg_lo:[0,0,1] neg_hi:[0,0,1]
	v_mov_b32_e32 v43, v99
	s_delay_alu instid0(VALU_DEP_1)
	v_pk_add_f32 v[40:41], v[40:41], v[42:43]
.LBB165_585:                            ;   in Loop: Header=BB165_3 Depth=1
	s_or_b32 exec_lo, exec_lo, s11
	s_barrier_signal -1
	s_barrier_wait -1
	s_and_saveexec_b32 s11, s96
; %bb.586:                              ;   in Loop: Header=BB165_3 Depth=1
	ds_store_b64 v55, v[40:41]
; %bb.587:                              ;   in Loop: Header=BB165_3 Depth=1
	s_or_b32 exec_lo, exec_lo, s11
	s_wait_dscnt 0x0
	s_barrier_signal -1
	s_barrier_wait -1
	s_and_saveexec_b32 s11, s97
	s_cbranch_execz .LBB165_589
; %bb.588:                              ;   in Loop: Header=BB165_3 Depth=1
	ds_load_b64 v[42:43], v53 offset:19232
	ds_load_b64 v[44:45], v55
	s_wait_dscnt 0x0
	v_pk_mul_f32 v[46:47], v[44:45], v[42:43] op_sel:[1,1] op_sel_hi:[0,1]
	s_delay_alu instid0(VALU_DEP_1) | instskip(SKIP_1) | instid1(VALU_DEP_2)
	v_pk_fma_f32 v[98:99], v[44:45], v[42:43], v[46:47] op_sel_hi:[1,0,1]
	v_pk_fma_f32 v[42:43], v[44:45], v[42:43], v[46:47] neg_lo:[0,0,1] neg_hi:[0,0,1]
	v_mov_b32_e32 v43, v99
	s_delay_alu instid0(VALU_DEP_1)
	v_pk_add_f32 v[40:41], v[40:41], v[42:43]
.LBB165_589:                            ;   in Loop: Header=BB165_3 Depth=1
	s_or_b32 exec_lo, exec_lo, s11
	s_barrier_signal -1
	s_barrier_wait -1
	s_and_saveexec_b32 s11, s98
; %bb.590:                              ;   in Loop: Header=BB165_3 Depth=1
	ds_store_b64 v55, v[40:41]
; %bb.591:                              ;   in Loop: Header=BB165_3 Depth=1
	s_or_b32 exec_lo, exec_lo, s11
	s_wait_dscnt 0x0
	s_barrier_signal -1
	s_barrier_wait -1
	s_and_saveexec_b32 s11, s99
	s_cbranch_execz .LBB165_593
; %bb.592:                              ;   in Loop: Header=BB165_3 Depth=1
	ds_load_b64 v[42:43], v3 offset:19768
	ds_load_b64 v[44:45], v55
	s_wait_dscnt 0x0
	v_pk_mul_f32 v[46:47], v[44:45], v[42:43] op_sel:[1,1] op_sel_hi:[0,1]
	s_delay_alu instid0(VALU_DEP_1) | instskip(SKIP_1) | instid1(VALU_DEP_2)
	v_pk_fma_f32 v[98:99], v[44:45], v[42:43], v[46:47] op_sel_hi:[1,0,1]
	v_pk_fma_f32 v[42:43], v[44:45], v[42:43], v[46:47] neg_lo:[0,0,1] neg_hi:[0,0,1]
	v_mov_b32_e32 v43, v99
	s_delay_alu instid0(VALU_DEP_1)
	v_pk_add_f32 v[40:41], v[40:41], v[42:43]
.LBB165_593:                            ;   in Loop: Header=BB165_3 Depth=1
	s_or_b32 exec_lo, exec_lo, s11
	s_barrier_signal -1
	s_barrier_wait -1
	s_and_saveexec_b32 s11, s99
; %bb.594:                              ;   in Loop: Header=BB165_3 Depth=1
	ds_store_b64 v55, v[40:41]
; %bb.595:                              ;   in Loop: Header=BB165_3 Depth=1
	s_or_b32 exec_lo, exec_lo, s11
	s_wait_dscnt 0x0
	s_barrier_signal -1
	s_barrier_wait -1
	s_barrier_signal -1
	s_barrier_wait -1
	s_and_saveexec_b32 s11, s5
; %bb.596:                              ;   in Loop: Header=BB165_3 Depth=1
	v_pk_add_f32 v[40:41], v[40:41], 0 neg_lo:[1,1] neg_hi:[1,1]
	ds_store_b64 v56, v[40:41] offset:16672
; %bb.597:                              ;   in Loop: Header=BB165_3 Depth=1
	s_or_b32 exec_lo, exec_lo, s11
	s_wait_dscnt 0x0
	s_barrier_signal -1
	s_barrier_wait -1
	s_barrier_signal -1
	s_barrier_wait -1
	s_and_saveexec_b32 s11, s100
	s_cbranch_execz .LBB165_599
; %bb.598:                              ;   in Loop: Header=BB165_3 Depth=1
	ds_load_b64 v[40:41], v59 offset:16672
	s_wait_dscnt 0x0
	ds_store_b64 v60, v[40:41] offset:18688
	ds_load_b64 v[40:41], v59 offset:16680
	s_wait_dscnt 0x0
	ds_store_b64 v60, v[40:41] offset:19200
	;; [unrolled: 3-line block ×4, first 2 shown]
.LBB165_599:                            ;   in Loop: Header=BB165_3 Depth=1
	s_or_b32 exec_lo, exec_lo, s11
	s_wait_dscnt 0x0
	s_barrier_signal -1
	s_barrier_wait -1
	s_and_saveexec_b32 s11, s10
	s_cbranch_execz .LBB165_601
; %bb.600:                              ;   in Loop: Header=BB165_3 Depth=1
	ds_load_b64 v[40:41], v3 offset:18728
	v_add_nc_u32_e64 v42, 0x120, 0
	ds_store_b64 v3, v[26:27] offset:19240
	s_wait_dscnt 0x1
	ds_store_2addr_stride64_b64 v42, v[26:27], v[40:41] offset0:36 offset1:37
.LBB165_601:                            ;   in Loop: Header=BB165_3 Depth=1
	s_or_b32 exec_lo, exec_lo, s11
	v_mov_b64_e32 v[40:41], 0
	s_wait_dscnt 0x0
	s_barrier_signal -1
	s_barrier_wait -1
	s_and_saveexec_b32 s11, s3
	s_cbranch_execz .LBB165_605
; %bb.602:                              ;   in Loop: Header=BB165_3 Depth=1
	ds_load_b64 v[40:41], v49 offset:18736
	ds_load_b64 v[42:43], v50 offset:18720
	s_wait_dscnt 0x0
	v_pk_mul_f32 v[44:45], v[42:43], v[40:41] op_sel:[1,1] op_sel_hi:[0,1]
	s_delay_alu instid0(VALU_DEP_1) | instskip(SKIP_1) | instid1(VALU_DEP_2)
	v_pk_fma_f32 v[46:47], v[42:43], v[40:41], v[44:45] op_sel_hi:[1,0,1]
	v_pk_fma_f32 v[40:41], v[42:43], v[40:41], v[44:45] neg_lo:[0,0,1] neg_hi:[0,0,1]
	v_mov_b32_e32 v41, v47
	s_delay_alu instid0(VALU_DEP_1)
	v_pk_add_f32 v[40:41], v[40:41], 0 op_sel_hi:[1,0]
	s_and_saveexec_b32 s52, s14
	s_cbranch_execz .LBB165_604
; %bb.603:                              ;   in Loop: Header=BB165_3 Depth=1
	ds_load_b64 v[42:43], v60 offset:19248
	ds_load_b64 v[44:45], v3 offset:18728
	s_wait_dscnt 0x0
	v_pk_mul_f32 v[46:47], v[44:45], v[42:43] op_sel:[1,1] op_sel_hi:[0,1]
	s_delay_alu instid0(VALU_DEP_1) | instskip(SKIP_1) | instid1(VALU_DEP_2)
	v_pk_fma_f32 v[98:99], v[44:45], v[42:43], v[46:47] op_sel_hi:[1,0,1]
	v_pk_fma_f32 v[42:43], v[44:45], v[42:43], v[46:47] neg_lo:[0,0,1] neg_hi:[0,0,1]
	v_mov_b32_e32 v43, v99
	s_delay_alu instid0(VALU_DEP_1)
	v_pk_add_f32 v[40:41], v[40:41], v[42:43]
.LBB165_604:                            ;   in Loop: Header=BB165_3 Depth=1
	s_or_b32 exec_lo, exec_lo, s52
	s_delay_alu instid0(VALU_DEP_1)
	v_pk_add_f32 v[40:41], v[40:41], 0 neg_lo:[1,1] neg_hi:[1,1]
.LBB165_605:                            ;   in Loop: Header=BB165_3 Depth=1
	s_or_b32 exec_lo, exec_lo, s11
	s_and_saveexec_b32 s11, s91
; %bb.606:                              ;   in Loop: Header=BB165_3 Depth=1
	ds_store_b64 v5, v[40:41]
; %bb.607:                              ;   in Loop: Header=BB165_3 Depth=1
	s_or_b32 exec_lo, exec_lo, s11
	s_wait_dscnt 0x0
	s_barrier_signal -1
	s_barrier_wait -1
	s_and_saveexec_b32 s11, s92
	s_cbranch_execz .LBB165_609
; %bb.608:                              ;   in Loop: Header=BB165_3 Depth=1
	ds_load_b64 v[42:43], v3 offset:19768
	ds_load_b64 v[44:45], v5
	s_wait_dscnt 0x0
	v_pk_mul_f32 v[46:47], v[44:45], v[42:43] op_sel:[1,1] op_sel_hi:[0,1]
	s_delay_alu instid0(VALU_DEP_1) | instskip(SKIP_1) | instid1(VALU_DEP_2)
	v_pk_fma_f32 v[98:99], v[44:45], v[42:43], v[46:47] op_sel_hi:[1,0,1]
	v_pk_fma_f32 v[42:43], v[44:45], v[42:43], v[46:47] neg_lo:[0,0,1] neg_hi:[0,0,1]
	v_mov_b32_e32 v43, v99
	s_delay_alu instid0(VALU_DEP_1)
	v_pk_add_f32 v[40:41], v[40:41], v[42:43]
.LBB165_609:                            ;   in Loop: Header=BB165_3 Depth=1
	s_or_b32 exec_lo, exec_lo, s11
	s_barrier_signal -1
	s_barrier_wait -1
	s_and_saveexec_b32 s11, s92
; %bb.610:                              ;   in Loop: Header=BB165_3 Depth=1
	ds_store_b64 v5, v[40:41]
; %bb.611:                              ;   in Loop: Header=BB165_3 Depth=1
	s_or_b32 exec_lo, exec_lo, s11
	s_wait_dscnt 0x0
	s_barrier_signal -1
	s_barrier_wait -1
	s_barrier_signal -1
	s_barrier_wait -1
	s_and_saveexec_b32 s11, s3
; %bb.612:                              ;   in Loop: Header=BB165_3 Depth=1
	v_pk_add_f32 v[40:41], v[40:41], 0 neg_lo:[1,1] neg_hi:[1,1]
	ds_store_b64 v49, v[40:41] offset:18736
; %bb.613:                              ;   in Loop: Header=BB165_3 Depth=1
	s_or_b32 exec_lo, exec_lo, s11
	s_wait_dscnt 0x0
	s_barrier_signal -1
	s_barrier_wait -1
	s_barrier_signal -1
	s_barrier_wait -1
	s_and_saveexec_b32 s11, s93
	s_cbranch_execz .LBB165_615
; %bb.614:                              ;   in Loop: Header=BB165_3 Depth=1
	ds_load_b64 v[40:41], v63 offset:18736
	s_wait_dscnt 0x0
	ds_store_b64 v60, v[40:41] offset:19744
	ds_load_b64 v[40:41], v63 offset:18744
	s_wait_dscnt 0x0
	ds_store_b64 v60, v[40:41] offset:20256
.LBB165_615:                            ;   in Loop: Header=BB165_3 Depth=1
	s_or_b32 exec_lo, exec_lo, s11
	s_wait_dscnt 0x0
	s_barrier_signal -1
	s_barrier_wait -1
	s_and_saveexec_b32 s11, s10
	s_cbranch_execz .LBB165_617
; %bb.616:                              ;   in Loop: Header=BB165_3 Depth=1
	ds_load_b64 v[40:41], v3 offset:19768
	v_add_nc_u32_e64 v42, 0x130, 0
	ds_store_b64 v3, v[26:27] offset:20280
	s_wait_dscnt 0x1
	ds_store_2addr_stride64_b64 v42, v[26:27], v[40:41] offset0:38 offset1:39
.LBB165_617:                            ;   in Loop: Header=BB165_3 Depth=1
	s_or_b32 exec_lo, exec_lo, s11
	v_mov_b64_e32 v[40:41], 0
	s_wait_dscnt 0x0
	s_barrier_signal -1
	s_barrier_wait -1
	s_and_saveexec_b32 s11, s6
	s_cbranch_execz .LBB165_627
; %bb.618:                              ;   in Loop: Header=BB165_3 Depth=1
	ds_load_b64 v[40:41], v65 offset:16704
	ds_load_b64 v[42:43], v61 offset:16640
	s_wait_dscnt 0x0
	v_dual_mul_f32 v44, v43, v41 :: v_dual_mul_f32 v41, v42, v41
	s_delay_alu instid0(VALU_DEP_1) | instskip(NEXT) | instid1(VALU_DEP_1)
	v_dual_fma_f32 v42, v42, v40, -v44 :: v_dual_fmac_f32 v41, v43, v40
	v_dual_add_f32 v40, 0, v42 :: v_dual_add_f32 v41, 0, v41
	s_and_saveexec_b32 s52, s17
	s_cbranch_execnz .LBB165_1104
; %bb.619:                              ;   in Loop: Header=BB165_3 Depth=1
	s_or_b32 exec_lo, exec_lo, s52
	s_and_saveexec_b32 s52, s18
	s_cbranch_execnz .LBB165_1105
.LBB165_620:                            ;   in Loop: Header=BB165_3 Depth=1
	s_or_b32 exec_lo, exec_lo, s52
	s_and_saveexec_b32 s52, s19
	s_cbranch_execnz .LBB165_1106
.LBB165_621:                            ;   in Loop: Header=BB165_3 Depth=1
	s_or_b32 exec_lo, exec_lo, s52
	s_and_saveexec_b32 s52, s20
	s_cbranch_execnz .LBB165_1107
.LBB165_622:                            ;   in Loop: Header=BB165_3 Depth=1
	s_or_b32 exec_lo, exec_lo, s52
	s_and_saveexec_b32 s52, s21
	s_cbranch_execnz .LBB165_1108
.LBB165_623:                            ;   in Loop: Header=BB165_3 Depth=1
	s_or_b32 exec_lo, exec_lo, s52
	s_and_saveexec_b32 s52, s5
	s_cbranch_execnz .LBB165_1109
.LBB165_624:                            ;   in Loop: Header=BB165_3 Depth=1
	s_or_b32 exec_lo, exec_lo, s52
	s_and_saveexec_b32 s52, s16
	s_cbranch_execz .LBB165_626
.LBB165_625:                            ;   in Loop: Header=BB165_3 Depth=1
	ds_load_b64 v[42:43], v51 offset:20288
	ds_load_b64 v[44:45], v3 offset:16696
	s_wait_dscnt 0x0
	v_pk_mul_f32 v[46:47], v[44:45], v[42:43] op_sel:[1,1] op_sel_hi:[0,1]
	s_delay_alu instid0(VALU_DEP_1) | instskip(SKIP_1) | instid1(VALU_DEP_2)
	v_pk_fma_f32 v[98:99], v[44:45], v[42:43], v[46:47] op_sel_hi:[1,0,1]
	v_pk_fma_f32 v[42:43], v[44:45], v[42:43], v[46:47] neg_lo:[0,0,1] neg_hi:[0,0,1]
	v_mov_b32_e32 v43, v99
	s_delay_alu instid0(VALU_DEP_1)
	v_pk_add_f32 v[40:41], v[40:41], v[42:43]
.LBB165_626:                            ;   in Loop: Header=BB165_3 Depth=1
	s_or_b32 exec_lo, exec_lo, s52
	s_delay_alu instid0(VALU_DEP_1)
	v_pk_add_f32 v[40:41], v[40:41], 0 neg_lo:[1,1] neg_hi:[1,1]
.LBB165_627:                            ;   in Loop: Header=BB165_3 Depth=1
	s_or_b32 exec_lo, exec_lo, s11
	s_and_saveexec_b32 s11, s101
; %bb.628:                              ;   in Loop: Header=BB165_3 Depth=1
	ds_store_b64 v64, v[40:41]
; %bb.629:                              ;   in Loop: Header=BB165_3 Depth=1
	s_or_b32 exec_lo, exec_lo, s11
	s_wait_dscnt 0x0
	s_barrier_signal -1
	s_barrier_wait -1
	s_and_saveexec_b32 s11, s102
	s_cbranch_execz .LBB165_631
; %bb.630:                              ;   in Loop: Header=BB165_3 Depth=1
	ds_load_b64 v[42:43], v62 offset:20800
	ds_load_b64 v[44:45], v64
	s_wait_dscnt 0x0
	v_pk_mul_f32 v[46:47], v[44:45], v[42:43] op_sel:[1,1] op_sel_hi:[0,1]
	s_delay_alu instid0(VALU_DEP_1) | instskip(SKIP_1) | instid1(VALU_DEP_2)
	v_pk_fma_f32 v[98:99], v[44:45], v[42:43], v[46:47] op_sel_hi:[1,0,1]
	v_pk_fma_f32 v[42:43], v[44:45], v[42:43], v[46:47] neg_lo:[0,0,1] neg_hi:[0,0,1]
	v_mov_b32_e32 v43, v99
	s_delay_alu instid0(VALU_DEP_1)
	v_pk_add_f32 v[40:41], v[40:41], v[42:43]
.LBB165_631:                            ;   in Loop: Header=BB165_3 Depth=1
	s_or_b32 exec_lo, exec_lo, s11
	s_barrier_signal -1
	s_barrier_wait -1
	s_and_saveexec_b32 s11, s103
; %bb.632:                              ;   in Loop: Header=BB165_3 Depth=1
	ds_store_b64 v64, v[40:41]
; %bb.633:                              ;   in Loop: Header=BB165_3 Depth=1
	s_or_b32 exec_lo, exec_lo, s11
	s_wait_dscnt 0x0
	s_barrier_signal -1
	s_barrier_wait -1
	s_and_saveexec_b32 s11, s104
	s_cbranch_execz .LBB165_635
; %bb.634:                              ;   in Loop: Header=BB165_3 Depth=1
	ds_load_b64 v[42:43], v62 offset:21312
	ds_load_b64 v[44:45], v64
	s_wait_dscnt 0x0
	v_dual_mul_f32 v46, v45, v43 :: v_dual_mul_f32 v43, v44, v43
	s_delay_alu instid0(VALU_DEP_1) | instskip(NEXT) | instid1(VALU_DEP_1)
	v_dual_fma_f32 v44, v44, v42, -v46 :: v_dual_fmac_f32 v43, v45, v42
	v_dual_add_f32 v40, v40, v44 :: v_dual_add_f32 v41, v41, v43
.LBB165_635:                            ;   in Loop: Header=BB165_3 Depth=1
	s_or_b32 exec_lo, exec_lo, s11
	s_barrier_signal -1
	s_barrier_wait -1
	s_and_saveexec_b32 s11, vcc_hi
; %bb.636:                              ;   in Loop: Header=BB165_3 Depth=1
	ds_store_b64 v64, v[40:41]
; %bb.637:                              ;   in Loop: Header=BB165_3 Depth=1
	s_or_b32 exec_lo, exec_lo, s11
	s_wait_dscnt 0x0
	s_barrier_signal -1
	s_barrier_wait -1
	s_and_saveexec_b32 s11, s37
	s_cbranch_execz .LBB165_639
; %bb.638:                              ;   in Loop: Header=BB165_3 Depth=1
	ds_load_b64 v[42:43], v62 offset:21824
	ds_load_b64 v[44:45], v64
	s_wait_dscnt 0x0
	v_dual_mul_f32 v46, v45, v43 :: v_dual_mul_f32 v47, v44, v43
	s_delay_alu instid0(VALU_DEP_1) | instskip(NEXT) | instid1(VALU_DEP_1)
	v_dual_fma_f32 v46, v44, v42, -v46 :: v_dual_fmac_f32 v47, v45, v42
	v_pk_add_f32 v[40:41], v[40:41], v[46:47]
.LBB165_639:                            ;   in Loop: Header=BB165_3 Depth=1
	s_or_b32 exec_lo, exec_lo, s11
	s_barrier_signal -1
	s_barrier_wait -1
	s_and_saveexec_b32 s11, s38
; %bb.640:                              ;   in Loop: Header=BB165_3 Depth=1
	ds_store_b64 v64, v[40:41]
; %bb.641:                              ;   in Loop: Header=BB165_3 Depth=1
	s_or_b32 exec_lo, exec_lo, s11
	s_wait_dscnt 0x0
	s_barrier_signal -1
	s_barrier_wait -1
	s_and_saveexec_b32 s11, s39
	s_cbranch_execz .LBB165_643
; %bb.642:                              ;   in Loop: Header=BB165_3 Depth=1
	ds_load_b64 v[42:43], v62 offset:22336
	ds_load_b64 v[44:45], v64
	s_wait_dscnt 0x0
	v_pk_mul_f32 v[46:47], v[44:45], v[42:43] op_sel:[1,1] op_sel_hi:[0,1]
	s_delay_alu instid0(VALU_DEP_1) | instskip(SKIP_1) | instid1(VALU_DEP_2)
	v_pk_fma_f32 v[98:99], v[44:45], v[42:43], v[46:47] op_sel_hi:[1,0,1]
	v_pk_fma_f32 v[42:43], v[44:45], v[42:43], v[46:47] neg_lo:[0,0,1] neg_hi:[0,0,1]
	v_mov_b32_e32 v43, v99
	s_delay_alu instid0(VALU_DEP_1)
	v_pk_add_f32 v[40:41], v[40:41], v[42:43]
.LBB165_643:                            ;   in Loop: Header=BB165_3 Depth=1
	s_or_b32 exec_lo, exec_lo, s11
	s_barrier_signal -1
	s_barrier_wait -1
	s_and_saveexec_b32 s11, s40
; %bb.644:                              ;   in Loop: Header=BB165_3 Depth=1
	ds_store_b64 v64, v[40:41]
; %bb.645:                              ;   in Loop: Header=BB165_3 Depth=1
	s_or_b32 exec_lo, exec_lo, s11
	s_wait_dscnt 0x0
	s_barrier_signal -1
	s_barrier_wait -1
	s_and_saveexec_b32 s11, s42
	s_cbranch_execz .LBB165_647
; %bb.646:                              ;   in Loop: Header=BB165_3 Depth=1
	ds_load_b64 v[42:43], v62 offset:22848
	ds_load_b64 v[44:45], v64
	s_wait_dscnt 0x0
	v_pk_mul_f32 v[46:47], v[44:45], v[42:43] op_sel:[1,1] op_sel_hi:[0,1]
	s_delay_alu instid0(VALU_DEP_1) | instskip(SKIP_1) | instid1(VALU_DEP_2)
	v_pk_fma_f32 v[98:99], v[44:45], v[42:43], v[46:47] op_sel_hi:[1,0,1]
	v_pk_fma_f32 v[42:43], v[44:45], v[42:43], v[46:47] neg_lo:[0,0,1] neg_hi:[0,0,1]
	v_mov_b32_e32 v43, v99
	s_delay_alu instid0(VALU_DEP_1)
	v_pk_add_f32 v[40:41], v[40:41], v[42:43]
.LBB165_647:                            ;   in Loop: Header=BB165_3 Depth=1
	;; [unrolled: 25-line block ×4, first 2 shown]
	s_or_b32 exec_lo, exec_lo, s11
	s_barrier_signal -1
	s_barrier_wait -1
	s_and_saveexec_b32 s11, s46
; %bb.656:                              ;   in Loop: Header=BB165_3 Depth=1
	ds_store_b64 v64, v[40:41]
; %bb.657:                              ;   in Loop: Header=BB165_3 Depth=1
	s_or_b32 exec_lo, exec_lo, s11
	s_wait_dscnt 0x0
	s_barrier_signal -1
	s_barrier_wait -1
	s_barrier_signal -1
	s_barrier_wait -1
	s_and_saveexec_b32 s11, s6
; %bb.658:                              ;   in Loop: Header=BB165_3 Depth=1
	v_pk_add_f32 v[40:41], v[40:41], 0 neg_lo:[1,1] neg_hi:[1,1]
	ds_store_b64 v65, v[40:41] offset:16704
; %bb.659:                              ;   in Loop: Header=BB165_3 Depth=1
	s_or_b32 exec_lo, exec_lo, s11
	s_wait_dscnt 0x0
	s_barrier_signal -1
	s_barrier_wait -1
	s_barrier_signal -1
	s_barrier_wait -1
	s_and_saveexec_b32 s11, s47
	s_cbranch_execz .LBB165_661
; %bb.660:                              ;   in Loop: Header=BB165_3 Depth=1
	ds_load_b64 v[40:41], v54 offset:16704
	s_wait_dscnt 0x0
	ds_store_b64 v58, v[40:41] offset:20736
	ds_load_b64 v[40:41], v54 offset:16712
	s_wait_dscnt 0x0
	ds_store_b64 v58, v[40:41] offset:21248
	;; [unrolled: 3-line block ×8, first 2 shown]
.LBB165_661:                            ;   in Loop: Header=BB165_3 Depth=1
	s_or_b32 exec_lo, exec_lo, s11
	s_wait_dscnt 0x0
	s_barrier_signal -1
	s_barrier_wait -1
	s_and_saveexec_b32 s11, s10
	s_cbranch_execz .LBB165_663
; %bb.662:                              ;   in Loop: Header=BB165_3 Depth=1
	ds_load_b64 v[40:41], v3 offset:20808
	v_add_nc_u32_e64 v42, 0x140, 0
	ds_store_b64 v3, v[26:27] offset:21320
	s_wait_dscnt 0x1
	ds_store_2addr_stride64_b64 v42, v[26:27], v[40:41] offset0:40 offset1:41
.LBB165_663:                            ;   in Loop: Header=BB165_3 Depth=1
	s_or_b32 exec_lo, exec_lo, s11
	v_mov_b64_e32 v[40:41], 0
	s_wait_dscnt 0x0
	s_barrier_signal -1
	s_barrier_wait -1
	s_and_saveexec_b32 s11, s3
	s_cbranch_execz .LBB165_667
; %bb.664:                              ;   in Loop: Header=BB165_3 Depth=1
	ds_load_b64 v[40:41], v49 offset:20816
	ds_load_b64 v[42:43], v50 offset:20800
	s_wait_dscnt 0x0
	v_pk_mul_f32 v[44:45], v[42:43], v[40:41] op_sel:[1,1] op_sel_hi:[0,1]
	s_delay_alu instid0(VALU_DEP_1) | instskip(SKIP_1) | instid1(VALU_DEP_2)
	v_pk_fma_f32 v[46:47], v[42:43], v[40:41], v[44:45] op_sel_hi:[1,0,1]
	v_pk_fma_f32 v[40:41], v[42:43], v[40:41], v[44:45] neg_lo:[0,0,1] neg_hi:[0,0,1]
	v_mov_b32_e32 v41, v47
	s_delay_alu instid0(VALU_DEP_1)
	v_pk_add_f32 v[40:41], v[40:41], 0 op_sel_hi:[1,0]
	s_and_saveexec_b32 s52, s14
	s_cbranch_execz .LBB165_666
; %bb.665:                              ;   in Loop: Header=BB165_3 Depth=1
	ds_load_b64 v[42:43], v58 offset:21328
	ds_load_b64 v[44:45], v3 offset:20808
	s_wait_dscnt 0x0
	v_pk_mul_f32 v[46:47], v[44:45], v[42:43] op_sel:[1,1] op_sel_hi:[0,1]
	s_delay_alu instid0(VALU_DEP_1) | instskip(SKIP_1) | instid1(VALU_DEP_2)
	v_pk_fma_f32 v[98:99], v[44:45], v[42:43], v[46:47] op_sel_hi:[1,0,1]
	v_pk_fma_f32 v[42:43], v[44:45], v[42:43], v[46:47] neg_lo:[0,0,1] neg_hi:[0,0,1]
	v_mov_b32_e32 v43, v99
	s_delay_alu instid0(VALU_DEP_1)
	v_pk_add_f32 v[40:41], v[40:41], v[42:43]
.LBB165_666:                            ;   in Loop: Header=BB165_3 Depth=1
	s_or_b32 exec_lo, exec_lo, s52
	s_delay_alu instid0(VALU_DEP_1)
	v_pk_add_f32 v[40:41], v[40:41], 0 neg_lo:[1,1] neg_hi:[1,1]
.LBB165_667:                            ;   in Loop: Header=BB165_3 Depth=1
	s_or_b32 exec_lo, exec_lo, s11
	s_and_saveexec_b32 s11, s91
; %bb.668:                              ;   in Loop: Header=BB165_3 Depth=1
	ds_store_b64 v5, v[40:41]
; %bb.669:                              ;   in Loop: Header=BB165_3 Depth=1
	s_or_b32 exec_lo, exec_lo, s11
	s_wait_dscnt 0x0
	s_barrier_signal -1
	s_barrier_wait -1
	s_and_saveexec_b32 s11, s92
	s_cbranch_execz .LBB165_671
; %bb.670:                              ;   in Loop: Header=BB165_3 Depth=1
	ds_load_b64 v[42:43], v3 offset:21848
	ds_load_b64 v[44:45], v5
	s_wait_dscnt 0x0
	v_pk_mul_f32 v[46:47], v[44:45], v[42:43] op_sel:[1,1] op_sel_hi:[0,1]
	s_delay_alu instid0(VALU_DEP_1) | instskip(SKIP_1) | instid1(VALU_DEP_2)
	v_pk_fma_f32 v[98:99], v[44:45], v[42:43], v[46:47] op_sel_hi:[1,0,1]
	v_pk_fma_f32 v[42:43], v[44:45], v[42:43], v[46:47] neg_lo:[0,0,1] neg_hi:[0,0,1]
	v_mov_b32_e32 v43, v99
	s_delay_alu instid0(VALU_DEP_1)
	v_pk_add_f32 v[40:41], v[40:41], v[42:43]
.LBB165_671:                            ;   in Loop: Header=BB165_3 Depth=1
	s_or_b32 exec_lo, exec_lo, s11
	s_barrier_signal -1
	s_barrier_wait -1
	s_and_saveexec_b32 s11, s92
; %bb.672:                              ;   in Loop: Header=BB165_3 Depth=1
	ds_store_b64 v5, v[40:41]
; %bb.673:                              ;   in Loop: Header=BB165_3 Depth=1
	s_or_b32 exec_lo, exec_lo, s11
	s_wait_dscnt 0x0
	s_barrier_signal -1
	s_barrier_wait -1
	s_barrier_signal -1
	s_barrier_wait -1
	s_and_saveexec_b32 s11, s3
; %bb.674:                              ;   in Loop: Header=BB165_3 Depth=1
	v_pk_add_f32 v[40:41], v[40:41], 0 neg_lo:[1,1] neg_hi:[1,1]
	ds_store_b64 v49, v[40:41] offset:20816
; %bb.675:                              ;   in Loop: Header=BB165_3 Depth=1
	s_or_b32 exec_lo, exec_lo, s11
	s_wait_dscnt 0x0
	s_barrier_signal -1
	s_barrier_wait -1
	s_barrier_signal -1
	s_barrier_wait -1
	s_and_saveexec_b32 s11, s93
	s_cbranch_execz .LBB165_677
; %bb.676:                              ;   in Loop: Header=BB165_3 Depth=1
	ds_load_b64 v[40:41], v59 offset:20816
	s_wait_dscnt 0x0
	ds_store_b64 v58, v[40:41] offset:21824
	ds_load_b64 v[40:41], v59 offset:20824
	s_wait_dscnt 0x0
	ds_store_b64 v58, v[40:41] offset:22336
.LBB165_677:                            ;   in Loop: Header=BB165_3 Depth=1
	s_or_b32 exec_lo, exec_lo, s11
	s_wait_dscnt 0x0
	s_barrier_signal -1
	s_barrier_wait -1
	s_and_saveexec_b32 s11, s10
	s_cbranch_execz .LBB165_679
; %bb.678:                              ;   in Loop: Header=BB165_3 Depth=1
	ds_load_b64 v[40:41], v3 offset:21848
	v_add_nc_u32_e64 v42, 0x150, 0
	ds_store_b64 v3, v[26:27] offset:22360
	s_wait_dscnt 0x1
	ds_store_2addr_stride64_b64 v42, v[26:27], v[40:41] offset0:42 offset1:43
.LBB165_679:                            ;   in Loop: Header=BB165_3 Depth=1
	s_or_b32 exec_lo, exec_lo, s11
	v_mov_b64_e32 v[40:41], 0
	s_wait_dscnt 0x0
	s_barrier_signal -1
	s_barrier_wait -1
	s_and_saveexec_b32 s11, s5
	s_cbranch_execz .LBB165_685
; %bb.680:                              ;   in Loop: Header=BB165_3 Depth=1
	ds_load_b64 v[40:41], v56 offset:20832
	ds_load_b64 v[42:43], v52 offset:20800
	s_wait_dscnt 0x0
	v_dual_mul_f32 v44, v43, v41 :: v_dual_mul_f32 v41, v42, v41
	s_delay_alu instid0(VALU_DEP_1) | instskip(NEXT) | instid1(VALU_DEP_1)
	v_dual_fma_f32 v42, v42, v40, -v44 :: v_dual_fmac_f32 v41, v43, v40
	v_dual_add_f32 v40, 0, v42 :: v_dual_add_f32 v41, 0, v41
	s_and_saveexec_b32 s52, s15
	s_cbranch_execnz .LBB165_1110
; %bb.681:                              ;   in Loop: Header=BB165_3 Depth=1
	s_or_b32 exec_lo, exec_lo, s52
	s_and_saveexec_b32 s52, s16
	s_cbranch_execnz .LBB165_1111
.LBB165_682:                            ;   in Loop: Header=BB165_3 Depth=1
	s_or_b32 exec_lo, exec_lo, s52
	s_and_saveexec_b32 s52, s3
	s_cbranch_execz .LBB165_684
.LBB165_683:                            ;   in Loop: Header=BB165_3 Depth=1
	ds_load_b64 v[42:43], v60 offset:22368
	ds_load_b64 v[44:45], v3 offset:20824
	s_wait_dscnt 0x0
	v_dual_mul_f32 v46, v45, v43 :: v_dual_mul_f32 v47, v44, v43
	s_delay_alu instid0(VALU_DEP_1) | instskip(NEXT) | instid1(VALU_DEP_1)
	v_dual_fma_f32 v46, v44, v42, -v46 :: v_dual_fmac_f32 v47, v45, v42
	v_pk_add_f32 v[40:41], v[40:41], v[46:47]
.LBB165_684:                            ;   in Loop: Header=BB165_3 Depth=1
	s_or_b32 exec_lo, exec_lo, s52
	s_delay_alu instid0(VALU_DEP_1)
	v_pk_add_f32 v[40:41], v[40:41], 0 neg_lo:[1,1] neg_hi:[1,1]
.LBB165_685:                            ;   in Loop: Header=BB165_3 Depth=1
	s_or_b32 exec_lo, exec_lo, s11
	s_and_saveexec_b32 s11, s94
; %bb.686:                              ;   in Loop: Header=BB165_3 Depth=1
	ds_store_b64 v55, v[40:41]
; %bb.687:                              ;   in Loop: Header=BB165_3 Depth=1
	s_or_b32 exec_lo, exec_lo, s11
	s_wait_dscnt 0x0
	s_barrier_signal -1
	s_barrier_wait -1
	s_and_saveexec_b32 s11, s95
	s_cbranch_execz .LBB165_689
; %bb.688:                              ;   in Loop: Header=BB165_3 Depth=1
	ds_load_b64 v[42:43], v53 offset:22880
	ds_load_b64 v[44:45], v55
	s_wait_dscnt 0x0
	v_pk_mul_f32 v[46:47], v[44:45], v[42:43] op_sel:[1,1] op_sel_hi:[0,1]
	s_delay_alu instid0(VALU_DEP_1) | instskip(SKIP_1) | instid1(VALU_DEP_2)
	v_pk_fma_f32 v[98:99], v[44:45], v[42:43], v[46:47] op_sel_hi:[1,0,1]
	v_pk_fma_f32 v[42:43], v[44:45], v[42:43], v[46:47] neg_lo:[0,0,1] neg_hi:[0,0,1]
	v_mov_b32_e32 v43, v99
	s_delay_alu instid0(VALU_DEP_1)
	v_pk_add_f32 v[40:41], v[40:41], v[42:43]
.LBB165_689:                            ;   in Loop: Header=BB165_3 Depth=1
	s_or_b32 exec_lo, exec_lo, s11
	s_barrier_signal -1
	s_barrier_wait -1
	s_and_saveexec_b32 s11, s96
; %bb.690:                              ;   in Loop: Header=BB165_3 Depth=1
	ds_store_b64 v55, v[40:41]
; %bb.691:                              ;   in Loop: Header=BB165_3 Depth=1
	s_or_b32 exec_lo, exec_lo, s11
	s_wait_dscnt 0x0
	s_barrier_signal -1
	s_barrier_wait -1
	s_and_saveexec_b32 s11, s97
	s_cbranch_execz .LBB165_693
; %bb.692:                              ;   in Loop: Header=BB165_3 Depth=1
	ds_load_b64 v[42:43], v53 offset:23392
	ds_load_b64 v[44:45], v55
	s_wait_dscnt 0x0
	v_pk_mul_f32 v[46:47], v[44:45], v[42:43] op_sel:[1,1] op_sel_hi:[0,1]
	s_delay_alu instid0(VALU_DEP_1) | instskip(SKIP_1) | instid1(VALU_DEP_2)
	v_pk_fma_f32 v[98:99], v[44:45], v[42:43], v[46:47] op_sel_hi:[1,0,1]
	v_pk_fma_f32 v[42:43], v[44:45], v[42:43], v[46:47] neg_lo:[0,0,1] neg_hi:[0,0,1]
	v_mov_b32_e32 v43, v99
	s_delay_alu instid0(VALU_DEP_1)
	v_pk_add_f32 v[40:41], v[40:41], v[42:43]
.LBB165_693:                            ;   in Loop: Header=BB165_3 Depth=1
	s_or_b32 exec_lo, exec_lo, s11
	s_barrier_signal -1
	s_barrier_wait -1
	;; [unrolled: 25-line block ×3, first 2 shown]
	s_and_saveexec_b32 s11, s99
; %bb.698:                              ;   in Loop: Header=BB165_3 Depth=1
	ds_store_b64 v55, v[40:41]
; %bb.699:                              ;   in Loop: Header=BB165_3 Depth=1
	s_or_b32 exec_lo, exec_lo, s11
	s_wait_dscnt 0x0
	s_barrier_signal -1
	s_barrier_wait -1
	s_barrier_signal -1
	s_barrier_wait -1
	s_and_saveexec_b32 s11, s5
; %bb.700:                              ;   in Loop: Header=BB165_3 Depth=1
	v_pk_add_f32 v[40:41], v[40:41], 0 neg_lo:[1,1] neg_hi:[1,1]
	ds_store_b64 v56, v[40:41] offset:20832
; %bb.701:                              ;   in Loop: Header=BB165_3 Depth=1
	s_or_b32 exec_lo, exec_lo, s11
	s_wait_dscnt 0x0
	s_barrier_signal -1
	s_barrier_wait -1
	s_barrier_signal -1
	s_barrier_wait -1
	s_and_saveexec_b32 s11, s100
	s_cbranch_execz .LBB165_703
; %bb.702:                              ;   in Loop: Header=BB165_3 Depth=1
	ds_load_b64 v[40:41], v63 offset:20832
	s_wait_dscnt 0x0
	ds_store_b64 v67, v[40:41] offset:22848
	ds_load_b64 v[40:41], v63 offset:20840
	s_wait_dscnt 0x0
	ds_store_b64 v67, v[40:41] offset:23360
	;; [unrolled: 3-line block ×4, first 2 shown]
.LBB165_703:                            ;   in Loop: Header=BB165_3 Depth=1
	s_or_b32 exec_lo, exec_lo, s11
	s_wait_dscnt 0x0
	s_barrier_signal -1
	s_barrier_wait -1
	s_and_saveexec_b32 s11, s10
	s_cbranch_execz .LBB165_705
; %bb.704:                              ;   in Loop: Header=BB165_3 Depth=1
	ds_load_b64 v[40:41], v3 offset:22888
	v_add_nc_u32_e64 v42, 0x160, 0
	ds_store_b64 v3, v[26:27] offset:23400
	s_wait_dscnt 0x1
	ds_store_2addr_stride64_b64 v42, v[26:27], v[40:41] offset0:44 offset1:45
.LBB165_705:                            ;   in Loop: Header=BB165_3 Depth=1
	s_or_b32 exec_lo, exec_lo, s11
	v_mov_b64_e32 v[40:41], 0
	s_wait_dscnt 0x0
	s_barrier_signal -1
	s_barrier_wait -1
	s_and_saveexec_b32 s11, s3
	s_cbranch_execz .LBB165_709
; %bb.706:                              ;   in Loop: Header=BB165_3 Depth=1
	ds_load_b64 v[40:41], v49 offset:22896
	ds_load_b64 v[42:43], v50 offset:22880
	s_wait_dscnt 0x0
	v_pk_mul_f32 v[44:45], v[42:43], v[40:41] op_sel:[1,1] op_sel_hi:[0,1]
	s_delay_alu instid0(VALU_DEP_1) | instskip(SKIP_1) | instid1(VALU_DEP_2)
	v_pk_fma_f32 v[46:47], v[42:43], v[40:41], v[44:45] op_sel_hi:[1,0,1]
	v_pk_fma_f32 v[40:41], v[42:43], v[40:41], v[44:45] neg_lo:[0,0,1] neg_hi:[0,0,1]
	v_mov_b32_e32 v41, v47
	s_delay_alu instid0(VALU_DEP_1)
	v_pk_add_f32 v[40:41], v[40:41], 0 op_sel_hi:[1,0]
	s_and_saveexec_b32 s52, s14
	s_cbranch_execz .LBB165_708
; %bb.707:                              ;   in Loop: Header=BB165_3 Depth=1
	ds_load_b64 v[42:43], v67 offset:23408
	ds_load_b64 v[44:45], v3 offset:22888
	s_wait_dscnt 0x0
	v_pk_mul_f32 v[46:47], v[44:45], v[42:43] op_sel:[1,1] op_sel_hi:[0,1]
	s_delay_alu instid0(VALU_DEP_1) | instskip(SKIP_1) | instid1(VALU_DEP_2)
	v_pk_fma_f32 v[98:99], v[44:45], v[42:43], v[46:47] op_sel_hi:[1,0,1]
	v_pk_fma_f32 v[42:43], v[44:45], v[42:43], v[46:47] neg_lo:[0,0,1] neg_hi:[0,0,1]
	v_mov_b32_e32 v43, v99
	s_delay_alu instid0(VALU_DEP_1)
	v_pk_add_f32 v[40:41], v[40:41], v[42:43]
.LBB165_708:                            ;   in Loop: Header=BB165_3 Depth=1
	s_or_b32 exec_lo, exec_lo, s52
	s_delay_alu instid0(VALU_DEP_1)
	v_pk_add_f32 v[40:41], v[40:41], 0 neg_lo:[1,1] neg_hi:[1,1]
.LBB165_709:                            ;   in Loop: Header=BB165_3 Depth=1
	s_or_b32 exec_lo, exec_lo, s11
	s_and_saveexec_b32 s11, s91
; %bb.710:                              ;   in Loop: Header=BB165_3 Depth=1
	ds_store_b64 v5, v[40:41]
; %bb.711:                              ;   in Loop: Header=BB165_3 Depth=1
	s_or_b32 exec_lo, exec_lo, s11
	s_wait_dscnt 0x0
	s_barrier_signal -1
	s_barrier_wait -1
	s_and_saveexec_b32 s11, s92
	s_cbranch_execz .LBB165_713
; %bb.712:                              ;   in Loop: Header=BB165_3 Depth=1
	ds_load_b64 v[42:43], v3 offset:23928
	ds_load_b64 v[44:45], v5
	s_wait_dscnt 0x0
	v_pk_mul_f32 v[46:47], v[44:45], v[42:43] op_sel:[1,1] op_sel_hi:[0,1]
	s_delay_alu instid0(VALU_DEP_1) | instskip(SKIP_1) | instid1(VALU_DEP_2)
	v_pk_fma_f32 v[98:99], v[44:45], v[42:43], v[46:47] op_sel_hi:[1,0,1]
	v_pk_fma_f32 v[42:43], v[44:45], v[42:43], v[46:47] neg_lo:[0,0,1] neg_hi:[0,0,1]
	v_mov_b32_e32 v43, v99
	s_delay_alu instid0(VALU_DEP_1)
	v_pk_add_f32 v[40:41], v[40:41], v[42:43]
.LBB165_713:                            ;   in Loop: Header=BB165_3 Depth=1
	s_or_b32 exec_lo, exec_lo, s11
	s_barrier_signal -1
	s_barrier_wait -1
	s_and_saveexec_b32 s11, s92
; %bb.714:                              ;   in Loop: Header=BB165_3 Depth=1
	ds_store_b64 v5, v[40:41]
; %bb.715:                              ;   in Loop: Header=BB165_3 Depth=1
	s_or_b32 exec_lo, exec_lo, s11
	s_wait_dscnt 0x0
	s_barrier_signal -1
	s_barrier_wait -1
	s_barrier_signal -1
	s_barrier_wait -1
	s_and_saveexec_b32 s11, s3
; %bb.716:                              ;   in Loop: Header=BB165_3 Depth=1
	v_pk_add_f32 v[40:41], v[40:41], 0 neg_lo:[1,1] neg_hi:[1,1]
	ds_store_b64 v49, v[40:41] offset:22896
; %bb.717:                              ;   in Loop: Header=BB165_3 Depth=1
	s_or_b32 exec_lo, exec_lo, s11
	s_wait_dscnt 0x0
	s_barrier_signal -1
	s_barrier_wait -1
	s_barrier_signal -1
	s_barrier_wait -1
	s_and_saveexec_b32 s11, s93
	s_cbranch_execz .LBB165_719
; %bb.718:                              ;   in Loop: Header=BB165_3 Depth=1
	ds_load_b64 v[40:41], v68 offset:22896
	s_wait_dscnt 0x0
	ds_store_b64 v67, v[40:41] offset:23904
	ds_load_b64 v[40:41], v68 offset:22904
	s_wait_dscnt 0x0
	ds_store_b64 v67, v[40:41] offset:24416
.LBB165_719:                            ;   in Loop: Header=BB165_3 Depth=1
	s_or_b32 exec_lo, exec_lo, s11
	s_wait_dscnt 0x0
	s_barrier_signal -1
	s_barrier_wait -1
	s_and_saveexec_b32 s11, s10
	s_cbranch_execz .LBB165_721
; %bb.720:                              ;   in Loop: Header=BB165_3 Depth=1
	ds_load_b64 v[40:41], v3 offset:23928
	v_add_nc_u32_e64 v42, 0x170, 0
	ds_store_b64 v3, v[26:27] offset:24440
	s_wait_dscnt 0x1
	ds_store_2addr_stride64_b64 v42, v[26:27], v[40:41] offset0:46 offset1:47
.LBB165_721:                            ;   in Loop: Header=BB165_3 Depth=1
	s_or_b32 exec_lo, exec_lo, s11
	v_mov_b64_e32 v[40:41], 0
	s_wait_dscnt 0x0
	s_barrier_signal -1
	s_barrier_wait -1
	s_and_saveexec_b32 s84, s7
	s_cbranch_execz .LBB165_749
; %bb.722:                              ;   in Loop: Header=BB165_3 Depth=1
	ds_load_b64 v[40:41], v76 offset:16768
	ds_load_b64 v[42:43], v72 offset:16640
	s_wait_dscnt 0x0
	v_dual_mul_f32 v44, v43, v41 :: v_dual_mul_f32 v41, v42, v41
	s_delay_alu instid0(VALU_DEP_1) | instskip(NEXT) | instid1(VALU_DEP_1)
	v_dual_fma_f32 v42, v42, v40, -v44 :: v_dual_fmac_f32 v41, v43, v40
	v_dual_add_f32 v40, 0, v42 :: v_dual_add_f32 v41, 0, v41
	s_mov_b32 s11, exec_lo
	v_readlane_b32 s52, v107, 27
	s_and_b32 s52, s11, s52
	s_delay_alu instid0(SALU_CYCLE_1)
	s_mov_b32 exec_lo, s52
	s_cbranch_execz .LBB165_724
; %bb.723:                              ;   in Loop: Header=BB165_3 Depth=1
	ds_load_b64 v[42:43], v77 offset:17280
	ds_load_b64 v[44:45], v72 offset:16648
	s_wait_dscnt 0x0
	v_dual_mul_f32 v46, v45, v43 :: v_dual_mul_f32 v43, v44, v43
	s_delay_alu instid0(VALU_DEP_1) | instskip(NEXT) | instid1(VALU_DEP_1)
	v_dual_fma_f32 v44, v44, v42, -v46 :: v_dual_fmac_f32 v43, v45, v42
	v_dual_add_f32 v40, v40, v44 :: v_dual_add_f32 v41, v41, v43
.LBB165_724:                            ;   in Loop: Header=BB165_3 Depth=1
	s_or_b32 exec_lo, exec_lo, s11
	s_delay_alu instid0(SALU_CYCLE_1) | instskip(SKIP_2) | instid1(SALU_CYCLE_1)
	s_mov_b32 s11, exec_lo
	v_readlane_b32 s52, v107, 28
	s_and_b32 s52, s11, s52
	s_mov_b32 exec_lo, s52
	s_cbranch_execz .LBB165_726
; %bb.725:                              ;   in Loop: Header=BB165_3 Depth=1
	ds_load_b64 v[42:43], v77 offset:17792
	ds_load_b64 v[44:45], v72 offset:16656
	s_wait_dscnt 0x0
	v_dual_mul_f32 v46, v45, v43 :: v_dual_mul_f32 v43, v44, v43
	s_delay_alu instid0(VALU_DEP_1) | instskip(NEXT) | instid1(VALU_DEP_1)
	v_dual_fma_f32 v44, v44, v42, -v46 :: v_dual_fmac_f32 v43, v45, v42
	v_dual_add_f32 v40, v40, v44 :: v_dual_add_f32 v41, v41, v43
.LBB165_726:                            ;   in Loop: Header=BB165_3 Depth=1
	s_or_b32 exec_lo, exec_lo, s11
	s_delay_alu instid0(SALU_CYCLE_1) | instskip(SKIP_2) | instid1(SALU_CYCLE_1)
	s_mov_b32 s11, exec_lo
	v_readlane_b32 s52, v107, 29
	s_and_b32 s52, s11, s52
	;; [unrolled: 16-line block ×10, first 2 shown]
	s_mov_b32 exec_lo, s52
	s_cbranch_execnz .LBB165_1112
; %bb.743:                              ;   in Loop: Header=BB165_3 Depth=1
	s_or_b32 exec_lo, exec_lo, s11
	s_and_saveexec_b32 s11, s6
	s_cbranch_execnz .LBB165_1113
.LBB165_744:                            ;   in Loop: Header=BB165_3 Depth=1
	s_or_b32 exec_lo, exec_lo, s11
	s_and_saveexec_b32 s11, s18
	s_cbranch_execnz .LBB165_1114
.LBB165_745:                            ;   in Loop: Header=BB165_3 Depth=1
	s_or_b32 exec_lo, exec_lo, s11
	s_and_saveexec_b32 s11, s20
	s_cbranch_execnz .LBB165_1115
.LBB165_746:                            ;   in Loop: Header=BB165_3 Depth=1
	s_or_b32 exec_lo, exec_lo, s11
	s_and_saveexec_b32 s11, s5
	s_cbranch_execz .LBB165_748
.LBB165_747:                            ;   in Loop: Header=BB165_3 Depth=1
	ds_load_b64 v[42:43], v51 offset:24448
	ds_load_b64 v[44:45], v3 offset:16760
	s_wait_dscnt 0x0
	v_dual_mul_f32 v46, v45, v43 :: v_dual_mul_f32 v47, v44, v43
	s_delay_alu instid0(VALU_DEP_1) | instskip(NEXT) | instid1(VALU_DEP_1)
	v_dual_fma_f32 v46, v44, v42, -v46 :: v_dual_fmac_f32 v47, v45, v42
	v_pk_add_f32 v[40:41], v[40:41], v[46:47]
.LBB165_748:                            ;   in Loop: Header=BB165_3 Depth=1
	s_or_b32 exec_lo, exec_lo, s11
	s_delay_alu instid0(VALU_DEP_1)
	v_pk_add_f32 v[40:41], v[40:41], 0 neg_lo:[1,1] neg_hi:[1,1]
.LBB165_749:                            ;   in Loop: Header=BB165_3 Depth=1
	s_or_b32 exec_lo, exec_lo, s84
	s_delay_alu instid0(SALU_CYCLE_1) | instskip(SKIP_2) | instid1(SALU_CYCLE_1)
	s_mov_b32 s11, exec_lo
	v_readlane_b32 s52, v107, 1
	s_and_b32 s52, s11, s52
	s_mov_b32 exec_lo, s52
; %bb.750:                              ;   in Loop: Header=BB165_3 Depth=1
	ds_store_b64 v75, v[40:41]
; %bb.751:                              ;   in Loop: Header=BB165_3 Depth=1
	s_or_b32 exec_lo, exec_lo, s11
	s_wait_dscnt 0x0
	s_barrier_signal -1
	s_barrier_wait -1
	s_mov_b32 s11, exec_lo
	v_readlane_b32 s52, v107, 2
	s_and_b32 s52, s11, s52
	s_delay_alu instid0(SALU_CYCLE_1)
	s_mov_b32 exec_lo, s52
	s_cbranch_execz .LBB165_753
; %bb.752:                              ;   in Loop: Header=BB165_3 Depth=1
	ds_load_b64 v[42:43], v74 offset:24960
	ds_load_b64 v[44:45], v75
	s_wait_dscnt 0x0
	v_pk_mul_f32 v[46:47], v[44:45], v[42:43] op_sel:[1,1] op_sel_hi:[0,1]
	s_delay_alu instid0(VALU_DEP_1) | instskip(SKIP_1) | instid1(VALU_DEP_2)
	v_pk_fma_f32 v[98:99], v[44:45], v[42:43], v[46:47] op_sel_hi:[1,0,1]
	v_pk_fma_f32 v[42:43], v[44:45], v[42:43], v[46:47] neg_lo:[0,0,1] neg_hi:[0,0,1]
	v_mov_b32_e32 v43, v99
	s_delay_alu instid0(VALU_DEP_1)
	v_pk_add_f32 v[40:41], v[40:41], v[42:43]
.LBB165_753:                            ;   in Loop: Header=BB165_3 Depth=1
	s_or_b32 exec_lo, exec_lo, s11
	s_barrier_signal -1
	s_barrier_wait -1
	s_mov_b32 s11, exec_lo
	v_readlane_b32 s52, v107, 3
	s_and_b32 s52, s11, s52
	s_delay_alu instid0(SALU_CYCLE_1)
	s_mov_b32 exec_lo, s52
; %bb.754:                              ;   in Loop: Header=BB165_3 Depth=1
	ds_store_b64 v75, v[40:41]
; %bb.755:                              ;   in Loop: Header=BB165_3 Depth=1
	s_or_b32 exec_lo, exec_lo, s11
	s_wait_dscnt 0x0
	s_barrier_signal -1
	s_barrier_wait -1
	s_mov_b32 s11, exec_lo
	v_readlane_b32 s52, v107, 4
	s_and_b32 s52, s11, s52
	s_delay_alu instid0(SALU_CYCLE_1)
	s_mov_b32 exec_lo, s52
	s_cbranch_execz .LBB165_757
; %bb.756:                              ;   in Loop: Header=BB165_3 Depth=1
	ds_load_b64 v[42:43], v74 offset:25472
	ds_load_b64 v[44:45], v75
	s_wait_dscnt 0x0
	v_pk_mul_f32 v[46:47], v[44:45], v[42:43] op_sel:[1,1] op_sel_hi:[0,1]
	s_delay_alu instid0(VALU_DEP_1) | instskip(SKIP_1) | instid1(VALU_DEP_2)
	v_pk_fma_f32 v[98:99], v[44:45], v[42:43], v[46:47] op_sel_hi:[1,0,1]
	v_pk_fma_f32 v[42:43], v[44:45], v[42:43], v[46:47] neg_lo:[0,0,1] neg_hi:[0,0,1]
	v_mov_b32_e32 v43, v99
	s_delay_alu instid0(VALU_DEP_1)
	v_pk_add_f32 v[40:41], v[40:41], v[42:43]
.LBB165_757:                            ;   in Loop: Header=BB165_3 Depth=1
	s_or_b32 exec_lo, exec_lo, s11
	s_barrier_signal -1
	s_barrier_wait -1
	s_mov_b32 s11, exec_lo
	v_readlane_b32 s52, v107, 5
	s_and_b32 s52, s11, s52
	s_delay_alu instid0(SALU_CYCLE_1)
	;; [unrolled: 33-line block ×3, first 2 shown]
	s_mov_b32 exec_lo, s52
; %bb.762:                              ;   in Loop: Header=BB165_3 Depth=1
	ds_store_b64 v75, v[40:41]
; %bb.763:                              ;   in Loop: Header=BB165_3 Depth=1
	s_or_b32 exec_lo, exec_lo, s11
	s_wait_dscnt 0x0
	s_barrier_signal -1
	s_barrier_wait -1
	s_mov_b32 s11, exec_lo
	v_readlane_b32 s52, v107, 8
	s_and_b32 s52, s11, s52
	s_delay_alu instid0(SALU_CYCLE_1)
	s_mov_b32 exec_lo, s52
	s_cbranch_execz .LBB165_765
; %bb.764:                              ;   in Loop: Header=BB165_3 Depth=1
	ds_load_b64 v[42:43], v74 offset:26496
	ds_load_b64 v[44:45], v75
	s_wait_dscnt 0x0
	v_dual_mul_f32 v46, v45, v43 :: v_dual_mul_f32 v43, v44, v43
	s_delay_alu instid0(VALU_DEP_1) | instskip(NEXT) | instid1(VALU_DEP_1)
	v_dual_fma_f32 v44, v44, v42, -v46 :: v_dual_fmac_f32 v43, v45, v42
	v_dual_add_f32 v40, v40, v44 :: v_dual_add_f32 v41, v41, v43
.LBB165_765:                            ;   in Loop: Header=BB165_3 Depth=1
	s_or_b32 exec_lo, exec_lo, s11
	s_barrier_signal -1
	s_barrier_wait -1
	s_mov_b32 s11, exec_lo
	v_readlane_b32 s52, v107, 9
	s_and_b32 s52, s11, s52
	s_delay_alu instid0(SALU_CYCLE_1)
	s_mov_b32 exec_lo, s52
; %bb.766:                              ;   in Loop: Header=BB165_3 Depth=1
	ds_store_b64 v75, v[40:41]
; %bb.767:                              ;   in Loop: Header=BB165_3 Depth=1
	s_or_b32 exec_lo, exec_lo, s11
	s_wait_dscnt 0x0
	s_barrier_signal -1
	s_barrier_wait -1
	s_and_saveexec_b32 s11, s57
	s_cbranch_execz .LBB165_769
; %bb.768:                              ;   in Loop: Header=BB165_3 Depth=1
	ds_load_b64 v[42:43], v74 offset:27008
	ds_load_b64 v[44:45], v75
	s_wait_dscnt 0x0
	v_dual_mul_f32 v46, v45, v43 :: v_dual_mul_f32 v47, v44, v43
	s_delay_alu instid0(VALU_DEP_1) | instskip(NEXT) | instid1(VALU_DEP_1)
	v_dual_fma_f32 v46, v44, v42, -v46 :: v_dual_fmac_f32 v47, v45, v42
	v_pk_add_f32 v[40:41], v[40:41], v[46:47]
.LBB165_769:                            ;   in Loop: Header=BB165_3 Depth=1
	s_or_b32 exec_lo, exec_lo, s11
	s_barrier_signal -1
	s_barrier_wait -1
	s_and_saveexec_b32 s11, s58
; %bb.770:                              ;   in Loop: Header=BB165_3 Depth=1
	ds_store_b64 v75, v[40:41]
; %bb.771:                              ;   in Loop: Header=BB165_3 Depth=1
	s_or_b32 exec_lo, exec_lo, s11
	s_wait_dscnt 0x0
	s_barrier_signal -1
	s_barrier_wait -1
	s_and_saveexec_b32 s11, s59
	s_cbranch_execz .LBB165_773
; %bb.772:                              ;   in Loop: Header=BB165_3 Depth=1
	ds_load_b64 v[42:43], v74 offset:27520
	ds_load_b64 v[44:45], v75
	s_wait_dscnt 0x0
	v_pk_mul_f32 v[46:47], v[44:45], v[42:43] op_sel:[1,1] op_sel_hi:[0,1]
	s_delay_alu instid0(VALU_DEP_1) | instskip(SKIP_1) | instid1(VALU_DEP_2)
	v_pk_fma_f32 v[98:99], v[44:45], v[42:43], v[46:47] op_sel_hi:[1,0,1]
	v_pk_fma_f32 v[42:43], v[44:45], v[42:43], v[46:47] neg_lo:[0,0,1] neg_hi:[0,0,1]
	v_mov_b32_e32 v43, v99
	s_delay_alu instid0(VALU_DEP_1)
	v_pk_add_f32 v[40:41], v[40:41], v[42:43]
.LBB165_773:                            ;   in Loop: Header=BB165_3 Depth=1
	s_or_b32 exec_lo, exec_lo, s11
	s_barrier_signal -1
	s_barrier_wait -1
	s_and_saveexec_b32 s11, s60
; %bb.774:                              ;   in Loop: Header=BB165_3 Depth=1
	ds_store_b64 v75, v[40:41]
; %bb.775:                              ;   in Loop: Header=BB165_3 Depth=1
	s_or_b32 exec_lo, exec_lo, s11
	s_wait_dscnt 0x0
	s_barrier_signal -1
	s_barrier_wait -1
	s_and_saveexec_b32 s11, s22
	s_cbranch_execz .LBB165_777
; %bb.776:                              ;   in Loop: Header=BB165_3 Depth=1
	ds_load_b64 v[42:43], v74 offset:28032
	ds_load_b64 v[44:45], v75
	s_wait_dscnt 0x0
	v_pk_mul_f32 v[46:47], v[44:45], v[42:43] op_sel:[1,1] op_sel_hi:[0,1]
	s_delay_alu instid0(VALU_DEP_1) | instskip(SKIP_1) | instid1(VALU_DEP_2)
	v_pk_fma_f32 v[98:99], v[44:45], v[42:43], v[46:47] op_sel_hi:[1,0,1]
	v_pk_fma_f32 v[42:43], v[44:45], v[42:43], v[46:47] neg_lo:[0,0,1] neg_hi:[0,0,1]
	v_mov_b32_e32 v43, v99
	s_delay_alu instid0(VALU_DEP_1)
	v_pk_add_f32 v[40:41], v[40:41], v[42:43]
.LBB165_777:                            ;   in Loop: Header=BB165_3 Depth=1
	s_or_b32 exec_lo, exec_lo, s11
	s_barrier_signal -1
	s_barrier_wait -1
	s_and_saveexec_b32 s11, s24
; %bb.778:                              ;   in Loop: Header=BB165_3 Depth=1
	ds_store_b64 v75, v[40:41]
; %bb.779:                              ;   in Loop: Header=BB165_3 Depth=1
	s_or_b32 exec_lo, exec_lo, s11
	s_wait_dscnt 0x0
	s_barrier_signal -1
	s_barrier_wait -1
	s_and_saveexec_b32 s11, s26
	s_cbranch_execz .LBB165_781
; %bb.780:                              ;   in Loop: Header=BB165_3 Depth=1
	ds_load_b64 v[42:43], v74 offset:28544
	ds_load_b64 v[44:45], v75
	s_wait_dscnt 0x0
	v_pk_mul_f32 v[46:47], v[44:45], v[42:43] op_sel:[1,1] op_sel_hi:[0,1]
	s_delay_alu instid0(VALU_DEP_1) | instskip(SKIP_1) | instid1(VALU_DEP_2)
	v_pk_fma_f32 v[98:99], v[44:45], v[42:43], v[46:47] op_sel_hi:[1,0,1]
	v_pk_fma_f32 v[42:43], v[44:45], v[42:43], v[46:47] neg_lo:[0,0,1] neg_hi:[0,0,1]
	v_mov_b32_e32 v43, v99
	s_delay_alu instid0(VALU_DEP_1)
	v_pk_add_f32 v[40:41], v[40:41], v[42:43]
.LBB165_781:                            ;   in Loop: Header=BB165_3 Depth=1
	s_or_b32 exec_lo, exec_lo, s11
	s_barrier_signal -1
	s_barrier_wait -1
	s_and_saveexec_b32 s11, s28
; %bb.782:                              ;   in Loop: Header=BB165_3 Depth=1
	ds_store_b64 v75, v[40:41]
; %bb.783:                              ;   in Loop: Header=BB165_3 Depth=1
	s_or_b32 exec_lo, exec_lo, s11
	s_wait_dscnt 0x0
	s_barrier_signal -1
	s_barrier_wait -1
	s_and_saveexec_b32 s11, s30
	s_cbranch_execz .LBB165_785
; %bb.784:                              ;   in Loop: Header=BB165_3 Depth=1
	ds_load_b64 v[42:43], v74 offset:29056
	ds_load_b64 v[44:45], v75
	s_wait_dscnt 0x0
	v_pk_mul_f32 v[46:47], v[44:45], v[42:43] op_sel:[1,1] op_sel_hi:[0,1]
	s_delay_alu instid0(VALU_DEP_1) | instskip(SKIP_1) | instid1(VALU_DEP_2)
	v_pk_fma_f32 v[98:99], v[44:45], v[42:43], v[46:47] op_sel_hi:[1,0,1]
	v_pk_fma_f32 v[42:43], v[44:45], v[42:43], v[46:47] neg_lo:[0,0,1] neg_hi:[0,0,1]
	v_mov_b32_e32 v43, v99
	s_delay_alu instid0(VALU_DEP_1)
	v_pk_add_f32 v[40:41], v[40:41], v[42:43]
.LBB165_785:                            ;   in Loop: Header=BB165_3 Depth=1
	s_or_b32 exec_lo, exec_lo, s11
	s_barrier_signal -1
	s_barrier_wait -1
	s_and_saveexec_b32 s11, s33
; %bb.786:                              ;   in Loop: Header=BB165_3 Depth=1
	ds_store_b64 v75, v[40:41]
; %bb.787:                              ;   in Loop: Header=BB165_3 Depth=1
	s_or_b32 exec_lo, exec_lo, s11
	s_wait_dscnt 0x0
	s_barrier_signal -1
	s_barrier_wait -1
	s_and_saveexec_b32 s11, s41
	s_cbranch_execz .LBB165_789
; %bb.788:                              ;   in Loop: Header=BB165_3 Depth=1
	ds_load_b64 v[42:43], v74 offset:29568
	ds_load_b64 v[44:45], v75
	s_wait_dscnt 0x0
	v_dual_mul_f32 v46, v45, v43 :: v_dual_mul_f32 v43, v44, v43
	s_delay_alu instid0(VALU_DEP_1) | instskip(NEXT) | instid1(VALU_DEP_1)
	v_dual_fma_f32 v44, v44, v42, -v46 :: v_dual_fmac_f32 v43, v45, v42
	v_dual_add_f32 v40, v40, v44 :: v_dual_add_f32 v41, v41, v43
.LBB165_789:                            ;   in Loop: Header=BB165_3 Depth=1
	s_or_b32 exec_lo, exec_lo, s11
	s_barrier_signal -1
	s_barrier_wait -1
	s_and_saveexec_b32 s11, s80
; %bb.790:                              ;   in Loop: Header=BB165_3 Depth=1
	ds_store_b64 v75, v[40:41]
; %bb.791:                              ;   in Loop: Header=BB165_3 Depth=1
	s_or_b32 exec_lo, exec_lo, s11
	s_wait_dscnt 0x0
	s_barrier_signal -1
	s_barrier_wait -1
	s_and_saveexec_b32 s11, s81
	s_cbranch_execz .LBB165_793
; %bb.792:                              ;   in Loop: Header=BB165_3 Depth=1
	ds_load_b64 v[42:43], v74 offset:30080
	ds_load_b64 v[44:45], v75
	s_wait_dscnt 0x0
	v_dual_mul_f32 v46, v45, v43 :: v_dual_mul_f32 v47, v44, v43
	s_delay_alu instid0(VALU_DEP_1) | instskip(NEXT) | instid1(VALU_DEP_1)
	v_dual_fma_f32 v46, v44, v42, -v46 :: v_dual_fmac_f32 v47, v45, v42
	v_pk_add_f32 v[40:41], v[40:41], v[46:47]
.LBB165_793:                            ;   in Loop: Header=BB165_3 Depth=1
	s_or_b32 exec_lo, exec_lo, s11
	s_barrier_signal -1
	s_barrier_wait -1
	s_and_saveexec_b32 s11, s74
; %bb.794:                              ;   in Loop: Header=BB165_3 Depth=1
	ds_store_b64 v75, v[40:41]
; %bb.795:                              ;   in Loop: Header=BB165_3 Depth=1
	s_or_b32 exec_lo, exec_lo, s11
	s_wait_dscnt 0x0
	s_barrier_signal -1
	s_barrier_wait -1
	s_and_saveexec_b32 s11, s75
	s_cbranch_execz .LBB165_797
; %bb.796:                              ;   in Loop: Header=BB165_3 Depth=1
	ds_load_b64 v[42:43], v74 offset:30592
	ds_load_b64 v[44:45], v75
	s_wait_dscnt 0x0
	v_pk_mul_f32 v[46:47], v[44:45], v[42:43] op_sel:[1,1] op_sel_hi:[0,1]
	s_delay_alu instid0(VALU_DEP_1) | instskip(SKIP_1) | instid1(VALU_DEP_2)
	v_pk_fma_f32 v[98:99], v[44:45], v[42:43], v[46:47] op_sel_hi:[1,0,1]
	v_pk_fma_f32 v[42:43], v[44:45], v[42:43], v[46:47] neg_lo:[0,0,1] neg_hi:[0,0,1]
	v_mov_b32_e32 v43, v99
	s_delay_alu instid0(VALU_DEP_1)
	v_pk_add_f32 v[40:41], v[40:41], v[42:43]
.LBB165_797:                            ;   in Loop: Header=BB165_3 Depth=1
	s_or_b32 exec_lo, exec_lo, s11
	s_barrier_signal -1
	s_barrier_wait -1
	s_and_saveexec_b32 s11, s23
; %bb.798:                              ;   in Loop: Header=BB165_3 Depth=1
	ds_store_b64 v75, v[40:41]
; %bb.799:                              ;   in Loop: Header=BB165_3 Depth=1
	s_or_b32 exec_lo, exec_lo, s11
	s_wait_dscnt 0x0
	s_barrier_signal -1
	s_barrier_wait -1
	s_and_saveexec_b32 s11, s25
	s_cbranch_execz .LBB165_801
; %bb.800:                              ;   in Loop: Header=BB165_3 Depth=1
	ds_load_b64 v[42:43], v74 offset:31104
	ds_load_b64 v[44:45], v75
	s_wait_dscnt 0x0
	v_pk_mul_f32 v[46:47], v[44:45], v[42:43] op_sel:[1,1] op_sel_hi:[0,1]
	s_delay_alu instid0(VALU_DEP_1) | instskip(SKIP_1) | instid1(VALU_DEP_2)
	v_pk_fma_f32 v[98:99], v[44:45], v[42:43], v[46:47] op_sel_hi:[1,0,1]
	v_pk_fma_f32 v[42:43], v[44:45], v[42:43], v[46:47] neg_lo:[0,0,1] neg_hi:[0,0,1]
	v_mov_b32_e32 v43, v99
	s_delay_alu instid0(VALU_DEP_1)
	v_pk_add_f32 v[40:41], v[40:41], v[42:43]
.LBB165_801:                            ;   in Loop: Header=BB165_3 Depth=1
	;; [unrolled: 25-line block ×4, first 2 shown]
	s_or_b32 exec_lo, exec_lo, s11
	s_barrier_signal -1
	s_barrier_wait -1
	s_and_saveexec_b32 s11, s89
; %bb.810:                              ;   in Loop: Header=BB165_3 Depth=1
	ds_store_b64 v75, v[40:41]
; %bb.811:                              ;   in Loop: Header=BB165_3 Depth=1
	s_or_b32 exec_lo, exec_lo, s11
	s_wait_dscnt 0x0
	s_barrier_signal -1
	s_barrier_wait -1
	s_barrier_signal -1
	s_barrier_wait -1
	s_and_saveexec_b32 s11, s7
; %bb.812:                              ;   in Loop: Header=BB165_3 Depth=1
	v_pk_add_f32 v[40:41], v[40:41], 0 neg_lo:[1,1] neg_hi:[1,1]
	ds_store_b64 v76, v[40:41] offset:16768
; %bb.813:                              ;   in Loop: Header=BB165_3 Depth=1
	s_or_b32 exec_lo, exec_lo, s11
	s_wait_dscnt 0x0
	s_barrier_signal -1
	s_barrier_wait -1
	s_barrier_signal -1
	s_barrier_wait -1
	s_and_saveexec_b32 s11, s48
	s_cbranch_execz .LBB165_815
; %bb.814:                              ;   in Loop: Header=BB165_3 Depth=1
	ds_load_b64 v[40:41], v54 offset:16768
	s_wait_dscnt 0x0
	ds_store_b64 v58, v[40:41] offset:24832
	ds_load_b64 v[40:41], v54 offset:16776
	s_wait_dscnt 0x0
	ds_store_b64 v58, v[40:41] offset:25344
	ds_load_b64 v[40:41], v54 offset:16784
	s_wait_dscnt 0x0
	ds_store_b64 v58, v[40:41] offset:25856
	ds_load_b64 v[40:41], v54 offset:16792
	s_wait_dscnt 0x0
	ds_store_b64 v58, v[40:41] offset:26368
	ds_load_b64 v[40:41], v54 offset:16800
	s_wait_dscnt 0x0
	ds_store_b64 v58, v[40:41] offset:26880
	ds_load_b64 v[40:41], v54 offset:16808
	s_wait_dscnt 0x0
	ds_store_b64 v58, v[40:41] offset:27392
	ds_load_b64 v[40:41], v54 offset:16816
	s_wait_dscnt 0x0
	ds_store_b64 v58, v[40:41] offset:27904
	ds_load_b64 v[40:41], v54 offset:16824
	s_wait_dscnt 0x0
	ds_store_b64 v58, v[40:41] offset:28416
	ds_load_b64 v[40:41], v54 offset:16832
	s_wait_dscnt 0x0
	ds_store_b64 v58, v[40:41] offset:28928
	ds_load_b64 v[40:41], v54 offset:16840
	s_wait_dscnt 0x0
	ds_store_b64 v58, v[40:41] offset:29440
	ds_load_b64 v[40:41], v54 offset:16848
	s_wait_dscnt 0x0
	ds_store_b64 v58, v[40:41] offset:29952
	ds_load_b64 v[40:41], v54 offset:16856
	s_wait_dscnt 0x0
	ds_store_b64 v58, v[40:41] offset:30464
	ds_load_b64 v[40:41], v54 offset:16864
	s_wait_dscnt 0x0
	ds_store_b64 v58, v[40:41] offset:30976
	ds_load_b64 v[40:41], v54 offset:16872
	s_wait_dscnt 0x0
	ds_store_b64 v58, v[40:41] offset:31488
	ds_load_b64 v[40:41], v54 offset:16880
	s_wait_dscnt 0x0
	ds_store_b64 v58, v[40:41] offset:32000
	ds_load_b64 v[40:41], v54 offset:16888
	s_wait_dscnt 0x0
	ds_store_b64 v58, v[40:41] offset:32512
.LBB165_815:                            ;   in Loop: Header=BB165_3 Depth=1
	s_or_b32 exec_lo, exec_lo, s11
	s_wait_dscnt 0x0
	s_barrier_signal -1
	s_barrier_wait -1
	s_and_saveexec_b32 s11, s10
	s_cbranch_execz .LBB165_817
; %bb.816:                              ;   in Loop: Header=BB165_3 Depth=1
	ds_load_b64 v[40:41], v3 offset:24968
	v_add_nc_u32_e64 v42, 0x180, 0
	ds_store_b64 v3, v[26:27] offset:25480
	s_wait_dscnt 0x1
	ds_store_2addr_stride64_b64 v42, v[26:27], v[40:41] offset0:48 offset1:49
.LBB165_817:                            ;   in Loop: Header=BB165_3 Depth=1
	s_or_b32 exec_lo, exec_lo, s11
	v_mov_b64_e32 v[40:41], 0
	s_wait_dscnt 0x0
	s_barrier_signal -1
	s_barrier_wait -1
	s_and_saveexec_b32 s11, s3
	s_cbranch_execz .LBB165_821
; %bb.818:                              ;   in Loop: Header=BB165_3 Depth=1
	ds_load_b64 v[40:41], v49 offset:24976
	ds_load_b64 v[42:43], v50 offset:24960
	s_wait_dscnt 0x0
	v_pk_mul_f32 v[44:45], v[42:43], v[40:41] op_sel:[1,1] op_sel_hi:[0,1]
	s_delay_alu instid0(VALU_DEP_1) | instskip(SKIP_1) | instid1(VALU_DEP_2)
	v_pk_fma_f32 v[46:47], v[42:43], v[40:41], v[44:45] op_sel_hi:[1,0,1]
	v_pk_fma_f32 v[40:41], v[42:43], v[40:41], v[44:45] neg_lo:[0,0,1] neg_hi:[0,0,1]
	v_mov_b32_e32 v41, v47
	s_delay_alu instid0(VALU_DEP_1)
	v_pk_add_f32 v[40:41], v[40:41], 0 op_sel_hi:[1,0]
	s_and_saveexec_b32 s52, s14
	s_cbranch_execz .LBB165_820
; %bb.819:                              ;   in Loop: Header=BB165_3 Depth=1
	ds_load_b64 v[42:43], v51 offset:25488
	ds_load_b64 v[44:45], v3 offset:24968
	s_wait_dscnt 0x0
	v_pk_mul_f32 v[46:47], v[44:45], v[42:43] op_sel:[1,1] op_sel_hi:[0,1]
	s_delay_alu instid0(VALU_DEP_1) | instskip(SKIP_1) | instid1(VALU_DEP_2)
	v_pk_fma_f32 v[98:99], v[44:45], v[42:43], v[46:47] op_sel_hi:[1,0,1]
	v_pk_fma_f32 v[42:43], v[44:45], v[42:43], v[46:47] neg_lo:[0,0,1] neg_hi:[0,0,1]
	v_mov_b32_e32 v43, v99
	s_delay_alu instid0(VALU_DEP_1)
	v_pk_add_f32 v[40:41], v[40:41], v[42:43]
.LBB165_820:                            ;   in Loop: Header=BB165_3 Depth=1
	s_or_b32 exec_lo, exec_lo, s52
	s_delay_alu instid0(VALU_DEP_1)
	v_pk_add_f32 v[40:41], v[40:41], 0 neg_lo:[1,1] neg_hi:[1,1]
.LBB165_821:                            ;   in Loop: Header=BB165_3 Depth=1
	s_or_b32 exec_lo, exec_lo, s11
	s_and_saveexec_b32 s11, s91
; %bb.822:                              ;   in Loop: Header=BB165_3 Depth=1
	ds_store_b64 v5, v[40:41]
; %bb.823:                              ;   in Loop: Header=BB165_3 Depth=1
	s_or_b32 exec_lo, exec_lo, s11
	s_wait_dscnt 0x0
	s_barrier_signal -1
	s_barrier_wait -1
	s_and_saveexec_b32 s11, s92
	s_cbranch_execz .LBB165_825
; %bb.824:                              ;   in Loop: Header=BB165_3 Depth=1
	ds_load_b64 v[42:43], v3 offset:26008
	ds_load_b64 v[44:45], v5
	s_wait_dscnt 0x0
	v_pk_mul_f32 v[46:47], v[44:45], v[42:43] op_sel:[1,1] op_sel_hi:[0,1]
	s_delay_alu instid0(VALU_DEP_1) | instskip(SKIP_1) | instid1(VALU_DEP_2)
	v_pk_fma_f32 v[98:99], v[44:45], v[42:43], v[46:47] op_sel_hi:[1,0,1]
	v_pk_fma_f32 v[42:43], v[44:45], v[42:43], v[46:47] neg_lo:[0,0,1] neg_hi:[0,0,1]
	v_mov_b32_e32 v43, v99
	s_delay_alu instid0(VALU_DEP_1)
	v_pk_add_f32 v[40:41], v[40:41], v[42:43]
.LBB165_825:                            ;   in Loop: Header=BB165_3 Depth=1
	s_or_b32 exec_lo, exec_lo, s11
	s_barrier_signal -1
	s_barrier_wait -1
	s_and_saveexec_b32 s11, s92
; %bb.826:                              ;   in Loop: Header=BB165_3 Depth=1
	ds_store_b64 v5, v[40:41]
; %bb.827:                              ;   in Loop: Header=BB165_3 Depth=1
	s_or_b32 exec_lo, exec_lo, s11
	s_wait_dscnt 0x0
	s_barrier_signal -1
	s_barrier_wait -1
	s_barrier_signal -1
	s_barrier_wait -1
	s_and_saveexec_b32 s11, s3
; %bb.828:                              ;   in Loop: Header=BB165_3 Depth=1
	v_pk_add_f32 v[40:41], v[40:41], 0 neg_lo:[1,1] neg_hi:[1,1]
	ds_store_b64 v49, v[40:41] offset:24976
; %bb.829:                              ;   in Loop: Header=BB165_3 Depth=1
	s_or_b32 exec_lo, exec_lo, s11
	s_wait_dscnt 0x0
	s_barrier_signal -1
	s_barrier_wait -1
	s_barrier_signal -1
	s_barrier_wait -1
	s_and_saveexec_b32 s11, s93
	s_cbranch_execz .LBB165_831
; %bb.830:                              ;   in Loop: Header=BB165_3 Depth=1
	ds_load_b64 v[40:41], v54 offset:24976
	s_wait_dscnt 0x0
	ds_store_b64 v51, v[40:41] offset:25984
	ds_load_b64 v[40:41], v54 offset:24984
	s_wait_dscnt 0x0
	ds_store_b64 v51, v[40:41] offset:26496
.LBB165_831:                            ;   in Loop: Header=BB165_3 Depth=1
	s_or_b32 exec_lo, exec_lo, s11
	s_wait_dscnt 0x0
	s_barrier_signal -1
	s_barrier_wait -1
	s_and_saveexec_b32 s11, s10
	s_cbranch_execz .LBB165_833
; %bb.832:                              ;   in Loop: Header=BB165_3 Depth=1
	ds_load_b64 v[40:41], v3 offset:26008
	v_add_nc_u32_e64 v42, 0x190, 0
	ds_store_b64 v3, v[26:27] offset:26520
	s_wait_dscnt 0x1
	ds_store_2addr_stride64_b64 v42, v[26:27], v[40:41] offset0:50 offset1:51
.LBB165_833:                            ;   in Loop: Header=BB165_3 Depth=1
	s_or_b32 exec_lo, exec_lo, s11
	v_mov_b64_e32 v[40:41], 0
	s_wait_dscnt 0x0
	s_barrier_signal -1
	s_barrier_wait -1
	s_and_saveexec_b32 s11, s5
	s_cbranch_execz .LBB165_839
; %bb.834:                              ;   in Loop: Header=BB165_3 Depth=1
	ds_load_b64 v[40:41], v56 offset:24992
	ds_load_b64 v[42:43], v52 offset:24960
	s_wait_dscnt 0x0
	v_dual_mul_f32 v44, v43, v41 :: v_dual_mul_f32 v41, v42, v41
	s_delay_alu instid0(VALU_DEP_1) | instskip(NEXT) | instid1(VALU_DEP_1)
	v_dual_fma_f32 v42, v42, v40, -v44 :: v_dual_fmac_f32 v41, v43, v40
	v_dual_add_f32 v40, 0, v42 :: v_dual_add_f32 v41, 0, v41
	s_and_saveexec_b32 s52, s15
	s_cbranch_execnz .LBB165_1116
; %bb.835:                              ;   in Loop: Header=BB165_3 Depth=1
	s_or_b32 exec_lo, exec_lo, s52
	s_and_saveexec_b32 s52, s16
	s_cbranch_execnz .LBB165_1117
.LBB165_836:                            ;   in Loop: Header=BB165_3 Depth=1
	s_or_b32 exec_lo, exec_lo, s52
	s_and_saveexec_b32 s52, s3
	s_cbranch_execz .LBB165_838
.LBB165_837:                            ;   in Loop: Header=BB165_3 Depth=1
	ds_load_b64 v[42:43], v58 offset:26528
	ds_load_b64 v[44:45], v3 offset:24984
	s_wait_dscnt 0x0
	v_dual_mul_f32 v46, v45, v43 :: v_dual_mul_f32 v47, v44, v43
	s_delay_alu instid0(VALU_DEP_1) | instskip(NEXT) | instid1(VALU_DEP_1)
	v_dual_fma_f32 v46, v44, v42, -v46 :: v_dual_fmac_f32 v47, v45, v42
	v_pk_add_f32 v[40:41], v[40:41], v[46:47]
.LBB165_838:                            ;   in Loop: Header=BB165_3 Depth=1
	s_or_b32 exec_lo, exec_lo, s52
	s_delay_alu instid0(VALU_DEP_1)
	v_pk_add_f32 v[40:41], v[40:41], 0 neg_lo:[1,1] neg_hi:[1,1]
.LBB165_839:                            ;   in Loop: Header=BB165_3 Depth=1
	s_or_b32 exec_lo, exec_lo, s11
	s_and_saveexec_b32 s11, s94
; %bb.840:                              ;   in Loop: Header=BB165_3 Depth=1
	ds_store_b64 v55, v[40:41]
; %bb.841:                              ;   in Loop: Header=BB165_3 Depth=1
	s_or_b32 exec_lo, exec_lo, s11
	s_wait_dscnt 0x0
	s_barrier_signal -1
	s_barrier_wait -1
	s_and_saveexec_b32 s11, s95
	s_cbranch_execz .LBB165_843
; %bb.842:                              ;   in Loop: Header=BB165_3 Depth=1
	ds_load_b64 v[42:43], v53 offset:27040
	ds_load_b64 v[44:45], v55
	s_wait_dscnt 0x0
	v_pk_mul_f32 v[46:47], v[44:45], v[42:43] op_sel:[1,1] op_sel_hi:[0,1]
	s_delay_alu instid0(VALU_DEP_1) | instskip(SKIP_1) | instid1(VALU_DEP_2)
	v_pk_fma_f32 v[98:99], v[44:45], v[42:43], v[46:47] op_sel_hi:[1,0,1]
	v_pk_fma_f32 v[42:43], v[44:45], v[42:43], v[46:47] neg_lo:[0,0,1] neg_hi:[0,0,1]
	v_mov_b32_e32 v43, v99
	s_delay_alu instid0(VALU_DEP_1)
	v_pk_add_f32 v[40:41], v[40:41], v[42:43]
.LBB165_843:                            ;   in Loop: Header=BB165_3 Depth=1
	s_or_b32 exec_lo, exec_lo, s11
	s_barrier_signal -1
	s_barrier_wait -1
	s_and_saveexec_b32 s11, s96
; %bb.844:                              ;   in Loop: Header=BB165_3 Depth=1
	ds_store_b64 v55, v[40:41]
; %bb.845:                              ;   in Loop: Header=BB165_3 Depth=1
	s_or_b32 exec_lo, exec_lo, s11
	s_wait_dscnt 0x0
	s_barrier_signal -1
	s_barrier_wait -1
	s_and_saveexec_b32 s11, s97
	s_cbranch_execz .LBB165_847
; %bb.846:                              ;   in Loop: Header=BB165_3 Depth=1
	ds_load_b64 v[42:43], v53 offset:27552
	ds_load_b64 v[44:45], v55
	s_wait_dscnt 0x0
	v_pk_mul_f32 v[46:47], v[44:45], v[42:43] op_sel:[1,1] op_sel_hi:[0,1]
	s_delay_alu instid0(VALU_DEP_1) | instskip(SKIP_1) | instid1(VALU_DEP_2)
	v_pk_fma_f32 v[98:99], v[44:45], v[42:43], v[46:47] op_sel_hi:[1,0,1]
	v_pk_fma_f32 v[42:43], v[44:45], v[42:43], v[46:47] neg_lo:[0,0,1] neg_hi:[0,0,1]
	v_mov_b32_e32 v43, v99
	s_delay_alu instid0(VALU_DEP_1)
	v_pk_add_f32 v[40:41], v[40:41], v[42:43]
.LBB165_847:                            ;   in Loop: Header=BB165_3 Depth=1
	s_or_b32 exec_lo, exec_lo, s11
	s_barrier_signal -1
	s_barrier_wait -1
	;; [unrolled: 25-line block ×3, first 2 shown]
	s_and_saveexec_b32 s11, s99
; %bb.852:                              ;   in Loop: Header=BB165_3 Depth=1
	ds_store_b64 v55, v[40:41]
; %bb.853:                              ;   in Loop: Header=BB165_3 Depth=1
	s_or_b32 exec_lo, exec_lo, s11
	s_wait_dscnt 0x0
	s_barrier_signal -1
	s_barrier_wait -1
	s_barrier_signal -1
	s_barrier_wait -1
	s_and_saveexec_b32 s11, s5
; %bb.854:                              ;   in Loop: Header=BB165_3 Depth=1
	v_pk_add_f32 v[40:41], v[40:41], 0 neg_lo:[1,1] neg_hi:[1,1]
	ds_store_b64 v56, v[40:41] offset:24992
; %bb.855:                              ;   in Loop: Header=BB165_3 Depth=1
	s_or_b32 exec_lo, exec_lo, s11
	s_wait_dscnt 0x0
	s_barrier_signal -1
	s_barrier_wait -1
	s_barrier_signal -1
	s_barrier_wait -1
	s_and_saveexec_b32 s11, s100
	s_cbranch_execz .LBB165_857
; %bb.856:                              ;   in Loop: Header=BB165_3 Depth=1
	ds_load_b64 v[40:41], v59 offset:24992
	s_wait_dscnt 0x0
	ds_store_b64 v60, v[40:41] offset:27008
	ds_load_b64 v[40:41], v59 offset:25000
	s_wait_dscnt 0x0
	ds_store_b64 v60, v[40:41] offset:27520
	;; [unrolled: 3-line block ×4, first 2 shown]
.LBB165_857:                            ;   in Loop: Header=BB165_3 Depth=1
	s_or_b32 exec_lo, exec_lo, s11
	s_wait_dscnt 0x0
	s_barrier_signal -1
	s_barrier_wait -1
	s_and_saveexec_b32 s11, s10
	s_cbranch_execz .LBB165_859
; %bb.858:                              ;   in Loop: Header=BB165_3 Depth=1
	ds_load_b64 v[40:41], v3 offset:27048
	v_add_nc_u32_e64 v42, 0x1a0, 0
	ds_store_b64 v3, v[26:27] offset:27560
	s_wait_dscnt 0x1
	ds_store_2addr_stride64_b64 v42, v[26:27], v[40:41] offset0:52 offset1:53
.LBB165_859:                            ;   in Loop: Header=BB165_3 Depth=1
	s_or_b32 exec_lo, exec_lo, s11
	v_mov_b64_e32 v[40:41], 0
	s_wait_dscnt 0x0
	s_barrier_signal -1
	s_barrier_wait -1
	s_and_saveexec_b32 s11, s3
	s_cbranch_execz .LBB165_863
; %bb.860:                              ;   in Loop: Header=BB165_3 Depth=1
	ds_load_b64 v[40:41], v49 offset:27056
	ds_load_b64 v[42:43], v50 offset:27040
	s_wait_dscnt 0x0
	v_pk_mul_f32 v[44:45], v[42:43], v[40:41] op_sel:[1,1] op_sel_hi:[0,1]
	s_delay_alu instid0(VALU_DEP_1) | instskip(SKIP_1) | instid1(VALU_DEP_2)
	v_pk_fma_f32 v[46:47], v[42:43], v[40:41], v[44:45] op_sel_hi:[1,0,1]
	v_pk_fma_f32 v[40:41], v[42:43], v[40:41], v[44:45] neg_lo:[0,0,1] neg_hi:[0,0,1]
	v_mov_b32_e32 v41, v47
	s_delay_alu instid0(VALU_DEP_1)
	v_pk_add_f32 v[40:41], v[40:41], 0 op_sel_hi:[1,0]
	s_and_saveexec_b32 s52, s14
	s_cbranch_execz .LBB165_862
; %bb.861:                              ;   in Loop: Header=BB165_3 Depth=1
	ds_load_b64 v[42:43], v60 offset:27568
	ds_load_b64 v[44:45], v3 offset:27048
	s_wait_dscnt 0x0
	v_pk_mul_f32 v[46:47], v[44:45], v[42:43] op_sel:[1,1] op_sel_hi:[0,1]
	s_delay_alu instid0(VALU_DEP_1) | instskip(SKIP_1) | instid1(VALU_DEP_2)
	v_pk_fma_f32 v[98:99], v[44:45], v[42:43], v[46:47] op_sel_hi:[1,0,1]
	v_pk_fma_f32 v[42:43], v[44:45], v[42:43], v[46:47] neg_lo:[0,0,1] neg_hi:[0,0,1]
	v_mov_b32_e32 v43, v99
	s_delay_alu instid0(VALU_DEP_1)
	v_pk_add_f32 v[40:41], v[40:41], v[42:43]
.LBB165_862:                            ;   in Loop: Header=BB165_3 Depth=1
	s_or_b32 exec_lo, exec_lo, s52
	s_delay_alu instid0(VALU_DEP_1)
	v_pk_add_f32 v[40:41], v[40:41], 0 neg_lo:[1,1] neg_hi:[1,1]
.LBB165_863:                            ;   in Loop: Header=BB165_3 Depth=1
	s_or_b32 exec_lo, exec_lo, s11
	s_and_saveexec_b32 s11, s91
; %bb.864:                              ;   in Loop: Header=BB165_3 Depth=1
	ds_store_b64 v5, v[40:41]
; %bb.865:                              ;   in Loop: Header=BB165_3 Depth=1
	s_or_b32 exec_lo, exec_lo, s11
	s_wait_dscnt 0x0
	s_barrier_signal -1
	s_barrier_wait -1
	s_and_saveexec_b32 s11, s92
	s_cbranch_execz .LBB165_867
; %bb.866:                              ;   in Loop: Header=BB165_3 Depth=1
	ds_load_b64 v[42:43], v3 offset:28088
	ds_load_b64 v[44:45], v5
	s_wait_dscnt 0x0
	v_pk_mul_f32 v[46:47], v[44:45], v[42:43] op_sel:[1,1] op_sel_hi:[0,1]
	s_delay_alu instid0(VALU_DEP_1) | instskip(SKIP_1) | instid1(VALU_DEP_2)
	v_pk_fma_f32 v[98:99], v[44:45], v[42:43], v[46:47] op_sel_hi:[1,0,1]
	v_pk_fma_f32 v[42:43], v[44:45], v[42:43], v[46:47] neg_lo:[0,0,1] neg_hi:[0,0,1]
	v_mov_b32_e32 v43, v99
	s_delay_alu instid0(VALU_DEP_1)
	v_pk_add_f32 v[40:41], v[40:41], v[42:43]
.LBB165_867:                            ;   in Loop: Header=BB165_3 Depth=1
	s_or_b32 exec_lo, exec_lo, s11
	s_barrier_signal -1
	s_barrier_wait -1
	s_and_saveexec_b32 s11, s92
; %bb.868:                              ;   in Loop: Header=BB165_3 Depth=1
	ds_store_b64 v5, v[40:41]
; %bb.869:                              ;   in Loop: Header=BB165_3 Depth=1
	s_or_b32 exec_lo, exec_lo, s11
	s_wait_dscnt 0x0
	s_barrier_signal -1
	s_barrier_wait -1
	s_barrier_signal -1
	s_barrier_wait -1
	s_and_saveexec_b32 s11, s3
; %bb.870:                              ;   in Loop: Header=BB165_3 Depth=1
	v_pk_add_f32 v[40:41], v[40:41], 0 neg_lo:[1,1] neg_hi:[1,1]
	ds_store_b64 v49, v[40:41] offset:27056
; %bb.871:                              ;   in Loop: Header=BB165_3 Depth=1
	s_or_b32 exec_lo, exec_lo, s11
	s_wait_dscnt 0x0
	s_barrier_signal -1
	s_barrier_wait -1
	s_barrier_signal -1
	s_barrier_wait -1
	s_and_saveexec_b32 s11, s93
	s_cbranch_execz .LBB165_873
; %bb.872:                              ;   in Loop: Header=BB165_3 Depth=1
	ds_load_b64 v[40:41], v63 offset:27056
	s_wait_dscnt 0x0
	ds_store_b64 v60, v[40:41] offset:28064
	ds_load_b64 v[40:41], v63 offset:27064
	s_wait_dscnt 0x0
	ds_store_b64 v60, v[40:41] offset:28576
.LBB165_873:                            ;   in Loop: Header=BB165_3 Depth=1
	s_or_b32 exec_lo, exec_lo, s11
	s_wait_dscnt 0x0
	s_barrier_signal -1
	s_barrier_wait -1
	s_and_saveexec_b32 s11, s10
	s_cbranch_execz .LBB165_875
; %bb.874:                              ;   in Loop: Header=BB165_3 Depth=1
	ds_load_b64 v[40:41], v3 offset:28088
	v_add_nc_u32_e64 v42, 0x1b0, 0
	ds_store_b64 v3, v[26:27] offset:28600
	s_wait_dscnt 0x1
	ds_store_2addr_stride64_b64 v42, v[26:27], v[40:41] offset0:54 offset1:55
.LBB165_875:                            ;   in Loop: Header=BB165_3 Depth=1
	s_or_b32 exec_lo, exec_lo, s11
	v_mov_b64_e32 v[40:41], 0
	s_wait_dscnt 0x0
	s_barrier_signal -1
	s_barrier_wait -1
	s_and_saveexec_b32 s11, s6
	s_cbranch_execz .LBB165_885
; %bb.876:                              ;   in Loop: Header=BB165_3 Depth=1
	ds_load_b64 v[40:41], v65 offset:25024
	ds_load_b64 v[42:43], v61 offset:24960
	s_wait_dscnt 0x0
	v_dual_mul_f32 v44, v43, v41 :: v_dual_mul_f32 v41, v42, v41
	s_delay_alu instid0(VALU_DEP_1) | instskip(NEXT) | instid1(VALU_DEP_1)
	v_dual_fma_f32 v42, v42, v40, -v44 :: v_dual_fmac_f32 v41, v43, v40
	v_dual_add_f32 v40, 0, v42 :: v_dual_add_f32 v41, 0, v41
	s_and_saveexec_b32 s52, s17
	s_cbranch_execnz .LBB165_1118
; %bb.877:                              ;   in Loop: Header=BB165_3 Depth=1
	s_or_b32 exec_lo, exec_lo, s52
	s_and_saveexec_b32 s52, s18
	s_cbranch_execnz .LBB165_1119
.LBB165_878:                            ;   in Loop: Header=BB165_3 Depth=1
	s_or_b32 exec_lo, exec_lo, s52
	s_and_saveexec_b32 s52, s19
	s_cbranch_execnz .LBB165_1120
.LBB165_879:                            ;   in Loop: Header=BB165_3 Depth=1
	s_or_b32 exec_lo, exec_lo, s52
	s_and_saveexec_b32 s52, s20
	s_cbranch_execnz .LBB165_1121
.LBB165_880:                            ;   in Loop: Header=BB165_3 Depth=1
	s_or_b32 exec_lo, exec_lo, s52
	s_and_saveexec_b32 s52, s21
	s_cbranch_execnz .LBB165_1122
.LBB165_881:                            ;   in Loop: Header=BB165_3 Depth=1
	s_or_b32 exec_lo, exec_lo, s52
	s_and_saveexec_b32 s52, s5
	s_cbranch_execnz .LBB165_1123
.LBB165_882:                            ;   in Loop: Header=BB165_3 Depth=1
	s_or_b32 exec_lo, exec_lo, s52
	s_and_saveexec_b32 s52, s16
	s_cbranch_execz .LBB165_884
.LBB165_883:                            ;   in Loop: Header=BB165_3 Depth=1
	ds_load_b64 v[42:43], v51 offset:28608
	ds_load_b64 v[44:45], v3 offset:25016
	s_wait_dscnt 0x0
	v_pk_mul_f32 v[46:47], v[44:45], v[42:43] op_sel:[1,1] op_sel_hi:[0,1]
	s_delay_alu instid0(VALU_DEP_1) | instskip(SKIP_1) | instid1(VALU_DEP_2)
	v_pk_fma_f32 v[98:99], v[44:45], v[42:43], v[46:47] op_sel_hi:[1,0,1]
	v_pk_fma_f32 v[42:43], v[44:45], v[42:43], v[46:47] neg_lo:[0,0,1] neg_hi:[0,0,1]
	v_mov_b32_e32 v43, v99
	s_delay_alu instid0(VALU_DEP_1)
	v_pk_add_f32 v[40:41], v[40:41], v[42:43]
.LBB165_884:                            ;   in Loop: Header=BB165_3 Depth=1
	s_or_b32 exec_lo, exec_lo, s52
	s_delay_alu instid0(VALU_DEP_1)
	v_pk_add_f32 v[40:41], v[40:41], 0 neg_lo:[1,1] neg_hi:[1,1]
.LBB165_885:                            ;   in Loop: Header=BB165_3 Depth=1
	s_or_b32 exec_lo, exec_lo, s11
	s_and_saveexec_b32 s11, s101
; %bb.886:                              ;   in Loop: Header=BB165_3 Depth=1
	ds_store_b64 v64, v[40:41]
; %bb.887:                              ;   in Loop: Header=BB165_3 Depth=1
	s_or_b32 exec_lo, exec_lo, s11
	s_wait_dscnt 0x0
	s_barrier_signal -1
	s_barrier_wait -1
	s_and_saveexec_b32 s11, s102
	s_cbranch_execz .LBB165_889
; %bb.888:                              ;   in Loop: Header=BB165_3 Depth=1
	ds_load_b64 v[42:43], v62 offset:29120
	ds_load_b64 v[44:45], v64
	s_wait_dscnt 0x0
	v_pk_mul_f32 v[46:47], v[44:45], v[42:43] op_sel:[1,1] op_sel_hi:[0,1]
	s_delay_alu instid0(VALU_DEP_1) | instskip(SKIP_1) | instid1(VALU_DEP_2)
	v_pk_fma_f32 v[98:99], v[44:45], v[42:43], v[46:47] op_sel_hi:[1,0,1]
	v_pk_fma_f32 v[42:43], v[44:45], v[42:43], v[46:47] neg_lo:[0,0,1] neg_hi:[0,0,1]
	v_mov_b32_e32 v43, v99
	s_delay_alu instid0(VALU_DEP_1)
	v_pk_add_f32 v[40:41], v[40:41], v[42:43]
.LBB165_889:                            ;   in Loop: Header=BB165_3 Depth=1
	s_or_b32 exec_lo, exec_lo, s11
	s_barrier_signal -1
	s_barrier_wait -1
	s_and_saveexec_b32 s11, s103
; %bb.890:                              ;   in Loop: Header=BB165_3 Depth=1
	ds_store_b64 v64, v[40:41]
; %bb.891:                              ;   in Loop: Header=BB165_3 Depth=1
	s_or_b32 exec_lo, exec_lo, s11
	s_wait_dscnt 0x0
	s_barrier_signal -1
	s_barrier_wait -1
	s_and_saveexec_b32 s11, s104
	s_cbranch_execz .LBB165_893
; %bb.892:                              ;   in Loop: Header=BB165_3 Depth=1
	ds_load_b64 v[42:43], v62 offset:29632
	ds_load_b64 v[44:45], v64
	s_wait_dscnt 0x0
	v_dual_mul_f32 v46, v45, v43 :: v_dual_mul_f32 v43, v44, v43
	s_delay_alu instid0(VALU_DEP_1) | instskip(NEXT) | instid1(VALU_DEP_1)
	v_dual_fma_f32 v44, v44, v42, -v46 :: v_dual_fmac_f32 v43, v45, v42
	v_dual_add_f32 v40, v40, v44 :: v_dual_add_f32 v41, v41, v43
.LBB165_893:                            ;   in Loop: Header=BB165_3 Depth=1
	s_or_b32 exec_lo, exec_lo, s11
	s_barrier_signal -1
	s_barrier_wait -1
	s_and_saveexec_b32 s11, vcc_hi
; %bb.894:                              ;   in Loop: Header=BB165_3 Depth=1
	ds_store_b64 v64, v[40:41]
; %bb.895:                              ;   in Loop: Header=BB165_3 Depth=1
	s_or_b32 exec_lo, exec_lo, s11
	s_wait_dscnt 0x0
	s_barrier_signal -1
	s_barrier_wait -1
	s_and_saveexec_b32 s11, s37
	s_cbranch_execz .LBB165_897
; %bb.896:                              ;   in Loop: Header=BB165_3 Depth=1
	ds_load_b64 v[42:43], v62 offset:30144
	ds_load_b64 v[44:45], v64
	s_wait_dscnt 0x0
	v_dual_mul_f32 v46, v45, v43 :: v_dual_mul_f32 v47, v44, v43
	s_delay_alu instid0(VALU_DEP_1) | instskip(NEXT) | instid1(VALU_DEP_1)
	v_dual_fma_f32 v46, v44, v42, -v46 :: v_dual_fmac_f32 v47, v45, v42
	v_pk_add_f32 v[40:41], v[40:41], v[46:47]
.LBB165_897:                            ;   in Loop: Header=BB165_3 Depth=1
	s_or_b32 exec_lo, exec_lo, s11
	s_barrier_signal -1
	s_barrier_wait -1
	s_and_saveexec_b32 s11, s38
; %bb.898:                              ;   in Loop: Header=BB165_3 Depth=1
	ds_store_b64 v64, v[40:41]
; %bb.899:                              ;   in Loop: Header=BB165_3 Depth=1
	s_or_b32 exec_lo, exec_lo, s11
	s_wait_dscnt 0x0
	s_barrier_signal -1
	s_barrier_wait -1
	s_and_saveexec_b32 s11, s39
	s_cbranch_execz .LBB165_901
; %bb.900:                              ;   in Loop: Header=BB165_3 Depth=1
	ds_load_b64 v[42:43], v62 offset:30656
	ds_load_b64 v[44:45], v64
	s_wait_dscnt 0x0
	v_pk_mul_f32 v[46:47], v[44:45], v[42:43] op_sel:[1,1] op_sel_hi:[0,1]
	s_delay_alu instid0(VALU_DEP_1) | instskip(SKIP_1) | instid1(VALU_DEP_2)
	v_pk_fma_f32 v[98:99], v[44:45], v[42:43], v[46:47] op_sel_hi:[1,0,1]
	v_pk_fma_f32 v[42:43], v[44:45], v[42:43], v[46:47] neg_lo:[0,0,1] neg_hi:[0,0,1]
	v_mov_b32_e32 v43, v99
	s_delay_alu instid0(VALU_DEP_1)
	v_pk_add_f32 v[40:41], v[40:41], v[42:43]
.LBB165_901:                            ;   in Loop: Header=BB165_3 Depth=1
	s_or_b32 exec_lo, exec_lo, s11
	s_barrier_signal -1
	s_barrier_wait -1
	s_and_saveexec_b32 s11, s40
; %bb.902:                              ;   in Loop: Header=BB165_3 Depth=1
	ds_store_b64 v64, v[40:41]
; %bb.903:                              ;   in Loop: Header=BB165_3 Depth=1
	s_or_b32 exec_lo, exec_lo, s11
	s_wait_dscnt 0x0
	s_barrier_signal -1
	s_barrier_wait -1
	s_and_saveexec_b32 s11, s42
	s_cbranch_execz .LBB165_905
; %bb.904:                              ;   in Loop: Header=BB165_3 Depth=1
	ds_load_b64 v[42:43], v62 offset:31168
	ds_load_b64 v[44:45], v64
	s_wait_dscnt 0x0
	v_pk_mul_f32 v[46:47], v[44:45], v[42:43] op_sel:[1,1] op_sel_hi:[0,1]
	s_delay_alu instid0(VALU_DEP_1) | instskip(SKIP_1) | instid1(VALU_DEP_2)
	v_pk_fma_f32 v[98:99], v[44:45], v[42:43], v[46:47] op_sel_hi:[1,0,1]
	v_pk_fma_f32 v[42:43], v[44:45], v[42:43], v[46:47] neg_lo:[0,0,1] neg_hi:[0,0,1]
	v_mov_b32_e32 v43, v99
	s_delay_alu instid0(VALU_DEP_1)
	v_pk_add_f32 v[40:41], v[40:41], v[42:43]
.LBB165_905:                            ;   in Loop: Header=BB165_3 Depth=1
	;; [unrolled: 25-line block ×4, first 2 shown]
	s_or_b32 exec_lo, exec_lo, s11
	s_barrier_signal -1
	s_barrier_wait -1
	s_and_saveexec_b32 s11, s46
; %bb.914:                              ;   in Loop: Header=BB165_3 Depth=1
	ds_store_b64 v64, v[40:41]
; %bb.915:                              ;   in Loop: Header=BB165_3 Depth=1
	s_or_b32 exec_lo, exec_lo, s11
	s_wait_dscnt 0x0
	s_barrier_signal -1
	s_barrier_wait -1
	s_barrier_signal -1
	s_barrier_wait -1
	s_and_saveexec_b32 s11, s6
; %bb.916:                              ;   in Loop: Header=BB165_3 Depth=1
	v_pk_add_f32 v[40:41], v[40:41], 0 neg_lo:[1,1] neg_hi:[1,1]
	ds_store_b64 v65, v[40:41] offset:25024
; %bb.917:                              ;   in Loop: Header=BB165_3 Depth=1
	s_or_b32 exec_lo, exec_lo, s11
	s_wait_dscnt 0x0
	s_barrier_signal -1
	s_barrier_wait -1
	s_barrier_signal -1
	s_barrier_wait -1
	s_and_saveexec_b32 s11, s47
	s_cbranch_execz .LBB165_919
; %bb.918:                              ;   in Loop: Header=BB165_3 Depth=1
	ds_load_b64 v[40:41], v54 offset:25024
	s_wait_dscnt 0x0
	ds_store_b64 v58, v[40:41] offset:29056
	ds_load_b64 v[40:41], v54 offset:25032
	s_wait_dscnt 0x0
	ds_store_b64 v58, v[40:41] offset:29568
	;; [unrolled: 3-line block ×8, first 2 shown]
.LBB165_919:                            ;   in Loop: Header=BB165_3 Depth=1
	s_or_b32 exec_lo, exec_lo, s11
	s_wait_dscnt 0x0
	s_barrier_signal -1
	s_barrier_wait -1
	s_and_saveexec_b32 s11, s10
	s_cbranch_execz .LBB165_921
; %bb.920:                              ;   in Loop: Header=BB165_3 Depth=1
	ds_load_b64 v[40:41], v3 offset:29128
	v_add_nc_u32_e64 v42, 0x1c0, 0
	ds_store_b64 v3, v[26:27] offset:29640
	s_wait_dscnt 0x1
	ds_store_2addr_stride64_b64 v42, v[26:27], v[40:41] offset0:56 offset1:57
.LBB165_921:                            ;   in Loop: Header=BB165_3 Depth=1
	s_or_b32 exec_lo, exec_lo, s11
	v_mov_b64_e32 v[40:41], 0
	s_wait_dscnt 0x0
	s_barrier_signal -1
	s_barrier_wait -1
	s_and_saveexec_b32 s11, s3
	s_cbranch_execz .LBB165_925
; %bb.922:                              ;   in Loop: Header=BB165_3 Depth=1
	ds_load_b64 v[40:41], v49 offset:29136
	ds_load_b64 v[42:43], v50 offset:29120
	s_wait_dscnt 0x0
	v_pk_mul_f32 v[44:45], v[42:43], v[40:41] op_sel:[1,1] op_sel_hi:[0,1]
	s_delay_alu instid0(VALU_DEP_1) | instskip(SKIP_1) | instid1(VALU_DEP_2)
	v_pk_fma_f32 v[46:47], v[42:43], v[40:41], v[44:45] op_sel_hi:[1,0,1]
	v_pk_fma_f32 v[40:41], v[42:43], v[40:41], v[44:45] neg_lo:[0,0,1] neg_hi:[0,0,1]
	v_mov_b32_e32 v41, v47
	s_delay_alu instid0(VALU_DEP_1)
	v_pk_add_f32 v[40:41], v[40:41], 0 op_sel_hi:[1,0]
	s_and_saveexec_b32 s52, s14
	s_cbranch_execz .LBB165_924
; %bb.923:                              ;   in Loop: Header=BB165_3 Depth=1
	ds_load_b64 v[42:43], v58 offset:29648
	ds_load_b64 v[44:45], v3 offset:29128
	s_wait_dscnt 0x0
	v_pk_mul_f32 v[46:47], v[44:45], v[42:43] op_sel:[1,1] op_sel_hi:[0,1]
	s_delay_alu instid0(VALU_DEP_1) | instskip(SKIP_1) | instid1(VALU_DEP_2)
	v_pk_fma_f32 v[98:99], v[44:45], v[42:43], v[46:47] op_sel_hi:[1,0,1]
	v_pk_fma_f32 v[42:43], v[44:45], v[42:43], v[46:47] neg_lo:[0,0,1] neg_hi:[0,0,1]
	v_mov_b32_e32 v43, v99
	s_delay_alu instid0(VALU_DEP_1)
	v_pk_add_f32 v[40:41], v[40:41], v[42:43]
.LBB165_924:                            ;   in Loop: Header=BB165_3 Depth=1
	s_or_b32 exec_lo, exec_lo, s52
	s_delay_alu instid0(VALU_DEP_1)
	v_pk_add_f32 v[40:41], v[40:41], 0 neg_lo:[1,1] neg_hi:[1,1]
.LBB165_925:                            ;   in Loop: Header=BB165_3 Depth=1
	s_or_b32 exec_lo, exec_lo, s11
	s_and_saveexec_b32 s11, s91
; %bb.926:                              ;   in Loop: Header=BB165_3 Depth=1
	ds_store_b64 v5, v[40:41]
; %bb.927:                              ;   in Loop: Header=BB165_3 Depth=1
	s_or_b32 exec_lo, exec_lo, s11
	s_wait_dscnt 0x0
	s_barrier_signal -1
	s_barrier_wait -1
	s_and_saveexec_b32 s11, s92
	s_cbranch_execz .LBB165_929
; %bb.928:                              ;   in Loop: Header=BB165_3 Depth=1
	ds_load_b64 v[42:43], v3 offset:30168
	ds_load_b64 v[44:45], v5
	s_wait_dscnt 0x0
	v_pk_mul_f32 v[46:47], v[44:45], v[42:43] op_sel:[1,1] op_sel_hi:[0,1]
	s_delay_alu instid0(VALU_DEP_1) | instskip(SKIP_1) | instid1(VALU_DEP_2)
	v_pk_fma_f32 v[98:99], v[44:45], v[42:43], v[46:47] op_sel_hi:[1,0,1]
	v_pk_fma_f32 v[42:43], v[44:45], v[42:43], v[46:47] neg_lo:[0,0,1] neg_hi:[0,0,1]
	v_mov_b32_e32 v43, v99
	s_delay_alu instid0(VALU_DEP_1)
	v_pk_add_f32 v[40:41], v[40:41], v[42:43]
.LBB165_929:                            ;   in Loop: Header=BB165_3 Depth=1
	s_or_b32 exec_lo, exec_lo, s11
	s_barrier_signal -1
	s_barrier_wait -1
	s_and_saveexec_b32 s11, s92
; %bb.930:                              ;   in Loop: Header=BB165_3 Depth=1
	ds_store_b64 v5, v[40:41]
; %bb.931:                              ;   in Loop: Header=BB165_3 Depth=1
	s_or_b32 exec_lo, exec_lo, s11
	s_wait_dscnt 0x0
	s_barrier_signal -1
	s_barrier_wait -1
	s_barrier_signal -1
	s_barrier_wait -1
	s_and_saveexec_b32 s11, s3
; %bb.932:                              ;   in Loop: Header=BB165_3 Depth=1
	v_pk_add_f32 v[40:41], v[40:41], 0 neg_lo:[1,1] neg_hi:[1,1]
	ds_store_b64 v49, v[40:41] offset:29136
; %bb.933:                              ;   in Loop: Header=BB165_3 Depth=1
	s_or_b32 exec_lo, exec_lo, s11
	s_wait_dscnt 0x0
	s_barrier_signal -1
	s_barrier_wait -1
	s_barrier_signal -1
	s_barrier_wait -1
	s_and_saveexec_b32 s11, s93
	s_cbranch_execz .LBB165_935
; %bb.934:                              ;   in Loop: Header=BB165_3 Depth=1
	ds_load_b64 v[40:41], v59 offset:29136
	s_wait_dscnt 0x0
	ds_store_b64 v58, v[40:41] offset:30144
	ds_load_b64 v[40:41], v59 offset:29144
	s_wait_dscnt 0x0
	ds_store_b64 v58, v[40:41] offset:30656
.LBB165_935:                            ;   in Loop: Header=BB165_3 Depth=1
	s_or_b32 exec_lo, exec_lo, s11
	s_wait_dscnt 0x0
	s_barrier_signal -1
	s_barrier_wait -1
	s_and_saveexec_b32 s11, s10
	s_cbranch_execz .LBB165_937
; %bb.936:                              ;   in Loop: Header=BB165_3 Depth=1
	ds_load_b64 v[40:41], v3 offset:30168
	v_add_nc_u32_e64 v42, 0x1d0, 0
	ds_store_b64 v3, v[26:27] offset:30680
	s_wait_dscnt 0x1
	ds_store_2addr_stride64_b64 v42, v[26:27], v[40:41] offset0:58 offset1:59
.LBB165_937:                            ;   in Loop: Header=BB165_3 Depth=1
	s_or_b32 exec_lo, exec_lo, s11
	v_mov_b64_e32 v[40:41], 0
	s_wait_dscnt 0x0
	s_barrier_signal -1
	s_barrier_wait -1
	s_and_saveexec_b32 s11, s5
	s_cbranch_execz .LBB165_943
; %bb.938:                              ;   in Loop: Header=BB165_3 Depth=1
	ds_load_b64 v[40:41], v56 offset:29152
	ds_load_b64 v[42:43], v52 offset:29120
	s_wait_dscnt 0x0
	v_dual_mul_f32 v44, v43, v41 :: v_dual_mul_f32 v41, v42, v41
	s_delay_alu instid0(VALU_DEP_1) | instskip(NEXT) | instid1(VALU_DEP_1)
	v_dual_fma_f32 v42, v42, v40, -v44 :: v_dual_fmac_f32 v41, v43, v40
	v_dual_add_f32 v40, 0, v42 :: v_dual_add_f32 v41, 0, v41
	s_and_saveexec_b32 s52, s15
	s_cbranch_execnz .LBB165_1124
; %bb.939:                              ;   in Loop: Header=BB165_3 Depth=1
	s_or_b32 exec_lo, exec_lo, s52
	s_and_saveexec_b32 s52, s16
	s_cbranch_execnz .LBB165_1125
.LBB165_940:                            ;   in Loop: Header=BB165_3 Depth=1
	s_or_b32 exec_lo, exec_lo, s52
	s_and_saveexec_b32 s52, s3
	s_cbranch_execz .LBB165_942
.LBB165_941:                            ;   in Loop: Header=BB165_3 Depth=1
	ds_load_b64 v[42:43], v60 offset:30688
	ds_load_b64 v[44:45], v3 offset:29144
	s_wait_dscnt 0x0
	v_dual_mul_f32 v46, v45, v43 :: v_dual_mul_f32 v47, v44, v43
	s_delay_alu instid0(VALU_DEP_1) | instskip(NEXT) | instid1(VALU_DEP_1)
	v_dual_fma_f32 v46, v44, v42, -v46 :: v_dual_fmac_f32 v47, v45, v42
	v_pk_add_f32 v[40:41], v[40:41], v[46:47]
.LBB165_942:                            ;   in Loop: Header=BB165_3 Depth=1
	s_or_b32 exec_lo, exec_lo, s52
	s_delay_alu instid0(VALU_DEP_1)
	v_pk_add_f32 v[40:41], v[40:41], 0 neg_lo:[1,1] neg_hi:[1,1]
.LBB165_943:                            ;   in Loop: Header=BB165_3 Depth=1
	s_or_b32 exec_lo, exec_lo, s11
	s_and_saveexec_b32 s11, s94
; %bb.944:                              ;   in Loop: Header=BB165_3 Depth=1
	ds_store_b64 v55, v[40:41]
; %bb.945:                              ;   in Loop: Header=BB165_3 Depth=1
	s_or_b32 exec_lo, exec_lo, s11
	s_wait_dscnt 0x0
	s_barrier_signal -1
	s_barrier_wait -1
	s_and_saveexec_b32 s11, s95
	s_cbranch_execz .LBB165_947
; %bb.946:                              ;   in Loop: Header=BB165_3 Depth=1
	ds_load_b64 v[42:43], v53 offset:31200
	ds_load_b64 v[44:45], v55
	s_wait_dscnt 0x0
	v_pk_mul_f32 v[46:47], v[44:45], v[42:43] op_sel:[1,1] op_sel_hi:[0,1]
	s_delay_alu instid0(VALU_DEP_1) | instskip(SKIP_1) | instid1(VALU_DEP_2)
	v_pk_fma_f32 v[98:99], v[44:45], v[42:43], v[46:47] op_sel_hi:[1,0,1]
	v_pk_fma_f32 v[42:43], v[44:45], v[42:43], v[46:47] neg_lo:[0,0,1] neg_hi:[0,0,1]
	v_mov_b32_e32 v43, v99
	s_delay_alu instid0(VALU_DEP_1)
	v_pk_add_f32 v[40:41], v[40:41], v[42:43]
.LBB165_947:                            ;   in Loop: Header=BB165_3 Depth=1
	s_or_b32 exec_lo, exec_lo, s11
	s_barrier_signal -1
	s_barrier_wait -1
	s_and_saveexec_b32 s11, s96
; %bb.948:                              ;   in Loop: Header=BB165_3 Depth=1
	ds_store_b64 v55, v[40:41]
; %bb.949:                              ;   in Loop: Header=BB165_3 Depth=1
	s_or_b32 exec_lo, exec_lo, s11
	s_wait_dscnt 0x0
	s_barrier_signal -1
	s_barrier_wait -1
	s_and_saveexec_b32 s11, s97
	s_cbranch_execz .LBB165_951
; %bb.950:                              ;   in Loop: Header=BB165_3 Depth=1
	ds_load_b64 v[42:43], v53 offset:31712
	ds_load_b64 v[44:45], v55
	s_wait_dscnt 0x0
	v_pk_mul_f32 v[46:47], v[44:45], v[42:43] op_sel:[1,1] op_sel_hi:[0,1]
	s_delay_alu instid0(VALU_DEP_1) | instskip(SKIP_1) | instid1(VALU_DEP_2)
	v_pk_fma_f32 v[98:99], v[44:45], v[42:43], v[46:47] op_sel_hi:[1,0,1]
	v_pk_fma_f32 v[42:43], v[44:45], v[42:43], v[46:47] neg_lo:[0,0,1] neg_hi:[0,0,1]
	v_mov_b32_e32 v43, v99
	s_delay_alu instid0(VALU_DEP_1)
	v_pk_add_f32 v[40:41], v[40:41], v[42:43]
.LBB165_951:                            ;   in Loop: Header=BB165_3 Depth=1
	s_or_b32 exec_lo, exec_lo, s11
	s_barrier_signal -1
	s_barrier_wait -1
	;; [unrolled: 25-line block ×3, first 2 shown]
	s_and_saveexec_b32 s11, s99
; %bb.956:                              ;   in Loop: Header=BB165_3 Depth=1
	ds_store_b64 v55, v[40:41]
; %bb.957:                              ;   in Loop: Header=BB165_3 Depth=1
	s_or_b32 exec_lo, exec_lo, s11
	s_wait_dscnt 0x0
	s_barrier_signal -1
	s_barrier_wait -1
	s_barrier_signal -1
	s_barrier_wait -1
	s_and_saveexec_b32 s11, s5
; %bb.958:                              ;   in Loop: Header=BB165_3 Depth=1
	v_pk_add_f32 v[40:41], v[40:41], 0 neg_lo:[1,1] neg_hi:[1,1]
	ds_store_b64 v56, v[40:41] offset:29152
; %bb.959:                              ;   in Loop: Header=BB165_3 Depth=1
	s_or_b32 exec_lo, exec_lo, s11
	s_wait_dscnt 0x0
	s_barrier_signal -1
	s_barrier_wait -1
	s_barrier_signal -1
	s_barrier_wait -1
	s_and_saveexec_b32 s11, s100
	s_cbranch_execz .LBB165_961
; %bb.960:                              ;   in Loop: Header=BB165_3 Depth=1
	ds_load_b64 v[40:41], v63 offset:29152
	s_wait_dscnt 0x0
	ds_store_b64 v67, v[40:41] offset:31168
	ds_load_b64 v[40:41], v63 offset:29160
	s_wait_dscnt 0x0
	ds_store_b64 v67, v[40:41] offset:31680
	;; [unrolled: 3-line block ×4, first 2 shown]
.LBB165_961:                            ;   in Loop: Header=BB165_3 Depth=1
	s_or_b32 exec_lo, exec_lo, s11
	s_wait_dscnt 0x0
	s_barrier_signal -1
	s_barrier_wait -1
	s_and_saveexec_b32 s11, s10
	s_cbranch_execz .LBB165_963
; %bb.962:                              ;   in Loop: Header=BB165_3 Depth=1
	ds_load_b64 v[40:41], v3 offset:31208
	v_add_nc_u32_e64 v42, 0x1e0, 0
	ds_store_b64 v3, v[26:27] offset:31720
	s_wait_dscnt 0x1
	ds_store_2addr_stride64_b64 v42, v[26:27], v[40:41] offset0:60 offset1:61
.LBB165_963:                            ;   in Loop: Header=BB165_3 Depth=1
	s_or_b32 exec_lo, exec_lo, s11
	v_mov_b64_e32 v[40:41], 0
	s_wait_dscnt 0x0
	s_barrier_signal -1
	s_barrier_wait -1
	s_and_saveexec_b32 s11, s3
	s_cbranch_execz .LBB165_967
; %bb.964:                              ;   in Loop: Header=BB165_3 Depth=1
	ds_load_b64 v[40:41], v49 offset:31216
	ds_load_b64 v[42:43], v50 offset:31200
	s_wait_dscnt 0x0
	v_pk_mul_f32 v[44:45], v[42:43], v[40:41] op_sel:[1,1] op_sel_hi:[0,1]
	s_delay_alu instid0(VALU_DEP_1) | instskip(SKIP_1) | instid1(VALU_DEP_2)
	v_pk_fma_f32 v[46:47], v[42:43], v[40:41], v[44:45] op_sel_hi:[1,0,1]
	v_pk_fma_f32 v[40:41], v[42:43], v[40:41], v[44:45] neg_lo:[0,0,1] neg_hi:[0,0,1]
	v_mov_b32_e32 v41, v47
	s_delay_alu instid0(VALU_DEP_1)
	v_pk_add_f32 v[40:41], v[40:41], 0 op_sel_hi:[1,0]
	s_and_saveexec_b32 s52, s14
	s_cbranch_execz .LBB165_966
; %bb.965:                              ;   in Loop: Header=BB165_3 Depth=1
	ds_load_b64 v[42:43], v67 offset:31728
	ds_load_b64 v[44:45], v3 offset:31208
	s_wait_dscnt 0x0
	v_pk_mul_f32 v[46:47], v[44:45], v[42:43] op_sel:[1,1] op_sel_hi:[0,1]
	s_delay_alu instid0(VALU_DEP_1) | instskip(SKIP_1) | instid1(VALU_DEP_2)
	v_pk_fma_f32 v[98:99], v[44:45], v[42:43], v[46:47] op_sel_hi:[1,0,1]
	v_pk_fma_f32 v[42:43], v[44:45], v[42:43], v[46:47] neg_lo:[0,0,1] neg_hi:[0,0,1]
	v_mov_b32_e32 v43, v99
	s_delay_alu instid0(VALU_DEP_1)
	v_pk_add_f32 v[40:41], v[40:41], v[42:43]
.LBB165_966:                            ;   in Loop: Header=BB165_3 Depth=1
	s_or_b32 exec_lo, exec_lo, s52
	s_delay_alu instid0(VALU_DEP_1)
	v_pk_add_f32 v[40:41], v[40:41], 0 neg_lo:[1,1] neg_hi:[1,1]
.LBB165_967:                            ;   in Loop: Header=BB165_3 Depth=1
	s_or_b32 exec_lo, exec_lo, s11
	s_and_saveexec_b32 s11, s91
; %bb.968:                              ;   in Loop: Header=BB165_3 Depth=1
	ds_store_b64 v5, v[40:41]
; %bb.969:                              ;   in Loop: Header=BB165_3 Depth=1
	s_or_b32 exec_lo, exec_lo, s11
	s_wait_dscnt 0x0
	s_barrier_signal -1
	s_barrier_wait -1
	s_and_saveexec_b32 s11, s92
	s_cbranch_execz .LBB165_971
; %bb.970:                              ;   in Loop: Header=BB165_3 Depth=1
	ds_load_b64 v[42:43], v3 offset:32248
	ds_load_b64 v[44:45], v5
	s_wait_dscnt 0x0
	v_pk_mul_f32 v[46:47], v[44:45], v[42:43] op_sel:[1,1] op_sel_hi:[0,1]
	s_delay_alu instid0(VALU_DEP_1) | instskip(SKIP_1) | instid1(VALU_DEP_2)
	v_pk_fma_f32 v[98:99], v[44:45], v[42:43], v[46:47] op_sel_hi:[1,0,1]
	v_pk_fma_f32 v[42:43], v[44:45], v[42:43], v[46:47] neg_lo:[0,0,1] neg_hi:[0,0,1]
	v_mov_b32_e32 v43, v99
	s_delay_alu instid0(VALU_DEP_1)
	v_pk_add_f32 v[40:41], v[40:41], v[42:43]
.LBB165_971:                            ;   in Loop: Header=BB165_3 Depth=1
	s_or_b32 exec_lo, exec_lo, s11
	s_barrier_signal -1
	s_barrier_wait -1
	s_and_saveexec_b32 s11, s92
; %bb.972:                              ;   in Loop: Header=BB165_3 Depth=1
	ds_store_b64 v5, v[40:41]
; %bb.973:                              ;   in Loop: Header=BB165_3 Depth=1
	s_or_b32 exec_lo, exec_lo, s11
	s_wait_dscnt 0x0
	s_barrier_signal -1
	s_barrier_wait -1
	s_barrier_signal -1
	s_barrier_wait -1
	s_and_saveexec_b32 s11, s3
; %bb.974:                              ;   in Loop: Header=BB165_3 Depth=1
	v_pk_add_f32 v[40:41], v[40:41], 0 neg_lo:[1,1] neg_hi:[1,1]
	ds_store_b64 v49, v[40:41] offset:31216
; %bb.975:                              ;   in Loop: Header=BB165_3 Depth=1
	s_or_b32 exec_lo, exec_lo, s11
	s_wait_dscnt 0x0
	s_barrier_signal -1
	s_barrier_wait -1
	s_barrier_signal -1
	s_barrier_wait -1
	s_and_saveexec_b32 s11, s93
	s_cbranch_execz .LBB165_977
; %bb.976:                              ;   in Loop: Header=BB165_3 Depth=1
	ds_load_b64 v[40:41], v68 offset:31216
	s_wait_dscnt 0x0
	ds_store_b64 v67, v[40:41] offset:32224
	ds_load_b64 v[40:41], v68 offset:31224
	s_wait_dscnt 0x0
	ds_store_b64 v67, v[40:41] offset:32736
.LBB165_977:                            ;   in Loop: Header=BB165_3 Depth=1
	s_or_b32 exec_lo, exec_lo, s11
	s_wait_dscnt 0x0
	s_barrier_signal -1
	s_barrier_wait -1
	s_and_saveexec_b32 s11, s10
	s_cbranch_execz .LBB165_979
; %bb.978:                              ;   in Loop: Header=BB165_3 Depth=1
	ds_load_b64 v[40:41], v3 offset:32248
	v_add_nc_u32_e64 v42, 0x1f0, 0
	ds_store_b64 v3, v[26:27] offset:32760
	s_wait_dscnt 0x1
	ds_store_2addr_stride64_b64 v42, v[26:27], v[40:41] offset0:62 offset1:63
.LBB165_979:                            ;   in Loop: Header=BB165_3 Depth=1
	s_or_b32 exec_lo, exec_lo, s11
.LBB165_980:                            ;   in Loop: Header=BB165_3 Depth=1
	v_add_nc_u64_e32 v[38:39], s[70:71], v[38:39]
	v_mov_b64_e32 v[40:41], 0
	s_wait_dscnt 0x0
	s_barrier_signal -1
	s_barrier_wait -1
	s_and_saveexec_b32 s11, s50
	s_cbranch_execz .LBB165_982
; %bb.981:                              ;   in Loop: Header=BB165_3 Depth=1
	v_lshl_add_u64 v[40:41], v[20:21], 3, v[38:39]
	v_readlane_b32 s52, v107, 20
	v_readlane_b32 s53, v107, 21
	flat_load_b64 v[40:41], v[40:41]
	v_mov_b64_e32 v[42:43], s[52:53]
	v_readlane_b32 s52, v107, 22
	v_readlane_b32 s53, v107, 23
	s_delay_alu instid0(VALU_DEP_1) | instskip(SKIP_1) | instid1(VALU_DEP_4)
	v_mov_b64_e32 v[44:45], s[52:53]
	s_wait_loadcnt_dscnt 0x0
	v_pk_mul_f32 v[42:43], v[42:43], v[40:41]
	s_delay_alu instid0(VALU_DEP_1)
	v_pk_fma_f32 v[40:41], v[44:45], v[40:41], v[42:43] op_sel:[0,0,1] op_sel_hi:[1,1,0] neg_lo:[1,0,0] neg_hi:[1,0,0]
.LBB165_982:                            ;   in Loop: Header=BB165_3 Depth=1
	s_or_b32 exec_lo, exec_lo, s11
	s_delay_alu instid0(SALU_CYCLE_1)
	s_and_not1_b32 vcc_lo, exec_lo, s51
	s_cbranch_vccnz .LBB165_1017
; %bb.983:                              ;   in Loop: Header=BB165_3 Depth=1
	v_mov_b32_e32 v98, -1
	s_lshl_b64 s[52:53], s[62:63], 2
	s_mov_b32 s11, 0
	s_add_nc_u64 s[84:85], s[78:79], s[52:53]
	s_branch .LBB165_986
.LBB165_984:                            ;   in Loop: Header=BB165_986 Depth=2
	s_wait_xcnt 0x0
	ds_load_b64 v[42:43], v85 offset:384
	s_wait_loadcnt_dscnt 0x0
	v_pk_mul_f32 v[46:47], v[46:47], v[42:43] op_sel:[0,1] op_sel_hi:[0,0]
	s_delay_alu instid0(VALU_DEP_1) | instskip(SKIP_1) | instid1(VALU_DEP_2)
	v_pk_fma_f32 v[100:101], v[44:45], v[42:43], v[46:47] op_sel_hi:[0,1,1] neg_lo:[0,0,1] neg_hi:[0,0,1]
	v_pk_fma_f32 v[42:43], v[44:45], v[42:43], v[46:47]
	v_mov_b32_e32 v43, v101
	s_delay_alu instid0(VALU_DEP_1)
	v_pk_add_f32 v[40:41], v[40:41], v[42:43]
.LBB165_985:                            ;   in Loop: Header=BB165_986 Depth=2
	s_or_b32 exec_lo, exec_lo, s52
	s_add_co_i32 s11, s11, 1
	s_delay_alu instid0(SALU_CYCLE_1)
	s_cmp_eq_u32 s11, s86
	s_cbranch_scc1 .LBB165_1017
.LBB165_986:                            ;   Parent Loop BB165_3 Depth=1
                                        ; =>  This Loop Header: Depth=2
                                        ;       Child Loop BB165_988 Depth 3
	v_cmp_gt_i32_e32 vcc_lo, s11, v98
	s_and_b32 s53, s35, vcc_lo
	s_delay_alu instid0(SALU_CYCLE_1)
	s_and_saveexec_b32 s52, s53
	s_cbranch_execz .LBB165_989
; %bb.987:                              ;   in Loop: Header=BB165_986 Depth=2
	global_load_b32 v98, v3, s[84:85]
	s_wait_loadcnt 0x0
	v_cmp_le_i32_e32 vcc_lo, s11, v98
	s_cbranch_vccnz .LBB165_989
.LBB165_988:                            ;   Parent Loop BB165_3 Depth=1
                                        ;     Parent Loop BB165_986 Depth=2
                                        ; =>    This Inner Loop Header: Depth=3
	global_wb scope:SCOPE_DEV
	s_wait_storecnt 0x0
	global_inv scope:SCOPE_DEV
	global_load_b32 v98, v3, s[84:85]
	s_wait_loadcnt 0x0
	v_cmp_gt_i32_e32 vcc_lo, s11, v98
	s_cbranch_vccnz .LBB165_988
.LBB165_989:                            ;   in Loop: Header=BB165_986 Depth=2
	s_or_b32 exec_lo, exec_lo, s52
	s_sub_co_i32 s52, s87, s11
	global_wb scope:SCOPE_DEV
	s_wait_storecnt 0x0
	global_inv scope:SCOPE_DEV
	s_lshl_b32 s53, s52, 6
	s_wait_loadcnt 0x0
	s_barrier_signal -1
	s_barrier_wait -1
	s_and_saveexec_b32 s54, s36
	s_cbranch_execz .LBB165_994
; %bb.990:                              ;   in Loop: Header=BB165_986 Depth=2
	s_ashr_i32 vcc_lo, s53, 31
	s_delay_alu instid0(SALU_CYCLE_1) | instskip(NEXT) | instid1(VALU_DEP_1)
	v_dual_mov_b32 v43, vcc_lo :: v_dual_bitop2_b32 v42, s53, v8 bitop3:0x54
	v_cmp_le_i64_e32 vcc_lo, s[72:73], v[42:43]
	s_and_saveexec_b32 s55, vcc_lo
	s_delay_alu instid0(SALU_CYCLE_1)
	s_xor_b32 vcc_lo, exec_lo, s55
; %bb.991:                              ;   in Loop: Header=BB165_986 Depth=2
	ds_store_b64 v90, v[24:25]
                                        ; implicit-def: $vgpr42_vgpr43
; %bb.992:                              ;   in Loop: Header=BB165_986 Depth=2
	s_and_not1_saveexec_b32 s55, vcc_lo
	s_cbranch_execz .LBB165_994
; %bb.993:                              ;   in Loop: Header=BB165_986 Depth=2
	v_mul_u64_e32 v[42:43], s[76:77], v[42:43]
	s_delay_alu instid0(VALU_DEP_1)
	v_lshl_add_u64 v[42:43], v[42:43], 3, v[38:39]
	flat_load_b64 v[42:43], v[42:43]
	s_wait_loadcnt_dscnt 0x0
	ds_store_b64 v90, v[42:43]
.LBB165_994:                            ;   in Loop: Header=BB165_986 Depth=2
	s_or_b32 exec_lo, exec_lo, s54
	v_add_nc_u32_e32 v44, s53, v6
	s_cmp_lg_u32 s52, s13
	s_wait_dscnt 0x0
	s_cselect_b32 s53, -1, 0
	s_barrier_signal -1
	v_ashrrev_i32_e32 v45, 31, v44
	v_cmp_gt_i32_e32 vcc_lo, s72, v44
	s_barrier_wait -1
	s_delay_alu instid0(VALU_DEP_2) | instskip(SKIP_2) | instid1(SALU_CYCLE_1)
	v_lshl_add_u64 v[42:43], v[44:45], 3, v[36:37]
	v_cndmask_b32_e64 v45, 0, 1, s53
	s_and_b32 s54, vcc_lo, s2
	s_and_saveexec_b32 s52, s54
	s_cbranch_execz .LBB165_1000
; %bb.995:                              ;   in Loop: Header=BB165_986 Depth=2
	v_mov_b32_e32 v46, v28
	s_and_not1_b32 vcc_lo, exec_lo, s53
	s_cbranch_vccnz .LBB165_997
; %bb.996:                              ;   in Loop: Header=BB165_986 Depth=2
	flat_load_b32 v46, v[42:43]
.LBB165_997:                            ;   in Loop: Header=BB165_986 Depth=2
	v_cmp_ne_u32_e32 vcc_lo, 1, v45
	v_mov_b32_e32 v48, v29
	s_cbranch_vccnz .LBB165_999
; %bb.998:                              ;   in Loop: Header=BB165_986 Depth=2
	flat_load_b32 v48, v[42:43] offset:4
.LBB165_999:                            ;   in Loop: Header=BB165_986 Depth=2
	ds_load_b64 v[100:101], v85
	s_wait_loadcnt_dscnt 0x0
	v_pk_mul_f32 v[102:103], v[48:49], v[100:101] op_sel:[0,1] op_sel_hi:[0,0]
	s_delay_alu instid0(VALU_DEP_1) | instskip(SKIP_1) | instid1(VALU_DEP_2)
	v_pk_fma_f32 v[104:105], v[46:47], v[100:101], v[102:103] op_sel_hi:[0,1,1] neg_lo:[0,0,1] neg_hi:[0,0,1]
	v_pk_fma_f32 v[46:47], v[46:47], v[100:101], v[102:103]
	v_mov_b32_e32 v47, v105
	s_delay_alu instid0(VALU_DEP_1)
	v_pk_add_f32 v[40:41], v[40:41], v[46:47]
.LBB165_1000:                           ;   in Loop: Header=BB165_986 Depth=2
	s_or_b32 exec_lo, exec_lo, s52
	v_add_nc_u32_e32 v46, 16, v44
	s_delay_alu instid0(VALU_DEP_1) | instskip(SKIP_1) | instid1(SALU_CYCLE_1)
	v_cmp_gt_i32_e32 vcc_lo, s72, v46
	s_and_b32 s53, vcc_lo, s2
	s_and_saveexec_b32 s52, s53
	s_cbranch_execz .LBB165_1006
; %bb.1001:                             ;   in Loop: Header=BB165_986 Depth=2
	v_cmp_ne_u32_e32 vcc_lo, 1, v45
	v_mov_b32_e32 v46, v30
	s_cbranch_vccnz .LBB165_1003
; %bb.1002:                             ;   in Loop: Header=BB165_986 Depth=2
	flat_load_b32 v46, v[42:43] offset:128
.LBB165_1003:                           ;   in Loop: Header=BB165_986 Depth=2
	v_cmp_ne_u32_e32 vcc_lo, 1, v45
	v_mov_b32_e32 v47, v31
	s_cbranch_vccnz .LBB165_1005
; %bb.1004:                             ;   in Loop: Header=BB165_986 Depth=2
	flat_load_b32 v47, v[42:43] offset:132
.LBB165_1005:                           ;   in Loop: Header=BB165_986 Depth=2
	ds_load_b64 v[100:101], v85 offset:128
	s_wait_loadcnt_dscnt 0x1
	v_dual_mov_b32 v102, v47 :: v_dual_mov_b32 v103, v46
	s_wait_dscnt 0x0
	v_dual_mul_f32 v48, v47, v100 :: v_dual_mul_f32 v104, v47, v101
	s_delay_alu instid0(VALU_DEP_1) | instskip(NEXT) | instid1(VALU_DEP_2)
	v_pk_fma_f32 v[102:103], v[102:103], v[100:101], v[48:49] op_sel_hi:[1,1,0] neg_lo:[0,0,1] neg_hi:[0,0,1]
	v_pk_fma_f32 v[46:47], v[46:47], v[100:101], v[104:105] op_sel_hi:[1,1,0]
	s_delay_alu instid0(VALU_DEP_2) | instskip(NEXT) | instid1(VALU_DEP_1)
	v_mov_b32_e32 v47, v103
	v_pk_add_f32 v[40:41], v[40:41], v[46:47]
.LBB165_1006:                           ;   in Loop: Header=BB165_986 Depth=2
	s_or_b32 exec_lo, exec_lo, s52
	v_add_nc_u32_e32 v46, 32, v44
	s_delay_alu instid0(VALU_DEP_1) | instskip(SKIP_1) | instid1(SALU_CYCLE_1)
	v_cmp_gt_i32_e32 vcc_lo, s72, v46
	s_and_b32 s53, vcc_lo, s2
	s_and_saveexec_b32 s52, s53
	s_cbranch_execz .LBB165_1012
; %bb.1007:                             ;   in Loop: Header=BB165_986 Depth=2
	v_cmp_ne_u32_e32 vcc_lo, 1, v45
	v_mov_b32_e32 v46, v32
	s_cbranch_vccnz .LBB165_1009
; %bb.1008:                             ;   in Loop: Header=BB165_986 Depth=2
	flat_load_b32 v46, v[42:43] offset:256
.LBB165_1009:                           ;   in Loop: Header=BB165_986 Depth=2
	v_cmp_ne_u32_e32 vcc_lo, 1, v45
	v_mov_b32_e32 v48, v33
	s_cbranch_vccnz .LBB165_1011
; %bb.1010:                             ;   in Loop: Header=BB165_986 Depth=2
	flat_load_b32 v48, v[42:43] offset:260
.LBB165_1011:                           ;   in Loop: Header=BB165_986 Depth=2
	ds_load_b64 v[100:101], v85 offset:256
	s_wait_loadcnt_dscnt 0x0
	v_pk_mul_f32 v[102:103], v[48:49], v[100:101] op_sel:[0,1] op_sel_hi:[0,0]
	s_delay_alu instid0(VALU_DEP_1) | instskip(SKIP_1) | instid1(VALU_DEP_2)
	v_pk_fma_f32 v[104:105], v[46:47], v[100:101], v[102:103] op_sel_hi:[0,1,1] neg_lo:[0,0,1] neg_hi:[0,0,1]
	v_pk_fma_f32 v[46:47], v[46:47], v[100:101], v[102:103]
	v_mov_b32_e32 v47, v105
	s_delay_alu instid0(VALU_DEP_1)
	v_pk_add_f32 v[40:41], v[40:41], v[46:47]
.LBB165_1012:                           ;   in Loop: Header=BB165_986 Depth=2
	s_or_b32 exec_lo, exec_lo, s52
	v_add_nc_u32_e32 v44, 48, v44
	s_delay_alu instid0(VALU_DEP_1) | instskip(SKIP_1) | instid1(SALU_CYCLE_1)
	v_cmp_gt_i32_e32 vcc_lo, s72, v44
	s_and_b32 s53, vcc_lo, s2
	s_and_saveexec_b32 s52, s53
	s_cbranch_execz .LBB165_985
; %bb.1013:                             ;   in Loop: Header=BB165_986 Depth=2
	v_cmp_ne_u32_e32 vcc_lo, 1, v45
	v_mov_b32_e32 v44, v34
	s_cbranch_vccnz .LBB165_1015
; %bb.1014:                             ;   in Loop: Header=BB165_986 Depth=2
	flat_load_b32 v44, v[42:43] offset:384
.LBB165_1015:                           ;   in Loop: Header=BB165_986 Depth=2
	v_cmp_ne_u32_e32 vcc_lo, 1, v45
	v_mov_b32_e32 v46, v35
	s_cbranch_vccnz .LBB165_984
; %bb.1016:                             ;   in Loop: Header=BB165_986 Depth=2
	flat_load_b32 v46, v[42:43] offset:388
	s_branch .LBB165_984
.LBB165_1017:                           ;   in Loop: Header=BB165_3 Depth=1
	ds_store_b64 v91, v[40:41]
	s_wait_dscnt 0x0
	s_barrier_signal -1
	s_barrier_wait -1
	s_and_saveexec_b32 s11, s4
	s_cbranch_execz .LBB165_1019
; %bb.1018:                             ;   in Loop: Header=BB165_3 Depth=1
	ds_load_2addr_stride64_b64 v[42:45], v92 offset0:1 offset1:2
	ds_load_2addr_stride64_b64 v[98:101], v92 offset0:3 offset1:4
	;; [unrolled: 1-line block ×3, first 2 shown]
	s_wait_dscnt 0x2
	v_pk_add_f32 v[36:37], v[40:41], v[42:43]
	ds_load_2addr_stride64_b64 v[40:43], v92 offset0:7 offset1:8
	v_pk_add_f32 v[36:37], v[36:37], v[44:45]
	ds_load_2addr_stride64_b64 v[44:47], v92 offset0:9 offset1:10
	s_wait_dscnt 0x3
	v_pk_add_f32 v[36:37], v[36:37], v[98:99]
	s_delay_alu instid0(VALU_DEP_1) | instskip(SKIP_3) | instid1(VALU_DEP_1)
	v_pk_add_f32 v[36:37], v[36:37], v[100:101]
	ds_load_2addr_stride64_b64 v[98:101], v92 offset0:11 offset1:12
	s_wait_dscnt 0x3
	v_pk_add_f32 v[36:37], v[36:37], v[102:103]
	v_pk_add_f32 v[36:37], v[36:37], v[104:105]
	s_wait_dscnt 0x2
	s_delay_alu instid0(VALU_DEP_1) | instskip(NEXT) | instid1(VALU_DEP_1)
	v_pk_add_f32 v[36:37], v[36:37], v[40:41]
	v_pk_add_f32 v[36:37], v[36:37], v[42:43]
	ds_load_2addr_stride64_b64 v[40:43], v92 offset0:13 offset1:14
	s_wait_dscnt 0x2
	v_pk_add_f32 v[36:37], v[36:37], v[44:45]
	ds_load_b64 v[44:45], v92 offset:7680
	v_pk_add_f32 v[36:37], v[36:37], v[46:47]
	s_wait_dscnt 0x2
	s_delay_alu instid0(VALU_DEP_1) | instskip(NEXT) | instid1(VALU_DEP_1)
	v_pk_add_f32 v[36:37], v[36:37], v[98:99]
	v_pk_add_f32 v[36:37], v[36:37], v[100:101]
	s_wait_dscnt 0x1
	s_delay_alu instid0(VALU_DEP_1) | instskip(NEXT) | instid1(VALU_DEP_1)
	v_pk_add_f32 v[36:37], v[36:37], v[40:41]
	;; [unrolled: 4-line block ×3, first 2 shown]
	v_cndmask_b32_e64 v41, -v37, 0, s49
	s_delay_alu instid0(VALU_DEP_2)
	v_cndmask_b32_e64 v40, -v36, 0, s49
.LBB165_1019:                           ;   in Loop: Header=BB165_3 Depth=1
	s_or_b32 exec_lo, exec_lo, s11
	s_delay_alu instid0(SALU_CYCLE_1)
	s_and_not1_b32 vcc_lo, exec_lo, s90
	s_cbranch_vccnz .LBB165_1029
; %bb.1020:                             ;   in Loop: Header=BB165_3 Depth=1
	s_and_saveexec_b32 s11, s4
; %bb.1021:                             ;   in Loop: Header=BB165_3 Depth=1
	ds_store_b64 v94, v[40:41]
; %bb.1022:                             ;   in Loop: Header=BB165_3 Depth=1
	s_or_b32 exec_lo, exec_lo, s11
	v_mov_b64_e32 v[36:37], 0
	s_wait_dscnt 0x0
	s_barrier_signal -1
	s_barrier_wait -1
	s_and_saveexec_b32 s11, s0
	s_cbranch_execnz .LBB165_1069
; %bb.1023:                             ;   in Loop: Header=BB165_3 Depth=1
	s_or_b32 exec_lo, exec_lo, s11
	s_and_saveexec_b32 s11, s1
	s_cbranch_execnz .LBB165_1070
.LBB165_1024:                           ;   in Loop: Header=BB165_3 Depth=1
	s_or_b32 exec_lo, exec_lo, s11
	s_and_saveexec_b32 s11, s8
	s_cbranch_execnz .LBB165_1071
.LBB165_1025:                           ;   in Loop: Header=BB165_3 Depth=1
	s_or_b32 exec_lo, exec_lo, s11
	s_and_saveexec_b32 s11, s9
	s_cbranch_execz .LBB165_1027
.LBB165_1026:                           ;   in Loop: Header=BB165_3 Depth=1
	ds_load_b64 v[42:43], v93 offset:24576
	ds_load_b64 v[44:45], v85 offset:384
	s_wait_dscnt 0x0
	v_pk_mul_f32 v[46:47], v[44:45], v[42:43] op_sel:[1,1] op_sel_hi:[0,1]
	s_delay_alu instid0(VALU_DEP_1) | instskip(SKIP_1) | instid1(VALU_DEP_2)
	v_pk_fma_f32 v[98:99], v[44:45], v[42:43], v[46:47] op_sel_hi:[1,0,1]
	v_pk_fma_f32 v[42:43], v[44:45], v[42:43], v[46:47] neg_lo:[0,0,1] neg_hi:[0,0,1]
	v_mov_b32_e32 v43, v99
	s_delay_alu instid0(VALU_DEP_1)
	v_pk_add_f32 v[36:37], v[36:37], v[42:43]
.LBB165_1027:                           ;   in Loop: Header=BB165_3 Depth=1
	s_or_b32 exec_lo, exec_lo, s11
	s_mov_b32 s11, 0
	s_mov_b32 s84, 0
	ds_store_b64 v91, v[36:37]
	s_wait_dscnt 0x0
	s_barrier_signal -1
	s_barrier_wait -1
                                        ; implicit-def: $vgpr42_vgpr43
	s_and_saveexec_b32 s52, s4
	s_cbranch_execz .LBB165_1072
; %bb.1028:                             ;   in Loop: Header=BB165_3 Depth=1
	ds_load_2addr_stride64_b64 v[42:45], v92 offset0:1 offset1:2
	ds_load_2addr_stride64_b64 v[98:101], v92 offset0:3 offset1:4
	;; [unrolled: 1-line block ×3, first 2 shown]
	ds_load_b64 v[46:47], v92 offset:7680
	s_mov_b32 s84, exec_lo
	s_wait_dscnt 0x3
	v_pk_add_f32 v[36:37], v[36:37], v[42:43]
	s_delay_alu instid0(VALU_DEP_1) | instskip(SKIP_3) | instid1(VALU_DEP_1)
	v_pk_add_f32 v[36:37], v[36:37], v[44:45]
	ds_load_2addr_stride64_b64 v[42:45], v92 offset0:7 offset1:8
	s_wait_dscnt 0x3
	v_pk_add_f32 v[36:37], v[36:37], v[98:99]
	v_pk_add_f32 v[36:37], v[36:37], v[100:101]
	ds_load_2addr_stride64_b64 v[98:101], v92 offset0:9 offset1:10
	s_wait_dscnt 0x3
	v_pk_add_f32 v[36:37], v[36:37], v[102:103]
	s_delay_alu instid0(VALU_DEP_1) | instskip(SKIP_3) | instid1(VALU_DEP_1)
	v_pk_add_f32 v[36:37], v[36:37], v[104:105]
	ds_load_2addr_stride64_b64 v[102:105], v92 offset0:11 offset1:12
	s_wait_dscnt 0x2
	v_pk_add_f32 v[36:37], v[36:37], v[42:43]
	v_pk_add_f32 v[36:37], v[36:37], v[44:45]
	ds_load_2addr_stride64_b64 v[42:45], v92 offset0:13 offset1:14
	s_wait_dscnt 0x2
	v_pk_add_f32 v[36:37], v[36:37], v[98:99]
	s_delay_alu instid0(VALU_DEP_1) | instskip(SKIP_1) | instid1(VALU_DEP_1)
	v_pk_add_f32 v[36:37], v[36:37], v[100:101]
	s_wait_dscnt 0x1
	v_pk_add_f32 v[36:37], v[36:37], v[102:103]
	s_delay_alu instid0(VALU_DEP_1) | instskip(SKIP_1) | instid1(VALU_DEP_1)
	v_pk_add_f32 v[36:37], v[36:37], v[104:105]
	s_wait_dscnt 0x0
	v_pk_add_f32 v[36:37], v[36:37], v[42:43]
	s_delay_alu instid0(VALU_DEP_1) | instskip(NEXT) | instid1(VALU_DEP_1)
	v_pk_add_f32 v[36:37], v[36:37], v[44:45]
	v_pk_add_f32 v[42:43], v[36:37], v[46:47]
	s_or_b32 exec_lo, exec_lo, s52
	s_delay_alu instid0(SALU_CYCLE_1)
	s_and_b32 vcc_lo, exec_lo, s11
	s_cbranch_vccnz .LBB165_1030
	s_branch .LBB165_1073
.LBB165_1029:                           ;   in Loop: Header=BB165_3 Depth=1
	s_mov_b32 s84, 0
                                        ; implicit-def: $vgpr42_vgpr43
	s_cbranch_execz .LBB165_1073
.LBB165_1030:                           ;   in Loop: Header=BB165_3 Depth=1
	v_dual_mov_b32 v36, v97 :: v_dual_mov_b32 v37, v95
	s_mov_b32 s11, 63
	s_branch .LBB165_1032
.LBB165_1031:                           ;   in Loop: Header=BB165_1032 Depth=2
	s_or_b32 exec_lo, exec_lo, s52
	v_add_nc_u32_e32 v37, 0xfffff800, v37
	v_add_nc_u32_e32 v36, 4, v36
	s_add_co_i32 s11, s11, -4
	s_cmp_lg_u32 s85, 0
	s_barrier_signal -1
	s_barrier_wait -1
	s_cbranch_scc0 .LBB165_1048
.LBB165_1032:                           ;   Parent Loop BB165_3 Depth=1
                                        ; =>  This Inner Loop Header: Depth=2
	s_delay_alu instid0(VALU_DEP_1) | instskip(SKIP_1) | instid1(SALU_CYCLE_1)
	v_cmp_eq_u32_e32 vcc_lo, 0, v36
	s_and_b32 s53, s4, vcc_lo
	s_and_saveexec_b32 s52, s53
; %bb.1033:                             ;   in Loop: Header=BB165_1032 Depth=2
	ds_store_b64 v3, v[40:41] offset:41472
; %bb.1034:                             ;   in Loop: Header=BB165_1032 Depth=2
	s_or_b32 exec_lo, exec_lo, s52
	v_cmp_gt_u32_e32 vcc_lo, s11, v4
	s_wait_dscnt 0x0
	s_barrier_signal -1
	s_barrier_wait -1
	s_and_b32 s53, s4, vcc_lo
	s_delay_alu instid0(SALU_CYCLE_1)
	s_and_saveexec_b32 s52, s53
	s_cbranch_execz .LBB165_1036
; %bb.1035:                             ;   in Loop: Header=BB165_1032 Depth=2
	ds_load_b64 v[42:43], v37 offset:1536
	ds_load_b64 v[44:45], v3 offset:41472
	s_wait_dscnt 0x0
	v_pk_mul_f32 v[46:47], v[44:45], v[42:43] op_sel:[1,1] op_sel_hi:[0,1]
	s_delay_alu instid0(VALU_DEP_1) | instskip(SKIP_1) | instid1(VALU_DEP_2)
	v_pk_fma_f32 v[98:99], v[44:45], v[42:43], v[46:47] op_sel_hi:[1,0,1]
	v_pk_fma_f32 v[42:43], v[44:45], v[42:43], v[46:47] neg_lo:[0,0,1] neg_hi:[0,0,1]
	v_mov_b32_e32 v43, v99
	s_delay_alu instid0(VALU_DEP_1)
	v_pk_add_f32 v[40:41], v[40:41], v[42:43]
.LBB165_1036:                           ;   in Loop: Header=BB165_1032 Depth=2
	s_or_b32 exec_lo, exec_lo, s52
	s_add_co_i32 s52, s11, -1
	s_delay_alu instid0(SALU_CYCLE_1) | instskip(SKIP_3) | instid1(SALU_CYCLE_1)
	v_cmp_eq_u32_e32 vcc_lo, s52, v4
	s_barrier_signal -1
	s_barrier_wait -1
	s_and_b32 s54, s4, vcc_lo
	s_and_saveexec_b32 s53, s54
; %bb.1037:                             ;   in Loop: Header=BB165_1032 Depth=2
	ds_store_b64 v3, v[40:41] offset:41472
; %bb.1038:                             ;   in Loop: Header=BB165_1032 Depth=2
	s_or_b32 exec_lo, exec_lo, s53
	v_cmp_gt_u32_e32 vcc_lo, s52, v4
	s_wait_dscnt 0x0
	s_barrier_signal -1
	s_barrier_wait -1
	s_and_b32 s53, s4, vcc_lo
	s_delay_alu instid0(SALU_CYCLE_1)
	s_and_saveexec_b32 s52, s53
	s_cbranch_execz .LBB165_1040
; %bb.1039:                             ;   in Loop: Header=BB165_1032 Depth=2
	ds_load_b64 v[42:43], v37 offset:1024
	ds_load_b64 v[44:45], v3 offset:41472
	s_wait_dscnt 0x0
	v_pk_mul_f32 v[46:47], v[44:45], v[42:43] op_sel:[1,1] op_sel_hi:[0,1]
	s_delay_alu instid0(VALU_DEP_1) | instskip(SKIP_1) | instid1(VALU_DEP_2)
	v_pk_fma_f32 v[98:99], v[44:45], v[42:43], v[46:47] op_sel_hi:[1,0,1]
	v_pk_fma_f32 v[42:43], v[44:45], v[42:43], v[46:47] neg_lo:[0,0,1] neg_hi:[0,0,1]
	v_mov_b32_e32 v43, v99
	s_delay_alu instid0(VALU_DEP_1)
	v_pk_add_f32 v[40:41], v[40:41], v[42:43]
.LBB165_1040:                           ;   in Loop: Header=BB165_1032 Depth=2
	s_or_b32 exec_lo, exec_lo, s52
	s_add_co_i32 s52, s11, -2
	s_delay_alu instid0(SALU_CYCLE_1) | instskip(SKIP_3) | instid1(SALU_CYCLE_1)
	v_cmp_eq_u32_e32 vcc_lo, s52, v4
	s_barrier_signal -1
	s_barrier_wait -1
	;; [unrolled: 32-line block ×3, first 2 shown]
	s_and_b32 s53, s4, vcc_lo
	s_and_saveexec_b32 s52, s53
; %bb.1045:                             ;   in Loop: Header=BB165_1032 Depth=2
	ds_store_b64 v3, v[40:41] offset:41472
; %bb.1046:                             ;   in Loop: Header=BB165_1032 Depth=2
	s_or_b32 exec_lo, exec_lo, s52
	v_cmp_gt_u32_e32 vcc_lo, s85, v4
	s_wait_dscnt 0x0
	s_barrier_signal -1
	s_barrier_wait -1
	s_and_b32 s53, s4, vcc_lo
	s_delay_alu instid0(SALU_CYCLE_1)
	s_and_saveexec_b32 s52, s53
	s_cbranch_execz .LBB165_1031
; %bb.1047:                             ;   in Loop: Header=BB165_1032 Depth=2
	ds_load_b64 v[42:43], v37
	ds_load_b64 v[44:45], v3 offset:41472
	s_wait_dscnt 0x0
	v_pk_mul_f32 v[46:47], v[44:45], v[42:43] op_sel:[1,1] op_sel_hi:[0,1]
	s_delay_alu instid0(VALU_DEP_1) | instskip(SKIP_1) | instid1(VALU_DEP_2)
	v_pk_fma_f32 v[98:99], v[44:45], v[42:43], v[46:47] op_sel_hi:[1,0,1]
	v_pk_fma_f32 v[42:43], v[44:45], v[42:43], v[46:47] neg_lo:[0,0,1] neg_hi:[0,0,1]
	v_mov_b32_e32 v43, v99
	s_delay_alu instid0(VALU_DEP_1)
	v_pk_add_f32 v[40:41], v[40:41], v[42:43]
	s_branch .LBB165_1031
.LBB165_1048:                           ;   in Loop: Header=BB165_3 Depth=1
	s_and_b32 vcc_lo, exec_lo, s88
	s_mov_b32 s11, -1
	s_cbranch_vccnz .LBB165_1074
; %bb.1049:                             ;   in Loop: Header=BB165_3 Depth=1
	s_and_not1_b32 vcc_lo, exec_lo, s11
	s_cbranch_vccz .LBB165_1075
.LBB165_1050:                           ;   in Loop: Header=BB165_3 Depth=1
	s_and_saveexec_b32 s11, s84
	s_cbranch_execz .LBB165_1052
.LBB165_1051:                           ;   in Loop: Header=BB165_3 Depth=1
	v_lshl_add_u64 v[36:37], v[22:23], 3, v[38:39]
	flat_store_b64 v[36:37], v[40:41]
.LBB165_1052:                           ;   in Loop: Header=BB165_3 Depth=1
	s_wait_xcnt 0x0
	s_or_b32 exec_lo, exec_lo, s11
	global_wb scope:SCOPE_DEV
	s_wait_storecnt_dscnt 0x0
	global_inv scope:SCOPE_DEV
	s_wait_loadcnt 0x0
	s_barrier_signal -1
	s_barrier_wait -1
	s_and_saveexec_b32 s11, s35
	s_cbranch_execz .LBB165_2
; %bb.1053:                             ;   in Loop: Header=BB165_3 Depth=1
	s_lshl_b64 s[52:53], s[62:63], 2
	s_delay_alu instid0(SALU_CYCLE_1)
	s_add_nc_u64 s[52:53], s[78:79], s[52:53]
	global_load_b32 v36, v3, s[52:53]
	s_wait_loadcnt 0x0
	v_add_nc_u32_e32 v36, 1, v36
	global_store_b32 v3, v36, s[52:53]
	s_branch .LBB165_2
.LBB165_1054:                           ;   in Loop: Header=BB165_3 Depth=1
	s_mov_b32 s52, exec_lo
	v_readlane_b32 s53, v107, 24
	s_and_b32 s53, s52, s53
	s_delay_alu instid0(SALU_CYCLE_1)
	s_mov_b32 exec_lo, s53
; %bb.1055:                             ;   in Loop: Header=BB165_3 Depth=1
	ds_store_b64 v9, v[24:25]
; %bb.1056:                             ;   in Loop: Header=BB165_3 Depth=1
	s_or_b32 exec_lo, exec_lo, s52
	s_and_not1_saveexec_b32 s11, s11
	s_cbranch_execz .LBB165_16
.LBB165_1057:                           ;   in Loop: Header=BB165_3 Depth=1
	v_lshl_add_u64 v[42:43], v[18:19], 3, v[40:41]
	flat_load_b64 v[42:43], v[42:43]
	s_wait_loadcnt_dscnt 0x0
	v_xor_b32_e32 v42, 0x80000000, v42
	ds_store_b64 v9, v[42:43]
	s_or_b32 exec_lo, exec_lo, s11
	s_and_saveexec_b32 s11, s1
	s_delay_alu instid0(SALU_CYCLE_1)
	s_xor_b32 s11, exec_lo, s11
	s_cbranch_execz .LBB165_17
.LBB165_1058:                           ;   in Loop: Header=BB165_3 Depth=1
	s_mov_b32 s52, exec_lo
	v_readlane_b32 s53, v107, 25
	s_and_b32 s53, s52, s53
	s_delay_alu instid0(SALU_CYCLE_1)
	s_mov_b32 exec_lo, s53
; %bb.1059:                             ;   in Loop: Header=BB165_3 Depth=1
	ds_store_b64 v81, v[24:25]
; %bb.1060:                             ;   in Loop: Header=BB165_3 Depth=1
	s_or_b32 exec_lo, exec_lo, s52
	s_and_not1_saveexec_b32 s11, s11
	s_cbranch_execz .LBB165_18
.LBB165_1061:                           ;   in Loop: Header=BB165_3 Depth=1
	v_lshl_add_u64 v[42:43], v[16:17], 3, v[40:41]
	flat_load_b64 v[42:43], v[42:43]
	s_wait_loadcnt_dscnt 0x0
	v_xor_b32_e32 v42, 0x80000000, v42
	ds_store_b64 v81, v[42:43]
	s_or_b32 exec_lo, exec_lo, s11
	s_and_saveexec_b32 s11, s8
	s_delay_alu instid0(SALU_CYCLE_1)
	s_xor_b32 s11, exec_lo, s11
	s_cbranch_execz .LBB165_19
.LBB165_1062:                           ;   in Loop: Header=BB165_3 Depth=1
	s_mov_b32 s52, exec_lo
	v_readlane_b32 s53, v107, 26
	s_and_b32 s53, s52, s53
	s_delay_alu instid0(SALU_CYCLE_1)
	s_mov_b32 exec_lo, s53
; %bb.1063:                             ;   in Loop: Header=BB165_3 Depth=1
	ds_store_b64 v83, v[24:25]
; %bb.1064:                             ;   in Loop: Header=BB165_3 Depth=1
	s_or_b32 exec_lo, exec_lo, s52
	s_and_not1_saveexec_b32 s11, s11
	s_cbranch_execz .LBB165_20
.LBB165_1065:                           ;   in Loop: Header=BB165_3 Depth=1
	v_lshl_add_u64 v[42:43], v[0:1], 3, v[40:41]
	flat_load_b64 v[42:43], v[42:43]
	s_wait_loadcnt_dscnt 0x0
	v_xor_b32_e32 v42, 0x80000000, v42
	ds_store_b64 v83, v[42:43]
	s_or_b32 exec_lo, exec_lo, s11
	s_and_saveexec_b32 s11, s9
	s_delay_alu instid0(SALU_CYCLE_1)
	s_xor_b32 s11, exec_lo, s11
	s_cbranch_execz .LBB165_21
.LBB165_1066:                           ;   in Loop: Header=BB165_3 Depth=1
	s_mov_b32 s52, exec_lo
	v_readlane_b32 s53, v106, 10
	s_and_b32 s53, s52, s53
	s_delay_alu instid0(SALU_CYCLE_1)
	s_mov_b32 exec_lo, s53
; %bb.1067:                             ;   in Loop: Header=BB165_3 Depth=1
	ds_store_b64 v84, v[24:25]
; %bb.1068:                             ;   in Loop: Header=BB165_3 Depth=1
	s_or_b32 exec_lo, exec_lo, s52
	s_and_not1_saveexec_b32 s11, s11
	s_cbranch_execnz .LBB165_22
	s_branch .LBB165_23
.LBB165_1069:                           ;   in Loop: Header=BB165_3 Depth=1
	ds_load_b64 v[36:37], v93
	ds_load_b64 v[42:43], v85
	s_wait_dscnt 0x0
	v_dual_mul_f32 v44, v43, v37 :: v_dual_mul_f32 v37, v42, v37
	s_delay_alu instid0(VALU_DEP_1) | instskip(NEXT) | instid1(VALU_DEP_1)
	v_dual_fma_f32 v42, v42, v36, -v44 :: v_dual_fmac_f32 v37, v43, v36
	v_dual_add_f32 v36, 0, v42 :: v_dual_add_f32 v37, 0, v37
	s_or_b32 exec_lo, exec_lo, s11
	s_and_saveexec_b32 s11, s1
	s_cbranch_execz .LBB165_1024
.LBB165_1070:                           ;   in Loop: Header=BB165_3 Depth=1
	ds_load_b64 v[42:43], v93 offset:8192
	ds_load_b64 v[44:45], v85 offset:128
	s_wait_dscnt 0x0
	v_dual_mul_f32 v46, v45, v43 :: v_dual_mul_f32 v47, v44, v43
	s_delay_alu instid0(VALU_DEP_1) | instskip(NEXT) | instid1(VALU_DEP_1)
	v_dual_fma_f32 v46, v44, v42, -v46 :: v_dual_fmac_f32 v47, v45, v42
	v_pk_add_f32 v[36:37], v[36:37], v[46:47]
	s_or_b32 exec_lo, exec_lo, s11
	s_and_saveexec_b32 s11, s8
	s_cbranch_execz .LBB165_1025
.LBB165_1071:                           ;   in Loop: Header=BB165_3 Depth=1
	ds_load_b64 v[42:43], v93 offset:16384
	ds_load_b64 v[44:45], v85 offset:256
	s_wait_dscnt 0x0
	v_pk_mul_f32 v[46:47], v[44:45], v[42:43] op_sel:[1,1] op_sel_hi:[0,1]
	s_delay_alu instid0(VALU_DEP_1) | instskip(SKIP_1) | instid1(VALU_DEP_2)
	v_pk_fma_f32 v[98:99], v[44:45], v[42:43], v[46:47] op_sel_hi:[1,0,1]
	v_pk_fma_f32 v[42:43], v[44:45], v[42:43], v[46:47] neg_lo:[0,0,1] neg_hi:[0,0,1]
	v_mov_b32_e32 v43, v99
	s_delay_alu instid0(VALU_DEP_1)
	v_pk_add_f32 v[36:37], v[36:37], v[42:43]
	s_or_b32 exec_lo, exec_lo, s11
	s_and_saveexec_b32 s11, s9
	s_cbranch_execnz .LBB165_1026
	s_branch .LBB165_1027
.LBB165_1072:                           ;   in Loop: Header=BB165_3 Depth=1
	s_or_b32 exec_lo, exec_lo, s52
	s_delay_alu instid0(SALU_CYCLE_1)
	s_and_b32 vcc_lo, exec_lo, s11
	s_cbranch_vccnz .LBB165_1030
.LBB165_1073:                           ;   in Loop: Header=BB165_3 Depth=1
	v_mov_b64_e32 v[40:41], v[42:43]
	s_and_saveexec_b32 s11, s84
	s_cbranch_execnz .LBB165_1051
	s_branch .LBB165_1052
.LBB165_1074:                           ;   in Loop: Header=BB165_3 Depth=1
	s_and_not1_b32 s52, s84, exec_lo
	s_and_b32 s53, s4, exec_lo
	s_delay_alu instid0(SALU_CYCLE_1)
	s_or_b32 s84, s52, s53
	s_cbranch_execnz .LBB165_1050
.LBB165_1075:                           ;   in Loop: Header=BB165_3 Depth=1
	v_readlane_b32 s52, v107, 11
	s_and_not1_b32 s11, s84, exec_lo
	s_and_b32 s52, s52, exec_lo
	s_delay_alu instid0(SALU_CYCLE_1) | instskip(NEXT) | instid1(SALU_CYCLE_1)
	s_or_b32 s84, s11, s52
	s_and_saveexec_b32 s11, s84
	s_cbranch_execnz .LBB165_1051
	s_branch .LBB165_1052
.LBB165_1076:                           ;   in Loop: Header=BB165_3 Depth=1
	ds_load_b64 v[42:43], v57 offset:544
	ds_load_b64 v[44:45], v52 offset:8
	s_wait_dscnt 0x0
	v_dual_mul_f32 v46, v45, v43 :: v_dual_mul_f32 v43, v44, v43
	s_delay_alu instid0(VALU_DEP_1) | instskip(NEXT) | instid1(VALU_DEP_1)
	v_dual_fma_f32 v44, v44, v42, -v46 :: v_dual_fmac_f32 v43, v45, v42
	v_dual_add_f32 v40, v40, v44 :: v_dual_add_f32 v41, v41, v43
	s_or_b32 exec_lo, exec_lo, s52
	s_and_saveexec_b32 s52, s16
	s_cbranch_execz .LBB165_72
.LBB165_1077:                           ;   in Loop: Header=BB165_3 Depth=1
	ds_load_b64 v[42:43], v56 offset:1056
	ds_load_b64 v[44:45], v52 offset:16
	s_wait_dscnt 0x0
	v_dual_mul_f32 v46, v45, v43 :: v_dual_mul_f32 v43, v44, v43
	s_delay_alu instid0(VALU_DEP_1) | instskip(NEXT) | instid1(VALU_DEP_1)
	v_dual_fma_f32 v44, v44, v42, -v46 :: v_dual_fmac_f32 v43, v45, v42
	v_dual_add_f32 v40, v40, v44 :: v_dual_add_f32 v41, v41, v43
	s_or_b32 exec_lo, exec_lo, s52
	s_and_saveexec_b32 s52, s3
	s_cbranch_execnz .LBB165_73
	s_branch .LBB165_74
.LBB165_1078:                           ;   in Loop: Header=BB165_3 Depth=1
	ds_load_b64 v[42:43], v66 offset:576
	ds_load_b64 v[44:45], v61 offset:8
	s_wait_dscnt 0x0
	v_dual_mul_f32 v46, v45, v43 :: v_dual_mul_f32 v43, v44, v43
	s_delay_alu instid0(VALU_DEP_1) | instskip(NEXT) | instid1(VALU_DEP_1)
	v_dual_fma_f32 v44, v44, v42, -v46 :: v_dual_fmac_f32 v43, v45, v42
	v_dual_add_f32 v40, v40, v44 :: v_dual_add_f32 v41, v41, v43
	s_or_b32 exec_lo, exec_lo, s52
	s_and_saveexec_b32 s52, s18
	s_cbranch_execz .LBB165_114
.LBB165_1079:                           ;   in Loop: Header=BB165_3 Depth=1
	ds_load_b64 v[42:43], v66 offset:1088
	ds_load_b64 v[44:45], v61 offset:16
	s_wait_dscnt 0x0
	v_dual_mul_f32 v46, v45, v43 :: v_dual_mul_f32 v43, v44, v43
	s_delay_alu instid0(VALU_DEP_1) | instskip(NEXT) | instid1(VALU_DEP_1)
	v_dual_fma_f32 v44, v44, v42, -v46 :: v_dual_fmac_f32 v43, v45, v42
	v_dual_add_f32 v40, v40, v44 :: v_dual_add_f32 v41, v41, v43
	s_or_b32 exec_lo, exec_lo, s52
	s_and_saveexec_b32 s52, s19
	s_cbranch_execz .LBB165_115
.LBB165_1080:                           ;   in Loop: Header=BB165_3 Depth=1
	ds_load_b64 v[42:43], v66 offset:1600
	ds_load_b64 v[44:45], v61 offset:24
	s_wait_dscnt 0x0
	v_dual_mul_f32 v46, v45, v43 :: v_dual_mul_f32 v43, v44, v43
	s_delay_alu instid0(VALU_DEP_1) | instskip(NEXT) | instid1(VALU_DEP_1)
	v_dual_fma_f32 v44, v44, v42, -v46 :: v_dual_fmac_f32 v43, v45, v42
	v_dual_add_f32 v40, v40, v44 :: v_dual_add_f32 v41, v41, v43
	s_or_b32 exec_lo, exec_lo, s52
	s_and_saveexec_b32 s52, s20
	s_cbranch_execz .LBB165_116
.LBB165_1081:                           ;   in Loop: Header=BB165_3 Depth=1
	ds_load_b64 v[42:43], v65 offset:2112
	ds_load_b64 v[44:45], v61 offset:32
	s_wait_dscnt 0x0
	v_dual_mul_f32 v46, v45, v43 :: v_dual_mul_f32 v43, v44, v43
	s_delay_alu instid0(VALU_DEP_1) | instskip(NEXT) | instid1(VALU_DEP_1)
	v_dual_fma_f32 v44, v44, v42, -v46 :: v_dual_fmac_f32 v43, v45, v42
	v_dual_add_f32 v40, v40, v44 :: v_dual_add_f32 v41, v41, v43
	s_or_b32 exec_lo, exec_lo, s52
	s_and_saveexec_b32 s52, s21
	s_cbranch_execz .LBB165_117
.LBB165_1082:                           ;   in Loop: Header=BB165_3 Depth=1
	ds_load_b64 v[42:43], v66 offset:2624
	ds_load_b64 v[44:45], v61 offset:40
	s_wait_dscnt 0x0
	v_dual_mul_f32 v46, v45, v43 :: v_dual_mul_f32 v47, v44, v43
	s_delay_alu instid0(VALU_DEP_1) | instskip(NEXT) | instid1(VALU_DEP_1)
	v_dual_fma_f32 v46, v44, v42, -v46 :: v_dual_fmac_f32 v47, v45, v42
	v_pk_add_f32 v[40:41], v[40:41], v[46:47]
	s_or_b32 exec_lo, exec_lo, s52
	s_and_saveexec_b32 s52, s5
	s_cbranch_execz .LBB165_118
.LBB165_1083:                           ;   in Loop: Header=BB165_3 Depth=1
	ds_load_b64 v[42:43], v65 offset:3136
	ds_load_b64 v[44:45], v61 offset:48
	s_wait_dscnt 0x0
	v_pk_mul_f32 v[46:47], v[44:45], v[42:43] op_sel:[1,1] op_sel_hi:[0,1]
	s_delay_alu instid0(VALU_DEP_1) | instskip(SKIP_1) | instid1(VALU_DEP_2)
	v_pk_fma_f32 v[98:99], v[44:45], v[42:43], v[46:47] op_sel_hi:[1,0,1]
	v_pk_fma_f32 v[42:43], v[44:45], v[42:43], v[46:47] neg_lo:[0,0,1] neg_hi:[0,0,1]
	v_mov_b32_e32 v43, v99
	s_delay_alu instid0(VALU_DEP_1)
	v_pk_add_f32 v[40:41], v[40:41], v[42:43]
	s_or_b32 exec_lo, exec_lo, s52
	s_and_saveexec_b32 s52, s16
	s_cbranch_execnz .LBB165_119
	s_branch .LBB165_120
.LBB165_1084:                           ;   in Loop: Header=BB165_3 Depth=1
	ds_load_b64 v[42:43], v57 offset:4704
	ds_load_b64 v[44:45], v52 offset:4168
	s_wait_dscnt 0x0
	v_dual_mul_f32 v46, v45, v43 :: v_dual_mul_f32 v43, v44, v43
	s_delay_alu instid0(VALU_DEP_1) | instskip(NEXT) | instid1(VALU_DEP_1)
	v_dual_fma_f32 v44, v44, v42, -v46 :: v_dual_fmac_f32 v43, v45, v42
	v_dual_add_f32 v40, v40, v44 :: v_dual_add_f32 v41, v41, v43
	s_or_b32 exec_lo, exec_lo, s52
	s_and_saveexec_b32 s52, s16
	s_cbranch_execz .LBB165_176
.LBB165_1085:                           ;   in Loop: Header=BB165_3 Depth=1
	ds_load_b64 v[42:43], v56 offset:5216
	ds_load_b64 v[44:45], v52 offset:4176
	s_wait_dscnt 0x0
	v_dual_mul_f32 v46, v45, v43 :: v_dual_mul_f32 v43, v44, v43
	s_delay_alu instid0(VALU_DEP_1) | instskip(NEXT) | instid1(VALU_DEP_1)
	v_dual_fma_f32 v44, v44, v42, -v46 :: v_dual_fmac_f32 v43, v45, v42
	v_dual_add_f32 v40, v40, v44 :: v_dual_add_f32 v41, v41, v43
	s_or_b32 exec_lo, exec_lo, s52
	s_and_saveexec_b32 s52, s3
	s_cbranch_execnz .LBB165_177
	s_branch .LBB165_178
.LBB165_1086:                           ;   in Loop: Header=BB165_3 Depth=1
	ds_load_b64 v[42:43], v77 offset:5760
	ds_load_b64 v[44:45], v72 offset:88
	s_wait_dscnt 0x0
	v_dual_mul_f32 v46, v45, v43 :: v_dual_mul_f32 v43, v44, v43
	s_delay_alu instid0(VALU_DEP_1) | instskip(NEXT) | instid1(VALU_DEP_1)
	v_dual_fma_f32 v44, v44, v42, -v46 :: v_dual_fmac_f32 v43, v45, v42
	v_dual_add_f32 v40, v40, v44 :: v_dual_add_f32 v41, v41, v43
	s_or_b32 exec_lo, exec_lo, s11
	s_and_saveexec_b32 s11, s6
	s_cbranch_execz .LBB165_238
.LBB165_1087:                           ;   in Loop: Header=BB165_3 Depth=1
	ds_load_b64 v[42:43], v76 offset:6272
	ds_load_b64 v[44:45], v72 offset:96
	s_wait_dscnt 0x0
	v_dual_mul_f32 v46, v45, v43 :: v_dual_mul_f32 v43, v44, v43
	s_delay_alu instid0(VALU_DEP_1) | instskip(NEXT) | instid1(VALU_DEP_1)
	v_dual_fma_f32 v44, v44, v42, -v46 :: v_dual_fmac_f32 v43, v45, v42
	v_dual_add_f32 v40, v40, v44 :: v_dual_add_f32 v41, v41, v43
	s_or_b32 exec_lo, exec_lo, s11
	s_and_saveexec_b32 s11, s18
	s_cbranch_execz .LBB165_239
.LBB165_1088:                           ;   in Loop: Header=BB165_3 Depth=1
	ds_load_b64 v[42:43], v77 offset:6784
	ds_load_b64 v[44:45], v72 offset:104
	s_wait_dscnt 0x0
	v_dual_mul_f32 v46, v45, v43 :: v_dual_mul_f32 v43, v44, v43
	s_delay_alu instid0(VALU_DEP_1) | instskip(NEXT) | instid1(VALU_DEP_1)
	v_dual_fma_f32 v44, v44, v42, -v46 :: v_dual_fmac_f32 v43, v45, v42
	v_dual_add_f32 v40, v40, v44 :: v_dual_add_f32 v41, v41, v43
	s_or_b32 exec_lo, exec_lo, s11
	s_and_saveexec_b32 s11, s20
	s_cbranch_execz .LBB165_240
.LBB165_1089:                           ;   in Loop: Header=BB165_3 Depth=1
	ds_load_b64 v[42:43], v76 offset:7296
	ds_load_b64 v[44:45], v72 offset:112
	s_wait_dscnt 0x0
	v_dual_mul_f32 v46, v45, v43 :: v_dual_mul_f32 v43, v44, v43
	s_delay_alu instid0(VALU_DEP_1) | instskip(NEXT) | instid1(VALU_DEP_1)
	v_dual_fma_f32 v44, v44, v42, -v46 :: v_dual_fmac_f32 v43, v45, v42
	v_dual_add_f32 v40, v40, v44 :: v_dual_add_f32 v41, v41, v43
	s_or_b32 exec_lo, exec_lo, s11
	s_and_saveexec_b32 s11, s5
	s_cbranch_execnz .LBB165_241
	s_branch .LBB165_242
.LBB165_1090:                           ;   in Loop: Header=BB165_3 Depth=1
	ds_load_b64 v[42:43], v57 offset:8864
	ds_load_b64 v[44:45], v52 offset:8328
	s_wait_dscnt 0x0
	v_dual_mul_f32 v46, v45, v43 :: v_dual_mul_f32 v43, v44, v43
	s_delay_alu instid0(VALU_DEP_1) | instskip(NEXT) | instid1(VALU_DEP_1)
	v_dual_fma_f32 v44, v44, v42, -v46 :: v_dual_fmac_f32 v43, v45, v42
	v_dual_add_f32 v40, v40, v44 :: v_dual_add_f32 v41, v41, v43
	s_or_b32 exec_lo, exec_lo, s52
	s_and_saveexec_b32 s52, s16
	s_cbranch_execz .LBB165_330
.LBB165_1091:                           ;   in Loop: Header=BB165_3 Depth=1
	ds_load_b64 v[42:43], v56 offset:9376
	ds_load_b64 v[44:45], v52 offset:8336
	s_wait_dscnt 0x0
	v_dual_mul_f32 v46, v45, v43 :: v_dual_mul_f32 v43, v44, v43
	s_delay_alu instid0(VALU_DEP_1) | instskip(NEXT) | instid1(VALU_DEP_1)
	v_dual_fma_f32 v44, v44, v42, -v46 :: v_dual_fmac_f32 v43, v45, v42
	v_dual_add_f32 v40, v40, v44 :: v_dual_add_f32 v41, v41, v43
	s_or_b32 exec_lo, exec_lo, s52
	s_and_saveexec_b32 s52, s3
	s_cbranch_execnz .LBB165_331
	s_branch .LBB165_332
.LBB165_1092:                           ;   in Loop: Header=BB165_3 Depth=1
	ds_load_b64 v[42:43], v66 offset:8896
	ds_load_b64 v[44:45], v61 offset:8328
	s_wait_dscnt 0x0
	v_dual_mul_f32 v46, v45, v43 :: v_dual_mul_f32 v43, v44, v43
	s_delay_alu instid0(VALU_DEP_1) | instskip(NEXT) | instid1(VALU_DEP_1)
	v_dual_fma_f32 v44, v44, v42, -v46 :: v_dual_fmac_f32 v43, v45, v42
	v_dual_add_f32 v40, v40, v44 :: v_dual_add_f32 v41, v41, v43
	s_or_b32 exec_lo, exec_lo, s52
	s_and_saveexec_b32 s52, s18
	s_cbranch_execz .LBB165_372
.LBB165_1093:                           ;   in Loop: Header=BB165_3 Depth=1
	ds_load_b64 v[42:43], v66 offset:9408
	ds_load_b64 v[44:45], v61 offset:8336
	s_wait_dscnt 0x0
	v_dual_mul_f32 v46, v45, v43 :: v_dual_mul_f32 v43, v44, v43
	s_delay_alu instid0(VALU_DEP_1) | instskip(NEXT) | instid1(VALU_DEP_1)
	v_dual_fma_f32 v44, v44, v42, -v46 :: v_dual_fmac_f32 v43, v45, v42
	v_dual_add_f32 v40, v40, v44 :: v_dual_add_f32 v41, v41, v43
	s_or_b32 exec_lo, exec_lo, s52
	s_and_saveexec_b32 s52, s19
	s_cbranch_execz .LBB165_373
.LBB165_1094:                           ;   in Loop: Header=BB165_3 Depth=1
	ds_load_b64 v[42:43], v66 offset:9920
	ds_load_b64 v[44:45], v61 offset:8344
	s_wait_dscnt 0x0
	v_dual_mul_f32 v46, v45, v43 :: v_dual_mul_f32 v43, v44, v43
	s_delay_alu instid0(VALU_DEP_1) | instskip(NEXT) | instid1(VALU_DEP_1)
	v_dual_fma_f32 v44, v44, v42, -v46 :: v_dual_fmac_f32 v43, v45, v42
	v_dual_add_f32 v40, v40, v44 :: v_dual_add_f32 v41, v41, v43
	s_or_b32 exec_lo, exec_lo, s52
	s_and_saveexec_b32 s52, s20
	s_cbranch_execz .LBB165_374
.LBB165_1095:                           ;   in Loop: Header=BB165_3 Depth=1
	ds_load_b64 v[42:43], v65 offset:10432
	ds_load_b64 v[44:45], v61 offset:8352
	s_wait_dscnt 0x0
	v_dual_mul_f32 v46, v45, v43 :: v_dual_mul_f32 v43, v44, v43
	s_delay_alu instid0(VALU_DEP_1) | instskip(NEXT) | instid1(VALU_DEP_1)
	v_dual_fma_f32 v44, v44, v42, -v46 :: v_dual_fmac_f32 v43, v45, v42
	v_dual_add_f32 v40, v40, v44 :: v_dual_add_f32 v41, v41, v43
	s_or_b32 exec_lo, exec_lo, s52
	s_and_saveexec_b32 s52, s21
	s_cbranch_execz .LBB165_375
.LBB165_1096:                           ;   in Loop: Header=BB165_3 Depth=1
	ds_load_b64 v[42:43], v66 offset:10944
	ds_load_b64 v[44:45], v61 offset:8360
	s_wait_dscnt 0x0
	v_dual_mul_f32 v46, v45, v43 :: v_dual_mul_f32 v47, v44, v43
	s_delay_alu instid0(VALU_DEP_1) | instskip(NEXT) | instid1(VALU_DEP_1)
	v_dual_fma_f32 v46, v44, v42, -v46 :: v_dual_fmac_f32 v47, v45, v42
	v_pk_add_f32 v[40:41], v[40:41], v[46:47]
	s_or_b32 exec_lo, exec_lo, s52
	s_and_saveexec_b32 s52, s5
	s_cbranch_execz .LBB165_376
.LBB165_1097:                           ;   in Loop: Header=BB165_3 Depth=1
	ds_load_b64 v[42:43], v65 offset:11456
	ds_load_b64 v[44:45], v61 offset:8368
	s_wait_dscnt 0x0
	v_pk_mul_f32 v[46:47], v[44:45], v[42:43] op_sel:[1,1] op_sel_hi:[0,1]
	s_delay_alu instid0(VALU_DEP_1) | instskip(SKIP_1) | instid1(VALU_DEP_2)
	v_pk_fma_f32 v[98:99], v[44:45], v[42:43], v[46:47] op_sel_hi:[1,0,1]
	v_pk_fma_f32 v[42:43], v[44:45], v[42:43], v[46:47] neg_lo:[0,0,1] neg_hi:[0,0,1]
	v_mov_b32_e32 v43, v99
	s_delay_alu instid0(VALU_DEP_1)
	v_pk_add_f32 v[40:41], v[40:41], v[42:43]
	s_or_b32 exec_lo, exec_lo, s52
	s_and_saveexec_b32 s52, s16
	s_cbranch_execnz .LBB165_377
	s_branch .LBB165_378
.LBB165_1098:                           ;   in Loop: Header=BB165_3 Depth=1
	ds_load_b64 v[42:43], v57 offset:13024
	ds_load_b64 v[44:45], v52 offset:12488
	s_wait_dscnt 0x0
	v_dual_mul_f32 v46, v45, v43 :: v_dual_mul_f32 v43, v44, v43
	s_delay_alu instid0(VALU_DEP_1) | instskip(NEXT) | instid1(VALU_DEP_1)
	v_dual_fma_f32 v44, v44, v42, -v46 :: v_dual_fmac_f32 v43, v45, v42
	v_dual_add_f32 v40, v40, v44 :: v_dual_add_f32 v41, v41, v43
	s_or_b32 exec_lo, exec_lo, s52
	s_and_saveexec_b32 s52, s16
	s_cbranch_execz .LBB165_434
.LBB165_1099:                           ;   in Loop: Header=BB165_3 Depth=1
	ds_load_b64 v[42:43], v56 offset:13536
	ds_load_b64 v[44:45], v52 offset:12496
	s_wait_dscnt 0x0
	v_dual_mul_f32 v46, v45, v43 :: v_dual_mul_f32 v43, v44, v43
	s_delay_alu instid0(VALU_DEP_1) | instskip(NEXT) | instid1(VALU_DEP_1)
	v_dual_fma_f32 v44, v44, v42, -v46 :: v_dual_fmac_f32 v43, v45, v42
	v_dual_add_f32 v40, v40, v44 :: v_dual_add_f32 v41, v41, v43
	s_or_b32 exec_lo, exec_lo, s52
	s_and_saveexec_b32 s52, s3
	s_cbranch_execnz .LBB165_435
	s_branch .LBB165_436
.LBB165_1100:                           ;   in Loop: Header=BB165_3 Depth=1
	ds_load_b64 v[44:45], v43 offset:15104
	ds_load_b64 v[46:47], v42 offset:232
	s_wait_dscnt 0x0
	v_pk_mul_f32 v[98:99], v[46:47], v[44:45] op_sel:[1,1] op_sel_hi:[0,1]
	s_delay_alu instid0(VALU_DEP_1) | instskip(SKIP_1) | instid1(VALU_DEP_2)
	v_pk_fma_f32 v[100:101], v[46:47], v[44:45], v[98:99] op_sel_hi:[1,0,1]
	v_pk_fma_f32 v[44:45], v[46:47], v[44:45], v[98:99] neg_lo:[0,0,1] neg_hi:[0,0,1]
	v_mov_b32_e32 v45, v101
	s_delay_alu instid0(VALU_DEP_1)
	v_pk_add_f32 v[40:41], v[40:41], v[44:45]
	s_or_b32 exec_lo, exec_lo, s11
	s_and_saveexec_b32 s11, s6
	s_cbranch_execz .LBB165_532
.LBB165_1101:                           ;   in Loop: Header=BB165_3 Depth=1
	ds_load_b64 v[44:45], v43 offset:15616
	ds_load_b64 v[46:47], v42 offset:240
	s_wait_dscnt 0x0
	v_pk_mul_f32 v[98:99], v[46:47], v[44:45] op_sel:[1,1] op_sel_hi:[0,1]
	s_delay_alu instid0(VALU_DEP_1) | instskip(SKIP_1) | instid1(VALU_DEP_2)
	v_pk_fma_f32 v[100:101], v[46:47], v[44:45], v[98:99] op_sel_hi:[1,0,1]
	v_pk_fma_f32 v[44:45], v[46:47], v[44:45], v[98:99] neg_lo:[0,0,1] neg_hi:[0,0,1]
	v_mov_b32_e32 v45, v101
	s_delay_alu instid0(VALU_DEP_1)
	v_pk_add_f32 v[40:41], v[40:41], v[44:45]
	s_or_b32 exec_lo, exec_lo, s11
	s_and_saveexec_b32 s11, s20
	s_cbranch_execnz .LBB165_533
	s_branch .LBB165_534
.LBB165_1102:                           ;   in Loop: Header=BB165_3 Depth=1
	ds_load_b64 v[42:43], v57 offset:17184
	ds_load_b64 v[44:45], v52 offset:16648
	s_wait_dscnt 0x0
	v_dual_mul_f32 v46, v45, v43 :: v_dual_mul_f32 v43, v44, v43
	s_delay_alu instid0(VALU_DEP_1) | instskip(NEXT) | instid1(VALU_DEP_1)
	v_dual_fma_f32 v44, v44, v42, -v46 :: v_dual_fmac_f32 v43, v45, v42
	v_dual_add_f32 v40, v40, v44 :: v_dual_add_f32 v41, v41, v43
	s_or_b32 exec_lo, exec_lo, s52
	s_and_saveexec_b32 s52, s16
	s_cbranch_execz .LBB165_578
.LBB165_1103:                           ;   in Loop: Header=BB165_3 Depth=1
	ds_load_b64 v[42:43], v56 offset:17696
	ds_load_b64 v[44:45], v52 offset:16656
	s_wait_dscnt 0x0
	v_dual_mul_f32 v46, v45, v43 :: v_dual_mul_f32 v43, v44, v43
	s_delay_alu instid0(VALU_DEP_1) | instskip(NEXT) | instid1(VALU_DEP_1)
	v_dual_fma_f32 v44, v44, v42, -v46 :: v_dual_fmac_f32 v43, v45, v42
	v_dual_add_f32 v40, v40, v44 :: v_dual_add_f32 v41, v41, v43
	s_or_b32 exec_lo, exec_lo, s52
	s_and_saveexec_b32 s52, s3
	s_cbranch_execnz .LBB165_579
	s_branch .LBB165_580
.LBB165_1104:                           ;   in Loop: Header=BB165_3 Depth=1
	ds_load_b64 v[42:43], v66 offset:17216
	ds_load_b64 v[44:45], v61 offset:16648
	s_wait_dscnt 0x0
	v_dual_mul_f32 v46, v45, v43 :: v_dual_mul_f32 v43, v44, v43
	s_delay_alu instid0(VALU_DEP_1) | instskip(NEXT) | instid1(VALU_DEP_1)
	v_dual_fma_f32 v44, v44, v42, -v46 :: v_dual_fmac_f32 v43, v45, v42
	v_dual_add_f32 v40, v40, v44 :: v_dual_add_f32 v41, v41, v43
	s_or_b32 exec_lo, exec_lo, s52
	s_and_saveexec_b32 s52, s18
	s_cbranch_execz .LBB165_620
.LBB165_1105:                           ;   in Loop: Header=BB165_3 Depth=1
	ds_load_b64 v[42:43], v66 offset:17728
	ds_load_b64 v[44:45], v61 offset:16656
	s_wait_dscnt 0x0
	v_dual_mul_f32 v46, v45, v43 :: v_dual_mul_f32 v43, v44, v43
	s_delay_alu instid0(VALU_DEP_1) | instskip(NEXT) | instid1(VALU_DEP_1)
	v_dual_fma_f32 v44, v44, v42, -v46 :: v_dual_fmac_f32 v43, v45, v42
	v_dual_add_f32 v40, v40, v44 :: v_dual_add_f32 v41, v41, v43
	s_or_b32 exec_lo, exec_lo, s52
	s_and_saveexec_b32 s52, s19
	s_cbranch_execz .LBB165_621
.LBB165_1106:                           ;   in Loop: Header=BB165_3 Depth=1
	ds_load_b64 v[42:43], v66 offset:18240
	ds_load_b64 v[44:45], v61 offset:16664
	s_wait_dscnt 0x0
	v_dual_mul_f32 v46, v45, v43 :: v_dual_mul_f32 v43, v44, v43
	s_delay_alu instid0(VALU_DEP_1) | instskip(NEXT) | instid1(VALU_DEP_1)
	v_dual_fma_f32 v44, v44, v42, -v46 :: v_dual_fmac_f32 v43, v45, v42
	v_dual_add_f32 v40, v40, v44 :: v_dual_add_f32 v41, v41, v43
	s_or_b32 exec_lo, exec_lo, s52
	s_and_saveexec_b32 s52, s20
	s_cbranch_execz .LBB165_622
.LBB165_1107:                           ;   in Loop: Header=BB165_3 Depth=1
	ds_load_b64 v[42:43], v65 offset:18752
	ds_load_b64 v[44:45], v61 offset:16672
	s_wait_dscnt 0x0
	v_dual_mul_f32 v46, v45, v43 :: v_dual_mul_f32 v43, v44, v43
	s_delay_alu instid0(VALU_DEP_1) | instskip(NEXT) | instid1(VALU_DEP_1)
	v_dual_fma_f32 v44, v44, v42, -v46 :: v_dual_fmac_f32 v43, v45, v42
	v_dual_add_f32 v40, v40, v44 :: v_dual_add_f32 v41, v41, v43
	s_or_b32 exec_lo, exec_lo, s52
	s_and_saveexec_b32 s52, s21
	s_cbranch_execz .LBB165_623
.LBB165_1108:                           ;   in Loop: Header=BB165_3 Depth=1
	ds_load_b64 v[42:43], v66 offset:19264
	ds_load_b64 v[44:45], v61 offset:16680
	s_wait_dscnt 0x0
	v_dual_mul_f32 v46, v45, v43 :: v_dual_mul_f32 v47, v44, v43
	s_delay_alu instid0(VALU_DEP_1) | instskip(NEXT) | instid1(VALU_DEP_1)
	v_dual_fma_f32 v46, v44, v42, -v46 :: v_dual_fmac_f32 v47, v45, v42
	v_pk_add_f32 v[40:41], v[40:41], v[46:47]
	s_or_b32 exec_lo, exec_lo, s52
	s_and_saveexec_b32 s52, s5
	s_cbranch_execz .LBB165_624
.LBB165_1109:                           ;   in Loop: Header=BB165_3 Depth=1
	ds_load_b64 v[42:43], v65 offset:19776
	ds_load_b64 v[44:45], v61 offset:16688
	s_wait_dscnt 0x0
	v_pk_mul_f32 v[46:47], v[44:45], v[42:43] op_sel:[1,1] op_sel_hi:[0,1]
	s_delay_alu instid0(VALU_DEP_1) | instskip(SKIP_1) | instid1(VALU_DEP_2)
	v_pk_fma_f32 v[98:99], v[44:45], v[42:43], v[46:47] op_sel_hi:[1,0,1]
	v_pk_fma_f32 v[42:43], v[44:45], v[42:43], v[46:47] neg_lo:[0,0,1] neg_hi:[0,0,1]
	v_mov_b32_e32 v43, v99
	s_delay_alu instid0(VALU_DEP_1)
	v_pk_add_f32 v[40:41], v[40:41], v[42:43]
	s_or_b32 exec_lo, exec_lo, s52
	s_and_saveexec_b32 s52, s16
	s_cbranch_execnz .LBB165_625
	s_branch .LBB165_626
.LBB165_1110:                           ;   in Loop: Header=BB165_3 Depth=1
	ds_load_b64 v[42:43], v57 offset:21344
	ds_load_b64 v[44:45], v52 offset:20808
	s_wait_dscnt 0x0
	v_dual_mul_f32 v46, v45, v43 :: v_dual_mul_f32 v43, v44, v43
	s_delay_alu instid0(VALU_DEP_1) | instskip(NEXT) | instid1(VALU_DEP_1)
	v_dual_fma_f32 v44, v44, v42, -v46 :: v_dual_fmac_f32 v43, v45, v42
	v_dual_add_f32 v40, v40, v44 :: v_dual_add_f32 v41, v41, v43
	s_or_b32 exec_lo, exec_lo, s52
	s_and_saveexec_b32 s52, s16
	s_cbranch_execz .LBB165_682
.LBB165_1111:                           ;   in Loop: Header=BB165_3 Depth=1
	ds_load_b64 v[42:43], v56 offset:21856
	ds_load_b64 v[44:45], v52 offset:20816
	s_wait_dscnt 0x0
	v_dual_mul_f32 v46, v45, v43 :: v_dual_mul_f32 v43, v44, v43
	s_delay_alu instid0(VALU_DEP_1) | instskip(NEXT) | instid1(VALU_DEP_1)
	v_dual_fma_f32 v44, v44, v42, -v46 :: v_dual_fmac_f32 v43, v45, v42
	v_dual_add_f32 v40, v40, v44 :: v_dual_add_f32 v41, v41, v43
	s_or_b32 exec_lo, exec_lo, s52
	s_and_saveexec_b32 s52, s3
	s_cbranch_execnz .LBB165_683
	s_branch .LBB165_684
.LBB165_1112:                           ;   in Loop: Header=BB165_3 Depth=1
	ds_load_b64 v[42:43], v77 offset:22400
	ds_load_b64 v[44:45], v72 offset:16728
	s_wait_dscnt 0x0
	v_dual_mul_f32 v46, v45, v43 :: v_dual_mul_f32 v43, v44, v43
	s_delay_alu instid0(VALU_DEP_1) | instskip(NEXT) | instid1(VALU_DEP_1)
	v_dual_fma_f32 v44, v44, v42, -v46 :: v_dual_fmac_f32 v43, v45, v42
	v_dual_add_f32 v40, v40, v44 :: v_dual_add_f32 v41, v41, v43
	s_or_b32 exec_lo, exec_lo, s11
	s_and_saveexec_b32 s11, s6
	s_cbranch_execz .LBB165_744
.LBB165_1113:                           ;   in Loop: Header=BB165_3 Depth=1
	ds_load_b64 v[42:43], v76 offset:22912
	ds_load_b64 v[44:45], v72 offset:16736
	s_wait_dscnt 0x0
	v_dual_mul_f32 v46, v45, v43 :: v_dual_mul_f32 v43, v44, v43
	s_delay_alu instid0(VALU_DEP_1) | instskip(NEXT) | instid1(VALU_DEP_1)
	v_dual_fma_f32 v44, v44, v42, -v46 :: v_dual_fmac_f32 v43, v45, v42
	v_dual_add_f32 v40, v40, v44 :: v_dual_add_f32 v41, v41, v43
	s_or_b32 exec_lo, exec_lo, s11
	s_and_saveexec_b32 s11, s18
	s_cbranch_execz .LBB165_745
.LBB165_1114:                           ;   in Loop: Header=BB165_3 Depth=1
	ds_load_b64 v[42:43], v77 offset:23424
	ds_load_b64 v[44:45], v72 offset:16744
	s_wait_dscnt 0x0
	v_dual_mul_f32 v46, v45, v43 :: v_dual_mul_f32 v43, v44, v43
	s_delay_alu instid0(VALU_DEP_1) | instskip(NEXT) | instid1(VALU_DEP_1)
	v_dual_fma_f32 v44, v44, v42, -v46 :: v_dual_fmac_f32 v43, v45, v42
	v_dual_add_f32 v40, v40, v44 :: v_dual_add_f32 v41, v41, v43
	s_or_b32 exec_lo, exec_lo, s11
	s_and_saveexec_b32 s11, s20
	s_cbranch_execz .LBB165_746
.LBB165_1115:                           ;   in Loop: Header=BB165_3 Depth=1
	ds_load_b64 v[42:43], v76 offset:23936
	ds_load_b64 v[44:45], v72 offset:16752
	s_wait_dscnt 0x0
	v_dual_mul_f32 v46, v45, v43 :: v_dual_mul_f32 v43, v44, v43
	s_delay_alu instid0(VALU_DEP_1) | instskip(NEXT) | instid1(VALU_DEP_1)
	v_dual_fma_f32 v44, v44, v42, -v46 :: v_dual_fmac_f32 v43, v45, v42
	v_dual_add_f32 v40, v40, v44 :: v_dual_add_f32 v41, v41, v43
	s_or_b32 exec_lo, exec_lo, s11
	s_and_saveexec_b32 s11, s5
	s_cbranch_execnz .LBB165_747
	s_branch .LBB165_748
.LBB165_1116:                           ;   in Loop: Header=BB165_3 Depth=1
	ds_load_b64 v[42:43], v57 offset:25504
	ds_load_b64 v[44:45], v52 offset:24968
	s_wait_dscnt 0x0
	v_dual_mul_f32 v46, v45, v43 :: v_dual_mul_f32 v43, v44, v43
	s_delay_alu instid0(VALU_DEP_1) | instskip(NEXT) | instid1(VALU_DEP_1)
	v_dual_fma_f32 v44, v44, v42, -v46 :: v_dual_fmac_f32 v43, v45, v42
	v_dual_add_f32 v40, v40, v44 :: v_dual_add_f32 v41, v41, v43
	s_or_b32 exec_lo, exec_lo, s52
	s_and_saveexec_b32 s52, s16
	s_cbranch_execz .LBB165_836
.LBB165_1117:                           ;   in Loop: Header=BB165_3 Depth=1
	ds_load_b64 v[42:43], v56 offset:26016
	ds_load_b64 v[44:45], v52 offset:24976
	s_wait_dscnt 0x0
	v_dual_mul_f32 v46, v45, v43 :: v_dual_mul_f32 v43, v44, v43
	s_delay_alu instid0(VALU_DEP_1) | instskip(NEXT) | instid1(VALU_DEP_1)
	v_dual_fma_f32 v44, v44, v42, -v46 :: v_dual_fmac_f32 v43, v45, v42
	v_dual_add_f32 v40, v40, v44 :: v_dual_add_f32 v41, v41, v43
	s_or_b32 exec_lo, exec_lo, s52
	s_and_saveexec_b32 s52, s3
	s_cbranch_execnz .LBB165_837
	s_branch .LBB165_838
.LBB165_1118:                           ;   in Loop: Header=BB165_3 Depth=1
	ds_load_b64 v[42:43], v66 offset:25536
	ds_load_b64 v[44:45], v61 offset:24968
	s_wait_dscnt 0x0
	v_dual_mul_f32 v46, v45, v43 :: v_dual_mul_f32 v43, v44, v43
	s_delay_alu instid0(VALU_DEP_1) | instskip(NEXT) | instid1(VALU_DEP_1)
	v_dual_fma_f32 v44, v44, v42, -v46 :: v_dual_fmac_f32 v43, v45, v42
	v_dual_add_f32 v40, v40, v44 :: v_dual_add_f32 v41, v41, v43
	s_or_b32 exec_lo, exec_lo, s52
	s_and_saveexec_b32 s52, s18
	s_cbranch_execz .LBB165_878
.LBB165_1119:                           ;   in Loop: Header=BB165_3 Depth=1
	ds_load_b64 v[42:43], v66 offset:26048
	ds_load_b64 v[44:45], v61 offset:24976
	s_wait_dscnt 0x0
	v_dual_mul_f32 v46, v45, v43 :: v_dual_mul_f32 v43, v44, v43
	s_delay_alu instid0(VALU_DEP_1) | instskip(NEXT) | instid1(VALU_DEP_1)
	v_dual_fma_f32 v44, v44, v42, -v46 :: v_dual_fmac_f32 v43, v45, v42
	v_dual_add_f32 v40, v40, v44 :: v_dual_add_f32 v41, v41, v43
	s_or_b32 exec_lo, exec_lo, s52
	s_and_saveexec_b32 s52, s19
	s_cbranch_execz .LBB165_879
.LBB165_1120:                           ;   in Loop: Header=BB165_3 Depth=1
	ds_load_b64 v[42:43], v66 offset:26560
	ds_load_b64 v[44:45], v61 offset:24984
	s_wait_dscnt 0x0
	v_dual_mul_f32 v46, v45, v43 :: v_dual_mul_f32 v43, v44, v43
	s_delay_alu instid0(VALU_DEP_1) | instskip(NEXT) | instid1(VALU_DEP_1)
	v_dual_fma_f32 v44, v44, v42, -v46 :: v_dual_fmac_f32 v43, v45, v42
	v_dual_add_f32 v40, v40, v44 :: v_dual_add_f32 v41, v41, v43
	s_or_b32 exec_lo, exec_lo, s52
	s_and_saveexec_b32 s52, s20
	s_cbranch_execz .LBB165_880
.LBB165_1121:                           ;   in Loop: Header=BB165_3 Depth=1
	ds_load_b64 v[42:43], v65 offset:27072
	ds_load_b64 v[44:45], v61 offset:24992
	s_wait_dscnt 0x0
	v_dual_mul_f32 v46, v45, v43 :: v_dual_mul_f32 v43, v44, v43
	s_delay_alu instid0(VALU_DEP_1) | instskip(NEXT) | instid1(VALU_DEP_1)
	v_dual_fma_f32 v44, v44, v42, -v46 :: v_dual_fmac_f32 v43, v45, v42
	v_dual_add_f32 v40, v40, v44 :: v_dual_add_f32 v41, v41, v43
	s_or_b32 exec_lo, exec_lo, s52
	s_and_saveexec_b32 s52, s21
	s_cbranch_execz .LBB165_881
.LBB165_1122:                           ;   in Loop: Header=BB165_3 Depth=1
	ds_load_b64 v[42:43], v66 offset:27584
	ds_load_b64 v[44:45], v61 offset:25000
	s_wait_dscnt 0x0
	v_dual_mul_f32 v46, v45, v43 :: v_dual_mul_f32 v47, v44, v43
	s_delay_alu instid0(VALU_DEP_1) | instskip(NEXT) | instid1(VALU_DEP_1)
	v_dual_fma_f32 v46, v44, v42, -v46 :: v_dual_fmac_f32 v47, v45, v42
	v_pk_add_f32 v[40:41], v[40:41], v[46:47]
	s_or_b32 exec_lo, exec_lo, s52
	s_and_saveexec_b32 s52, s5
	s_cbranch_execz .LBB165_882
.LBB165_1123:                           ;   in Loop: Header=BB165_3 Depth=1
	ds_load_b64 v[42:43], v65 offset:28096
	ds_load_b64 v[44:45], v61 offset:25008
	s_wait_dscnt 0x0
	v_pk_mul_f32 v[46:47], v[44:45], v[42:43] op_sel:[1,1] op_sel_hi:[0,1]
	s_delay_alu instid0(VALU_DEP_1) | instskip(SKIP_1) | instid1(VALU_DEP_2)
	v_pk_fma_f32 v[98:99], v[44:45], v[42:43], v[46:47] op_sel_hi:[1,0,1]
	v_pk_fma_f32 v[42:43], v[44:45], v[42:43], v[46:47] neg_lo:[0,0,1] neg_hi:[0,0,1]
	v_mov_b32_e32 v43, v99
	s_delay_alu instid0(VALU_DEP_1)
	v_pk_add_f32 v[40:41], v[40:41], v[42:43]
	s_or_b32 exec_lo, exec_lo, s52
	s_and_saveexec_b32 s52, s16
	s_cbranch_execnz .LBB165_883
	s_branch .LBB165_884
.LBB165_1124:                           ;   in Loop: Header=BB165_3 Depth=1
	ds_load_b64 v[42:43], v57 offset:29664
	ds_load_b64 v[44:45], v52 offset:29128
	s_wait_dscnt 0x0
	v_dual_mul_f32 v46, v45, v43 :: v_dual_mul_f32 v43, v44, v43
	s_delay_alu instid0(VALU_DEP_1) | instskip(NEXT) | instid1(VALU_DEP_1)
	v_dual_fma_f32 v44, v44, v42, -v46 :: v_dual_fmac_f32 v43, v45, v42
	v_dual_add_f32 v40, v40, v44 :: v_dual_add_f32 v41, v41, v43
	s_or_b32 exec_lo, exec_lo, s52
	s_and_saveexec_b32 s52, s16
	s_cbranch_execz .LBB165_940
.LBB165_1125:                           ;   in Loop: Header=BB165_3 Depth=1
	ds_load_b64 v[42:43], v56 offset:30176
	ds_load_b64 v[44:45], v52 offset:29136
	s_wait_dscnt 0x0
	v_dual_mul_f32 v46, v45, v43 :: v_dual_mul_f32 v43, v44, v43
	s_delay_alu instid0(VALU_DEP_1) | instskip(NEXT) | instid1(VALU_DEP_1)
	v_dual_fma_f32 v44, v44, v42, -v46 :: v_dual_fmac_f32 v43, v45, v42
	v_dual_add_f32 v40, v40, v44 :: v_dual_add_f32 v41, v41, v43
	s_or_b32 exec_lo, exec_lo, s52
	s_and_saveexec_b32 s52, s3
	s_cbranch_execnz .LBB165_941
	s_branch .LBB165_942
.LBB165_1126:
	s_endpgm
	.section	.rodata,"a",@progbits
	.p2align	6, 0x0
	.amdhsa_kernel _ZL19rocblas_trsv_deviceILi64ELi16ELb1ELb1ELb1ELb1E19rocblas_complex_numIfES1_PKPKS1_PKPS1_EviT7_lllT6_T8_lllPii
		.amdhsa_group_segment_fixed_size 41480
		.amdhsa_private_segment_fixed_size 0
		.amdhsa_kernarg_size 352
		.amdhsa_user_sgpr_count 2
		.amdhsa_user_sgpr_dispatch_ptr 0
		.amdhsa_user_sgpr_queue_ptr 0
		.amdhsa_user_sgpr_kernarg_segment_ptr 1
		.amdhsa_user_sgpr_dispatch_id 0
		.amdhsa_user_sgpr_kernarg_preload_length 0
		.amdhsa_user_sgpr_kernarg_preload_offset 0
		.amdhsa_user_sgpr_private_segment_size 0
		.amdhsa_wavefront_size32 1
		.amdhsa_uses_dynamic_stack 0
		.amdhsa_enable_private_segment 0
		.amdhsa_system_sgpr_workgroup_id_x 1
		.amdhsa_system_sgpr_workgroup_id_y 0
		.amdhsa_system_sgpr_workgroup_id_z 1
		.amdhsa_system_sgpr_workgroup_info 0
		.amdhsa_system_vgpr_workitem_id 1
		.amdhsa_next_free_vgpr 108
		.amdhsa_next_free_sgpr 105
		.amdhsa_named_barrier_count 0
		.amdhsa_reserve_vcc 1
		.amdhsa_float_round_mode_32 0
		.amdhsa_float_round_mode_16_64 0
		.amdhsa_float_denorm_mode_32 3
		.amdhsa_float_denorm_mode_16_64 3
		.amdhsa_fp16_overflow 0
		.amdhsa_memory_ordered 1
		.amdhsa_forward_progress 1
		.amdhsa_inst_pref_size 255
		.amdhsa_round_robin_scheduling 0
		.amdhsa_exception_fp_ieee_invalid_op 0
		.amdhsa_exception_fp_denorm_src 0
		.amdhsa_exception_fp_ieee_div_zero 0
		.amdhsa_exception_fp_ieee_overflow 0
		.amdhsa_exception_fp_ieee_underflow 0
		.amdhsa_exception_fp_ieee_inexact 0
		.amdhsa_exception_int_div_zero 0
	.end_amdhsa_kernel
	.section	.text._ZL19rocblas_trsv_deviceILi64ELi16ELb1ELb1ELb1ELb1E19rocblas_complex_numIfES1_PKPKS1_PKPS1_EviT7_lllT6_T8_lllPii,"axG",@progbits,_ZL19rocblas_trsv_deviceILi64ELi16ELb1ELb1ELb1ELb1E19rocblas_complex_numIfES1_PKPKS1_PKPS1_EviT7_lllT6_T8_lllPii,comdat
.Lfunc_end165:
	.size	_ZL19rocblas_trsv_deviceILi64ELi16ELb1ELb1ELb1ELb1E19rocblas_complex_numIfES1_PKPKS1_PKPS1_EviT7_lllT6_T8_lllPii, .Lfunc_end165-_ZL19rocblas_trsv_deviceILi64ELi16ELb1ELb1ELb1ELb1E19rocblas_complex_numIfES1_PKPKS1_PKPS1_EviT7_lllT6_T8_lllPii
                                        ; -- End function
	.set _ZL19rocblas_trsv_deviceILi64ELi16ELb1ELb1ELb1ELb1E19rocblas_complex_numIfES1_PKPKS1_PKPS1_EviT7_lllT6_T8_lllPii.num_vgpr, 108
	.set _ZL19rocblas_trsv_deviceILi64ELi16ELb1ELb1ELb1ELb1E19rocblas_complex_numIfES1_PKPKS1_PKPS1_EviT7_lllT6_T8_lllPii.num_agpr, 0
	.set _ZL19rocblas_trsv_deviceILi64ELi16ELb1ELb1ELb1ELb1E19rocblas_complex_numIfES1_PKPKS1_PKPS1_EviT7_lllT6_T8_lllPii.numbered_sgpr, 105
	.set _ZL19rocblas_trsv_deviceILi64ELi16ELb1ELb1ELb1ELb1E19rocblas_complex_numIfES1_PKPKS1_PKPS1_EviT7_lllT6_T8_lllPii.num_named_barrier, 0
	.set _ZL19rocblas_trsv_deviceILi64ELi16ELb1ELb1ELb1ELb1E19rocblas_complex_numIfES1_PKPKS1_PKPS1_EviT7_lllT6_T8_lllPii.private_seg_size, 0
	.set _ZL19rocblas_trsv_deviceILi64ELi16ELb1ELb1ELb1ELb1E19rocblas_complex_numIfES1_PKPKS1_PKPS1_EviT7_lllT6_T8_lllPii.uses_vcc, 1
	.set _ZL19rocblas_trsv_deviceILi64ELi16ELb1ELb1ELb1ELb1E19rocblas_complex_numIfES1_PKPKS1_PKPS1_EviT7_lllT6_T8_lllPii.uses_flat_scratch, 0
	.set _ZL19rocblas_trsv_deviceILi64ELi16ELb1ELb1ELb1ELb1E19rocblas_complex_numIfES1_PKPKS1_PKPS1_EviT7_lllT6_T8_lllPii.has_dyn_sized_stack, 0
	.set _ZL19rocblas_trsv_deviceILi64ELi16ELb1ELb1ELb1ELb1E19rocblas_complex_numIfES1_PKPKS1_PKPS1_EviT7_lllT6_T8_lllPii.has_recursion, 0
	.set _ZL19rocblas_trsv_deviceILi64ELi16ELb1ELb1ELb1ELb1E19rocblas_complex_numIfES1_PKPKS1_PKPS1_EviT7_lllT6_T8_lllPii.has_indirect_call, 0
	.section	.AMDGPU.csdata,"",@progbits
; Kernel info:
; codeLenInByte = 40908
; TotalNumSgprs: 107
; NumVgprs: 108
; ScratchSize: 0
; MemoryBound: 0
; FloatMode: 240
; IeeeMode: 1
; LDSByteSize: 41480 bytes/workgroup (compile time only)
; SGPRBlocks: 0
; VGPRBlocks: 6
; NumSGPRsForWavesPerEU: 107
; NumVGPRsForWavesPerEU: 108
; NamedBarCnt: 0
; Occupancy: 9
; WaveLimiterHint : 1
; COMPUTE_PGM_RSRC2:SCRATCH_EN: 0
; COMPUTE_PGM_RSRC2:USER_SGPR: 2
; COMPUTE_PGM_RSRC2:TRAP_HANDLER: 0
; COMPUTE_PGM_RSRC2:TGID_X_EN: 1
; COMPUTE_PGM_RSRC2:TGID_Y_EN: 0
; COMPUTE_PGM_RSRC2:TGID_Z_EN: 1
; COMPUTE_PGM_RSRC2:TIDIG_COMP_CNT: 1
	.section	.text._ZL19rocblas_trsv_deviceILi64ELi16ELb1ELb0ELb0ELb0E19rocblas_complex_numIfES1_PKPKS1_PKPS1_EviT7_lllT6_T8_lllPii,"axG",@progbits,_ZL19rocblas_trsv_deviceILi64ELi16ELb1ELb0ELb0ELb0E19rocblas_complex_numIfES1_PKPKS1_PKPS1_EviT7_lllT6_T8_lllPii,comdat
	.globl	_ZL19rocblas_trsv_deviceILi64ELi16ELb1ELb0ELb0ELb0E19rocblas_complex_numIfES1_PKPKS1_PKPS1_EviT7_lllT6_T8_lllPii ; -- Begin function _ZL19rocblas_trsv_deviceILi64ELi16ELb1ELb0ELb0ELb0E19rocblas_complex_numIfES1_PKPKS1_PKPS1_EviT7_lllT6_T8_lllPii
	.p2align	8
	.type	_ZL19rocblas_trsv_deviceILi64ELi16ELb1ELb0ELb0ELb0E19rocblas_complex_numIfES1_PKPKS1_PKPS1_EviT7_lllT6_T8_lllPii,@function
_ZL19rocblas_trsv_deviceILi64ELi16ELb1ELb0ELb0ELb0E19rocblas_complex_numIfES1_PKPKS1_PKPS1_EviT7_lllT6_T8_lllPii: ; @_ZL19rocblas_trsv_deviceILi64ELi16ELb1ELb0ELb0ELb0E19rocblas_complex_numIfES1_PKPKS1_PKPS1_EviT7_lllT6_T8_lllPii
; %bb.0:
	s_load_b32 s71, s[0:1], 0x58
	s_bfe_u32 s2, ttmp6, 0x40014
	s_lshr_b32 s3, ttmp7, 16
	s_add_co_i32 s2, s2, 1
	s_bfe_u32 s5, ttmp6, 0x40008
	s_mul_i32 s4, s3, s2
	s_getreg_b32 s2, hwreg(HW_REG_IB_STS2, 6, 4)
	s_add_co_i32 s5, s5, s4
	s_cmp_eq_u32 s2, 0
	s_mov_b32 s81, 0
	s_cselect_b32 s80, s3, s5
	s_wait_kmcnt 0x0
	s_cmp_ge_u32 s80, s71
	s_cbranch_scc1 .LBB166_1098
; %bb.1:
	s_clause 0x4
	s_load_b32 s3, s[0:1], 0x6c
	s_load_b32 s100, s[0:1], 0x0
	s_load_b64 s[82:83], s[0:1], 0x18
	s_load_b64 s[18:19], s[0:1], 0x28
	;; [unrolled: 1-line block ×3, first 2 shown]
	s_bfe_u32 s5, ttmp6, 0x4000c
	s_and_b32 s4, ttmp6, 15
	s_add_co_i32 s5, s5, 1
	v_bfe_u32 v44, v0, 10, 10
	s_mul_i32 s5, ttmp9, s5
	v_mov_b32_e32 v1, 0
	s_add_co_i32 s4, s4, s5
	s_cmp_eq_u32 s2, 0
	v_and_b32_e32 v2, 0x3ff, v0
	s_cselect_b32 s101, ttmp9, s4
	v_dual_mov_b32 v5, v1 :: v_dual_lshlrev_b32 v10, 6, v44
	v_mov_b32_e32 v3, v1
	v_sub_co_u32 v45, s7, s101, 1
	s_wait_kmcnt 0x0
	s_and_b32 s4, s3, 0xffff
	s_add_co_i32 s2, s100, -1
	s_ashr_i32 s3, s100, 31
	s_ashr_i32 s5, s2, 31
	s_lshr_b32 s3, s3, 26
	s_lshr_b32 s5, s5, 26
	s_add_co_i32 s3, s100, s3
	s_add_co_i32 s2, s2, s5
	s_and_not1_b32 s3, s3, 63
	s_ashr_i32 s2, s2, 6
	s_sub_co_i32 s16, s100, s3
	s_cmp_eq_u32 s2, s101
	s_add_nc_u64 s[2:3], s[82:83], 1
	s_cselect_b32 s5, -1, 0
	s_cmp_lg_u32 s16, 0
	v_mad_u32_u24 v4, v44, s4, v2
	s_cselect_b32 s6, -1, 0
	s_lshl_b32 s12, s101, 6
	s_delay_alu instid0(SALU_CYCLE_1) | instskip(SKIP_3) | instid1(VALU_DEP_3)
	v_dual_add_nc_u32 v20, s12, v44 :: v_dual_bitop2_b32 v11, v10, v2 bitop3:0x14
	v_mad_nc_u64_u32 v[18:19], s2, s12, v[2:3]
	v_and_b32_e32 v3, v10, v2
	s_and_b32 s15, s6, s5
	v_lshrrev_b16 v11, 1, v11
	v_subrev_nc_u32_e32 v12, 64, v20
	v_add_nc_u32_e32 v6, s12, v2
	s_xor_b32 s4, s7, -1
	s_ashr_i32 s13, s12, 31
                                        ; implicit-def: $vgpr92 : SGPR spill to VGPR lane
	s_xor_b32 s103, s15, -1
	s_delay_alu instid0(VALU_DEP_1) | instskip(SKIP_3) | instid1(VALU_DEP_2)
	v_dual_ashrrev_i32 v13, 31, v12 :: v_dual_ashrrev_i32 v7, 31, v6
	v_writelane_b32 v92, s4, 0
	s_mul_i32 s3, s3, s12
	s_mul_i32 s4, s2, s13
	v_mul_u64_e32 v[8:9], s[82:83], v[12:13]
	v_lshrrev_b32_e32 v13, 10, v0
	v_add_nc_u16 v3, v3, v11
	v_dual_add_nc_u32 v34, v10, v2 :: v_dual_bitop2_b32 v11, 1, v0 bitop3:0x40
	s_cmp_gt_i32 s101, 4
	v_add3_u32 v19, s4, s3, v19
	s_delay_alu instid0(VALU_DEP_3) | instskip(NEXT) | instid1(VALU_DEP_3)
	v_and_b32_e32 v10, 0xffff, v3
	v_lshlrev_b32_e32 v14, 3, v11
	s_cselect_b32 s3, -1, 0
	v_cmp_eq_u32_e64 s4, 1, v11
	s_and_b32 s104, s3, s103
	v_cmp_gt_u32_e64 s3, 4, v34
	v_lshl_add_u32 v3, v10, 3, 0x8000
	v_lshl_or_b32 v46, v10, 9, v14
	v_mul_u32_u24_e32 v47, 0x208, v10
	v_dual_lshrrev_b32 v10, 2, v34 :: v_dual_bitop2_b32 v11, 3, v0 bitop3:0x40
	s_xor_b32 s5, s4, -1
	v_bitop3_b32 v35, v0, v13, 0x3ff bitop3:0xa8
	v_lshlrev_b32_e32 v48, 3, v2
	s_and_b32 vcc_hi, s5, s3
	v_dual_lshlrev_b32 v49, 3, v11 :: v_dual_lshlrev_b32 v13, 3, v10
	v_mul_u32_u24_e32 v50, 0x208, v10
	s_and_b32 s43, s4, s3
	v_cmp_gt_u32_e64 s4, 16, v34
	v_cmp_eq_u32_e64 s5, 0, v11
	v_cmp_ne_u32_e64 s6, 0, v11
	v_lshl_or_b32 v52, v10, 9, v49
	v_sub_nc_u32_e32 v10, v50, v13
	v_cmp_eq_u32_e64 s7, 1, v11
	v_cmp_lt_u32_e64 s8, 1, v11
	s_and_b32 s44, s5, s4
	s_and_b32 s45, s6, s4
	v_cmp_eq_u32_e64 s5, 2, v11
	v_cmp_eq_u32_e64 s6, 3, v11
	v_and_b32_e32 v11, 7, v0
	s_and_b32 s46, s7, s4
	v_add_nc_u32_e32 v53, v10, v49
	s_and_b32 s48, s5, s4
	s_and_b32 s49, s6, s4
	v_cmp_gt_u32_e64 s5, 64, v34
	v_cmp_eq_u32_e64 s6, 0, v11
	v_cmp_ne_u32_e64 s7, 0, v11
	v_dual_lshrrev_b32 v10, 3, v34 :: v_dual_lshlrev_b32 v55, 3, v11
	v_dual_mov_b32 v26, 0 :: v_dual_add_nc_u32 v51, 0x8000, v13
	s_and_b32 s50, s6, s5
	v_cmp_eq_u32_e64 s6, 1, v11
	s_and_b32 s51, s7, s5
	v_cmp_lt_u32_e64 s7, 1, v11
	v_and_b32_e32 v13, 0x1fff8, v34
	v_mul_u32_u24_e32 v54, 0x208, v10
	s_and_b32 s52, s6, s5
	v_cmp_eq_u32_e64 s6, 3, v11
	s_and_b32 s53, s7, s5
	v_cmp_lt_u32_e64 s7, 3, v11
	s_and_b32 s47, s8, s4
	v_sub_nc_u32_e32 v14, v54, v13
	v_cmp_eq_u32_e64 s8, 2, v11
	v_cmp_lt_u32_e64 s9, 2, v11
	s_and_b32 s56, s6, s5
	v_cmp_eq_u32_e64 s6, 4, v11
	s_and_b32 s57, s7, s5
	v_cmp_lt_u32_e64 s7, 5, v11
	v_lshl_or_b32 v57, v10, 9, v55
	s_and_b32 s54, s8, s5
	s_and_b32 s55, s9, s5
	v_cmp_lt_u32_e64 s8, 4, v11
	v_cmp_eq_u32_e64 s9, 5, v11
	s_and_b32 s58, s6, s5
	v_dual_lshrrev_b32 v10, 4, v34 :: v_dual_add_nc_u32 v58, v14, v55
	s_and_b32 s61, s7, s5
	v_cmp_eq_u32_e64 s6, 6, v11
	v_cmp_eq_u32_e64 s7, 7, v11
	v_and_b32_e32 v11, 15, v0
	s_and_b32 s59, s8, s5
	s_and_b32 s60, s9, s5
	;; [unrolled: 1-line block ×4, first 2 shown]
	v_cmp_gt_u32_e64 s6, 0x100, v34
	v_cmp_eq_u32_e64 s7, 0, v11
	v_cmp_ne_u32_e64 s8, 0, v11
	v_cmp_lt_u32_e64 s9, 1, v11
	v_cmp_lt_u32_e64 s10, 2, v11
	v_cmp_le_i32_e64 s14, s16, v2
	s_and_b32 s7, s7, s6
	s_and_b32 s8, s8, s6
	v_writelane_b32 v92, s7, 1
	v_cmp_eq_u32_e64 s7, 1, v11
	s_and_b32 s69, s10, s6
	v_cmp_eq_u32_e64 s10, 5, v11
	v_add_nc_u32_e32 v56, 0x8000, v13
	v_writelane_b32 v92, s8, 2
	s_and_b32 s7, s7, s6
	v_cmp_eq_u32_e64 s8, 2, v11
	s_and_b32 s29, s10, s6
	v_cmp_lt_u32_e64 s10, 7, v11
	v_writelane_b32 v92, s7, 3
	s_and_b32 s7, s9, s6
	s_and_b32 s68, s8, s6
	v_cmp_lt_u32_e64 s8, 3, v11
	v_cmp_eq_u32_e64 s9, 4, v11
	v_writelane_b32 v92, s7, 4
	v_cmp_eq_u32_e64 s7, 3, v11
	s_and_b32 s40, s10, s6
	s_and_b32 s23, s8, s6
	v_cmp_lt_u32_e64 s8, 5, v11
	s_and_b32 s25, s9, s6
	s_and_b32 s11, s7, s6
	v_cmp_lt_u32_e64 s7, 4, v11
	v_cmp_lt_u32_e64 s9, 6, v11
	s_and_b32 s31, s8, s6
	v_cmp_eq_u32_e64 s8, 7, v11
	v_cmp_eq_u32_e64 s10, 10, v11
	s_and_b32 s27, s7, s6
	v_cmp_eq_u32_e64 s7, 6, v11
	s_and_b32 s38, s9, s6
	s_and_b32 s39, s8, s6
	v_cmp_lt_u32_e64 s8, 8, v11
	v_cmp_eq_u32_e64 s9, 9, v11
	s_and_b32 s34, s7, s6
	v_cmp_eq_u32_e64 s7, 8, v11
	v_dual_lshlrev_b32 v13, 3, v10 :: v_dual_lshlrev_b32 v60, 3, v11
	s_and_b32 s42, s8, s6
	v_cmp_lt_u32_e64 s8, 10, v11
	s_and_b32 s41, s7, s6
	v_cmp_lt_u32_e64 s7, 9, v11
	;; [unrolled: 2-line block ×3, first 2 shown]
	s_and_b32 s85, s8, s6
	v_cmp_eq_u32_e64 s8, 12, v11
	s_and_b32 s91, s7, s6
	v_cmp_eq_u32_e64 s7, 11, v11
	v_mul_u32_u24_e32 v59, 0x208, v10
	s_and_b32 s84, s10, s6
	s_and_b32 s28, s8, s6
	v_cmp_lt_u32_e64 s8, 13, v11
	s_and_b32 s24, s7, s6
	v_cmp_eq_u32_e64 s7, 13, v11
	v_cmp_lt_u32_e64 s10, 12, v11
	s_and_b32 s26, s9, s6
	v_cmp_eq_u32_e64 s9, 14, v11
	s_and_b32 s65, s14, s15
	s_and_b32 s30, s7, s6
	v_cmp_eq_u32_e64 s7, 15, v11
	v_cmp_gt_i32_e32 vcc_lo, s16, v2
	v_sub_nc_u32_e32 v14, v59, v13
	s_and_b32 s33, s8, s6
	s_xor_b32 s8, s65, -1
	s_and_b32 s64, s7, s6
	v_cmp_eq_u32_e64 s7, 0, v44
	s_and_b32 s10, s10, s6
	s_and_b32 s102, s9, s6
	s_xor_b32 s20, s19, 0x80000000
	v_cmp_gt_i32_e64 s2, s100, v6
	s_and_b32 s66, s7, s8
	s_cmp_gt_i32 s101, 0
	v_lshl_or_b32 v62, v10, 9, v60
	v_dual_lshrrev_b32 v10, 5, v34 :: v_dual_add_nc_u32 v63, v14, v60
	s_cselect_b32 s67, -1, 0
	v_add_nc_u64_e32 v[14:15], s[12:13], v[4:5]
	v_subrev_nc_u32_e32 v5, 48, v20
	s_and_b32 s8, s7, vcc_lo
	v_cmp_gt_i32_e32 vcc_lo, s100, v12
	v_writelane_b32 v92, s8, 5
	s_clause 0x2
	s_load_b64 s[88:89], s[0:1], 0x50
	s_load_b128 s[72:75], s[0:1], 0x8
	s_load_b128 s[76:79], s[0:1], 0x30
	v_add_nc_u32_e32 v61, 0x8000, v13
	v_subrev_nc_u32_e32 v13, 32, v20
	v_cmp_gt_i32_e64 s8, s100, v5
	s_wait_xcnt 0x0
	s_and_b32 s0, s2, vcc_lo
	v_dual_lshlrev_b32 v67, 9, v10 :: v_dual_bitop2_b32 v65, 31, v0 bitop3:0x40
	v_writelane_b32 v92, s0, 6
	v_cmp_gt_i32_e64 s9, s100, v13
	s_and_b32 s0, s2, s8
	v_cmp_le_u32_e64 s1, v2, v44
	v_cmp_le_i32_e32 vcc_lo, s16, v44
	v_writelane_b32 v92, s0, 7
	s_and_b32 s0, s2, s9
	v_dual_lshlrev_b32 v68, 3, v65 :: v_dual_add_nc_u32 v36, 16, v44
	v_dual_add_nc_u32 v37, 32, v44 :: v_dual_add_nc_u32 v38, 48, v44
	v_writelane_b32 v92, s0, 8
	s_or_b32 s0, vcc_lo, s14
	s_delay_alu instid0(VALU_DEP_3)
	v_cmp_le_u32_e64 s9, v2, v36
	s_or_b32 s0, s0, s1
	v_cmp_le_i32_e32 vcc_lo, s16, v36
	v_writelane_b32 v92, s1, 9
	v_cmp_le_u32_e64 s13, v2, v37
	v_cmp_le_i32_e64 s15, s16, v37
	v_cmp_le_u32_e64 s21, v2, v38
	v_cmp_ne_u32_e64 s8, v2, v44
	v_writelane_b32 v92, s0, 10
	s_or_b32 s0, vcc_lo, s14
	s_or_b32 s1, s15, s14
	s_or_b32 s0, s0, s9
	v_cmp_le_i32_e32 vcc_lo, s16, v38
	v_writelane_b32 v92, s9, 11
	v_mbcnt_lo_u32_b32 v5, -1, 0
	v_add_nc_u32_e32 v0, s12, v4
	v_cmp_ne_u32_e64 s12, v2, v36
	v_cmp_ne_u32_e64 s17, v2, v37
	v_writelane_b32 v92, s0, 12
	s_or_b32 s0, s1, s13
	v_cmp_ne_u32_e64 s22, v2, v38
                                        ; implicit-def: $vgpr91 : SGPR spill to VGPR lane
	v_cmp_gt_u32_e64 s1, 0x50, v34
	v_add_max_i32_e64 v39, v20, -16, v6
	v_writelane_b32 v92, s13, 13
	v_lshlrev_b32_e32 v27, 20, v5
	v_lshl_add_u32 v69, v44, 3, 0xa000
	v_dual_lshlrev_b32 v28, 9, v65 :: v_dual_bitop2_b32 v40, v36, v2 bitop3:0x54
	v_writelane_b32 v92, s0, 14
	s_or_b32 s0, vcc_lo, s14
	v_add_nc_u64_e32 v[20:21], src_flat_scratch_base_lo, v[26:27]
	s_or_b32 s0, s0, s21
	v_mov_b32_e32 v26, 8
	v_writelane_b32 v92, s21, 15
	s_mov_b32 s21, s19
	s_mov_b32 s19, s18
	v_add_nc_u32_e32 v74, v69, v48
	v_add_nc_u64_e32 v[22:23], src_flat_scratch_base_lo, v[26:27]
	v_writelane_b32 v92, s0, 16
	s_or_b32 s0, s14, s8
	v_dual_mov_b32 v26, 16 :: v_dual_add_nc_u32 v77, v68, v28
	v_or_b32_e32 v41, v37, v2
	v_writelane_b32 v92, s8, 17
	v_or_b32_e32 v42, v38, v2
	v_mul_u64_e32 v[14:15], s[86:87], v[14:15]
	v_mul_u64_e32 v[28:29], s[86:87], v[6:7]
	;; [unrolled: 1-line block ×3, first 2 shown]
	v_writelane_b32 v92, s0, 18
	s_or_b32 s0, s14, s12
                                        ; implicit-def: $vgpr90 : SGPR spill to VGPR lane
	v_lshlrev_b32_e32 v64, 3, v10
	v_mad_nc_u64_u32 v[10:11], s82, v44, v[18:19]
	v_mad_nc_u64_u32 v[12:13], s82, v36, v[18:19]
	v_writelane_b32 v92, s12, 19
	v_mad_nc_u64_u32 v[16:17], s82, v37, v[18:19]
	v_mad_nc_u64_u32 v[18:19], s82, v38, v[18:19]
	v_add_nc_u64_e32 v[24:25], src_flat_scratch_base_lo, v[26:27]
	v_dual_mov_b32 v26, 24 :: v_dual_bitop2_b32 v5, v67, v68 bitop3:0x54
	v_writelane_b32 v92, s0, 20
	s_or_b32 s0, s14, s17
	v_cmp_lt_u32_e32 vcc_lo, 0x3ff, v34
	v_mad_u32 v11, s83, v44, v11
	v_mad_u32 v13, s83, v36, v13
	v_writelane_b32 v92, s17, 21
	v_mad_u32 v17, s83, v37, v17
	v_mad_u32 v19, s83, v38, v19
	v_add_nc_u64_e32 v[26:27], src_flat_scratch_base_lo, v[26:27]
	v_mov_b64_e32 v[32:33], 0
	v_writelane_b32 v92, s0, 22
	s_or_b32 s0, s14, s22
	v_add_nc_u32_e32 v66, 0x8000, v64
	v_lshl_add_u32 v70, v4, 3, 0xa000
	v_lshl_add_u32 v71, v34, 3, 0x8000
	v_writelane_b32 v92, s22, 23
	v_add_nc_u32_e32 v72, 0x8000, v48
	v_lshl_add_u32 v73, v44, 9, v48
	v_lshl_add_u32 v75, v2, 9, v48
	;; [unrolled: 1-line block ×3, first 2 shown]
	v_writelane_b32 v92, s0, 24
	v_cmp_gt_u32_e64 s0, 0xf0, v34
	v_lshl_add_u32 v78, v37, 9, v48
	v_lshl_add_u32 v79, v38, 9, v48
	v_or_b32_e32 v80, 0x4100, v68
	v_writelane_b32 v92, s20, 25
	v_cmp_eq_u32_e64 s14, 0, v35
	v_cmp_gt_u32_e64 s15, 2, v34
	v_cmp_gt_u32_e64 s16, 12, v34
	;; [unrolled: 1-line block ×3, first 2 shown]
	v_writelane_b32 v92, s21, 26
	v_cmp_gt_u32_e64 s20, 40, v34
	v_cmp_gt_u32_e64 s21, 32, v34
	;; [unrolled: 1-line block ×4, first 2 shown]
	v_writelane_b32 v92, s18, 27
	v_cmp_eq_u32_e64 s36, 0, v4
	v_cmp_gt_u32_e64 s37, 64, v4
	s_xor_b32 s12, vcc_lo, -1
	s_lshl_b64 s[92:93], s[82:83], 7
	v_writelane_b32 v92, s19, 28
	v_cmp_gt_u32_e64 s18, 56, v34
	v_cmp_gt_u32_e64 s19, 48, v34
	s_lshl_b64 s[94:95], s[82:83], 8
	s_mul_u64 s[96:97], s[82:83], 0x180
	v_writelane_b32 v92, s0, 29
	v_cmp_gt_u32_e64 s0, 0xe0, v34
	s_wait_kmcnt 0x0
	s_lshl_b64 s[74:75], s[74:75], 3
	s_lshl_b64 s[78:79], s[78:79], 3
	v_writelane_b32 v92, s0, 30
	v_cmp_gt_u32_e64 s0, 0xd0, v34
	s_delay_alu instid0(VALU_DEP_1) | instskip(SKIP_1) | instid1(VALU_DEP_1)
	v_writelane_b32 v92, s0, 31
	v_cmp_gt_u32_e64 s0, 0xc0, v34
	v_writelane_b32 v91, s0, 0
	v_cmp_gt_u32_e64 s0, 0xb0, v34
	s_delay_alu instid0(VALU_DEP_1) | instskip(SKIP_1) | instid1(VALU_DEP_1)
	v_writelane_b32 v91, s0, 1
	v_cmp_gt_u32_e64 s0, 0xa0, v34
	;; [unrolled: 5-line block ×3, first 2 shown]
	v_writelane_b32 v91, s0, 4
	v_cmp_gt_u32_e64 s0, 0x70, v34
	s_delay_alu instid0(VALU_DEP_1) | instskip(SKIP_3) | instid1(VALU_DEP_1)
	v_writelane_b32 v91, s0, 5
	v_cmp_gt_u32_e64 s0, 0x60, v34
	v_writelane_b32 v91, s1, 6
	v_cmp_ge_u32_e64 s1, v2, v44
	v_writelane_b32 v91, s1, 7
	v_cmp_ge_u32_e64 s1, v2, v36
	s_delay_alu instid0(VALU_DEP_1) | instskip(SKIP_1) | instid1(VALU_DEP_1)
	v_writelane_b32 v91, s1, 8
	v_cmp_ge_u32_e64 s1, v2, v37
	v_writelane_b32 v91, s1, 9
	v_cmp_ge_u32_e64 s1, v2, v38
	s_delay_alu instid0(VALU_DEP_1) | instskip(SKIP_1) | instid1(VALU_DEP_1)
	v_writelane_b32 v91, s1, 10
	v_cmp_le_i32_e64 s1, s100, v39
	v_writelane_b32 v91, s1, 11
	v_cmp_gt_u32_e64 s1, 64, v35
	s_delay_alu instid0(VALU_DEP_1) | instskip(SKIP_1) | instid1(VALU_DEP_1)
	v_writelane_b32 v91, s1, 12
	v_cmp_gt_u32_e64 s1, 64, v40
	v_writelane_b32 v91, s1, 13
	v_cmp_gt_u32_e64 s1, 64, v41
	s_delay_alu instid0(VALU_DEP_1) | instskip(SKIP_1) | instid1(VALU_DEP_1)
	v_writelane_b32 v91, s1, 14
	v_cmp_gt_u32_e64 s1, 64, v42
	;; [unrolled: 5-line block ×13, first 2 shown]
	v_writelane_b32 v90, s1, 5
	v_cmp_gt_u32_e64 s1, 0x120, v34
	s_delay_alu instid0(VALU_DEP_1)
	v_writelane_b32 v90, s1, 6
	s_branch .LBB166_3
.LBB166_2:                              ;   in Loop: Header=BB166_3 Depth=1
	s_wait_xcnt 0x0
	s_or_b32 exec_lo, exec_lo, s9
	s_add_co_i32 s80, s80, 0x10000
	global_wb scope:SCOPE_DEV
	s_wait_storecnt 0x0
	global_inv scope:SCOPE_DEV
	s_cmp_lt_u32 s80, s71
	s_cbranch_scc0 .LBB166_1098
.LBB166_3:                              ; =>This Loop Header: Depth=1
                                        ;     Child Loop BB166_587 Depth 2
                                        ;     Child Loop BB166_995 Depth 2
                                        ;       Child Loop BB166_997 Depth 3
                                        ;     Child Loop BB166_1029 Depth 2
	v_mov_b32_e32 v0, s80
	v_readlane_b32 s1, v92, 0
	s_clause 0x1
	global_load_b64 v[34:35], v0, s[72:73] scale_offset
	global_load_b64 v[36:37], v0, s[76:77] scale_offset
	s_and_not1_b32 vcc_lo, exec_lo, s1
	s_wait_loadcnt 0x1
	v_add_nc_u64_e32 v[34:35], s[74:75], v[34:35]
	s_cbranch_vccz .LBB166_6
; %bb.4:                                ;   in Loop: Header=BB166_3 Depth=1
	s_and_not1_b32 vcc_lo, exec_lo, s103
	s_mov_b32 s9, -1
	s_cbranch_vccz .LBB166_17
.LBB166_5:                              ;   in Loop: Header=BB166_3 Depth=1
	s_and_b32 vcc_lo, exec_lo, s9
	s_cbranch_vccnz .LBB166_74
	s_branch .LBB166_131
.LBB166_6:                              ;   in Loop: Header=BB166_3 Depth=1
	s_delay_alu instid0(VALU_DEP_1) | instskip(SKIP_3) | instid1(VALU_DEP_4)
	v_lshl_add_u64 v[38:39], v[8:9], 3, v[34:35]
	v_dual_mov_b32 v40, 0 :: v_dual_mov_b32 v42, 0
	v_mov_b32_e32 v43, 0
	v_readlane_b32 s1, v92, 6
	v_lshl_add_u64 v[38:39], v[6:7], 3, v[38:39]
	s_wait_loadcnt 0x0
	s_barrier_signal -1
	s_barrier_wait -1
	s_wait_xcnt 0x0
	s_and_saveexec_b32 s9, s1
	s_cbranch_execz .LBB166_8
; %bb.7:                                ;   in Loop: Header=BB166_3 Depth=1
	flat_load_b64 v[42:43], v[38:39]
.LBB166_8:                              ;   in Loop: Header=BB166_3 Depth=1
	s_wait_xcnt 0x0
	s_or_b32 exec_lo, exec_lo, s9
	v_mov_b32_e32 v41, 0
	v_readlane_b32 s1, v92, 7
	s_wait_loadcnt_dscnt 0x0
	scratch_store_b64 off, v[42:43], off
	s_wait_storecnt 0x0
	s_barrier_signal -1
	s_barrier_wait -1
	s_wait_xcnt 0x0
	s_and_saveexec_b32 s9, s1
	s_cbranch_execz .LBB166_10
; %bb.9:                                ;   in Loop: Header=BB166_3 Depth=1
	v_add_nc_u64_e32 v[40:41], s[92:93], v[38:39]
	flat_load_b64 v[40:41], v[40:41]
.LBB166_10:                             ;   in Loop: Header=BB166_3 Depth=1
	s_wait_xcnt 0x0
	s_or_b32 exec_lo, exec_lo, s9
	s_wait_loadcnt_dscnt 0x0
	scratch_store_b64 off, v[40:41], off offset:8
	s_wait_xcnt 0x0
	v_dual_mov_b32 v40, 0 :: v_dual_mov_b32 v41, 0
	v_readlane_b32 s1, v92, 8
	s_wait_storecnt 0x0
	s_barrier_signal -1
	s_barrier_wait -1
	s_and_saveexec_b32 s9, s1
	s_cbranch_execz .LBB166_12
; %bb.11:                               ;   in Loop: Header=BB166_3 Depth=1
	v_add_nc_u64_e32 v[40:41], s[94:95], v[38:39]
	flat_load_b64 v[40:41], v[40:41]
.LBB166_12:                             ;   in Loop: Header=BB166_3 Depth=1
	s_wait_xcnt 0x0
	s_or_b32 exec_lo, exec_lo, s9
	v_readlane_b32 s1, v91, 11
	s_wait_loadcnt_dscnt 0x0
	scratch_store_b64 off, v[40:41], off offset:16
	s_wait_storecnt 0x0
	s_barrier_signal -1
	s_barrier_wait -1
	s_wait_xcnt 0x0
	s_and_saveexec_b32 s9, s1
	s_delay_alu instid0(SALU_CYCLE_1)
	s_xor_b32 s9, exec_lo, s9
	s_cbranch_execz .LBB166_14
; %bb.13:                               ;   in Loop: Header=BB166_3 Depth=1
	scratch_store_b64 off, v[32:33], off offset:24
                                        ; implicit-def: $vgpr38_vgpr39
.LBB166_14:                             ;   in Loop: Header=BB166_3 Depth=1
	s_wait_xcnt 0x0
	s_and_not1_saveexec_b32 s9, s9
	s_cbranch_execz .LBB166_16
; %bb.15:                               ;   in Loop: Header=BB166_3 Depth=1
	v_add_nc_u64_e32 v[38:39], s[96:97], v[38:39]
	flat_load_b64 v[38:39], v[38:39]
	s_wait_loadcnt_dscnt 0x0
	scratch_store_b64 off, v[38:39], off offset:24
.LBB166_16:                             ;   in Loop: Header=BB166_3 Depth=1
	s_wait_xcnt 0x0
	s_or_b32 exec_lo, exec_lo, s9
	s_delay_alu instid0(SALU_CYCLE_1)
	s_and_not1_b32 vcc_lo, exec_lo, s103
	s_mov_b32 s9, -1
	s_cbranch_vccnz .LBB166_5
.LBB166_17:                             ;   in Loop: Header=BB166_3 Depth=1
	v_readlane_b32 s1, v92, 9
	s_wait_xcnt 0x0
	s_and_saveexec_b32 s9, s1
	s_delay_alu instid0(SALU_CYCLE_1)
	s_xor_b32 s13, exec_lo, s9
	s_cbranch_execz .LBB166_29
; %bb.18:                               ;   in Loop: Header=BB166_3 Depth=1
	v_readlane_b32 s1, v92, 17
	s_and_saveexec_b32 s9, s1
	s_delay_alu instid0(SALU_CYCLE_1)
	s_xor_b32 s9, exec_lo, s9
	s_cbranch_execz .LBB166_22
; %bb.19:                               ;   in Loop: Header=BB166_3 Depth=1
	v_readlane_b32 s1, v91, 12
	s_and_saveexec_b32 s70, s1
; %bb.20:                               ;   in Loop: Header=BB166_3 Depth=1
	ds_store_b64 v73, v[32:33]
; %bb.21:                               ;   in Loop: Header=BB166_3 Depth=1
	s_or_b32 exec_lo, exec_lo, s70
.LBB166_22:                             ;   in Loop: Header=BB166_3 Depth=1
	s_and_not1_saveexec_b32 s70, s9
	s_cbranch_execz .LBB166_28
; %bb.23:                               ;   in Loop: Header=BB166_3 Depth=1
	v_lshl_add_u64 v[38:39], v[10:11], 3, v[34:35]
	s_mov_b32 s98, exec_lo
                                        ; implicit-def: $vgpr40_vgpr41
	flat_load_b64 v[38:39], v[38:39]
	s_wait_loadcnt_dscnt 0x0
	v_cmpx_ngt_f32_e64 |v38|, |v39|
	s_xor_b32 s98, exec_lo, s98
	s_cbranch_execz .LBB166_25
; %bb.24:                               ;   in Loop: Header=BB166_3 Depth=1
	v_div_scale_f32 v0, null, v39, v39, v38
	v_div_scale_f32 v42, vcc_lo, v38, v39, v38
	s_delay_alu instid0(VALU_DEP_2) | instskip(SKIP_1) | instid1(TRANS32_DEP_1)
	v_rcp_f32_e32 v40, v0
	v_nop
	v_fma_f32 v41, -v0, v40, 1.0
	s_delay_alu instid0(VALU_DEP_1) | instskip(NEXT) | instid1(VALU_DEP_1)
	v_fmac_f32_e32 v40, v41, v40
	v_mul_f32_e32 v41, v42, v40
	s_delay_alu instid0(VALU_DEP_1) | instskip(NEXT) | instid1(VALU_DEP_1)
	v_fma_f32 v43, -v0, v41, v42
	v_fmac_f32_e32 v41, v43, v40
	s_delay_alu instid0(VALU_DEP_1) | instskip(NEXT) | instid1(VALU_DEP_1)
	v_fma_f32 v0, -v0, v41, v42
	v_div_fmas_f32 v0, v0, v40, v41
	s_delay_alu instid0(VALU_DEP_1) | instskip(NEXT) | instid1(VALU_DEP_1)
	v_div_fixup_f32 v0, v0, v39, v38
	v_fmac_f32_e32 v39, v38, v0
	s_delay_alu instid0(VALU_DEP_1) | instskip(SKIP_1) | instid1(VALU_DEP_2)
	v_div_scale_f32 v38, null, v39, v39, 1.0
	v_div_scale_f32 v42, vcc_lo, 1.0, v39, 1.0
	v_rcp_f32_e32 v40, v38
	v_nop
	s_delay_alu instid0(TRANS32_DEP_1) | instskip(NEXT) | instid1(VALU_DEP_1)
	v_fma_f32 v41, -v38, v40, 1.0
	v_fmac_f32_e32 v40, v41, v40
	s_delay_alu instid0(VALU_DEP_1) | instskip(NEXT) | instid1(VALU_DEP_1)
	v_mul_f32_e32 v41, v42, v40
	v_fma_f32 v43, -v38, v41, v42
	s_delay_alu instid0(VALU_DEP_1) | instskip(NEXT) | instid1(VALU_DEP_1)
	v_fmac_f32_e32 v41, v43, v40
	v_fma_f32 v38, -v38, v41, v42
	s_delay_alu instid0(VALU_DEP_1) | instskip(NEXT) | instid1(VALU_DEP_1)
	v_div_fmas_f32 v38, v38, v40, v41
	v_div_fixup_f32 v38, v38, v39, 1.0
	s_delay_alu instid0(VALU_DEP_1)
	v_mul_f32_e32 v40, v0, v38
	v_xor_b32_e32 v41, 0x80000000, v38
                                        ; implicit-def: $vgpr38_vgpr39
.LBB166_25:                             ;   in Loop: Header=BB166_3 Depth=1
	s_and_not1_saveexec_b32 s98, s98
	s_cbranch_execz .LBB166_27
; %bb.26:                               ;   in Loop: Header=BB166_3 Depth=1
	v_div_scale_f32 v0, null, v38, v38, v39
	v_div_scale_f32 v42, vcc_lo, v39, v38, v39
	s_delay_alu instid0(VALU_DEP_2) | instskip(SKIP_1) | instid1(TRANS32_DEP_1)
	v_rcp_f32_e32 v40, v0
	v_nop
	v_fma_f32 v41, -v0, v40, 1.0
	s_delay_alu instid0(VALU_DEP_1) | instskip(NEXT) | instid1(VALU_DEP_1)
	v_fmac_f32_e32 v40, v41, v40
	v_mul_f32_e32 v41, v42, v40
	s_delay_alu instid0(VALU_DEP_1) | instskip(NEXT) | instid1(VALU_DEP_1)
	v_fma_f32 v43, -v0, v41, v42
	v_fmac_f32_e32 v41, v43, v40
	s_delay_alu instid0(VALU_DEP_1) | instskip(NEXT) | instid1(VALU_DEP_1)
	v_fma_f32 v0, -v0, v41, v42
	v_div_fmas_f32 v0, v0, v40, v41
	s_delay_alu instid0(VALU_DEP_1) | instskip(NEXT) | instid1(VALU_DEP_1)
	v_div_fixup_f32 v0, v0, v38, v39
	v_fmac_f32_e32 v38, v39, v0
	s_delay_alu instid0(VALU_DEP_1) | instskip(NEXT) | instid1(VALU_DEP_1)
	v_div_scale_f32 v39, null, v38, v38, 1.0
	v_rcp_f32_e32 v40, v39
	v_nop
	s_delay_alu instid0(TRANS32_DEP_1) | instskip(NEXT) | instid1(VALU_DEP_1)
	v_fma_f32 v41, -v39, v40, 1.0
	v_fmac_f32_e32 v40, v41, v40
	v_div_scale_f32 v41, vcc_lo, 1.0, v38, 1.0
	s_delay_alu instid0(VALU_DEP_1) | instskip(NEXT) | instid1(VALU_DEP_1)
	v_mul_f32_e32 v42, v41, v40
	v_fma_f32 v43, -v39, v42, v41
	s_delay_alu instid0(VALU_DEP_1) | instskip(NEXT) | instid1(VALU_DEP_1)
	v_fmac_f32_e32 v42, v43, v40
	v_fma_f32 v39, -v39, v42, v41
	s_delay_alu instid0(VALU_DEP_1) | instskip(NEXT) | instid1(VALU_DEP_1)
	v_div_fmas_f32 v39, v39, v40, v42
	v_div_fixup_f32 v40, v39, v38, 1.0
	s_delay_alu instid0(VALU_DEP_1)
	v_mul_f32_e64 v41, v0, -v40
.LBB166_27:                             ;   in Loop: Header=BB166_3 Depth=1
	s_or_b32 exec_lo, exec_lo, s98
	ds_store_b64 v73, v[40:41]
.LBB166_28:                             ;   in Loop: Header=BB166_3 Depth=1
	s_or_b32 exec_lo, exec_lo, s70
.LBB166_29:                             ;   in Loop: Header=BB166_3 Depth=1
	s_and_not1_saveexec_b32 s9, s13
	s_cbranch_execz .LBB166_31
; %bb.30:                               ;   in Loop: Header=BB166_3 Depth=1
	v_lshl_add_u64 v[38:39], v[10:11], 3, v[34:35]
	flat_load_b64 v[38:39], v[38:39]
	s_wait_loadcnt_dscnt 0x0
	v_pk_add_f32 v[38:39], v[38:39], 0 neg_lo:[1,1] neg_hi:[1,1]
	ds_store_b64 v73, v[38:39]
.LBB166_31:                             ;   in Loop: Header=BB166_3 Depth=1
	s_or_b32 exec_lo, exec_lo, s9
	v_readlane_b32 s1, v92, 11
	s_and_saveexec_b32 s9, s1
	s_delay_alu instid0(SALU_CYCLE_1)
	s_xor_b32 s13, exec_lo, s9
	s_cbranch_execz .LBB166_43
; %bb.32:                               ;   in Loop: Header=BB166_3 Depth=1
	v_readlane_b32 s1, v92, 19
	s_and_saveexec_b32 s9, s1
	s_delay_alu instid0(SALU_CYCLE_1)
	s_xor_b32 s9, exec_lo, s9
	s_cbranch_execz .LBB166_36
; %bb.33:                               ;   in Loop: Header=BB166_3 Depth=1
	v_readlane_b32 s1, v91, 13
	s_and_saveexec_b32 s70, s1
; %bb.34:                               ;   in Loop: Header=BB166_3 Depth=1
	ds_store_b64 v76, v[32:33]
; %bb.35:                               ;   in Loop: Header=BB166_3 Depth=1
	s_or_b32 exec_lo, exec_lo, s70
.LBB166_36:                             ;   in Loop: Header=BB166_3 Depth=1
	s_and_not1_saveexec_b32 s70, s9
	s_cbranch_execz .LBB166_42
; %bb.37:                               ;   in Loop: Header=BB166_3 Depth=1
	v_lshl_add_u64 v[38:39], v[12:13], 3, v[34:35]
	s_mov_b32 s98, exec_lo
                                        ; implicit-def: $vgpr40_vgpr41
	flat_load_b64 v[38:39], v[38:39]
	s_wait_loadcnt_dscnt 0x0
	v_cmpx_ngt_f32_e64 |v38|, |v39|
	s_xor_b32 s98, exec_lo, s98
	s_cbranch_execz .LBB166_39
; %bb.38:                               ;   in Loop: Header=BB166_3 Depth=1
	v_div_scale_f32 v0, null, v39, v39, v38
	v_div_scale_f32 v42, vcc_lo, v38, v39, v38
	s_delay_alu instid0(VALU_DEP_2) | instskip(SKIP_1) | instid1(TRANS32_DEP_1)
	v_rcp_f32_e32 v40, v0
	v_nop
	v_fma_f32 v41, -v0, v40, 1.0
	s_delay_alu instid0(VALU_DEP_1) | instskip(NEXT) | instid1(VALU_DEP_1)
	v_fmac_f32_e32 v40, v41, v40
	v_mul_f32_e32 v41, v42, v40
	s_delay_alu instid0(VALU_DEP_1) | instskip(NEXT) | instid1(VALU_DEP_1)
	v_fma_f32 v43, -v0, v41, v42
	v_fmac_f32_e32 v41, v43, v40
	s_delay_alu instid0(VALU_DEP_1) | instskip(NEXT) | instid1(VALU_DEP_1)
	v_fma_f32 v0, -v0, v41, v42
	v_div_fmas_f32 v0, v0, v40, v41
	s_delay_alu instid0(VALU_DEP_1) | instskip(NEXT) | instid1(VALU_DEP_1)
	v_div_fixup_f32 v0, v0, v39, v38
	v_fmac_f32_e32 v39, v38, v0
	s_delay_alu instid0(VALU_DEP_1) | instskip(SKIP_1) | instid1(VALU_DEP_2)
	v_div_scale_f32 v38, null, v39, v39, 1.0
	v_div_scale_f32 v42, vcc_lo, 1.0, v39, 1.0
	v_rcp_f32_e32 v40, v38
	v_nop
	s_delay_alu instid0(TRANS32_DEP_1) | instskip(NEXT) | instid1(VALU_DEP_1)
	v_fma_f32 v41, -v38, v40, 1.0
	v_fmac_f32_e32 v40, v41, v40
	s_delay_alu instid0(VALU_DEP_1) | instskip(NEXT) | instid1(VALU_DEP_1)
	v_mul_f32_e32 v41, v42, v40
	v_fma_f32 v43, -v38, v41, v42
	s_delay_alu instid0(VALU_DEP_1) | instskip(NEXT) | instid1(VALU_DEP_1)
	v_fmac_f32_e32 v41, v43, v40
	v_fma_f32 v38, -v38, v41, v42
	s_delay_alu instid0(VALU_DEP_1) | instskip(NEXT) | instid1(VALU_DEP_1)
	v_div_fmas_f32 v38, v38, v40, v41
	v_div_fixup_f32 v38, v38, v39, 1.0
	s_delay_alu instid0(VALU_DEP_1)
	v_mul_f32_e32 v40, v0, v38
	v_xor_b32_e32 v41, 0x80000000, v38
                                        ; implicit-def: $vgpr38_vgpr39
.LBB166_39:                             ;   in Loop: Header=BB166_3 Depth=1
	s_and_not1_saveexec_b32 s98, s98
	s_cbranch_execz .LBB166_41
; %bb.40:                               ;   in Loop: Header=BB166_3 Depth=1
	v_div_scale_f32 v0, null, v38, v38, v39
	v_div_scale_f32 v42, vcc_lo, v39, v38, v39
	s_delay_alu instid0(VALU_DEP_2) | instskip(SKIP_1) | instid1(TRANS32_DEP_1)
	v_rcp_f32_e32 v40, v0
	v_nop
	v_fma_f32 v41, -v0, v40, 1.0
	s_delay_alu instid0(VALU_DEP_1) | instskip(NEXT) | instid1(VALU_DEP_1)
	v_fmac_f32_e32 v40, v41, v40
	v_mul_f32_e32 v41, v42, v40
	s_delay_alu instid0(VALU_DEP_1) | instskip(NEXT) | instid1(VALU_DEP_1)
	v_fma_f32 v43, -v0, v41, v42
	v_fmac_f32_e32 v41, v43, v40
	s_delay_alu instid0(VALU_DEP_1) | instskip(NEXT) | instid1(VALU_DEP_1)
	v_fma_f32 v0, -v0, v41, v42
	v_div_fmas_f32 v0, v0, v40, v41
	s_delay_alu instid0(VALU_DEP_1) | instskip(NEXT) | instid1(VALU_DEP_1)
	v_div_fixup_f32 v0, v0, v38, v39
	v_fmac_f32_e32 v38, v39, v0
	s_delay_alu instid0(VALU_DEP_1) | instskip(NEXT) | instid1(VALU_DEP_1)
	v_div_scale_f32 v39, null, v38, v38, 1.0
	v_rcp_f32_e32 v40, v39
	v_nop
	s_delay_alu instid0(TRANS32_DEP_1) | instskip(NEXT) | instid1(VALU_DEP_1)
	v_fma_f32 v41, -v39, v40, 1.0
	v_fmac_f32_e32 v40, v41, v40
	v_div_scale_f32 v41, vcc_lo, 1.0, v38, 1.0
	s_delay_alu instid0(VALU_DEP_1) | instskip(NEXT) | instid1(VALU_DEP_1)
	v_mul_f32_e32 v42, v41, v40
	v_fma_f32 v43, -v39, v42, v41
	s_delay_alu instid0(VALU_DEP_1) | instskip(NEXT) | instid1(VALU_DEP_1)
	v_fmac_f32_e32 v42, v43, v40
	v_fma_f32 v39, -v39, v42, v41
	s_delay_alu instid0(VALU_DEP_1) | instskip(NEXT) | instid1(VALU_DEP_1)
	v_div_fmas_f32 v39, v39, v40, v42
	v_div_fixup_f32 v40, v39, v38, 1.0
	s_delay_alu instid0(VALU_DEP_1)
	v_mul_f32_e64 v41, v0, -v40
.LBB166_41:                             ;   in Loop: Header=BB166_3 Depth=1
	s_or_b32 exec_lo, exec_lo, s98
	ds_store_b64 v76, v[40:41]
.LBB166_42:                             ;   in Loop: Header=BB166_3 Depth=1
	s_or_b32 exec_lo, exec_lo, s70
.LBB166_43:                             ;   in Loop: Header=BB166_3 Depth=1
	s_and_not1_saveexec_b32 s9, s13
	s_cbranch_execz .LBB166_45
; %bb.44:                               ;   in Loop: Header=BB166_3 Depth=1
	v_lshl_add_u64 v[38:39], v[12:13], 3, v[34:35]
	flat_load_b64 v[38:39], v[38:39]
	s_wait_loadcnt_dscnt 0x0
	v_pk_add_f32 v[38:39], v[38:39], 0 neg_lo:[1,1] neg_hi:[1,1]
	ds_store_b64 v76, v[38:39]
.LBB166_45:                             ;   in Loop: Header=BB166_3 Depth=1
	s_or_b32 exec_lo, exec_lo, s9
	v_readlane_b32 s1, v92, 13
	s_and_saveexec_b32 s9, s1
	s_delay_alu instid0(SALU_CYCLE_1)
	s_xor_b32 s13, exec_lo, s9
	s_cbranch_execz .LBB166_57
; %bb.46:                               ;   in Loop: Header=BB166_3 Depth=1
	v_readlane_b32 s1, v92, 21
	s_and_saveexec_b32 s9, s1
	s_delay_alu instid0(SALU_CYCLE_1)
	s_xor_b32 s9, exec_lo, s9
	s_cbranch_execz .LBB166_50
; %bb.47:                               ;   in Loop: Header=BB166_3 Depth=1
	v_readlane_b32 s1, v91, 14
	s_and_saveexec_b32 s70, s1
; %bb.48:                               ;   in Loop: Header=BB166_3 Depth=1
	ds_store_b64 v78, v[32:33]
; %bb.49:                               ;   in Loop: Header=BB166_3 Depth=1
	s_or_b32 exec_lo, exec_lo, s70
.LBB166_50:                             ;   in Loop: Header=BB166_3 Depth=1
	s_and_not1_saveexec_b32 s70, s9
	s_cbranch_execz .LBB166_56
; %bb.51:                               ;   in Loop: Header=BB166_3 Depth=1
	v_lshl_add_u64 v[38:39], v[16:17], 3, v[34:35]
	s_mov_b32 s98, exec_lo
                                        ; implicit-def: $vgpr40_vgpr41
	flat_load_b64 v[38:39], v[38:39]
	s_wait_loadcnt_dscnt 0x0
	v_cmpx_ngt_f32_e64 |v38|, |v39|
	s_xor_b32 s98, exec_lo, s98
	s_cbranch_execz .LBB166_53
; %bb.52:                               ;   in Loop: Header=BB166_3 Depth=1
	v_div_scale_f32 v0, null, v39, v39, v38
	v_div_scale_f32 v42, vcc_lo, v38, v39, v38
	s_delay_alu instid0(VALU_DEP_2) | instskip(SKIP_1) | instid1(TRANS32_DEP_1)
	v_rcp_f32_e32 v40, v0
	v_nop
	v_fma_f32 v41, -v0, v40, 1.0
	s_delay_alu instid0(VALU_DEP_1) | instskip(NEXT) | instid1(VALU_DEP_1)
	v_fmac_f32_e32 v40, v41, v40
	v_mul_f32_e32 v41, v42, v40
	s_delay_alu instid0(VALU_DEP_1) | instskip(NEXT) | instid1(VALU_DEP_1)
	v_fma_f32 v43, -v0, v41, v42
	v_fmac_f32_e32 v41, v43, v40
	s_delay_alu instid0(VALU_DEP_1) | instskip(NEXT) | instid1(VALU_DEP_1)
	v_fma_f32 v0, -v0, v41, v42
	v_div_fmas_f32 v0, v0, v40, v41
	s_delay_alu instid0(VALU_DEP_1) | instskip(NEXT) | instid1(VALU_DEP_1)
	v_div_fixup_f32 v0, v0, v39, v38
	v_fmac_f32_e32 v39, v38, v0
	s_delay_alu instid0(VALU_DEP_1) | instskip(SKIP_1) | instid1(VALU_DEP_2)
	v_div_scale_f32 v38, null, v39, v39, 1.0
	v_div_scale_f32 v42, vcc_lo, 1.0, v39, 1.0
	v_rcp_f32_e32 v40, v38
	v_nop
	s_delay_alu instid0(TRANS32_DEP_1) | instskip(NEXT) | instid1(VALU_DEP_1)
	v_fma_f32 v41, -v38, v40, 1.0
	v_fmac_f32_e32 v40, v41, v40
	s_delay_alu instid0(VALU_DEP_1) | instskip(NEXT) | instid1(VALU_DEP_1)
	v_mul_f32_e32 v41, v42, v40
	v_fma_f32 v43, -v38, v41, v42
	s_delay_alu instid0(VALU_DEP_1) | instskip(NEXT) | instid1(VALU_DEP_1)
	v_fmac_f32_e32 v41, v43, v40
	v_fma_f32 v38, -v38, v41, v42
	s_delay_alu instid0(VALU_DEP_1) | instskip(NEXT) | instid1(VALU_DEP_1)
	v_div_fmas_f32 v38, v38, v40, v41
	v_div_fixup_f32 v38, v38, v39, 1.0
	s_delay_alu instid0(VALU_DEP_1)
	v_mul_f32_e32 v40, v0, v38
	v_xor_b32_e32 v41, 0x80000000, v38
                                        ; implicit-def: $vgpr38_vgpr39
.LBB166_53:                             ;   in Loop: Header=BB166_3 Depth=1
	s_and_not1_saveexec_b32 s98, s98
	s_cbranch_execz .LBB166_55
; %bb.54:                               ;   in Loop: Header=BB166_3 Depth=1
	v_div_scale_f32 v0, null, v38, v38, v39
	v_div_scale_f32 v42, vcc_lo, v39, v38, v39
	s_delay_alu instid0(VALU_DEP_2) | instskip(SKIP_1) | instid1(TRANS32_DEP_1)
	v_rcp_f32_e32 v40, v0
	v_nop
	v_fma_f32 v41, -v0, v40, 1.0
	s_delay_alu instid0(VALU_DEP_1) | instskip(NEXT) | instid1(VALU_DEP_1)
	v_fmac_f32_e32 v40, v41, v40
	v_mul_f32_e32 v41, v42, v40
	s_delay_alu instid0(VALU_DEP_1) | instskip(NEXT) | instid1(VALU_DEP_1)
	v_fma_f32 v43, -v0, v41, v42
	v_fmac_f32_e32 v41, v43, v40
	s_delay_alu instid0(VALU_DEP_1) | instskip(NEXT) | instid1(VALU_DEP_1)
	v_fma_f32 v0, -v0, v41, v42
	v_div_fmas_f32 v0, v0, v40, v41
	s_delay_alu instid0(VALU_DEP_1) | instskip(NEXT) | instid1(VALU_DEP_1)
	v_div_fixup_f32 v0, v0, v38, v39
	v_fmac_f32_e32 v38, v39, v0
	s_delay_alu instid0(VALU_DEP_1) | instskip(NEXT) | instid1(VALU_DEP_1)
	v_div_scale_f32 v39, null, v38, v38, 1.0
	v_rcp_f32_e32 v40, v39
	v_nop
	s_delay_alu instid0(TRANS32_DEP_1) | instskip(NEXT) | instid1(VALU_DEP_1)
	v_fma_f32 v41, -v39, v40, 1.0
	v_fmac_f32_e32 v40, v41, v40
	v_div_scale_f32 v41, vcc_lo, 1.0, v38, 1.0
	s_delay_alu instid0(VALU_DEP_1) | instskip(NEXT) | instid1(VALU_DEP_1)
	v_mul_f32_e32 v42, v41, v40
	v_fma_f32 v43, -v39, v42, v41
	s_delay_alu instid0(VALU_DEP_1) | instskip(NEXT) | instid1(VALU_DEP_1)
	v_fmac_f32_e32 v42, v43, v40
	v_fma_f32 v39, -v39, v42, v41
	s_delay_alu instid0(VALU_DEP_1) | instskip(NEXT) | instid1(VALU_DEP_1)
	v_div_fmas_f32 v39, v39, v40, v42
	v_div_fixup_f32 v40, v39, v38, 1.0
	s_delay_alu instid0(VALU_DEP_1)
	v_mul_f32_e64 v41, v0, -v40
.LBB166_55:                             ;   in Loop: Header=BB166_3 Depth=1
	s_or_b32 exec_lo, exec_lo, s98
	ds_store_b64 v78, v[40:41]
.LBB166_56:                             ;   in Loop: Header=BB166_3 Depth=1
	s_or_b32 exec_lo, exec_lo, s70
.LBB166_57:                             ;   in Loop: Header=BB166_3 Depth=1
	s_and_not1_saveexec_b32 s9, s13
	s_cbranch_execz .LBB166_59
; %bb.58:                               ;   in Loop: Header=BB166_3 Depth=1
	v_lshl_add_u64 v[38:39], v[16:17], 3, v[34:35]
	flat_load_b64 v[38:39], v[38:39]
	s_wait_loadcnt_dscnt 0x0
	v_pk_add_f32 v[38:39], v[38:39], 0 neg_lo:[1,1] neg_hi:[1,1]
	ds_store_b64 v78, v[38:39]
.LBB166_59:                             ;   in Loop: Header=BB166_3 Depth=1
	s_or_b32 exec_lo, exec_lo, s9
	v_readlane_b32 s1, v92, 15
	s_and_saveexec_b32 s9, s1
	s_delay_alu instid0(SALU_CYCLE_1)
	s_xor_b32 s13, exec_lo, s9
	s_cbranch_execz .LBB166_71
; %bb.60:                               ;   in Loop: Header=BB166_3 Depth=1
	v_readlane_b32 s1, v92, 23
	s_and_saveexec_b32 s9, s1
	s_delay_alu instid0(SALU_CYCLE_1)
	s_xor_b32 s9, exec_lo, s9
	s_cbranch_execz .LBB166_64
; %bb.61:                               ;   in Loop: Header=BB166_3 Depth=1
	v_readlane_b32 s1, v91, 15
	s_and_saveexec_b32 s70, s1
; %bb.62:                               ;   in Loop: Header=BB166_3 Depth=1
	ds_store_b64 v79, v[32:33]
; %bb.63:                               ;   in Loop: Header=BB166_3 Depth=1
	s_or_b32 exec_lo, exec_lo, s70
.LBB166_64:                             ;   in Loop: Header=BB166_3 Depth=1
	s_and_not1_saveexec_b32 s70, s9
	s_cbranch_execz .LBB166_70
; %bb.65:                               ;   in Loop: Header=BB166_3 Depth=1
	v_lshl_add_u64 v[38:39], v[18:19], 3, v[34:35]
	s_mov_b32 s98, exec_lo
                                        ; implicit-def: $vgpr40_vgpr41
	flat_load_b64 v[38:39], v[38:39]
	s_wait_loadcnt_dscnt 0x0
	v_cmpx_ngt_f32_e64 |v38|, |v39|
	s_xor_b32 s98, exec_lo, s98
	s_cbranch_execz .LBB166_67
; %bb.66:                               ;   in Loop: Header=BB166_3 Depth=1
	v_div_scale_f32 v0, null, v39, v39, v38
	v_div_scale_f32 v42, vcc_lo, v38, v39, v38
	s_delay_alu instid0(VALU_DEP_2) | instskip(SKIP_1) | instid1(TRANS32_DEP_1)
	v_rcp_f32_e32 v40, v0
	v_nop
	v_fma_f32 v41, -v0, v40, 1.0
	s_delay_alu instid0(VALU_DEP_1) | instskip(NEXT) | instid1(VALU_DEP_1)
	v_fmac_f32_e32 v40, v41, v40
	v_mul_f32_e32 v41, v42, v40
	s_delay_alu instid0(VALU_DEP_1) | instskip(NEXT) | instid1(VALU_DEP_1)
	v_fma_f32 v43, -v0, v41, v42
	v_fmac_f32_e32 v41, v43, v40
	s_delay_alu instid0(VALU_DEP_1) | instskip(NEXT) | instid1(VALU_DEP_1)
	v_fma_f32 v0, -v0, v41, v42
	v_div_fmas_f32 v0, v0, v40, v41
	s_delay_alu instid0(VALU_DEP_1) | instskip(NEXT) | instid1(VALU_DEP_1)
	v_div_fixup_f32 v0, v0, v39, v38
	v_fmac_f32_e32 v39, v38, v0
	s_delay_alu instid0(VALU_DEP_1) | instskip(SKIP_1) | instid1(VALU_DEP_2)
	v_div_scale_f32 v38, null, v39, v39, 1.0
	v_div_scale_f32 v42, vcc_lo, 1.0, v39, 1.0
	v_rcp_f32_e32 v40, v38
	v_nop
	s_delay_alu instid0(TRANS32_DEP_1) | instskip(NEXT) | instid1(VALU_DEP_1)
	v_fma_f32 v41, -v38, v40, 1.0
	v_fmac_f32_e32 v40, v41, v40
	s_delay_alu instid0(VALU_DEP_1) | instskip(NEXT) | instid1(VALU_DEP_1)
	v_mul_f32_e32 v41, v42, v40
	v_fma_f32 v43, -v38, v41, v42
	s_delay_alu instid0(VALU_DEP_1) | instskip(NEXT) | instid1(VALU_DEP_1)
	v_fmac_f32_e32 v41, v43, v40
	v_fma_f32 v38, -v38, v41, v42
	s_delay_alu instid0(VALU_DEP_1) | instskip(NEXT) | instid1(VALU_DEP_1)
	v_div_fmas_f32 v38, v38, v40, v41
	v_div_fixup_f32 v38, v38, v39, 1.0
	s_delay_alu instid0(VALU_DEP_1)
	v_mul_f32_e32 v40, v0, v38
	v_xor_b32_e32 v41, 0x80000000, v38
                                        ; implicit-def: $vgpr38_vgpr39
.LBB166_67:                             ;   in Loop: Header=BB166_3 Depth=1
	s_and_not1_saveexec_b32 s98, s98
	s_cbranch_execz .LBB166_69
; %bb.68:                               ;   in Loop: Header=BB166_3 Depth=1
	v_div_scale_f32 v0, null, v38, v38, v39
	v_div_scale_f32 v42, vcc_lo, v39, v38, v39
	s_delay_alu instid0(VALU_DEP_2) | instskip(SKIP_1) | instid1(TRANS32_DEP_1)
	v_rcp_f32_e32 v40, v0
	v_nop
	v_fma_f32 v41, -v0, v40, 1.0
	s_delay_alu instid0(VALU_DEP_1) | instskip(NEXT) | instid1(VALU_DEP_1)
	v_fmac_f32_e32 v40, v41, v40
	v_mul_f32_e32 v41, v42, v40
	s_delay_alu instid0(VALU_DEP_1) | instskip(NEXT) | instid1(VALU_DEP_1)
	v_fma_f32 v43, -v0, v41, v42
	v_fmac_f32_e32 v41, v43, v40
	s_delay_alu instid0(VALU_DEP_1) | instskip(NEXT) | instid1(VALU_DEP_1)
	v_fma_f32 v0, -v0, v41, v42
	v_div_fmas_f32 v0, v0, v40, v41
	s_delay_alu instid0(VALU_DEP_1) | instskip(NEXT) | instid1(VALU_DEP_1)
	v_div_fixup_f32 v0, v0, v38, v39
	v_fmac_f32_e32 v38, v39, v0
	s_delay_alu instid0(VALU_DEP_1) | instskip(NEXT) | instid1(VALU_DEP_1)
	v_div_scale_f32 v39, null, v38, v38, 1.0
	v_rcp_f32_e32 v40, v39
	v_nop
	s_delay_alu instid0(TRANS32_DEP_1) | instskip(NEXT) | instid1(VALU_DEP_1)
	v_fma_f32 v41, -v39, v40, 1.0
	v_fmac_f32_e32 v40, v41, v40
	v_div_scale_f32 v41, vcc_lo, 1.0, v38, 1.0
	s_delay_alu instid0(VALU_DEP_1) | instskip(NEXT) | instid1(VALU_DEP_1)
	v_mul_f32_e32 v42, v41, v40
	v_fma_f32 v43, -v39, v42, v41
	s_delay_alu instid0(VALU_DEP_1) | instskip(NEXT) | instid1(VALU_DEP_1)
	v_fmac_f32_e32 v42, v43, v40
	v_fma_f32 v39, -v39, v42, v41
	s_delay_alu instid0(VALU_DEP_1) | instskip(NEXT) | instid1(VALU_DEP_1)
	v_div_fmas_f32 v39, v39, v40, v42
	v_div_fixup_f32 v40, v39, v38, 1.0
	s_delay_alu instid0(VALU_DEP_1)
	v_mul_f32_e64 v41, v0, -v40
.LBB166_69:                             ;   in Loop: Header=BB166_3 Depth=1
	s_or_b32 exec_lo, exec_lo, s98
	ds_store_b64 v79, v[40:41]
.LBB166_70:                             ;   in Loop: Header=BB166_3 Depth=1
	s_or_b32 exec_lo, exec_lo, s70
.LBB166_71:                             ;   in Loop: Header=BB166_3 Depth=1
	s_and_not1_saveexec_b32 s9, s13
	s_cbranch_execz .LBB166_73
; %bb.72:                               ;   in Loop: Header=BB166_3 Depth=1
	v_lshl_add_u64 v[38:39], v[18:19], 3, v[34:35]
	flat_load_b64 v[38:39], v[38:39]
	s_wait_loadcnt_dscnt 0x0
	v_pk_add_f32 v[38:39], v[38:39], 0 neg_lo:[1,1] neg_hi:[1,1]
	ds_store_b64 v79, v[38:39]
.LBB166_73:                             ;   in Loop: Header=BB166_3 Depth=1
	s_or_b32 exec_lo, exec_lo, s9
	s_branch .LBB166_131
.LBB166_74:                             ;   in Loop: Header=BB166_3 Depth=1
	v_readlane_b32 s1, v92, 10
	s_wait_xcnt 0x0
	s_and_saveexec_b32 s9, s1
	s_delay_alu instid0(SALU_CYCLE_1)
	s_xor_b32 s13, exec_lo, s9
	s_cbranch_execz .LBB166_86
; %bb.75:                               ;   in Loop: Header=BB166_3 Depth=1
	v_readlane_b32 s1, v92, 18
	s_and_saveexec_b32 s9, s1
	s_delay_alu instid0(SALU_CYCLE_1)
	s_xor_b32 s9, exec_lo, s9
	s_cbranch_execz .LBB166_79
; %bb.76:                               ;   in Loop: Header=BB166_3 Depth=1
	v_readlane_b32 s1, v91, 12
	s_and_saveexec_b32 s70, s1
; %bb.77:                               ;   in Loop: Header=BB166_3 Depth=1
	ds_store_b64 v73, v[32:33]
; %bb.78:                               ;   in Loop: Header=BB166_3 Depth=1
	s_or_b32 exec_lo, exec_lo, s70
.LBB166_79:                             ;   in Loop: Header=BB166_3 Depth=1
	s_and_not1_saveexec_b32 s70, s9
	s_cbranch_execz .LBB166_85
; %bb.80:                               ;   in Loop: Header=BB166_3 Depth=1
	v_lshl_add_u64 v[38:39], v[10:11], 3, v[34:35]
	s_mov_b32 s98, exec_lo
                                        ; implicit-def: $vgpr40_vgpr41
	flat_load_b64 v[38:39], v[38:39]
	s_wait_loadcnt_dscnt 0x0
	v_cmpx_ngt_f32_e64 |v38|, |v39|
	s_xor_b32 s98, exec_lo, s98
	s_cbranch_execz .LBB166_82
; %bb.81:                               ;   in Loop: Header=BB166_3 Depth=1
	v_div_scale_f32 v0, null, v39, v39, v38
	v_div_scale_f32 v42, vcc_lo, v38, v39, v38
	s_delay_alu instid0(VALU_DEP_2) | instskip(SKIP_1) | instid1(TRANS32_DEP_1)
	v_rcp_f32_e32 v40, v0
	v_nop
	v_fma_f32 v41, -v0, v40, 1.0
	s_delay_alu instid0(VALU_DEP_1) | instskip(NEXT) | instid1(VALU_DEP_1)
	v_fmac_f32_e32 v40, v41, v40
	v_mul_f32_e32 v41, v42, v40
	s_delay_alu instid0(VALU_DEP_1) | instskip(NEXT) | instid1(VALU_DEP_1)
	v_fma_f32 v43, -v0, v41, v42
	v_fmac_f32_e32 v41, v43, v40
	s_delay_alu instid0(VALU_DEP_1) | instskip(NEXT) | instid1(VALU_DEP_1)
	v_fma_f32 v0, -v0, v41, v42
	v_div_fmas_f32 v0, v0, v40, v41
	s_delay_alu instid0(VALU_DEP_1) | instskip(NEXT) | instid1(VALU_DEP_1)
	v_div_fixup_f32 v0, v0, v39, v38
	v_fmac_f32_e32 v39, v38, v0
	s_delay_alu instid0(VALU_DEP_1) | instskip(SKIP_1) | instid1(VALU_DEP_2)
	v_div_scale_f32 v38, null, v39, v39, 1.0
	v_div_scale_f32 v42, vcc_lo, 1.0, v39, 1.0
	v_rcp_f32_e32 v40, v38
	v_nop
	s_delay_alu instid0(TRANS32_DEP_1) | instskip(NEXT) | instid1(VALU_DEP_1)
	v_fma_f32 v41, -v38, v40, 1.0
	v_fmac_f32_e32 v40, v41, v40
	s_delay_alu instid0(VALU_DEP_1) | instskip(NEXT) | instid1(VALU_DEP_1)
	v_mul_f32_e32 v41, v42, v40
	v_fma_f32 v43, -v38, v41, v42
	s_delay_alu instid0(VALU_DEP_1) | instskip(NEXT) | instid1(VALU_DEP_1)
	v_fmac_f32_e32 v41, v43, v40
	v_fma_f32 v38, -v38, v41, v42
	s_delay_alu instid0(VALU_DEP_1) | instskip(NEXT) | instid1(VALU_DEP_1)
	v_div_fmas_f32 v38, v38, v40, v41
	v_div_fixup_f32 v38, v38, v39, 1.0
	s_delay_alu instid0(VALU_DEP_1)
	v_mul_f32_e32 v40, v0, v38
	v_xor_b32_e32 v41, 0x80000000, v38
                                        ; implicit-def: $vgpr38_vgpr39
.LBB166_82:                             ;   in Loop: Header=BB166_3 Depth=1
	s_and_not1_saveexec_b32 s98, s98
	s_cbranch_execz .LBB166_84
; %bb.83:                               ;   in Loop: Header=BB166_3 Depth=1
	v_div_scale_f32 v0, null, v38, v38, v39
	v_div_scale_f32 v42, vcc_lo, v39, v38, v39
	s_delay_alu instid0(VALU_DEP_2) | instskip(SKIP_1) | instid1(TRANS32_DEP_1)
	v_rcp_f32_e32 v40, v0
	v_nop
	v_fma_f32 v41, -v0, v40, 1.0
	s_delay_alu instid0(VALU_DEP_1) | instskip(NEXT) | instid1(VALU_DEP_1)
	v_fmac_f32_e32 v40, v41, v40
	v_mul_f32_e32 v41, v42, v40
	s_delay_alu instid0(VALU_DEP_1) | instskip(NEXT) | instid1(VALU_DEP_1)
	v_fma_f32 v43, -v0, v41, v42
	v_fmac_f32_e32 v41, v43, v40
	s_delay_alu instid0(VALU_DEP_1) | instskip(NEXT) | instid1(VALU_DEP_1)
	v_fma_f32 v0, -v0, v41, v42
	v_div_fmas_f32 v0, v0, v40, v41
	s_delay_alu instid0(VALU_DEP_1) | instskip(NEXT) | instid1(VALU_DEP_1)
	v_div_fixup_f32 v0, v0, v38, v39
	v_fmac_f32_e32 v38, v39, v0
	s_delay_alu instid0(VALU_DEP_1) | instskip(NEXT) | instid1(VALU_DEP_1)
	v_div_scale_f32 v39, null, v38, v38, 1.0
	v_rcp_f32_e32 v40, v39
	v_nop
	s_delay_alu instid0(TRANS32_DEP_1) | instskip(NEXT) | instid1(VALU_DEP_1)
	v_fma_f32 v41, -v39, v40, 1.0
	v_fmac_f32_e32 v40, v41, v40
	v_div_scale_f32 v41, vcc_lo, 1.0, v38, 1.0
	s_delay_alu instid0(VALU_DEP_1) | instskip(NEXT) | instid1(VALU_DEP_1)
	v_mul_f32_e32 v42, v41, v40
	v_fma_f32 v43, -v39, v42, v41
	s_delay_alu instid0(VALU_DEP_1) | instskip(NEXT) | instid1(VALU_DEP_1)
	v_fmac_f32_e32 v42, v43, v40
	v_fma_f32 v39, -v39, v42, v41
	s_delay_alu instid0(VALU_DEP_1) | instskip(NEXT) | instid1(VALU_DEP_1)
	v_div_fmas_f32 v39, v39, v40, v42
	v_div_fixup_f32 v40, v39, v38, 1.0
	s_delay_alu instid0(VALU_DEP_1)
	v_mul_f32_e64 v41, v0, -v40
.LBB166_84:                             ;   in Loop: Header=BB166_3 Depth=1
	s_or_b32 exec_lo, exec_lo, s98
	ds_store_b64 v73, v[40:41]
.LBB166_85:                             ;   in Loop: Header=BB166_3 Depth=1
	s_or_b32 exec_lo, exec_lo, s70
.LBB166_86:                             ;   in Loop: Header=BB166_3 Depth=1
	s_and_not1_saveexec_b32 s9, s13
	s_cbranch_execz .LBB166_88
; %bb.87:                               ;   in Loop: Header=BB166_3 Depth=1
	v_lshl_add_u64 v[38:39], v[10:11], 3, v[34:35]
	flat_load_b64 v[38:39], v[38:39]
	s_wait_loadcnt_dscnt 0x0
	v_pk_add_f32 v[38:39], v[38:39], 0 neg_lo:[1,1] neg_hi:[1,1]
	ds_store_b64 v73, v[38:39]
.LBB166_88:                             ;   in Loop: Header=BB166_3 Depth=1
	s_or_b32 exec_lo, exec_lo, s9
	v_readlane_b32 s1, v92, 12
	s_and_saveexec_b32 s9, s1
	s_delay_alu instid0(SALU_CYCLE_1)
	s_xor_b32 s13, exec_lo, s9
	s_cbranch_execz .LBB166_100
; %bb.89:                               ;   in Loop: Header=BB166_3 Depth=1
	v_readlane_b32 s1, v92, 20
	s_and_saveexec_b32 s9, s1
	s_delay_alu instid0(SALU_CYCLE_1)
	s_xor_b32 s9, exec_lo, s9
	s_cbranch_execz .LBB166_93
; %bb.90:                               ;   in Loop: Header=BB166_3 Depth=1
	v_readlane_b32 s1, v91, 13
	s_and_saveexec_b32 s70, s1
; %bb.91:                               ;   in Loop: Header=BB166_3 Depth=1
	ds_store_b64 v76, v[32:33]
; %bb.92:                               ;   in Loop: Header=BB166_3 Depth=1
	s_or_b32 exec_lo, exec_lo, s70
.LBB166_93:                             ;   in Loop: Header=BB166_3 Depth=1
	s_and_not1_saveexec_b32 s70, s9
	s_cbranch_execz .LBB166_99
; %bb.94:                               ;   in Loop: Header=BB166_3 Depth=1
	v_lshl_add_u64 v[38:39], v[12:13], 3, v[34:35]
	s_mov_b32 s98, exec_lo
                                        ; implicit-def: $vgpr40_vgpr41
	flat_load_b64 v[38:39], v[38:39]
	s_wait_loadcnt_dscnt 0x0
	v_cmpx_ngt_f32_e64 |v38|, |v39|
	s_xor_b32 s98, exec_lo, s98
	s_cbranch_execz .LBB166_96
; %bb.95:                               ;   in Loop: Header=BB166_3 Depth=1
	v_div_scale_f32 v0, null, v39, v39, v38
	v_div_scale_f32 v42, vcc_lo, v38, v39, v38
	s_delay_alu instid0(VALU_DEP_2) | instskip(SKIP_1) | instid1(TRANS32_DEP_1)
	v_rcp_f32_e32 v40, v0
	v_nop
	v_fma_f32 v41, -v0, v40, 1.0
	s_delay_alu instid0(VALU_DEP_1) | instskip(NEXT) | instid1(VALU_DEP_1)
	v_fmac_f32_e32 v40, v41, v40
	v_mul_f32_e32 v41, v42, v40
	s_delay_alu instid0(VALU_DEP_1) | instskip(NEXT) | instid1(VALU_DEP_1)
	v_fma_f32 v43, -v0, v41, v42
	v_fmac_f32_e32 v41, v43, v40
	s_delay_alu instid0(VALU_DEP_1) | instskip(NEXT) | instid1(VALU_DEP_1)
	v_fma_f32 v0, -v0, v41, v42
	v_div_fmas_f32 v0, v0, v40, v41
	s_delay_alu instid0(VALU_DEP_1) | instskip(NEXT) | instid1(VALU_DEP_1)
	v_div_fixup_f32 v0, v0, v39, v38
	v_fmac_f32_e32 v39, v38, v0
	s_delay_alu instid0(VALU_DEP_1) | instskip(SKIP_1) | instid1(VALU_DEP_2)
	v_div_scale_f32 v38, null, v39, v39, 1.0
	v_div_scale_f32 v42, vcc_lo, 1.0, v39, 1.0
	v_rcp_f32_e32 v40, v38
	v_nop
	s_delay_alu instid0(TRANS32_DEP_1) | instskip(NEXT) | instid1(VALU_DEP_1)
	v_fma_f32 v41, -v38, v40, 1.0
	v_fmac_f32_e32 v40, v41, v40
	s_delay_alu instid0(VALU_DEP_1) | instskip(NEXT) | instid1(VALU_DEP_1)
	v_mul_f32_e32 v41, v42, v40
	v_fma_f32 v43, -v38, v41, v42
	s_delay_alu instid0(VALU_DEP_1) | instskip(NEXT) | instid1(VALU_DEP_1)
	v_fmac_f32_e32 v41, v43, v40
	v_fma_f32 v38, -v38, v41, v42
	s_delay_alu instid0(VALU_DEP_1) | instskip(NEXT) | instid1(VALU_DEP_1)
	v_div_fmas_f32 v38, v38, v40, v41
	v_div_fixup_f32 v38, v38, v39, 1.0
	s_delay_alu instid0(VALU_DEP_1)
	v_mul_f32_e32 v40, v0, v38
	v_xor_b32_e32 v41, 0x80000000, v38
                                        ; implicit-def: $vgpr38_vgpr39
.LBB166_96:                             ;   in Loop: Header=BB166_3 Depth=1
	s_and_not1_saveexec_b32 s98, s98
	s_cbranch_execz .LBB166_98
; %bb.97:                               ;   in Loop: Header=BB166_3 Depth=1
	v_div_scale_f32 v0, null, v38, v38, v39
	v_div_scale_f32 v42, vcc_lo, v39, v38, v39
	s_delay_alu instid0(VALU_DEP_2) | instskip(SKIP_1) | instid1(TRANS32_DEP_1)
	v_rcp_f32_e32 v40, v0
	v_nop
	v_fma_f32 v41, -v0, v40, 1.0
	s_delay_alu instid0(VALU_DEP_1) | instskip(NEXT) | instid1(VALU_DEP_1)
	v_fmac_f32_e32 v40, v41, v40
	v_mul_f32_e32 v41, v42, v40
	s_delay_alu instid0(VALU_DEP_1) | instskip(NEXT) | instid1(VALU_DEP_1)
	v_fma_f32 v43, -v0, v41, v42
	v_fmac_f32_e32 v41, v43, v40
	s_delay_alu instid0(VALU_DEP_1) | instskip(NEXT) | instid1(VALU_DEP_1)
	v_fma_f32 v0, -v0, v41, v42
	v_div_fmas_f32 v0, v0, v40, v41
	s_delay_alu instid0(VALU_DEP_1) | instskip(NEXT) | instid1(VALU_DEP_1)
	v_div_fixup_f32 v0, v0, v38, v39
	v_fmac_f32_e32 v38, v39, v0
	s_delay_alu instid0(VALU_DEP_1) | instskip(NEXT) | instid1(VALU_DEP_1)
	v_div_scale_f32 v39, null, v38, v38, 1.0
	v_rcp_f32_e32 v40, v39
	v_nop
	s_delay_alu instid0(TRANS32_DEP_1) | instskip(NEXT) | instid1(VALU_DEP_1)
	v_fma_f32 v41, -v39, v40, 1.0
	v_fmac_f32_e32 v40, v41, v40
	v_div_scale_f32 v41, vcc_lo, 1.0, v38, 1.0
	s_delay_alu instid0(VALU_DEP_1) | instskip(NEXT) | instid1(VALU_DEP_1)
	v_mul_f32_e32 v42, v41, v40
	v_fma_f32 v43, -v39, v42, v41
	s_delay_alu instid0(VALU_DEP_1) | instskip(NEXT) | instid1(VALU_DEP_1)
	v_fmac_f32_e32 v42, v43, v40
	v_fma_f32 v39, -v39, v42, v41
	s_delay_alu instid0(VALU_DEP_1) | instskip(NEXT) | instid1(VALU_DEP_1)
	v_div_fmas_f32 v39, v39, v40, v42
	v_div_fixup_f32 v40, v39, v38, 1.0
	s_delay_alu instid0(VALU_DEP_1)
	v_mul_f32_e64 v41, v0, -v40
.LBB166_98:                             ;   in Loop: Header=BB166_3 Depth=1
	s_or_b32 exec_lo, exec_lo, s98
	ds_store_b64 v76, v[40:41]
.LBB166_99:                             ;   in Loop: Header=BB166_3 Depth=1
	s_or_b32 exec_lo, exec_lo, s70
.LBB166_100:                            ;   in Loop: Header=BB166_3 Depth=1
	s_and_not1_saveexec_b32 s9, s13
	s_cbranch_execz .LBB166_102
; %bb.101:                              ;   in Loop: Header=BB166_3 Depth=1
	v_lshl_add_u64 v[38:39], v[12:13], 3, v[34:35]
	flat_load_b64 v[38:39], v[38:39]
	s_wait_loadcnt_dscnt 0x0
	v_pk_add_f32 v[38:39], v[38:39], 0 neg_lo:[1,1] neg_hi:[1,1]
	ds_store_b64 v76, v[38:39]
.LBB166_102:                            ;   in Loop: Header=BB166_3 Depth=1
	s_or_b32 exec_lo, exec_lo, s9
	v_readlane_b32 s1, v92, 14
	s_and_saveexec_b32 s9, s1
	s_delay_alu instid0(SALU_CYCLE_1)
	s_xor_b32 s13, exec_lo, s9
	s_cbranch_execz .LBB166_114
; %bb.103:                              ;   in Loop: Header=BB166_3 Depth=1
	v_readlane_b32 s1, v92, 22
	s_and_saveexec_b32 s9, s1
	s_delay_alu instid0(SALU_CYCLE_1)
	s_xor_b32 s9, exec_lo, s9
	s_cbranch_execz .LBB166_107
; %bb.104:                              ;   in Loop: Header=BB166_3 Depth=1
	v_readlane_b32 s1, v91, 14
	s_and_saveexec_b32 s70, s1
; %bb.105:                              ;   in Loop: Header=BB166_3 Depth=1
	ds_store_b64 v78, v[32:33]
; %bb.106:                              ;   in Loop: Header=BB166_3 Depth=1
	s_or_b32 exec_lo, exec_lo, s70
.LBB166_107:                            ;   in Loop: Header=BB166_3 Depth=1
	s_and_not1_saveexec_b32 s70, s9
	s_cbranch_execz .LBB166_113
; %bb.108:                              ;   in Loop: Header=BB166_3 Depth=1
	v_lshl_add_u64 v[38:39], v[16:17], 3, v[34:35]
	s_mov_b32 s98, exec_lo
                                        ; implicit-def: $vgpr40_vgpr41
	flat_load_b64 v[38:39], v[38:39]
	s_wait_loadcnt_dscnt 0x0
	v_cmpx_ngt_f32_e64 |v38|, |v39|
	s_xor_b32 s98, exec_lo, s98
	s_cbranch_execz .LBB166_110
; %bb.109:                              ;   in Loop: Header=BB166_3 Depth=1
	v_div_scale_f32 v0, null, v39, v39, v38
	v_div_scale_f32 v42, vcc_lo, v38, v39, v38
	s_delay_alu instid0(VALU_DEP_2) | instskip(SKIP_1) | instid1(TRANS32_DEP_1)
	v_rcp_f32_e32 v40, v0
	v_nop
	v_fma_f32 v41, -v0, v40, 1.0
	s_delay_alu instid0(VALU_DEP_1) | instskip(NEXT) | instid1(VALU_DEP_1)
	v_fmac_f32_e32 v40, v41, v40
	v_mul_f32_e32 v41, v42, v40
	s_delay_alu instid0(VALU_DEP_1) | instskip(NEXT) | instid1(VALU_DEP_1)
	v_fma_f32 v43, -v0, v41, v42
	v_fmac_f32_e32 v41, v43, v40
	s_delay_alu instid0(VALU_DEP_1) | instskip(NEXT) | instid1(VALU_DEP_1)
	v_fma_f32 v0, -v0, v41, v42
	v_div_fmas_f32 v0, v0, v40, v41
	s_delay_alu instid0(VALU_DEP_1) | instskip(NEXT) | instid1(VALU_DEP_1)
	v_div_fixup_f32 v0, v0, v39, v38
	v_fmac_f32_e32 v39, v38, v0
	s_delay_alu instid0(VALU_DEP_1) | instskip(SKIP_1) | instid1(VALU_DEP_2)
	v_div_scale_f32 v38, null, v39, v39, 1.0
	v_div_scale_f32 v42, vcc_lo, 1.0, v39, 1.0
	v_rcp_f32_e32 v40, v38
	v_nop
	s_delay_alu instid0(TRANS32_DEP_1) | instskip(NEXT) | instid1(VALU_DEP_1)
	v_fma_f32 v41, -v38, v40, 1.0
	v_fmac_f32_e32 v40, v41, v40
	s_delay_alu instid0(VALU_DEP_1) | instskip(NEXT) | instid1(VALU_DEP_1)
	v_mul_f32_e32 v41, v42, v40
	v_fma_f32 v43, -v38, v41, v42
	s_delay_alu instid0(VALU_DEP_1) | instskip(NEXT) | instid1(VALU_DEP_1)
	v_fmac_f32_e32 v41, v43, v40
	v_fma_f32 v38, -v38, v41, v42
	s_delay_alu instid0(VALU_DEP_1) | instskip(NEXT) | instid1(VALU_DEP_1)
	v_div_fmas_f32 v38, v38, v40, v41
	v_div_fixup_f32 v38, v38, v39, 1.0
	s_delay_alu instid0(VALU_DEP_1)
	v_mul_f32_e32 v40, v0, v38
	v_xor_b32_e32 v41, 0x80000000, v38
                                        ; implicit-def: $vgpr38_vgpr39
.LBB166_110:                            ;   in Loop: Header=BB166_3 Depth=1
	s_and_not1_saveexec_b32 s98, s98
	s_cbranch_execz .LBB166_112
; %bb.111:                              ;   in Loop: Header=BB166_3 Depth=1
	v_div_scale_f32 v0, null, v38, v38, v39
	v_div_scale_f32 v42, vcc_lo, v39, v38, v39
	s_delay_alu instid0(VALU_DEP_2) | instskip(SKIP_1) | instid1(TRANS32_DEP_1)
	v_rcp_f32_e32 v40, v0
	v_nop
	v_fma_f32 v41, -v0, v40, 1.0
	s_delay_alu instid0(VALU_DEP_1) | instskip(NEXT) | instid1(VALU_DEP_1)
	v_fmac_f32_e32 v40, v41, v40
	v_mul_f32_e32 v41, v42, v40
	s_delay_alu instid0(VALU_DEP_1) | instskip(NEXT) | instid1(VALU_DEP_1)
	v_fma_f32 v43, -v0, v41, v42
	v_fmac_f32_e32 v41, v43, v40
	s_delay_alu instid0(VALU_DEP_1) | instskip(NEXT) | instid1(VALU_DEP_1)
	v_fma_f32 v0, -v0, v41, v42
	v_div_fmas_f32 v0, v0, v40, v41
	s_delay_alu instid0(VALU_DEP_1) | instskip(NEXT) | instid1(VALU_DEP_1)
	v_div_fixup_f32 v0, v0, v38, v39
	v_fmac_f32_e32 v38, v39, v0
	s_delay_alu instid0(VALU_DEP_1) | instskip(NEXT) | instid1(VALU_DEP_1)
	v_div_scale_f32 v39, null, v38, v38, 1.0
	v_rcp_f32_e32 v40, v39
	v_nop
	s_delay_alu instid0(TRANS32_DEP_1) | instskip(NEXT) | instid1(VALU_DEP_1)
	v_fma_f32 v41, -v39, v40, 1.0
	v_fmac_f32_e32 v40, v41, v40
	v_div_scale_f32 v41, vcc_lo, 1.0, v38, 1.0
	s_delay_alu instid0(VALU_DEP_1) | instskip(NEXT) | instid1(VALU_DEP_1)
	v_mul_f32_e32 v42, v41, v40
	v_fma_f32 v43, -v39, v42, v41
	s_delay_alu instid0(VALU_DEP_1) | instskip(NEXT) | instid1(VALU_DEP_1)
	v_fmac_f32_e32 v42, v43, v40
	v_fma_f32 v39, -v39, v42, v41
	s_delay_alu instid0(VALU_DEP_1) | instskip(NEXT) | instid1(VALU_DEP_1)
	v_div_fmas_f32 v39, v39, v40, v42
	v_div_fixup_f32 v40, v39, v38, 1.0
	s_delay_alu instid0(VALU_DEP_1)
	v_mul_f32_e64 v41, v0, -v40
.LBB166_112:                            ;   in Loop: Header=BB166_3 Depth=1
	s_or_b32 exec_lo, exec_lo, s98
	ds_store_b64 v78, v[40:41]
.LBB166_113:                            ;   in Loop: Header=BB166_3 Depth=1
	s_or_b32 exec_lo, exec_lo, s70
.LBB166_114:                            ;   in Loop: Header=BB166_3 Depth=1
	s_and_not1_saveexec_b32 s9, s13
	s_cbranch_execz .LBB166_116
; %bb.115:                              ;   in Loop: Header=BB166_3 Depth=1
	v_lshl_add_u64 v[38:39], v[16:17], 3, v[34:35]
	flat_load_b64 v[38:39], v[38:39]
	s_wait_loadcnt_dscnt 0x0
	v_pk_add_f32 v[38:39], v[38:39], 0 neg_lo:[1,1] neg_hi:[1,1]
	ds_store_b64 v78, v[38:39]
.LBB166_116:                            ;   in Loop: Header=BB166_3 Depth=1
	s_or_b32 exec_lo, exec_lo, s9
	v_readlane_b32 s1, v92, 16
	s_and_saveexec_b32 s9, s1
	s_delay_alu instid0(SALU_CYCLE_1)
	s_xor_b32 s13, exec_lo, s9
	s_cbranch_execz .LBB166_128
; %bb.117:                              ;   in Loop: Header=BB166_3 Depth=1
	v_readlane_b32 s1, v92, 24
	s_and_saveexec_b32 s9, s1
	s_delay_alu instid0(SALU_CYCLE_1)
	s_xor_b32 s9, exec_lo, s9
	s_cbranch_execz .LBB166_121
; %bb.118:                              ;   in Loop: Header=BB166_3 Depth=1
	v_readlane_b32 s1, v91, 15
	s_and_saveexec_b32 s70, s1
; %bb.119:                              ;   in Loop: Header=BB166_3 Depth=1
	ds_store_b64 v79, v[32:33]
; %bb.120:                              ;   in Loop: Header=BB166_3 Depth=1
	s_or_b32 exec_lo, exec_lo, s70
.LBB166_121:                            ;   in Loop: Header=BB166_3 Depth=1
	s_and_not1_saveexec_b32 s70, s9
	s_cbranch_execz .LBB166_127
; %bb.122:                              ;   in Loop: Header=BB166_3 Depth=1
	v_lshl_add_u64 v[38:39], v[18:19], 3, v[34:35]
	s_mov_b32 s98, exec_lo
                                        ; implicit-def: $vgpr40_vgpr41
	flat_load_b64 v[38:39], v[38:39]
	s_wait_loadcnt_dscnt 0x0
	v_cmpx_ngt_f32_e64 |v38|, |v39|
	s_xor_b32 s98, exec_lo, s98
	s_cbranch_execz .LBB166_124
; %bb.123:                              ;   in Loop: Header=BB166_3 Depth=1
	v_div_scale_f32 v0, null, v39, v39, v38
	v_div_scale_f32 v42, vcc_lo, v38, v39, v38
	s_delay_alu instid0(VALU_DEP_2) | instskip(SKIP_1) | instid1(TRANS32_DEP_1)
	v_rcp_f32_e32 v40, v0
	v_nop
	v_fma_f32 v41, -v0, v40, 1.0
	s_delay_alu instid0(VALU_DEP_1) | instskip(NEXT) | instid1(VALU_DEP_1)
	v_fmac_f32_e32 v40, v41, v40
	v_mul_f32_e32 v41, v42, v40
	s_delay_alu instid0(VALU_DEP_1) | instskip(NEXT) | instid1(VALU_DEP_1)
	v_fma_f32 v43, -v0, v41, v42
	v_fmac_f32_e32 v41, v43, v40
	s_delay_alu instid0(VALU_DEP_1) | instskip(NEXT) | instid1(VALU_DEP_1)
	v_fma_f32 v0, -v0, v41, v42
	v_div_fmas_f32 v0, v0, v40, v41
	s_delay_alu instid0(VALU_DEP_1) | instskip(NEXT) | instid1(VALU_DEP_1)
	v_div_fixup_f32 v0, v0, v39, v38
	v_fmac_f32_e32 v39, v38, v0
	s_delay_alu instid0(VALU_DEP_1) | instskip(SKIP_1) | instid1(VALU_DEP_2)
	v_div_scale_f32 v38, null, v39, v39, 1.0
	v_div_scale_f32 v42, vcc_lo, 1.0, v39, 1.0
	v_rcp_f32_e32 v40, v38
	v_nop
	s_delay_alu instid0(TRANS32_DEP_1) | instskip(NEXT) | instid1(VALU_DEP_1)
	v_fma_f32 v41, -v38, v40, 1.0
	v_fmac_f32_e32 v40, v41, v40
	s_delay_alu instid0(VALU_DEP_1) | instskip(NEXT) | instid1(VALU_DEP_1)
	v_mul_f32_e32 v41, v42, v40
	v_fma_f32 v43, -v38, v41, v42
	s_delay_alu instid0(VALU_DEP_1) | instskip(NEXT) | instid1(VALU_DEP_1)
	v_fmac_f32_e32 v41, v43, v40
	v_fma_f32 v38, -v38, v41, v42
	s_delay_alu instid0(VALU_DEP_1) | instskip(NEXT) | instid1(VALU_DEP_1)
	v_div_fmas_f32 v38, v38, v40, v41
	v_div_fixup_f32 v38, v38, v39, 1.0
	s_delay_alu instid0(VALU_DEP_1)
	v_mul_f32_e32 v40, v0, v38
	v_xor_b32_e32 v41, 0x80000000, v38
                                        ; implicit-def: $vgpr38_vgpr39
.LBB166_124:                            ;   in Loop: Header=BB166_3 Depth=1
	s_and_not1_saveexec_b32 s98, s98
	s_cbranch_execz .LBB166_126
; %bb.125:                              ;   in Loop: Header=BB166_3 Depth=1
	v_div_scale_f32 v0, null, v38, v38, v39
	v_div_scale_f32 v42, vcc_lo, v39, v38, v39
	s_delay_alu instid0(VALU_DEP_2) | instskip(SKIP_1) | instid1(TRANS32_DEP_1)
	v_rcp_f32_e32 v40, v0
	v_nop
	v_fma_f32 v41, -v0, v40, 1.0
	s_delay_alu instid0(VALU_DEP_1) | instskip(NEXT) | instid1(VALU_DEP_1)
	v_fmac_f32_e32 v40, v41, v40
	v_mul_f32_e32 v41, v42, v40
	s_delay_alu instid0(VALU_DEP_1) | instskip(NEXT) | instid1(VALU_DEP_1)
	v_fma_f32 v43, -v0, v41, v42
	v_fmac_f32_e32 v41, v43, v40
	s_delay_alu instid0(VALU_DEP_1) | instskip(NEXT) | instid1(VALU_DEP_1)
	v_fma_f32 v0, -v0, v41, v42
	v_div_fmas_f32 v0, v0, v40, v41
	s_delay_alu instid0(VALU_DEP_1) | instskip(NEXT) | instid1(VALU_DEP_1)
	v_div_fixup_f32 v0, v0, v38, v39
	v_fmac_f32_e32 v38, v39, v0
	s_delay_alu instid0(VALU_DEP_1) | instskip(NEXT) | instid1(VALU_DEP_1)
	v_div_scale_f32 v39, null, v38, v38, 1.0
	v_rcp_f32_e32 v40, v39
	v_nop
	s_delay_alu instid0(TRANS32_DEP_1) | instskip(NEXT) | instid1(VALU_DEP_1)
	v_fma_f32 v41, -v39, v40, 1.0
	v_fmac_f32_e32 v40, v41, v40
	v_div_scale_f32 v41, vcc_lo, 1.0, v38, 1.0
	s_delay_alu instid0(VALU_DEP_1) | instskip(NEXT) | instid1(VALU_DEP_1)
	v_mul_f32_e32 v42, v41, v40
	v_fma_f32 v43, -v39, v42, v41
	s_delay_alu instid0(VALU_DEP_1) | instskip(NEXT) | instid1(VALU_DEP_1)
	v_fmac_f32_e32 v42, v43, v40
	v_fma_f32 v39, -v39, v42, v41
	s_delay_alu instid0(VALU_DEP_1) | instskip(NEXT) | instid1(VALU_DEP_1)
	v_div_fmas_f32 v39, v39, v40, v42
	v_div_fixup_f32 v40, v39, v38, 1.0
	s_delay_alu instid0(VALU_DEP_1)
	v_mul_f32_e64 v41, v0, -v40
.LBB166_126:                            ;   in Loop: Header=BB166_3 Depth=1
	s_or_b32 exec_lo, exec_lo, s98
	ds_store_b64 v79, v[40:41]
.LBB166_127:                            ;   in Loop: Header=BB166_3 Depth=1
	s_or_b32 exec_lo, exec_lo, s70
.LBB166_128:                            ;   in Loop: Header=BB166_3 Depth=1
	s_and_not1_saveexec_b32 s9, s13
	s_cbranch_execz .LBB166_130
; %bb.129:                              ;   in Loop: Header=BB166_3 Depth=1
	v_lshl_add_u64 v[38:39], v[18:19], 3, v[34:35]
	flat_load_b64 v[38:39], v[38:39]
	s_wait_loadcnt_dscnt 0x0
	v_pk_add_f32 v[38:39], v[38:39], 0 neg_lo:[1,1] neg_hi:[1,1]
	ds_store_b64 v79, v[38:39]
.LBB166_130:                            ;   in Loop: Header=BB166_3 Depth=1
	s_or_b32 exec_lo, exec_lo, s9
.LBB166_131:                            ;   in Loop: Header=BB166_3 Depth=1
	s_delay_alu instid0(SALU_CYCLE_1)
	s_and_not1_b32 vcc_lo, exec_lo, s104
	s_wait_storecnt 0x0
	s_wait_loadcnt_dscnt 0x0
	s_barrier_signal -1
	s_barrier_wait -1
	s_cbranch_vccnz .LBB166_990
; %bb.132:                              ;   in Loop: Header=BB166_3 Depth=1
	s_wait_xcnt 0x0
	s_and_saveexec_b32 s13, s14
	s_cbranch_execz .LBB166_134
; %bb.133:                              ;   in Loop: Header=BB166_3 Depth=1
	ds_load_b128 v[38:41], v1
	ds_load_b64 v[42:43], v1 offset:520
	s_wait_dscnt 0x1
	v_dual_mov_b32 v82, v41 :: v_dual_mov_b32 v83, v40
	s_wait_dscnt 0x0
	v_dual_mul_f32 v81, v43, v39 :: v_dual_mul_f32 v0, v42, v39
	s_delay_alu instid0(VALU_DEP_1) | instskip(NEXT) | instid1(VALU_DEP_2)
	v_xor_b32_e32 v84, 0x80000000, v81
	v_fmac_f32_e32 v0, v43, v38
	s_delay_alu instid0(VALU_DEP_2) | instskip(NEXT) | instid1(VALU_DEP_2)
	v_fmac_f32_e32 v84, v42, v38
	v_pk_mul_f32 v[38:39], v[0:1], v[82:83] op_sel_hi:[0,1]
	s_delay_alu instid0(VALU_DEP_1) | instskip(SKIP_1) | instid1(VALU_DEP_2)
	v_pk_fma_f32 v[42:43], v[84:85], v[40:41], v[38:39] op_sel_hi:[0,1,1]
	v_pk_fma_f32 v[38:39], v[84:85], v[40:41], v[38:39] neg_lo:[0,0,1] neg_hi:[0,0,1]
	v_mov_b32_e32 v39, v43
	ds_store_b64 v1, v[38:39] offset:8
.LBB166_134:                            ;   in Loop: Header=BB166_3 Depth=1
	s_or_b32 exec_lo, exec_lo, s13
	v_mov_b32_e32 v39, 0
	s_wait_dscnt 0x0
	s_barrier_signal -1
	s_barrier_wait -1
	s_delay_alu instid0(VALU_DEP_1)
	v_mov_b32_e32 v38, v39
	s_and_saveexec_b32 s13, s3
	s_cbranch_execz .LBB166_138
; %bb.135:                              ;   in Loop: Header=BB166_3 Depth=1
	ds_load_b64 v[38:39], v46 offset:16
	ds_load_b64 v[40:41], v47
	s_wait_dscnt 0x0
	v_dual_mul_f32 v0, v41, v39 :: v_dual_mul_f32 v43, v40, v39
	s_delay_alu instid0(VALU_DEP_1) | instskip(NEXT) | instid1(VALU_DEP_1)
	v_dual_fma_f32 v42, v40, v38, -v0 :: v_dual_fmac_f32 v43, v41, v38
	v_pk_add_f32 v[38:39], v[42:43], 0 op_sel_hi:[1,0]
	s_and_saveexec_b32 s9, s15
	s_cbranch_execz .LBB166_137
; %bb.136:                              ;   in Loop: Header=BB166_3 Depth=1
	ds_load_b64 v[40:41], v48 offset:528
	ds_load_b64 v[42:43], v1 offset:8
	s_wait_dscnt 0x0
	v_pk_mul_f32 v[82:83], v[42:43], v[40:41] op_sel:[1,1] op_sel_hi:[0,1]
	s_delay_alu instid0(VALU_DEP_1) | instskip(SKIP_1) | instid1(VALU_DEP_2)
	v_pk_fma_f32 v[84:85], v[42:43], v[40:41], v[82:83] op_sel_hi:[1,0,1]
	v_pk_fma_f32 v[40:41], v[42:43], v[40:41], v[82:83] neg_lo:[0,0,1] neg_hi:[0,0,1]
	v_mov_b32_e32 v41, v85
	s_delay_alu instid0(VALU_DEP_1)
	v_pk_add_f32 v[38:39], v[38:39], v[40:41]
.LBB166_137:                            ;   in Loop: Header=BB166_3 Depth=1
	s_or_b32 exec_lo, exec_lo, s9
	s_delay_alu instid0(VALU_DEP_1)
	v_pk_add_f32 v[38:39], v[38:39], 0 neg_lo:[1,1] neg_hi:[1,1]
.LBB166_138:                            ;   in Loop: Header=BB166_3 Depth=1
	s_or_b32 exec_lo, exec_lo, s13
	s_and_saveexec_b32 s9, vcc_hi
	s_cbranch_execz .LBB166_140
; %bb.139:                              ;   in Loop: Header=BB166_3 Depth=1
	ds_load_b64 v[40:41], v1 offset:1040
	s_wait_dscnt 0x0
	v_pk_mul_f32 v[42:43], v[38:39], v[40:41] op_sel:[1,1] op_sel_hi:[1,0]
	s_delay_alu instid0(VALU_DEP_1) | instskip(SKIP_1) | instid1(VALU_DEP_2)
	v_pk_fma_f32 v[82:83], v[38:39], v[40:41], v[42:43] op_sel_hi:[0,1,1]
	v_pk_fma_f32 v[40:41], v[38:39], v[40:41], v[42:43] neg_lo:[0,0,1] neg_hi:[0,0,1]
	v_mov_b32_e32 v41, v83
	s_delay_alu instid0(VALU_DEP_1)
	v_mov_b64_e32 v[38:39], v[40:41]
	ds_store_b64 v3, v[40:41]
.LBB166_140:                            ;   in Loop: Header=BB166_3 Depth=1
	s_or_b32 exec_lo, exec_lo, s9
	s_wait_dscnt 0x0
	s_barrier_signal -1
	s_barrier_wait -1
	s_and_saveexec_b32 s9, s43
	s_cbranch_execz .LBB166_142
; %bb.141:                              ;   in Loop: Header=BB166_3 Depth=1
	ds_load_b64 v[40:41], v1 offset:1048
	ds_load_b64 v[42:43], v3
	s_wait_dscnt 0x0
	v_pk_mul_f32 v[82:83], v[42:43], v[40:41] op_sel:[1,1] op_sel_hi:[0,1]
	s_delay_alu instid0(VALU_DEP_1) | instskip(SKIP_1) | instid1(VALU_DEP_2)
	v_pk_fma_f32 v[84:85], v[42:43], v[40:41], v[82:83] op_sel_hi:[1,0,1]
	v_pk_fma_f32 v[40:41], v[42:43], v[40:41], v[82:83] neg_lo:[0,0,1] neg_hi:[0,0,1]
	v_mov_b32_e32 v41, v85
	s_delay_alu instid0(VALU_DEP_1)
	v_pk_add_f32 v[38:39], v[38:39], v[40:41]
.LBB166_142:                            ;   in Loop: Header=BB166_3 Depth=1
	s_or_b32 exec_lo, exec_lo, s9
	s_barrier_signal -1
	s_barrier_wait -1
	s_and_saveexec_b32 s9, s43
	s_cbranch_execz .LBB166_144
; %bb.143:                              ;   in Loop: Header=BB166_3 Depth=1
	ds_load_b64 v[40:41], v1 offset:1560
	s_wait_dscnt 0x0
	v_pk_mul_f32 v[42:43], v[38:39], v[40:41] op_sel:[1,1] op_sel_hi:[1,0]
	s_delay_alu instid0(VALU_DEP_1) | instskip(SKIP_1) | instid1(VALU_DEP_2)
	v_pk_fma_f32 v[82:83], v[38:39], v[40:41], v[42:43] op_sel_hi:[0,1,1]
	v_pk_fma_f32 v[40:41], v[38:39], v[40:41], v[42:43] neg_lo:[0,0,1] neg_hi:[0,0,1]
	v_mov_b32_e32 v41, v83
	s_delay_alu instid0(VALU_DEP_1)
	v_mov_b64_e32 v[38:39], v[40:41]
	ds_store_b64 v3, v[40:41]
.LBB166_144:                            ;   in Loop: Header=BB166_3 Depth=1
	s_or_b32 exec_lo, exec_lo, s9
	s_wait_dscnt 0x0
	s_barrier_signal -1
	s_barrier_wait -1
	s_barrier_signal -1
	s_barrier_wait -1
	s_and_saveexec_b32 s9, s3
; %bb.145:                              ;   in Loop: Header=BB166_3 Depth=1
	v_pk_add_f32 v[38:39], v[38:39], 0 neg_lo:[1,1] neg_hi:[1,1]
	ds_store_b64 v46, v[38:39] offset:16
; %bb.146:                              ;   in Loop: Header=BB166_3 Depth=1
	s_or_b32 exec_lo, exec_lo, s9
	s_wait_dscnt 0x0
	s_barrier_signal -1
	s_barrier_wait -1
	s_barrier_signal -1
	s_barrier_wait -1
	s_and_saveexec_b32 s13, s14
	s_cbranch_execz .LBB166_148
; %bb.147:                              ;   in Loop: Header=BB166_3 Depth=1
	ds_load_b128 v[38:41], v1 offset:1040
	ds_load_b64 v[42:43], v1 offset:1560
	s_wait_dscnt 0x1
	v_dual_mov_b32 v82, v41 :: v_dual_mov_b32 v83, v40
	s_wait_dscnt 0x0
	v_dual_mul_f32 v81, v43, v39 :: v_dual_mul_f32 v0, v42, v39
	s_delay_alu instid0(VALU_DEP_1) | instskip(NEXT) | instid1(VALU_DEP_2)
	v_xor_b32_e32 v84, 0x80000000, v81
	v_fmac_f32_e32 v0, v43, v38
	s_delay_alu instid0(VALU_DEP_2) | instskip(NEXT) | instid1(VALU_DEP_2)
	v_fmac_f32_e32 v84, v42, v38
	v_pk_mul_f32 v[38:39], v[0:1], v[82:83] op_sel_hi:[0,1]
	s_delay_alu instid0(VALU_DEP_1) | instskip(SKIP_1) | instid1(VALU_DEP_2)
	v_pk_fma_f32 v[42:43], v[84:85], v[40:41], v[38:39] op_sel_hi:[0,1,1]
	v_pk_fma_f32 v[38:39], v[84:85], v[40:41], v[38:39] neg_lo:[0,0,1] neg_hi:[0,0,1]
	v_mov_b32_e32 v39, v43
	ds_store_b64 v1, v[38:39] offset:1048
.LBB166_148:                            ;   in Loop: Header=BB166_3 Depth=1
	s_or_b32 exec_lo, exec_lo, s13
	v_mov_b32_e32 v38, 0
	s_wait_dscnt 0x0
	s_barrier_signal -1
	s_barrier_wait -1
	s_delay_alu instid0(VALU_DEP_1)
	v_mov_b32_e32 v39, v38
	s_and_saveexec_b32 s13, s4
	s_cbranch_execz .LBB166_154
; %bb.149:                              ;   in Loop: Header=BB166_3 Depth=1
	ds_load_b64 v[38:39], v52 offset:32
	ds_load_b64 v[40:41], v50
	s_wait_dscnt 0x0
	v_pk_mul_f32 v[42:43], v[40:41], v[38:39] op_sel:[0,1]
	s_delay_alu instid0(VALU_DEP_1) | instskip(SKIP_1) | instid1(VALU_DEP_2)
	v_pk_fma_f32 v[82:83], v[40:41], v[38:39], v[42:43] op_sel:[1,0,0] op_sel_hi:[0,0,1] neg_lo:[0,0,1] neg_hi:[0,0,1]
	v_pk_fma_f32 v[38:39], v[40:41], v[38:39], v[42:43] op_sel:[1,0,0] op_sel_hi:[0,1,1]
	v_mov_b32_e32 v39, v83
	s_delay_alu instid0(VALU_DEP_1)
	v_pk_add_f32 v[38:39], v[38:39], 0 op_sel_hi:[1,0]
	s_and_saveexec_b32 s9, s16
	s_cbranch_execnz .LBB166_1047
; %bb.150:                              ;   in Loop: Header=BB166_3 Depth=1
	s_or_b32 exec_lo, exec_lo, s9
	s_and_saveexec_b32 s9, s17
	s_cbranch_execnz .LBB166_1048
.LBB166_151:                            ;   in Loop: Header=BB166_3 Depth=1
	s_or_b32 exec_lo, exec_lo, s9
	s_and_saveexec_b32 s9, s3
	s_cbranch_execz .LBB166_153
.LBB166_152:                            ;   in Loop: Header=BB166_3 Depth=1
	ds_load_b64 v[40:41], v48 offset:1568
	ds_load_b64 v[42:43], v1 offset:24
	s_wait_dscnt 0x0
	v_pk_mul_f32 v[82:83], v[42:43], v[40:41] op_sel:[0,1]
	s_delay_alu instid0(VALU_DEP_1) | instskip(SKIP_1) | instid1(VALU_DEP_2)
	v_pk_fma_f32 v[84:85], v[42:43], v[40:41], v[82:83] op_sel:[1,0,0] op_sel_hi:[0,0,1] neg_lo:[0,0,1] neg_hi:[0,0,1]
	v_pk_fma_f32 v[40:41], v[42:43], v[40:41], v[82:83] op_sel:[1,0,0] op_sel_hi:[0,1,1]
	v_mov_b32_e32 v41, v85
	s_delay_alu instid0(VALU_DEP_1)
	v_pk_add_f32 v[38:39], v[38:39], v[40:41]
.LBB166_153:                            ;   in Loop: Header=BB166_3 Depth=1
	s_or_b32 exec_lo, exec_lo, s9
	s_delay_alu instid0(VALU_DEP_1) | instskip(NEXT) | instid1(VALU_DEP_1)
	v_pk_add_f32 v[40:41], v[38:39], 0 neg_lo:[1,1] neg_hi:[1,1]
	v_dual_mov_b32 v38, v41 :: v_dual_mov_b32 v39, v40
.LBB166_154:                            ;   in Loop: Header=BB166_3 Depth=1
	s_or_b32 exec_lo, exec_lo, s13
	s_and_saveexec_b32 s9, s44
	s_cbranch_execz .LBB166_156
; %bb.155:                              ;   in Loop: Header=BB166_3 Depth=1
	ds_load_b64 v[40:41], v1 offset:2080
	v_dual_mov_b32 v42, v39 :: v_dual_mov_b32 v43, v38
	s_wait_dscnt 0x0
	s_delay_alu instid0(VALU_DEP_1) | instskip(NEXT) | instid1(VALU_DEP_1)
	v_dual_mul_f32 v0, v42, v40 :: v_dual_mul_f32 v82, v39, v41
	v_pk_fma_f32 v[42:43], v[42:43], v[40:41], v[0:1] op_sel_hi:[1,1,0]
	s_delay_alu instid0(VALU_DEP_2) | instskip(NEXT) | instid1(VALU_DEP_2)
	v_pk_fma_f32 v[38:39], v[38:39], v[40:41], v[82:83] op_sel_hi:[1,1,0] neg_lo:[0,0,1] neg_hi:[0,0,1]
	v_mov_b32_e32 v39, v43
	ds_store_b64 v51, v[38:39]
.LBB166_156:                            ;   in Loop: Header=BB166_3 Depth=1
	s_or_b32 exec_lo, exec_lo, s9
	s_wait_dscnt 0x0
	s_barrier_signal -1
	s_barrier_wait -1
	s_and_saveexec_b32 s9, s45
	s_cbranch_execz .LBB166_158
; %bb.157:                              ;   in Loop: Header=BB166_3 Depth=1
	ds_load_b64 v[40:41], v49 offset:2080
	ds_load_b64 v[42:43], v51
	s_wait_dscnt 0x0
	v_dual_mul_f32 v0, v43, v41 :: v_dual_mul_f32 v83, v42, v41
	s_delay_alu instid0(VALU_DEP_1) | instskip(NEXT) | instid1(VALU_DEP_1)
	v_dual_fma_f32 v82, v42, v40, -v0 :: v_dual_fmac_f32 v83, v43, v40
	v_pk_add_f32 v[38:39], v[38:39], v[82:83]
.LBB166_158:                            ;   in Loop: Header=BB166_3 Depth=1
	s_or_b32 exec_lo, exec_lo, s9
	s_barrier_signal -1
	s_barrier_wait -1
	s_and_saveexec_b32 s9, s46
	s_cbranch_execz .LBB166_160
; %bb.159:                              ;   in Loop: Header=BB166_3 Depth=1
	ds_load_b64 v[40:41], v1 offset:2600
	s_wait_dscnt 0x0
	v_pk_mul_f32 v[42:43], v[38:39], v[40:41] op_sel:[1,1] op_sel_hi:[1,0]
	s_delay_alu instid0(VALU_DEP_1) | instskip(SKIP_1) | instid1(VALU_DEP_2)
	v_pk_fma_f32 v[82:83], v[38:39], v[40:41], v[42:43] op_sel_hi:[0,1,1]
	v_pk_fma_f32 v[40:41], v[38:39], v[40:41], v[42:43] neg_lo:[0,0,1] neg_hi:[0,0,1]
	v_mov_b32_e32 v41, v83
	s_delay_alu instid0(VALU_DEP_1)
	v_mov_b64_e32 v[38:39], v[40:41]
	ds_store_b64 v51, v[40:41]
.LBB166_160:                            ;   in Loop: Header=BB166_3 Depth=1
	s_or_b32 exec_lo, exec_lo, s9
	s_wait_dscnt 0x0
	s_barrier_signal -1
	s_barrier_wait -1
	s_and_saveexec_b32 s9, s47
	s_cbranch_execz .LBB166_162
; %bb.161:                              ;   in Loop: Header=BB166_3 Depth=1
	ds_load_b64 v[40:41], v49 offset:2592
	ds_load_b64 v[42:43], v51
	s_wait_dscnt 0x0
	v_pk_mul_f32 v[82:83], v[42:43], v[40:41] op_sel:[1,1] op_sel_hi:[0,1]
	s_delay_alu instid0(VALU_DEP_1) | instskip(SKIP_1) | instid1(VALU_DEP_2)
	v_pk_fma_f32 v[84:85], v[42:43], v[40:41], v[82:83] op_sel_hi:[1,0,1]
	v_pk_fma_f32 v[40:41], v[42:43], v[40:41], v[82:83] neg_lo:[0,0,1] neg_hi:[0,0,1]
	v_mov_b32_e32 v41, v85
	s_delay_alu instid0(VALU_DEP_1)
	v_pk_add_f32 v[38:39], v[38:39], v[40:41]
.LBB166_162:                            ;   in Loop: Header=BB166_3 Depth=1
	s_or_b32 exec_lo, exec_lo, s9
	s_barrier_signal -1
	s_barrier_wait -1
	s_and_saveexec_b32 s9, s48
	s_cbranch_execz .LBB166_164
; %bb.163:                              ;   in Loop: Header=BB166_3 Depth=1
	ds_load_b64 v[40:41], v1 offset:3120
	s_wait_dscnt 0x0
	v_pk_mul_f32 v[42:43], v[38:39], v[40:41] op_sel:[1,1] op_sel_hi:[1,0]
	s_delay_alu instid0(VALU_DEP_1) | instskip(SKIP_1) | instid1(VALU_DEP_2)
	v_pk_fma_f32 v[82:83], v[38:39], v[40:41], v[42:43] op_sel_hi:[0,1,1]
	v_pk_fma_f32 v[40:41], v[38:39], v[40:41], v[42:43] neg_lo:[0,0,1] neg_hi:[0,0,1]
	v_mov_b32_e32 v41, v83
	s_delay_alu instid0(VALU_DEP_1)
	v_mov_b64_e32 v[38:39], v[40:41]
	ds_store_b64 v51, v[40:41]
.LBB166_164:                            ;   in Loop: Header=BB166_3 Depth=1
	s_or_b32 exec_lo, exec_lo, s9
	s_wait_dscnt 0x0
	s_barrier_signal -1
	s_barrier_wait -1
	s_and_saveexec_b32 s9, s49
	s_cbranch_execz .LBB166_166
; %bb.165:                              ;   in Loop: Header=BB166_3 Depth=1
	ds_load_b64 v[40:41], v1 offset:3128
	ds_load_b64 v[42:43], v51
	s_wait_dscnt 0x0
	v_pk_mul_f32 v[82:83], v[42:43], v[40:41] op_sel:[1,1] op_sel_hi:[0,1]
	s_delay_alu instid0(VALU_DEP_1) | instskip(SKIP_1) | instid1(VALU_DEP_2)
	v_pk_fma_f32 v[84:85], v[42:43], v[40:41], v[82:83] op_sel_hi:[1,0,1]
	v_pk_fma_f32 v[40:41], v[42:43], v[40:41], v[82:83] neg_lo:[0,0,1] neg_hi:[0,0,1]
	v_mov_b32_e32 v41, v85
	s_delay_alu instid0(VALU_DEP_1)
	v_pk_add_f32 v[38:39], v[38:39], v[40:41]
.LBB166_166:                            ;   in Loop: Header=BB166_3 Depth=1
	s_or_b32 exec_lo, exec_lo, s9
	s_barrier_signal -1
	s_barrier_wait -1
	s_and_saveexec_b32 s9, s49
	s_cbranch_execz .LBB166_168
; %bb.167:                              ;   in Loop: Header=BB166_3 Depth=1
	ds_load_b64 v[40:41], v1 offset:3640
	s_wait_dscnt 0x0
	v_pk_mul_f32 v[42:43], v[38:39], v[40:41] op_sel:[1,1] op_sel_hi:[1,0]
	s_delay_alu instid0(VALU_DEP_1) | instskip(SKIP_1) | instid1(VALU_DEP_2)
	v_pk_fma_f32 v[82:83], v[38:39], v[40:41], v[42:43] op_sel_hi:[0,1,1]
	v_pk_fma_f32 v[40:41], v[38:39], v[40:41], v[42:43] neg_lo:[0,0,1] neg_hi:[0,0,1]
	v_mov_b32_e32 v41, v83
	s_delay_alu instid0(VALU_DEP_1)
	v_mov_b64_e32 v[38:39], v[40:41]
	ds_store_b64 v51, v[40:41]
.LBB166_168:                            ;   in Loop: Header=BB166_3 Depth=1
	s_or_b32 exec_lo, exec_lo, s9
	s_wait_dscnt 0x0
	s_barrier_signal -1
	s_barrier_wait -1
	s_barrier_signal -1
	s_barrier_wait -1
	s_and_saveexec_b32 s9, s4
; %bb.169:                              ;   in Loop: Header=BB166_3 Depth=1
	v_pk_add_f32 v[38:39], v[38:39], 0 neg_lo:[1,1] neg_hi:[1,1]
	ds_store_b64 v52, v[38:39] offset:32
; %bb.170:                              ;   in Loop: Header=BB166_3 Depth=1
	s_or_b32 exec_lo, exec_lo, s9
	s_wait_dscnt 0x0
	s_barrier_signal -1
	s_barrier_wait -1
	s_barrier_signal -1
	s_barrier_wait -1
	s_and_saveexec_b32 s13, s14
	s_cbranch_execz .LBB166_172
; %bb.171:                              ;   in Loop: Header=BB166_3 Depth=1
	ds_load_b128 v[38:41], v1 offset:2080
	ds_load_b64 v[42:43], v1 offset:2600
	s_wait_dscnt 0x1
	v_dual_mov_b32 v82, v41 :: v_dual_mov_b32 v83, v40
	s_wait_dscnt 0x0
	v_dual_mul_f32 v81, v43, v39 :: v_dual_mul_f32 v0, v42, v39
	s_delay_alu instid0(VALU_DEP_1) | instskip(NEXT) | instid1(VALU_DEP_2)
	v_xor_b32_e32 v84, 0x80000000, v81
	v_fmac_f32_e32 v0, v43, v38
	s_delay_alu instid0(VALU_DEP_2) | instskip(NEXT) | instid1(VALU_DEP_2)
	v_fmac_f32_e32 v84, v42, v38
	v_pk_mul_f32 v[38:39], v[0:1], v[82:83] op_sel_hi:[0,1]
	s_delay_alu instid0(VALU_DEP_1) | instskip(SKIP_1) | instid1(VALU_DEP_2)
	v_pk_fma_f32 v[42:43], v[84:85], v[40:41], v[38:39] op_sel_hi:[0,1,1]
	v_pk_fma_f32 v[38:39], v[84:85], v[40:41], v[38:39] neg_lo:[0,0,1] neg_hi:[0,0,1]
	v_mov_b32_e32 v39, v43
	ds_store_b64 v1, v[38:39] offset:2088
.LBB166_172:                            ;   in Loop: Header=BB166_3 Depth=1
	s_or_b32 exec_lo, exec_lo, s13
	v_mov_b32_e32 v39, 0
	s_wait_dscnt 0x0
	s_barrier_signal -1
	s_barrier_wait -1
	s_delay_alu instid0(VALU_DEP_1)
	v_mov_b32_e32 v38, v39
	s_and_saveexec_b32 s13, s3
	s_cbranch_execz .LBB166_176
; %bb.173:                              ;   in Loop: Header=BB166_3 Depth=1
	ds_load_b64 v[38:39], v46 offset:2096
	ds_load_b64 v[40:41], v47 offset:2080
	s_wait_dscnt 0x0
	v_dual_mul_f32 v0, v41, v39 :: v_dual_mul_f32 v43, v40, v39
	s_delay_alu instid0(VALU_DEP_1) | instskip(NEXT) | instid1(VALU_DEP_1)
	v_dual_fma_f32 v42, v40, v38, -v0 :: v_dual_fmac_f32 v43, v41, v38
	v_pk_add_f32 v[38:39], v[42:43], 0 op_sel_hi:[1,0]
	s_and_saveexec_b32 s9, s15
	s_cbranch_execz .LBB166_175
; %bb.174:                              ;   in Loop: Header=BB166_3 Depth=1
	ds_load_b64 v[40:41], v48 offset:2608
	ds_load_b64 v[42:43], v1 offset:2088
	s_wait_dscnt 0x0
	v_pk_mul_f32 v[82:83], v[42:43], v[40:41] op_sel:[1,1] op_sel_hi:[0,1]
	s_delay_alu instid0(VALU_DEP_1) | instskip(SKIP_1) | instid1(VALU_DEP_2)
	v_pk_fma_f32 v[84:85], v[42:43], v[40:41], v[82:83] op_sel_hi:[1,0,1]
	v_pk_fma_f32 v[40:41], v[42:43], v[40:41], v[82:83] neg_lo:[0,0,1] neg_hi:[0,0,1]
	v_mov_b32_e32 v41, v85
	s_delay_alu instid0(VALU_DEP_1)
	v_pk_add_f32 v[38:39], v[38:39], v[40:41]
.LBB166_175:                            ;   in Loop: Header=BB166_3 Depth=1
	s_or_b32 exec_lo, exec_lo, s9
	s_delay_alu instid0(VALU_DEP_1)
	v_pk_add_f32 v[38:39], v[38:39], 0 neg_lo:[1,1] neg_hi:[1,1]
.LBB166_176:                            ;   in Loop: Header=BB166_3 Depth=1
	s_or_b32 exec_lo, exec_lo, s13
	s_and_saveexec_b32 s9, vcc_hi
	s_cbranch_execz .LBB166_178
; %bb.177:                              ;   in Loop: Header=BB166_3 Depth=1
	ds_load_b64 v[40:41], v1 offset:3120
	s_wait_dscnt 0x0
	v_pk_mul_f32 v[42:43], v[38:39], v[40:41] op_sel:[1,1] op_sel_hi:[1,0]
	s_delay_alu instid0(VALU_DEP_1) | instskip(SKIP_1) | instid1(VALU_DEP_2)
	v_pk_fma_f32 v[82:83], v[38:39], v[40:41], v[42:43] op_sel_hi:[0,1,1]
	v_pk_fma_f32 v[40:41], v[38:39], v[40:41], v[42:43] neg_lo:[0,0,1] neg_hi:[0,0,1]
	v_mov_b32_e32 v41, v83
	s_delay_alu instid0(VALU_DEP_1)
	v_mov_b64_e32 v[38:39], v[40:41]
	ds_store_b64 v3, v[40:41]
.LBB166_178:                            ;   in Loop: Header=BB166_3 Depth=1
	s_or_b32 exec_lo, exec_lo, s9
	s_wait_dscnt 0x0
	s_barrier_signal -1
	s_barrier_wait -1
	s_and_saveexec_b32 s9, s43
	s_cbranch_execz .LBB166_180
; %bb.179:                              ;   in Loop: Header=BB166_3 Depth=1
	ds_load_b64 v[40:41], v1 offset:3128
	ds_load_b64 v[42:43], v3
	s_wait_dscnt 0x0
	v_pk_mul_f32 v[82:83], v[42:43], v[40:41] op_sel:[1,1] op_sel_hi:[0,1]
	s_delay_alu instid0(VALU_DEP_1) | instskip(SKIP_1) | instid1(VALU_DEP_2)
	v_pk_fma_f32 v[84:85], v[42:43], v[40:41], v[82:83] op_sel_hi:[1,0,1]
	v_pk_fma_f32 v[40:41], v[42:43], v[40:41], v[82:83] neg_lo:[0,0,1] neg_hi:[0,0,1]
	v_mov_b32_e32 v41, v85
	s_delay_alu instid0(VALU_DEP_1)
	v_pk_add_f32 v[38:39], v[38:39], v[40:41]
.LBB166_180:                            ;   in Loop: Header=BB166_3 Depth=1
	s_or_b32 exec_lo, exec_lo, s9
	s_barrier_signal -1
	s_barrier_wait -1
	s_and_saveexec_b32 s9, s43
	s_cbranch_execz .LBB166_182
; %bb.181:                              ;   in Loop: Header=BB166_3 Depth=1
	ds_load_b64 v[40:41], v1 offset:3640
	s_wait_dscnt 0x0
	v_pk_mul_f32 v[42:43], v[38:39], v[40:41] op_sel:[1,1] op_sel_hi:[1,0]
	s_delay_alu instid0(VALU_DEP_1) | instskip(SKIP_1) | instid1(VALU_DEP_2)
	v_pk_fma_f32 v[82:83], v[38:39], v[40:41], v[42:43] op_sel_hi:[0,1,1]
	v_pk_fma_f32 v[40:41], v[38:39], v[40:41], v[42:43] neg_lo:[0,0,1] neg_hi:[0,0,1]
	v_mov_b32_e32 v41, v83
	s_delay_alu instid0(VALU_DEP_1)
	v_mov_b64_e32 v[38:39], v[40:41]
	ds_store_b64 v3, v[40:41]
.LBB166_182:                            ;   in Loop: Header=BB166_3 Depth=1
	s_or_b32 exec_lo, exec_lo, s9
	s_wait_dscnt 0x0
	s_barrier_signal -1
	s_barrier_wait -1
	s_barrier_signal -1
	s_barrier_wait -1
	s_and_saveexec_b32 s9, s3
; %bb.183:                              ;   in Loop: Header=BB166_3 Depth=1
	v_pk_add_f32 v[38:39], v[38:39], 0 neg_lo:[1,1] neg_hi:[1,1]
	ds_store_b64 v46, v[38:39] offset:2096
; %bb.184:                              ;   in Loop: Header=BB166_3 Depth=1
	s_or_b32 exec_lo, exec_lo, s9
	s_wait_dscnt 0x0
	s_barrier_signal -1
	s_barrier_wait -1
	s_barrier_signal -1
	s_barrier_wait -1
	s_and_saveexec_b32 s13, s14
	s_cbranch_execz .LBB166_186
; %bb.185:                              ;   in Loop: Header=BB166_3 Depth=1
	ds_load_b128 v[38:41], v1 offset:3120
	ds_load_b64 v[42:43], v1 offset:3640
	s_wait_dscnt 0x1
	v_dual_mov_b32 v82, v41 :: v_dual_mov_b32 v83, v40
	s_wait_dscnt 0x0
	v_dual_mul_f32 v81, v43, v39 :: v_dual_mul_f32 v0, v42, v39
	s_delay_alu instid0(VALU_DEP_1) | instskip(NEXT) | instid1(VALU_DEP_2)
	v_xor_b32_e32 v84, 0x80000000, v81
	v_fmac_f32_e32 v0, v43, v38
	s_delay_alu instid0(VALU_DEP_2) | instskip(NEXT) | instid1(VALU_DEP_2)
	v_fmac_f32_e32 v84, v42, v38
	v_pk_mul_f32 v[38:39], v[0:1], v[82:83] op_sel_hi:[0,1]
	s_delay_alu instid0(VALU_DEP_1) | instskip(SKIP_1) | instid1(VALU_DEP_2)
	v_pk_fma_f32 v[42:43], v[84:85], v[40:41], v[38:39] op_sel_hi:[0,1,1]
	v_pk_fma_f32 v[38:39], v[84:85], v[40:41], v[38:39] neg_lo:[0,0,1] neg_hi:[0,0,1]
	v_mov_b32_e32 v39, v43
	ds_store_b64 v1, v[38:39] offset:3128
.LBB166_186:                            ;   in Loop: Header=BB166_3 Depth=1
	s_or_b32 exec_lo, exec_lo, s13
	v_mov_b32_e32 v38, 0
	s_wait_dscnt 0x0
	s_barrier_signal -1
	s_barrier_wait -1
	s_delay_alu instid0(VALU_DEP_1)
	v_mov_b32_e32 v39, v38
	s_and_saveexec_b32 s13, s5
	s_cbranch_execz .LBB166_196
; %bb.187:                              ;   in Loop: Header=BB166_3 Depth=1
	ds_load_b64 v[38:39], v57 offset:64
	ds_load_b64 v[40:41], v54
	s_wait_dscnt 0x0
	v_dual_mul_f32 v0, v41, v39 :: v_dual_mul_f32 v42, v40, v39
	s_delay_alu instid0(VALU_DEP_1) | instskip(NEXT) | instid1(VALU_DEP_1)
	v_dual_fma_f32 v0, v40, v38, -v0 :: v_dual_fmac_f32 v42, v41, v38
	v_dual_add_f32 v39, 0, v0 :: v_dual_add_f32 v38, 0, v42
	s_and_saveexec_b32 s9, s18
	s_cbranch_execnz .LBB166_1049
; %bb.188:                              ;   in Loop: Header=BB166_3 Depth=1
	s_or_b32 exec_lo, exec_lo, s9
	s_and_saveexec_b32 s9, s19
	s_cbranch_execnz .LBB166_1050
.LBB166_189:                            ;   in Loop: Header=BB166_3 Depth=1
	s_or_b32 exec_lo, exec_lo, s9
	s_and_saveexec_b32 s9, s20
	s_cbranch_execnz .LBB166_1051
.LBB166_190:                            ;   in Loop: Header=BB166_3 Depth=1
	s_or_b32 exec_lo, exec_lo, s9
	s_and_saveexec_b32 s9, s21
	s_cbranch_execnz .LBB166_1052
.LBB166_191:                            ;   in Loop: Header=BB166_3 Depth=1
	s_or_b32 exec_lo, exec_lo, s9
	s_and_saveexec_b32 s9, s22
	s_cbranch_execnz .LBB166_1053
.LBB166_192:                            ;   in Loop: Header=BB166_3 Depth=1
	s_or_b32 exec_lo, exec_lo, s9
	s_and_saveexec_b32 s9, s4
	s_cbranch_execnz .LBB166_1054
.LBB166_193:                            ;   in Loop: Header=BB166_3 Depth=1
	s_or_b32 exec_lo, exec_lo, s9
	s_and_saveexec_b32 s9, s17
	s_cbranch_execz .LBB166_195
.LBB166_194:                            ;   in Loop: Header=BB166_3 Depth=1
	ds_load_b64 v[40:41], v48 offset:3648
	ds_load_b64 v[42:43], v1 offset:56
	s_wait_dscnt 0x0
	v_pk_mul_f32 v[82:83], v[42:43], v[40:41] op_sel:[0,1]
	s_delay_alu instid0(VALU_DEP_1) | instskip(SKIP_1) | instid1(VALU_DEP_2)
	v_pk_fma_f32 v[84:85], v[42:43], v[40:41], v[82:83] op_sel:[1,0,0] op_sel_hi:[0,0,1] neg_lo:[0,0,1] neg_hi:[0,0,1]
	v_pk_fma_f32 v[40:41], v[42:43], v[40:41], v[82:83] op_sel:[1,0,0] op_sel_hi:[0,1,1]
	v_mov_b32_e32 v41, v85
	s_delay_alu instid0(VALU_DEP_1)
	v_pk_add_f32 v[38:39], v[38:39], v[40:41]
.LBB166_195:                            ;   in Loop: Header=BB166_3 Depth=1
	s_or_b32 exec_lo, exec_lo, s9
	s_delay_alu instid0(VALU_DEP_1) | instskip(NEXT) | instid1(VALU_DEP_1)
	v_pk_add_f32 v[40:41], v[38:39], 0 neg_lo:[1,1] neg_hi:[1,1]
	v_dual_mov_b32 v38, v41 :: v_dual_mov_b32 v39, v40
.LBB166_196:                            ;   in Loop: Header=BB166_3 Depth=1
	s_or_b32 exec_lo, exec_lo, s13
	s_and_saveexec_b32 s9, s50
	s_cbranch_execz .LBB166_198
; %bb.197:                              ;   in Loop: Header=BB166_3 Depth=1
	ds_load_b64 v[40:41], v1 offset:4160
	v_dual_mov_b32 v42, v39 :: v_dual_mov_b32 v43, v38
	s_wait_dscnt 0x0
	s_delay_alu instid0(VALU_DEP_1) | instskip(NEXT) | instid1(VALU_DEP_1)
	v_dual_mul_f32 v0, v42, v40 :: v_dual_mul_f32 v82, v39, v41
	v_pk_fma_f32 v[42:43], v[42:43], v[40:41], v[0:1] op_sel_hi:[1,1,0]
	s_delay_alu instid0(VALU_DEP_2) | instskip(NEXT) | instid1(VALU_DEP_2)
	v_pk_fma_f32 v[38:39], v[38:39], v[40:41], v[82:83] op_sel_hi:[1,1,0] neg_lo:[0,0,1] neg_hi:[0,0,1]
	v_mov_b32_e32 v39, v43
	ds_store_b64 v56, v[38:39]
.LBB166_198:                            ;   in Loop: Header=BB166_3 Depth=1
	s_or_b32 exec_lo, exec_lo, s9
	s_wait_dscnt 0x0
	s_barrier_signal -1
	s_barrier_wait -1
	s_and_saveexec_b32 s9, s51
	s_cbranch_execz .LBB166_200
; %bb.199:                              ;   in Loop: Header=BB166_3 Depth=1
	ds_load_b64 v[40:41], v55 offset:4160
	ds_load_b64 v[42:43], v56
	s_wait_dscnt 0x0
	v_dual_mul_f32 v0, v43, v41 :: v_dual_mul_f32 v83, v42, v41
	s_delay_alu instid0(VALU_DEP_1) | instskip(NEXT) | instid1(VALU_DEP_1)
	v_dual_fma_f32 v82, v42, v40, -v0 :: v_dual_fmac_f32 v83, v43, v40
	v_pk_add_f32 v[38:39], v[38:39], v[82:83]
.LBB166_200:                            ;   in Loop: Header=BB166_3 Depth=1
	s_or_b32 exec_lo, exec_lo, s9
	s_barrier_signal -1
	s_barrier_wait -1
	s_and_saveexec_b32 s9, s52
	s_cbranch_execz .LBB166_202
; %bb.201:                              ;   in Loop: Header=BB166_3 Depth=1
	ds_load_b64 v[40:41], v1 offset:4680
	s_wait_dscnt 0x0
	v_pk_mul_f32 v[42:43], v[38:39], v[40:41] op_sel:[1,1] op_sel_hi:[1,0]
	s_delay_alu instid0(VALU_DEP_1) | instskip(SKIP_1) | instid1(VALU_DEP_2)
	v_pk_fma_f32 v[82:83], v[38:39], v[40:41], v[42:43] op_sel_hi:[0,1,1]
	v_pk_fma_f32 v[38:39], v[38:39], v[40:41], v[42:43] op_sel_hi:[0,1,1] neg_lo:[0,0,1] neg_hi:[0,0,1]
	v_mov_b32_e32 v39, v83
	ds_store_b64 v56, v[38:39]
.LBB166_202:                            ;   in Loop: Header=BB166_3 Depth=1
	s_or_b32 exec_lo, exec_lo, s9
	s_wait_dscnt 0x0
	s_barrier_signal -1
	s_barrier_wait -1
	s_and_saveexec_b32 s9, s53
	s_cbranch_execz .LBB166_204
; %bb.203:                              ;   in Loop: Header=BB166_3 Depth=1
	ds_load_b64 v[40:41], v55 offset:4672
	ds_load_b64 v[42:43], v56
	s_wait_dscnt 0x0
	v_pk_mul_f32 v[82:83], v[42:43], v[40:41] op_sel:[1,1] op_sel_hi:[0,1]
	s_delay_alu instid0(VALU_DEP_1) | instskip(SKIP_1) | instid1(VALU_DEP_2)
	v_pk_fma_f32 v[84:85], v[42:43], v[40:41], v[82:83] op_sel_hi:[1,0,1]
	v_pk_fma_f32 v[40:41], v[42:43], v[40:41], v[82:83] op_sel_hi:[1,0,1] neg_lo:[0,0,1] neg_hi:[0,0,1]
	v_mov_b32_e32 v41, v85
	s_delay_alu instid0(VALU_DEP_1)
	v_pk_add_f32 v[38:39], v[38:39], v[40:41]
.LBB166_204:                            ;   in Loop: Header=BB166_3 Depth=1
	s_or_b32 exec_lo, exec_lo, s9
	s_barrier_signal -1
	s_barrier_wait -1
	s_and_saveexec_b32 s9, s54
	s_cbranch_execz .LBB166_206
; %bb.205:                              ;   in Loop: Header=BB166_3 Depth=1
	ds_load_b64 v[40:41], v1 offset:5200
	s_wait_dscnt 0x0
	v_pk_mul_f32 v[42:43], v[38:39], v[40:41] op_sel:[1,1] op_sel_hi:[1,0]
	s_delay_alu instid0(VALU_DEP_1) | instskip(SKIP_1) | instid1(VALU_DEP_2)
	v_pk_fma_f32 v[82:83], v[38:39], v[40:41], v[42:43] op_sel_hi:[0,1,1]
	v_pk_fma_f32 v[38:39], v[38:39], v[40:41], v[42:43] op_sel_hi:[0,1,1] neg_lo:[0,0,1] neg_hi:[0,0,1]
	v_mov_b32_e32 v39, v83
	ds_store_b64 v56, v[38:39]
.LBB166_206:                            ;   in Loop: Header=BB166_3 Depth=1
	s_or_b32 exec_lo, exec_lo, s9
	s_wait_dscnt 0x0
	s_barrier_signal -1
	s_barrier_wait -1
	s_and_saveexec_b32 s9, s55
	s_cbranch_execz .LBB166_208
; %bb.207:                              ;   in Loop: Header=BB166_3 Depth=1
	ds_load_b64 v[40:41], v55 offset:5184
	ds_load_b64 v[42:43], v56
	s_wait_dscnt 0x0
	v_pk_mul_f32 v[82:83], v[42:43], v[40:41] op_sel:[1,1] op_sel_hi:[0,1]
	s_delay_alu instid0(VALU_DEP_1) | instskip(SKIP_1) | instid1(VALU_DEP_2)
	v_pk_fma_f32 v[84:85], v[42:43], v[40:41], v[82:83] op_sel_hi:[1,0,1]
	v_pk_fma_f32 v[40:41], v[42:43], v[40:41], v[82:83] op_sel_hi:[1,0,1] neg_lo:[0,0,1] neg_hi:[0,0,1]
	v_mov_b32_e32 v41, v85
	s_delay_alu instid0(VALU_DEP_1)
	v_pk_add_f32 v[38:39], v[38:39], v[40:41]
.LBB166_208:                            ;   in Loop: Header=BB166_3 Depth=1
	;; [unrolled: 33-line block ×3, first 2 shown]
	s_or_b32 exec_lo, exec_lo, s9
	s_barrier_signal -1
	s_barrier_wait -1
	s_and_saveexec_b32 s9, s58
	s_cbranch_execz .LBB166_214
; %bb.213:                              ;   in Loop: Header=BB166_3 Depth=1
	ds_load_b64 v[40:41], v1 offset:6240
	s_wait_dscnt 0x0
	v_dual_mul_f32 v0, v38, v41 :: v_dual_mul_f32 v42, v39, v41
	s_delay_alu instid0(VALU_DEP_1) | instskip(NEXT) | instid1(VALU_DEP_2)
	v_pk_fma_f32 v[82:83], v[38:39], v[40:41], v[0:1] op_sel:[0,1,0] op_sel_hi:[1,0,0]
	v_pk_fma_f32 v[40:41], v[38:39], v[40:41], v[42:43] op_sel_hi:[1,1,0] neg_lo:[0,0,1] neg_hi:[0,0,1]
	s_delay_alu instid0(VALU_DEP_2) | instskip(NEXT) | instid1(VALU_DEP_1)
	v_mov_b32_e32 v41, v83
	v_mov_b64_e32 v[38:39], v[40:41]
	ds_store_b64 v56, v[40:41]
.LBB166_214:                            ;   in Loop: Header=BB166_3 Depth=1
	s_or_b32 exec_lo, exec_lo, s9
	s_wait_dscnt 0x0
	s_barrier_signal -1
	s_barrier_wait -1
	s_and_saveexec_b32 s9, s59
	s_cbranch_execz .LBB166_216
; %bb.215:                              ;   in Loop: Header=BB166_3 Depth=1
	ds_load_b64 v[40:41], v55 offset:6208
	ds_load_b64 v[42:43], v56
	s_wait_dscnt 0x0
	v_dual_mul_f32 v0, v43, v41 :: v_dual_mul_f32 v83, v42, v41
	s_delay_alu instid0(VALU_DEP_1) | instskip(NEXT) | instid1(VALU_DEP_1)
	v_dual_fma_f32 v82, v42, v40, -v0 :: v_dual_fmac_f32 v83, v43, v40
	v_pk_add_f32 v[38:39], v[38:39], v[82:83]
.LBB166_216:                            ;   in Loop: Header=BB166_3 Depth=1
	s_or_b32 exec_lo, exec_lo, s9
	s_barrier_signal -1
	s_barrier_wait -1
	s_and_saveexec_b32 s9, s60
	s_cbranch_execz .LBB166_218
; %bb.217:                              ;   in Loop: Header=BB166_3 Depth=1
	ds_load_b64 v[40:41], v1 offset:6760
	s_wait_dscnt 0x0
	v_pk_mul_f32 v[42:43], v[38:39], v[40:41] op_sel:[1,1] op_sel_hi:[1,0]
	s_delay_alu instid0(VALU_DEP_1) | instskip(SKIP_1) | instid1(VALU_DEP_2)
	v_pk_fma_f32 v[82:83], v[38:39], v[40:41], v[42:43] op_sel_hi:[0,1,1]
	v_pk_fma_f32 v[40:41], v[38:39], v[40:41], v[42:43] neg_lo:[0,0,1] neg_hi:[0,0,1]
	v_mov_b32_e32 v41, v83
	s_delay_alu instid0(VALU_DEP_1)
	v_mov_b64_e32 v[38:39], v[40:41]
	ds_store_b64 v56, v[40:41]
.LBB166_218:                            ;   in Loop: Header=BB166_3 Depth=1
	s_or_b32 exec_lo, exec_lo, s9
	s_wait_dscnt 0x0
	s_barrier_signal -1
	s_barrier_wait -1
	s_and_saveexec_b32 s9, s61
	s_cbranch_execz .LBB166_220
; %bb.219:                              ;   in Loop: Header=BB166_3 Depth=1
	ds_load_b64 v[40:41], v55 offset:6720
	ds_load_b64 v[42:43], v56
	s_wait_dscnt 0x0
	v_pk_mul_f32 v[82:83], v[42:43], v[40:41] op_sel:[1,1] op_sel_hi:[0,1]
	s_delay_alu instid0(VALU_DEP_1) | instskip(SKIP_1) | instid1(VALU_DEP_2)
	v_pk_fma_f32 v[84:85], v[42:43], v[40:41], v[82:83] op_sel_hi:[1,0,1]
	v_pk_fma_f32 v[40:41], v[42:43], v[40:41], v[82:83] neg_lo:[0,0,1] neg_hi:[0,0,1]
	v_mov_b32_e32 v41, v85
	s_delay_alu instid0(VALU_DEP_1)
	v_pk_add_f32 v[38:39], v[38:39], v[40:41]
.LBB166_220:                            ;   in Loop: Header=BB166_3 Depth=1
	s_or_b32 exec_lo, exec_lo, s9
	s_barrier_signal -1
	s_barrier_wait -1
	s_and_saveexec_b32 s9, s62
	s_cbranch_execz .LBB166_222
; %bb.221:                              ;   in Loop: Header=BB166_3 Depth=1
	ds_load_b64 v[40:41], v1 offset:7280
	s_wait_dscnt 0x0
	v_pk_mul_f32 v[42:43], v[38:39], v[40:41] op_sel:[1,1] op_sel_hi:[1,0]
	s_delay_alu instid0(VALU_DEP_1) | instskip(SKIP_1) | instid1(VALU_DEP_2)
	v_pk_fma_f32 v[82:83], v[38:39], v[40:41], v[42:43] op_sel_hi:[0,1,1]
	v_pk_fma_f32 v[40:41], v[38:39], v[40:41], v[42:43] neg_lo:[0,0,1] neg_hi:[0,0,1]
	v_mov_b32_e32 v41, v83
	s_delay_alu instid0(VALU_DEP_1)
	v_mov_b64_e32 v[38:39], v[40:41]
	ds_store_b64 v56, v[40:41]
.LBB166_222:                            ;   in Loop: Header=BB166_3 Depth=1
	s_or_b32 exec_lo, exec_lo, s9
	s_wait_dscnt 0x0
	s_barrier_signal -1
	s_barrier_wait -1
	s_and_saveexec_b32 s9, s63
	s_cbranch_execz .LBB166_224
; %bb.223:                              ;   in Loop: Header=BB166_3 Depth=1
	ds_load_b64 v[40:41], v1 offset:7288
	ds_load_b64 v[42:43], v56
	s_wait_dscnt 0x0
	v_pk_mul_f32 v[82:83], v[42:43], v[40:41] op_sel:[1,1] op_sel_hi:[0,1]
	s_delay_alu instid0(VALU_DEP_1) | instskip(SKIP_1) | instid1(VALU_DEP_2)
	v_pk_fma_f32 v[84:85], v[42:43], v[40:41], v[82:83] op_sel_hi:[1,0,1]
	v_pk_fma_f32 v[40:41], v[42:43], v[40:41], v[82:83] neg_lo:[0,0,1] neg_hi:[0,0,1]
	v_mov_b32_e32 v41, v85
	s_delay_alu instid0(VALU_DEP_1)
	v_pk_add_f32 v[38:39], v[38:39], v[40:41]
.LBB166_224:                            ;   in Loop: Header=BB166_3 Depth=1
	s_or_b32 exec_lo, exec_lo, s9
	s_barrier_signal -1
	s_barrier_wait -1
	s_and_saveexec_b32 s9, s63
	s_cbranch_execz .LBB166_226
; %bb.225:                              ;   in Loop: Header=BB166_3 Depth=1
	ds_load_b64 v[40:41], v1 offset:7800
	s_wait_dscnt 0x0
	v_pk_mul_f32 v[42:43], v[38:39], v[40:41] op_sel:[1,1] op_sel_hi:[1,0]
	s_delay_alu instid0(VALU_DEP_1) | instskip(SKIP_1) | instid1(VALU_DEP_2)
	v_pk_fma_f32 v[82:83], v[38:39], v[40:41], v[42:43] op_sel_hi:[0,1,1]
	v_pk_fma_f32 v[40:41], v[38:39], v[40:41], v[42:43] neg_lo:[0,0,1] neg_hi:[0,0,1]
	v_mov_b32_e32 v41, v83
	s_delay_alu instid0(VALU_DEP_1)
	v_mov_b64_e32 v[38:39], v[40:41]
	ds_store_b64 v56, v[40:41]
.LBB166_226:                            ;   in Loop: Header=BB166_3 Depth=1
	s_or_b32 exec_lo, exec_lo, s9
	s_wait_dscnt 0x0
	s_barrier_signal -1
	s_barrier_wait -1
	s_barrier_signal -1
	s_barrier_wait -1
	s_and_saveexec_b32 s9, s5
; %bb.227:                              ;   in Loop: Header=BB166_3 Depth=1
	v_pk_add_f32 v[38:39], v[38:39], 0 neg_lo:[1,1] neg_hi:[1,1]
	ds_store_b64 v57, v[38:39] offset:64
; %bb.228:                              ;   in Loop: Header=BB166_3 Depth=1
	s_or_b32 exec_lo, exec_lo, s9
	s_wait_dscnt 0x0
	s_barrier_signal -1
	s_barrier_wait -1
	s_barrier_signal -1
	s_barrier_wait -1
	s_and_saveexec_b32 s13, s14
	s_cbranch_execz .LBB166_230
; %bb.229:                              ;   in Loop: Header=BB166_3 Depth=1
	ds_load_b128 v[38:41], v1 offset:4160
	ds_load_b64 v[42:43], v1 offset:4680
	s_wait_dscnt 0x1
	v_dual_mov_b32 v82, v41 :: v_dual_mov_b32 v83, v40
	s_wait_dscnt 0x0
	v_dual_mul_f32 v81, v43, v39 :: v_dual_mul_f32 v0, v42, v39
	s_delay_alu instid0(VALU_DEP_1) | instskip(NEXT) | instid1(VALU_DEP_2)
	v_xor_b32_e32 v84, 0x80000000, v81
	v_fmac_f32_e32 v0, v43, v38
	s_delay_alu instid0(VALU_DEP_2) | instskip(NEXT) | instid1(VALU_DEP_2)
	v_fmac_f32_e32 v84, v42, v38
	v_pk_mul_f32 v[38:39], v[0:1], v[82:83] op_sel_hi:[0,1]
	s_delay_alu instid0(VALU_DEP_1) | instskip(SKIP_1) | instid1(VALU_DEP_2)
	v_pk_fma_f32 v[42:43], v[84:85], v[40:41], v[38:39] op_sel_hi:[0,1,1]
	v_pk_fma_f32 v[38:39], v[84:85], v[40:41], v[38:39] neg_lo:[0,0,1] neg_hi:[0,0,1]
	v_mov_b32_e32 v39, v43
	ds_store_b64 v1, v[38:39] offset:4168
.LBB166_230:                            ;   in Loop: Header=BB166_3 Depth=1
	s_or_b32 exec_lo, exec_lo, s13
	v_mov_b32_e32 v39, 0
	s_wait_dscnt 0x0
	s_barrier_signal -1
	s_barrier_wait -1
	s_delay_alu instid0(VALU_DEP_1)
	v_mov_b32_e32 v38, v39
	s_and_saveexec_b32 s13, s3
	s_cbranch_execz .LBB166_234
; %bb.231:                              ;   in Loop: Header=BB166_3 Depth=1
	ds_load_b64 v[38:39], v46 offset:4176
	ds_load_b64 v[40:41], v47 offset:4160
	s_wait_dscnt 0x0
	v_dual_mul_f32 v0, v41, v39 :: v_dual_mul_f32 v43, v40, v39
	s_delay_alu instid0(VALU_DEP_1) | instskip(NEXT) | instid1(VALU_DEP_1)
	v_dual_fma_f32 v42, v40, v38, -v0 :: v_dual_fmac_f32 v43, v41, v38
	v_pk_add_f32 v[38:39], v[42:43], 0 op_sel_hi:[1,0]
	s_and_saveexec_b32 s9, s15
	s_cbranch_execz .LBB166_233
; %bb.232:                              ;   in Loop: Header=BB166_3 Depth=1
	ds_load_b64 v[40:41], v48 offset:4688
	ds_load_b64 v[42:43], v1 offset:4168
	s_wait_dscnt 0x0
	v_pk_mul_f32 v[82:83], v[42:43], v[40:41] op_sel:[1,1] op_sel_hi:[0,1]
	s_delay_alu instid0(VALU_DEP_1) | instskip(SKIP_1) | instid1(VALU_DEP_2)
	v_pk_fma_f32 v[84:85], v[42:43], v[40:41], v[82:83] op_sel_hi:[1,0,1]
	v_pk_fma_f32 v[40:41], v[42:43], v[40:41], v[82:83] neg_lo:[0,0,1] neg_hi:[0,0,1]
	v_mov_b32_e32 v41, v85
	s_delay_alu instid0(VALU_DEP_1)
	v_pk_add_f32 v[38:39], v[38:39], v[40:41]
.LBB166_233:                            ;   in Loop: Header=BB166_3 Depth=1
	s_or_b32 exec_lo, exec_lo, s9
	s_delay_alu instid0(VALU_DEP_1)
	v_pk_add_f32 v[38:39], v[38:39], 0 neg_lo:[1,1] neg_hi:[1,1]
.LBB166_234:                            ;   in Loop: Header=BB166_3 Depth=1
	s_or_b32 exec_lo, exec_lo, s13
	s_and_saveexec_b32 s9, vcc_hi
	s_cbranch_execz .LBB166_236
; %bb.235:                              ;   in Loop: Header=BB166_3 Depth=1
	ds_load_b64 v[40:41], v1 offset:5200
	s_wait_dscnt 0x0
	v_pk_mul_f32 v[42:43], v[38:39], v[40:41] op_sel:[1,1] op_sel_hi:[1,0]
	s_delay_alu instid0(VALU_DEP_1) | instskip(SKIP_1) | instid1(VALU_DEP_2)
	v_pk_fma_f32 v[82:83], v[38:39], v[40:41], v[42:43] op_sel_hi:[0,1,1]
	v_pk_fma_f32 v[40:41], v[38:39], v[40:41], v[42:43] neg_lo:[0,0,1] neg_hi:[0,0,1]
	v_mov_b32_e32 v41, v83
	s_delay_alu instid0(VALU_DEP_1)
	v_mov_b64_e32 v[38:39], v[40:41]
	ds_store_b64 v3, v[40:41]
.LBB166_236:                            ;   in Loop: Header=BB166_3 Depth=1
	s_or_b32 exec_lo, exec_lo, s9
	s_wait_dscnt 0x0
	s_barrier_signal -1
	s_barrier_wait -1
	s_and_saveexec_b32 s9, s43
	s_cbranch_execz .LBB166_238
; %bb.237:                              ;   in Loop: Header=BB166_3 Depth=1
	ds_load_b64 v[40:41], v1 offset:5208
	ds_load_b64 v[42:43], v3
	s_wait_dscnt 0x0
	v_pk_mul_f32 v[82:83], v[42:43], v[40:41] op_sel:[1,1] op_sel_hi:[0,1]
	s_delay_alu instid0(VALU_DEP_1) | instskip(SKIP_1) | instid1(VALU_DEP_2)
	v_pk_fma_f32 v[84:85], v[42:43], v[40:41], v[82:83] op_sel_hi:[1,0,1]
	v_pk_fma_f32 v[40:41], v[42:43], v[40:41], v[82:83] neg_lo:[0,0,1] neg_hi:[0,0,1]
	v_mov_b32_e32 v41, v85
	s_delay_alu instid0(VALU_DEP_1)
	v_pk_add_f32 v[38:39], v[38:39], v[40:41]
.LBB166_238:                            ;   in Loop: Header=BB166_3 Depth=1
	s_or_b32 exec_lo, exec_lo, s9
	s_barrier_signal -1
	s_barrier_wait -1
	s_and_saveexec_b32 s9, s43
	s_cbranch_execz .LBB166_240
; %bb.239:                              ;   in Loop: Header=BB166_3 Depth=1
	ds_load_b64 v[40:41], v1 offset:5720
	s_wait_dscnt 0x0
	v_pk_mul_f32 v[42:43], v[38:39], v[40:41] op_sel:[1,1] op_sel_hi:[1,0]
	s_delay_alu instid0(VALU_DEP_1) | instskip(SKIP_1) | instid1(VALU_DEP_2)
	v_pk_fma_f32 v[82:83], v[38:39], v[40:41], v[42:43] op_sel_hi:[0,1,1]
	v_pk_fma_f32 v[40:41], v[38:39], v[40:41], v[42:43] neg_lo:[0,0,1] neg_hi:[0,0,1]
	v_mov_b32_e32 v41, v83
	s_delay_alu instid0(VALU_DEP_1)
	v_mov_b64_e32 v[38:39], v[40:41]
	ds_store_b64 v3, v[40:41]
.LBB166_240:                            ;   in Loop: Header=BB166_3 Depth=1
	s_or_b32 exec_lo, exec_lo, s9
	s_wait_dscnt 0x0
	s_barrier_signal -1
	s_barrier_wait -1
	s_barrier_signal -1
	s_barrier_wait -1
	s_and_saveexec_b32 s9, s3
; %bb.241:                              ;   in Loop: Header=BB166_3 Depth=1
	v_pk_add_f32 v[38:39], v[38:39], 0 neg_lo:[1,1] neg_hi:[1,1]
	ds_store_b64 v46, v[38:39] offset:4176
; %bb.242:                              ;   in Loop: Header=BB166_3 Depth=1
	s_or_b32 exec_lo, exec_lo, s9
	s_wait_dscnt 0x0
	s_barrier_signal -1
	s_barrier_wait -1
	s_barrier_signal -1
	s_barrier_wait -1
	s_and_saveexec_b32 s13, s14
	s_cbranch_execz .LBB166_244
; %bb.243:                              ;   in Loop: Header=BB166_3 Depth=1
	ds_load_b128 v[38:41], v1 offset:5200
	ds_load_b64 v[42:43], v1 offset:5720
	s_wait_dscnt 0x1
	v_dual_mov_b32 v82, v41 :: v_dual_mov_b32 v83, v40
	s_wait_dscnt 0x0
	v_dual_mul_f32 v81, v43, v39 :: v_dual_mul_f32 v0, v42, v39
	s_delay_alu instid0(VALU_DEP_1) | instskip(NEXT) | instid1(VALU_DEP_2)
	v_xor_b32_e32 v84, 0x80000000, v81
	v_fmac_f32_e32 v0, v43, v38
	s_delay_alu instid0(VALU_DEP_2) | instskip(NEXT) | instid1(VALU_DEP_2)
	v_fmac_f32_e32 v84, v42, v38
	v_pk_mul_f32 v[38:39], v[0:1], v[82:83] op_sel_hi:[0,1]
	s_delay_alu instid0(VALU_DEP_1) | instskip(SKIP_1) | instid1(VALU_DEP_2)
	v_pk_fma_f32 v[42:43], v[84:85], v[40:41], v[38:39] op_sel_hi:[0,1,1]
	v_pk_fma_f32 v[38:39], v[84:85], v[40:41], v[38:39] neg_lo:[0,0,1] neg_hi:[0,0,1]
	v_mov_b32_e32 v39, v43
	ds_store_b64 v1, v[38:39] offset:5208
.LBB166_244:                            ;   in Loop: Header=BB166_3 Depth=1
	s_or_b32 exec_lo, exec_lo, s13
	v_mov_b32_e32 v38, 0
	s_wait_dscnt 0x0
	s_barrier_signal -1
	s_barrier_wait -1
	s_delay_alu instid0(VALU_DEP_1)
	v_mov_b32_e32 v39, v38
	s_and_saveexec_b32 s13, s4
	s_cbranch_execz .LBB166_250
; %bb.245:                              ;   in Loop: Header=BB166_3 Depth=1
	ds_load_b64 v[38:39], v52 offset:4192
	ds_load_b64 v[40:41], v50 offset:4160
	s_wait_dscnt 0x0
	v_pk_mul_f32 v[42:43], v[40:41], v[38:39] op_sel:[0,1]
	s_delay_alu instid0(VALU_DEP_1) | instskip(SKIP_1) | instid1(VALU_DEP_2)
	v_pk_fma_f32 v[82:83], v[40:41], v[38:39], v[42:43] op_sel:[1,0,0] op_sel_hi:[0,0,1] neg_lo:[0,0,1] neg_hi:[0,0,1]
	v_pk_fma_f32 v[38:39], v[40:41], v[38:39], v[42:43] op_sel:[1,0,0] op_sel_hi:[0,1,1]
	v_mov_b32_e32 v39, v83
	s_delay_alu instid0(VALU_DEP_1)
	v_pk_add_f32 v[38:39], v[38:39], 0 op_sel_hi:[1,0]
	s_and_saveexec_b32 s9, s16
	s_cbranch_execnz .LBB166_1055
; %bb.246:                              ;   in Loop: Header=BB166_3 Depth=1
	s_or_b32 exec_lo, exec_lo, s9
	s_and_saveexec_b32 s9, s17
	s_cbranch_execnz .LBB166_1056
.LBB166_247:                            ;   in Loop: Header=BB166_3 Depth=1
	s_or_b32 exec_lo, exec_lo, s9
	s_and_saveexec_b32 s9, s3
	s_cbranch_execz .LBB166_249
.LBB166_248:                            ;   in Loop: Header=BB166_3 Depth=1
	ds_load_b64 v[40:41], v48 offset:5728
	ds_load_b64 v[42:43], v1 offset:4184
	s_wait_dscnt 0x0
	v_pk_mul_f32 v[82:83], v[42:43], v[40:41] op_sel:[0,1]
	s_delay_alu instid0(VALU_DEP_1) | instskip(SKIP_1) | instid1(VALU_DEP_2)
	v_pk_fma_f32 v[84:85], v[42:43], v[40:41], v[82:83] op_sel:[1,0,0] op_sel_hi:[0,0,1] neg_lo:[0,0,1] neg_hi:[0,0,1]
	v_pk_fma_f32 v[40:41], v[42:43], v[40:41], v[82:83] op_sel:[1,0,0] op_sel_hi:[0,1,1]
	v_mov_b32_e32 v41, v85
	s_delay_alu instid0(VALU_DEP_1)
	v_pk_add_f32 v[38:39], v[38:39], v[40:41]
.LBB166_249:                            ;   in Loop: Header=BB166_3 Depth=1
	s_or_b32 exec_lo, exec_lo, s9
	s_delay_alu instid0(VALU_DEP_1) | instskip(NEXT) | instid1(VALU_DEP_1)
	v_pk_add_f32 v[40:41], v[38:39], 0 neg_lo:[1,1] neg_hi:[1,1]
	v_dual_mov_b32 v38, v41 :: v_dual_mov_b32 v39, v40
.LBB166_250:                            ;   in Loop: Header=BB166_3 Depth=1
	s_or_b32 exec_lo, exec_lo, s13
	s_and_saveexec_b32 s9, s44
	s_cbranch_execz .LBB166_252
; %bb.251:                              ;   in Loop: Header=BB166_3 Depth=1
	ds_load_b64 v[40:41], v1 offset:6240
	v_dual_mov_b32 v42, v39 :: v_dual_mov_b32 v43, v38
	s_wait_dscnt 0x0
	s_delay_alu instid0(VALU_DEP_1) | instskip(NEXT) | instid1(VALU_DEP_1)
	v_dual_mul_f32 v0, v42, v40 :: v_dual_mul_f32 v82, v39, v41
	v_pk_fma_f32 v[42:43], v[42:43], v[40:41], v[0:1] op_sel_hi:[1,1,0]
	s_delay_alu instid0(VALU_DEP_2) | instskip(NEXT) | instid1(VALU_DEP_2)
	v_pk_fma_f32 v[38:39], v[38:39], v[40:41], v[82:83] op_sel_hi:[1,1,0] neg_lo:[0,0,1] neg_hi:[0,0,1]
	v_mov_b32_e32 v39, v43
	ds_store_b64 v51, v[38:39]
.LBB166_252:                            ;   in Loop: Header=BB166_3 Depth=1
	s_or_b32 exec_lo, exec_lo, s9
	s_wait_dscnt 0x0
	s_barrier_signal -1
	s_barrier_wait -1
	s_and_saveexec_b32 s9, s45
	s_cbranch_execz .LBB166_254
; %bb.253:                              ;   in Loop: Header=BB166_3 Depth=1
	ds_load_b64 v[40:41], v49 offset:6240
	ds_load_b64 v[42:43], v51
	s_wait_dscnt 0x0
	v_dual_mul_f32 v0, v43, v41 :: v_dual_mul_f32 v83, v42, v41
	s_delay_alu instid0(VALU_DEP_1) | instskip(NEXT) | instid1(VALU_DEP_1)
	v_dual_fma_f32 v82, v42, v40, -v0 :: v_dual_fmac_f32 v83, v43, v40
	v_pk_add_f32 v[38:39], v[38:39], v[82:83]
.LBB166_254:                            ;   in Loop: Header=BB166_3 Depth=1
	s_or_b32 exec_lo, exec_lo, s9
	s_barrier_signal -1
	s_barrier_wait -1
	s_and_saveexec_b32 s9, s46
	s_cbranch_execz .LBB166_256
; %bb.255:                              ;   in Loop: Header=BB166_3 Depth=1
	ds_load_b64 v[40:41], v1 offset:6760
	s_wait_dscnt 0x0
	v_pk_mul_f32 v[42:43], v[38:39], v[40:41] op_sel:[1,1] op_sel_hi:[1,0]
	s_delay_alu instid0(VALU_DEP_1) | instskip(SKIP_1) | instid1(VALU_DEP_2)
	v_pk_fma_f32 v[82:83], v[38:39], v[40:41], v[42:43] op_sel_hi:[0,1,1]
	v_pk_fma_f32 v[40:41], v[38:39], v[40:41], v[42:43] neg_lo:[0,0,1] neg_hi:[0,0,1]
	v_mov_b32_e32 v41, v83
	s_delay_alu instid0(VALU_DEP_1)
	v_mov_b64_e32 v[38:39], v[40:41]
	ds_store_b64 v51, v[40:41]
.LBB166_256:                            ;   in Loop: Header=BB166_3 Depth=1
	s_or_b32 exec_lo, exec_lo, s9
	s_wait_dscnt 0x0
	s_barrier_signal -1
	s_barrier_wait -1
	s_and_saveexec_b32 s9, s47
	s_cbranch_execz .LBB166_258
; %bb.257:                              ;   in Loop: Header=BB166_3 Depth=1
	ds_load_b64 v[40:41], v49 offset:6752
	ds_load_b64 v[42:43], v51
	s_wait_dscnt 0x0
	v_pk_mul_f32 v[82:83], v[42:43], v[40:41] op_sel:[1,1] op_sel_hi:[0,1]
	s_delay_alu instid0(VALU_DEP_1) | instskip(SKIP_1) | instid1(VALU_DEP_2)
	v_pk_fma_f32 v[84:85], v[42:43], v[40:41], v[82:83] op_sel_hi:[1,0,1]
	v_pk_fma_f32 v[40:41], v[42:43], v[40:41], v[82:83] neg_lo:[0,0,1] neg_hi:[0,0,1]
	v_mov_b32_e32 v41, v85
	s_delay_alu instid0(VALU_DEP_1)
	v_pk_add_f32 v[38:39], v[38:39], v[40:41]
.LBB166_258:                            ;   in Loop: Header=BB166_3 Depth=1
	s_or_b32 exec_lo, exec_lo, s9
	s_barrier_signal -1
	s_barrier_wait -1
	s_and_saveexec_b32 s9, s48
	s_cbranch_execz .LBB166_260
; %bb.259:                              ;   in Loop: Header=BB166_3 Depth=1
	ds_load_b64 v[40:41], v1 offset:7280
	s_wait_dscnt 0x0
	v_pk_mul_f32 v[42:43], v[38:39], v[40:41] op_sel:[1,1] op_sel_hi:[1,0]
	s_delay_alu instid0(VALU_DEP_1) | instskip(SKIP_1) | instid1(VALU_DEP_2)
	v_pk_fma_f32 v[82:83], v[38:39], v[40:41], v[42:43] op_sel_hi:[0,1,1]
	v_pk_fma_f32 v[40:41], v[38:39], v[40:41], v[42:43] neg_lo:[0,0,1] neg_hi:[0,0,1]
	v_mov_b32_e32 v41, v83
	s_delay_alu instid0(VALU_DEP_1)
	v_mov_b64_e32 v[38:39], v[40:41]
	ds_store_b64 v51, v[40:41]
.LBB166_260:                            ;   in Loop: Header=BB166_3 Depth=1
	s_or_b32 exec_lo, exec_lo, s9
	s_wait_dscnt 0x0
	s_barrier_signal -1
	s_barrier_wait -1
	s_and_saveexec_b32 s9, s49
	s_cbranch_execz .LBB166_262
; %bb.261:                              ;   in Loop: Header=BB166_3 Depth=1
	ds_load_b64 v[40:41], v1 offset:7288
	ds_load_b64 v[42:43], v51
	s_wait_dscnt 0x0
	v_pk_mul_f32 v[82:83], v[42:43], v[40:41] op_sel:[1,1] op_sel_hi:[0,1]
	s_delay_alu instid0(VALU_DEP_1) | instskip(SKIP_1) | instid1(VALU_DEP_2)
	v_pk_fma_f32 v[84:85], v[42:43], v[40:41], v[82:83] op_sel_hi:[1,0,1]
	v_pk_fma_f32 v[40:41], v[42:43], v[40:41], v[82:83] neg_lo:[0,0,1] neg_hi:[0,0,1]
	v_mov_b32_e32 v41, v85
	s_delay_alu instid0(VALU_DEP_1)
	v_pk_add_f32 v[38:39], v[38:39], v[40:41]
.LBB166_262:                            ;   in Loop: Header=BB166_3 Depth=1
	s_or_b32 exec_lo, exec_lo, s9
	s_barrier_signal -1
	s_barrier_wait -1
	s_and_saveexec_b32 s9, s49
	s_cbranch_execz .LBB166_264
; %bb.263:                              ;   in Loop: Header=BB166_3 Depth=1
	ds_load_b64 v[40:41], v1 offset:7800
	s_wait_dscnt 0x0
	v_pk_mul_f32 v[42:43], v[38:39], v[40:41] op_sel:[1,1] op_sel_hi:[1,0]
	s_delay_alu instid0(VALU_DEP_1) | instskip(SKIP_1) | instid1(VALU_DEP_2)
	v_pk_fma_f32 v[82:83], v[38:39], v[40:41], v[42:43] op_sel_hi:[0,1,1]
	v_pk_fma_f32 v[40:41], v[38:39], v[40:41], v[42:43] neg_lo:[0,0,1] neg_hi:[0,0,1]
	v_mov_b32_e32 v41, v83
	s_delay_alu instid0(VALU_DEP_1)
	v_mov_b64_e32 v[38:39], v[40:41]
	ds_store_b64 v51, v[40:41]
.LBB166_264:                            ;   in Loop: Header=BB166_3 Depth=1
	s_or_b32 exec_lo, exec_lo, s9
	s_wait_dscnt 0x0
	s_barrier_signal -1
	s_barrier_wait -1
	s_barrier_signal -1
	s_barrier_wait -1
	s_and_saveexec_b32 s9, s4
; %bb.265:                              ;   in Loop: Header=BB166_3 Depth=1
	v_pk_add_f32 v[38:39], v[38:39], 0 neg_lo:[1,1] neg_hi:[1,1]
	ds_store_b64 v52, v[38:39] offset:4192
; %bb.266:                              ;   in Loop: Header=BB166_3 Depth=1
	s_or_b32 exec_lo, exec_lo, s9
	s_wait_dscnt 0x0
	s_barrier_signal -1
	s_barrier_wait -1
	s_barrier_signal -1
	s_barrier_wait -1
	s_and_saveexec_b32 s13, s14
	s_cbranch_execz .LBB166_268
; %bb.267:                              ;   in Loop: Header=BB166_3 Depth=1
	ds_load_b128 v[38:41], v1 offset:6240
	ds_load_b64 v[42:43], v1 offset:6760
	s_wait_dscnt 0x1
	v_dual_mov_b32 v82, v41 :: v_dual_mov_b32 v83, v40
	s_wait_dscnt 0x0
	v_dual_mul_f32 v81, v43, v39 :: v_dual_mul_f32 v0, v42, v39
	s_delay_alu instid0(VALU_DEP_1) | instskip(NEXT) | instid1(VALU_DEP_2)
	v_xor_b32_e32 v84, 0x80000000, v81
	v_fmac_f32_e32 v0, v43, v38
	s_delay_alu instid0(VALU_DEP_2) | instskip(NEXT) | instid1(VALU_DEP_2)
	v_fmac_f32_e32 v84, v42, v38
	v_pk_mul_f32 v[38:39], v[0:1], v[82:83] op_sel_hi:[0,1]
	s_delay_alu instid0(VALU_DEP_1) | instskip(SKIP_1) | instid1(VALU_DEP_2)
	v_pk_fma_f32 v[42:43], v[84:85], v[40:41], v[38:39] op_sel_hi:[0,1,1]
	v_pk_fma_f32 v[38:39], v[84:85], v[40:41], v[38:39] neg_lo:[0,0,1] neg_hi:[0,0,1]
	v_mov_b32_e32 v39, v43
	ds_store_b64 v1, v[38:39] offset:6248
.LBB166_268:                            ;   in Loop: Header=BB166_3 Depth=1
	s_or_b32 exec_lo, exec_lo, s13
	v_mov_b32_e32 v39, 0
	s_wait_dscnt 0x0
	s_barrier_signal -1
	s_barrier_wait -1
	s_delay_alu instid0(VALU_DEP_1)
	v_mov_b32_e32 v38, v39
	s_and_saveexec_b32 s13, s3
	s_cbranch_execz .LBB166_272
; %bb.269:                              ;   in Loop: Header=BB166_3 Depth=1
	ds_load_b64 v[38:39], v46 offset:6256
	ds_load_b64 v[40:41], v47 offset:6240
	s_wait_dscnt 0x0
	v_dual_mul_f32 v0, v41, v39 :: v_dual_mul_f32 v43, v40, v39
	s_delay_alu instid0(VALU_DEP_1) | instskip(NEXT) | instid1(VALU_DEP_1)
	v_dual_fma_f32 v42, v40, v38, -v0 :: v_dual_fmac_f32 v43, v41, v38
	v_pk_add_f32 v[38:39], v[42:43], 0 op_sel_hi:[1,0]
	s_and_saveexec_b32 s9, s15
	s_cbranch_execz .LBB166_271
; %bb.270:                              ;   in Loop: Header=BB166_3 Depth=1
	ds_load_b64 v[40:41], v48 offset:6768
	ds_load_b64 v[42:43], v1 offset:6248
	s_wait_dscnt 0x0
	v_pk_mul_f32 v[82:83], v[42:43], v[40:41] op_sel:[1,1] op_sel_hi:[0,1]
	s_delay_alu instid0(VALU_DEP_1) | instskip(SKIP_1) | instid1(VALU_DEP_2)
	v_pk_fma_f32 v[84:85], v[42:43], v[40:41], v[82:83] op_sel_hi:[1,0,1]
	v_pk_fma_f32 v[40:41], v[42:43], v[40:41], v[82:83] neg_lo:[0,0,1] neg_hi:[0,0,1]
	v_mov_b32_e32 v41, v85
	s_delay_alu instid0(VALU_DEP_1)
	v_pk_add_f32 v[38:39], v[38:39], v[40:41]
.LBB166_271:                            ;   in Loop: Header=BB166_3 Depth=1
	s_or_b32 exec_lo, exec_lo, s9
	s_delay_alu instid0(VALU_DEP_1)
	v_pk_add_f32 v[38:39], v[38:39], 0 neg_lo:[1,1] neg_hi:[1,1]
.LBB166_272:                            ;   in Loop: Header=BB166_3 Depth=1
	s_or_b32 exec_lo, exec_lo, s13
	s_and_saveexec_b32 s9, vcc_hi
	s_cbranch_execz .LBB166_274
; %bb.273:                              ;   in Loop: Header=BB166_3 Depth=1
	ds_load_b64 v[40:41], v1 offset:7280
	s_wait_dscnt 0x0
	v_pk_mul_f32 v[42:43], v[38:39], v[40:41] op_sel:[1,1] op_sel_hi:[1,0]
	s_delay_alu instid0(VALU_DEP_1) | instskip(SKIP_1) | instid1(VALU_DEP_2)
	v_pk_fma_f32 v[82:83], v[38:39], v[40:41], v[42:43] op_sel_hi:[0,1,1]
	v_pk_fma_f32 v[40:41], v[38:39], v[40:41], v[42:43] neg_lo:[0,0,1] neg_hi:[0,0,1]
	v_mov_b32_e32 v41, v83
	s_delay_alu instid0(VALU_DEP_1)
	v_mov_b64_e32 v[38:39], v[40:41]
	ds_store_b64 v3, v[40:41]
.LBB166_274:                            ;   in Loop: Header=BB166_3 Depth=1
	s_or_b32 exec_lo, exec_lo, s9
	s_wait_dscnt 0x0
	s_barrier_signal -1
	s_barrier_wait -1
	s_and_saveexec_b32 s9, s43
	s_cbranch_execz .LBB166_276
; %bb.275:                              ;   in Loop: Header=BB166_3 Depth=1
	ds_load_b64 v[40:41], v1 offset:7288
	ds_load_b64 v[42:43], v3
	s_wait_dscnt 0x0
	v_pk_mul_f32 v[82:83], v[42:43], v[40:41] op_sel:[1,1] op_sel_hi:[0,1]
	s_delay_alu instid0(VALU_DEP_1) | instskip(SKIP_1) | instid1(VALU_DEP_2)
	v_pk_fma_f32 v[84:85], v[42:43], v[40:41], v[82:83] op_sel_hi:[1,0,1]
	v_pk_fma_f32 v[40:41], v[42:43], v[40:41], v[82:83] neg_lo:[0,0,1] neg_hi:[0,0,1]
	v_mov_b32_e32 v41, v85
	s_delay_alu instid0(VALU_DEP_1)
	v_pk_add_f32 v[38:39], v[38:39], v[40:41]
.LBB166_276:                            ;   in Loop: Header=BB166_3 Depth=1
	s_or_b32 exec_lo, exec_lo, s9
	s_barrier_signal -1
	s_barrier_wait -1
	s_and_saveexec_b32 s9, s43
	s_cbranch_execz .LBB166_278
; %bb.277:                              ;   in Loop: Header=BB166_3 Depth=1
	ds_load_b64 v[40:41], v1 offset:7800
	s_wait_dscnt 0x0
	v_pk_mul_f32 v[42:43], v[38:39], v[40:41] op_sel:[1,1] op_sel_hi:[1,0]
	s_delay_alu instid0(VALU_DEP_1) | instskip(SKIP_1) | instid1(VALU_DEP_2)
	v_pk_fma_f32 v[82:83], v[38:39], v[40:41], v[42:43] op_sel_hi:[0,1,1]
	v_pk_fma_f32 v[40:41], v[38:39], v[40:41], v[42:43] neg_lo:[0,0,1] neg_hi:[0,0,1]
	v_mov_b32_e32 v41, v83
	s_delay_alu instid0(VALU_DEP_1)
	v_mov_b64_e32 v[38:39], v[40:41]
	ds_store_b64 v3, v[40:41]
.LBB166_278:                            ;   in Loop: Header=BB166_3 Depth=1
	s_or_b32 exec_lo, exec_lo, s9
	s_wait_dscnt 0x0
	s_barrier_signal -1
	s_barrier_wait -1
	s_barrier_signal -1
	s_barrier_wait -1
	s_and_saveexec_b32 s9, s3
; %bb.279:                              ;   in Loop: Header=BB166_3 Depth=1
	v_pk_add_f32 v[38:39], v[38:39], 0 neg_lo:[1,1] neg_hi:[1,1]
	ds_store_b64 v46, v[38:39] offset:6256
; %bb.280:                              ;   in Loop: Header=BB166_3 Depth=1
	s_or_b32 exec_lo, exec_lo, s9
	s_wait_dscnt 0x0
	s_barrier_signal -1
	s_barrier_wait -1
	s_barrier_signal -1
	s_barrier_wait -1
	s_and_saveexec_b32 s13, s14
	s_cbranch_execz .LBB166_282
; %bb.281:                              ;   in Loop: Header=BB166_3 Depth=1
	ds_load_b128 v[38:41], v1 offset:7280
	ds_load_b64 v[42:43], v1 offset:7800
	s_wait_dscnt 0x1
	v_dual_mov_b32 v82, v41 :: v_dual_mov_b32 v83, v40
	s_wait_dscnt 0x0
	v_dual_mul_f32 v81, v43, v39 :: v_dual_mul_f32 v0, v42, v39
	s_delay_alu instid0(VALU_DEP_1) | instskip(NEXT) | instid1(VALU_DEP_2)
	v_xor_b32_e32 v84, 0x80000000, v81
	v_fmac_f32_e32 v0, v43, v38
	s_delay_alu instid0(VALU_DEP_2) | instskip(NEXT) | instid1(VALU_DEP_2)
	v_fmac_f32_e32 v84, v42, v38
	v_pk_mul_f32 v[38:39], v[0:1], v[82:83] op_sel_hi:[0,1]
	s_delay_alu instid0(VALU_DEP_1) | instskip(SKIP_1) | instid1(VALU_DEP_2)
	v_pk_fma_f32 v[42:43], v[84:85], v[40:41], v[38:39] op_sel_hi:[0,1,1]
	v_pk_fma_f32 v[38:39], v[84:85], v[40:41], v[38:39] neg_lo:[0,0,1] neg_hi:[0,0,1]
	v_mov_b32_e32 v39, v43
	ds_store_b64 v1, v[38:39] offset:7288
.LBB166_282:                            ;   in Loop: Header=BB166_3 Depth=1
	s_or_b32 exec_lo, exec_lo, s13
	v_mov_b32_e32 v38, 0
	s_wait_dscnt 0x0
	s_barrier_signal -1
	s_barrier_wait -1
	s_delay_alu instid0(VALU_DEP_1)
	v_mov_b32_e32 v39, v38
	s_and_saveexec_b32 s70, s6
	s_cbranch_execz .LBB166_310
; %bb.283:                              ;   in Loop: Header=BB166_3 Depth=1
	ds_load_b64 v[38:39], v62 offset:128
	ds_load_b64 v[40:41], v59
	v_readlane_b32 s1, v92, 29
	s_wait_dscnt 0x0
	v_dual_mul_f32 v0, v41, v39 :: v_dual_mul_f32 v42, v40, v39
	s_delay_alu instid0(VALU_DEP_1) | instskip(NEXT) | instid1(VALU_DEP_1)
	v_dual_fma_f32 v0, v40, v38, -v0 :: v_dual_fmac_f32 v42, v41, v38
	v_dual_add_f32 v39, 0, v0 :: v_dual_add_f32 v38, 0, v42
	s_and_saveexec_b32 s9, s1
	s_cbranch_execz .LBB166_285
; %bb.284:                              ;   in Loop: Header=BB166_3 Depth=1
	ds_load_b64 v[40:41], v63 offset:640
	ds_load_b64 v[42:43], v59 offset:8
	s_wait_dscnt 0x0
	v_dual_mul_f32 v0, v43, v41 :: v_dual_mul_f32 v41, v42, v41
	s_delay_alu instid0(VALU_DEP_1) | instskip(NEXT) | instid1(VALU_DEP_1)
	v_dual_fma_f32 v0, v42, v40, -v0 :: v_dual_fmac_f32 v41, v43, v40
	v_dual_add_f32 v39, v39, v0 :: v_dual_add_f32 v38, v38, v41
.LBB166_285:                            ;   in Loop: Header=BB166_3 Depth=1
	s_or_b32 exec_lo, exec_lo, s9
	v_readlane_b32 s1, v92, 30
	s_and_saveexec_b32 s9, s1
	s_cbranch_execz .LBB166_287
; %bb.286:                              ;   in Loop: Header=BB166_3 Depth=1
	ds_load_b64 v[40:41], v63 offset:1152
	ds_load_b64 v[42:43], v59 offset:16
	s_wait_dscnt 0x0
	v_dual_mul_f32 v0, v43, v41 :: v_dual_mul_f32 v41, v42, v41
	s_delay_alu instid0(VALU_DEP_1) | instskip(NEXT) | instid1(VALU_DEP_1)
	v_dual_fma_f32 v0, v42, v40, -v0 :: v_dual_fmac_f32 v41, v43, v40
	v_dual_add_f32 v39, v39, v0 :: v_dual_add_f32 v38, v38, v41
.LBB166_287:                            ;   in Loop: Header=BB166_3 Depth=1
	s_or_b32 exec_lo, exec_lo, s9
	v_readlane_b32 s1, v92, 31
	s_and_saveexec_b32 s9, s1
	s_cbranch_execz .LBB166_289
; %bb.288:                              ;   in Loop: Header=BB166_3 Depth=1
	ds_load_b64 v[40:41], v63 offset:1664
	ds_load_b64 v[42:43], v59 offset:24
	s_wait_dscnt 0x0
	v_dual_mul_f32 v0, v43, v41 :: v_dual_mul_f32 v41, v42, v41
	s_delay_alu instid0(VALU_DEP_1) | instskip(NEXT) | instid1(VALU_DEP_1)
	v_dual_fma_f32 v0, v42, v40, -v0 :: v_dual_fmac_f32 v41, v43, v40
	v_dual_add_f32 v39, v39, v0 :: v_dual_add_f32 v38, v38, v41
.LBB166_289:                            ;   in Loop: Header=BB166_3 Depth=1
	s_or_b32 exec_lo, exec_lo, s9
	v_readlane_b32 s1, v91, 0
	s_and_saveexec_b32 s9, s1
	s_cbranch_execz .LBB166_291
; %bb.290:                              ;   in Loop: Header=BB166_3 Depth=1
	ds_load_b64 v[40:41], v63 offset:2176
	ds_load_b64 v[42:43], v59 offset:32
	s_wait_dscnt 0x0
	v_dual_mul_f32 v0, v43, v41 :: v_dual_mul_f32 v41, v42, v41
	s_delay_alu instid0(VALU_DEP_1) | instskip(NEXT) | instid1(VALU_DEP_1)
	v_dual_fma_f32 v0, v42, v40, -v0 :: v_dual_fmac_f32 v41, v43, v40
	v_dual_add_f32 v39, v39, v0 :: v_dual_add_f32 v38, v38, v41
.LBB166_291:                            ;   in Loop: Header=BB166_3 Depth=1
	s_or_b32 exec_lo, exec_lo, s9
	v_readlane_b32 s1, v91, 1
	s_and_saveexec_b32 s9, s1
	s_cbranch_execz .LBB166_293
; %bb.292:                              ;   in Loop: Header=BB166_3 Depth=1
	ds_load_b64 v[40:41], v63 offset:2688
	ds_load_b64 v[42:43], v59 offset:40
	s_wait_dscnt 0x0
	v_dual_mul_f32 v0, v43, v41 :: v_dual_mul_f32 v41, v42, v41
	s_delay_alu instid0(VALU_DEP_1) | instskip(NEXT) | instid1(VALU_DEP_1)
	v_dual_fma_f32 v0, v42, v40, -v0 :: v_dual_fmac_f32 v41, v43, v40
	v_dual_add_f32 v39, v39, v0 :: v_dual_add_f32 v38, v38, v41
.LBB166_293:                            ;   in Loop: Header=BB166_3 Depth=1
	s_or_b32 exec_lo, exec_lo, s9
	v_readlane_b32 s1, v91, 2
	s_and_saveexec_b32 s9, s1
	s_cbranch_execz .LBB166_295
; %bb.294:                              ;   in Loop: Header=BB166_3 Depth=1
	ds_load_b64 v[40:41], v63 offset:3200
	ds_load_b64 v[42:43], v59 offset:48
	s_wait_dscnt 0x0
	v_dual_mul_f32 v0, v43, v41 :: v_dual_mul_f32 v41, v42, v41
	s_delay_alu instid0(VALU_DEP_1) | instskip(NEXT) | instid1(VALU_DEP_1)
	v_dual_fma_f32 v0, v42, v40, -v0 :: v_dual_fmac_f32 v41, v43, v40
	v_dual_add_f32 v39, v39, v0 :: v_dual_add_f32 v38, v38, v41
.LBB166_295:                            ;   in Loop: Header=BB166_3 Depth=1
	s_or_b32 exec_lo, exec_lo, s9
	v_readlane_b32 s1, v91, 3
	s_and_saveexec_b32 s9, s1
	s_cbranch_execz .LBB166_297
; %bb.296:                              ;   in Loop: Header=BB166_3 Depth=1
	ds_load_b64 v[40:41], v63 offset:3712
	ds_load_b64 v[42:43], v59 offset:56
	s_wait_dscnt 0x0
	v_dual_mul_f32 v0, v43, v41 :: v_dual_mul_f32 v41, v42, v41
	s_delay_alu instid0(VALU_DEP_1) | instskip(NEXT) | instid1(VALU_DEP_1)
	v_dual_fma_f32 v0, v42, v40, -v0 :: v_dual_fmac_f32 v41, v43, v40
	v_dual_add_f32 v39, v39, v0 :: v_dual_add_f32 v38, v38, v41
.LBB166_297:                            ;   in Loop: Header=BB166_3 Depth=1
	s_or_b32 exec_lo, exec_lo, s9
	v_readlane_b32 s1, v91, 4
	s_and_saveexec_b32 s9, s1
	s_cbranch_execz .LBB166_299
; %bb.298:                              ;   in Loop: Header=BB166_3 Depth=1
	ds_load_b64 v[40:41], v62 offset:4224
	ds_load_b64 v[42:43], v59 offset:64
	s_wait_dscnt 0x0
	v_dual_mul_f32 v0, v43, v41 :: v_dual_mul_f32 v41, v42, v41
	s_delay_alu instid0(VALU_DEP_1) | instskip(NEXT) | instid1(VALU_DEP_1)
	v_dual_fma_f32 v0, v42, v40, -v0 :: v_dual_fmac_f32 v41, v43, v40
	v_dual_add_f32 v39, v39, v0 :: v_dual_add_f32 v38, v38, v41
.LBB166_299:                            ;   in Loop: Header=BB166_3 Depth=1
	s_or_b32 exec_lo, exec_lo, s9
	v_readlane_b32 s1, v91, 5
	s_and_saveexec_b32 s9, s1
	s_cbranch_execz .LBB166_301
; %bb.300:                              ;   in Loop: Header=BB166_3 Depth=1
	ds_load_b64 v[40:41], v63 offset:4736
	ds_load_b64 v[42:43], v59 offset:72
	s_wait_dscnt 0x0
	v_dual_mul_f32 v0, v43, v41 :: v_dual_mul_f32 v41, v42, v41
	s_delay_alu instid0(VALU_DEP_1) | instskip(NEXT) | instid1(VALU_DEP_1)
	v_dual_fma_f32 v0, v42, v40, -v0 :: v_dual_fmac_f32 v41, v43, v40
	v_dual_add_f32 v39, v39, v0 :: v_dual_add_f32 v38, v38, v41
.LBB166_301:                            ;   in Loop: Header=BB166_3 Depth=1
	s_or_b32 exec_lo, exec_lo, s9
	s_and_saveexec_b32 s9, s0
	s_cbranch_execz .LBB166_303
; %bb.302:                              ;   in Loop: Header=BB166_3 Depth=1
	ds_load_b64 v[40:41], v63 offset:5248
	ds_load_b64 v[42:43], v59 offset:80
	s_wait_dscnt 0x0
	v_dual_mul_f32 v0, v43, v41 :: v_dual_mul_f32 v41, v42, v41
	s_delay_alu instid0(VALU_DEP_1) | instskip(NEXT) | instid1(VALU_DEP_1)
	v_dual_fma_f32 v0, v42, v40, -v0 :: v_dual_fmac_f32 v41, v43, v40
	v_dual_add_f32 v39, v39, v0 :: v_dual_add_f32 v38, v38, v41
.LBB166_303:                            ;   in Loop: Header=BB166_3 Depth=1
	s_or_b32 exec_lo, exec_lo, s9
	v_readlane_b32 s1, v91, 6
	s_and_saveexec_b32 s9, s1
	s_cbranch_execnz .LBB166_1057
; %bb.304:                              ;   in Loop: Header=BB166_3 Depth=1
	s_or_b32 exec_lo, exec_lo, s9
	s_and_saveexec_b32 s9, s5
	s_cbranch_execnz .LBB166_1058
.LBB166_305:                            ;   in Loop: Header=BB166_3 Depth=1
	s_or_b32 exec_lo, exec_lo, s9
	s_and_saveexec_b32 s9, s19
	s_cbranch_execnz .LBB166_1059
.LBB166_306:                            ;   in Loop: Header=BB166_3 Depth=1
	s_or_b32 exec_lo, exec_lo, s9
	s_and_saveexec_b32 s9, s21
	s_cbranch_execnz .LBB166_1060
.LBB166_307:                            ;   in Loop: Header=BB166_3 Depth=1
	s_or_b32 exec_lo, exec_lo, s9
	s_and_saveexec_b32 s9, s4
	s_cbranch_execz .LBB166_309
.LBB166_308:                            ;   in Loop: Header=BB166_3 Depth=1
	ds_load_b64 v[40:41], v48 offset:7808
	ds_load_b64 v[42:43], v1 offset:120
	s_wait_dscnt 0x0
	v_pk_mul_f32 v[82:83], v[42:43], v[40:41] op_sel:[0,1]
	s_delay_alu instid0(VALU_DEP_1) | instskip(SKIP_1) | instid1(VALU_DEP_2)
	v_pk_fma_f32 v[84:85], v[42:43], v[40:41], v[82:83] op_sel:[1,0,0] op_sel_hi:[0,0,1] neg_lo:[0,0,1] neg_hi:[0,0,1]
	v_pk_fma_f32 v[40:41], v[42:43], v[40:41], v[82:83] op_sel:[1,0,0] op_sel_hi:[0,1,1]
	v_mov_b32_e32 v41, v85
	s_delay_alu instid0(VALU_DEP_1)
	v_pk_add_f32 v[38:39], v[38:39], v[40:41]
.LBB166_309:                            ;   in Loop: Header=BB166_3 Depth=1
	s_or_b32 exec_lo, exec_lo, s9
	s_delay_alu instid0(VALU_DEP_1) | instskip(NEXT) | instid1(VALU_DEP_1)
	v_pk_add_f32 v[40:41], v[38:39], 0 neg_lo:[1,1] neg_hi:[1,1]
	v_dual_mov_b32 v38, v41 :: v_dual_mov_b32 v39, v40
.LBB166_310:                            ;   in Loop: Header=BB166_3 Depth=1
	s_or_b32 exec_lo, exec_lo, s70
	v_readlane_b32 s1, v92, 1
	s_and_saveexec_b32 s9, s1
	s_cbranch_execz .LBB166_312
; %bb.311:                              ;   in Loop: Header=BB166_3 Depth=1
	ds_load_b64 v[40:41], v1 offset:8320
	v_dual_mov_b32 v42, v39 :: v_dual_mov_b32 v43, v38
	s_wait_dscnt 0x0
	s_delay_alu instid0(VALU_DEP_1) | instskip(NEXT) | instid1(VALU_DEP_1)
	v_dual_mul_f32 v0, v42, v40 :: v_dual_mul_f32 v82, v39, v41
	v_pk_fma_f32 v[42:43], v[42:43], v[40:41], v[0:1] op_sel_hi:[1,1,0]
	s_delay_alu instid0(VALU_DEP_2) | instskip(NEXT) | instid1(VALU_DEP_2)
	v_pk_fma_f32 v[38:39], v[38:39], v[40:41], v[82:83] op_sel_hi:[1,1,0] neg_lo:[0,0,1] neg_hi:[0,0,1]
	v_mov_b32_e32 v39, v43
	ds_store_b64 v61, v[38:39]
.LBB166_312:                            ;   in Loop: Header=BB166_3 Depth=1
	s_or_b32 exec_lo, exec_lo, s9
	v_readlane_b32 s1, v92, 2
	s_wait_dscnt 0x0
	s_barrier_signal -1
	s_barrier_wait -1
	s_and_saveexec_b32 s9, s1
	s_cbranch_execz .LBB166_314
; %bb.313:                              ;   in Loop: Header=BB166_3 Depth=1
	ds_load_b64 v[40:41], v60 offset:8320
	ds_load_b64 v[42:43], v61
	s_wait_dscnt 0x0
	v_dual_mul_f32 v0, v43, v41 :: v_dual_mul_f32 v83, v42, v41
	s_delay_alu instid0(VALU_DEP_1) | instskip(NEXT) | instid1(VALU_DEP_1)
	v_dual_fma_f32 v82, v42, v40, -v0 :: v_dual_fmac_f32 v83, v43, v40
	v_pk_add_f32 v[38:39], v[38:39], v[82:83]
.LBB166_314:                            ;   in Loop: Header=BB166_3 Depth=1
	s_or_b32 exec_lo, exec_lo, s9
	v_readlane_b32 s1, v92, 3
	s_barrier_signal -1
	s_barrier_wait -1
	s_and_saveexec_b32 s9, s1
	s_cbranch_execz .LBB166_316
; %bb.315:                              ;   in Loop: Header=BB166_3 Depth=1
	ds_load_b64 v[40:41], v1 offset:8840
	s_wait_dscnt 0x0
	v_pk_mul_f32 v[42:43], v[38:39], v[40:41] op_sel:[1,1] op_sel_hi:[1,0]
	s_delay_alu instid0(VALU_DEP_1) | instskip(SKIP_1) | instid1(VALU_DEP_2)
	v_pk_fma_f32 v[82:83], v[38:39], v[40:41], v[42:43] op_sel_hi:[0,1,1]
	v_pk_fma_f32 v[38:39], v[38:39], v[40:41], v[42:43] op_sel_hi:[0,1,1] neg_lo:[0,0,1] neg_hi:[0,0,1]
	v_mov_b32_e32 v39, v83
	ds_store_b64 v61, v[38:39]
.LBB166_316:                            ;   in Loop: Header=BB166_3 Depth=1
	s_or_b32 exec_lo, exec_lo, s9
	v_readlane_b32 s1, v92, 4
	s_wait_dscnt 0x0
	s_barrier_signal -1
	s_barrier_wait -1
	s_and_saveexec_b32 s9, s1
	s_cbranch_execz .LBB166_318
; %bb.317:                              ;   in Loop: Header=BB166_3 Depth=1
	ds_load_b64 v[40:41], v60 offset:8832
	ds_load_b64 v[42:43], v61
	s_wait_dscnt 0x0
	v_pk_mul_f32 v[82:83], v[42:43], v[40:41] op_sel:[1,1] op_sel_hi:[0,1]
	s_delay_alu instid0(VALU_DEP_1) | instskip(SKIP_1) | instid1(VALU_DEP_2)
	v_pk_fma_f32 v[84:85], v[42:43], v[40:41], v[82:83] op_sel_hi:[1,0,1]
	v_pk_fma_f32 v[40:41], v[42:43], v[40:41], v[82:83] op_sel_hi:[1,0,1] neg_lo:[0,0,1] neg_hi:[0,0,1]
	v_mov_b32_e32 v41, v85
	s_delay_alu instid0(VALU_DEP_1)
	v_pk_add_f32 v[38:39], v[38:39], v[40:41]
.LBB166_318:                            ;   in Loop: Header=BB166_3 Depth=1
	s_or_b32 exec_lo, exec_lo, s9
	s_barrier_signal -1
	s_barrier_wait -1
	s_and_saveexec_b32 s9, s68
	s_cbranch_execz .LBB166_320
; %bb.319:                              ;   in Loop: Header=BB166_3 Depth=1
	ds_load_b64 v[40:41], v1 offset:9360
	s_wait_dscnt 0x0
	v_pk_mul_f32 v[42:43], v[38:39], v[40:41] op_sel:[1,1] op_sel_hi:[1,0]
	s_delay_alu instid0(VALU_DEP_1) | instskip(SKIP_1) | instid1(VALU_DEP_2)
	v_pk_fma_f32 v[82:83], v[38:39], v[40:41], v[42:43] op_sel_hi:[0,1,1]
	v_pk_fma_f32 v[38:39], v[38:39], v[40:41], v[42:43] op_sel_hi:[0,1,1] neg_lo:[0,0,1] neg_hi:[0,0,1]
	v_mov_b32_e32 v39, v83
	ds_store_b64 v61, v[38:39]
.LBB166_320:                            ;   in Loop: Header=BB166_3 Depth=1
	s_or_b32 exec_lo, exec_lo, s9
	s_wait_dscnt 0x0
	s_barrier_signal -1
	s_barrier_wait -1
	s_and_saveexec_b32 s9, s69
	s_cbranch_execz .LBB166_322
; %bb.321:                              ;   in Loop: Header=BB166_3 Depth=1
	ds_load_b64 v[40:41], v60 offset:9344
	ds_load_b64 v[42:43], v61
	s_wait_dscnt 0x0
	v_pk_mul_f32 v[82:83], v[42:43], v[40:41] op_sel:[1,1] op_sel_hi:[0,1]
	s_delay_alu instid0(VALU_DEP_1) | instskip(SKIP_1) | instid1(VALU_DEP_2)
	v_pk_fma_f32 v[84:85], v[42:43], v[40:41], v[82:83] op_sel_hi:[1,0,1]
	v_pk_fma_f32 v[40:41], v[42:43], v[40:41], v[82:83] op_sel_hi:[1,0,1] neg_lo:[0,0,1] neg_hi:[0,0,1]
	v_mov_b32_e32 v41, v85
	s_delay_alu instid0(VALU_DEP_1)
	v_pk_add_f32 v[38:39], v[38:39], v[40:41]
.LBB166_322:                            ;   in Loop: Header=BB166_3 Depth=1
	s_or_b32 exec_lo, exec_lo, s9
	s_barrier_signal -1
	s_barrier_wait -1
	s_and_saveexec_b32 s9, s11
	s_cbranch_execz .LBB166_324
; %bb.323:                              ;   in Loop: Header=BB166_3 Depth=1
	ds_load_b64 v[40:41], v1 offset:9880
	s_wait_dscnt 0x0
	v_pk_mul_f32 v[42:43], v[38:39], v[40:41] op_sel:[1,1] op_sel_hi:[1,0]
	s_delay_alu instid0(VALU_DEP_1) | instskip(SKIP_1) | instid1(VALU_DEP_2)
	v_pk_fma_f32 v[82:83], v[38:39], v[40:41], v[42:43] op_sel_hi:[0,1,1]
	v_pk_fma_f32 v[38:39], v[38:39], v[40:41], v[42:43] op_sel_hi:[0,1,1] neg_lo:[0,0,1] neg_hi:[0,0,1]
	v_mov_b32_e32 v39, v83
	ds_store_b64 v61, v[38:39]
.LBB166_324:                            ;   in Loop: Header=BB166_3 Depth=1
	s_or_b32 exec_lo, exec_lo, s9
	s_wait_dscnt 0x0
	s_barrier_signal -1
	s_barrier_wait -1
	s_and_saveexec_b32 s9, s23
	s_cbranch_execz .LBB166_326
; %bb.325:                              ;   in Loop: Header=BB166_3 Depth=1
	ds_load_b64 v[40:41], v60 offset:9856
	ds_load_b64 v[42:43], v61
	s_wait_dscnt 0x0
	v_pk_mul_f32 v[82:83], v[42:43], v[40:41] op_sel:[1,1] op_sel_hi:[0,1]
	s_delay_alu instid0(VALU_DEP_1) | instskip(SKIP_1) | instid1(VALU_DEP_2)
	v_pk_fma_f32 v[84:85], v[42:43], v[40:41], v[82:83] op_sel_hi:[1,0,1]
	v_pk_fma_f32 v[40:41], v[42:43], v[40:41], v[82:83] op_sel_hi:[1,0,1] neg_lo:[0,0,1] neg_hi:[0,0,1]
	v_mov_b32_e32 v41, v85
	s_delay_alu instid0(VALU_DEP_1)
	v_pk_add_f32 v[38:39], v[38:39], v[40:41]
.LBB166_326:                            ;   in Loop: Header=BB166_3 Depth=1
	s_or_b32 exec_lo, exec_lo, s9
	s_barrier_signal -1
	s_barrier_wait -1
	s_and_saveexec_b32 s9, s25
	s_cbranch_execz .LBB166_328
; %bb.327:                              ;   in Loop: Header=BB166_3 Depth=1
	ds_load_b64 v[40:41], v1 offset:10400
	s_wait_dscnt 0x0
	v_dual_mul_f32 v0, v38, v41 :: v_dual_mul_f32 v42, v39, v41
	s_delay_alu instid0(VALU_DEP_1) | instskip(NEXT) | instid1(VALU_DEP_2)
	v_pk_fma_f32 v[82:83], v[38:39], v[40:41], v[0:1] op_sel:[0,1,0] op_sel_hi:[1,0,0]
	v_pk_fma_f32 v[40:41], v[38:39], v[40:41], v[42:43] op_sel_hi:[1,1,0] neg_lo:[0,0,1] neg_hi:[0,0,1]
	s_delay_alu instid0(VALU_DEP_2) | instskip(NEXT) | instid1(VALU_DEP_1)
	v_mov_b32_e32 v41, v83
	v_mov_b64_e32 v[38:39], v[40:41]
	ds_store_b64 v61, v[40:41]
.LBB166_328:                            ;   in Loop: Header=BB166_3 Depth=1
	s_or_b32 exec_lo, exec_lo, s9
	s_wait_dscnt 0x0
	s_barrier_signal -1
	s_barrier_wait -1
	s_and_saveexec_b32 s9, s27
	s_cbranch_execz .LBB166_330
; %bb.329:                              ;   in Loop: Header=BB166_3 Depth=1
	ds_load_b64 v[40:41], v60 offset:10368
	ds_load_b64 v[42:43], v61
	s_wait_dscnt 0x0
	v_dual_mul_f32 v0, v43, v41 :: v_dual_mul_f32 v83, v42, v41
	s_delay_alu instid0(VALU_DEP_1) | instskip(NEXT) | instid1(VALU_DEP_1)
	v_dual_fma_f32 v82, v42, v40, -v0 :: v_dual_fmac_f32 v83, v43, v40
	v_pk_add_f32 v[38:39], v[38:39], v[82:83]
.LBB166_330:                            ;   in Loop: Header=BB166_3 Depth=1
	s_or_b32 exec_lo, exec_lo, s9
	s_barrier_signal -1
	s_barrier_wait -1
	s_and_saveexec_b32 s9, s29
	s_cbranch_execz .LBB166_332
; %bb.331:                              ;   in Loop: Header=BB166_3 Depth=1
	ds_load_b64 v[40:41], v1 offset:10920
	s_wait_dscnt 0x0
	v_pk_mul_f32 v[42:43], v[38:39], v[40:41] op_sel:[1,1] op_sel_hi:[1,0]
	s_delay_alu instid0(VALU_DEP_1) | instskip(SKIP_1) | instid1(VALU_DEP_2)
	v_pk_fma_f32 v[82:83], v[38:39], v[40:41], v[42:43] op_sel_hi:[0,1,1]
	v_pk_fma_f32 v[38:39], v[38:39], v[40:41], v[42:43] op_sel_hi:[0,1,1] neg_lo:[0,0,1] neg_hi:[0,0,1]
	v_mov_b32_e32 v39, v83
	ds_store_b64 v61, v[38:39]
.LBB166_332:                            ;   in Loop: Header=BB166_3 Depth=1
	s_or_b32 exec_lo, exec_lo, s9
	s_wait_dscnt 0x0
	s_barrier_signal -1
	s_barrier_wait -1
	s_and_saveexec_b32 s9, s31
	s_cbranch_execz .LBB166_334
; %bb.333:                              ;   in Loop: Header=BB166_3 Depth=1
	ds_load_b64 v[40:41], v60 offset:10880
	ds_load_b64 v[42:43], v61
	s_wait_dscnt 0x0
	v_pk_mul_f32 v[82:83], v[42:43], v[40:41] op_sel:[1,1] op_sel_hi:[0,1]
	s_delay_alu instid0(VALU_DEP_1) | instskip(SKIP_1) | instid1(VALU_DEP_2)
	v_pk_fma_f32 v[84:85], v[42:43], v[40:41], v[82:83] op_sel_hi:[1,0,1]
	v_pk_fma_f32 v[40:41], v[42:43], v[40:41], v[82:83] op_sel_hi:[1,0,1] neg_lo:[0,0,1] neg_hi:[0,0,1]
	v_mov_b32_e32 v41, v85
	s_delay_alu instid0(VALU_DEP_1)
	v_pk_add_f32 v[38:39], v[38:39], v[40:41]
.LBB166_334:                            ;   in Loop: Header=BB166_3 Depth=1
	s_or_b32 exec_lo, exec_lo, s9
	s_barrier_signal -1
	s_barrier_wait -1
	s_and_saveexec_b32 s9, s34
	s_cbranch_execz .LBB166_336
; %bb.335:                              ;   in Loop: Header=BB166_3 Depth=1
	ds_load_b64 v[40:41], v1 offset:11440
	s_wait_dscnt 0x0
	v_pk_mul_f32 v[42:43], v[38:39], v[40:41] op_sel:[1,1] op_sel_hi:[1,0]
	s_delay_alu instid0(VALU_DEP_1) | instskip(SKIP_1) | instid1(VALU_DEP_2)
	v_pk_fma_f32 v[82:83], v[38:39], v[40:41], v[42:43] op_sel_hi:[0,1,1]
	v_pk_fma_f32 v[38:39], v[38:39], v[40:41], v[42:43] op_sel_hi:[0,1,1] neg_lo:[0,0,1] neg_hi:[0,0,1]
	v_mov_b32_e32 v39, v83
	ds_store_b64 v61, v[38:39]
.LBB166_336:                            ;   in Loop: Header=BB166_3 Depth=1
	s_or_b32 exec_lo, exec_lo, s9
	s_wait_dscnt 0x0
	s_barrier_signal -1
	s_barrier_wait -1
	s_and_saveexec_b32 s9, s38
	s_cbranch_execz .LBB166_338
; %bb.337:                              ;   in Loop: Header=BB166_3 Depth=1
	ds_load_b64 v[40:41], v60 offset:11392
	ds_load_b64 v[42:43], v61
	s_wait_dscnt 0x0
	v_pk_mul_f32 v[82:83], v[42:43], v[40:41] op_sel:[1,1] op_sel_hi:[0,1]
	s_delay_alu instid0(VALU_DEP_1) | instskip(SKIP_1) | instid1(VALU_DEP_2)
	v_pk_fma_f32 v[84:85], v[42:43], v[40:41], v[82:83] op_sel_hi:[1,0,1]
	v_pk_fma_f32 v[40:41], v[42:43], v[40:41], v[82:83] op_sel_hi:[1,0,1] neg_lo:[0,0,1] neg_hi:[0,0,1]
	v_mov_b32_e32 v41, v85
	s_delay_alu instid0(VALU_DEP_1)
	v_pk_add_f32 v[38:39], v[38:39], v[40:41]
.LBB166_338:                            ;   in Loop: Header=BB166_3 Depth=1
	;; [unrolled: 33-line block ×3, first 2 shown]
	s_or_b32 exec_lo, exec_lo, s9
	s_barrier_signal -1
	s_barrier_wait -1
	s_and_saveexec_b32 s9, s41
	s_cbranch_execz .LBB166_344
; %bb.343:                              ;   in Loop: Header=BB166_3 Depth=1
	ds_load_b64 v[40:41], v1 offset:12480
	s_wait_dscnt 0x0
	v_dual_mul_f32 v0, v38, v41 :: v_dual_mul_f32 v42, v39, v41
	s_delay_alu instid0(VALU_DEP_1) | instskip(NEXT) | instid1(VALU_DEP_2)
	v_pk_fma_f32 v[82:83], v[38:39], v[40:41], v[0:1] op_sel:[0,1,0] op_sel_hi:[1,0,0]
	v_pk_fma_f32 v[40:41], v[38:39], v[40:41], v[42:43] op_sel_hi:[1,1,0] neg_lo:[0,0,1] neg_hi:[0,0,1]
	s_delay_alu instid0(VALU_DEP_2) | instskip(NEXT) | instid1(VALU_DEP_1)
	v_mov_b32_e32 v41, v83
	v_mov_b64_e32 v[38:39], v[40:41]
	ds_store_b64 v61, v[40:41]
.LBB166_344:                            ;   in Loop: Header=BB166_3 Depth=1
	s_or_b32 exec_lo, exec_lo, s9
	s_wait_dscnt 0x0
	s_barrier_signal -1
	s_barrier_wait -1
	s_and_saveexec_b32 s9, s42
	s_cbranch_execz .LBB166_346
; %bb.345:                              ;   in Loop: Header=BB166_3 Depth=1
	ds_load_b64 v[40:41], v60 offset:12416
	ds_load_b64 v[42:43], v61
	s_wait_dscnt 0x0
	v_dual_mul_f32 v0, v43, v41 :: v_dual_mul_f32 v83, v42, v41
	s_delay_alu instid0(VALU_DEP_1) | instskip(NEXT) | instid1(VALU_DEP_1)
	v_dual_fma_f32 v82, v42, v40, -v0 :: v_dual_fmac_f32 v83, v43, v40
	v_pk_add_f32 v[38:39], v[38:39], v[82:83]
.LBB166_346:                            ;   in Loop: Header=BB166_3 Depth=1
	s_or_b32 exec_lo, exec_lo, s9
	s_barrier_signal -1
	s_barrier_wait -1
	s_and_saveexec_b32 s9, s90
	s_cbranch_execz .LBB166_348
; %bb.347:                              ;   in Loop: Header=BB166_3 Depth=1
	ds_load_b64 v[40:41], v1 offset:13000
	s_wait_dscnt 0x0
	v_pk_mul_f32 v[42:43], v[38:39], v[40:41] op_sel:[1,1] op_sel_hi:[1,0]
	s_delay_alu instid0(VALU_DEP_1) | instskip(SKIP_1) | instid1(VALU_DEP_2)
	v_pk_fma_f32 v[82:83], v[38:39], v[40:41], v[42:43] op_sel_hi:[0,1,1]
	v_pk_fma_f32 v[38:39], v[38:39], v[40:41], v[42:43] op_sel_hi:[0,1,1] neg_lo:[0,0,1] neg_hi:[0,0,1]
	v_mov_b32_e32 v39, v83
	ds_store_b64 v61, v[38:39]
.LBB166_348:                            ;   in Loop: Header=BB166_3 Depth=1
	s_or_b32 exec_lo, exec_lo, s9
	s_wait_dscnt 0x0
	s_barrier_signal -1
	s_barrier_wait -1
	s_and_saveexec_b32 s9, s91
	s_cbranch_execz .LBB166_350
; %bb.349:                              ;   in Loop: Header=BB166_3 Depth=1
	ds_load_b64 v[40:41], v60 offset:12928
	ds_load_b64 v[42:43], v61
	s_wait_dscnt 0x0
	v_pk_mul_f32 v[82:83], v[42:43], v[40:41] op_sel:[1,1] op_sel_hi:[0,1]
	s_delay_alu instid0(VALU_DEP_1) | instskip(SKIP_1) | instid1(VALU_DEP_2)
	v_pk_fma_f32 v[84:85], v[42:43], v[40:41], v[82:83] op_sel_hi:[1,0,1]
	v_pk_fma_f32 v[40:41], v[42:43], v[40:41], v[82:83] op_sel_hi:[1,0,1] neg_lo:[0,0,1] neg_hi:[0,0,1]
	v_mov_b32_e32 v41, v85
	s_delay_alu instid0(VALU_DEP_1)
	v_pk_add_f32 v[38:39], v[38:39], v[40:41]
.LBB166_350:                            ;   in Loop: Header=BB166_3 Depth=1
	s_or_b32 exec_lo, exec_lo, s9
	s_barrier_signal -1
	s_barrier_wait -1
	s_and_saveexec_b32 s9, s84
	s_cbranch_execz .LBB166_352
; %bb.351:                              ;   in Loop: Header=BB166_3 Depth=1
	ds_load_b64 v[40:41], v1 offset:13520
	s_wait_dscnt 0x0
	v_pk_mul_f32 v[42:43], v[38:39], v[40:41] op_sel:[1,1] op_sel_hi:[1,0]
	s_delay_alu instid0(VALU_DEP_1) | instskip(SKIP_1) | instid1(VALU_DEP_2)
	v_pk_fma_f32 v[82:83], v[38:39], v[40:41], v[42:43] op_sel_hi:[0,1,1]
	v_pk_fma_f32 v[38:39], v[38:39], v[40:41], v[42:43] op_sel_hi:[0,1,1] neg_lo:[0,0,1] neg_hi:[0,0,1]
	v_mov_b32_e32 v39, v83
	ds_store_b64 v61, v[38:39]
.LBB166_352:                            ;   in Loop: Header=BB166_3 Depth=1
	s_or_b32 exec_lo, exec_lo, s9
	s_wait_dscnt 0x0
	s_barrier_signal -1
	s_barrier_wait -1
	s_and_saveexec_b32 s9, s85
	s_cbranch_execz .LBB166_354
; %bb.353:                              ;   in Loop: Header=BB166_3 Depth=1
	ds_load_b64 v[40:41], v60 offset:13440
	ds_load_b64 v[42:43], v61
	s_wait_dscnt 0x0
	v_pk_mul_f32 v[82:83], v[42:43], v[40:41] op_sel:[1,1] op_sel_hi:[0,1]
	s_delay_alu instid0(VALU_DEP_1) | instskip(SKIP_1) | instid1(VALU_DEP_2)
	v_pk_fma_f32 v[84:85], v[42:43], v[40:41], v[82:83] op_sel_hi:[1,0,1]
	v_pk_fma_f32 v[40:41], v[42:43], v[40:41], v[82:83] op_sel_hi:[1,0,1] neg_lo:[0,0,1] neg_hi:[0,0,1]
	v_mov_b32_e32 v41, v85
	s_delay_alu instid0(VALU_DEP_1)
	v_pk_add_f32 v[38:39], v[38:39], v[40:41]
.LBB166_354:                            ;   in Loop: Header=BB166_3 Depth=1
	s_or_b32 exec_lo, exec_lo, s9
	s_barrier_signal -1
	s_barrier_wait -1
	s_and_saveexec_b32 s9, s24
	s_cbranch_execz .LBB166_356
; %bb.355:                              ;   in Loop: Header=BB166_3 Depth=1
	ds_load_b64 v[40:41], v1 offset:14040
	s_wait_dscnt 0x0
	v_pk_mul_f32 v[42:43], v[38:39], v[40:41] op_sel:[1,1] op_sel_hi:[1,0]
	s_delay_alu instid0(VALU_DEP_1) | instskip(SKIP_1) | instid1(VALU_DEP_2)
	v_pk_fma_f32 v[82:83], v[38:39], v[40:41], v[42:43] op_sel_hi:[0,1,1]
	v_pk_fma_f32 v[38:39], v[38:39], v[40:41], v[42:43] op_sel_hi:[0,1,1] neg_lo:[0,0,1] neg_hi:[0,0,1]
	v_mov_b32_e32 v39, v83
	ds_store_b64 v61, v[38:39]
.LBB166_356:                            ;   in Loop: Header=BB166_3 Depth=1
	s_or_b32 exec_lo, exec_lo, s9
	s_wait_dscnt 0x0
	s_barrier_signal -1
	s_barrier_wait -1
	s_and_saveexec_b32 s9, s26
	s_cbranch_execz .LBB166_358
; %bb.357:                              ;   in Loop: Header=BB166_3 Depth=1
	ds_load_b64 v[40:41], v60 offset:13952
	ds_load_b64 v[42:43], v61
	s_wait_dscnt 0x0
	v_pk_mul_f32 v[82:83], v[42:43], v[40:41] op_sel:[1,1] op_sel_hi:[0,1]
	s_delay_alu instid0(VALU_DEP_1) | instskip(SKIP_1) | instid1(VALU_DEP_2)
	v_pk_fma_f32 v[84:85], v[42:43], v[40:41], v[82:83] op_sel_hi:[1,0,1]
	v_pk_fma_f32 v[40:41], v[42:43], v[40:41], v[82:83] op_sel_hi:[1,0,1] neg_lo:[0,0,1] neg_hi:[0,0,1]
	v_mov_b32_e32 v41, v85
	s_delay_alu instid0(VALU_DEP_1)
	v_pk_add_f32 v[38:39], v[38:39], v[40:41]
.LBB166_358:                            ;   in Loop: Header=BB166_3 Depth=1
	s_or_b32 exec_lo, exec_lo, s9
	s_barrier_signal -1
	s_barrier_wait -1
	s_and_saveexec_b32 s9, s28
	s_cbranch_execz .LBB166_360
; %bb.359:                              ;   in Loop: Header=BB166_3 Depth=1
	ds_load_b64 v[40:41], v1 offset:14560
	s_wait_dscnt 0x0
	v_dual_mul_f32 v0, v38, v41 :: v_dual_mul_f32 v42, v39, v41
	s_delay_alu instid0(VALU_DEP_1) | instskip(NEXT) | instid1(VALU_DEP_2)
	v_pk_fma_f32 v[82:83], v[38:39], v[40:41], v[0:1] op_sel:[0,1,0] op_sel_hi:[1,0,0]
	v_pk_fma_f32 v[40:41], v[38:39], v[40:41], v[42:43] op_sel_hi:[1,1,0] neg_lo:[0,0,1] neg_hi:[0,0,1]
	s_delay_alu instid0(VALU_DEP_2) | instskip(NEXT) | instid1(VALU_DEP_1)
	v_mov_b32_e32 v41, v83
	v_mov_b64_e32 v[38:39], v[40:41]
	ds_store_b64 v61, v[40:41]
.LBB166_360:                            ;   in Loop: Header=BB166_3 Depth=1
	s_or_b32 exec_lo, exec_lo, s9
	s_wait_dscnt 0x0
	s_barrier_signal -1
	s_barrier_wait -1
	s_and_saveexec_b32 s9, s10
	s_cbranch_execz .LBB166_362
; %bb.361:                              ;   in Loop: Header=BB166_3 Depth=1
	ds_load_b64 v[40:41], v60 offset:14464
	ds_load_b64 v[42:43], v61
	s_wait_dscnt 0x0
	v_dual_mul_f32 v0, v43, v41 :: v_dual_mul_f32 v83, v42, v41
	s_delay_alu instid0(VALU_DEP_1) | instskip(NEXT) | instid1(VALU_DEP_1)
	v_dual_fma_f32 v82, v42, v40, -v0 :: v_dual_fmac_f32 v83, v43, v40
	v_pk_add_f32 v[38:39], v[38:39], v[82:83]
.LBB166_362:                            ;   in Loop: Header=BB166_3 Depth=1
	s_or_b32 exec_lo, exec_lo, s9
	s_barrier_signal -1
	s_barrier_wait -1
	s_and_saveexec_b32 s9, s30
	s_cbranch_execz .LBB166_364
; %bb.363:                              ;   in Loop: Header=BB166_3 Depth=1
	ds_load_b64 v[40:41], v1 offset:15080
	s_wait_dscnt 0x0
	v_pk_mul_f32 v[42:43], v[38:39], v[40:41] op_sel:[1,1] op_sel_hi:[1,0]
	s_delay_alu instid0(VALU_DEP_1) | instskip(SKIP_1) | instid1(VALU_DEP_2)
	v_pk_fma_f32 v[82:83], v[38:39], v[40:41], v[42:43] op_sel_hi:[0,1,1]
	v_pk_fma_f32 v[40:41], v[38:39], v[40:41], v[42:43] neg_lo:[0,0,1] neg_hi:[0,0,1]
	v_mov_b32_e32 v41, v83
	s_delay_alu instid0(VALU_DEP_1)
	v_mov_b64_e32 v[38:39], v[40:41]
	ds_store_b64 v61, v[40:41]
.LBB166_364:                            ;   in Loop: Header=BB166_3 Depth=1
	s_or_b32 exec_lo, exec_lo, s9
	s_wait_dscnt 0x0
	s_barrier_signal -1
	s_barrier_wait -1
	s_and_saveexec_b32 s9, s33
	s_cbranch_execz .LBB166_366
; %bb.365:                              ;   in Loop: Header=BB166_3 Depth=1
	ds_load_b64 v[40:41], v60 offset:14976
	ds_load_b64 v[42:43], v61
	s_wait_dscnt 0x0
	v_pk_mul_f32 v[82:83], v[42:43], v[40:41] op_sel:[1,1] op_sel_hi:[0,1]
	s_delay_alu instid0(VALU_DEP_1) | instskip(SKIP_1) | instid1(VALU_DEP_2)
	v_pk_fma_f32 v[84:85], v[42:43], v[40:41], v[82:83] op_sel_hi:[1,0,1]
	v_pk_fma_f32 v[40:41], v[42:43], v[40:41], v[82:83] neg_lo:[0,0,1] neg_hi:[0,0,1]
	v_mov_b32_e32 v41, v85
	s_delay_alu instid0(VALU_DEP_1)
	v_pk_add_f32 v[38:39], v[38:39], v[40:41]
.LBB166_366:                            ;   in Loop: Header=BB166_3 Depth=1
	s_or_b32 exec_lo, exec_lo, s9
	s_barrier_signal -1
	s_barrier_wait -1
	s_and_saveexec_b32 s9, s102
	s_cbranch_execz .LBB166_368
; %bb.367:                              ;   in Loop: Header=BB166_3 Depth=1
	ds_load_b64 v[40:41], v1 offset:15600
	s_wait_dscnt 0x0
	v_pk_mul_f32 v[42:43], v[38:39], v[40:41] op_sel:[1,1] op_sel_hi:[1,0]
	s_delay_alu instid0(VALU_DEP_1) | instskip(SKIP_1) | instid1(VALU_DEP_2)
	v_pk_fma_f32 v[82:83], v[38:39], v[40:41], v[42:43] op_sel_hi:[0,1,1]
	v_pk_fma_f32 v[40:41], v[38:39], v[40:41], v[42:43] neg_lo:[0,0,1] neg_hi:[0,0,1]
	v_mov_b32_e32 v41, v83
	s_delay_alu instid0(VALU_DEP_1)
	v_mov_b64_e32 v[38:39], v[40:41]
	ds_store_b64 v61, v[40:41]
.LBB166_368:                            ;   in Loop: Header=BB166_3 Depth=1
	s_or_b32 exec_lo, exec_lo, s9
	s_wait_dscnt 0x0
	s_barrier_signal -1
	s_barrier_wait -1
	s_and_saveexec_b32 s9, s64
	s_cbranch_execz .LBB166_370
; %bb.369:                              ;   in Loop: Header=BB166_3 Depth=1
	ds_load_b64 v[40:41], v1 offset:15608
	ds_load_b64 v[42:43], v61
	s_wait_dscnt 0x0
	v_pk_mul_f32 v[82:83], v[42:43], v[40:41] op_sel:[1,1] op_sel_hi:[0,1]
	s_delay_alu instid0(VALU_DEP_1) | instskip(SKIP_1) | instid1(VALU_DEP_2)
	v_pk_fma_f32 v[84:85], v[42:43], v[40:41], v[82:83] op_sel_hi:[1,0,1]
	v_pk_fma_f32 v[40:41], v[42:43], v[40:41], v[82:83] neg_lo:[0,0,1] neg_hi:[0,0,1]
	v_mov_b32_e32 v41, v85
	s_delay_alu instid0(VALU_DEP_1)
	v_pk_add_f32 v[38:39], v[38:39], v[40:41]
.LBB166_370:                            ;   in Loop: Header=BB166_3 Depth=1
	s_or_b32 exec_lo, exec_lo, s9
	s_barrier_signal -1
	s_barrier_wait -1
	s_and_saveexec_b32 s9, s64
	s_cbranch_execz .LBB166_372
; %bb.371:                              ;   in Loop: Header=BB166_3 Depth=1
	ds_load_b64 v[40:41], v1 offset:16120
	s_wait_dscnt 0x0
	v_pk_mul_f32 v[42:43], v[38:39], v[40:41] op_sel:[1,1] op_sel_hi:[1,0]
	s_delay_alu instid0(VALU_DEP_1) | instskip(SKIP_1) | instid1(VALU_DEP_2)
	v_pk_fma_f32 v[82:83], v[38:39], v[40:41], v[42:43] op_sel_hi:[0,1,1]
	v_pk_fma_f32 v[40:41], v[38:39], v[40:41], v[42:43] neg_lo:[0,0,1] neg_hi:[0,0,1]
	v_mov_b32_e32 v41, v83
	s_delay_alu instid0(VALU_DEP_1)
	v_mov_b64_e32 v[38:39], v[40:41]
	ds_store_b64 v61, v[40:41]
.LBB166_372:                            ;   in Loop: Header=BB166_3 Depth=1
	s_or_b32 exec_lo, exec_lo, s9
	s_wait_dscnt 0x0
	s_barrier_signal -1
	s_barrier_wait -1
	s_barrier_signal -1
	s_barrier_wait -1
	s_and_saveexec_b32 s9, s6
; %bb.373:                              ;   in Loop: Header=BB166_3 Depth=1
	v_pk_add_f32 v[38:39], v[38:39], 0 neg_lo:[1,1] neg_hi:[1,1]
	ds_store_b64 v62, v[38:39] offset:128
; %bb.374:                              ;   in Loop: Header=BB166_3 Depth=1
	s_or_b32 exec_lo, exec_lo, s9
	s_wait_dscnt 0x0
	s_barrier_signal -1
	s_barrier_wait -1
	s_barrier_signal -1
	s_barrier_wait -1
	s_and_saveexec_b32 s13, s14
	s_cbranch_execz .LBB166_376
; %bb.375:                              ;   in Loop: Header=BB166_3 Depth=1
	ds_load_b128 v[38:41], v1 offset:8320
	ds_load_b64 v[42:43], v1 offset:8840
	s_wait_dscnt 0x1
	v_dual_mov_b32 v82, v41 :: v_dual_mov_b32 v83, v40
	s_wait_dscnt 0x0
	v_dual_mul_f32 v81, v43, v39 :: v_dual_mul_f32 v0, v42, v39
	s_delay_alu instid0(VALU_DEP_1) | instskip(NEXT) | instid1(VALU_DEP_2)
	v_xor_b32_e32 v84, 0x80000000, v81
	v_fmac_f32_e32 v0, v43, v38
	s_delay_alu instid0(VALU_DEP_2) | instskip(NEXT) | instid1(VALU_DEP_2)
	v_fmac_f32_e32 v84, v42, v38
	v_pk_mul_f32 v[38:39], v[0:1], v[82:83] op_sel_hi:[0,1]
	s_delay_alu instid0(VALU_DEP_1) | instskip(SKIP_1) | instid1(VALU_DEP_2)
	v_pk_fma_f32 v[42:43], v[84:85], v[40:41], v[38:39] op_sel_hi:[0,1,1]
	v_pk_fma_f32 v[38:39], v[84:85], v[40:41], v[38:39] neg_lo:[0,0,1] neg_hi:[0,0,1]
	v_mov_b32_e32 v39, v43
	ds_store_b64 v1, v[38:39] offset:8328
.LBB166_376:                            ;   in Loop: Header=BB166_3 Depth=1
	s_or_b32 exec_lo, exec_lo, s13
	v_mov_b32_e32 v39, 0
	s_wait_dscnt 0x0
	s_barrier_signal -1
	s_barrier_wait -1
	s_delay_alu instid0(VALU_DEP_1)
	v_mov_b32_e32 v38, v39
	s_and_saveexec_b32 s13, s3
	s_cbranch_execz .LBB166_380
; %bb.377:                              ;   in Loop: Header=BB166_3 Depth=1
	ds_load_b64 v[38:39], v46 offset:8336
	ds_load_b64 v[40:41], v47 offset:8320
	s_wait_dscnt 0x0
	v_dual_mul_f32 v0, v41, v39 :: v_dual_mul_f32 v43, v40, v39
	s_delay_alu instid0(VALU_DEP_1) | instskip(NEXT) | instid1(VALU_DEP_1)
	v_dual_fma_f32 v42, v40, v38, -v0 :: v_dual_fmac_f32 v43, v41, v38
	v_pk_add_f32 v[38:39], v[42:43], 0 op_sel_hi:[1,0]
	s_and_saveexec_b32 s9, s15
	s_cbranch_execz .LBB166_379
; %bb.378:                              ;   in Loop: Header=BB166_3 Depth=1
	ds_load_b64 v[40:41], v48 offset:8848
	ds_load_b64 v[42:43], v1 offset:8328
	s_wait_dscnt 0x0
	v_pk_mul_f32 v[82:83], v[42:43], v[40:41] op_sel:[1,1] op_sel_hi:[0,1]
	s_delay_alu instid0(VALU_DEP_1) | instskip(SKIP_1) | instid1(VALU_DEP_2)
	v_pk_fma_f32 v[84:85], v[42:43], v[40:41], v[82:83] op_sel_hi:[1,0,1]
	v_pk_fma_f32 v[40:41], v[42:43], v[40:41], v[82:83] neg_lo:[0,0,1] neg_hi:[0,0,1]
	v_mov_b32_e32 v41, v85
	s_delay_alu instid0(VALU_DEP_1)
	v_pk_add_f32 v[38:39], v[38:39], v[40:41]
.LBB166_379:                            ;   in Loop: Header=BB166_3 Depth=1
	s_or_b32 exec_lo, exec_lo, s9
	s_delay_alu instid0(VALU_DEP_1)
	v_pk_add_f32 v[38:39], v[38:39], 0 neg_lo:[1,1] neg_hi:[1,1]
.LBB166_380:                            ;   in Loop: Header=BB166_3 Depth=1
	s_or_b32 exec_lo, exec_lo, s13
	s_and_saveexec_b32 s9, vcc_hi
	s_cbranch_execz .LBB166_382
; %bb.381:                              ;   in Loop: Header=BB166_3 Depth=1
	ds_load_b64 v[40:41], v1 offset:9360
	s_wait_dscnt 0x0
	v_pk_mul_f32 v[42:43], v[38:39], v[40:41] op_sel:[1,1] op_sel_hi:[1,0]
	s_delay_alu instid0(VALU_DEP_1) | instskip(SKIP_1) | instid1(VALU_DEP_2)
	v_pk_fma_f32 v[82:83], v[38:39], v[40:41], v[42:43] op_sel_hi:[0,1,1]
	v_pk_fma_f32 v[40:41], v[38:39], v[40:41], v[42:43] neg_lo:[0,0,1] neg_hi:[0,0,1]
	v_mov_b32_e32 v41, v83
	s_delay_alu instid0(VALU_DEP_1)
	v_mov_b64_e32 v[38:39], v[40:41]
	ds_store_b64 v3, v[40:41]
.LBB166_382:                            ;   in Loop: Header=BB166_3 Depth=1
	s_or_b32 exec_lo, exec_lo, s9
	s_wait_dscnt 0x0
	s_barrier_signal -1
	s_barrier_wait -1
	s_and_saveexec_b32 s9, s43
	s_cbranch_execz .LBB166_384
; %bb.383:                              ;   in Loop: Header=BB166_3 Depth=1
	ds_load_b64 v[40:41], v1 offset:9368
	ds_load_b64 v[42:43], v3
	s_wait_dscnt 0x0
	v_pk_mul_f32 v[82:83], v[42:43], v[40:41] op_sel:[1,1] op_sel_hi:[0,1]
	s_delay_alu instid0(VALU_DEP_1) | instskip(SKIP_1) | instid1(VALU_DEP_2)
	v_pk_fma_f32 v[84:85], v[42:43], v[40:41], v[82:83] op_sel_hi:[1,0,1]
	v_pk_fma_f32 v[40:41], v[42:43], v[40:41], v[82:83] neg_lo:[0,0,1] neg_hi:[0,0,1]
	v_mov_b32_e32 v41, v85
	s_delay_alu instid0(VALU_DEP_1)
	v_pk_add_f32 v[38:39], v[38:39], v[40:41]
.LBB166_384:                            ;   in Loop: Header=BB166_3 Depth=1
	s_or_b32 exec_lo, exec_lo, s9
	s_barrier_signal -1
	s_barrier_wait -1
	s_and_saveexec_b32 s9, s43
	s_cbranch_execz .LBB166_386
; %bb.385:                              ;   in Loop: Header=BB166_3 Depth=1
	ds_load_b64 v[40:41], v1 offset:9880
	s_wait_dscnt 0x0
	v_pk_mul_f32 v[42:43], v[38:39], v[40:41] op_sel:[1,1] op_sel_hi:[1,0]
	s_delay_alu instid0(VALU_DEP_1) | instskip(SKIP_1) | instid1(VALU_DEP_2)
	v_pk_fma_f32 v[82:83], v[38:39], v[40:41], v[42:43] op_sel_hi:[0,1,1]
	v_pk_fma_f32 v[40:41], v[38:39], v[40:41], v[42:43] neg_lo:[0,0,1] neg_hi:[0,0,1]
	v_mov_b32_e32 v41, v83
	s_delay_alu instid0(VALU_DEP_1)
	v_mov_b64_e32 v[38:39], v[40:41]
	ds_store_b64 v3, v[40:41]
.LBB166_386:                            ;   in Loop: Header=BB166_3 Depth=1
	s_or_b32 exec_lo, exec_lo, s9
	s_wait_dscnt 0x0
	s_barrier_signal -1
	s_barrier_wait -1
	s_barrier_signal -1
	s_barrier_wait -1
	s_and_saveexec_b32 s9, s3
; %bb.387:                              ;   in Loop: Header=BB166_3 Depth=1
	v_pk_add_f32 v[38:39], v[38:39], 0 neg_lo:[1,1] neg_hi:[1,1]
	ds_store_b64 v46, v[38:39] offset:8336
; %bb.388:                              ;   in Loop: Header=BB166_3 Depth=1
	s_or_b32 exec_lo, exec_lo, s9
	s_wait_dscnt 0x0
	s_barrier_signal -1
	s_barrier_wait -1
	s_barrier_signal -1
	s_barrier_wait -1
	s_and_saveexec_b32 s13, s14
	s_cbranch_execz .LBB166_390
; %bb.389:                              ;   in Loop: Header=BB166_3 Depth=1
	ds_load_b128 v[38:41], v1 offset:9360
	ds_load_b64 v[42:43], v1 offset:9880
	s_wait_dscnt 0x1
	v_dual_mov_b32 v82, v41 :: v_dual_mov_b32 v83, v40
	s_wait_dscnt 0x0
	v_dual_mul_f32 v81, v43, v39 :: v_dual_mul_f32 v0, v42, v39
	s_delay_alu instid0(VALU_DEP_1) | instskip(NEXT) | instid1(VALU_DEP_2)
	v_xor_b32_e32 v84, 0x80000000, v81
	v_fmac_f32_e32 v0, v43, v38
	s_delay_alu instid0(VALU_DEP_2) | instskip(NEXT) | instid1(VALU_DEP_2)
	v_fmac_f32_e32 v84, v42, v38
	v_pk_mul_f32 v[38:39], v[0:1], v[82:83] op_sel_hi:[0,1]
	s_delay_alu instid0(VALU_DEP_1) | instskip(SKIP_1) | instid1(VALU_DEP_2)
	v_pk_fma_f32 v[42:43], v[84:85], v[40:41], v[38:39] op_sel_hi:[0,1,1]
	v_pk_fma_f32 v[38:39], v[84:85], v[40:41], v[38:39] neg_lo:[0,0,1] neg_hi:[0,0,1]
	v_mov_b32_e32 v39, v43
	ds_store_b64 v1, v[38:39] offset:9368
.LBB166_390:                            ;   in Loop: Header=BB166_3 Depth=1
	s_or_b32 exec_lo, exec_lo, s13
	v_mov_b32_e32 v38, 0
	s_wait_dscnt 0x0
	s_barrier_signal -1
	s_barrier_wait -1
	s_delay_alu instid0(VALU_DEP_1)
	v_mov_b32_e32 v39, v38
	s_and_saveexec_b32 s13, s4
	s_cbranch_execz .LBB166_396
; %bb.391:                              ;   in Loop: Header=BB166_3 Depth=1
	ds_load_b64 v[38:39], v52 offset:8352
	ds_load_b64 v[40:41], v50 offset:8320
	s_wait_dscnt 0x0
	v_pk_mul_f32 v[42:43], v[40:41], v[38:39] op_sel:[0,1]
	s_delay_alu instid0(VALU_DEP_1) | instskip(SKIP_1) | instid1(VALU_DEP_2)
	v_pk_fma_f32 v[82:83], v[40:41], v[38:39], v[42:43] op_sel:[1,0,0] op_sel_hi:[0,0,1] neg_lo:[0,0,1] neg_hi:[0,0,1]
	v_pk_fma_f32 v[38:39], v[40:41], v[38:39], v[42:43] op_sel:[1,0,0] op_sel_hi:[0,1,1]
	v_mov_b32_e32 v39, v83
	s_delay_alu instid0(VALU_DEP_1)
	v_pk_add_f32 v[38:39], v[38:39], 0 op_sel_hi:[1,0]
	s_and_saveexec_b32 s9, s16
	s_cbranch_execnz .LBB166_1061
; %bb.392:                              ;   in Loop: Header=BB166_3 Depth=1
	s_or_b32 exec_lo, exec_lo, s9
	s_and_saveexec_b32 s9, s17
	s_cbranch_execnz .LBB166_1062
.LBB166_393:                            ;   in Loop: Header=BB166_3 Depth=1
	s_or_b32 exec_lo, exec_lo, s9
	s_and_saveexec_b32 s9, s3
	s_cbranch_execz .LBB166_395
.LBB166_394:                            ;   in Loop: Header=BB166_3 Depth=1
	ds_load_b64 v[40:41], v48 offset:9888
	ds_load_b64 v[42:43], v1 offset:8344
	s_wait_dscnt 0x0
	v_pk_mul_f32 v[82:83], v[42:43], v[40:41] op_sel:[0,1]
	s_delay_alu instid0(VALU_DEP_1) | instskip(SKIP_1) | instid1(VALU_DEP_2)
	v_pk_fma_f32 v[84:85], v[42:43], v[40:41], v[82:83] op_sel:[1,0,0] op_sel_hi:[0,0,1] neg_lo:[0,0,1] neg_hi:[0,0,1]
	v_pk_fma_f32 v[40:41], v[42:43], v[40:41], v[82:83] op_sel:[1,0,0] op_sel_hi:[0,1,1]
	v_mov_b32_e32 v41, v85
	s_delay_alu instid0(VALU_DEP_1)
	v_pk_add_f32 v[38:39], v[38:39], v[40:41]
.LBB166_395:                            ;   in Loop: Header=BB166_3 Depth=1
	s_or_b32 exec_lo, exec_lo, s9
	s_delay_alu instid0(VALU_DEP_1) | instskip(NEXT) | instid1(VALU_DEP_1)
	v_pk_add_f32 v[40:41], v[38:39], 0 neg_lo:[1,1] neg_hi:[1,1]
	v_dual_mov_b32 v38, v41 :: v_dual_mov_b32 v39, v40
.LBB166_396:                            ;   in Loop: Header=BB166_3 Depth=1
	s_or_b32 exec_lo, exec_lo, s13
	s_and_saveexec_b32 s9, s44
	s_cbranch_execz .LBB166_398
; %bb.397:                              ;   in Loop: Header=BB166_3 Depth=1
	ds_load_b64 v[40:41], v1 offset:10400
	v_dual_mov_b32 v42, v39 :: v_dual_mov_b32 v43, v38
	s_wait_dscnt 0x0
	s_delay_alu instid0(VALU_DEP_1) | instskip(NEXT) | instid1(VALU_DEP_1)
	v_dual_mul_f32 v0, v42, v40 :: v_dual_mul_f32 v82, v39, v41
	v_pk_fma_f32 v[42:43], v[42:43], v[40:41], v[0:1] op_sel_hi:[1,1,0]
	s_delay_alu instid0(VALU_DEP_2) | instskip(NEXT) | instid1(VALU_DEP_2)
	v_pk_fma_f32 v[38:39], v[38:39], v[40:41], v[82:83] op_sel_hi:[1,1,0] neg_lo:[0,0,1] neg_hi:[0,0,1]
	v_mov_b32_e32 v39, v43
	ds_store_b64 v51, v[38:39]
.LBB166_398:                            ;   in Loop: Header=BB166_3 Depth=1
	s_or_b32 exec_lo, exec_lo, s9
	s_wait_dscnt 0x0
	s_barrier_signal -1
	s_barrier_wait -1
	s_and_saveexec_b32 s9, s45
	s_cbranch_execz .LBB166_400
; %bb.399:                              ;   in Loop: Header=BB166_3 Depth=1
	ds_load_b64 v[40:41], v49 offset:10400
	ds_load_b64 v[42:43], v51
	s_wait_dscnt 0x0
	v_dual_mul_f32 v0, v43, v41 :: v_dual_mul_f32 v83, v42, v41
	s_delay_alu instid0(VALU_DEP_1) | instskip(NEXT) | instid1(VALU_DEP_1)
	v_dual_fma_f32 v82, v42, v40, -v0 :: v_dual_fmac_f32 v83, v43, v40
	v_pk_add_f32 v[38:39], v[38:39], v[82:83]
.LBB166_400:                            ;   in Loop: Header=BB166_3 Depth=1
	s_or_b32 exec_lo, exec_lo, s9
	s_barrier_signal -1
	s_barrier_wait -1
	s_and_saveexec_b32 s9, s46
	s_cbranch_execz .LBB166_402
; %bb.401:                              ;   in Loop: Header=BB166_3 Depth=1
	ds_load_b64 v[40:41], v1 offset:10920
	s_wait_dscnt 0x0
	v_pk_mul_f32 v[42:43], v[38:39], v[40:41] op_sel:[1,1] op_sel_hi:[1,0]
	s_delay_alu instid0(VALU_DEP_1) | instskip(SKIP_1) | instid1(VALU_DEP_2)
	v_pk_fma_f32 v[82:83], v[38:39], v[40:41], v[42:43] op_sel_hi:[0,1,1]
	v_pk_fma_f32 v[40:41], v[38:39], v[40:41], v[42:43] neg_lo:[0,0,1] neg_hi:[0,0,1]
	v_mov_b32_e32 v41, v83
	s_delay_alu instid0(VALU_DEP_1)
	v_mov_b64_e32 v[38:39], v[40:41]
	ds_store_b64 v51, v[40:41]
.LBB166_402:                            ;   in Loop: Header=BB166_3 Depth=1
	s_or_b32 exec_lo, exec_lo, s9
	s_wait_dscnt 0x0
	s_barrier_signal -1
	s_barrier_wait -1
	s_and_saveexec_b32 s9, s47
	s_cbranch_execz .LBB166_404
; %bb.403:                              ;   in Loop: Header=BB166_3 Depth=1
	ds_load_b64 v[40:41], v49 offset:10912
	ds_load_b64 v[42:43], v51
	s_wait_dscnt 0x0
	v_pk_mul_f32 v[82:83], v[42:43], v[40:41] op_sel:[1,1] op_sel_hi:[0,1]
	s_delay_alu instid0(VALU_DEP_1) | instskip(SKIP_1) | instid1(VALU_DEP_2)
	v_pk_fma_f32 v[84:85], v[42:43], v[40:41], v[82:83] op_sel_hi:[1,0,1]
	v_pk_fma_f32 v[40:41], v[42:43], v[40:41], v[82:83] neg_lo:[0,0,1] neg_hi:[0,0,1]
	v_mov_b32_e32 v41, v85
	s_delay_alu instid0(VALU_DEP_1)
	v_pk_add_f32 v[38:39], v[38:39], v[40:41]
.LBB166_404:                            ;   in Loop: Header=BB166_3 Depth=1
	s_or_b32 exec_lo, exec_lo, s9
	s_barrier_signal -1
	s_barrier_wait -1
	s_and_saveexec_b32 s9, s48
	s_cbranch_execz .LBB166_406
; %bb.405:                              ;   in Loop: Header=BB166_3 Depth=1
	ds_load_b64 v[40:41], v1 offset:11440
	s_wait_dscnt 0x0
	v_pk_mul_f32 v[42:43], v[38:39], v[40:41] op_sel:[1,1] op_sel_hi:[1,0]
	s_delay_alu instid0(VALU_DEP_1) | instskip(SKIP_1) | instid1(VALU_DEP_2)
	v_pk_fma_f32 v[82:83], v[38:39], v[40:41], v[42:43] op_sel_hi:[0,1,1]
	v_pk_fma_f32 v[40:41], v[38:39], v[40:41], v[42:43] neg_lo:[0,0,1] neg_hi:[0,0,1]
	v_mov_b32_e32 v41, v83
	s_delay_alu instid0(VALU_DEP_1)
	v_mov_b64_e32 v[38:39], v[40:41]
	ds_store_b64 v51, v[40:41]
.LBB166_406:                            ;   in Loop: Header=BB166_3 Depth=1
	s_or_b32 exec_lo, exec_lo, s9
	s_wait_dscnt 0x0
	s_barrier_signal -1
	s_barrier_wait -1
	s_and_saveexec_b32 s9, s49
	s_cbranch_execz .LBB166_408
; %bb.407:                              ;   in Loop: Header=BB166_3 Depth=1
	ds_load_b64 v[40:41], v1 offset:11448
	ds_load_b64 v[42:43], v51
	s_wait_dscnt 0x0
	v_pk_mul_f32 v[82:83], v[42:43], v[40:41] op_sel:[1,1] op_sel_hi:[0,1]
	s_delay_alu instid0(VALU_DEP_1) | instskip(SKIP_1) | instid1(VALU_DEP_2)
	v_pk_fma_f32 v[84:85], v[42:43], v[40:41], v[82:83] op_sel_hi:[1,0,1]
	v_pk_fma_f32 v[40:41], v[42:43], v[40:41], v[82:83] neg_lo:[0,0,1] neg_hi:[0,0,1]
	v_mov_b32_e32 v41, v85
	s_delay_alu instid0(VALU_DEP_1)
	v_pk_add_f32 v[38:39], v[38:39], v[40:41]
.LBB166_408:                            ;   in Loop: Header=BB166_3 Depth=1
	s_or_b32 exec_lo, exec_lo, s9
	s_barrier_signal -1
	s_barrier_wait -1
	s_and_saveexec_b32 s9, s49
	s_cbranch_execz .LBB166_410
; %bb.409:                              ;   in Loop: Header=BB166_3 Depth=1
	ds_load_b64 v[40:41], v1 offset:11960
	s_wait_dscnt 0x0
	v_pk_mul_f32 v[42:43], v[38:39], v[40:41] op_sel:[1,1] op_sel_hi:[1,0]
	s_delay_alu instid0(VALU_DEP_1) | instskip(SKIP_1) | instid1(VALU_DEP_2)
	v_pk_fma_f32 v[82:83], v[38:39], v[40:41], v[42:43] op_sel_hi:[0,1,1]
	v_pk_fma_f32 v[40:41], v[38:39], v[40:41], v[42:43] neg_lo:[0,0,1] neg_hi:[0,0,1]
	v_mov_b32_e32 v41, v83
	s_delay_alu instid0(VALU_DEP_1)
	v_mov_b64_e32 v[38:39], v[40:41]
	ds_store_b64 v51, v[40:41]
.LBB166_410:                            ;   in Loop: Header=BB166_3 Depth=1
	s_or_b32 exec_lo, exec_lo, s9
	s_wait_dscnt 0x0
	s_barrier_signal -1
	s_barrier_wait -1
	s_barrier_signal -1
	s_barrier_wait -1
	s_and_saveexec_b32 s9, s4
; %bb.411:                              ;   in Loop: Header=BB166_3 Depth=1
	v_pk_add_f32 v[38:39], v[38:39], 0 neg_lo:[1,1] neg_hi:[1,1]
	ds_store_b64 v52, v[38:39] offset:8352
; %bb.412:                              ;   in Loop: Header=BB166_3 Depth=1
	s_or_b32 exec_lo, exec_lo, s9
	s_wait_dscnt 0x0
	s_barrier_signal -1
	s_barrier_wait -1
	s_barrier_signal -1
	s_barrier_wait -1
	s_and_saveexec_b32 s13, s14
	s_cbranch_execz .LBB166_414
; %bb.413:                              ;   in Loop: Header=BB166_3 Depth=1
	ds_load_b128 v[38:41], v1 offset:10400
	ds_load_b64 v[42:43], v1 offset:10920
	s_wait_dscnt 0x1
	v_dual_mov_b32 v82, v41 :: v_dual_mov_b32 v83, v40
	s_wait_dscnt 0x0
	v_dual_mul_f32 v81, v43, v39 :: v_dual_mul_f32 v0, v42, v39
	s_delay_alu instid0(VALU_DEP_1) | instskip(NEXT) | instid1(VALU_DEP_2)
	v_xor_b32_e32 v84, 0x80000000, v81
	v_fmac_f32_e32 v0, v43, v38
	s_delay_alu instid0(VALU_DEP_2) | instskip(NEXT) | instid1(VALU_DEP_2)
	v_fmac_f32_e32 v84, v42, v38
	v_pk_mul_f32 v[38:39], v[0:1], v[82:83] op_sel_hi:[0,1]
	s_delay_alu instid0(VALU_DEP_1) | instskip(SKIP_1) | instid1(VALU_DEP_2)
	v_pk_fma_f32 v[42:43], v[84:85], v[40:41], v[38:39] op_sel_hi:[0,1,1]
	v_pk_fma_f32 v[38:39], v[84:85], v[40:41], v[38:39] neg_lo:[0,0,1] neg_hi:[0,0,1]
	v_mov_b32_e32 v39, v43
	ds_store_b64 v1, v[38:39] offset:10408
.LBB166_414:                            ;   in Loop: Header=BB166_3 Depth=1
	s_or_b32 exec_lo, exec_lo, s13
	v_mov_b32_e32 v39, 0
	s_wait_dscnt 0x0
	s_barrier_signal -1
	s_barrier_wait -1
	s_delay_alu instid0(VALU_DEP_1)
	v_mov_b32_e32 v38, v39
	s_and_saveexec_b32 s13, s3
	s_cbranch_execz .LBB166_418
; %bb.415:                              ;   in Loop: Header=BB166_3 Depth=1
	ds_load_b64 v[38:39], v46 offset:10416
	ds_load_b64 v[40:41], v47 offset:10400
	s_wait_dscnt 0x0
	v_dual_mul_f32 v0, v41, v39 :: v_dual_mul_f32 v43, v40, v39
	s_delay_alu instid0(VALU_DEP_1) | instskip(NEXT) | instid1(VALU_DEP_1)
	v_dual_fma_f32 v42, v40, v38, -v0 :: v_dual_fmac_f32 v43, v41, v38
	v_pk_add_f32 v[38:39], v[42:43], 0 op_sel_hi:[1,0]
	s_and_saveexec_b32 s9, s15
	s_cbranch_execz .LBB166_417
; %bb.416:                              ;   in Loop: Header=BB166_3 Depth=1
	ds_load_b64 v[40:41], v48 offset:10928
	ds_load_b64 v[42:43], v1 offset:10408
	s_wait_dscnt 0x0
	v_pk_mul_f32 v[82:83], v[42:43], v[40:41] op_sel:[1,1] op_sel_hi:[0,1]
	s_delay_alu instid0(VALU_DEP_1) | instskip(SKIP_1) | instid1(VALU_DEP_2)
	v_pk_fma_f32 v[84:85], v[42:43], v[40:41], v[82:83] op_sel_hi:[1,0,1]
	v_pk_fma_f32 v[40:41], v[42:43], v[40:41], v[82:83] neg_lo:[0,0,1] neg_hi:[0,0,1]
	v_mov_b32_e32 v41, v85
	s_delay_alu instid0(VALU_DEP_1)
	v_pk_add_f32 v[38:39], v[38:39], v[40:41]
.LBB166_417:                            ;   in Loop: Header=BB166_3 Depth=1
	s_or_b32 exec_lo, exec_lo, s9
	s_delay_alu instid0(VALU_DEP_1)
	v_pk_add_f32 v[38:39], v[38:39], 0 neg_lo:[1,1] neg_hi:[1,1]
.LBB166_418:                            ;   in Loop: Header=BB166_3 Depth=1
	s_or_b32 exec_lo, exec_lo, s13
	s_and_saveexec_b32 s9, vcc_hi
	s_cbranch_execz .LBB166_420
; %bb.419:                              ;   in Loop: Header=BB166_3 Depth=1
	ds_load_b64 v[40:41], v1 offset:11440
	s_wait_dscnt 0x0
	v_pk_mul_f32 v[42:43], v[38:39], v[40:41] op_sel:[1,1] op_sel_hi:[1,0]
	s_delay_alu instid0(VALU_DEP_1) | instskip(SKIP_1) | instid1(VALU_DEP_2)
	v_pk_fma_f32 v[82:83], v[38:39], v[40:41], v[42:43] op_sel_hi:[0,1,1]
	v_pk_fma_f32 v[40:41], v[38:39], v[40:41], v[42:43] neg_lo:[0,0,1] neg_hi:[0,0,1]
	v_mov_b32_e32 v41, v83
	s_delay_alu instid0(VALU_DEP_1)
	v_mov_b64_e32 v[38:39], v[40:41]
	ds_store_b64 v3, v[40:41]
.LBB166_420:                            ;   in Loop: Header=BB166_3 Depth=1
	s_or_b32 exec_lo, exec_lo, s9
	s_wait_dscnt 0x0
	s_barrier_signal -1
	s_barrier_wait -1
	s_and_saveexec_b32 s9, s43
	s_cbranch_execz .LBB166_422
; %bb.421:                              ;   in Loop: Header=BB166_3 Depth=1
	ds_load_b64 v[40:41], v1 offset:11448
	ds_load_b64 v[42:43], v3
	s_wait_dscnt 0x0
	v_pk_mul_f32 v[82:83], v[42:43], v[40:41] op_sel:[1,1] op_sel_hi:[0,1]
	s_delay_alu instid0(VALU_DEP_1) | instskip(SKIP_1) | instid1(VALU_DEP_2)
	v_pk_fma_f32 v[84:85], v[42:43], v[40:41], v[82:83] op_sel_hi:[1,0,1]
	v_pk_fma_f32 v[40:41], v[42:43], v[40:41], v[82:83] neg_lo:[0,0,1] neg_hi:[0,0,1]
	v_mov_b32_e32 v41, v85
	s_delay_alu instid0(VALU_DEP_1)
	v_pk_add_f32 v[38:39], v[38:39], v[40:41]
.LBB166_422:                            ;   in Loop: Header=BB166_3 Depth=1
	s_or_b32 exec_lo, exec_lo, s9
	s_barrier_signal -1
	s_barrier_wait -1
	s_and_saveexec_b32 s9, s43
	s_cbranch_execz .LBB166_424
; %bb.423:                              ;   in Loop: Header=BB166_3 Depth=1
	ds_load_b64 v[40:41], v1 offset:11960
	s_wait_dscnt 0x0
	v_pk_mul_f32 v[42:43], v[38:39], v[40:41] op_sel:[1,1] op_sel_hi:[1,0]
	s_delay_alu instid0(VALU_DEP_1) | instskip(SKIP_1) | instid1(VALU_DEP_2)
	v_pk_fma_f32 v[82:83], v[38:39], v[40:41], v[42:43] op_sel_hi:[0,1,1]
	v_pk_fma_f32 v[40:41], v[38:39], v[40:41], v[42:43] neg_lo:[0,0,1] neg_hi:[0,0,1]
	v_mov_b32_e32 v41, v83
	s_delay_alu instid0(VALU_DEP_1)
	v_mov_b64_e32 v[38:39], v[40:41]
	ds_store_b64 v3, v[40:41]
.LBB166_424:                            ;   in Loop: Header=BB166_3 Depth=1
	s_or_b32 exec_lo, exec_lo, s9
	s_wait_dscnt 0x0
	s_barrier_signal -1
	s_barrier_wait -1
	s_barrier_signal -1
	s_barrier_wait -1
	s_and_saveexec_b32 s9, s3
; %bb.425:                              ;   in Loop: Header=BB166_3 Depth=1
	v_pk_add_f32 v[38:39], v[38:39], 0 neg_lo:[1,1] neg_hi:[1,1]
	ds_store_b64 v46, v[38:39] offset:10416
; %bb.426:                              ;   in Loop: Header=BB166_3 Depth=1
	s_or_b32 exec_lo, exec_lo, s9
	s_wait_dscnt 0x0
	s_barrier_signal -1
	s_barrier_wait -1
	s_barrier_signal -1
	s_barrier_wait -1
	s_and_saveexec_b32 s13, s14
	s_cbranch_execz .LBB166_428
; %bb.427:                              ;   in Loop: Header=BB166_3 Depth=1
	ds_load_b128 v[38:41], v1 offset:11440
	ds_load_b64 v[42:43], v1 offset:11960
	s_wait_dscnt 0x1
	v_dual_mov_b32 v82, v41 :: v_dual_mov_b32 v83, v40
	s_wait_dscnt 0x0
	v_dual_mul_f32 v81, v43, v39 :: v_dual_mul_f32 v0, v42, v39
	s_delay_alu instid0(VALU_DEP_1) | instskip(NEXT) | instid1(VALU_DEP_2)
	v_xor_b32_e32 v84, 0x80000000, v81
	v_fmac_f32_e32 v0, v43, v38
	s_delay_alu instid0(VALU_DEP_2) | instskip(NEXT) | instid1(VALU_DEP_2)
	v_fmac_f32_e32 v84, v42, v38
	v_pk_mul_f32 v[38:39], v[0:1], v[82:83] op_sel_hi:[0,1]
	s_delay_alu instid0(VALU_DEP_1) | instskip(SKIP_1) | instid1(VALU_DEP_2)
	v_pk_fma_f32 v[42:43], v[84:85], v[40:41], v[38:39] op_sel_hi:[0,1,1]
	v_pk_fma_f32 v[38:39], v[84:85], v[40:41], v[38:39] neg_lo:[0,0,1] neg_hi:[0,0,1]
	v_mov_b32_e32 v39, v43
	ds_store_b64 v1, v[38:39] offset:11448
.LBB166_428:                            ;   in Loop: Header=BB166_3 Depth=1
	s_or_b32 exec_lo, exec_lo, s13
	v_mov_b32_e32 v38, 0
	s_wait_dscnt 0x0
	s_barrier_signal -1
	s_barrier_wait -1
	s_delay_alu instid0(VALU_DEP_1)
	v_mov_b32_e32 v39, v38
	s_and_saveexec_b32 s13, s5
	s_cbranch_execz .LBB166_438
; %bb.429:                              ;   in Loop: Header=BB166_3 Depth=1
	ds_load_b64 v[38:39], v57 offset:8384
	ds_load_b64 v[40:41], v54 offset:8320
	s_wait_dscnt 0x0
	v_dual_mul_f32 v0, v41, v39 :: v_dual_mul_f32 v42, v40, v39
	s_delay_alu instid0(VALU_DEP_1) | instskip(NEXT) | instid1(VALU_DEP_1)
	v_dual_fma_f32 v0, v40, v38, -v0 :: v_dual_fmac_f32 v42, v41, v38
	v_dual_add_f32 v39, 0, v0 :: v_dual_add_f32 v38, 0, v42
	s_and_saveexec_b32 s9, s18
	s_cbranch_execnz .LBB166_1063
; %bb.430:                              ;   in Loop: Header=BB166_3 Depth=1
	s_or_b32 exec_lo, exec_lo, s9
	s_and_saveexec_b32 s9, s19
	s_cbranch_execnz .LBB166_1064
.LBB166_431:                            ;   in Loop: Header=BB166_3 Depth=1
	s_or_b32 exec_lo, exec_lo, s9
	s_and_saveexec_b32 s9, s20
	s_cbranch_execnz .LBB166_1065
.LBB166_432:                            ;   in Loop: Header=BB166_3 Depth=1
	s_or_b32 exec_lo, exec_lo, s9
	s_and_saveexec_b32 s9, s21
	s_cbranch_execnz .LBB166_1066
.LBB166_433:                            ;   in Loop: Header=BB166_3 Depth=1
	s_or_b32 exec_lo, exec_lo, s9
	s_and_saveexec_b32 s9, s22
	s_cbranch_execnz .LBB166_1067
.LBB166_434:                            ;   in Loop: Header=BB166_3 Depth=1
	s_or_b32 exec_lo, exec_lo, s9
	s_and_saveexec_b32 s9, s4
	s_cbranch_execnz .LBB166_1068
.LBB166_435:                            ;   in Loop: Header=BB166_3 Depth=1
	s_or_b32 exec_lo, exec_lo, s9
	s_and_saveexec_b32 s9, s17
	s_cbranch_execz .LBB166_437
.LBB166_436:                            ;   in Loop: Header=BB166_3 Depth=1
	ds_load_b64 v[40:41], v48 offset:11968
	ds_load_b64 v[42:43], v1 offset:8376
	s_wait_dscnt 0x0
	v_pk_mul_f32 v[82:83], v[42:43], v[40:41] op_sel:[0,1]
	s_delay_alu instid0(VALU_DEP_1) | instskip(SKIP_1) | instid1(VALU_DEP_2)
	v_pk_fma_f32 v[84:85], v[42:43], v[40:41], v[82:83] op_sel:[1,0,0] op_sel_hi:[0,0,1] neg_lo:[0,0,1] neg_hi:[0,0,1]
	v_pk_fma_f32 v[40:41], v[42:43], v[40:41], v[82:83] op_sel:[1,0,0] op_sel_hi:[0,1,1]
	v_mov_b32_e32 v41, v85
	s_delay_alu instid0(VALU_DEP_1)
	v_pk_add_f32 v[38:39], v[38:39], v[40:41]
.LBB166_437:                            ;   in Loop: Header=BB166_3 Depth=1
	s_or_b32 exec_lo, exec_lo, s9
	s_delay_alu instid0(VALU_DEP_1) | instskip(NEXT) | instid1(VALU_DEP_1)
	v_pk_add_f32 v[40:41], v[38:39], 0 neg_lo:[1,1] neg_hi:[1,1]
	v_dual_mov_b32 v38, v41 :: v_dual_mov_b32 v39, v40
.LBB166_438:                            ;   in Loop: Header=BB166_3 Depth=1
	s_or_b32 exec_lo, exec_lo, s13
	s_and_saveexec_b32 s9, s50
	s_cbranch_execz .LBB166_440
; %bb.439:                              ;   in Loop: Header=BB166_3 Depth=1
	ds_load_b64 v[40:41], v1 offset:12480
	v_dual_mov_b32 v42, v39 :: v_dual_mov_b32 v43, v38
	s_wait_dscnt 0x0
	s_delay_alu instid0(VALU_DEP_1) | instskip(NEXT) | instid1(VALU_DEP_1)
	v_dual_mul_f32 v0, v42, v40 :: v_dual_mul_f32 v82, v39, v41
	v_pk_fma_f32 v[42:43], v[42:43], v[40:41], v[0:1] op_sel_hi:[1,1,0]
	s_delay_alu instid0(VALU_DEP_2) | instskip(NEXT) | instid1(VALU_DEP_2)
	v_pk_fma_f32 v[38:39], v[38:39], v[40:41], v[82:83] op_sel_hi:[1,1,0] neg_lo:[0,0,1] neg_hi:[0,0,1]
	v_mov_b32_e32 v39, v43
	ds_store_b64 v56, v[38:39]
.LBB166_440:                            ;   in Loop: Header=BB166_3 Depth=1
	s_or_b32 exec_lo, exec_lo, s9
	s_wait_dscnt 0x0
	s_barrier_signal -1
	s_barrier_wait -1
	s_and_saveexec_b32 s9, s51
	s_cbranch_execz .LBB166_442
; %bb.441:                              ;   in Loop: Header=BB166_3 Depth=1
	ds_load_b64 v[40:41], v55 offset:12480
	ds_load_b64 v[42:43], v56
	s_wait_dscnt 0x0
	v_dual_mul_f32 v0, v43, v41 :: v_dual_mul_f32 v83, v42, v41
	s_delay_alu instid0(VALU_DEP_1) | instskip(NEXT) | instid1(VALU_DEP_1)
	v_dual_fma_f32 v82, v42, v40, -v0 :: v_dual_fmac_f32 v83, v43, v40
	v_pk_add_f32 v[38:39], v[38:39], v[82:83]
.LBB166_442:                            ;   in Loop: Header=BB166_3 Depth=1
	s_or_b32 exec_lo, exec_lo, s9
	s_barrier_signal -1
	s_barrier_wait -1
	s_and_saveexec_b32 s9, s52
	s_cbranch_execz .LBB166_444
; %bb.443:                              ;   in Loop: Header=BB166_3 Depth=1
	ds_load_b64 v[40:41], v1 offset:13000
	s_wait_dscnt 0x0
	v_pk_mul_f32 v[42:43], v[38:39], v[40:41] op_sel:[1,1] op_sel_hi:[1,0]
	s_delay_alu instid0(VALU_DEP_1) | instskip(SKIP_1) | instid1(VALU_DEP_2)
	v_pk_fma_f32 v[82:83], v[38:39], v[40:41], v[42:43] op_sel_hi:[0,1,1]
	v_pk_fma_f32 v[38:39], v[38:39], v[40:41], v[42:43] op_sel_hi:[0,1,1] neg_lo:[0,0,1] neg_hi:[0,0,1]
	v_mov_b32_e32 v39, v83
	ds_store_b64 v56, v[38:39]
.LBB166_444:                            ;   in Loop: Header=BB166_3 Depth=1
	s_or_b32 exec_lo, exec_lo, s9
	s_wait_dscnt 0x0
	s_barrier_signal -1
	s_barrier_wait -1
	s_and_saveexec_b32 s9, s53
	s_cbranch_execz .LBB166_446
; %bb.445:                              ;   in Loop: Header=BB166_3 Depth=1
	ds_load_b64 v[40:41], v55 offset:12992
	ds_load_b64 v[42:43], v56
	s_wait_dscnt 0x0
	v_pk_mul_f32 v[82:83], v[42:43], v[40:41] op_sel:[1,1] op_sel_hi:[0,1]
	s_delay_alu instid0(VALU_DEP_1) | instskip(SKIP_1) | instid1(VALU_DEP_2)
	v_pk_fma_f32 v[84:85], v[42:43], v[40:41], v[82:83] op_sel_hi:[1,0,1]
	v_pk_fma_f32 v[40:41], v[42:43], v[40:41], v[82:83] op_sel_hi:[1,0,1] neg_lo:[0,0,1] neg_hi:[0,0,1]
	v_mov_b32_e32 v41, v85
	s_delay_alu instid0(VALU_DEP_1)
	v_pk_add_f32 v[38:39], v[38:39], v[40:41]
.LBB166_446:                            ;   in Loop: Header=BB166_3 Depth=1
	s_or_b32 exec_lo, exec_lo, s9
	s_barrier_signal -1
	s_barrier_wait -1
	s_and_saveexec_b32 s9, s54
	s_cbranch_execz .LBB166_448
; %bb.447:                              ;   in Loop: Header=BB166_3 Depth=1
	ds_load_b64 v[40:41], v1 offset:13520
	s_wait_dscnt 0x0
	v_pk_mul_f32 v[42:43], v[38:39], v[40:41] op_sel:[1,1] op_sel_hi:[1,0]
	s_delay_alu instid0(VALU_DEP_1) | instskip(SKIP_1) | instid1(VALU_DEP_2)
	v_pk_fma_f32 v[82:83], v[38:39], v[40:41], v[42:43] op_sel_hi:[0,1,1]
	v_pk_fma_f32 v[38:39], v[38:39], v[40:41], v[42:43] op_sel_hi:[0,1,1] neg_lo:[0,0,1] neg_hi:[0,0,1]
	v_mov_b32_e32 v39, v83
	ds_store_b64 v56, v[38:39]
.LBB166_448:                            ;   in Loop: Header=BB166_3 Depth=1
	s_or_b32 exec_lo, exec_lo, s9
	s_wait_dscnt 0x0
	s_barrier_signal -1
	s_barrier_wait -1
	s_and_saveexec_b32 s9, s55
	s_cbranch_execz .LBB166_450
; %bb.449:                              ;   in Loop: Header=BB166_3 Depth=1
	ds_load_b64 v[40:41], v55 offset:13504
	ds_load_b64 v[42:43], v56
	s_wait_dscnt 0x0
	v_pk_mul_f32 v[82:83], v[42:43], v[40:41] op_sel:[1,1] op_sel_hi:[0,1]
	s_delay_alu instid0(VALU_DEP_1) | instskip(SKIP_1) | instid1(VALU_DEP_2)
	v_pk_fma_f32 v[84:85], v[42:43], v[40:41], v[82:83] op_sel_hi:[1,0,1]
	v_pk_fma_f32 v[40:41], v[42:43], v[40:41], v[82:83] op_sel_hi:[1,0,1] neg_lo:[0,0,1] neg_hi:[0,0,1]
	v_mov_b32_e32 v41, v85
	s_delay_alu instid0(VALU_DEP_1)
	v_pk_add_f32 v[38:39], v[38:39], v[40:41]
.LBB166_450:                            ;   in Loop: Header=BB166_3 Depth=1
	s_or_b32 exec_lo, exec_lo, s9
	s_barrier_signal -1
	s_barrier_wait -1
	s_and_saveexec_b32 s9, s56
	s_cbranch_execz .LBB166_452
; %bb.451:                              ;   in Loop: Header=BB166_3 Depth=1
	ds_load_b64 v[40:41], v1 offset:14040
	s_wait_dscnt 0x0
	v_pk_mul_f32 v[42:43], v[38:39], v[40:41] op_sel:[1,1] op_sel_hi:[1,0]
	s_delay_alu instid0(VALU_DEP_1) | instskip(SKIP_1) | instid1(VALU_DEP_2)
	v_pk_fma_f32 v[82:83], v[38:39], v[40:41], v[42:43] op_sel_hi:[0,1,1]
	v_pk_fma_f32 v[38:39], v[38:39], v[40:41], v[42:43] op_sel_hi:[0,1,1] neg_lo:[0,0,1] neg_hi:[0,0,1]
	v_mov_b32_e32 v39, v83
	ds_store_b64 v56, v[38:39]
.LBB166_452:                            ;   in Loop: Header=BB166_3 Depth=1
	s_or_b32 exec_lo, exec_lo, s9
	s_wait_dscnt 0x0
	s_barrier_signal -1
	s_barrier_wait -1
	s_and_saveexec_b32 s9, s57
	s_cbranch_execz .LBB166_454
; %bb.453:                              ;   in Loop: Header=BB166_3 Depth=1
	ds_load_b64 v[40:41], v55 offset:14016
	ds_load_b64 v[42:43], v56
	s_wait_dscnt 0x0
	v_pk_mul_f32 v[82:83], v[42:43], v[40:41] op_sel:[1,1] op_sel_hi:[0,1]
	s_delay_alu instid0(VALU_DEP_1) | instskip(SKIP_1) | instid1(VALU_DEP_2)
	v_pk_fma_f32 v[84:85], v[42:43], v[40:41], v[82:83] op_sel_hi:[1,0,1]
	v_pk_fma_f32 v[40:41], v[42:43], v[40:41], v[82:83] op_sel_hi:[1,0,1] neg_lo:[0,0,1] neg_hi:[0,0,1]
	v_mov_b32_e32 v41, v85
	s_delay_alu instid0(VALU_DEP_1)
	v_pk_add_f32 v[38:39], v[38:39], v[40:41]
.LBB166_454:                            ;   in Loop: Header=BB166_3 Depth=1
	s_or_b32 exec_lo, exec_lo, s9
	s_barrier_signal -1
	s_barrier_wait -1
	s_and_saveexec_b32 s9, s58
	s_cbranch_execz .LBB166_456
; %bb.455:                              ;   in Loop: Header=BB166_3 Depth=1
	ds_load_b64 v[40:41], v1 offset:14560
	s_wait_dscnt 0x0
	v_dual_mul_f32 v0, v38, v41 :: v_dual_mul_f32 v42, v39, v41
	s_delay_alu instid0(VALU_DEP_1) | instskip(NEXT) | instid1(VALU_DEP_2)
	v_pk_fma_f32 v[82:83], v[38:39], v[40:41], v[0:1] op_sel:[0,1,0] op_sel_hi:[1,0,0]
	v_pk_fma_f32 v[40:41], v[38:39], v[40:41], v[42:43] op_sel_hi:[1,1,0] neg_lo:[0,0,1] neg_hi:[0,0,1]
	s_delay_alu instid0(VALU_DEP_2) | instskip(NEXT) | instid1(VALU_DEP_1)
	v_mov_b32_e32 v41, v83
	v_mov_b64_e32 v[38:39], v[40:41]
	ds_store_b64 v56, v[40:41]
.LBB166_456:                            ;   in Loop: Header=BB166_3 Depth=1
	s_or_b32 exec_lo, exec_lo, s9
	s_wait_dscnt 0x0
	s_barrier_signal -1
	s_barrier_wait -1
	s_and_saveexec_b32 s9, s59
	s_cbranch_execz .LBB166_458
; %bb.457:                              ;   in Loop: Header=BB166_3 Depth=1
	ds_load_b64 v[40:41], v55 offset:14528
	ds_load_b64 v[42:43], v56
	s_wait_dscnt 0x0
	v_dual_mul_f32 v0, v43, v41 :: v_dual_mul_f32 v83, v42, v41
	s_delay_alu instid0(VALU_DEP_1) | instskip(NEXT) | instid1(VALU_DEP_1)
	v_dual_fma_f32 v82, v42, v40, -v0 :: v_dual_fmac_f32 v83, v43, v40
	v_pk_add_f32 v[38:39], v[38:39], v[82:83]
.LBB166_458:                            ;   in Loop: Header=BB166_3 Depth=1
	s_or_b32 exec_lo, exec_lo, s9
	s_barrier_signal -1
	s_barrier_wait -1
	s_and_saveexec_b32 s9, s60
	s_cbranch_execz .LBB166_460
; %bb.459:                              ;   in Loop: Header=BB166_3 Depth=1
	ds_load_b64 v[40:41], v1 offset:15080
	s_wait_dscnt 0x0
	v_pk_mul_f32 v[42:43], v[38:39], v[40:41] op_sel:[1,1] op_sel_hi:[1,0]
	s_delay_alu instid0(VALU_DEP_1) | instskip(SKIP_1) | instid1(VALU_DEP_2)
	v_pk_fma_f32 v[82:83], v[38:39], v[40:41], v[42:43] op_sel_hi:[0,1,1]
	v_pk_fma_f32 v[40:41], v[38:39], v[40:41], v[42:43] neg_lo:[0,0,1] neg_hi:[0,0,1]
	v_mov_b32_e32 v41, v83
	s_delay_alu instid0(VALU_DEP_1)
	v_mov_b64_e32 v[38:39], v[40:41]
	ds_store_b64 v56, v[40:41]
.LBB166_460:                            ;   in Loop: Header=BB166_3 Depth=1
	s_or_b32 exec_lo, exec_lo, s9
	s_wait_dscnt 0x0
	s_barrier_signal -1
	s_barrier_wait -1
	s_and_saveexec_b32 s9, s61
	s_cbranch_execz .LBB166_462
; %bb.461:                              ;   in Loop: Header=BB166_3 Depth=1
	ds_load_b64 v[40:41], v55 offset:15040
	ds_load_b64 v[42:43], v56
	s_wait_dscnt 0x0
	v_pk_mul_f32 v[82:83], v[42:43], v[40:41] op_sel:[1,1] op_sel_hi:[0,1]
	s_delay_alu instid0(VALU_DEP_1) | instskip(SKIP_1) | instid1(VALU_DEP_2)
	v_pk_fma_f32 v[84:85], v[42:43], v[40:41], v[82:83] op_sel_hi:[1,0,1]
	v_pk_fma_f32 v[40:41], v[42:43], v[40:41], v[82:83] neg_lo:[0,0,1] neg_hi:[0,0,1]
	v_mov_b32_e32 v41, v85
	s_delay_alu instid0(VALU_DEP_1)
	v_pk_add_f32 v[38:39], v[38:39], v[40:41]
.LBB166_462:                            ;   in Loop: Header=BB166_3 Depth=1
	s_or_b32 exec_lo, exec_lo, s9
	s_barrier_signal -1
	s_barrier_wait -1
	s_and_saveexec_b32 s9, s62
	s_cbranch_execz .LBB166_464
; %bb.463:                              ;   in Loop: Header=BB166_3 Depth=1
	ds_load_b64 v[40:41], v1 offset:15600
	s_wait_dscnt 0x0
	v_pk_mul_f32 v[42:43], v[38:39], v[40:41] op_sel:[1,1] op_sel_hi:[1,0]
	s_delay_alu instid0(VALU_DEP_1) | instskip(SKIP_1) | instid1(VALU_DEP_2)
	v_pk_fma_f32 v[82:83], v[38:39], v[40:41], v[42:43] op_sel_hi:[0,1,1]
	v_pk_fma_f32 v[40:41], v[38:39], v[40:41], v[42:43] neg_lo:[0,0,1] neg_hi:[0,0,1]
	v_mov_b32_e32 v41, v83
	s_delay_alu instid0(VALU_DEP_1)
	v_mov_b64_e32 v[38:39], v[40:41]
	ds_store_b64 v56, v[40:41]
.LBB166_464:                            ;   in Loop: Header=BB166_3 Depth=1
	s_or_b32 exec_lo, exec_lo, s9
	s_wait_dscnt 0x0
	s_barrier_signal -1
	s_barrier_wait -1
	s_and_saveexec_b32 s9, s63
	s_cbranch_execz .LBB166_466
; %bb.465:                              ;   in Loop: Header=BB166_3 Depth=1
	ds_load_b64 v[40:41], v1 offset:15608
	ds_load_b64 v[42:43], v56
	s_wait_dscnt 0x0
	v_pk_mul_f32 v[82:83], v[42:43], v[40:41] op_sel:[1,1] op_sel_hi:[0,1]
	s_delay_alu instid0(VALU_DEP_1) | instskip(SKIP_1) | instid1(VALU_DEP_2)
	v_pk_fma_f32 v[84:85], v[42:43], v[40:41], v[82:83] op_sel_hi:[1,0,1]
	v_pk_fma_f32 v[40:41], v[42:43], v[40:41], v[82:83] neg_lo:[0,0,1] neg_hi:[0,0,1]
	v_mov_b32_e32 v41, v85
	s_delay_alu instid0(VALU_DEP_1)
	v_pk_add_f32 v[38:39], v[38:39], v[40:41]
.LBB166_466:                            ;   in Loop: Header=BB166_3 Depth=1
	s_or_b32 exec_lo, exec_lo, s9
	s_barrier_signal -1
	s_barrier_wait -1
	s_and_saveexec_b32 s9, s63
	s_cbranch_execz .LBB166_468
; %bb.467:                              ;   in Loop: Header=BB166_3 Depth=1
	ds_load_b64 v[40:41], v1 offset:16120
	s_wait_dscnt 0x0
	v_pk_mul_f32 v[42:43], v[38:39], v[40:41] op_sel:[1,1] op_sel_hi:[1,0]
	s_delay_alu instid0(VALU_DEP_1) | instskip(SKIP_1) | instid1(VALU_DEP_2)
	v_pk_fma_f32 v[82:83], v[38:39], v[40:41], v[42:43] op_sel_hi:[0,1,1]
	v_pk_fma_f32 v[40:41], v[38:39], v[40:41], v[42:43] neg_lo:[0,0,1] neg_hi:[0,0,1]
	v_mov_b32_e32 v41, v83
	s_delay_alu instid0(VALU_DEP_1)
	v_mov_b64_e32 v[38:39], v[40:41]
	ds_store_b64 v56, v[40:41]
.LBB166_468:                            ;   in Loop: Header=BB166_3 Depth=1
	s_or_b32 exec_lo, exec_lo, s9
	s_wait_dscnt 0x0
	s_barrier_signal -1
	s_barrier_wait -1
	s_barrier_signal -1
	s_barrier_wait -1
	s_and_saveexec_b32 s9, s5
; %bb.469:                              ;   in Loop: Header=BB166_3 Depth=1
	v_pk_add_f32 v[38:39], v[38:39], 0 neg_lo:[1,1] neg_hi:[1,1]
	ds_store_b64 v57, v[38:39] offset:8384
; %bb.470:                              ;   in Loop: Header=BB166_3 Depth=1
	s_or_b32 exec_lo, exec_lo, s9
	s_wait_dscnt 0x0
	s_barrier_signal -1
	s_barrier_wait -1
	s_barrier_signal -1
	s_barrier_wait -1
	s_and_saveexec_b32 s13, s14
	s_cbranch_execz .LBB166_472
; %bb.471:                              ;   in Loop: Header=BB166_3 Depth=1
	ds_load_b128 v[38:41], v1 offset:12480
	ds_load_b64 v[42:43], v1 offset:13000
	s_wait_dscnt 0x1
	v_dual_mov_b32 v82, v41 :: v_dual_mov_b32 v83, v40
	s_wait_dscnt 0x0
	v_dual_mul_f32 v81, v43, v39 :: v_dual_mul_f32 v0, v42, v39
	s_delay_alu instid0(VALU_DEP_1) | instskip(NEXT) | instid1(VALU_DEP_2)
	v_xor_b32_e32 v84, 0x80000000, v81
	v_fmac_f32_e32 v0, v43, v38
	s_delay_alu instid0(VALU_DEP_2) | instskip(NEXT) | instid1(VALU_DEP_2)
	v_fmac_f32_e32 v84, v42, v38
	v_pk_mul_f32 v[38:39], v[0:1], v[82:83] op_sel_hi:[0,1]
	s_delay_alu instid0(VALU_DEP_1) | instskip(SKIP_1) | instid1(VALU_DEP_2)
	v_pk_fma_f32 v[42:43], v[84:85], v[40:41], v[38:39] op_sel_hi:[0,1,1]
	v_pk_fma_f32 v[38:39], v[84:85], v[40:41], v[38:39] neg_lo:[0,0,1] neg_hi:[0,0,1]
	v_mov_b32_e32 v39, v43
	ds_store_b64 v1, v[38:39] offset:12488
.LBB166_472:                            ;   in Loop: Header=BB166_3 Depth=1
	s_or_b32 exec_lo, exec_lo, s13
	v_mov_b32_e32 v39, 0
	s_wait_dscnt 0x0
	s_barrier_signal -1
	s_barrier_wait -1
	s_delay_alu instid0(VALU_DEP_1)
	v_mov_b32_e32 v38, v39
	s_and_saveexec_b32 s13, s3
	s_cbranch_execz .LBB166_476
; %bb.473:                              ;   in Loop: Header=BB166_3 Depth=1
	ds_load_b64 v[38:39], v46 offset:12496
	ds_load_b64 v[40:41], v47 offset:12480
	s_wait_dscnt 0x0
	v_dual_mul_f32 v0, v41, v39 :: v_dual_mul_f32 v43, v40, v39
	s_delay_alu instid0(VALU_DEP_1) | instskip(NEXT) | instid1(VALU_DEP_1)
	v_dual_fma_f32 v42, v40, v38, -v0 :: v_dual_fmac_f32 v43, v41, v38
	v_pk_add_f32 v[38:39], v[42:43], 0 op_sel_hi:[1,0]
	s_and_saveexec_b32 s9, s15
	s_cbranch_execz .LBB166_475
; %bb.474:                              ;   in Loop: Header=BB166_3 Depth=1
	ds_load_b64 v[40:41], v48 offset:13008
	ds_load_b64 v[42:43], v1 offset:12488
	s_wait_dscnt 0x0
	v_pk_mul_f32 v[82:83], v[42:43], v[40:41] op_sel:[1,1] op_sel_hi:[0,1]
	s_delay_alu instid0(VALU_DEP_1) | instskip(SKIP_1) | instid1(VALU_DEP_2)
	v_pk_fma_f32 v[84:85], v[42:43], v[40:41], v[82:83] op_sel_hi:[1,0,1]
	v_pk_fma_f32 v[40:41], v[42:43], v[40:41], v[82:83] neg_lo:[0,0,1] neg_hi:[0,0,1]
	v_mov_b32_e32 v41, v85
	s_delay_alu instid0(VALU_DEP_1)
	v_pk_add_f32 v[38:39], v[38:39], v[40:41]
.LBB166_475:                            ;   in Loop: Header=BB166_3 Depth=1
	s_or_b32 exec_lo, exec_lo, s9
	s_delay_alu instid0(VALU_DEP_1)
	v_pk_add_f32 v[38:39], v[38:39], 0 neg_lo:[1,1] neg_hi:[1,1]
.LBB166_476:                            ;   in Loop: Header=BB166_3 Depth=1
	s_or_b32 exec_lo, exec_lo, s13
	s_and_saveexec_b32 s9, vcc_hi
	s_cbranch_execz .LBB166_478
; %bb.477:                              ;   in Loop: Header=BB166_3 Depth=1
	ds_load_b64 v[40:41], v1 offset:13520
	s_wait_dscnt 0x0
	v_pk_mul_f32 v[42:43], v[38:39], v[40:41] op_sel:[1,1] op_sel_hi:[1,0]
	s_delay_alu instid0(VALU_DEP_1) | instskip(SKIP_1) | instid1(VALU_DEP_2)
	v_pk_fma_f32 v[82:83], v[38:39], v[40:41], v[42:43] op_sel_hi:[0,1,1]
	v_pk_fma_f32 v[40:41], v[38:39], v[40:41], v[42:43] neg_lo:[0,0,1] neg_hi:[0,0,1]
	v_mov_b32_e32 v41, v83
	s_delay_alu instid0(VALU_DEP_1)
	v_mov_b64_e32 v[38:39], v[40:41]
	ds_store_b64 v3, v[40:41]
.LBB166_478:                            ;   in Loop: Header=BB166_3 Depth=1
	s_or_b32 exec_lo, exec_lo, s9
	s_wait_dscnt 0x0
	s_barrier_signal -1
	s_barrier_wait -1
	s_and_saveexec_b32 s9, s43
	s_cbranch_execz .LBB166_480
; %bb.479:                              ;   in Loop: Header=BB166_3 Depth=1
	ds_load_b64 v[40:41], v1 offset:13528
	ds_load_b64 v[42:43], v3
	s_wait_dscnt 0x0
	v_pk_mul_f32 v[82:83], v[42:43], v[40:41] op_sel:[1,1] op_sel_hi:[0,1]
	s_delay_alu instid0(VALU_DEP_1) | instskip(SKIP_1) | instid1(VALU_DEP_2)
	v_pk_fma_f32 v[84:85], v[42:43], v[40:41], v[82:83] op_sel_hi:[1,0,1]
	v_pk_fma_f32 v[40:41], v[42:43], v[40:41], v[82:83] neg_lo:[0,0,1] neg_hi:[0,0,1]
	v_mov_b32_e32 v41, v85
	s_delay_alu instid0(VALU_DEP_1)
	v_pk_add_f32 v[38:39], v[38:39], v[40:41]
.LBB166_480:                            ;   in Loop: Header=BB166_3 Depth=1
	s_or_b32 exec_lo, exec_lo, s9
	s_barrier_signal -1
	s_barrier_wait -1
	s_and_saveexec_b32 s9, s43
	s_cbranch_execz .LBB166_482
; %bb.481:                              ;   in Loop: Header=BB166_3 Depth=1
	ds_load_b64 v[40:41], v1 offset:14040
	s_wait_dscnt 0x0
	v_pk_mul_f32 v[42:43], v[38:39], v[40:41] op_sel:[1,1] op_sel_hi:[1,0]
	s_delay_alu instid0(VALU_DEP_1) | instskip(SKIP_1) | instid1(VALU_DEP_2)
	v_pk_fma_f32 v[82:83], v[38:39], v[40:41], v[42:43] op_sel_hi:[0,1,1]
	v_pk_fma_f32 v[40:41], v[38:39], v[40:41], v[42:43] neg_lo:[0,0,1] neg_hi:[0,0,1]
	v_mov_b32_e32 v41, v83
	s_delay_alu instid0(VALU_DEP_1)
	v_mov_b64_e32 v[38:39], v[40:41]
	ds_store_b64 v3, v[40:41]
.LBB166_482:                            ;   in Loop: Header=BB166_3 Depth=1
	s_or_b32 exec_lo, exec_lo, s9
	s_wait_dscnt 0x0
	s_barrier_signal -1
	s_barrier_wait -1
	s_barrier_signal -1
	s_barrier_wait -1
	s_and_saveexec_b32 s9, s3
; %bb.483:                              ;   in Loop: Header=BB166_3 Depth=1
	v_pk_add_f32 v[38:39], v[38:39], 0 neg_lo:[1,1] neg_hi:[1,1]
	ds_store_b64 v46, v[38:39] offset:12496
; %bb.484:                              ;   in Loop: Header=BB166_3 Depth=1
	s_or_b32 exec_lo, exec_lo, s9
	s_wait_dscnt 0x0
	s_barrier_signal -1
	s_barrier_wait -1
	s_barrier_signal -1
	s_barrier_wait -1
	s_and_saveexec_b32 s13, s14
	s_cbranch_execz .LBB166_486
; %bb.485:                              ;   in Loop: Header=BB166_3 Depth=1
	ds_load_b128 v[38:41], v1 offset:13520
	ds_load_b64 v[42:43], v1 offset:14040
	s_wait_dscnt 0x1
	v_dual_mov_b32 v82, v41 :: v_dual_mov_b32 v83, v40
	s_wait_dscnt 0x0
	v_dual_mul_f32 v81, v43, v39 :: v_dual_mul_f32 v0, v42, v39
	s_delay_alu instid0(VALU_DEP_1) | instskip(NEXT) | instid1(VALU_DEP_2)
	v_xor_b32_e32 v84, 0x80000000, v81
	v_fmac_f32_e32 v0, v43, v38
	s_delay_alu instid0(VALU_DEP_2) | instskip(NEXT) | instid1(VALU_DEP_2)
	v_fmac_f32_e32 v84, v42, v38
	v_pk_mul_f32 v[38:39], v[0:1], v[82:83] op_sel_hi:[0,1]
	s_delay_alu instid0(VALU_DEP_1) | instskip(SKIP_1) | instid1(VALU_DEP_2)
	v_pk_fma_f32 v[42:43], v[84:85], v[40:41], v[38:39] op_sel_hi:[0,1,1]
	v_pk_fma_f32 v[38:39], v[84:85], v[40:41], v[38:39] neg_lo:[0,0,1] neg_hi:[0,0,1]
	v_mov_b32_e32 v39, v43
	ds_store_b64 v1, v[38:39] offset:13528
.LBB166_486:                            ;   in Loop: Header=BB166_3 Depth=1
	s_or_b32 exec_lo, exec_lo, s13
	v_mov_b32_e32 v38, 0
	s_wait_dscnt 0x0
	s_barrier_signal -1
	s_barrier_wait -1
	s_delay_alu instid0(VALU_DEP_1)
	v_mov_b32_e32 v39, v38
	s_and_saveexec_b32 s13, s4
	s_cbranch_execz .LBB166_492
; %bb.487:                              ;   in Loop: Header=BB166_3 Depth=1
	ds_load_b64 v[38:39], v52 offset:12512
	ds_load_b64 v[40:41], v50 offset:12480
	s_wait_dscnt 0x0
	v_pk_mul_f32 v[42:43], v[40:41], v[38:39] op_sel:[0,1]
	s_delay_alu instid0(VALU_DEP_1) | instskip(SKIP_1) | instid1(VALU_DEP_2)
	v_pk_fma_f32 v[82:83], v[40:41], v[38:39], v[42:43] op_sel:[1,0,0] op_sel_hi:[0,0,1] neg_lo:[0,0,1] neg_hi:[0,0,1]
	v_pk_fma_f32 v[38:39], v[40:41], v[38:39], v[42:43] op_sel:[1,0,0] op_sel_hi:[0,1,1]
	v_mov_b32_e32 v39, v83
	s_delay_alu instid0(VALU_DEP_1)
	v_pk_add_f32 v[38:39], v[38:39], 0 op_sel_hi:[1,0]
	s_and_saveexec_b32 s9, s16
	s_cbranch_execnz .LBB166_1069
; %bb.488:                              ;   in Loop: Header=BB166_3 Depth=1
	s_or_b32 exec_lo, exec_lo, s9
	s_and_saveexec_b32 s9, s17
	s_cbranch_execnz .LBB166_1070
.LBB166_489:                            ;   in Loop: Header=BB166_3 Depth=1
	s_or_b32 exec_lo, exec_lo, s9
	s_and_saveexec_b32 s9, s3
	s_cbranch_execz .LBB166_491
.LBB166_490:                            ;   in Loop: Header=BB166_3 Depth=1
	ds_load_b64 v[40:41], v48 offset:14048
	ds_load_b64 v[42:43], v1 offset:12504
	s_wait_dscnt 0x0
	v_pk_mul_f32 v[82:83], v[42:43], v[40:41] op_sel:[0,1]
	s_delay_alu instid0(VALU_DEP_1) | instskip(SKIP_1) | instid1(VALU_DEP_2)
	v_pk_fma_f32 v[84:85], v[42:43], v[40:41], v[82:83] op_sel:[1,0,0] op_sel_hi:[0,0,1] neg_lo:[0,0,1] neg_hi:[0,0,1]
	v_pk_fma_f32 v[40:41], v[42:43], v[40:41], v[82:83] op_sel:[1,0,0] op_sel_hi:[0,1,1]
	v_mov_b32_e32 v41, v85
	s_delay_alu instid0(VALU_DEP_1)
	v_pk_add_f32 v[38:39], v[38:39], v[40:41]
.LBB166_491:                            ;   in Loop: Header=BB166_3 Depth=1
	s_or_b32 exec_lo, exec_lo, s9
	s_delay_alu instid0(VALU_DEP_1) | instskip(NEXT) | instid1(VALU_DEP_1)
	v_pk_add_f32 v[40:41], v[38:39], 0 neg_lo:[1,1] neg_hi:[1,1]
	v_dual_mov_b32 v38, v41 :: v_dual_mov_b32 v39, v40
.LBB166_492:                            ;   in Loop: Header=BB166_3 Depth=1
	s_or_b32 exec_lo, exec_lo, s13
	s_and_saveexec_b32 s9, s44
	s_cbranch_execz .LBB166_494
; %bb.493:                              ;   in Loop: Header=BB166_3 Depth=1
	ds_load_b64 v[40:41], v1 offset:14560
	v_dual_mov_b32 v42, v39 :: v_dual_mov_b32 v43, v38
	s_wait_dscnt 0x0
	s_delay_alu instid0(VALU_DEP_1) | instskip(NEXT) | instid1(VALU_DEP_1)
	v_dual_mul_f32 v0, v42, v40 :: v_dual_mul_f32 v82, v39, v41
	v_pk_fma_f32 v[42:43], v[42:43], v[40:41], v[0:1] op_sel_hi:[1,1,0]
	s_delay_alu instid0(VALU_DEP_2) | instskip(NEXT) | instid1(VALU_DEP_2)
	v_pk_fma_f32 v[38:39], v[38:39], v[40:41], v[82:83] op_sel_hi:[1,1,0] neg_lo:[0,0,1] neg_hi:[0,0,1]
	v_mov_b32_e32 v39, v43
	ds_store_b64 v51, v[38:39]
.LBB166_494:                            ;   in Loop: Header=BB166_3 Depth=1
	s_or_b32 exec_lo, exec_lo, s9
	s_wait_dscnt 0x0
	s_barrier_signal -1
	s_barrier_wait -1
	s_and_saveexec_b32 s9, s45
	s_cbranch_execz .LBB166_496
; %bb.495:                              ;   in Loop: Header=BB166_3 Depth=1
	ds_load_b64 v[40:41], v49 offset:14560
	ds_load_b64 v[42:43], v51
	s_wait_dscnt 0x0
	v_dual_mul_f32 v0, v43, v41 :: v_dual_mul_f32 v83, v42, v41
	s_delay_alu instid0(VALU_DEP_1) | instskip(NEXT) | instid1(VALU_DEP_1)
	v_dual_fma_f32 v82, v42, v40, -v0 :: v_dual_fmac_f32 v83, v43, v40
	v_pk_add_f32 v[38:39], v[38:39], v[82:83]
.LBB166_496:                            ;   in Loop: Header=BB166_3 Depth=1
	s_or_b32 exec_lo, exec_lo, s9
	s_barrier_signal -1
	s_barrier_wait -1
	s_and_saveexec_b32 s9, s46
	s_cbranch_execz .LBB166_498
; %bb.497:                              ;   in Loop: Header=BB166_3 Depth=1
	ds_load_b64 v[40:41], v1 offset:15080
	s_wait_dscnt 0x0
	v_pk_mul_f32 v[42:43], v[38:39], v[40:41] op_sel:[1,1] op_sel_hi:[1,0]
	s_delay_alu instid0(VALU_DEP_1) | instskip(SKIP_1) | instid1(VALU_DEP_2)
	v_pk_fma_f32 v[82:83], v[38:39], v[40:41], v[42:43] op_sel_hi:[0,1,1]
	v_pk_fma_f32 v[40:41], v[38:39], v[40:41], v[42:43] neg_lo:[0,0,1] neg_hi:[0,0,1]
	v_mov_b32_e32 v41, v83
	s_delay_alu instid0(VALU_DEP_1)
	v_mov_b64_e32 v[38:39], v[40:41]
	ds_store_b64 v51, v[40:41]
.LBB166_498:                            ;   in Loop: Header=BB166_3 Depth=1
	s_or_b32 exec_lo, exec_lo, s9
	s_wait_dscnt 0x0
	s_barrier_signal -1
	s_barrier_wait -1
	s_and_saveexec_b32 s9, s47
	s_cbranch_execz .LBB166_500
; %bb.499:                              ;   in Loop: Header=BB166_3 Depth=1
	ds_load_b64 v[40:41], v49 offset:15072
	ds_load_b64 v[42:43], v51
	s_wait_dscnt 0x0
	v_pk_mul_f32 v[82:83], v[42:43], v[40:41] op_sel:[1,1] op_sel_hi:[0,1]
	s_delay_alu instid0(VALU_DEP_1) | instskip(SKIP_1) | instid1(VALU_DEP_2)
	v_pk_fma_f32 v[84:85], v[42:43], v[40:41], v[82:83] op_sel_hi:[1,0,1]
	v_pk_fma_f32 v[40:41], v[42:43], v[40:41], v[82:83] neg_lo:[0,0,1] neg_hi:[0,0,1]
	v_mov_b32_e32 v41, v85
	s_delay_alu instid0(VALU_DEP_1)
	v_pk_add_f32 v[38:39], v[38:39], v[40:41]
.LBB166_500:                            ;   in Loop: Header=BB166_3 Depth=1
	s_or_b32 exec_lo, exec_lo, s9
	s_barrier_signal -1
	s_barrier_wait -1
	s_and_saveexec_b32 s9, s48
	s_cbranch_execz .LBB166_502
; %bb.501:                              ;   in Loop: Header=BB166_3 Depth=1
	ds_load_b64 v[40:41], v1 offset:15600
	s_wait_dscnt 0x0
	v_pk_mul_f32 v[42:43], v[38:39], v[40:41] op_sel:[1,1] op_sel_hi:[1,0]
	s_delay_alu instid0(VALU_DEP_1) | instskip(SKIP_1) | instid1(VALU_DEP_2)
	v_pk_fma_f32 v[82:83], v[38:39], v[40:41], v[42:43] op_sel_hi:[0,1,1]
	v_pk_fma_f32 v[40:41], v[38:39], v[40:41], v[42:43] neg_lo:[0,0,1] neg_hi:[0,0,1]
	v_mov_b32_e32 v41, v83
	s_delay_alu instid0(VALU_DEP_1)
	v_mov_b64_e32 v[38:39], v[40:41]
	ds_store_b64 v51, v[40:41]
.LBB166_502:                            ;   in Loop: Header=BB166_3 Depth=1
	s_or_b32 exec_lo, exec_lo, s9
	s_wait_dscnt 0x0
	s_barrier_signal -1
	s_barrier_wait -1
	s_and_saveexec_b32 s9, s49
	s_cbranch_execz .LBB166_504
; %bb.503:                              ;   in Loop: Header=BB166_3 Depth=1
	ds_load_b64 v[40:41], v1 offset:15608
	ds_load_b64 v[42:43], v51
	s_wait_dscnt 0x0
	v_pk_mul_f32 v[82:83], v[42:43], v[40:41] op_sel:[1,1] op_sel_hi:[0,1]
	s_delay_alu instid0(VALU_DEP_1) | instskip(SKIP_1) | instid1(VALU_DEP_2)
	v_pk_fma_f32 v[84:85], v[42:43], v[40:41], v[82:83] op_sel_hi:[1,0,1]
	v_pk_fma_f32 v[40:41], v[42:43], v[40:41], v[82:83] neg_lo:[0,0,1] neg_hi:[0,0,1]
	v_mov_b32_e32 v41, v85
	s_delay_alu instid0(VALU_DEP_1)
	v_pk_add_f32 v[38:39], v[38:39], v[40:41]
.LBB166_504:                            ;   in Loop: Header=BB166_3 Depth=1
	s_or_b32 exec_lo, exec_lo, s9
	s_barrier_signal -1
	s_barrier_wait -1
	s_and_saveexec_b32 s9, s49
	s_cbranch_execz .LBB166_506
; %bb.505:                              ;   in Loop: Header=BB166_3 Depth=1
	ds_load_b64 v[40:41], v1 offset:16120
	s_wait_dscnt 0x0
	v_pk_mul_f32 v[42:43], v[38:39], v[40:41] op_sel:[1,1] op_sel_hi:[1,0]
	s_delay_alu instid0(VALU_DEP_1) | instskip(SKIP_1) | instid1(VALU_DEP_2)
	v_pk_fma_f32 v[82:83], v[38:39], v[40:41], v[42:43] op_sel_hi:[0,1,1]
	v_pk_fma_f32 v[40:41], v[38:39], v[40:41], v[42:43] neg_lo:[0,0,1] neg_hi:[0,0,1]
	v_mov_b32_e32 v41, v83
	s_delay_alu instid0(VALU_DEP_1)
	v_mov_b64_e32 v[38:39], v[40:41]
	ds_store_b64 v51, v[40:41]
.LBB166_506:                            ;   in Loop: Header=BB166_3 Depth=1
	s_or_b32 exec_lo, exec_lo, s9
	s_wait_dscnt 0x0
	s_barrier_signal -1
	s_barrier_wait -1
	s_barrier_signal -1
	s_barrier_wait -1
	s_and_saveexec_b32 s9, s4
; %bb.507:                              ;   in Loop: Header=BB166_3 Depth=1
	v_pk_add_f32 v[38:39], v[38:39], 0 neg_lo:[1,1] neg_hi:[1,1]
	ds_store_b64 v52, v[38:39] offset:12512
; %bb.508:                              ;   in Loop: Header=BB166_3 Depth=1
	s_or_b32 exec_lo, exec_lo, s9
	s_wait_dscnt 0x0
	s_barrier_signal -1
	s_barrier_wait -1
	s_barrier_signal -1
	s_barrier_wait -1
	s_and_saveexec_b32 s13, s14
	s_cbranch_execz .LBB166_510
; %bb.509:                              ;   in Loop: Header=BB166_3 Depth=1
	ds_load_b128 v[38:41], v1 offset:14560
	ds_load_b64 v[42:43], v1 offset:15080
	s_wait_dscnt 0x1
	v_dual_mov_b32 v82, v41 :: v_dual_mov_b32 v83, v40
	s_wait_dscnt 0x0
	v_dual_mul_f32 v81, v43, v39 :: v_dual_mul_f32 v0, v42, v39
	s_delay_alu instid0(VALU_DEP_1) | instskip(NEXT) | instid1(VALU_DEP_2)
	v_xor_b32_e32 v84, 0x80000000, v81
	v_fmac_f32_e32 v0, v43, v38
	s_delay_alu instid0(VALU_DEP_2) | instskip(NEXT) | instid1(VALU_DEP_2)
	v_fmac_f32_e32 v84, v42, v38
	v_pk_mul_f32 v[38:39], v[0:1], v[82:83] op_sel_hi:[0,1]
	s_delay_alu instid0(VALU_DEP_1) | instskip(SKIP_1) | instid1(VALU_DEP_2)
	v_pk_fma_f32 v[42:43], v[84:85], v[40:41], v[38:39] op_sel_hi:[0,1,1]
	v_pk_fma_f32 v[38:39], v[84:85], v[40:41], v[38:39] neg_lo:[0,0,1] neg_hi:[0,0,1]
	v_mov_b32_e32 v39, v43
	ds_store_b64 v1, v[38:39] offset:14568
.LBB166_510:                            ;   in Loop: Header=BB166_3 Depth=1
	s_or_b32 exec_lo, exec_lo, s13
	v_mov_b32_e32 v39, 0
	s_wait_dscnt 0x0
	s_barrier_signal -1
	s_barrier_wait -1
	s_delay_alu instid0(VALU_DEP_1)
	v_mov_b32_e32 v38, v39
	s_and_saveexec_b32 s13, s3
	s_cbranch_execz .LBB166_514
; %bb.511:                              ;   in Loop: Header=BB166_3 Depth=1
	ds_load_b64 v[38:39], v46 offset:14576
	ds_load_b64 v[40:41], v47 offset:14560
	s_wait_dscnt 0x0
	v_dual_mul_f32 v0, v41, v39 :: v_dual_mul_f32 v43, v40, v39
	s_delay_alu instid0(VALU_DEP_1) | instskip(NEXT) | instid1(VALU_DEP_1)
	v_dual_fma_f32 v42, v40, v38, -v0 :: v_dual_fmac_f32 v43, v41, v38
	v_pk_add_f32 v[38:39], v[42:43], 0 op_sel_hi:[1,0]
	s_and_saveexec_b32 s9, s15
	s_cbranch_execz .LBB166_513
; %bb.512:                              ;   in Loop: Header=BB166_3 Depth=1
	ds_load_b64 v[40:41], v48 offset:15088
	ds_load_b64 v[42:43], v1 offset:14568
	s_wait_dscnt 0x0
	v_pk_mul_f32 v[82:83], v[42:43], v[40:41] op_sel:[1,1] op_sel_hi:[0,1]
	s_delay_alu instid0(VALU_DEP_1) | instskip(SKIP_1) | instid1(VALU_DEP_2)
	v_pk_fma_f32 v[84:85], v[42:43], v[40:41], v[82:83] op_sel_hi:[1,0,1]
	v_pk_fma_f32 v[40:41], v[42:43], v[40:41], v[82:83] neg_lo:[0,0,1] neg_hi:[0,0,1]
	v_mov_b32_e32 v41, v85
	s_delay_alu instid0(VALU_DEP_1)
	v_pk_add_f32 v[38:39], v[38:39], v[40:41]
.LBB166_513:                            ;   in Loop: Header=BB166_3 Depth=1
	s_or_b32 exec_lo, exec_lo, s9
	s_delay_alu instid0(VALU_DEP_1)
	v_pk_add_f32 v[38:39], v[38:39], 0 neg_lo:[1,1] neg_hi:[1,1]
.LBB166_514:                            ;   in Loop: Header=BB166_3 Depth=1
	s_or_b32 exec_lo, exec_lo, s13
	s_and_saveexec_b32 s9, vcc_hi
	s_cbranch_execz .LBB166_516
; %bb.515:                              ;   in Loop: Header=BB166_3 Depth=1
	ds_load_b64 v[40:41], v1 offset:15600
	s_wait_dscnt 0x0
	v_pk_mul_f32 v[42:43], v[38:39], v[40:41] op_sel:[1,1] op_sel_hi:[1,0]
	s_delay_alu instid0(VALU_DEP_1) | instskip(SKIP_1) | instid1(VALU_DEP_2)
	v_pk_fma_f32 v[82:83], v[38:39], v[40:41], v[42:43] op_sel_hi:[0,1,1]
	v_pk_fma_f32 v[40:41], v[38:39], v[40:41], v[42:43] neg_lo:[0,0,1] neg_hi:[0,0,1]
	v_mov_b32_e32 v41, v83
	s_delay_alu instid0(VALU_DEP_1)
	v_mov_b64_e32 v[38:39], v[40:41]
	ds_store_b64 v3, v[40:41]
.LBB166_516:                            ;   in Loop: Header=BB166_3 Depth=1
	s_or_b32 exec_lo, exec_lo, s9
	s_wait_dscnt 0x0
	s_barrier_signal -1
	s_barrier_wait -1
	s_and_saveexec_b32 s9, s43
	s_cbranch_execz .LBB166_518
; %bb.517:                              ;   in Loop: Header=BB166_3 Depth=1
	ds_load_b64 v[40:41], v1 offset:15608
	ds_load_b64 v[42:43], v3
	s_wait_dscnt 0x0
	v_pk_mul_f32 v[82:83], v[42:43], v[40:41] op_sel:[1,1] op_sel_hi:[0,1]
	s_delay_alu instid0(VALU_DEP_1) | instskip(SKIP_1) | instid1(VALU_DEP_2)
	v_pk_fma_f32 v[84:85], v[42:43], v[40:41], v[82:83] op_sel_hi:[1,0,1]
	v_pk_fma_f32 v[40:41], v[42:43], v[40:41], v[82:83] neg_lo:[0,0,1] neg_hi:[0,0,1]
	v_mov_b32_e32 v41, v85
	s_delay_alu instid0(VALU_DEP_1)
	v_pk_add_f32 v[38:39], v[38:39], v[40:41]
.LBB166_518:                            ;   in Loop: Header=BB166_3 Depth=1
	s_or_b32 exec_lo, exec_lo, s9
	s_barrier_signal -1
	s_barrier_wait -1
	s_and_saveexec_b32 s9, s43
	s_cbranch_execz .LBB166_520
; %bb.519:                              ;   in Loop: Header=BB166_3 Depth=1
	ds_load_b64 v[40:41], v1 offset:16120
	s_wait_dscnt 0x0
	v_pk_mul_f32 v[42:43], v[38:39], v[40:41] op_sel:[1,1] op_sel_hi:[1,0]
	s_delay_alu instid0(VALU_DEP_1) | instskip(SKIP_1) | instid1(VALU_DEP_2)
	v_pk_fma_f32 v[82:83], v[38:39], v[40:41], v[42:43] op_sel_hi:[0,1,1]
	v_pk_fma_f32 v[40:41], v[38:39], v[40:41], v[42:43] neg_lo:[0,0,1] neg_hi:[0,0,1]
	v_mov_b32_e32 v41, v83
	s_delay_alu instid0(VALU_DEP_1)
	v_mov_b64_e32 v[38:39], v[40:41]
	ds_store_b64 v3, v[40:41]
.LBB166_520:                            ;   in Loop: Header=BB166_3 Depth=1
	s_or_b32 exec_lo, exec_lo, s9
	s_wait_dscnt 0x0
	s_barrier_signal -1
	s_barrier_wait -1
	s_barrier_signal -1
	s_barrier_wait -1
	s_and_saveexec_b32 s9, s3
; %bb.521:                              ;   in Loop: Header=BB166_3 Depth=1
	v_pk_add_f32 v[38:39], v[38:39], 0 neg_lo:[1,1] neg_hi:[1,1]
	ds_store_b64 v46, v[38:39] offset:14576
; %bb.522:                              ;   in Loop: Header=BB166_3 Depth=1
	s_or_b32 exec_lo, exec_lo, s9
	s_wait_dscnt 0x0
	s_barrier_signal -1
	s_barrier_wait -1
	s_barrier_signal -1
	s_barrier_wait -1
	s_and_saveexec_b32 s13, s14
	s_cbranch_execz .LBB166_524
; %bb.523:                              ;   in Loop: Header=BB166_3 Depth=1
	ds_load_b128 v[38:41], v1 offset:15600
	ds_load_b64 v[42:43], v1 offset:16120
	s_wait_dscnt 0x1
	v_dual_mov_b32 v82, v41 :: v_dual_mov_b32 v83, v40
	s_wait_dscnt 0x0
	v_dual_mul_f32 v81, v43, v39 :: v_dual_mul_f32 v0, v42, v39
	s_delay_alu instid0(VALU_DEP_1) | instskip(NEXT) | instid1(VALU_DEP_2)
	v_xor_b32_e32 v84, 0x80000000, v81
	v_fmac_f32_e32 v0, v43, v38
	s_delay_alu instid0(VALU_DEP_2) | instskip(NEXT) | instid1(VALU_DEP_2)
	v_fmac_f32_e32 v84, v42, v38
	v_pk_mul_f32 v[38:39], v[0:1], v[82:83] op_sel_hi:[0,1]
	s_delay_alu instid0(VALU_DEP_1) | instskip(SKIP_1) | instid1(VALU_DEP_2)
	v_pk_fma_f32 v[42:43], v[84:85], v[40:41], v[38:39] op_sel_hi:[0,1,1]
	v_pk_fma_f32 v[38:39], v[84:85], v[40:41], v[38:39] neg_lo:[0,0,1] neg_hi:[0,0,1]
	v_mov_b32_e32 v39, v43
	ds_store_b64 v1, v[38:39] offset:15608
.LBB166_524:                            ;   in Loop: Header=BB166_3 Depth=1
	s_or_b32 exec_lo, exec_lo, s13
	v_mov_b64_e32 v[38:39], 0
	s_wait_dscnt 0x0
	s_barrier_signal -1
	s_barrier_wait -1
	s_and_saveexec_b32 s70, s35
	s_cbranch_execz .LBB166_585
; %bb.525:                              ;   in Loop: Header=BB166_3 Depth=1
	v_dual_add_nc_u32 v40, v68, v67 :: v_dual_add_nc_u32 v0, v67, v64
	v_readlane_b32 s1, v91, 16
	ds_load_b64 v[38:39], v40 offset:256
	ds_load_b64 v[42:43], v0
	s_wait_dscnt 0x0
	v_pk_mul_f32 v[82:83], v[42:43], v[38:39] op_sel:[1,1] op_sel_hi:[0,1]
	s_delay_alu instid0(VALU_DEP_1) | instskip(SKIP_1) | instid1(VALU_DEP_2)
	v_pk_fma_f32 v[84:85], v[42:43], v[38:39], v[82:83] op_sel_hi:[1,0,1]
	v_pk_fma_f32 v[38:39], v[42:43], v[38:39], v[82:83] neg_lo:[0,0,1] neg_hi:[0,0,1]
	v_mov_b32_e32 v39, v85
	s_delay_alu instid0(VALU_DEP_1)
	v_pk_add_f32 v[38:39], v[38:39], 0 op_sel_hi:[1,0]
	s_and_saveexec_b32 s9, s1
	s_cbranch_execz .LBB166_527
; %bb.526:                              ;   in Loop: Header=BB166_3 Depth=1
	ds_load_b64 v[42:43], v40 offset:768
	ds_load_b64 v[82:83], v0 offset:8
	s_wait_dscnt 0x0
	v_pk_mul_f32 v[84:85], v[82:83], v[42:43] op_sel:[1,1] op_sel_hi:[0,1]
	s_delay_alu instid0(VALU_DEP_1) | instskip(SKIP_1) | instid1(VALU_DEP_2)
	v_pk_fma_f32 v[86:87], v[82:83], v[42:43], v[84:85] op_sel_hi:[1,0,1]
	v_pk_fma_f32 v[42:43], v[82:83], v[42:43], v[84:85] neg_lo:[0,0,1] neg_hi:[0,0,1]
	v_mov_b32_e32 v43, v87
	s_delay_alu instid0(VALU_DEP_1)
	v_pk_add_f32 v[38:39], v[38:39], v[42:43]
.LBB166_527:                            ;   in Loop: Header=BB166_3 Depth=1
	s_or_b32 exec_lo, exec_lo, s9
	v_readlane_b32 s1, v91, 17
	s_and_saveexec_b32 s9, s1
	s_cbranch_execz .LBB166_529
; %bb.528:                              ;   in Loop: Header=BB166_3 Depth=1
	ds_load_b64 v[42:43], v40 offset:1280
	ds_load_b64 v[82:83], v0 offset:16
	s_wait_dscnt 0x0
	v_pk_mul_f32 v[84:85], v[82:83], v[42:43] op_sel:[1,1] op_sel_hi:[0,1]
	s_delay_alu instid0(VALU_DEP_1) | instskip(SKIP_1) | instid1(VALU_DEP_2)
	v_pk_fma_f32 v[86:87], v[82:83], v[42:43], v[84:85] op_sel_hi:[1,0,1]
	v_pk_fma_f32 v[42:43], v[82:83], v[42:43], v[84:85] neg_lo:[0,0,1] neg_hi:[0,0,1]
	v_mov_b32_e32 v43, v87
	s_delay_alu instid0(VALU_DEP_1)
	v_pk_add_f32 v[38:39], v[38:39], v[42:43]
.LBB166_529:                            ;   in Loop: Header=BB166_3 Depth=1
	s_or_b32 exec_lo, exec_lo, s9
	v_readlane_b32 s1, v91, 18
	;; [unrolled: 16-line block ×22, first 2 shown]
	s_and_saveexec_b32 s9, s1
	s_cbranch_execz .LBB166_571
; %bb.570:                              ;   in Loop: Header=BB166_3 Depth=1
	ds_load_b64 v[42:43], v40 offset:12032
	ds_load_b64 v[82:83], v0 offset:184
	s_wait_dscnt 0x0
	v_pk_mul_f32 v[84:85], v[82:83], v[42:43] op_sel:[1,1] op_sel_hi:[0,1]
	s_delay_alu instid0(VALU_DEP_1) | instskip(SKIP_1) | instid1(VALU_DEP_2)
	v_pk_fma_f32 v[86:87], v[82:83], v[42:43], v[84:85] op_sel_hi:[1,0,1]
	v_pk_fma_f32 v[42:43], v[82:83], v[42:43], v[84:85] neg_lo:[0,0,1] neg_hi:[0,0,1]
	v_mov_b32_e32 v43, v87
	s_delay_alu instid0(VALU_DEP_1)
	v_pk_add_f32 v[38:39], v[38:39], v[42:43]
.LBB166_571:                            ;   in Loop: Header=BB166_3 Depth=1
	s_or_b32 exec_lo, exec_lo, s9
	s_and_saveexec_b32 s9, s6
	s_cbranch_execz .LBB166_573
; %bb.572:                              ;   in Loop: Header=BB166_3 Depth=1
	ds_load_b64 v[42:43], v40 offset:12544
	ds_load_b64 v[82:83], v0 offset:192
	s_wait_dscnt 0x0
	v_pk_mul_f32 v[84:85], v[82:83], v[42:43] op_sel:[1,1] op_sel_hi:[0,1]
	s_delay_alu instid0(VALU_DEP_1) | instskip(SKIP_1) | instid1(VALU_DEP_2)
	v_pk_fma_f32 v[86:87], v[82:83], v[42:43], v[84:85] op_sel_hi:[1,0,1]
	v_pk_fma_f32 v[42:43], v[82:83], v[42:43], v[84:85] neg_lo:[0,0,1] neg_hi:[0,0,1]
	v_mov_b32_e32 v43, v87
	s_delay_alu instid0(VALU_DEP_1)
	v_pk_add_f32 v[38:39], v[38:39], v[42:43]
.LBB166_573:                            ;   in Loop: Header=BB166_3 Depth=1
	s_or_b32 exec_lo, exec_lo, s9
	v_readlane_b32 s1, v92, 30
	s_and_saveexec_b32 s9, s1
	s_cbranch_execz .LBB166_575
; %bb.574:                              ;   in Loop: Header=BB166_3 Depth=1
	ds_load_b64 v[42:43], v40 offset:13056
	ds_load_b64 v[82:83], v0 offset:200
	s_wait_dscnt 0x0
	v_pk_mul_f32 v[84:85], v[82:83], v[42:43] op_sel:[1,1] op_sel_hi:[0,1]
	s_delay_alu instid0(VALU_DEP_1) | instskip(SKIP_1) | instid1(VALU_DEP_2)
	v_pk_fma_f32 v[86:87], v[82:83], v[42:43], v[84:85] op_sel_hi:[1,0,1]
	v_pk_fma_f32 v[42:43], v[82:83], v[42:43], v[84:85] neg_lo:[0,0,1] neg_hi:[0,0,1]
	v_mov_b32_e32 v43, v87
	s_delay_alu instid0(VALU_DEP_1)
	v_pk_add_f32 v[38:39], v[38:39], v[42:43]
.LBB166_575:                            ;   in Loop: Header=BB166_3 Depth=1
	s_or_b32 exec_lo, exec_lo, s9
	v_readlane_b32 s1, v91, 0
	s_and_saveexec_b32 s9, s1
	s_cbranch_execz .LBB166_577
; %bb.576:                              ;   in Loop: Header=BB166_3 Depth=1
	ds_load_b64 v[42:43], v40 offset:13568
	ds_load_b64 v[82:83], v0 offset:208
	s_wait_dscnt 0x0
	v_pk_mul_f32 v[84:85], v[82:83], v[42:43] op_sel:[1,1] op_sel_hi:[0,1]
	s_delay_alu instid0(VALU_DEP_1) | instskip(SKIP_1) | instid1(VALU_DEP_2)
	v_pk_fma_f32 v[86:87], v[82:83], v[42:43], v[84:85] op_sel_hi:[1,0,1]
	v_pk_fma_f32 v[42:43], v[82:83], v[42:43], v[84:85] neg_lo:[0,0,1] neg_hi:[0,0,1]
	v_mov_b32_e32 v43, v87
	s_delay_alu instid0(VALU_DEP_1)
	v_pk_add_f32 v[38:39], v[38:39], v[42:43]
.LBB166_577:                            ;   in Loop: Header=BB166_3 Depth=1
	s_or_b32 exec_lo, exec_lo, s9
	v_readlane_b32 s1, v91, 2
	s_and_saveexec_b32 s9, s1
	s_cbranch_execz .LBB166_579
; %bb.578:                              ;   in Loop: Header=BB166_3 Depth=1
	ds_load_b64 v[42:43], v40 offset:14080
	ds_load_b64 v[82:83], v0 offset:216
	s_wait_dscnt 0x0
	v_pk_mul_f32 v[84:85], v[82:83], v[42:43] op_sel:[1,1] op_sel_hi:[0,1]
	s_delay_alu instid0(VALU_DEP_1) | instskip(SKIP_1) | instid1(VALU_DEP_2)
	v_pk_fma_f32 v[86:87], v[82:83], v[42:43], v[84:85] op_sel_hi:[1,0,1]
	v_pk_fma_f32 v[42:43], v[82:83], v[42:43], v[84:85] neg_lo:[0,0,1] neg_hi:[0,0,1]
	v_mov_b32_e32 v43, v87
	s_delay_alu instid0(VALU_DEP_1)
	v_pk_add_f32 v[38:39], v[38:39], v[42:43]
.LBB166_579:                            ;   in Loop: Header=BB166_3 Depth=1
	s_or_b32 exec_lo, exec_lo, s9
	v_readlane_b32 s1, v91, 4
	s_and_saveexec_b32 s9, s1
	s_cbranch_execnz .LBB166_1071
; %bb.580:                              ;   in Loop: Header=BB166_3 Depth=1
	s_or_b32 exec_lo, exec_lo, s9
	s_and_saveexec_b32 s9, s0
	s_cbranch_execnz .LBB166_1072
.LBB166_581:                            ;   in Loop: Header=BB166_3 Depth=1
	s_or_b32 exec_lo, exec_lo, s9
	s_and_saveexec_b32 s9, s5
	s_cbranch_execnz .LBB166_1073
.LBB166_582:                            ;   in Loop: Header=BB166_3 Depth=1
	s_or_b32 exec_lo, exec_lo, s9
	s_and_saveexec_b32 s9, s21
	s_cbranch_execz .LBB166_584
.LBB166_583:                            ;   in Loop: Header=BB166_3 Depth=1
	ds_load_b64 v[40:41], v68 offset:16128
	ds_load_b64 v[42:43], v0 offset:248
	s_wait_dscnt 0x0
	v_pk_mul_f32 v[82:83], v[42:43], v[40:41] op_sel:[1,1] op_sel_hi:[0,1]
	s_delay_alu instid0(VALU_DEP_1) | instskip(SKIP_1) | instid1(VALU_DEP_2)
	v_pk_fma_f32 v[84:85], v[42:43], v[40:41], v[82:83] op_sel_hi:[1,0,1]
	v_pk_fma_f32 v[40:41], v[42:43], v[40:41], v[82:83] neg_lo:[0,0,1] neg_hi:[0,0,1]
	v_mov_b32_e32 v41, v85
	s_delay_alu instid0(VALU_DEP_1)
	v_pk_add_f32 v[38:39], v[38:39], v[40:41]
.LBB166_584:                            ;   in Loop: Header=BB166_3 Depth=1
	s_or_b32 exec_lo, exec_lo, s9
	s_delay_alu instid0(VALU_DEP_1)
	v_pk_add_f32 v[38:39], v[38:39], 0 neg_lo:[1,1] neg_hi:[1,1]
.LBB166_585:                            ;   in Loop: Header=BB166_3 Depth=1
	s_or_b32 exec_lo, exec_lo, s70
	v_dual_mov_b32 v0, v65 :: v_dual_mov_b32 v40, v80
	s_mov_b32 s13, 0
	s_branch .LBB166_587
.LBB166_586:                            ;   in Loop: Header=BB166_587 Depth=2
	s_or_b32 exec_lo, exec_lo, s9
	v_add_nc_u32_e32 v40, 0x400, v40
	v_add_nc_u32_e32 v0, -2, v0
	s_add_co_i32 s13, s13, 2
	s_delay_alu instid0(SALU_CYCLE_1)
	s_cmp_eq_u32 s13, 32
	s_barrier_signal -1
	s_barrier_wait -1
	s_cbranch_scc1 .LBB166_595
.LBB166_587:                            ;   Parent Loop BB166_3 Depth=1
                                        ; =>  This Inner Loop Header: Depth=2
	s_delay_alu instid0(VALU_DEP_1) | instskip(SKIP_1) | instid1(SALU_CYCLE_1)
	v_cmp_eq_u32_e32 vcc_lo, 0, v0
	s_and_b32 s70, s12, vcc_lo
	s_and_saveexec_b32 s9, s70
	s_cbranch_execz .LBB166_589
; %bb.588:                              ;   in Loop: Header=BB166_587 Depth=2
	ds_load_b64 v[42:43], v77 offset:16640
	s_wait_dscnt 0x0
	v_pk_mul_f32 v[82:83], v[38:39], v[42:43] op_sel:[1,1] op_sel_hi:[1,0]
	s_delay_alu instid0(VALU_DEP_1) | instskip(SKIP_1) | instid1(VALU_DEP_2)
	v_pk_fma_f32 v[84:85], v[38:39], v[42:43], v[82:83] op_sel_hi:[0,1,1]
	v_pk_fma_f32 v[42:43], v[38:39], v[42:43], v[82:83] neg_lo:[0,0,1] neg_hi:[0,0,1]
	v_mov_b32_e32 v43, v85
	s_delay_alu instid0(VALU_DEP_1)
	v_mov_b64_e32 v[38:39], v[42:43]
	ds_store_b64 v66, v[42:43]
.LBB166_589:                            ;   in Loop: Header=BB166_587 Depth=2
	s_or_b32 exec_lo, exec_lo, s9
	v_cmp_lt_u32_e32 vcc_lo, s13, v65
	s_wait_dscnt 0x0
	s_barrier_signal -1
	s_barrier_wait -1
	s_and_b32 s70, s12, vcc_lo
	s_delay_alu instid0(SALU_CYCLE_1)
	s_and_saveexec_b32 s9, s70
	s_cbranch_execz .LBB166_591
; %bb.590:                              ;   in Loop: Header=BB166_587 Depth=2
	ds_load_b64 v[42:43], v40
	ds_load_b64 v[82:83], v66
	s_wait_dscnt 0x0
	v_pk_mul_f32 v[84:85], v[82:83], v[42:43] op_sel:[1,1] op_sel_hi:[0,1]
	s_delay_alu instid0(VALU_DEP_1) | instskip(SKIP_1) | instid1(VALU_DEP_2)
	v_pk_fma_f32 v[86:87], v[82:83], v[42:43], v[84:85] op_sel_hi:[1,0,1]
	v_pk_fma_f32 v[42:43], v[82:83], v[42:43], v[84:85] neg_lo:[0,0,1] neg_hi:[0,0,1]
	v_mov_b32_e32 v43, v87
	s_delay_alu instid0(VALU_DEP_1)
	v_pk_add_f32 v[38:39], v[38:39], v[42:43]
.LBB166_591:                            ;   in Loop: Header=BB166_587 Depth=2
	s_or_b32 exec_lo, exec_lo, s9
	s_or_b32 s9, s13, 1
	s_delay_alu instid0(SALU_CYCLE_1) | instskip(SKIP_3) | instid1(SALU_CYCLE_1)
	v_cmp_eq_u32_e32 vcc_lo, s9, v65
	s_barrier_signal -1
	s_barrier_wait -1
	s_and_b32 s98, s12, vcc_lo
	s_and_saveexec_b32 s70, s98
	s_cbranch_execz .LBB166_593
; %bb.592:                              ;   in Loop: Header=BB166_587 Depth=2
	ds_load_b64 v[42:43], v77 offset:16640
	s_wait_dscnt 0x0
	v_pk_mul_f32 v[82:83], v[38:39], v[42:43] op_sel:[1,1] op_sel_hi:[1,0]
	s_delay_alu instid0(VALU_DEP_1) | instskip(SKIP_1) | instid1(VALU_DEP_2)
	v_pk_fma_f32 v[84:85], v[38:39], v[42:43], v[82:83] op_sel_hi:[0,1,1]
	v_pk_fma_f32 v[42:43], v[38:39], v[42:43], v[82:83] neg_lo:[0,0,1] neg_hi:[0,0,1]
	v_mov_b32_e32 v43, v85
	s_delay_alu instid0(VALU_DEP_1)
	v_mov_b64_e32 v[38:39], v[42:43]
	ds_store_b64 v66, v[42:43]
.LBB166_593:                            ;   in Loop: Header=BB166_587 Depth=2
	s_or_b32 exec_lo, exec_lo, s70
	v_cmp_lt_u32_e32 vcc_lo, s9, v65
	s_wait_dscnt 0x0
	s_barrier_signal -1
	s_barrier_wait -1
	s_and_b32 s70, s12, vcc_lo
	s_delay_alu instid0(SALU_CYCLE_1)
	s_and_saveexec_b32 s9, s70
	s_cbranch_execz .LBB166_586
; %bb.594:                              ;   in Loop: Header=BB166_587 Depth=2
	ds_load_b64 v[42:43], v40 offset:512
	ds_load_b64 v[82:83], v66
	s_wait_dscnt 0x0
	v_pk_mul_f32 v[84:85], v[82:83], v[42:43] op_sel:[1,1] op_sel_hi:[0,1]
	s_delay_alu instid0(VALU_DEP_1) | instskip(SKIP_1) | instid1(VALU_DEP_2)
	v_pk_fma_f32 v[86:87], v[82:83], v[42:43], v[84:85] op_sel_hi:[1,0,1]
	v_pk_fma_f32 v[42:43], v[82:83], v[42:43], v[84:85] neg_lo:[0,0,1] neg_hi:[0,0,1]
	v_mov_b32_e32 v43, v87
	s_delay_alu instid0(VALU_DEP_1)
	v_pk_add_f32 v[38:39], v[38:39], v[42:43]
	s_branch .LBB166_586
.LBB166_595:                            ;   in Loop: Header=BB166_3 Depth=1
	s_and_saveexec_b32 s9, s35
; %bb.596:                              ;   in Loop: Header=BB166_3 Depth=1
	v_pk_add_f32 v[38:39], v[38:39], 0 neg_lo:[1,1] neg_hi:[1,1]
	ds_store_b64 v5, v[38:39] offset:256
; %bb.597:                              ;   in Loop: Header=BB166_3 Depth=1
	s_or_b32 exec_lo, exec_lo, s9
	s_wait_dscnt 0x0
	s_barrier_signal -1
	s_barrier_wait -1
	s_barrier_signal -1
	s_barrier_wait -1
	s_and_saveexec_b32 s13, s14
	s_cbranch_execz .LBB166_599
; %bb.598:                              ;   in Loop: Header=BB166_3 Depth=1
	ds_load_b128 v[38:41], v1 offset:16640
	ds_load_b64 v[42:43], v1 offset:17160
	s_wait_dscnt 0x1
	v_dual_mov_b32 v82, v41 :: v_dual_mov_b32 v83, v40
	s_wait_dscnt 0x0
	v_dual_mul_f32 v81, v43, v39 :: v_dual_mul_f32 v0, v42, v39
	s_delay_alu instid0(VALU_DEP_1) | instskip(NEXT) | instid1(VALU_DEP_2)
	v_xor_b32_e32 v84, 0x80000000, v81
	v_fmac_f32_e32 v0, v43, v38
	s_delay_alu instid0(VALU_DEP_2) | instskip(NEXT) | instid1(VALU_DEP_2)
	v_fmac_f32_e32 v84, v42, v38
	v_pk_mul_f32 v[38:39], v[0:1], v[82:83] op_sel_hi:[0,1]
	s_delay_alu instid0(VALU_DEP_1) | instskip(SKIP_1) | instid1(VALU_DEP_2)
	v_pk_fma_f32 v[42:43], v[84:85], v[40:41], v[38:39] op_sel_hi:[0,1,1]
	v_pk_fma_f32 v[38:39], v[84:85], v[40:41], v[38:39] neg_lo:[0,0,1] neg_hi:[0,0,1]
	v_mov_b32_e32 v39, v43
	ds_store_b64 v1, v[38:39] offset:16648
.LBB166_599:                            ;   in Loop: Header=BB166_3 Depth=1
	s_or_b32 exec_lo, exec_lo, s13
	v_mov_b32_e32 v39, 0
	s_wait_dscnt 0x0
	s_barrier_signal -1
	s_barrier_wait -1
	s_delay_alu instid0(VALU_DEP_1)
	v_mov_b32_e32 v38, v39
	s_and_saveexec_b32 s13, s3
	s_cbranch_execz .LBB166_603
; %bb.600:                              ;   in Loop: Header=BB166_3 Depth=1
	ds_load_b64 v[38:39], v46 offset:16656
	ds_load_b64 v[40:41], v47 offset:16640
	s_wait_dscnt 0x0
	v_dual_mul_f32 v0, v41, v39 :: v_dual_mul_f32 v43, v40, v39
	s_delay_alu instid0(VALU_DEP_1) | instskip(NEXT) | instid1(VALU_DEP_1)
	v_dual_fma_f32 v42, v40, v38, -v0 :: v_dual_fmac_f32 v43, v41, v38
	v_pk_add_f32 v[38:39], v[42:43], 0 op_sel_hi:[1,0]
	s_and_saveexec_b32 s9, s15
	s_cbranch_execz .LBB166_602
; %bb.601:                              ;   in Loop: Header=BB166_3 Depth=1
	ds_load_b64 v[40:41], v48 offset:17168
	ds_load_b64 v[42:43], v1 offset:16648
	s_wait_dscnt 0x0
	v_pk_mul_f32 v[82:83], v[42:43], v[40:41] op_sel:[1,1] op_sel_hi:[0,1]
	s_delay_alu instid0(VALU_DEP_1) | instskip(SKIP_1) | instid1(VALU_DEP_2)
	v_pk_fma_f32 v[84:85], v[42:43], v[40:41], v[82:83] op_sel_hi:[1,0,1]
	v_pk_fma_f32 v[40:41], v[42:43], v[40:41], v[82:83] neg_lo:[0,0,1] neg_hi:[0,0,1]
	v_mov_b32_e32 v41, v85
	s_delay_alu instid0(VALU_DEP_1)
	v_pk_add_f32 v[38:39], v[38:39], v[40:41]
.LBB166_602:                            ;   in Loop: Header=BB166_3 Depth=1
	s_or_b32 exec_lo, exec_lo, s9
	s_delay_alu instid0(VALU_DEP_1)
	v_pk_add_f32 v[38:39], v[38:39], 0 neg_lo:[1,1] neg_hi:[1,1]
.LBB166_603:                            ;   in Loop: Header=BB166_3 Depth=1
	s_or_b32 exec_lo, exec_lo, s13
	s_and_saveexec_b32 s9, vcc_hi
	s_cbranch_execz .LBB166_605
; %bb.604:                              ;   in Loop: Header=BB166_3 Depth=1
	ds_load_b64 v[40:41], v1 offset:17680
	s_wait_dscnt 0x0
	v_pk_mul_f32 v[42:43], v[38:39], v[40:41] op_sel:[1,1] op_sel_hi:[1,0]
	s_delay_alu instid0(VALU_DEP_1) | instskip(SKIP_1) | instid1(VALU_DEP_2)
	v_pk_fma_f32 v[82:83], v[38:39], v[40:41], v[42:43] op_sel_hi:[0,1,1]
	v_pk_fma_f32 v[40:41], v[38:39], v[40:41], v[42:43] neg_lo:[0,0,1] neg_hi:[0,0,1]
	v_mov_b32_e32 v41, v83
	s_delay_alu instid0(VALU_DEP_1)
	v_mov_b64_e32 v[38:39], v[40:41]
	ds_store_b64 v3, v[40:41]
.LBB166_605:                            ;   in Loop: Header=BB166_3 Depth=1
	s_or_b32 exec_lo, exec_lo, s9
	s_wait_dscnt 0x0
	s_barrier_signal -1
	s_barrier_wait -1
	s_and_saveexec_b32 s9, s43
	s_cbranch_execz .LBB166_607
; %bb.606:                              ;   in Loop: Header=BB166_3 Depth=1
	ds_load_b64 v[40:41], v1 offset:17688
	ds_load_b64 v[42:43], v3
	s_wait_dscnt 0x0
	v_pk_mul_f32 v[82:83], v[42:43], v[40:41] op_sel:[1,1] op_sel_hi:[0,1]
	s_delay_alu instid0(VALU_DEP_1) | instskip(SKIP_1) | instid1(VALU_DEP_2)
	v_pk_fma_f32 v[84:85], v[42:43], v[40:41], v[82:83] op_sel_hi:[1,0,1]
	v_pk_fma_f32 v[40:41], v[42:43], v[40:41], v[82:83] neg_lo:[0,0,1] neg_hi:[0,0,1]
	v_mov_b32_e32 v41, v85
	s_delay_alu instid0(VALU_DEP_1)
	v_pk_add_f32 v[38:39], v[38:39], v[40:41]
.LBB166_607:                            ;   in Loop: Header=BB166_3 Depth=1
	s_or_b32 exec_lo, exec_lo, s9
	s_barrier_signal -1
	s_barrier_wait -1
	s_and_saveexec_b32 s9, s43
	s_cbranch_execz .LBB166_609
; %bb.608:                              ;   in Loop: Header=BB166_3 Depth=1
	ds_load_b64 v[40:41], v1 offset:18200
	s_wait_dscnt 0x0
	v_pk_mul_f32 v[42:43], v[38:39], v[40:41] op_sel:[1,1] op_sel_hi:[1,0]
	s_delay_alu instid0(VALU_DEP_1) | instskip(SKIP_1) | instid1(VALU_DEP_2)
	v_pk_fma_f32 v[82:83], v[38:39], v[40:41], v[42:43] op_sel_hi:[0,1,1]
	v_pk_fma_f32 v[40:41], v[38:39], v[40:41], v[42:43] neg_lo:[0,0,1] neg_hi:[0,0,1]
	v_mov_b32_e32 v41, v83
	s_delay_alu instid0(VALU_DEP_1)
	v_mov_b64_e32 v[38:39], v[40:41]
	ds_store_b64 v3, v[40:41]
.LBB166_609:                            ;   in Loop: Header=BB166_3 Depth=1
	s_or_b32 exec_lo, exec_lo, s9
	s_wait_dscnt 0x0
	s_barrier_signal -1
	s_barrier_wait -1
	s_barrier_signal -1
	s_barrier_wait -1
	s_and_saveexec_b32 s9, s3
; %bb.610:                              ;   in Loop: Header=BB166_3 Depth=1
	v_pk_add_f32 v[38:39], v[38:39], 0 neg_lo:[1,1] neg_hi:[1,1]
	ds_store_b64 v46, v[38:39] offset:16656
; %bb.611:                              ;   in Loop: Header=BB166_3 Depth=1
	s_or_b32 exec_lo, exec_lo, s9
	s_wait_dscnt 0x0
	s_barrier_signal -1
	s_barrier_wait -1
	s_barrier_signal -1
	s_barrier_wait -1
	s_and_saveexec_b32 s13, s14
	s_cbranch_execz .LBB166_613
; %bb.612:                              ;   in Loop: Header=BB166_3 Depth=1
	ds_load_b128 v[38:41], v1 offset:17680
	ds_load_b64 v[42:43], v1 offset:18200
	s_wait_dscnt 0x1
	v_dual_mov_b32 v82, v41 :: v_dual_mov_b32 v83, v40
	s_wait_dscnt 0x0
	v_dual_mul_f32 v81, v43, v39 :: v_dual_mul_f32 v0, v42, v39
	s_delay_alu instid0(VALU_DEP_1) | instskip(NEXT) | instid1(VALU_DEP_2)
	v_xor_b32_e32 v84, 0x80000000, v81
	v_fmac_f32_e32 v0, v43, v38
	s_delay_alu instid0(VALU_DEP_2) | instskip(NEXT) | instid1(VALU_DEP_2)
	v_fmac_f32_e32 v84, v42, v38
	v_pk_mul_f32 v[38:39], v[0:1], v[82:83] op_sel_hi:[0,1]
	s_delay_alu instid0(VALU_DEP_1) | instskip(SKIP_1) | instid1(VALU_DEP_2)
	v_pk_fma_f32 v[42:43], v[84:85], v[40:41], v[38:39] op_sel_hi:[0,1,1]
	v_pk_fma_f32 v[38:39], v[84:85], v[40:41], v[38:39] neg_lo:[0,0,1] neg_hi:[0,0,1]
	v_mov_b32_e32 v39, v43
	ds_store_b64 v1, v[38:39] offset:17688
.LBB166_613:                            ;   in Loop: Header=BB166_3 Depth=1
	s_or_b32 exec_lo, exec_lo, s13
	v_mov_b32_e32 v38, 0
	s_wait_dscnt 0x0
	s_barrier_signal -1
	s_barrier_wait -1
	s_delay_alu instid0(VALU_DEP_1)
	v_mov_b32_e32 v39, v38
	s_and_saveexec_b32 s13, s4
	s_cbranch_execz .LBB166_619
; %bb.614:                              ;   in Loop: Header=BB166_3 Depth=1
	ds_load_b64 v[38:39], v52 offset:16672
	ds_load_b64 v[40:41], v50 offset:16640
	s_wait_dscnt 0x0
	v_pk_mul_f32 v[42:43], v[40:41], v[38:39] op_sel:[0,1]
	s_delay_alu instid0(VALU_DEP_1) | instskip(SKIP_1) | instid1(VALU_DEP_2)
	v_pk_fma_f32 v[82:83], v[40:41], v[38:39], v[42:43] op_sel:[1,0,0] op_sel_hi:[0,0,1] neg_lo:[0,0,1] neg_hi:[0,0,1]
	v_pk_fma_f32 v[38:39], v[40:41], v[38:39], v[42:43] op_sel:[1,0,0] op_sel_hi:[0,1,1]
	v_mov_b32_e32 v39, v83
	s_delay_alu instid0(VALU_DEP_1)
	v_pk_add_f32 v[38:39], v[38:39], 0 op_sel_hi:[1,0]
	s_and_saveexec_b32 s9, s16
	s_cbranch_execnz .LBB166_1074
; %bb.615:                              ;   in Loop: Header=BB166_3 Depth=1
	s_or_b32 exec_lo, exec_lo, s9
	s_and_saveexec_b32 s9, s17
	s_cbranch_execnz .LBB166_1075
.LBB166_616:                            ;   in Loop: Header=BB166_3 Depth=1
	s_or_b32 exec_lo, exec_lo, s9
	s_and_saveexec_b32 s9, s3
	s_cbranch_execz .LBB166_618
.LBB166_617:                            ;   in Loop: Header=BB166_3 Depth=1
	ds_load_b64 v[40:41], v48 offset:18208
	ds_load_b64 v[42:43], v1 offset:16664
	s_wait_dscnt 0x0
	v_pk_mul_f32 v[82:83], v[42:43], v[40:41] op_sel:[0,1]
	s_delay_alu instid0(VALU_DEP_1) | instskip(SKIP_1) | instid1(VALU_DEP_2)
	v_pk_fma_f32 v[84:85], v[42:43], v[40:41], v[82:83] op_sel:[1,0,0] op_sel_hi:[0,0,1] neg_lo:[0,0,1] neg_hi:[0,0,1]
	v_pk_fma_f32 v[40:41], v[42:43], v[40:41], v[82:83] op_sel:[1,0,0] op_sel_hi:[0,1,1]
	v_mov_b32_e32 v41, v85
	s_delay_alu instid0(VALU_DEP_1)
	v_pk_add_f32 v[38:39], v[38:39], v[40:41]
.LBB166_618:                            ;   in Loop: Header=BB166_3 Depth=1
	s_or_b32 exec_lo, exec_lo, s9
	s_delay_alu instid0(VALU_DEP_1) | instskip(NEXT) | instid1(VALU_DEP_1)
	v_pk_add_f32 v[40:41], v[38:39], 0 neg_lo:[1,1] neg_hi:[1,1]
	v_dual_mov_b32 v38, v41 :: v_dual_mov_b32 v39, v40
.LBB166_619:                            ;   in Loop: Header=BB166_3 Depth=1
	s_or_b32 exec_lo, exec_lo, s13
	s_and_saveexec_b32 s9, s44
	s_cbranch_execz .LBB166_621
; %bb.620:                              ;   in Loop: Header=BB166_3 Depth=1
	ds_load_b64 v[40:41], v1 offset:18720
	v_dual_mov_b32 v42, v39 :: v_dual_mov_b32 v43, v38
	s_wait_dscnt 0x0
	s_delay_alu instid0(VALU_DEP_1) | instskip(NEXT) | instid1(VALU_DEP_1)
	v_dual_mul_f32 v0, v42, v40 :: v_dual_mul_f32 v82, v39, v41
	v_pk_fma_f32 v[42:43], v[42:43], v[40:41], v[0:1] op_sel_hi:[1,1,0]
	s_delay_alu instid0(VALU_DEP_2) | instskip(NEXT) | instid1(VALU_DEP_2)
	v_pk_fma_f32 v[38:39], v[38:39], v[40:41], v[82:83] op_sel_hi:[1,1,0] neg_lo:[0,0,1] neg_hi:[0,0,1]
	v_mov_b32_e32 v39, v43
	ds_store_b64 v51, v[38:39]
.LBB166_621:                            ;   in Loop: Header=BB166_3 Depth=1
	s_or_b32 exec_lo, exec_lo, s9
	s_wait_dscnt 0x0
	s_barrier_signal -1
	s_barrier_wait -1
	s_and_saveexec_b32 s9, s45
	s_cbranch_execz .LBB166_623
; %bb.622:                              ;   in Loop: Header=BB166_3 Depth=1
	ds_load_b64 v[40:41], v49 offset:18720
	ds_load_b64 v[42:43], v51
	s_wait_dscnt 0x0
	v_dual_mul_f32 v0, v43, v41 :: v_dual_mul_f32 v83, v42, v41
	s_delay_alu instid0(VALU_DEP_1) | instskip(NEXT) | instid1(VALU_DEP_1)
	v_dual_fma_f32 v82, v42, v40, -v0 :: v_dual_fmac_f32 v83, v43, v40
	v_pk_add_f32 v[38:39], v[38:39], v[82:83]
.LBB166_623:                            ;   in Loop: Header=BB166_3 Depth=1
	s_or_b32 exec_lo, exec_lo, s9
	s_barrier_signal -1
	s_barrier_wait -1
	s_and_saveexec_b32 s9, s46
	s_cbranch_execz .LBB166_625
; %bb.624:                              ;   in Loop: Header=BB166_3 Depth=1
	ds_load_b64 v[40:41], v1 offset:19240
	s_wait_dscnt 0x0
	v_pk_mul_f32 v[42:43], v[38:39], v[40:41] op_sel:[1,1] op_sel_hi:[1,0]
	s_delay_alu instid0(VALU_DEP_1) | instskip(SKIP_1) | instid1(VALU_DEP_2)
	v_pk_fma_f32 v[82:83], v[38:39], v[40:41], v[42:43] op_sel_hi:[0,1,1]
	v_pk_fma_f32 v[40:41], v[38:39], v[40:41], v[42:43] neg_lo:[0,0,1] neg_hi:[0,0,1]
	v_mov_b32_e32 v41, v83
	s_delay_alu instid0(VALU_DEP_1)
	v_mov_b64_e32 v[38:39], v[40:41]
	ds_store_b64 v51, v[40:41]
.LBB166_625:                            ;   in Loop: Header=BB166_3 Depth=1
	s_or_b32 exec_lo, exec_lo, s9
	s_wait_dscnt 0x0
	s_barrier_signal -1
	s_barrier_wait -1
	s_and_saveexec_b32 s9, s47
	s_cbranch_execz .LBB166_627
; %bb.626:                              ;   in Loop: Header=BB166_3 Depth=1
	ds_load_b64 v[40:41], v49 offset:19232
	ds_load_b64 v[42:43], v51
	s_wait_dscnt 0x0
	v_pk_mul_f32 v[82:83], v[42:43], v[40:41] op_sel:[1,1] op_sel_hi:[0,1]
	s_delay_alu instid0(VALU_DEP_1) | instskip(SKIP_1) | instid1(VALU_DEP_2)
	v_pk_fma_f32 v[84:85], v[42:43], v[40:41], v[82:83] op_sel_hi:[1,0,1]
	v_pk_fma_f32 v[40:41], v[42:43], v[40:41], v[82:83] neg_lo:[0,0,1] neg_hi:[0,0,1]
	v_mov_b32_e32 v41, v85
	s_delay_alu instid0(VALU_DEP_1)
	v_pk_add_f32 v[38:39], v[38:39], v[40:41]
.LBB166_627:                            ;   in Loop: Header=BB166_3 Depth=1
	s_or_b32 exec_lo, exec_lo, s9
	s_barrier_signal -1
	s_barrier_wait -1
	s_and_saveexec_b32 s9, s48
	s_cbranch_execz .LBB166_629
; %bb.628:                              ;   in Loop: Header=BB166_3 Depth=1
	ds_load_b64 v[40:41], v1 offset:19760
	s_wait_dscnt 0x0
	v_pk_mul_f32 v[42:43], v[38:39], v[40:41] op_sel:[1,1] op_sel_hi:[1,0]
	s_delay_alu instid0(VALU_DEP_1) | instskip(SKIP_1) | instid1(VALU_DEP_2)
	v_pk_fma_f32 v[82:83], v[38:39], v[40:41], v[42:43] op_sel_hi:[0,1,1]
	v_pk_fma_f32 v[40:41], v[38:39], v[40:41], v[42:43] neg_lo:[0,0,1] neg_hi:[0,0,1]
	v_mov_b32_e32 v41, v83
	s_delay_alu instid0(VALU_DEP_1)
	v_mov_b64_e32 v[38:39], v[40:41]
	ds_store_b64 v51, v[40:41]
.LBB166_629:                            ;   in Loop: Header=BB166_3 Depth=1
	s_or_b32 exec_lo, exec_lo, s9
	s_wait_dscnt 0x0
	s_barrier_signal -1
	s_barrier_wait -1
	s_and_saveexec_b32 s9, s49
	s_cbranch_execz .LBB166_631
; %bb.630:                              ;   in Loop: Header=BB166_3 Depth=1
	ds_load_b64 v[40:41], v1 offset:19768
	ds_load_b64 v[42:43], v51
	s_wait_dscnt 0x0
	v_pk_mul_f32 v[82:83], v[42:43], v[40:41] op_sel:[1,1] op_sel_hi:[0,1]
	s_delay_alu instid0(VALU_DEP_1) | instskip(SKIP_1) | instid1(VALU_DEP_2)
	v_pk_fma_f32 v[84:85], v[42:43], v[40:41], v[82:83] op_sel_hi:[1,0,1]
	v_pk_fma_f32 v[40:41], v[42:43], v[40:41], v[82:83] neg_lo:[0,0,1] neg_hi:[0,0,1]
	v_mov_b32_e32 v41, v85
	s_delay_alu instid0(VALU_DEP_1)
	v_pk_add_f32 v[38:39], v[38:39], v[40:41]
.LBB166_631:                            ;   in Loop: Header=BB166_3 Depth=1
	s_or_b32 exec_lo, exec_lo, s9
	s_barrier_signal -1
	s_barrier_wait -1
	s_and_saveexec_b32 s9, s49
	s_cbranch_execz .LBB166_633
; %bb.632:                              ;   in Loop: Header=BB166_3 Depth=1
	ds_load_b64 v[40:41], v1 offset:20280
	s_wait_dscnt 0x0
	v_pk_mul_f32 v[42:43], v[38:39], v[40:41] op_sel:[1,1] op_sel_hi:[1,0]
	s_delay_alu instid0(VALU_DEP_1) | instskip(SKIP_1) | instid1(VALU_DEP_2)
	v_pk_fma_f32 v[82:83], v[38:39], v[40:41], v[42:43] op_sel_hi:[0,1,1]
	v_pk_fma_f32 v[40:41], v[38:39], v[40:41], v[42:43] neg_lo:[0,0,1] neg_hi:[0,0,1]
	v_mov_b32_e32 v41, v83
	s_delay_alu instid0(VALU_DEP_1)
	v_mov_b64_e32 v[38:39], v[40:41]
	ds_store_b64 v51, v[40:41]
.LBB166_633:                            ;   in Loop: Header=BB166_3 Depth=1
	s_or_b32 exec_lo, exec_lo, s9
	s_wait_dscnt 0x0
	s_barrier_signal -1
	s_barrier_wait -1
	s_barrier_signal -1
	s_barrier_wait -1
	s_and_saveexec_b32 s9, s4
; %bb.634:                              ;   in Loop: Header=BB166_3 Depth=1
	v_pk_add_f32 v[38:39], v[38:39], 0 neg_lo:[1,1] neg_hi:[1,1]
	ds_store_b64 v52, v[38:39] offset:16672
; %bb.635:                              ;   in Loop: Header=BB166_3 Depth=1
	s_or_b32 exec_lo, exec_lo, s9
	s_wait_dscnt 0x0
	s_barrier_signal -1
	s_barrier_wait -1
	s_barrier_signal -1
	s_barrier_wait -1
	s_and_saveexec_b32 s13, s14
	s_cbranch_execz .LBB166_637
; %bb.636:                              ;   in Loop: Header=BB166_3 Depth=1
	ds_load_b128 v[38:41], v1 offset:18720
	ds_load_b64 v[42:43], v1 offset:19240
	s_wait_dscnt 0x1
	v_dual_mov_b32 v82, v41 :: v_dual_mov_b32 v83, v40
	s_wait_dscnt 0x0
	v_dual_mul_f32 v81, v43, v39 :: v_dual_mul_f32 v0, v42, v39
	s_delay_alu instid0(VALU_DEP_1) | instskip(NEXT) | instid1(VALU_DEP_2)
	v_xor_b32_e32 v84, 0x80000000, v81
	v_fmac_f32_e32 v0, v43, v38
	s_delay_alu instid0(VALU_DEP_2) | instskip(NEXT) | instid1(VALU_DEP_2)
	v_fmac_f32_e32 v84, v42, v38
	v_pk_mul_f32 v[38:39], v[0:1], v[82:83] op_sel_hi:[0,1]
	s_delay_alu instid0(VALU_DEP_1) | instskip(SKIP_1) | instid1(VALU_DEP_2)
	v_pk_fma_f32 v[42:43], v[84:85], v[40:41], v[38:39] op_sel_hi:[0,1,1]
	v_pk_fma_f32 v[38:39], v[84:85], v[40:41], v[38:39] neg_lo:[0,0,1] neg_hi:[0,0,1]
	v_mov_b32_e32 v39, v43
	ds_store_b64 v1, v[38:39] offset:18728
.LBB166_637:                            ;   in Loop: Header=BB166_3 Depth=1
	s_or_b32 exec_lo, exec_lo, s13
	v_mov_b32_e32 v39, 0
	s_wait_dscnt 0x0
	s_barrier_signal -1
	s_barrier_wait -1
	s_delay_alu instid0(VALU_DEP_1)
	v_mov_b32_e32 v38, v39
	s_and_saveexec_b32 s13, s3
	s_cbranch_execz .LBB166_641
; %bb.638:                              ;   in Loop: Header=BB166_3 Depth=1
	ds_load_b64 v[38:39], v46 offset:18736
	ds_load_b64 v[40:41], v47 offset:18720
	s_wait_dscnt 0x0
	v_dual_mul_f32 v0, v41, v39 :: v_dual_mul_f32 v43, v40, v39
	s_delay_alu instid0(VALU_DEP_1) | instskip(NEXT) | instid1(VALU_DEP_1)
	v_dual_fma_f32 v42, v40, v38, -v0 :: v_dual_fmac_f32 v43, v41, v38
	v_pk_add_f32 v[38:39], v[42:43], 0 op_sel_hi:[1,0]
	s_and_saveexec_b32 s9, s15
	s_cbranch_execz .LBB166_640
; %bb.639:                              ;   in Loop: Header=BB166_3 Depth=1
	ds_load_b64 v[40:41], v48 offset:19248
	ds_load_b64 v[42:43], v1 offset:18728
	s_wait_dscnt 0x0
	v_pk_mul_f32 v[82:83], v[42:43], v[40:41] op_sel:[1,1] op_sel_hi:[0,1]
	s_delay_alu instid0(VALU_DEP_1) | instskip(SKIP_1) | instid1(VALU_DEP_2)
	v_pk_fma_f32 v[84:85], v[42:43], v[40:41], v[82:83] op_sel_hi:[1,0,1]
	v_pk_fma_f32 v[40:41], v[42:43], v[40:41], v[82:83] neg_lo:[0,0,1] neg_hi:[0,0,1]
	v_mov_b32_e32 v41, v85
	s_delay_alu instid0(VALU_DEP_1)
	v_pk_add_f32 v[38:39], v[38:39], v[40:41]
.LBB166_640:                            ;   in Loop: Header=BB166_3 Depth=1
	s_or_b32 exec_lo, exec_lo, s9
	s_delay_alu instid0(VALU_DEP_1)
	v_pk_add_f32 v[38:39], v[38:39], 0 neg_lo:[1,1] neg_hi:[1,1]
.LBB166_641:                            ;   in Loop: Header=BB166_3 Depth=1
	s_or_b32 exec_lo, exec_lo, s13
	s_and_saveexec_b32 s9, vcc_hi
	s_cbranch_execz .LBB166_643
; %bb.642:                              ;   in Loop: Header=BB166_3 Depth=1
	ds_load_b64 v[40:41], v1 offset:19760
	s_wait_dscnt 0x0
	v_pk_mul_f32 v[42:43], v[38:39], v[40:41] op_sel:[1,1] op_sel_hi:[1,0]
	s_delay_alu instid0(VALU_DEP_1) | instskip(SKIP_1) | instid1(VALU_DEP_2)
	v_pk_fma_f32 v[82:83], v[38:39], v[40:41], v[42:43] op_sel_hi:[0,1,1]
	v_pk_fma_f32 v[40:41], v[38:39], v[40:41], v[42:43] neg_lo:[0,0,1] neg_hi:[0,0,1]
	v_mov_b32_e32 v41, v83
	s_delay_alu instid0(VALU_DEP_1)
	v_mov_b64_e32 v[38:39], v[40:41]
	ds_store_b64 v3, v[40:41]
.LBB166_643:                            ;   in Loop: Header=BB166_3 Depth=1
	s_or_b32 exec_lo, exec_lo, s9
	s_wait_dscnt 0x0
	s_barrier_signal -1
	s_barrier_wait -1
	s_and_saveexec_b32 s9, s43
	s_cbranch_execz .LBB166_645
; %bb.644:                              ;   in Loop: Header=BB166_3 Depth=1
	ds_load_b64 v[40:41], v1 offset:19768
	ds_load_b64 v[42:43], v3
	s_wait_dscnt 0x0
	v_pk_mul_f32 v[82:83], v[42:43], v[40:41] op_sel:[1,1] op_sel_hi:[0,1]
	s_delay_alu instid0(VALU_DEP_1) | instskip(SKIP_1) | instid1(VALU_DEP_2)
	v_pk_fma_f32 v[84:85], v[42:43], v[40:41], v[82:83] op_sel_hi:[1,0,1]
	v_pk_fma_f32 v[40:41], v[42:43], v[40:41], v[82:83] neg_lo:[0,0,1] neg_hi:[0,0,1]
	v_mov_b32_e32 v41, v85
	s_delay_alu instid0(VALU_DEP_1)
	v_pk_add_f32 v[38:39], v[38:39], v[40:41]
.LBB166_645:                            ;   in Loop: Header=BB166_3 Depth=1
	s_or_b32 exec_lo, exec_lo, s9
	s_barrier_signal -1
	s_barrier_wait -1
	s_and_saveexec_b32 s9, s43
	s_cbranch_execz .LBB166_647
; %bb.646:                              ;   in Loop: Header=BB166_3 Depth=1
	ds_load_b64 v[40:41], v1 offset:20280
	s_wait_dscnt 0x0
	v_pk_mul_f32 v[42:43], v[38:39], v[40:41] op_sel:[1,1] op_sel_hi:[1,0]
	s_delay_alu instid0(VALU_DEP_1) | instskip(SKIP_1) | instid1(VALU_DEP_2)
	v_pk_fma_f32 v[82:83], v[38:39], v[40:41], v[42:43] op_sel_hi:[0,1,1]
	v_pk_fma_f32 v[40:41], v[38:39], v[40:41], v[42:43] neg_lo:[0,0,1] neg_hi:[0,0,1]
	v_mov_b32_e32 v41, v83
	s_delay_alu instid0(VALU_DEP_1)
	v_mov_b64_e32 v[38:39], v[40:41]
	ds_store_b64 v3, v[40:41]
.LBB166_647:                            ;   in Loop: Header=BB166_3 Depth=1
	s_or_b32 exec_lo, exec_lo, s9
	s_wait_dscnt 0x0
	s_barrier_signal -1
	s_barrier_wait -1
	s_barrier_signal -1
	s_barrier_wait -1
	s_and_saveexec_b32 s9, s3
; %bb.648:                              ;   in Loop: Header=BB166_3 Depth=1
	v_pk_add_f32 v[38:39], v[38:39], 0 neg_lo:[1,1] neg_hi:[1,1]
	ds_store_b64 v46, v[38:39] offset:18736
; %bb.649:                              ;   in Loop: Header=BB166_3 Depth=1
	s_or_b32 exec_lo, exec_lo, s9
	s_wait_dscnt 0x0
	s_barrier_signal -1
	s_barrier_wait -1
	s_barrier_signal -1
	s_barrier_wait -1
	s_and_saveexec_b32 s13, s14
	s_cbranch_execz .LBB166_651
; %bb.650:                              ;   in Loop: Header=BB166_3 Depth=1
	ds_load_b128 v[38:41], v1 offset:19760
	ds_load_b64 v[42:43], v1 offset:20280
	s_wait_dscnt 0x1
	v_dual_mov_b32 v82, v41 :: v_dual_mov_b32 v83, v40
	s_wait_dscnt 0x0
	v_dual_mul_f32 v81, v43, v39 :: v_dual_mul_f32 v0, v42, v39
	s_delay_alu instid0(VALU_DEP_1) | instskip(NEXT) | instid1(VALU_DEP_2)
	v_xor_b32_e32 v84, 0x80000000, v81
	v_fmac_f32_e32 v0, v43, v38
	s_delay_alu instid0(VALU_DEP_2) | instskip(NEXT) | instid1(VALU_DEP_2)
	v_fmac_f32_e32 v84, v42, v38
	v_pk_mul_f32 v[38:39], v[0:1], v[82:83] op_sel_hi:[0,1]
	s_delay_alu instid0(VALU_DEP_1) | instskip(SKIP_1) | instid1(VALU_DEP_2)
	v_pk_fma_f32 v[42:43], v[84:85], v[40:41], v[38:39] op_sel_hi:[0,1,1]
	v_pk_fma_f32 v[38:39], v[84:85], v[40:41], v[38:39] neg_lo:[0,0,1] neg_hi:[0,0,1]
	v_mov_b32_e32 v39, v43
	ds_store_b64 v1, v[38:39] offset:19768
.LBB166_651:                            ;   in Loop: Header=BB166_3 Depth=1
	s_or_b32 exec_lo, exec_lo, s13
	v_mov_b32_e32 v38, 0
	s_wait_dscnt 0x0
	s_barrier_signal -1
	s_barrier_wait -1
	s_delay_alu instid0(VALU_DEP_1)
	v_mov_b32_e32 v39, v38
	s_and_saveexec_b32 s13, s5
	s_cbranch_execz .LBB166_661
; %bb.652:                              ;   in Loop: Header=BB166_3 Depth=1
	ds_load_b64 v[38:39], v57 offset:16704
	ds_load_b64 v[40:41], v54 offset:16640
	s_wait_dscnt 0x0
	v_dual_mul_f32 v0, v41, v39 :: v_dual_mul_f32 v42, v40, v39
	s_delay_alu instid0(VALU_DEP_1) | instskip(NEXT) | instid1(VALU_DEP_1)
	v_dual_fma_f32 v0, v40, v38, -v0 :: v_dual_fmac_f32 v42, v41, v38
	v_dual_add_f32 v39, 0, v0 :: v_dual_add_f32 v38, 0, v42
	s_and_saveexec_b32 s9, s18
	s_cbranch_execnz .LBB166_1076
; %bb.653:                              ;   in Loop: Header=BB166_3 Depth=1
	s_or_b32 exec_lo, exec_lo, s9
	s_and_saveexec_b32 s9, s19
	s_cbranch_execnz .LBB166_1077
.LBB166_654:                            ;   in Loop: Header=BB166_3 Depth=1
	s_or_b32 exec_lo, exec_lo, s9
	s_and_saveexec_b32 s9, s20
	s_cbranch_execnz .LBB166_1078
.LBB166_655:                            ;   in Loop: Header=BB166_3 Depth=1
	s_or_b32 exec_lo, exec_lo, s9
	s_and_saveexec_b32 s9, s21
	s_cbranch_execnz .LBB166_1079
.LBB166_656:                            ;   in Loop: Header=BB166_3 Depth=1
	s_or_b32 exec_lo, exec_lo, s9
	s_and_saveexec_b32 s9, s22
	s_cbranch_execnz .LBB166_1080
.LBB166_657:                            ;   in Loop: Header=BB166_3 Depth=1
	s_or_b32 exec_lo, exec_lo, s9
	s_and_saveexec_b32 s9, s4
	s_cbranch_execnz .LBB166_1081
.LBB166_658:                            ;   in Loop: Header=BB166_3 Depth=1
	s_or_b32 exec_lo, exec_lo, s9
	s_and_saveexec_b32 s9, s17
	s_cbranch_execz .LBB166_660
.LBB166_659:                            ;   in Loop: Header=BB166_3 Depth=1
	ds_load_b64 v[40:41], v48 offset:20288
	ds_load_b64 v[42:43], v1 offset:16696
	s_wait_dscnt 0x0
	v_pk_mul_f32 v[82:83], v[42:43], v[40:41] op_sel:[0,1]
	s_delay_alu instid0(VALU_DEP_1) | instskip(SKIP_1) | instid1(VALU_DEP_2)
	v_pk_fma_f32 v[84:85], v[42:43], v[40:41], v[82:83] op_sel:[1,0,0] op_sel_hi:[0,0,1] neg_lo:[0,0,1] neg_hi:[0,0,1]
	v_pk_fma_f32 v[40:41], v[42:43], v[40:41], v[82:83] op_sel:[1,0,0] op_sel_hi:[0,1,1]
	v_mov_b32_e32 v41, v85
	s_delay_alu instid0(VALU_DEP_1)
	v_pk_add_f32 v[38:39], v[38:39], v[40:41]
.LBB166_660:                            ;   in Loop: Header=BB166_3 Depth=1
	s_or_b32 exec_lo, exec_lo, s9
	s_delay_alu instid0(VALU_DEP_1) | instskip(NEXT) | instid1(VALU_DEP_1)
	v_pk_add_f32 v[40:41], v[38:39], 0 neg_lo:[1,1] neg_hi:[1,1]
	v_dual_mov_b32 v38, v41 :: v_dual_mov_b32 v39, v40
.LBB166_661:                            ;   in Loop: Header=BB166_3 Depth=1
	s_or_b32 exec_lo, exec_lo, s13
	s_and_saveexec_b32 s9, s50
	s_cbranch_execz .LBB166_663
; %bb.662:                              ;   in Loop: Header=BB166_3 Depth=1
	ds_load_b64 v[40:41], v1 offset:20800
	v_dual_mov_b32 v42, v39 :: v_dual_mov_b32 v43, v38
	s_wait_dscnt 0x0
	s_delay_alu instid0(VALU_DEP_1) | instskip(NEXT) | instid1(VALU_DEP_1)
	v_dual_mul_f32 v0, v42, v40 :: v_dual_mul_f32 v82, v39, v41
	v_pk_fma_f32 v[42:43], v[42:43], v[40:41], v[0:1] op_sel_hi:[1,1,0]
	s_delay_alu instid0(VALU_DEP_2) | instskip(NEXT) | instid1(VALU_DEP_2)
	v_pk_fma_f32 v[38:39], v[38:39], v[40:41], v[82:83] op_sel_hi:[1,1,0] neg_lo:[0,0,1] neg_hi:[0,0,1]
	v_mov_b32_e32 v39, v43
	ds_store_b64 v56, v[38:39]
.LBB166_663:                            ;   in Loop: Header=BB166_3 Depth=1
	s_or_b32 exec_lo, exec_lo, s9
	s_wait_dscnt 0x0
	s_barrier_signal -1
	s_barrier_wait -1
	s_and_saveexec_b32 s9, s51
	s_cbranch_execz .LBB166_665
; %bb.664:                              ;   in Loop: Header=BB166_3 Depth=1
	ds_load_b64 v[40:41], v55 offset:20800
	ds_load_b64 v[42:43], v56
	s_wait_dscnt 0x0
	v_dual_mul_f32 v0, v43, v41 :: v_dual_mul_f32 v83, v42, v41
	s_delay_alu instid0(VALU_DEP_1) | instskip(NEXT) | instid1(VALU_DEP_1)
	v_dual_fma_f32 v82, v42, v40, -v0 :: v_dual_fmac_f32 v83, v43, v40
	v_pk_add_f32 v[38:39], v[38:39], v[82:83]
.LBB166_665:                            ;   in Loop: Header=BB166_3 Depth=1
	s_or_b32 exec_lo, exec_lo, s9
	s_barrier_signal -1
	s_barrier_wait -1
	s_and_saveexec_b32 s9, s52
	s_cbranch_execz .LBB166_667
; %bb.666:                              ;   in Loop: Header=BB166_3 Depth=1
	ds_load_b64 v[40:41], v1 offset:21320
	s_wait_dscnt 0x0
	v_pk_mul_f32 v[42:43], v[38:39], v[40:41] op_sel:[1,1] op_sel_hi:[1,0]
	s_delay_alu instid0(VALU_DEP_1) | instskip(SKIP_1) | instid1(VALU_DEP_2)
	v_pk_fma_f32 v[82:83], v[38:39], v[40:41], v[42:43] op_sel_hi:[0,1,1]
	v_pk_fma_f32 v[38:39], v[38:39], v[40:41], v[42:43] op_sel_hi:[0,1,1] neg_lo:[0,0,1] neg_hi:[0,0,1]
	v_mov_b32_e32 v39, v83
	ds_store_b64 v56, v[38:39]
.LBB166_667:                            ;   in Loop: Header=BB166_3 Depth=1
	s_or_b32 exec_lo, exec_lo, s9
	s_wait_dscnt 0x0
	s_barrier_signal -1
	s_barrier_wait -1
	s_and_saveexec_b32 s9, s53
	s_cbranch_execz .LBB166_669
; %bb.668:                              ;   in Loop: Header=BB166_3 Depth=1
	ds_load_b64 v[40:41], v55 offset:21312
	ds_load_b64 v[42:43], v56
	s_wait_dscnt 0x0
	v_pk_mul_f32 v[82:83], v[42:43], v[40:41] op_sel:[1,1] op_sel_hi:[0,1]
	s_delay_alu instid0(VALU_DEP_1) | instskip(SKIP_1) | instid1(VALU_DEP_2)
	v_pk_fma_f32 v[84:85], v[42:43], v[40:41], v[82:83] op_sel_hi:[1,0,1]
	v_pk_fma_f32 v[40:41], v[42:43], v[40:41], v[82:83] op_sel_hi:[1,0,1] neg_lo:[0,0,1] neg_hi:[0,0,1]
	v_mov_b32_e32 v41, v85
	s_delay_alu instid0(VALU_DEP_1)
	v_pk_add_f32 v[38:39], v[38:39], v[40:41]
.LBB166_669:                            ;   in Loop: Header=BB166_3 Depth=1
	s_or_b32 exec_lo, exec_lo, s9
	s_barrier_signal -1
	s_barrier_wait -1
	s_and_saveexec_b32 s9, s54
	s_cbranch_execz .LBB166_671
; %bb.670:                              ;   in Loop: Header=BB166_3 Depth=1
	ds_load_b64 v[40:41], v1 offset:21840
	s_wait_dscnt 0x0
	v_pk_mul_f32 v[42:43], v[38:39], v[40:41] op_sel:[1,1] op_sel_hi:[1,0]
	s_delay_alu instid0(VALU_DEP_1) | instskip(SKIP_1) | instid1(VALU_DEP_2)
	v_pk_fma_f32 v[82:83], v[38:39], v[40:41], v[42:43] op_sel_hi:[0,1,1]
	v_pk_fma_f32 v[38:39], v[38:39], v[40:41], v[42:43] op_sel_hi:[0,1,1] neg_lo:[0,0,1] neg_hi:[0,0,1]
	v_mov_b32_e32 v39, v83
	ds_store_b64 v56, v[38:39]
.LBB166_671:                            ;   in Loop: Header=BB166_3 Depth=1
	s_or_b32 exec_lo, exec_lo, s9
	s_wait_dscnt 0x0
	s_barrier_signal -1
	s_barrier_wait -1
	s_and_saveexec_b32 s9, s55
	s_cbranch_execz .LBB166_673
; %bb.672:                              ;   in Loop: Header=BB166_3 Depth=1
	ds_load_b64 v[40:41], v55 offset:21824
	ds_load_b64 v[42:43], v56
	s_wait_dscnt 0x0
	v_pk_mul_f32 v[82:83], v[42:43], v[40:41] op_sel:[1,1] op_sel_hi:[0,1]
	s_delay_alu instid0(VALU_DEP_1) | instskip(SKIP_1) | instid1(VALU_DEP_2)
	v_pk_fma_f32 v[84:85], v[42:43], v[40:41], v[82:83] op_sel_hi:[1,0,1]
	v_pk_fma_f32 v[40:41], v[42:43], v[40:41], v[82:83] op_sel_hi:[1,0,1] neg_lo:[0,0,1] neg_hi:[0,0,1]
	v_mov_b32_e32 v41, v85
	s_delay_alu instid0(VALU_DEP_1)
	v_pk_add_f32 v[38:39], v[38:39], v[40:41]
.LBB166_673:                            ;   in Loop: Header=BB166_3 Depth=1
	s_or_b32 exec_lo, exec_lo, s9
	s_barrier_signal -1
	s_barrier_wait -1
	s_and_saveexec_b32 s9, s56
	s_cbranch_execz .LBB166_675
; %bb.674:                              ;   in Loop: Header=BB166_3 Depth=1
	ds_load_b64 v[40:41], v1 offset:22360
	s_wait_dscnt 0x0
	v_pk_mul_f32 v[42:43], v[38:39], v[40:41] op_sel:[1,1] op_sel_hi:[1,0]
	s_delay_alu instid0(VALU_DEP_1) | instskip(SKIP_1) | instid1(VALU_DEP_2)
	v_pk_fma_f32 v[82:83], v[38:39], v[40:41], v[42:43] op_sel_hi:[0,1,1]
	v_pk_fma_f32 v[38:39], v[38:39], v[40:41], v[42:43] op_sel_hi:[0,1,1] neg_lo:[0,0,1] neg_hi:[0,0,1]
	v_mov_b32_e32 v39, v83
	ds_store_b64 v56, v[38:39]
.LBB166_675:                            ;   in Loop: Header=BB166_3 Depth=1
	s_or_b32 exec_lo, exec_lo, s9
	s_wait_dscnt 0x0
	s_barrier_signal -1
	s_barrier_wait -1
	s_and_saveexec_b32 s9, s57
	s_cbranch_execz .LBB166_677
; %bb.676:                              ;   in Loop: Header=BB166_3 Depth=1
	ds_load_b64 v[40:41], v55 offset:22336
	ds_load_b64 v[42:43], v56
	s_wait_dscnt 0x0
	v_pk_mul_f32 v[82:83], v[42:43], v[40:41] op_sel:[1,1] op_sel_hi:[0,1]
	s_delay_alu instid0(VALU_DEP_1) | instskip(SKIP_1) | instid1(VALU_DEP_2)
	v_pk_fma_f32 v[84:85], v[42:43], v[40:41], v[82:83] op_sel_hi:[1,0,1]
	v_pk_fma_f32 v[40:41], v[42:43], v[40:41], v[82:83] op_sel_hi:[1,0,1] neg_lo:[0,0,1] neg_hi:[0,0,1]
	v_mov_b32_e32 v41, v85
	s_delay_alu instid0(VALU_DEP_1)
	v_pk_add_f32 v[38:39], v[38:39], v[40:41]
.LBB166_677:                            ;   in Loop: Header=BB166_3 Depth=1
	s_or_b32 exec_lo, exec_lo, s9
	s_barrier_signal -1
	s_barrier_wait -1
	s_and_saveexec_b32 s9, s58
	s_cbranch_execz .LBB166_679
; %bb.678:                              ;   in Loop: Header=BB166_3 Depth=1
	ds_load_b64 v[40:41], v1 offset:22880
	s_wait_dscnt 0x0
	v_dual_mul_f32 v0, v38, v41 :: v_dual_mul_f32 v42, v39, v41
	s_delay_alu instid0(VALU_DEP_1) | instskip(NEXT) | instid1(VALU_DEP_2)
	v_pk_fma_f32 v[82:83], v[38:39], v[40:41], v[0:1] op_sel:[0,1,0] op_sel_hi:[1,0,0]
	v_pk_fma_f32 v[40:41], v[38:39], v[40:41], v[42:43] op_sel_hi:[1,1,0] neg_lo:[0,0,1] neg_hi:[0,0,1]
	s_delay_alu instid0(VALU_DEP_2) | instskip(NEXT) | instid1(VALU_DEP_1)
	v_mov_b32_e32 v41, v83
	v_mov_b64_e32 v[38:39], v[40:41]
	ds_store_b64 v56, v[40:41]
.LBB166_679:                            ;   in Loop: Header=BB166_3 Depth=1
	s_or_b32 exec_lo, exec_lo, s9
	s_wait_dscnt 0x0
	s_barrier_signal -1
	s_barrier_wait -1
	s_and_saveexec_b32 s9, s59
	s_cbranch_execz .LBB166_681
; %bb.680:                              ;   in Loop: Header=BB166_3 Depth=1
	ds_load_b64 v[40:41], v55 offset:22848
	ds_load_b64 v[42:43], v56
	s_wait_dscnt 0x0
	v_dual_mul_f32 v0, v43, v41 :: v_dual_mul_f32 v83, v42, v41
	s_delay_alu instid0(VALU_DEP_1) | instskip(NEXT) | instid1(VALU_DEP_1)
	v_dual_fma_f32 v82, v42, v40, -v0 :: v_dual_fmac_f32 v83, v43, v40
	v_pk_add_f32 v[38:39], v[38:39], v[82:83]
.LBB166_681:                            ;   in Loop: Header=BB166_3 Depth=1
	s_or_b32 exec_lo, exec_lo, s9
	s_barrier_signal -1
	s_barrier_wait -1
	s_and_saveexec_b32 s9, s60
	s_cbranch_execz .LBB166_683
; %bb.682:                              ;   in Loop: Header=BB166_3 Depth=1
	ds_load_b64 v[40:41], v1 offset:23400
	s_wait_dscnt 0x0
	v_pk_mul_f32 v[42:43], v[38:39], v[40:41] op_sel:[1,1] op_sel_hi:[1,0]
	s_delay_alu instid0(VALU_DEP_1) | instskip(SKIP_1) | instid1(VALU_DEP_2)
	v_pk_fma_f32 v[82:83], v[38:39], v[40:41], v[42:43] op_sel_hi:[0,1,1]
	v_pk_fma_f32 v[40:41], v[38:39], v[40:41], v[42:43] neg_lo:[0,0,1] neg_hi:[0,0,1]
	v_mov_b32_e32 v41, v83
	s_delay_alu instid0(VALU_DEP_1)
	v_mov_b64_e32 v[38:39], v[40:41]
	ds_store_b64 v56, v[40:41]
.LBB166_683:                            ;   in Loop: Header=BB166_3 Depth=1
	s_or_b32 exec_lo, exec_lo, s9
	s_wait_dscnt 0x0
	s_barrier_signal -1
	s_barrier_wait -1
	s_and_saveexec_b32 s9, s61
	s_cbranch_execz .LBB166_685
; %bb.684:                              ;   in Loop: Header=BB166_3 Depth=1
	ds_load_b64 v[40:41], v55 offset:23360
	ds_load_b64 v[42:43], v56
	s_wait_dscnt 0x0
	v_pk_mul_f32 v[82:83], v[42:43], v[40:41] op_sel:[1,1] op_sel_hi:[0,1]
	s_delay_alu instid0(VALU_DEP_1) | instskip(SKIP_1) | instid1(VALU_DEP_2)
	v_pk_fma_f32 v[84:85], v[42:43], v[40:41], v[82:83] op_sel_hi:[1,0,1]
	v_pk_fma_f32 v[40:41], v[42:43], v[40:41], v[82:83] neg_lo:[0,0,1] neg_hi:[0,0,1]
	v_mov_b32_e32 v41, v85
	s_delay_alu instid0(VALU_DEP_1)
	v_pk_add_f32 v[38:39], v[38:39], v[40:41]
.LBB166_685:                            ;   in Loop: Header=BB166_3 Depth=1
	s_or_b32 exec_lo, exec_lo, s9
	s_barrier_signal -1
	s_barrier_wait -1
	s_and_saveexec_b32 s9, s62
	s_cbranch_execz .LBB166_687
; %bb.686:                              ;   in Loop: Header=BB166_3 Depth=1
	ds_load_b64 v[40:41], v1 offset:23920
	s_wait_dscnt 0x0
	v_pk_mul_f32 v[42:43], v[38:39], v[40:41] op_sel:[1,1] op_sel_hi:[1,0]
	s_delay_alu instid0(VALU_DEP_1) | instskip(SKIP_1) | instid1(VALU_DEP_2)
	v_pk_fma_f32 v[82:83], v[38:39], v[40:41], v[42:43] op_sel_hi:[0,1,1]
	v_pk_fma_f32 v[40:41], v[38:39], v[40:41], v[42:43] neg_lo:[0,0,1] neg_hi:[0,0,1]
	v_mov_b32_e32 v41, v83
	s_delay_alu instid0(VALU_DEP_1)
	v_mov_b64_e32 v[38:39], v[40:41]
	ds_store_b64 v56, v[40:41]
.LBB166_687:                            ;   in Loop: Header=BB166_3 Depth=1
	s_or_b32 exec_lo, exec_lo, s9
	s_wait_dscnt 0x0
	s_barrier_signal -1
	s_barrier_wait -1
	s_and_saveexec_b32 s9, s63
	s_cbranch_execz .LBB166_689
; %bb.688:                              ;   in Loop: Header=BB166_3 Depth=1
	ds_load_b64 v[40:41], v1 offset:23928
	ds_load_b64 v[42:43], v56
	s_wait_dscnt 0x0
	v_pk_mul_f32 v[82:83], v[42:43], v[40:41] op_sel:[1,1] op_sel_hi:[0,1]
	s_delay_alu instid0(VALU_DEP_1) | instskip(SKIP_1) | instid1(VALU_DEP_2)
	v_pk_fma_f32 v[84:85], v[42:43], v[40:41], v[82:83] op_sel_hi:[1,0,1]
	v_pk_fma_f32 v[40:41], v[42:43], v[40:41], v[82:83] neg_lo:[0,0,1] neg_hi:[0,0,1]
	v_mov_b32_e32 v41, v85
	s_delay_alu instid0(VALU_DEP_1)
	v_pk_add_f32 v[38:39], v[38:39], v[40:41]
.LBB166_689:                            ;   in Loop: Header=BB166_3 Depth=1
	s_or_b32 exec_lo, exec_lo, s9
	s_barrier_signal -1
	s_barrier_wait -1
	s_and_saveexec_b32 s9, s63
	s_cbranch_execz .LBB166_691
; %bb.690:                              ;   in Loop: Header=BB166_3 Depth=1
	ds_load_b64 v[40:41], v1 offset:24440
	s_wait_dscnt 0x0
	v_pk_mul_f32 v[42:43], v[38:39], v[40:41] op_sel:[1,1] op_sel_hi:[1,0]
	s_delay_alu instid0(VALU_DEP_1) | instskip(SKIP_1) | instid1(VALU_DEP_2)
	v_pk_fma_f32 v[82:83], v[38:39], v[40:41], v[42:43] op_sel_hi:[0,1,1]
	v_pk_fma_f32 v[40:41], v[38:39], v[40:41], v[42:43] neg_lo:[0,0,1] neg_hi:[0,0,1]
	v_mov_b32_e32 v41, v83
	s_delay_alu instid0(VALU_DEP_1)
	v_mov_b64_e32 v[38:39], v[40:41]
	ds_store_b64 v56, v[40:41]
.LBB166_691:                            ;   in Loop: Header=BB166_3 Depth=1
	s_or_b32 exec_lo, exec_lo, s9
	s_wait_dscnt 0x0
	s_barrier_signal -1
	s_barrier_wait -1
	s_barrier_signal -1
	s_barrier_wait -1
	s_and_saveexec_b32 s9, s5
; %bb.692:                              ;   in Loop: Header=BB166_3 Depth=1
	v_pk_add_f32 v[38:39], v[38:39], 0 neg_lo:[1,1] neg_hi:[1,1]
	ds_store_b64 v57, v[38:39] offset:16704
; %bb.693:                              ;   in Loop: Header=BB166_3 Depth=1
	s_or_b32 exec_lo, exec_lo, s9
	s_wait_dscnt 0x0
	s_barrier_signal -1
	s_barrier_wait -1
	s_barrier_signal -1
	s_barrier_wait -1
	s_and_saveexec_b32 s13, s14
	s_cbranch_execz .LBB166_695
; %bb.694:                              ;   in Loop: Header=BB166_3 Depth=1
	ds_load_b128 v[38:41], v1 offset:20800
	ds_load_b64 v[42:43], v1 offset:21320
	s_wait_dscnt 0x1
	v_dual_mov_b32 v82, v41 :: v_dual_mov_b32 v83, v40
	s_wait_dscnt 0x0
	v_dual_mul_f32 v81, v43, v39 :: v_dual_mul_f32 v0, v42, v39
	s_delay_alu instid0(VALU_DEP_1) | instskip(NEXT) | instid1(VALU_DEP_2)
	v_xor_b32_e32 v84, 0x80000000, v81
	v_fmac_f32_e32 v0, v43, v38
	s_delay_alu instid0(VALU_DEP_2) | instskip(NEXT) | instid1(VALU_DEP_2)
	v_fmac_f32_e32 v84, v42, v38
	v_pk_mul_f32 v[38:39], v[0:1], v[82:83] op_sel_hi:[0,1]
	s_delay_alu instid0(VALU_DEP_1) | instskip(SKIP_1) | instid1(VALU_DEP_2)
	v_pk_fma_f32 v[42:43], v[84:85], v[40:41], v[38:39] op_sel_hi:[0,1,1]
	v_pk_fma_f32 v[38:39], v[84:85], v[40:41], v[38:39] neg_lo:[0,0,1] neg_hi:[0,0,1]
	v_mov_b32_e32 v39, v43
	ds_store_b64 v1, v[38:39] offset:20808
.LBB166_695:                            ;   in Loop: Header=BB166_3 Depth=1
	s_or_b32 exec_lo, exec_lo, s13
	v_mov_b32_e32 v39, 0
	s_wait_dscnt 0x0
	s_barrier_signal -1
	s_barrier_wait -1
	s_delay_alu instid0(VALU_DEP_1)
	v_mov_b32_e32 v38, v39
	s_and_saveexec_b32 s13, s3
	s_cbranch_execz .LBB166_699
; %bb.696:                              ;   in Loop: Header=BB166_3 Depth=1
	ds_load_b64 v[38:39], v46 offset:20816
	ds_load_b64 v[40:41], v47 offset:20800
	s_wait_dscnt 0x0
	v_dual_mul_f32 v0, v41, v39 :: v_dual_mul_f32 v43, v40, v39
	s_delay_alu instid0(VALU_DEP_1) | instskip(NEXT) | instid1(VALU_DEP_1)
	v_dual_fma_f32 v42, v40, v38, -v0 :: v_dual_fmac_f32 v43, v41, v38
	v_pk_add_f32 v[38:39], v[42:43], 0 op_sel_hi:[1,0]
	s_and_saveexec_b32 s9, s15
	s_cbranch_execz .LBB166_698
; %bb.697:                              ;   in Loop: Header=BB166_3 Depth=1
	ds_load_b64 v[40:41], v48 offset:21328
	ds_load_b64 v[42:43], v1 offset:20808
	s_wait_dscnt 0x0
	v_pk_mul_f32 v[82:83], v[42:43], v[40:41] op_sel:[1,1] op_sel_hi:[0,1]
	s_delay_alu instid0(VALU_DEP_1) | instskip(SKIP_1) | instid1(VALU_DEP_2)
	v_pk_fma_f32 v[84:85], v[42:43], v[40:41], v[82:83] op_sel_hi:[1,0,1]
	v_pk_fma_f32 v[40:41], v[42:43], v[40:41], v[82:83] neg_lo:[0,0,1] neg_hi:[0,0,1]
	v_mov_b32_e32 v41, v85
	s_delay_alu instid0(VALU_DEP_1)
	v_pk_add_f32 v[38:39], v[38:39], v[40:41]
.LBB166_698:                            ;   in Loop: Header=BB166_3 Depth=1
	s_or_b32 exec_lo, exec_lo, s9
	s_delay_alu instid0(VALU_DEP_1)
	v_pk_add_f32 v[38:39], v[38:39], 0 neg_lo:[1,1] neg_hi:[1,1]
.LBB166_699:                            ;   in Loop: Header=BB166_3 Depth=1
	s_or_b32 exec_lo, exec_lo, s13
	s_and_saveexec_b32 s9, vcc_hi
	s_cbranch_execz .LBB166_701
; %bb.700:                              ;   in Loop: Header=BB166_3 Depth=1
	ds_load_b64 v[40:41], v1 offset:21840
	s_wait_dscnt 0x0
	v_pk_mul_f32 v[42:43], v[38:39], v[40:41] op_sel:[1,1] op_sel_hi:[1,0]
	s_delay_alu instid0(VALU_DEP_1) | instskip(SKIP_1) | instid1(VALU_DEP_2)
	v_pk_fma_f32 v[82:83], v[38:39], v[40:41], v[42:43] op_sel_hi:[0,1,1]
	v_pk_fma_f32 v[40:41], v[38:39], v[40:41], v[42:43] neg_lo:[0,0,1] neg_hi:[0,0,1]
	v_mov_b32_e32 v41, v83
	s_delay_alu instid0(VALU_DEP_1)
	v_mov_b64_e32 v[38:39], v[40:41]
	ds_store_b64 v3, v[40:41]
.LBB166_701:                            ;   in Loop: Header=BB166_3 Depth=1
	s_or_b32 exec_lo, exec_lo, s9
	s_wait_dscnt 0x0
	s_barrier_signal -1
	s_barrier_wait -1
	s_and_saveexec_b32 s9, s43
	s_cbranch_execz .LBB166_703
; %bb.702:                              ;   in Loop: Header=BB166_3 Depth=1
	ds_load_b64 v[40:41], v1 offset:21848
	ds_load_b64 v[42:43], v3
	s_wait_dscnt 0x0
	v_pk_mul_f32 v[82:83], v[42:43], v[40:41] op_sel:[1,1] op_sel_hi:[0,1]
	s_delay_alu instid0(VALU_DEP_1) | instskip(SKIP_1) | instid1(VALU_DEP_2)
	v_pk_fma_f32 v[84:85], v[42:43], v[40:41], v[82:83] op_sel_hi:[1,0,1]
	v_pk_fma_f32 v[40:41], v[42:43], v[40:41], v[82:83] neg_lo:[0,0,1] neg_hi:[0,0,1]
	v_mov_b32_e32 v41, v85
	s_delay_alu instid0(VALU_DEP_1)
	v_pk_add_f32 v[38:39], v[38:39], v[40:41]
.LBB166_703:                            ;   in Loop: Header=BB166_3 Depth=1
	s_or_b32 exec_lo, exec_lo, s9
	s_barrier_signal -1
	s_barrier_wait -1
	s_and_saveexec_b32 s9, s43
	s_cbranch_execz .LBB166_705
; %bb.704:                              ;   in Loop: Header=BB166_3 Depth=1
	ds_load_b64 v[40:41], v1 offset:22360
	s_wait_dscnt 0x0
	v_pk_mul_f32 v[42:43], v[38:39], v[40:41] op_sel:[1,1] op_sel_hi:[1,0]
	s_delay_alu instid0(VALU_DEP_1) | instskip(SKIP_1) | instid1(VALU_DEP_2)
	v_pk_fma_f32 v[82:83], v[38:39], v[40:41], v[42:43] op_sel_hi:[0,1,1]
	v_pk_fma_f32 v[40:41], v[38:39], v[40:41], v[42:43] neg_lo:[0,0,1] neg_hi:[0,0,1]
	v_mov_b32_e32 v41, v83
	s_delay_alu instid0(VALU_DEP_1)
	v_mov_b64_e32 v[38:39], v[40:41]
	ds_store_b64 v3, v[40:41]
.LBB166_705:                            ;   in Loop: Header=BB166_3 Depth=1
	s_or_b32 exec_lo, exec_lo, s9
	s_wait_dscnt 0x0
	s_barrier_signal -1
	s_barrier_wait -1
	s_barrier_signal -1
	s_barrier_wait -1
	s_and_saveexec_b32 s9, s3
; %bb.706:                              ;   in Loop: Header=BB166_3 Depth=1
	v_pk_add_f32 v[38:39], v[38:39], 0 neg_lo:[1,1] neg_hi:[1,1]
	ds_store_b64 v46, v[38:39] offset:20816
; %bb.707:                              ;   in Loop: Header=BB166_3 Depth=1
	s_or_b32 exec_lo, exec_lo, s9
	s_wait_dscnt 0x0
	s_barrier_signal -1
	s_barrier_wait -1
	s_barrier_signal -1
	s_barrier_wait -1
	s_and_saveexec_b32 s13, s14
	s_cbranch_execz .LBB166_709
; %bb.708:                              ;   in Loop: Header=BB166_3 Depth=1
	ds_load_b128 v[38:41], v1 offset:21840
	ds_load_b64 v[42:43], v1 offset:22360
	s_wait_dscnt 0x1
	v_dual_mov_b32 v82, v41 :: v_dual_mov_b32 v83, v40
	s_wait_dscnt 0x0
	v_dual_mul_f32 v81, v43, v39 :: v_dual_mul_f32 v0, v42, v39
	s_delay_alu instid0(VALU_DEP_1) | instskip(NEXT) | instid1(VALU_DEP_2)
	v_xor_b32_e32 v84, 0x80000000, v81
	v_fmac_f32_e32 v0, v43, v38
	s_delay_alu instid0(VALU_DEP_2) | instskip(NEXT) | instid1(VALU_DEP_2)
	v_fmac_f32_e32 v84, v42, v38
	v_pk_mul_f32 v[38:39], v[0:1], v[82:83] op_sel_hi:[0,1]
	s_delay_alu instid0(VALU_DEP_1) | instskip(SKIP_1) | instid1(VALU_DEP_2)
	v_pk_fma_f32 v[42:43], v[84:85], v[40:41], v[38:39] op_sel_hi:[0,1,1]
	v_pk_fma_f32 v[38:39], v[84:85], v[40:41], v[38:39] neg_lo:[0,0,1] neg_hi:[0,0,1]
	v_mov_b32_e32 v39, v43
	ds_store_b64 v1, v[38:39] offset:21848
.LBB166_709:                            ;   in Loop: Header=BB166_3 Depth=1
	s_or_b32 exec_lo, exec_lo, s13
	v_mov_b32_e32 v38, 0
	s_wait_dscnt 0x0
	s_barrier_signal -1
	s_barrier_wait -1
	s_delay_alu instid0(VALU_DEP_1)
	v_mov_b32_e32 v39, v38
	s_and_saveexec_b32 s13, s4
	s_cbranch_execz .LBB166_715
; %bb.710:                              ;   in Loop: Header=BB166_3 Depth=1
	ds_load_b64 v[38:39], v52 offset:20832
	ds_load_b64 v[40:41], v50 offset:20800
	s_wait_dscnt 0x0
	v_pk_mul_f32 v[42:43], v[40:41], v[38:39] op_sel:[0,1]
	s_delay_alu instid0(VALU_DEP_1) | instskip(SKIP_1) | instid1(VALU_DEP_2)
	v_pk_fma_f32 v[82:83], v[40:41], v[38:39], v[42:43] op_sel:[1,0,0] op_sel_hi:[0,0,1] neg_lo:[0,0,1] neg_hi:[0,0,1]
	v_pk_fma_f32 v[38:39], v[40:41], v[38:39], v[42:43] op_sel:[1,0,0] op_sel_hi:[0,1,1]
	v_mov_b32_e32 v39, v83
	s_delay_alu instid0(VALU_DEP_1)
	v_pk_add_f32 v[38:39], v[38:39], 0 op_sel_hi:[1,0]
	s_and_saveexec_b32 s9, s16
	s_cbranch_execnz .LBB166_1082
; %bb.711:                              ;   in Loop: Header=BB166_3 Depth=1
	s_or_b32 exec_lo, exec_lo, s9
	s_and_saveexec_b32 s9, s17
	s_cbranch_execnz .LBB166_1083
.LBB166_712:                            ;   in Loop: Header=BB166_3 Depth=1
	s_or_b32 exec_lo, exec_lo, s9
	s_and_saveexec_b32 s9, s3
	s_cbranch_execz .LBB166_714
.LBB166_713:                            ;   in Loop: Header=BB166_3 Depth=1
	ds_load_b64 v[40:41], v48 offset:22368
	ds_load_b64 v[42:43], v1 offset:20824
	s_wait_dscnt 0x0
	v_pk_mul_f32 v[82:83], v[42:43], v[40:41] op_sel:[0,1]
	s_delay_alu instid0(VALU_DEP_1) | instskip(SKIP_1) | instid1(VALU_DEP_2)
	v_pk_fma_f32 v[84:85], v[42:43], v[40:41], v[82:83] op_sel:[1,0,0] op_sel_hi:[0,0,1] neg_lo:[0,0,1] neg_hi:[0,0,1]
	v_pk_fma_f32 v[40:41], v[42:43], v[40:41], v[82:83] op_sel:[1,0,0] op_sel_hi:[0,1,1]
	v_mov_b32_e32 v41, v85
	s_delay_alu instid0(VALU_DEP_1)
	v_pk_add_f32 v[38:39], v[38:39], v[40:41]
.LBB166_714:                            ;   in Loop: Header=BB166_3 Depth=1
	s_or_b32 exec_lo, exec_lo, s9
	s_delay_alu instid0(VALU_DEP_1) | instskip(NEXT) | instid1(VALU_DEP_1)
	v_pk_add_f32 v[40:41], v[38:39], 0 neg_lo:[1,1] neg_hi:[1,1]
	v_dual_mov_b32 v38, v41 :: v_dual_mov_b32 v39, v40
.LBB166_715:                            ;   in Loop: Header=BB166_3 Depth=1
	s_or_b32 exec_lo, exec_lo, s13
	s_and_saveexec_b32 s9, s44
	s_cbranch_execz .LBB166_717
; %bb.716:                              ;   in Loop: Header=BB166_3 Depth=1
	ds_load_b64 v[40:41], v1 offset:22880
	v_dual_mov_b32 v42, v39 :: v_dual_mov_b32 v43, v38
	s_wait_dscnt 0x0
	s_delay_alu instid0(VALU_DEP_1) | instskip(NEXT) | instid1(VALU_DEP_1)
	v_dual_mul_f32 v0, v42, v40 :: v_dual_mul_f32 v82, v39, v41
	v_pk_fma_f32 v[42:43], v[42:43], v[40:41], v[0:1] op_sel_hi:[1,1,0]
	s_delay_alu instid0(VALU_DEP_2) | instskip(NEXT) | instid1(VALU_DEP_2)
	v_pk_fma_f32 v[38:39], v[38:39], v[40:41], v[82:83] op_sel_hi:[1,1,0] neg_lo:[0,0,1] neg_hi:[0,0,1]
	v_mov_b32_e32 v39, v43
	ds_store_b64 v51, v[38:39]
.LBB166_717:                            ;   in Loop: Header=BB166_3 Depth=1
	s_or_b32 exec_lo, exec_lo, s9
	s_wait_dscnt 0x0
	s_barrier_signal -1
	s_barrier_wait -1
	s_and_saveexec_b32 s9, s45
	s_cbranch_execz .LBB166_719
; %bb.718:                              ;   in Loop: Header=BB166_3 Depth=1
	ds_load_b64 v[40:41], v49 offset:22880
	ds_load_b64 v[42:43], v51
	s_wait_dscnt 0x0
	v_dual_mul_f32 v0, v43, v41 :: v_dual_mul_f32 v83, v42, v41
	s_delay_alu instid0(VALU_DEP_1) | instskip(NEXT) | instid1(VALU_DEP_1)
	v_dual_fma_f32 v82, v42, v40, -v0 :: v_dual_fmac_f32 v83, v43, v40
	v_pk_add_f32 v[38:39], v[38:39], v[82:83]
.LBB166_719:                            ;   in Loop: Header=BB166_3 Depth=1
	s_or_b32 exec_lo, exec_lo, s9
	s_barrier_signal -1
	s_barrier_wait -1
	s_and_saveexec_b32 s9, s46
	s_cbranch_execz .LBB166_721
; %bb.720:                              ;   in Loop: Header=BB166_3 Depth=1
	ds_load_b64 v[40:41], v1 offset:23400
	s_wait_dscnt 0x0
	v_pk_mul_f32 v[42:43], v[38:39], v[40:41] op_sel:[1,1] op_sel_hi:[1,0]
	s_delay_alu instid0(VALU_DEP_1) | instskip(SKIP_1) | instid1(VALU_DEP_2)
	v_pk_fma_f32 v[82:83], v[38:39], v[40:41], v[42:43] op_sel_hi:[0,1,1]
	v_pk_fma_f32 v[40:41], v[38:39], v[40:41], v[42:43] neg_lo:[0,0,1] neg_hi:[0,0,1]
	v_mov_b32_e32 v41, v83
	s_delay_alu instid0(VALU_DEP_1)
	v_mov_b64_e32 v[38:39], v[40:41]
	ds_store_b64 v51, v[40:41]
.LBB166_721:                            ;   in Loop: Header=BB166_3 Depth=1
	s_or_b32 exec_lo, exec_lo, s9
	s_wait_dscnt 0x0
	s_barrier_signal -1
	s_barrier_wait -1
	s_and_saveexec_b32 s9, s47
	s_cbranch_execz .LBB166_723
; %bb.722:                              ;   in Loop: Header=BB166_3 Depth=1
	ds_load_b64 v[40:41], v49 offset:23392
	ds_load_b64 v[42:43], v51
	s_wait_dscnt 0x0
	v_pk_mul_f32 v[82:83], v[42:43], v[40:41] op_sel:[1,1] op_sel_hi:[0,1]
	s_delay_alu instid0(VALU_DEP_1) | instskip(SKIP_1) | instid1(VALU_DEP_2)
	v_pk_fma_f32 v[84:85], v[42:43], v[40:41], v[82:83] op_sel_hi:[1,0,1]
	v_pk_fma_f32 v[40:41], v[42:43], v[40:41], v[82:83] neg_lo:[0,0,1] neg_hi:[0,0,1]
	v_mov_b32_e32 v41, v85
	s_delay_alu instid0(VALU_DEP_1)
	v_pk_add_f32 v[38:39], v[38:39], v[40:41]
.LBB166_723:                            ;   in Loop: Header=BB166_3 Depth=1
	s_or_b32 exec_lo, exec_lo, s9
	s_barrier_signal -1
	s_barrier_wait -1
	s_and_saveexec_b32 s9, s48
	s_cbranch_execz .LBB166_725
; %bb.724:                              ;   in Loop: Header=BB166_3 Depth=1
	ds_load_b64 v[40:41], v1 offset:23920
	s_wait_dscnt 0x0
	v_pk_mul_f32 v[42:43], v[38:39], v[40:41] op_sel:[1,1] op_sel_hi:[1,0]
	s_delay_alu instid0(VALU_DEP_1) | instskip(SKIP_1) | instid1(VALU_DEP_2)
	v_pk_fma_f32 v[82:83], v[38:39], v[40:41], v[42:43] op_sel_hi:[0,1,1]
	v_pk_fma_f32 v[40:41], v[38:39], v[40:41], v[42:43] neg_lo:[0,0,1] neg_hi:[0,0,1]
	v_mov_b32_e32 v41, v83
	s_delay_alu instid0(VALU_DEP_1)
	v_mov_b64_e32 v[38:39], v[40:41]
	ds_store_b64 v51, v[40:41]
.LBB166_725:                            ;   in Loop: Header=BB166_3 Depth=1
	s_or_b32 exec_lo, exec_lo, s9
	s_wait_dscnt 0x0
	s_barrier_signal -1
	s_barrier_wait -1
	s_and_saveexec_b32 s9, s49
	s_cbranch_execz .LBB166_727
; %bb.726:                              ;   in Loop: Header=BB166_3 Depth=1
	ds_load_b64 v[40:41], v1 offset:23928
	ds_load_b64 v[42:43], v51
	s_wait_dscnt 0x0
	v_pk_mul_f32 v[82:83], v[42:43], v[40:41] op_sel:[1,1] op_sel_hi:[0,1]
	s_delay_alu instid0(VALU_DEP_1) | instskip(SKIP_1) | instid1(VALU_DEP_2)
	v_pk_fma_f32 v[84:85], v[42:43], v[40:41], v[82:83] op_sel_hi:[1,0,1]
	v_pk_fma_f32 v[40:41], v[42:43], v[40:41], v[82:83] neg_lo:[0,0,1] neg_hi:[0,0,1]
	v_mov_b32_e32 v41, v85
	s_delay_alu instid0(VALU_DEP_1)
	v_pk_add_f32 v[38:39], v[38:39], v[40:41]
.LBB166_727:                            ;   in Loop: Header=BB166_3 Depth=1
	s_or_b32 exec_lo, exec_lo, s9
	s_barrier_signal -1
	s_barrier_wait -1
	s_and_saveexec_b32 s9, s49
	s_cbranch_execz .LBB166_729
; %bb.728:                              ;   in Loop: Header=BB166_3 Depth=1
	ds_load_b64 v[40:41], v1 offset:24440
	s_wait_dscnt 0x0
	v_pk_mul_f32 v[42:43], v[38:39], v[40:41] op_sel:[1,1] op_sel_hi:[1,0]
	s_delay_alu instid0(VALU_DEP_1) | instskip(SKIP_1) | instid1(VALU_DEP_2)
	v_pk_fma_f32 v[82:83], v[38:39], v[40:41], v[42:43] op_sel_hi:[0,1,1]
	v_pk_fma_f32 v[40:41], v[38:39], v[40:41], v[42:43] neg_lo:[0,0,1] neg_hi:[0,0,1]
	v_mov_b32_e32 v41, v83
	s_delay_alu instid0(VALU_DEP_1)
	v_mov_b64_e32 v[38:39], v[40:41]
	ds_store_b64 v51, v[40:41]
.LBB166_729:                            ;   in Loop: Header=BB166_3 Depth=1
	s_or_b32 exec_lo, exec_lo, s9
	s_wait_dscnt 0x0
	s_barrier_signal -1
	s_barrier_wait -1
	s_barrier_signal -1
	s_barrier_wait -1
	s_and_saveexec_b32 s9, s4
; %bb.730:                              ;   in Loop: Header=BB166_3 Depth=1
	v_pk_add_f32 v[38:39], v[38:39], 0 neg_lo:[1,1] neg_hi:[1,1]
	ds_store_b64 v52, v[38:39] offset:20832
; %bb.731:                              ;   in Loop: Header=BB166_3 Depth=1
	s_or_b32 exec_lo, exec_lo, s9
	s_wait_dscnt 0x0
	s_barrier_signal -1
	s_barrier_wait -1
	s_barrier_signal -1
	s_barrier_wait -1
	s_and_saveexec_b32 s13, s14
	s_cbranch_execz .LBB166_733
; %bb.732:                              ;   in Loop: Header=BB166_3 Depth=1
	ds_load_b128 v[38:41], v1 offset:22880
	ds_load_b64 v[42:43], v1 offset:23400
	s_wait_dscnt 0x1
	v_dual_mov_b32 v82, v41 :: v_dual_mov_b32 v83, v40
	s_wait_dscnt 0x0
	v_dual_mul_f32 v81, v43, v39 :: v_dual_mul_f32 v0, v42, v39
	s_delay_alu instid0(VALU_DEP_1) | instskip(NEXT) | instid1(VALU_DEP_2)
	v_xor_b32_e32 v84, 0x80000000, v81
	v_fmac_f32_e32 v0, v43, v38
	s_delay_alu instid0(VALU_DEP_2) | instskip(NEXT) | instid1(VALU_DEP_2)
	v_fmac_f32_e32 v84, v42, v38
	v_pk_mul_f32 v[38:39], v[0:1], v[82:83] op_sel_hi:[0,1]
	s_delay_alu instid0(VALU_DEP_1) | instskip(SKIP_1) | instid1(VALU_DEP_2)
	v_pk_fma_f32 v[42:43], v[84:85], v[40:41], v[38:39] op_sel_hi:[0,1,1]
	v_pk_fma_f32 v[38:39], v[84:85], v[40:41], v[38:39] neg_lo:[0,0,1] neg_hi:[0,0,1]
	v_mov_b32_e32 v39, v43
	ds_store_b64 v1, v[38:39] offset:22888
.LBB166_733:                            ;   in Loop: Header=BB166_3 Depth=1
	s_or_b32 exec_lo, exec_lo, s13
	v_mov_b32_e32 v39, 0
	s_wait_dscnt 0x0
	s_barrier_signal -1
	s_barrier_wait -1
	s_delay_alu instid0(VALU_DEP_1)
	v_mov_b32_e32 v38, v39
	s_and_saveexec_b32 s13, s3
	s_cbranch_execz .LBB166_737
; %bb.734:                              ;   in Loop: Header=BB166_3 Depth=1
	ds_load_b64 v[38:39], v46 offset:22896
	ds_load_b64 v[40:41], v47 offset:22880
	s_wait_dscnt 0x0
	v_dual_mul_f32 v0, v41, v39 :: v_dual_mul_f32 v43, v40, v39
	s_delay_alu instid0(VALU_DEP_1) | instskip(NEXT) | instid1(VALU_DEP_1)
	v_dual_fma_f32 v42, v40, v38, -v0 :: v_dual_fmac_f32 v43, v41, v38
	v_pk_add_f32 v[38:39], v[42:43], 0 op_sel_hi:[1,0]
	s_and_saveexec_b32 s9, s15
	s_cbranch_execz .LBB166_736
; %bb.735:                              ;   in Loop: Header=BB166_3 Depth=1
	ds_load_b64 v[40:41], v48 offset:23408
	ds_load_b64 v[42:43], v1 offset:22888
	s_wait_dscnt 0x0
	v_pk_mul_f32 v[82:83], v[42:43], v[40:41] op_sel:[1,1] op_sel_hi:[0,1]
	s_delay_alu instid0(VALU_DEP_1) | instskip(SKIP_1) | instid1(VALU_DEP_2)
	v_pk_fma_f32 v[84:85], v[42:43], v[40:41], v[82:83] op_sel_hi:[1,0,1]
	v_pk_fma_f32 v[40:41], v[42:43], v[40:41], v[82:83] neg_lo:[0,0,1] neg_hi:[0,0,1]
	v_mov_b32_e32 v41, v85
	s_delay_alu instid0(VALU_DEP_1)
	v_pk_add_f32 v[38:39], v[38:39], v[40:41]
.LBB166_736:                            ;   in Loop: Header=BB166_3 Depth=1
	s_or_b32 exec_lo, exec_lo, s9
	s_delay_alu instid0(VALU_DEP_1)
	v_pk_add_f32 v[38:39], v[38:39], 0 neg_lo:[1,1] neg_hi:[1,1]
.LBB166_737:                            ;   in Loop: Header=BB166_3 Depth=1
	s_or_b32 exec_lo, exec_lo, s13
	s_and_saveexec_b32 s9, vcc_hi
	s_cbranch_execz .LBB166_739
; %bb.738:                              ;   in Loop: Header=BB166_3 Depth=1
	ds_load_b64 v[40:41], v1 offset:23920
	s_wait_dscnt 0x0
	v_pk_mul_f32 v[42:43], v[38:39], v[40:41] op_sel:[1,1] op_sel_hi:[1,0]
	s_delay_alu instid0(VALU_DEP_1) | instskip(SKIP_1) | instid1(VALU_DEP_2)
	v_pk_fma_f32 v[82:83], v[38:39], v[40:41], v[42:43] op_sel_hi:[0,1,1]
	v_pk_fma_f32 v[40:41], v[38:39], v[40:41], v[42:43] neg_lo:[0,0,1] neg_hi:[0,0,1]
	v_mov_b32_e32 v41, v83
	s_delay_alu instid0(VALU_DEP_1)
	v_mov_b64_e32 v[38:39], v[40:41]
	ds_store_b64 v3, v[40:41]
.LBB166_739:                            ;   in Loop: Header=BB166_3 Depth=1
	s_or_b32 exec_lo, exec_lo, s9
	s_wait_dscnt 0x0
	s_barrier_signal -1
	s_barrier_wait -1
	s_and_saveexec_b32 s9, s43
	s_cbranch_execz .LBB166_741
; %bb.740:                              ;   in Loop: Header=BB166_3 Depth=1
	ds_load_b64 v[40:41], v1 offset:23928
	ds_load_b64 v[42:43], v3
	s_wait_dscnt 0x0
	v_pk_mul_f32 v[82:83], v[42:43], v[40:41] op_sel:[1,1] op_sel_hi:[0,1]
	s_delay_alu instid0(VALU_DEP_1) | instskip(SKIP_1) | instid1(VALU_DEP_2)
	v_pk_fma_f32 v[84:85], v[42:43], v[40:41], v[82:83] op_sel_hi:[1,0,1]
	v_pk_fma_f32 v[40:41], v[42:43], v[40:41], v[82:83] neg_lo:[0,0,1] neg_hi:[0,0,1]
	v_mov_b32_e32 v41, v85
	s_delay_alu instid0(VALU_DEP_1)
	v_pk_add_f32 v[38:39], v[38:39], v[40:41]
.LBB166_741:                            ;   in Loop: Header=BB166_3 Depth=1
	s_or_b32 exec_lo, exec_lo, s9
	s_barrier_signal -1
	s_barrier_wait -1
	s_and_saveexec_b32 s9, s43
	s_cbranch_execz .LBB166_743
; %bb.742:                              ;   in Loop: Header=BB166_3 Depth=1
	ds_load_b64 v[40:41], v1 offset:24440
	s_wait_dscnt 0x0
	v_pk_mul_f32 v[42:43], v[38:39], v[40:41] op_sel:[1,1] op_sel_hi:[1,0]
	s_delay_alu instid0(VALU_DEP_1) | instskip(SKIP_1) | instid1(VALU_DEP_2)
	v_pk_fma_f32 v[82:83], v[38:39], v[40:41], v[42:43] op_sel_hi:[0,1,1]
	v_pk_fma_f32 v[40:41], v[38:39], v[40:41], v[42:43] neg_lo:[0,0,1] neg_hi:[0,0,1]
	v_mov_b32_e32 v41, v83
	s_delay_alu instid0(VALU_DEP_1)
	v_mov_b64_e32 v[38:39], v[40:41]
	ds_store_b64 v3, v[40:41]
.LBB166_743:                            ;   in Loop: Header=BB166_3 Depth=1
	s_or_b32 exec_lo, exec_lo, s9
	s_wait_dscnt 0x0
	s_barrier_signal -1
	s_barrier_wait -1
	s_barrier_signal -1
	s_barrier_wait -1
	s_and_saveexec_b32 s9, s3
; %bb.744:                              ;   in Loop: Header=BB166_3 Depth=1
	v_pk_add_f32 v[38:39], v[38:39], 0 neg_lo:[1,1] neg_hi:[1,1]
	ds_store_b64 v46, v[38:39] offset:22896
; %bb.745:                              ;   in Loop: Header=BB166_3 Depth=1
	s_or_b32 exec_lo, exec_lo, s9
	s_wait_dscnt 0x0
	s_barrier_signal -1
	s_barrier_wait -1
	s_barrier_signal -1
	s_barrier_wait -1
	s_and_saveexec_b32 s13, s14
	s_cbranch_execz .LBB166_747
; %bb.746:                              ;   in Loop: Header=BB166_3 Depth=1
	ds_load_b128 v[38:41], v1 offset:23920
	ds_load_b64 v[42:43], v1 offset:24440
	s_wait_dscnt 0x1
	v_dual_mov_b32 v82, v41 :: v_dual_mov_b32 v83, v40
	s_wait_dscnt 0x0
	v_dual_mul_f32 v81, v43, v39 :: v_dual_mul_f32 v0, v42, v39
	s_delay_alu instid0(VALU_DEP_1) | instskip(NEXT) | instid1(VALU_DEP_2)
	v_xor_b32_e32 v84, 0x80000000, v81
	v_fmac_f32_e32 v0, v43, v38
	s_delay_alu instid0(VALU_DEP_2) | instskip(NEXT) | instid1(VALU_DEP_2)
	v_fmac_f32_e32 v84, v42, v38
	v_pk_mul_f32 v[38:39], v[0:1], v[82:83] op_sel_hi:[0,1]
	s_delay_alu instid0(VALU_DEP_1) | instskip(SKIP_1) | instid1(VALU_DEP_2)
	v_pk_fma_f32 v[42:43], v[84:85], v[40:41], v[38:39] op_sel_hi:[0,1,1]
	v_pk_fma_f32 v[38:39], v[84:85], v[40:41], v[38:39] neg_lo:[0,0,1] neg_hi:[0,0,1]
	v_mov_b32_e32 v39, v43
	ds_store_b64 v1, v[38:39] offset:23928
.LBB166_747:                            ;   in Loop: Header=BB166_3 Depth=1
	s_or_b32 exec_lo, exec_lo, s13
	v_mov_b32_e32 v38, 0
	s_wait_dscnt 0x0
	s_barrier_signal -1
	s_barrier_wait -1
	s_delay_alu instid0(VALU_DEP_1)
	v_mov_b32_e32 v39, v38
	s_and_saveexec_b32 s70, s6
	s_cbranch_execz .LBB166_775
; %bb.748:                              ;   in Loop: Header=BB166_3 Depth=1
	ds_load_b64 v[38:39], v62 offset:16768
	ds_load_b64 v[40:41], v59 offset:16640
	v_readlane_b32 s1, v92, 29
	s_wait_dscnt 0x0
	v_dual_mul_f32 v0, v41, v39 :: v_dual_mul_f32 v42, v40, v39
	s_delay_alu instid0(VALU_DEP_1) | instskip(NEXT) | instid1(VALU_DEP_1)
	v_dual_fma_f32 v0, v40, v38, -v0 :: v_dual_fmac_f32 v42, v41, v38
	v_dual_add_f32 v39, 0, v0 :: v_dual_add_f32 v38, 0, v42
	s_and_saveexec_b32 s9, s1
	s_cbranch_execz .LBB166_750
; %bb.749:                              ;   in Loop: Header=BB166_3 Depth=1
	ds_load_b64 v[40:41], v63 offset:17280
	ds_load_b64 v[42:43], v59 offset:16648
	s_wait_dscnt 0x0
	v_dual_mul_f32 v0, v43, v41 :: v_dual_mul_f32 v41, v42, v41
	s_delay_alu instid0(VALU_DEP_1) | instskip(NEXT) | instid1(VALU_DEP_1)
	v_dual_fma_f32 v0, v42, v40, -v0 :: v_dual_fmac_f32 v41, v43, v40
	v_dual_add_f32 v39, v39, v0 :: v_dual_add_f32 v38, v38, v41
.LBB166_750:                            ;   in Loop: Header=BB166_3 Depth=1
	s_or_b32 exec_lo, exec_lo, s9
	v_readlane_b32 s1, v92, 30
	s_and_saveexec_b32 s9, s1
	s_cbranch_execz .LBB166_752
; %bb.751:                              ;   in Loop: Header=BB166_3 Depth=1
	ds_load_b64 v[40:41], v63 offset:17792
	ds_load_b64 v[42:43], v59 offset:16656
	s_wait_dscnt 0x0
	v_dual_mul_f32 v0, v43, v41 :: v_dual_mul_f32 v41, v42, v41
	s_delay_alu instid0(VALU_DEP_1) | instskip(NEXT) | instid1(VALU_DEP_1)
	v_dual_fma_f32 v0, v42, v40, -v0 :: v_dual_fmac_f32 v41, v43, v40
	v_dual_add_f32 v39, v39, v0 :: v_dual_add_f32 v38, v38, v41
.LBB166_752:                            ;   in Loop: Header=BB166_3 Depth=1
	s_or_b32 exec_lo, exec_lo, s9
	v_readlane_b32 s1, v92, 31
	;; [unrolled: 13-line block ×8, first 2 shown]
	s_and_saveexec_b32 s9, s1
	s_cbranch_execz .LBB166_766
; %bb.765:                              ;   in Loop: Header=BB166_3 Depth=1
	ds_load_b64 v[40:41], v63 offset:21376
	ds_load_b64 v[42:43], v59 offset:16712
	s_wait_dscnt 0x0
	v_dual_mul_f32 v0, v43, v41 :: v_dual_mul_f32 v41, v42, v41
	s_delay_alu instid0(VALU_DEP_1) | instskip(NEXT) | instid1(VALU_DEP_1)
	v_dual_fma_f32 v0, v42, v40, -v0 :: v_dual_fmac_f32 v41, v43, v40
	v_dual_add_f32 v39, v39, v0 :: v_dual_add_f32 v38, v38, v41
.LBB166_766:                            ;   in Loop: Header=BB166_3 Depth=1
	s_or_b32 exec_lo, exec_lo, s9
	s_and_saveexec_b32 s9, s0
	s_cbranch_execz .LBB166_768
; %bb.767:                              ;   in Loop: Header=BB166_3 Depth=1
	ds_load_b64 v[40:41], v63 offset:21888
	ds_load_b64 v[42:43], v59 offset:16720
	s_wait_dscnt 0x0
	v_dual_mul_f32 v0, v43, v41 :: v_dual_mul_f32 v41, v42, v41
	s_delay_alu instid0(VALU_DEP_1) | instskip(NEXT) | instid1(VALU_DEP_1)
	v_dual_fma_f32 v0, v42, v40, -v0 :: v_dual_fmac_f32 v41, v43, v40
	v_dual_add_f32 v39, v39, v0 :: v_dual_add_f32 v38, v38, v41
.LBB166_768:                            ;   in Loop: Header=BB166_3 Depth=1
	s_or_b32 exec_lo, exec_lo, s9
	v_readlane_b32 s1, v91, 6
	s_and_saveexec_b32 s9, s1
	s_cbranch_execnz .LBB166_1084
; %bb.769:                              ;   in Loop: Header=BB166_3 Depth=1
	s_or_b32 exec_lo, exec_lo, s9
	s_and_saveexec_b32 s9, s5
	s_cbranch_execnz .LBB166_1085
.LBB166_770:                            ;   in Loop: Header=BB166_3 Depth=1
	s_or_b32 exec_lo, exec_lo, s9
	s_and_saveexec_b32 s9, s19
	s_cbranch_execnz .LBB166_1086
.LBB166_771:                            ;   in Loop: Header=BB166_3 Depth=1
	s_or_b32 exec_lo, exec_lo, s9
	s_and_saveexec_b32 s9, s21
	s_cbranch_execnz .LBB166_1087
.LBB166_772:                            ;   in Loop: Header=BB166_3 Depth=1
	s_or_b32 exec_lo, exec_lo, s9
	s_and_saveexec_b32 s9, s4
	s_cbranch_execz .LBB166_774
.LBB166_773:                            ;   in Loop: Header=BB166_3 Depth=1
	ds_load_b64 v[40:41], v48 offset:24448
	ds_load_b64 v[42:43], v1 offset:16760
	s_wait_dscnt 0x0
	v_pk_mul_f32 v[82:83], v[42:43], v[40:41] op_sel:[0,1]
	s_delay_alu instid0(VALU_DEP_1) | instskip(SKIP_1) | instid1(VALU_DEP_2)
	v_pk_fma_f32 v[84:85], v[42:43], v[40:41], v[82:83] op_sel:[1,0,0] op_sel_hi:[0,0,1] neg_lo:[0,0,1] neg_hi:[0,0,1]
	v_pk_fma_f32 v[40:41], v[42:43], v[40:41], v[82:83] op_sel:[1,0,0] op_sel_hi:[0,1,1]
	v_mov_b32_e32 v41, v85
	s_delay_alu instid0(VALU_DEP_1)
	v_pk_add_f32 v[38:39], v[38:39], v[40:41]
.LBB166_774:                            ;   in Loop: Header=BB166_3 Depth=1
	s_or_b32 exec_lo, exec_lo, s9
	s_delay_alu instid0(VALU_DEP_1) | instskip(NEXT) | instid1(VALU_DEP_1)
	v_pk_add_f32 v[40:41], v[38:39], 0 neg_lo:[1,1] neg_hi:[1,1]
	v_dual_mov_b32 v38, v41 :: v_dual_mov_b32 v39, v40
.LBB166_775:                            ;   in Loop: Header=BB166_3 Depth=1
	s_or_b32 exec_lo, exec_lo, s70
	v_readlane_b32 s1, v92, 1
	s_and_saveexec_b32 s9, s1
	s_cbranch_execz .LBB166_777
; %bb.776:                              ;   in Loop: Header=BB166_3 Depth=1
	ds_load_b64 v[40:41], v1 offset:24960
	v_dual_mov_b32 v42, v39 :: v_dual_mov_b32 v43, v38
	s_wait_dscnt 0x0
	s_delay_alu instid0(VALU_DEP_1) | instskip(NEXT) | instid1(VALU_DEP_1)
	v_dual_mul_f32 v0, v42, v40 :: v_dual_mul_f32 v82, v39, v41
	v_pk_fma_f32 v[42:43], v[42:43], v[40:41], v[0:1] op_sel_hi:[1,1,0]
	s_delay_alu instid0(VALU_DEP_2) | instskip(NEXT) | instid1(VALU_DEP_2)
	v_pk_fma_f32 v[38:39], v[38:39], v[40:41], v[82:83] op_sel_hi:[1,1,0] neg_lo:[0,0,1] neg_hi:[0,0,1]
	v_mov_b32_e32 v39, v43
	ds_store_b64 v61, v[38:39]
.LBB166_777:                            ;   in Loop: Header=BB166_3 Depth=1
	s_or_b32 exec_lo, exec_lo, s9
	v_readlane_b32 s1, v92, 2
	s_wait_dscnt 0x0
	s_barrier_signal -1
	s_barrier_wait -1
	s_and_saveexec_b32 s9, s1
	s_cbranch_execz .LBB166_779
; %bb.778:                              ;   in Loop: Header=BB166_3 Depth=1
	ds_load_b64 v[40:41], v60 offset:24960
	ds_load_b64 v[42:43], v61
	s_wait_dscnt 0x0
	v_dual_mul_f32 v0, v43, v41 :: v_dual_mul_f32 v83, v42, v41
	s_delay_alu instid0(VALU_DEP_1) | instskip(NEXT) | instid1(VALU_DEP_1)
	v_dual_fma_f32 v82, v42, v40, -v0 :: v_dual_fmac_f32 v83, v43, v40
	v_pk_add_f32 v[38:39], v[38:39], v[82:83]
.LBB166_779:                            ;   in Loop: Header=BB166_3 Depth=1
	s_or_b32 exec_lo, exec_lo, s9
	v_readlane_b32 s1, v92, 3
	s_barrier_signal -1
	s_barrier_wait -1
	s_and_saveexec_b32 s9, s1
	s_cbranch_execz .LBB166_781
; %bb.780:                              ;   in Loop: Header=BB166_3 Depth=1
	ds_load_b64 v[40:41], v1 offset:25480
	s_wait_dscnt 0x0
	v_pk_mul_f32 v[42:43], v[38:39], v[40:41] op_sel:[1,1] op_sel_hi:[1,0]
	s_delay_alu instid0(VALU_DEP_1) | instskip(SKIP_1) | instid1(VALU_DEP_2)
	v_pk_fma_f32 v[82:83], v[38:39], v[40:41], v[42:43] op_sel_hi:[0,1,1]
	v_pk_fma_f32 v[38:39], v[38:39], v[40:41], v[42:43] op_sel_hi:[0,1,1] neg_lo:[0,0,1] neg_hi:[0,0,1]
	v_mov_b32_e32 v39, v83
	ds_store_b64 v61, v[38:39]
.LBB166_781:                            ;   in Loop: Header=BB166_3 Depth=1
	s_or_b32 exec_lo, exec_lo, s9
	v_readlane_b32 s1, v92, 4
	s_wait_dscnt 0x0
	s_barrier_signal -1
	s_barrier_wait -1
	s_and_saveexec_b32 s9, s1
	s_cbranch_execz .LBB166_783
; %bb.782:                              ;   in Loop: Header=BB166_3 Depth=1
	ds_load_b64 v[40:41], v60 offset:25472
	ds_load_b64 v[42:43], v61
	s_wait_dscnt 0x0
	v_pk_mul_f32 v[82:83], v[42:43], v[40:41] op_sel:[1,1] op_sel_hi:[0,1]
	s_delay_alu instid0(VALU_DEP_1) | instskip(SKIP_1) | instid1(VALU_DEP_2)
	v_pk_fma_f32 v[84:85], v[42:43], v[40:41], v[82:83] op_sel_hi:[1,0,1]
	v_pk_fma_f32 v[40:41], v[42:43], v[40:41], v[82:83] op_sel_hi:[1,0,1] neg_lo:[0,0,1] neg_hi:[0,0,1]
	v_mov_b32_e32 v41, v85
	s_delay_alu instid0(VALU_DEP_1)
	v_pk_add_f32 v[38:39], v[38:39], v[40:41]
.LBB166_783:                            ;   in Loop: Header=BB166_3 Depth=1
	s_or_b32 exec_lo, exec_lo, s9
	s_barrier_signal -1
	s_barrier_wait -1
	s_and_saveexec_b32 s9, s68
	s_cbranch_execz .LBB166_785
; %bb.784:                              ;   in Loop: Header=BB166_3 Depth=1
	ds_load_b64 v[40:41], v1 offset:26000
	s_wait_dscnt 0x0
	v_pk_mul_f32 v[42:43], v[38:39], v[40:41] op_sel:[1,1] op_sel_hi:[1,0]
	s_delay_alu instid0(VALU_DEP_1) | instskip(SKIP_1) | instid1(VALU_DEP_2)
	v_pk_fma_f32 v[82:83], v[38:39], v[40:41], v[42:43] op_sel_hi:[0,1,1]
	v_pk_fma_f32 v[38:39], v[38:39], v[40:41], v[42:43] op_sel_hi:[0,1,1] neg_lo:[0,0,1] neg_hi:[0,0,1]
	v_mov_b32_e32 v39, v83
	ds_store_b64 v61, v[38:39]
.LBB166_785:                            ;   in Loop: Header=BB166_3 Depth=1
	s_or_b32 exec_lo, exec_lo, s9
	s_wait_dscnt 0x0
	s_barrier_signal -1
	s_barrier_wait -1
	s_and_saveexec_b32 s9, s69
	s_cbranch_execz .LBB166_787
; %bb.786:                              ;   in Loop: Header=BB166_3 Depth=1
	ds_load_b64 v[40:41], v60 offset:25984
	ds_load_b64 v[42:43], v61
	s_wait_dscnt 0x0
	v_pk_mul_f32 v[82:83], v[42:43], v[40:41] op_sel:[1,1] op_sel_hi:[0,1]
	s_delay_alu instid0(VALU_DEP_1) | instskip(SKIP_1) | instid1(VALU_DEP_2)
	v_pk_fma_f32 v[84:85], v[42:43], v[40:41], v[82:83] op_sel_hi:[1,0,1]
	v_pk_fma_f32 v[40:41], v[42:43], v[40:41], v[82:83] op_sel_hi:[1,0,1] neg_lo:[0,0,1] neg_hi:[0,0,1]
	v_mov_b32_e32 v41, v85
	s_delay_alu instid0(VALU_DEP_1)
	v_pk_add_f32 v[38:39], v[38:39], v[40:41]
.LBB166_787:                            ;   in Loop: Header=BB166_3 Depth=1
	s_or_b32 exec_lo, exec_lo, s9
	s_barrier_signal -1
	s_barrier_wait -1
	s_and_saveexec_b32 s9, s11
	s_cbranch_execz .LBB166_789
; %bb.788:                              ;   in Loop: Header=BB166_3 Depth=1
	ds_load_b64 v[40:41], v1 offset:26520
	s_wait_dscnt 0x0
	v_pk_mul_f32 v[42:43], v[38:39], v[40:41] op_sel:[1,1] op_sel_hi:[1,0]
	s_delay_alu instid0(VALU_DEP_1) | instskip(SKIP_1) | instid1(VALU_DEP_2)
	v_pk_fma_f32 v[82:83], v[38:39], v[40:41], v[42:43] op_sel_hi:[0,1,1]
	v_pk_fma_f32 v[38:39], v[38:39], v[40:41], v[42:43] op_sel_hi:[0,1,1] neg_lo:[0,0,1] neg_hi:[0,0,1]
	v_mov_b32_e32 v39, v83
	ds_store_b64 v61, v[38:39]
.LBB166_789:                            ;   in Loop: Header=BB166_3 Depth=1
	s_or_b32 exec_lo, exec_lo, s9
	s_wait_dscnt 0x0
	s_barrier_signal -1
	s_barrier_wait -1
	s_and_saveexec_b32 s9, s23
	s_cbranch_execz .LBB166_791
; %bb.790:                              ;   in Loop: Header=BB166_3 Depth=1
	ds_load_b64 v[40:41], v60 offset:26496
	ds_load_b64 v[42:43], v61
	s_wait_dscnt 0x0
	v_pk_mul_f32 v[82:83], v[42:43], v[40:41] op_sel:[1,1] op_sel_hi:[0,1]
	s_delay_alu instid0(VALU_DEP_1) | instskip(SKIP_1) | instid1(VALU_DEP_2)
	v_pk_fma_f32 v[84:85], v[42:43], v[40:41], v[82:83] op_sel_hi:[1,0,1]
	v_pk_fma_f32 v[40:41], v[42:43], v[40:41], v[82:83] op_sel_hi:[1,0,1] neg_lo:[0,0,1] neg_hi:[0,0,1]
	v_mov_b32_e32 v41, v85
	s_delay_alu instid0(VALU_DEP_1)
	v_pk_add_f32 v[38:39], v[38:39], v[40:41]
.LBB166_791:                            ;   in Loop: Header=BB166_3 Depth=1
	s_or_b32 exec_lo, exec_lo, s9
	s_barrier_signal -1
	s_barrier_wait -1
	s_and_saveexec_b32 s9, s25
	s_cbranch_execz .LBB166_793
; %bb.792:                              ;   in Loop: Header=BB166_3 Depth=1
	ds_load_b64 v[40:41], v1 offset:27040
	s_wait_dscnt 0x0
	v_dual_mul_f32 v0, v38, v41 :: v_dual_mul_f32 v42, v39, v41
	s_delay_alu instid0(VALU_DEP_1) | instskip(NEXT) | instid1(VALU_DEP_2)
	v_pk_fma_f32 v[82:83], v[38:39], v[40:41], v[0:1] op_sel:[0,1,0] op_sel_hi:[1,0,0]
	v_pk_fma_f32 v[40:41], v[38:39], v[40:41], v[42:43] op_sel_hi:[1,1,0] neg_lo:[0,0,1] neg_hi:[0,0,1]
	s_delay_alu instid0(VALU_DEP_2) | instskip(NEXT) | instid1(VALU_DEP_1)
	v_mov_b32_e32 v41, v83
	v_mov_b64_e32 v[38:39], v[40:41]
	ds_store_b64 v61, v[40:41]
.LBB166_793:                            ;   in Loop: Header=BB166_3 Depth=1
	s_or_b32 exec_lo, exec_lo, s9
	s_wait_dscnt 0x0
	s_barrier_signal -1
	s_barrier_wait -1
	s_and_saveexec_b32 s9, s27
	s_cbranch_execz .LBB166_795
; %bb.794:                              ;   in Loop: Header=BB166_3 Depth=1
	ds_load_b64 v[40:41], v60 offset:27008
	ds_load_b64 v[42:43], v61
	s_wait_dscnt 0x0
	v_dual_mul_f32 v0, v43, v41 :: v_dual_mul_f32 v83, v42, v41
	s_delay_alu instid0(VALU_DEP_1) | instskip(NEXT) | instid1(VALU_DEP_1)
	v_dual_fma_f32 v82, v42, v40, -v0 :: v_dual_fmac_f32 v83, v43, v40
	v_pk_add_f32 v[38:39], v[38:39], v[82:83]
.LBB166_795:                            ;   in Loop: Header=BB166_3 Depth=1
	s_or_b32 exec_lo, exec_lo, s9
	s_barrier_signal -1
	s_barrier_wait -1
	s_and_saveexec_b32 s9, s29
	s_cbranch_execz .LBB166_797
; %bb.796:                              ;   in Loop: Header=BB166_3 Depth=1
	ds_load_b64 v[40:41], v1 offset:27560
	s_wait_dscnt 0x0
	v_pk_mul_f32 v[42:43], v[38:39], v[40:41] op_sel:[1,1] op_sel_hi:[1,0]
	s_delay_alu instid0(VALU_DEP_1) | instskip(SKIP_1) | instid1(VALU_DEP_2)
	v_pk_fma_f32 v[82:83], v[38:39], v[40:41], v[42:43] op_sel_hi:[0,1,1]
	v_pk_fma_f32 v[38:39], v[38:39], v[40:41], v[42:43] op_sel_hi:[0,1,1] neg_lo:[0,0,1] neg_hi:[0,0,1]
	v_mov_b32_e32 v39, v83
	ds_store_b64 v61, v[38:39]
.LBB166_797:                            ;   in Loop: Header=BB166_3 Depth=1
	s_or_b32 exec_lo, exec_lo, s9
	s_wait_dscnt 0x0
	s_barrier_signal -1
	s_barrier_wait -1
	s_and_saveexec_b32 s9, s31
	s_cbranch_execz .LBB166_799
; %bb.798:                              ;   in Loop: Header=BB166_3 Depth=1
	ds_load_b64 v[40:41], v60 offset:27520
	ds_load_b64 v[42:43], v61
	s_wait_dscnt 0x0
	v_pk_mul_f32 v[82:83], v[42:43], v[40:41] op_sel:[1,1] op_sel_hi:[0,1]
	s_delay_alu instid0(VALU_DEP_1) | instskip(SKIP_1) | instid1(VALU_DEP_2)
	v_pk_fma_f32 v[84:85], v[42:43], v[40:41], v[82:83] op_sel_hi:[1,0,1]
	v_pk_fma_f32 v[40:41], v[42:43], v[40:41], v[82:83] op_sel_hi:[1,0,1] neg_lo:[0,0,1] neg_hi:[0,0,1]
	v_mov_b32_e32 v41, v85
	s_delay_alu instid0(VALU_DEP_1)
	v_pk_add_f32 v[38:39], v[38:39], v[40:41]
.LBB166_799:                            ;   in Loop: Header=BB166_3 Depth=1
	s_or_b32 exec_lo, exec_lo, s9
	s_barrier_signal -1
	s_barrier_wait -1
	s_and_saveexec_b32 s9, s34
	s_cbranch_execz .LBB166_801
; %bb.800:                              ;   in Loop: Header=BB166_3 Depth=1
	ds_load_b64 v[40:41], v1 offset:28080
	s_wait_dscnt 0x0
	v_pk_mul_f32 v[42:43], v[38:39], v[40:41] op_sel:[1,1] op_sel_hi:[1,0]
	s_delay_alu instid0(VALU_DEP_1) | instskip(SKIP_1) | instid1(VALU_DEP_2)
	v_pk_fma_f32 v[82:83], v[38:39], v[40:41], v[42:43] op_sel_hi:[0,1,1]
	v_pk_fma_f32 v[38:39], v[38:39], v[40:41], v[42:43] op_sel_hi:[0,1,1] neg_lo:[0,0,1] neg_hi:[0,0,1]
	v_mov_b32_e32 v39, v83
	ds_store_b64 v61, v[38:39]
.LBB166_801:                            ;   in Loop: Header=BB166_3 Depth=1
	s_or_b32 exec_lo, exec_lo, s9
	s_wait_dscnt 0x0
	s_barrier_signal -1
	s_barrier_wait -1
	s_and_saveexec_b32 s9, s38
	s_cbranch_execz .LBB166_803
; %bb.802:                              ;   in Loop: Header=BB166_3 Depth=1
	ds_load_b64 v[40:41], v60 offset:28032
	ds_load_b64 v[42:43], v61
	s_wait_dscnt 0x0
	v_pk_mul_f32 v[82:83], v[42:43], v[40:41] op_sel:[1,1] op_sel_hi:[0,1]
	s_delay_alu instid0(VALU_DEP_1) | instskip(SKIP_1) | instid1(VALU_DEP_2)
	v_pk_fma_f32 v[84:85], v[42:43], v[40:41], v[82:83] op_sel_hi:[1,0,1]
	v_pk_fma_f32 v[40:41], v[42:43], v[40:41], v[82:83] op_sel_hi:[1,0,1] neg_lo:[0,0,1] neg_hi:[0,0,1]
	v_mov_b32_e32 v41, v85
	s_delay_alu instid0(VALU_DEP_1)
	v_pk_add_f32 v[38:39], v[38:39], v[40:41]
.LBB166_803:                            ;   in Loop: Header=BB166_3 Depth=1
	;; [unrolled: 33-line block ×3, first 2 shown]
	s_or_b32 exec_lo, exec_lo, s9
	s_barrier_signal -1
	s_barrier_wait -1
	s_and_saveexec_b32 s9, s41
	s_cbranch_execz .LBB166_809
; %bb.808:                              ;   in Loop: Header=BB166_3 Depth=1
	ds_load_b64 v[40:41], v1 offset:29120
	s_wait_dscnt 0x0
	v_dual_mul_f32 v0, v38, v41 :: v_dual_mul_f32 v42, v39, v41
	s_delay_alu instid0(VALU_DEP_1) | instskip(NEXT) | instid1(VALU_DEP_2)
	v_pk_fma_f32 v[82:83], v[38:39], v[40:41], v[0:1] op_sel:[0,1,0] op_sel_hi:[1,0,0]
	v_pk_fma_f32 v[40:41], v[38:39], v[40:41], v[42:43] op_sel_hi:[1,1,0] neg_lo:[0,0,1] neg_hi:[0,0,1]
	s_delay_alu instid0(VALU_DEP_2) | instskip(NEXT) | instid1(VALU_DEP_1)
	v_mov_b32_e32 v41, v83
	v_mov_b64_e32 v[38:39], v[40:41]
	ds_store_b64 v61, v[40:41]
.LBB166_809:                            ;   in Loop: Header=BB166_3 Depth=1
	s_or_b32 exec_lo, exec_lo, s9
	s_wait_dscnt 0x0
	s_barrier_signal -1
	s_barrier_wait -1
	s_and_saveexec_b32 s9, s42
	s_cbranch_execz .LBB166_811
; %bb.810:                              ;   in Loop: Header=BB166_3 Depth=1
	ds_load_b64 v[40:41], v60 offset:29056
	ds_load_b64 v[42:43], v61
	s_wait_dscnt 0x0
	v_dual_mul_f32 v0, v43, v41 :: v_dual_mul_f32 v83, v42, v41
	s_delay_alu instid0(VALU_DEP_1) | instskip(NEXT) | instid1(VALU_DEP_1)
	v_dual_fma_f32 v82, v42, v40, -v0 :: v_dual_fmac_f32 v83, v43, v40
	v_pk_add_f32 v[38:39], v[38:39], v[82:83]
.LBB166_811:                            ;   in Loop: Header=BB166_3 Depth=1
	s_or_b32 exec_lo, exec_lo, s9
	s_barrier_signal -1
	s_barrier_wait -1
	s_and_saveexec_b32 s9, s90
	s_cbranch_execz .LBB166_813
; %bb.812:                              ;   in Loop: Header=BB166_3 Depth=1
	ds_load_b64 v[40:41], v1 offset:29640
	s_wait_dscnt 0x0
	v_pk_mul_f32 v[42:43], v[38:39], v[40:41] op_sel:[1,1] op_sel_hi:[1,0]
	s_delay_alu instid0(VALU_DEP_1) | instskip(SKIP_1) | instid1(VALU_DEP_2)
	v_pk_fma_f32 v[82:83], v[38:39], v[40:41], v[42:43] op_sel_hi:[0,1,1]
	v_pk_fma_f32 v[38:39], v[38:39], v[40:41], v[42:43] op_sel_hi:[0,1,1] neg_lo:[0,0,1] neg_hi:[0,0,1]
	v_mov_b32_e32 v39, v83
	ds_store_b64 v61, v[38:39]
.LBB166_813:                            ;   in Loop: Header=BB166_3 Depth=1
	s_or_b32 exec_lo, exec_lo, s9
	s_wait_dscnt 0x0
	s_barrier_signal -1
	s_barrier_wait -1
	s_and_saveexec_b32 s9, s91
	s_cbranch_execz .LBB166_815
; %bb.814:                              ;   in Loop: Header=BB166_3 Depth=1
	ds_load_b64 v[40:41], v60 offset:29568
	ds_load_b64 v[42:43], v61
	s_wait_dscnt 0x0
	v_pk_mul_f32 v[82:83], v[42:43], v[40:41] op_sel:[1,1] op_sel_hi:[0,1]
	s_delay_alu instid0(VALU_DEP_1) | instskip(SKIP_1) | instid1(VALU_DEP_2)
	v_pk_fma_f32 v[84:85], v[42:43], v[40:41], v[82:83] op_sel_hi:[1,0,1]
	v_pk_fma_f32 v[40:41], v[42:43], v[40:41], v[82:83] op_sel_hi:[1,0,1] neg_lo:[0,0,1] neg_hi:[0,0,1]
	v_mov_b32_e32 v41, v85
	s_delay_alu instid0(VALU_DEP_1)
	v_pk_add_f32 v[38:39], v[38:39], v[40:41]
.LBB166_815:                            ;   in Loop: Header=BB166_3 Depth=1
	s_or_b32 exec_lo, exec_lo, s9
	s_barrier_signal -1
	s_barrier_wait -1
	s_and_saveexec_b32 s9, s84
	s_cbranch_execz .LBB166_817
; %bb.816:                              ;   in Loop: Header=BB166_3 Depth=1
	ds_load_b64 v[40:41], v1 offset:30160
	s_wait_dscnt 0x0
	v_pk_mul_f32 v[42:43], v[38:39], v[40:41] op_sel:[1,1] op_sel_hi:[1,0]
	s_delay_alu instid0(VALU_DEP_1) | instskip(SKIP_1) | instid1(VALU_DEP_2)
	v_pk_fma_f32 v[82:83], v[38:39], v[40:41], v[42:43] op_sel_hi:[0,1,1]
	v_pk_fma_f32 v[38:39], v[38:39], v[40:41], v[42:43] op_sel_hi:[0,1,1] neg_lo:[0,0,1] neg_hi:[0,0,1]
	v_mov_b32_e32 v39, v83
	ds_store_b64 v61, v[38:39]
.LBB166_817:                            ;   in Loop: Header=BB166_3 Depth=1
	s_or_b32 exec_lo, exec_lo, s9
	s_wait_dscnt 0x0
	s_barrier_signal -1
	s_barrier_wait -1
	s_and_saveexec_b32 s9, s85
	s_cbranch_execz .LBB166_819
; %bb.818:                              ;   in Loop: Header=BB166_3 Depth=1
	ds_load_b64 v[40:41], v60 offset:30080
	ds_load_b64 v[42:43], v61
	s_wait_dscnt 0x0
	v_pk_mul_f32 v[82:83], v[42:43], v[40:41] op_sel:[1,1] op_sel_hi:[0,1]
	s_delay_alu instid0(VALU_DEP_1) | instskip(SKIP_1) | instid1(VALU_DEP_2)
	v_pk_fma_f32 v[84:85], v[42:43], v[40:41], v[82:83] op_sel_hi:[1,0,1]
	v_pk_fma_f32 v[40:41], v[42:43], v[40:41], v[82:83] op_sel_hi:[1,0,1] neg_lo:[0,0,1] neg_hi:[0,0,1]
	v_mov_b32_e32 v41, v85
	s_delay_alu instid0(VALU_DEP_1)
	v_pk_add_f32 v[38:39], v[38:39], v[40:41]
.LBB166_819:                            ;   in Loop: Header=BB166_3 Depth=1
	;; [unrolled: 33-line block ×3, first 2 shown]
	s_or_b32 exec_lo, exec_lo, s9
	s_barrier_signal -1
	s_barrier_wait -1
	s_and_saveexec_b32 s9, s28
	s_cbranch_execz .LBB166_825
; %bb.824:                              ;   in Loop: Header=BB166_3 Depth=1
	ds_load_b64 v[40:41], v1 offset:31200
	s_wait_dscnt 0x0
	v_dual_mul_f32 v0, v38, v41 :: v_dual_mul_f32 v42, v39, v41
	s_delay_alu instid0(VALU_DEP_1) | instskip(NEXT) | instid1(VALU_DEP_2)
	v_pk_fma_f32 v[82:83], v[38:39], v[40:41], v[0:1] op_sel:[0,1,0] op_sel_hi:[1,0,0]
	v_pk_fma_f32 v[40:41], v[38:39], v[40:41], v[42:43] op_sel_hi:[1,1,0] neg_lo:[0,0,1] neg_hi:[0,0,1]
	s_delay_alu instid0(VALU_DEP_2) | instskip(NEXT) | instid1(VALU_DEP_1)
	v_mov_b32_e32 v41, v83
	v_mov_b64_e32 v[38:39], v[40:41]
	ds_store_b64 v61, v[40:41]
.LBB166_825:                            ;   in Loop: Header=BB166_3 Depth=1
	s_or_b32 exec_lo, exec_lo, s9
	s_wait_dscnt 0x0
	s_barrier_signal -1
	s_barrier_wait -1
	s_and_saveexec_b32 s9, s10
	s_cbranch_execz .LBB166_827
; %bb.826:                              ;   in Loop: Header=BB166_3 Depth=1
	ds_load_b64 v[40:41], v60 offset:31104
	ds_load_b64 v[42:43], v61
	s_wait_dscnt 0x0
	v_dual_mul_f32 v0, v43, v41 :: v_dual_mul_f32 v83, v42, v41
	s_delay_alu instid0(VALU_DEP_1) | instskip(NEXT) | instid1(VALU_DEP_1)
	v_dual_fma_f32 v82, v42, v40, -v0 :: v_dual_fmac_f32 v83, v43, v40
	v_pk_add_f32 v[38:39], v[38:39], v[82:83]
.LBB166_827:                            ;   in Loop: Header=BB166_3 Depth=1
	s_or_b32 exec_lo, exec_lo, s9
	s_barrier_signal -1
	s_barrier_wait -1
	s_and_saveexec_b32 s9, s30
	s_cbranch_execz .LBB166_829
; %bb.828:                              ;   in Loop: Header=BB166_3 Depth=1
	ds_load_b64 v[40:41], v1 offset:31720
	s_wait_dscnt 0x0
	v_pk_mul_f32 v[42:43], v[38:39], v[40:41] op_sel:[1,1] op_sel_hi:[1,0]
	s_delay_alu instid0(VALU_DEP_1) | instskip(SKIP_1) | instid1(VALU_DEP_2)
	v_pk_fma_f32 v[82:83], v[38:39], v[40:41], v[42:43] op_sel_hi:[0,1,1]
	v_pk_fma_f32 v[40:41], v[38:39], v[40:41], v[42:43] neg_lo:[0,0,1] neg_hi:[0,0,1]
	v_mov_b32_e32 v41, v83
	s_delay_alu instid0(VALU_DEP_1)
	v_mov_b64_e32 v[38:39], v[40:41]
	ds_store_b64 v61, v[40:41]
.LBB166_829:                            ;   in Loop: Header=BB166_3 Depth=1
	s_or_b32 exec_lo, exec_lo, s9
	s_wait_dscnt 0x0
	s_barrier_signal -1
	s_barrier_wait -1
	s_and_saveexec_b32 s9, s33
	s_cbranch_execz .LBB166_831
; %bb.830:                              ;   in Loop: Header=BB166_3 Depth=1
	ds_load_b64 v[40:41], v60 offset:31616
	ds_load_b64 v[42:43], v61
	s_wait_dscnt 0x0
	v_pk_mul_f32 v[82:83], v[42:43], v[40:41] op_sel:[1,1] op_sel_hi:[0,1]
	s_delay_alu instid0(VALU_DEP_1) | instskip(SKIP_1) | instid1(VALU_DEP_2)
	v_pk_fma_f32 v[84:85], v[42:43], v[40:41], v[82:83] op_sel_hi:[1,0,1]
	v_pk_fma_f32 v[40:41], v[42:43], v[40:41], v[82:83] neg_lo:[0,0,1] neg_hi:[0,0,1]
	v_mov_b32_e32 v41, v85
	s_delay_alu instid0(VALU_DEP_1)
	v_pk_add_f32 v[38:39], v[38:39], v[40:41]
.LBB166_831:                            ;   in Loop: Header=BB166_3 Depth=1
	s_or_b32 exec_lo, exec_lo, s9
	s_barrier_signal -1
	s_barrier_wait -1
	s_and_saveexec_b32 s9, s102
	s_cbranch_execz .LBB166_833
; %bb.832:                              ;   in Loop: Header=BB166_3 Depth=1
	ds_load_b64 v[40:41], v1 offset:32240
	s_wait_dscnt 0x0
	v_pk_mul_f32 v[42:43], v[38:39], v[40:41] op_sel:[1,1] op_sel_hi:[1,0]
	s_delay_alu instid0(VALU_DEP_1) | instskip(SKIP_1) | instid1(VALU_DEP_2)
	v_pk_fma_f32 v[82:83], v[38:39], v[40:41], v[42:43] op_sel_hi:[0,1,1]
	v_pk_fma_f32 v[40:41], v[38:39], v[40:41], v[42:43] neg_lo:[0,0,1] neg_hi:[0,0,1]
	v_mov_b32_e32 v41, v83
	s_delay_alu instid0(VALU_DEP_1)
	v_mov_b64_e32 v[38:39], v[40:41]
	ds_store_b64 v61, v[40:41]
.LBB166_833:                            ;   in Loop: Header=BB166_3 Depth=1
	s_or_b32 exec_lo, exec_lo, s9
	s_wait_dscnt 0x0
	s_barrier_signal -1
	s_barrier_wait -1
	s_and_saveexec_b32 s9, s64
	s_cbranch_execz .LBB166_835
; %bb.834:                              ;   in Loop: Header=BB166_3 Depth=1
	ds_load_b64 v[40:41], v1 offset:32248
	ds_load_b64 v[42:43], v61
	s_wait_dscnt 0x0
	v_pk_mul_f32 v[82:83], v[42:43], v[40:41] op_sel:[1,1] op_sel_hi:[0,1]
	s_delay_alu instid0(VALU_DEP_1) | instskip(SKIP_1) | instid1(VALU_DEP_2)
	v_pk_fma_f32 v[84:85], v[42:43], v[40:41], v[82:83] op_sel_hi:[1,0,1]
	v_pk_fma_f32 v[40:41], v[42:43], v[40:41], v[82:83] neg_lo:[0,0,1] neg_hi:[0,0,1]
	v_mov_b32_e32 v41, v85
	s_delay_alu instid0(VALU_DEP_1)
	v_pk_add_f32 v[38:39], v[38:39], v[40:41]
.LBB166_835:                            ;   in Loop: Header=BB166_3 Depth=1
	s_or_b32 exec_lo, exec_lo, s9
	s_barrier_signal -1
	s_barrier_wait -1
	s_and_saveexec_b32 s9, s64
	s_cbranch_execz .LBB166_837
; %bb.836:                              ;   in Loop: Header=BB166_3 Depth=1
	ds_load_b64 v[40:41], v1 offset:32760
	s_wait_dscnt 0x0
	v_pk_mul_f32 v[42:43], v[38:39], v[40:41] op_sel:[1,1] op_sel_hi:[1,0]
	s_delay_alu instid0(VALU_DEP_1) | instskip(SKIP_1) | instid1(VALU_DEP_2)
	v_pk_fma_f32 v[82:83], v[38:39], v[40:41], v[42:43] op_sel_hi:[0,1,1]
	v_pk_fma_f32 v[40:41], v[38:39], v[40:41], v[42:43] neg_lo:[0,0,1] neg_hi:[0,0,1]
	v_mov_b32_e32 v41, v83
	s_delay_alu instid0(VALU_DEP_1)
	v_mov_b64_e32 v[38:39], v[40:41]
	ds_store_b64 v61, v[40:41]
.LBB166_837:                            ;   in Loop: Header=BB166_3 Depth=1
	s_or_b32 exec_lo, exec_lo, s9
	s_wait_dscnt 0x0
	s_barrier_signal -1
	s_barrier_wait -1
	s_barrier_signal -1
	s_barrier_wait -1
	s_and_saveexec_b32 s9, s6
; %bb.838:                              ;   in Loop: Header=BB166_3 Depth=1
	v_pk_add_f32 v[38:39], v[38:39], 0 neg_lo:[1,1] neg_hi:[1,1]
	ds_store_b64 v62, v[38:39] offset:16768
; %bb.839:                              ;   in Loop: Header=BB166_3 Depth=1
	s_or_b32 exec_lo, exec_lo, s9
	s_wait_dscnt 0x0
	s_barrier_signal -1
	s_barrier_wait -1
	s_barrier_signal -1
	s_barrier_wait -1
	s_and_saveexec_b32 s13, s14
	s_cbranch_execz .LBB166_841
; %bb.840:                              ;   in Loop: Header=BB166_3 Depth=1
	ds_load_b128 v[38:41], v1 offset:24960
	ds_load_b64 v[42:43], v1 offset:25480
	s_wait_dscnt 0x1
	v_dual_mov_b32 v82, v41 :: v_dual_mov_b32 v83, v40
	s_wait_dscnt 0x0
	v_dual_mul_f32 v81, v43, v39 :: v_dual_mul_f32 v0, v42, v39
	s_delay_alu instid0(VALU_DEP_1) | instskip(NEXT) | instid1(VALU_DEP_2)
	v_xor_b32_e32 v84, 0x80000000, v81
	v_fmac_f32_e32 v0, v43, v38
	s_delay_alu instid0(VALU_DEP_2) | instskip(NEXT) | instid1(VALU_DEP_2)
	v_fmac_f32_e32 v84, v42, v38
	v_pk_mul_f32 v[38:39], v[0:1], v[82:83] op_sel_hi:[0,1]
	s_delay_alu instid0(VALU_DEP_1) | instskip(SKIP_1) | instid1(VALU_DEP_2)
	v_pk_fma_f32 v[42:43], v[84:85], v[40:41], v[38:39] op_sel_hi:[0,1,1]
	v_pk_fma_f32 v[38:39], v[84:85], v[40:41], v[38:39] neg_lo:[0,0,1] neg_hi:[0,0,1]
	v_mov_b32_e32 v39, v43
	ds_store_b64 v1, v[38:39] offset:24968
.LBB166_841:                            ;   in Loop: Header=BB166_3 Depth=1
	s_or_b32 exec_lo, exec_lo, s13
	v_mov_b32_e32 v39, 0
	s_wait_dscnt 0x0
	s_barrier_signal -1
	s_barrier_wait -1
	s_delay_alu instid0(VALU_DEP_1)
	v_mov_b32_e32 v38, v39
	s_and_saveexec_b32 s13, s3
	s_cbranch_execz .LBB166_845
; %bb.842:                              ;   in Loop: Header=BB166_3 Depth=1
	ds_load_b64 v[38:39], v46 offset:24976
	ds_load_b64 v[40:41], v47 offset:24960
	s_wait_dscnt 0x0
	v_dual_mul_f32 v0, v41, v39 :: v_dual_mul_f32 v43, v40, v39
	s_delay_alu instid0(VALU_DEP_1) | instskip(NEXT) | instid1(VALU_DEP_1)
	v_dual_fma_f32 v42, v40, v38, -v0 :: v_dual_fmac_f32 v43, v41, v38
	v_pk_add_f32 v[38:39], v[42:43], 0 op_sel_hi:[1,0]
	s_and_saveexec_b32 s9, s15
	s_cbranch_execz .LBB166_844
; %bb.843:                              ;   in Loop: Header=BB166_3 Depth=1
	ds_load_b64 v[40:41], v48 offset:25488
	ds_load_b64 v[42:43], v1 offset:24968
	s_wait_dscnt 0x0
	v_pk_mul_f32 v[82:83], v[42:43], v[40:41] op_sel:[1,1] op_sel_hi:[0,1]
	s_delay_alu instid0(VALU_DEP_1) | instskip(SKIP_1) | instid1(VALU_DEP_2)
	v_pk_fma_f32 v[84:85], v[42:43], v[40:41], v[82:83] op_sel_hi:[1,0,1]
	v_pk_fma_f32 v[40:41], v[42:43], v[40:41], v[82:83] neg_lo:[0,0,1] neg_hi:[0,0,1]
	v_mov_b32_e32 v41, v85
	s_delay_alu instid0(VALU_DEP_1)
	v_pk_add_f32 v[38:39], v[38:39], v[40:41]
.LBB166_844:                            ;   in Loop: Header=BB166_3 Depth=1
	s_or_b32 exec_lo, exec_lo, s9
	s_delay_alu instid0(VALU_DEP_1)
	v_pk_add_f32 v[38:39], v[38:39], 0 neg_lo:[1,1] neg_hi:[1,1]
.LBB166_845:                            ;   in Loop: Header=BB166_3 Depth=1
	s_or_b32 exec_lo, exec_lo, s13
	s_and_saveexec_b32 s9, vcc_hi
	s_cbranch_execz .LBB166_847
; %bb.846:                              ;   in Loop: Header=BB166_3 Depth=1
	ds_load_b64 v[40:41], v1 offset:26000
	s_wait_dscnt 0x0
	v_pk_mul_f32 v[42:43], v[38:39], v[40:41] op_sel:[1,1] op_sel_hi:[1,0]
	s_delay_alu instid0(VALU_DEP_1) | instskip(SKIP_1) | instid1(VALU_DEP_2)
	v_pk_fma_f32 v[82:83], v[38:39], v[40:41], v[42:43] op_sel_hi:[0,1,1]
	v_pk_fma_f32 v[40:41], v[38:39], v[40:41], v[42:43] neg_lo:[0,0,1] neg_hi:[0,0,1]
	v_mov_b32_e32 v41, v83
	s_delay_alu instid0(VALU_DEP_1)
	v_mov_b64_e32 v[38:39], v[40:41]
	ds_store_b64 v3, v[40:41]
.LBB166_847:                            ;   in Loop: Header=BB166_3 Depth=1
	s_or_b32 exec_lo, exec_lo, s9
	s_wait_dscnt 0x0
	s_barrier_signal -1
	s_barrier_wait -1
	s_and_saveexec_b32 s9, s43
	s_cbranch_execz .LBB166_849
; %bb.848:                              ;   in Loop: Header=BB166_3 Depth=1
	ds_load_b64 v[40:41], v1 offset:26008
	ds_load_b64 v[42:43], v3
	s_wait_dscnt 0x0
	v_pk_mul_f32 v[82:83], v[42:43], v[40:41] op_sel:[1,1] op_sel_hi:[0,1]
	s_delay_alu instid0(VALU_DEP_1) | instskip(SKIP_1) | instid1(VALU_DEP_2)
	v_pk_fma_f32 v[84:85], v[42:43], v[40:41], v[82:83] op_sel_hi:[1,0,1]
	v_pk_fma_f32 v[40:41], v[42:43], v[40:41], v[82:83] neg_lo:[0,0,1] neg_hi:[0,0,1]
	v_mov_b32_e32 v41, v85
	s_delay_alu instid0(VALU_DEP_1)
	v_pk_add_f32 v[38:39], v[38:39], v[40:41]
.LBB166_849:                            ;   in Loop: Header=BB166_3 Depth=1
	s_or_b32 exec_lo, exec_lo, s9
	s_barrier_signal -1
	s_barrier_wait -1
	s_and_saveexec_b32 s9, s43
	s_cbranch_execz .LBB166_851
; %bb.850:                              ;   in Loop: Header=BB166_3 Depth=1
	ds_load_b64 v[40:41], v1 offset:26520
	s_wait_dscnt 0x0
	v_pk_mul_f32 v[42:43], v[38:39], v[40:41] op_sel:[1,1] op_sel_hi:[1,0]
	s_delay_alu instid0(VALU_DEP_1) | instskip(SKIP_1) | instid1(VALU_DEP_2)
	v_pk_fma_f32 v[82:83], v[38:39], v[40:41], v[42:43] op_sel_hi:[0,1,1]
	v_pk_fma_f32 v[40:41], v[38:39], v[40:41], v[42:43] neg_lo:[0,0,1] neg_hi:[0,0,1]
	v_mov_b32_e32 v41, v83
	s_delay_alu instid0(VALU_DEP_1)
	v_mov_b64_e32 v[38:39], v[40:41]
	ds_store_b64 v3, v[40:41]
.LBB166_851:                            ;   in Loop: Header=BB166_3 Depth=1
	s_or_b32 exec_lo, exec_lo, s9
	s_wait_dscnt 0x0
	s_barrier_signal -1
	s_barrier_wait -1
	s_barrier_signal -1
	s_barrier_wait -1
	s_and_saveexec_b32 s9, s3
; %bb.852:                              ;   in Loop: Header=BB166_3 Depth=1
	v_pk_add_f32 v[38:39], v[38:39], 0 neg_lo:[1,1] neg_hi:[1,1]
	ds_store_b64 v46, v[38:39] offset:24976
; %bb.853:                              ;   in Loop: Header=BB166_3 Depth=1
	s_or_b32 exec_lo, exec_lo, s9
	s_wait_dscnt 0x0
	s_barrier_signal -1
	s_barrier_wait -1
	s_barrier_signal -1
	s_barrier_wait -1
	s_and_saveexec_b32 s13, s14
	s_cbranch_execz .LBB166_855
; %bb.854:                              ;   in Loop: Header=BB166_3 Depth=1
	ds_load_b128 v[38:41], v1 offset:26000
	ds_load_b64 v[42:43], v1 offset:26520
	s_wait_dscnt 0x1
	v_dual_mov_b32 v82, v41 :: v_dual_mov_b32 v83, v40
	s_wait_dscnt 0x0
	v_dual_mul_f32 v81, v43, v39 :: v_dual_mul_f32 v0, v42, v39
	s_delay_alu instid0(VALU_DEP_1) | instskip(NEXT) | instid1(VALU_DEP_2)
	v_xor_b32_e32 v84, 0x80000000, v81
	v_fmac_f32_e32 v0, v43, v38
	s_delay_alu instid0(VALU_DEP_2) | instskip(NEXT) | instid1(VALU_DEP_2)
	v_fmac_f32_e32 v84, v42, v38
	v_pk_mul_f32 v[38:39], v[0:1], v[82:83] op_sel_hi:[0,1]
	s_delay_alu instid0(VALU_DEP_1) | instskip(SKIP_1) | instid1(VALU_DEP_2)
	v_pk_fma_f32 v[42:43], v[84:85], v[40:41], v[38:39] op_sel_hi:[0,1,1]
	v_pk_fma_f32 v[38:39], v[84:85], v[40:41], v[38:39] neg_lo:[0,0,1] neg_hi:[0,0,1]
	v_mov_b32_e32 v39, v43
	ds_store_b64 v1, v[38:39] offset:26008
.LBB166_855:                            ;   in Loop: Header=BB166_3 Depth=1
	s_or_b32 exec_lo, exec_lo, s13
	v_mov_b32_e32 v38, 0
	s_wait_dscnt 0x0
	s_barrier_signal -1
	s_barrier_wait -1
	s_delay_alu instid0(VALU_DEP_1)
	v_mov_b32_e32 v39, v38
	s_and_saveexec_b32 s13, s4
	s_cbranch_execz .LBB166_861
; %bb.856:                              ;   in Loop: Header=BB166_3 Depth=1
	ds_load_b64 v[38:39], v52 offset:24992
	ds_load_b64 v[40:41], v50 offset:24960
	s_wait_dscnt 0x0
	v_pk_mul_f32 v[42:43], v[40:41], v[38:39] op_sel:[0,1]
	s_delay_alu instid0(VALU_DEP_1) | instskip(SKIP_1) | instid1(VALU_DEP_2)
	v_pk_fma_f32 v[82:83], v[40:41], v[38:39], v[42:43] op_sel:[1,0,0] op_sel_hi:[0,0,1] neg_lo:[0,0,1] neg_hi:[0,0,1]
	v_pk_fma_f32 v[38:39], v[40:41], v[38:39], v[42:43] op_sel:[1,0,0] op_sel_hi:[0,1,1]
	v_mov_b32_e32 v39, v83
	s_delay_alu instid0(VALU_DEP_1)
	v_pk_add_f32 v[38:39], v[38:39], 0 op_sel_hi:[1,0]
	s_and_saveexec_b32 s9, s16
	s_cbranch_execnz .LBB166_1088
; %bb.857:                              ;   in Loop: Header=BB166_3 Depth=1
	s_or_b32 exec_lo, exec_lo, s9
	s_and_saveexec_b32 s9, s17
	s_cbranch_execnz .LBB166_1089
.LBB166_858:                            ;   in Loop: Header=BB166_3 Depth=1
	s_or_b32 exec_lo, exec_lo, s9
	s_and_saveexec_b32 s9, s3
	s_cbranch_execz .LBB166_860
.LBB166_859:                            ;   in Loop: Header=BB166_3 Depth=1
	ds_load_b64 v[40:41], v48 offset:26528
	ds_load_b64 v[42:43], v1 offset:24984
	s_wait_dscnt 0x0
	v_pk_mul_f32 v[82:83], v[42:43], v[40:41] op_sel:[0,1]
	s_delay_alu instid0(VALU_DEP_1) | instskip(SKIP_1) | instid1(VALU_DEP_2)
	v_pk_fma_f32 v[84:85], v[42:43], v[40:41], v[82:83] op_sel:[1,0,0] op_sel_hi:[0,0,1] neg_lo:[0,0,1] neg_hi:[0,0,1]
	v_pk_fma_f32 v[40:41], v[42:43], v[40:41], v[82:83] op_sel:[1,0,0] op_sel_hi:[0,1,1]
	v_mov_b32_e32 v41, v85
	s_delay_alu instid0(VALU_DEP_1)
	v_pk_add_f32 v[38:39], v[38:39], v[40:41]
.LBB166_860:                            ;   in Loop: Header=BB166_3 Depth=1
	s_or_b32 exec_lo, exec_lo, s9
	s_delay_alu instid0(VALU_DEP_1) | instskip(NEXT) | instid1(VALU_DEP_1)
	v_pk_add_f32 v[40:41], v[38:39], 0 neg_lo:[1,1] neg_hi:[1,1]
	v_dual_mov_b32 v38, v41 :: v_dual_mov_b32 v39, v40
.LBB166_861:                            ;   in Loop: Header=BB166_3 Depth=1
	s_or_b32 exec_lo, exec_lo, s13
	s_and_saveexec_b32 s9, s44
	s_cbranch_execz .LBB166_863
; %bb.862:                              ;   in Loop: Header=BB166_3 Depth=1
	ds_load_b64 v[40:41], v1 offset:27040
	v_dual_mov_b32 v42, v39 :: v_dual_mov_b32 v43, v38
	s_wait_dscnt 0x0
	s_delay_alu instid0(VALU_DEP_1) | instskip(NEXT) | instid1(VALU_DEP_1)
	v_dual_mul_f32 v0, v42, v40 :: v_dual_mul_f32 v82, v39, v41
	v_pk_fma_f32 v[42:43], v[42:43], v[40:41], v[0:1] op_sel_hi:[1,1,0]
	s_delay_alu instid0(VALU_DEP_2) | instskip(NEXT) | instid1(VALU_DEP_2)
	v_pk_fma_f32 v[38:39], v[38:39], v[40:41], v[82:83] op_sel_hi:[1,1,0] neg_lo:[0,0,1] neg_hi:[0,0,1]
	v_mov_b32_e32 v39, v43
	ds_store_b64 v51, v[38:39]
.LBB166_863:                            ;   in Loop: Header=BB166_3 Depth=1
	s_or_b32 exec_lo, exec_lo, s9
	s_wait_dscnt 0x0
	s_barrier_signal -1
	s_barrier_wait -1
	s_and_saveexec_b32 s9, s45
	s_cbranch_execz .LBB166_865
; %bb.864:                              ;   in Loop: Header=BB166_3 Depth=1
	ds_load_b64 v[40:41], v49 offset:27040
	ds_load_b64 v[42:43], v51
	s_wait_dscnt 0x0
	v_dual_mul_f32 v0, v43, v41 :: v_dual_mul_f32 v83, v42, v41
	s_delay_alu instid0(VALU_DEP_1) | instskip(NEXT) | instid1(VALU_DEP_1)
	v_dual_fma_f32 v82, v42, v40, -v0 :: v_dual_fmac_f32 v83, v43, v40
	v_pk_add_f32 v[38:39], v[38:39], v[82:83]
.LBB166_865:                            ;   in Loop: Header=BB166_3 Depth=1
	s_or_b32 exec_lo, exec_lo, s9
	s_barrier_signal -1
	s_barrier_wait -1
	s_and_saveexec_b32 s9, s46
	s_cbranch_execz .LBB166_867
; %bb.866:                              ;   in Loop: Header=BB166_3 Depth=1
	ds_load_b64 v[40:41], v1 offset:27560
	s_wait_dscnt 0x0
	v_pk_mul_f32 v[42:43], v[38:39], v[40:41] op_sel:[1,1] op_sel_hi:[1,0]
	s_delay_alu instid0(VALU_DEP_1) | instskip(SKIP_1) | instid1(VALU_DEP_2)
	v_pk_fma_f32 v[82:83], v[38:39], v[40:41], v[42:43] op_sel_hi:[0,1,1]
	v_pk_fma_f32 v[40:41], v[38:39], v[40:41], v[42:43] neg_lo:[0,0,1] neg_hi:[0,0,1]
	v_mov_b32_e32 v41, v83
	s_delay_alu instid0(VALU_DEP_1)
	v_mov_b64_e32 v[38:39], v[40:41]
	ds_store_b64 v51, v[40:41]
.LBB166_867:                            ;   in Loop: Header=BB166_3 Depth=1
	s_or_b32 exec_lo, exec_lo, s9
	s_wait_dscnt 0x0
	s_barrier_signal -1
	s_barrier_wait -1
	s_and_saveexec_b32 s9, s47
	s_cbranch_execz .LBB166_869
; %bb.868:                              ;   in Loop: Header=BB166_3 Depth=1
	ds_load_b64 v[40:41], v49 offset:27552
	ds_load_b64 v[42:43], v51
	s_wait_dscnt 0x0
	v_pk_mul_f32 v[82:83], v[42:43], v[40:41] op_sel:[1,1] op_sel_hi:[0,1]
	s_delay_alu instid0(VALU_DEP_1) | instskip(SKIP_1) | instid1(VALU_DEP_2)
	v_pk_fma_f32 v[84:85], v[42:43], v[40:41], v[82:83] op_sel_hi:[1,0,1]
	v_pk_fma_f32 v[40:41], v[42:43], v[40:41], v[82:83] neg_lo:[0,0,1] neg_hi:[0,0,1]
	v_mov_b32_e32 v41, v85
	s_delay_alu instid0(VALU_DEP_1)
	v_pk_add_f32 v[38:39], v[38:39], v[40:41]
.LBB166_869:                            ;   in Loop: Header=BB166_3 Depth=1
	s_or_b32 exec_lo, exec_lo, s9
	s_barrier_signal -1
	s_barrier_wait -1
	s_and_saveexec_b32 s9, s48
	s_cbranch_execz .LBB166_871
; %bb.870:                              ;   in Loop: Header=BB166_3 Depth=1
	ds_load_b64 v[40:41], v1 offset:28080
	s_wait_dscnt 0x0
	v_pk_mul_f32 v[42:43], v[38:39], v[40:41] op_sel:[1,1] op_sel_hi:[1,0]
	s_delay_alu instid0(VALU_DEP_1) | instskip(SKIP_1) | instid1(VALU_DEP_2)
	v_pk_fma_f32 v[82:83], v[38:39], v[40:41], v[42:43] op_sel_hi:[0,1,1]
	v_pk_fma_f32 v[40:41], v[38:39], v[40:41], v[42:43] neg_lo:[0,0,1] neg_hi:[0,0,1]
	v_mov_b32_e32 v41, v83
	s_delay_alu instid0(VALU_DEP_1)
	v_mov_b64_e32 v[38:39], v[40:41]
	ds_store_b64 v51, v[40:41]
.LBB166_871:                            ;   in Loop: Header=BB166_3 Depth=1
	s_or_b32 exec_lo, exec_lo, s9
	s_wait_dscnt 0x0
	s_barrier_signal -1
	s_barrier_wait -1
	s_and_saveexec_b32 s9, s49
	s_cbranch_execz .LBB166_873
; %bb.872:                              ;   in Loop: Header=BB166_3 Depth=1
	ds_load_b64 v[40:41], v1 offset:28088
	ds_load_b64 v[42:43], v51
	s_wait_dscnt 0x0
	v_pk_mul_f32 v[82:83], v[42:43], v[40:41] op_sel:[1,1] op_sel_hi:[0,1]
	s_delay_alu instid0(VALU_DEP_1) | instskip(SKIP_1) | instid1(VALU_DEP_2)
	v_pk_fma_f32 v[84:85], v[42:43], v[40:41], v[82:83] op_sel_hi:[1,0,1]
	v_pk_fma_f32 v[40:41], v[42:43], v[40:41], v[82:83] neg_lo:[0,0,1] neg_hi:[0,0,1]
	v_mov_b32_e32 v41, v85
	s_delay_alu instid0(VALU_DEP_1)
	v_pk_add_f32 v[38:39], v[38:39], v[40:41]
.LBB166_873:                            ;   in Loop: Header=BB166_3 Depth=1
	s_or_b32 exec_lo, exec_lo, s9
	s_barrier_signal -1
	s_barrier_wait -1
	s_and_saveexec_b32 s9, s49
	s_cbranch_execz .LBB166_875
; %bb.874:                              ;   in Loop: Header=BB166_3 Depth=1
	ds_load_b64 v[40:41], v1 offset:28600
	s_wait_dscnt 0x0
	v_pk_mul_f32 v[42:43], v[38:39], v[40:41] op_sel:[1,1] op_sel_hi:[1,0]
	s_delay_alu instid0(VALU_DEP_1) | instskip(SKIP_1) | instid1(VALU_DEP_2)
	v_pk_fma_f32 v[82:83], v[38:39], v[40:41], v[42:43] op_sel_hi:[0,1,1]
	v_pk_fma_f32 v[40:41], v[38:39], v[40:41], v[42:43] neg_lo:[0,0,1] neg_hi:[0,0,1]
	v_mov_b32_e32 v41, v83
	s_delay_alu instid0(VALU_DEP_1)
	v_mov_b64_e32 v[38:39], v[40:41]
	ds_store_b64 v51, v[40:41]
.LBB166_875:                            ;   in Loop: Header=BB166_3 Depth=1
	s_or_b32 exec_lo, exec_lo, s9
	s_wait_dscnt 0x0
	s_barrier_signal -1
	s_barrier_wait -1
	s_barrier_signal -1
	s_barrier_wait -1
	s_and_saveexec_b32 s9, s4
; %bb.876:                              ;   in Loop: Header=BB166_3 Depth=1
	v_pk_add_f32 v[38:39], v[38:39], 0 neg_lo:[1,1] neg_hi:[1,1]
	ds_store_b64 v52, v[38:39] offset:24992
; %bb.877:                              ;   in Loop: Header=BB166_3 Depth=1
	s_or_b32 exec_lo, exec_lo, s9
	s_wait_dscnt 0x0
	s_barrier_signal -1
	s_barrier_wait -1
	s_barrier_signal -1
	s_barrier_wait -1
	s_and_saveexec_b32 s13, s14
	s_cbranch_execz .LBB166_879
; %bb.878:                              ;   in Loop: Header=BB166_3 Depth=1
	ds_load_b128 v[38:41], v1 offset:27040
	ds_load_b64 v[42:43], v1 offset:27560
	s_wait_dscnt 0x1
	v_dual_mov_b32 v82, v41 :: v_dual_mov_b32 v83, v40
	s_wait_dscnt 0x0
	v_dual_mul_f32 v81, v43, v39 :: v_dual_mul_f32 v0, v42, v39
	s_delay_alu instid0(VALU_DEP_1) | instskip(NEXT) | instid1(VALU_DEP_2)
	v_xor_b32_e32 v84, 0x80000000, v81
	v_fmac_f32_e32 v0, v43, v38
	s_delay_alu instid0(VALU_DEP_2) | instskip(NEXT) | instid1(VALU_DEP_2)
	v_fmac_f32_e32 v84, v42, v38
	v_pk_mul_f32 v[38:39], v[0:1], v[82:83] op_sel_hi:[0,1]
	s_delay_alu instid0(VALU_DEP_1) | instskip(SKIP_1) | instid1(VALU_DEP_2)
	v_pk_fma_f32 v[42:43], v[84:85], v[40:41], v[38:39] op_sel_hi:[0,1,1]
	v_pk_fma_f32 v[38:39], v[84:85], v[40:41], v[38:39] neg_lo:[0,0,1] neg_hi:[0,0,1]
	v_mov_b32_e32 v39, v43
	ds_store_b64 v1, v[38:39] offset:27048
.LBB166_879:                            ;   in Loop: Header=BB166_3 Depth=1
	s_or_b32 exec_lo, exec_lo, s13
	v_mov_b32_e32 v39, 0
	s_wait_dscnt 0x0
	s_barrier_signal -1
	s_barrier_wait -1
	s_delay_alu instid0(VALU_DEP_1)
	v_mov_b32_e32 v38, v39
	s_and_saveexec_b32 s13, s3
	s_cbranch_execz .LBB166_883
; %bb.880:                              ;   in Loop: Header=BB166_3 Depth=1
	ds_load_b64 v[38:39], v46 offset:27056
	ds_load_b64 v[40:41], v47 offset:27040
	s_wait_dscnt 0x0
	v_dual_mul_f32 v0, v41, v39 :: v_dual_mul_f32 v43, v40, v39
	s_delay_alu instid0(VALU_DEP_1) | instskip(NEXT) | instid1(VALU_DEP_1)
	v_dual_fma_f32 v42, v40, v38, -v0 :: v_dual_fmac_f32 v43, v41, v38
	v_pk_add_f32 v[38:39], v[42:43], 0 op_sel_hi:[1,0]
	s_and_saveexec_b32 s9, s15
	s_cbranch_execz .LBB166_882
; %bb.881:                              ;   in Loop: Header=BB166_3 Depth=1
	ds_load_b64 v[40:41], v48 offset:27568
	ds_load_b64 v[42:43], v1 offset:27048
	s_wait_dscnt 0x0
	v_pk_mul_f32 v[82:83], v[42:43], v[40:41] op_sel:[1,1] op_sel_hi:[0,1]
	s_delay_alu instid0(VALU_DEP_1) | instskip(SKIP_1) | instid1(VALU_DEP_2)
	v_pk_fma_f32 v[84:85], v[42:43], v[40:41], v[82:83] op_sel_hi:[1,0,1]
	v_pk_fma_f32 v[40:41], v[42:43], v[40:41], v[82:83] neg_lo:[0,0,1] neg_hi:[0,0,1]
	v_mov_b32_e32 v41, v85
	s_delay_alu instid0(VALU_DEP_1)
	v_pk_add_f32 v[38:39], v[38:39], v[40:41]
.LBB166_882:                            ;   in Loop: Header=BB166_3 Depth=1
	s_or_b32 exec_lo, exec_lo, s9
	s_delay_alu instid0(VALU_DEP_1)
	v_pk_add_f32 v[38:39], v[38:39], 0 neg_lo:[1,1] neg_hi:[1,1]
.LBB166_883:                            ;   in Loop: Header=BB166_3 Depth=1
	s_or_b32 exec_lo, exec_lo, s13
	s_and_saveexec_b32 s9, vcc_hi
	s_cbranch_execz .LBB166_885
; %bb.884:                              ;   in Loop: Header=BB166_3 Depth=1
	ds_load_b64 v[40:41], v1 offset:28080
	s_wait_dscnt 0x0
	v_pk_mul_f32 v[42:43], v[38:39], v[40:41] op_sel:[1,1] op_sel_hi:[1,0]
	s_delay_alu instid0(VALU_DEP_1) | instskip(SKIP_1) | instid1(VALU_DEP_2)
	v_pk_fma_f32 v[82:83], v[38:39], v[40:41], v[42:43] op_sel_hi:[0,1,1]
	v_pk_fma_f32 v[40:41], v[38:39], v[40:41], v[42:43] neg_lo:[0,0,1] neg_hi:[0,0,1]
	v_mov_b32_e32 v41, v83
	s_delay_alu instid0(VALU_DEP_1)
	v_mov_b64_e32 v[38:39], v[40:41]
	ds_store_b64 v3, v[40:41]
.LBB166_885:                            ;   in Loop: Header=BB166_3 Depth=1
	s_or_b32 exec_lo, exec_lo, s9
	s_wait_dscnt 0x0
	s_barrier_signal -1
	s_barrier_wait -1
	s_and_saveexec_b32 s9, s43
	s_cbranch_execz .LBB166_887
; %bb.886:                              ;   in Loop: Header=BB166_3 Depth=1
	ds_load_b64 v[40:41], v1 offset:28088
	ds_load_b64 v[42:43], v3
	s_wait_dscnt 0x0
	v_pk_mul_f32 v[82:83], v[42:43], v[40:41] op_sel:[1,1] op_sel_hi:[0,1]
	s_delay_alu instid0(VALU_DEP_1) | instskip(SKIP_1) | instid1(VALU_DEP_2)
	v_pk_fma_f32 v[84:85], v[42:43], v[40:41], v[82:83] op_sel_hi:[1,0,1]
	v_pk_fma_f32 v[40:41], v[42:43], v[40:41], v[82:83] neg_lo:[0,0,1] neg_hi:[0,0,1]
	v_mov_b32_e32 v41, v85
	s_delay_alu instid0(VALU_DEP_1)
	v_pk_add_f32 v[38:39], v[38:39], v[40:41]
.LBB166_887:                            ;   in Loop: Header=BB166_3 Depth=1
	s_or_b32 exec_lo, exec_lo, s9
	s_barrier_signal -1
	s_barrier_wait -1
	s_and_saveexec_b32 s9, s43
	s_cbranch_execz .LBB166_889
; %bb.888:                              ;   in Loop: Header=BB166_3 Depth=1
	ds_load_b64 v[40:41], v1 offset:28600
	s_wait_dscnt 0x0
	v_pk_mul_f32 v[42:43], v[38:39], v[40:41] op_sel:[1,1] op_sel_hi:[1,0]
	s_delay_alu instid0(VALU_DEP_1) | instskip(SKIP_1) | instid1(VALU_DEP_2)
	v_pk_fma_f32 v[82:83], v[38:39], v[40:41], v[42:43] op_sel_hi:[0,1,1]
	v_pk_fma_f32 v[40:41], v[38:39], v[40:41], v[42:43] neg_lo:[0,0,1] neg_hi:[0,0,1]
	v_mov_b32_e32 v41, v83
	s_delay_alu instid0(VALU_DEP_1)
	v_mov_b64_e32 v[38:39], v[40:41]
	ds_store_b64 v3, v[40:41]
.LBB166_889:                            ;   in Loop: Header=BB166_3 Depth=1
	s_or_b32 exec_lo, exec_lo, s9
	s_wait_dscnt 0x0
	s_barrier_signal -1
	s_barrier_wait -1
	s_barrier_signal -1
	s_barrier_wait -1
	s_and_saveexec_b32 s9, s3
; %bb.890:                              ;   in Loop: Header=BB166_3 Depth=1
	v_pk_add_f32 v[38:39], v[38:39], 0 neg_lo:[1,1] neg_hi:[1,1]
	ds_store_b64 v46, v[38:39] offset:27056
; %bb.891:                              ;   in Loop: Header=BB166_3 Depth=1
	s_or_b32 exec_lo, exec_lo, s9
	s_wait_dscnt 0x0
	s_barrier_signal -1
	s_barrier_wait -1
	s_barrier_signal -1
	s_barrier_wait -1
	s_and_saveexec_b32 s13, s14
	s_cbranch_execz .LBB166_893
; %bb.892:                              ;   in Loop: Header=BB166_3 Depth=1
	ds_load_b128 v[38:41], v1 offset:28080
	ds_load_b64 v[42:43], v1 offset:28600
	s_wait_dscnt 0x1
	v_dual_mov_b32 v82, v41 :: v_dual_mov_b32 v83, v40
	s_wait_dscnt 0x0
	v_dual_mul_f32 v81, v43, v39 :: v_dual_mul_f32 v0, v42, v39
	s_delay_alu instid0(VALU_DEP_1) | instskip(NEXT) | instid1(VALU_DEP_2)
	v_xor_b32_e32 v84, 0x80000000, v81
	v_fmac_f32_e32 v0, v43, v38
	s_delay_alu instid0(VALU_DEP_2) | instskip(NEXT) | instid1(VALU_DEP_2)
	v_fmac_f32_e32 v84, v42, v38
	v_pk_mul_f32 v[38:39], v[0:1], v[82:83] op_sel_hi:[0,1]
	s_delay_alu instid0(VALU_DEP_1) | instskip(SKIP_1) | instid1(VALU_DEP_2)
	v_pk_fma_f32 v[42:43], v[84:85], v[40:41], v[38:39] op_sel_hi:[0,1,1]
	v_pk_fma_f32 v[38:39], v[84:85], v[40:41], v[38:39] neg_lo:[0,0,1] neg_hi:[0,0,1]
	v_mov_b32_e32 v39, v43
	ds_store_b64 v1, v[38:39] offset:28088
.LBB166_893:                            ;   in Loop: Header=BB166_3 Depth=1
	s_or_b32 exec_lo, exec_lo, s13
	v_mov_b32_e32 v38, 0
	s_wait_dscnt 0x0
	s_barrier_signal -1
	s_barrier_wait -1
	s_delay_alu instid0(VALU_DEP_1)
	v_mov_b32_e32 v39, v38
	s_and_saveexec_b32 s13, s5
	s_cbranch_execz .LBB166_903
; %bb.894:                              ;   in Loop: Header=BB166_3 Depth=1
	ds_load_b64 v[38:39], v57 offset:25024
	ds_load_b64 v[40:41], v54 offset:24960
	s_wait_dscnt 0x0
	v_dual_mul_f32 v0, v41, v39 :: v_dual_mul_f32 v42, v40, v39
	s_delay_alu instid0(VALU_DEP_1) | instskip(NEXT) | instid1(VALU_DEP_1)
	v_dual_fma_f32 v0, v40, v38, -v0 :: v_dual_fmac_f32 v42, v41, v38
	v_dual_add_f32 v39, 0, v0 :: v_dual_add_f32 v38, 0, v42
	s_and_saveexec_b32 s9, s18
	s_cbranch_execnz .LBB166_1090
; %bb.895:                              ;   in Loop: Header=BB166_3 Depth=1
	s_or_b32 exec_lo, exec_lo, s9
	s_and_saveexec_b32 s9, s19
	s_cbranch_execnz .LBB166_1091
.LBB166_896:                            ;   in Loop: Header=BB166_3 Depth=1
	s_or_b32 exec_lo, exec_lo, s9
	s_and_saveexec_b32 s9, s20
	s_cbranch_execnz .LBB166_1092
.LBB166_897:                            ;   in Loop: Header=BB166_3 Depth=1
	s_or_b32 exec_lo, exec_lo, s9
	s_and_saveexec_b32 s9, s21
	s_cbranch_execnz .LBB166_1093
.LBB166_898:                            ;   in Loop: Header=BB166_3 Depth=1
	s_or_b32 exec_lo, exec_lo, s9
	s_and_saveexec_b32 s9, s22
	s_cbranch_execnz .LBB166_1094
.LBB166_899:                            ;   in Loop: Header=BB166_3 Depth=1
	s_or_b32 exec_lo, exec_lo, s9
	s_and_saveexec_b32 s9, s4
	s_cbranch_execnz .LBB166_1095
.LBB166_900:                            ;   in Loop: Header=BB166_3 Depth=1
	s_or_b32 exec_lo, exec_lo, s9
	s_and_saveexec_b32 s9, s17
	s_cbranch_execz .LBB166_902
.LBB166_901:                            ;   in Loop: Header=BB166_3 Depth=1
	ds_load_b64 v[40:41], v48 offset:28608
	ds_load_b64 v[42:43], v1 offset:25016
	s_wait_dscnt 0x0
	v_pk_mul_f32 v[82:83], v[42:43], v[40:41] op_sel:[0,1]
	s_delay_alu instid0(VALU_DEP_1) | instskip(SKIP_1) | instid1(VALU_DEP_2)
	v_pk_fma_f32 v[84:85], v[42:43], v[40:41], v[82:83] op_sel:[1,0,0] op_sel_hi:[0,0,1] neg_lo:[0,0,1] neg_hi:[0,0,1]
	v_pk_fma_f32 v[40:41], v[42:43], v[40:41], v[82:83] op_sel:[1,0,0] op_sel_hi:[0,1,1]
	v_mov_b32_e32 v41, v85
	s_delay_alu instid0(VALU_DEP_1)
	v_pk_add_f32 v[38:39], v[38:39], v[40:41]
.LBB166_902:                            ;   in Loop: Header=BB166_3 Depth=1
	s_or_b32 exec_lo, exec_lo, s9
	s_delay_alu instid0(VALU_DEP_1) | instskip(NEXT) | instid1(VALU_DEP_1)
	v_pk_add_f32 v[40:41], v[38:39], 0 neg_lo:[1,1] neg_hi:[1,1]
	v_dual_mov_b32 v38, v41 :: v_dual_mov_b32 v39, v40
.LBB166_903:                            ;   in Loop: Header=BB166_3 Depth=1
	s_or_b32 exec_lo, exec_lo, s13
	s_and_saveexec_b32 s9, s50
	s_cbranch_execz .LBB166_905
; %bb.904:                              ;   in Loop: Header=BB166_3 Depth=1
	ds_load_b64 v[40:41], v1 offset:29120
	v_dual_mov_b32 v42, v39 :: v_dual_mov_b32 v43, v38
	s_wait_dscnt 0x0
	s_delay_alu instid0(VALU_DEP_1) | instskip(NEXT) | instid1(VALU_DEP_1)
	v_dual_mul_f32 v0, v42, v40 :: v_dual_mul_f32 v82, v39, v41
	v_pk_fma_f32 v[42:43], v[42:43], v[40:41], v[0:1] op_sel_hi:[1,1,0]
	s_delay_alu instid0(VALU_DEP_2) | instskip(NEXT) | instid1(VALU_DEP_2)
	v_pk_fma_f32 v[38:39], v[38:39], v[40:41], v[82:83] op_sel_hi:[1,1,0] neg_lo:[0,0,1] neg_hi:[0,0,1]
	v_mov_b32_e32 v39, v43
	ds_store_b64 v56, v[38:39]
.LBB166_905:                            ;   in Loop: Header=BB166_3 Depth=1
	s_or_b32 exec_lo, exec_lo, s9
	s_wait_dscnt 0x0
	s_barrier_signal -1
	s_barrier_wait -1
	s_and_saveexec_b32 s9, s51
	s_cbranch_execz .LBB166_907
; %bb.906:                              ;   in Loop: Header=BB166_3 Depth=1
	ds_load_b64 v[40:41], v55 offset:29120
	ds_load_b64 v[42:43], v56
	s_wait_dscnt 0x0
	v_dual_mul_f32 v0, v43, v41 :: v_dual_mul_f32 v83, v42, v41
	s_delay_alu instid0(VALU_DEP_1) | instskip(NEXT) | instid1(VALU_DEP_1)
	v_dual_fma_f32 v82, v42, v40, -v0 :: v_dual_fmac_f32 v83, v43, v40
	v_pk_add_f32 v[38:39], v[38:39], v[82:83]
.LBB166_907:                            ;   in Loop: Header=BB166_3 Depth=1
	s_or_b32 exec_lo, exec_lo, s9
	s_barrier_signal -1
	s_barrier_wait -1
	s_and_saveexec_b32 s9, s52
	s_cbranch_execz .LBB166_909
; %bb.908:                              ;   in Loop: Header=BB166_3 Depth=1
	ds_load_b64 v[40:41], v1 offset:29640
	s_wait_dscnt 0x0
	v_pk_mul_f32 v[42:43], v[38:39], v[40:41] op_sel:[1,1] op_sel_hi:[1,0]
	s_delay_alu instid0(VALU_DEP_1) | instskip(SKIP_1) | instid1(VALU_DEP_2)
	v_pk_fma_f32 v[82:83], v[38:39], v[40:41], v[42:43] op_sel_hi:[0,1,1]
	v_pk_fma_f32 v[38:39], v[38:39], v[40:41], v[42:43] op_sel_hi:[0,1,1] neg_lo:[0,0,1] neg_hi:[0,0,1]
	v_mov_b32_e32 v39, v83
	ds_store_b64 v56, v[38:39]
.LBB166_909:                            ;   in Loop: Header=BB166_3 Depth=1
	s_or_b32 exec_lo, exec_lo, s9
	s_wait_dscnt 0x0
	s_barrier_signal -1
	s_barrier_wait -1
	s_and_saveexec_b32 s9, s53
	s_cbranch_execz .LBB166_911
; %bb.910:                              ;   in Loop: Header=BB166_3 Depth=1
	ds_load_b64 v[40:41], v55 offset:29632
	ds_load_b64 v[42:43], v56
	s_wait_dscnt 0x0
	v_pk_mul_f32 v[82:83], v[42:43], v[40:41] op_sel:[1,1] op_sel_hi:[0,1]
	s_delay_alu instid0(VALU_DEP_1) | instskip(SKIP_1) | instid1(VALU_DEP_2)
	v_pk_fma_f32 v[84:85], v[42:43], v[40:41], v[82:83] op_sel_hi:[1,0,1]
	v_pk_fma_f32 v[40:41], v[42:43], v[40:41], v[82:83] op_sel_hi:[1,0,1] neg_lo:[0,0,1] neg_hi:[0,0,1]
	v_mov_b32_e32 v41, v85
	s_delay_alu instid0(VALU_DEP_1)
	v_pk_add_f32 v[38:39], v[38:39], v[40:41]
.LBB166_911:                            ;   in Loop: Header=BB166_3 Depth=1
	s_or_b32 exec_lo, exec_lo, s9
	s_barrier_signal -1
	s_barrier_wait -1
	s_and_saveexec_b32 s9, s54
	s_cbranch_execz .LBB166_913
; %bb.912:                              ;   in Loop: Header=BB166_3 Depth=1
	ds_load_b64 v[40:41], v1 offset:30160
	s_wait_dscnt 0x0
	v_pk_mul_f32 v[42:43], v[38:39], v[40:41] op_sel:[1,1] op_sel_hi:[1,0]
	s_delay_alu instid0(VALU_DEP_1) | instskip(SKIP_1) | instid1(VALU_DEP_2)
	v_pk_fma_f32 v[82:83], v[38:39], v[40:41], v[42:43] op_sel_hi:[0,1,1]
	v_pk_fma_f32 v[38:39], v[38:39], v[40:41], v[42:43] op_sel_hi:[0,1,1] neg_lo:[0,0,1] neg_hi:[0,0,1]
	v_mov_b32_e32 v39, v83
	ds_store_b64 v56, v[38:39]
.LBB166_913:                            ;   in Loop: Header=BB166_3 Depth=1
	s_or_b32 exec_lo, exec_lo, s9
	s_wait_dscnt 0x0
	s_barrier_signal -1
	s_barrier_wait -1
	s_and_saveexec_b32 s9, s55
	s_cbranch_execz .LBB166_915
; %bb.914:                              ;   in Loop: Header=BB166_3 Depth=1
	ds_load_b64 v[40:41], v55 offset:30144
	ds_load_b64 v[42:43], v56
	s_wait_dscnt 0x0
	v_pk_mul_f32 v[82:83], v[42:43], v[40:41] op_sel:[1,1] op_sel_hi:[0,1]
	s_delay_alu instid0(VALU_DEP_1) | instskip(SKIP_1) | instid1(VALU_DEP_2)
	v_pk_fma_f32 v[84:85], v[42:43], v[40:41], v[82:83] op_sel_hi:[1,0,1]
	v_pk_fma_f32 v[40:41], v[42:43], v[40:41], v[82:83] op_sel_hi:[1,0,1] neg_lo:[0,0,1] neg_hi:[0,0,1]
	v_mov_b32_e32 v41, v85
	s_delay_alu instid0(VALU_DEP_1)
	v_pk_add_f32 v[38:39], v[38:39], v[40:41]
.LBB166_915:                            ;   in Loop: Header=BB166_3 Depth=1
	;; [unrolled: 33-line block ×3, first 2 shown]
	s_or_b32 exec_lo, exec_lo, s9
	s_barrier_signal -1
	s_barrier_wait -1
	s_and_saveexec_b32 s9, s58
	s_cbranch_execz .LBB166_921
; %bb.920:                              ;   in Loop: Header=BB166_3 Depth=1
	ds_load_b64 v[40:41], v1 offset:31200
	s_wait_dscnt 0x0
	v_dual_mul_f32 v0, v38, v41 :: v_dual_mul_f32 v42, v39, v41
	s_delay_alu instid0(VALU_DEP_1) | instskip(NEXT) | instid1(VALU_DEP_2)
	v_pk_fma_f32 v[82:83], v[38:39], v[40:41], v[0:1] op_sel:[0,1,0] op_sel_hi:[1,0,0]
	v_pk_fma_f32 v[40:41], v[38:39], v[40:41], v[42:43] op_sel_hi:[1,1,0] neg_lo:[0,0,1] neg_hi:[0,0,1]
	s_delay_alu instid0(VALU_DEP_2) | instskip(NEXT) | instid1(VALU_DEP_1)
	v_mov_b32_e32 v41, v83
	v_mov_b64_e32 v[38:39], v[40:41]
	ds_store_b64 v56, v[40:41]
.LBB166_921:                            ;   in Loop: Header=BB166_3 Depth=1
	s_or_b32 exec_lo, exec_lo, s9
	s_wait_dscnt 0x0
	s_barrier_signal -1
	s_barrier_wait -1
	s_and_saveexec_b32 s9, s59
	s_cbranch_execz .LBB166_923
; %bb.922:                              ;   in Loop: Header=BB166_3 Depth=1
	ds_load_b64 v[40:41], v55 offset:31168
	ds_load_b64 v[42:43], v56
	s_wait_dscnt 0x0
	v_dual_mul_f32 v0, v43, v41 :: v_dual_mul_f32 v83, v42, v41
	s_delay_alu instid0(VALU_DEP_1) | instskip(NEXT) | instid1(VALU_DEP_1)
	v_dual_fma_f32 v82, v42, v40, -v0 :: v_dual_fmac_f32 v83, v43, v40
	v_pk_add_f32 v[38:39], v[38:39], v[82:83]
.LBB166_923:                            ;   in Loop: Header=BB166_3 Depth=1
	s_or_b32 exec_lo, exec_lo, s9
	s_barrier_signal -1
	s_barrier_wait -1
	s_and_saveexec_b32 s9, s60
	s_cbranch_execz .LBB166_925
; %bb.924:                              ;   in Loop: Header=BB166_3 Depth=1
	ds_load_b64 v[40:41], v1 offset:31720
	s_wait_dscnt 0x0
	v_pk_mul_f32 v[42:43], v[38:39], v[40:41] op_sel:[1,1] op_sel_hi:[1,0]
	s_delay_alu instid0(VALU_DEP_1) | instskip(SKIP_1) | instid1(VALU_DEP_2)
	v_pk_fma_f32 v[82:83], v[38:39], v[40:41], v[42:43] op_sel_hi:[0,1,1]
	v_pk_fma_f32 v[40:41], v[38:39], v[40:41], v[42:43] neg_lo:[0,0,1] neg_hi:[0,0,1]
	v_mov_b32_e32 v41, v83
	s_delay_alu instid0(VALU_DEP_1)
	v_mov_b64_e32 v[38:39], v[40:41]
	ds_store_b64 v56, v[40:41]
.LBB166_925:                            ;   in Loop: Header=BB166_3 Depth=1
	s_or_b32 exec_lo, exec_lo, s9
	s_wait_dscnt 0x0
	s_barrier_signal -1
	s_barrier_wait -1
	s_and_saveexec_b32 s9, s61
	s_cbranch_execz .LBB166_927
; %bb.926:                              ;   in Loop: Header=BB166_3 Depth=1
	ds_load_b64 v[40:41], v55 offset:31680
	ds_load_b64 v[42:43], v56
	s_wait_dscnt 0x0
	v_pk_mul_f32 v[82:83], v[42:43], v[40:41] op_sel:[1,1] op_sel_hi:[0,1]
	s_delay_alu instid0(VALU_DEP_1) | instskip(SKIP_1) | instid1(VALU_DEP_2)
	v_pk_fma_f32 v[84:85], v[42:43], v[40:41], v[82:83] op_sel_hi:[1,0,1]
	v_pk_fma_f32 v[40:41], v[42:43], v[40:41], v[82:83] neg_lo:[0,0,1] neg_hi:[0,0,1]
	v_mov_b32_e32 v41, v85
	s_delay_alu instid0(VALU_DEP_1)
	v_pk_add_f32 v[38:39], v[38:39], v[40:41]
.LBB166_927:                            ;   in Loop: Header=BB166_3 Depth=1
	s_or_b32 exec_lo, exec_lo, s9
	s_barrier_signal -1
	s_barrier_wait -1
	s_and_saveexec_b32 s9, s62
	s_cbranch_execz .LBB166_929
; %bb.928:                              ;   in Loop: Header=BB166_3 Depth=1
	ds_load_b64 v[40:41], v1 offset:32240
	s_wait_dscnt 0x0
	v_pk_mul_f32 v[42:43], v[38:39], v[40:41] op_sel:[1,1] op_sel_hi:[1,0]
	s_delay_alu instid0(VALU_DEP_1) | instskip(SKIP_1) | instid1(VALU_DEP_2)
	v_pk_fma_f32 v[82:83], v[38:39], v[40:41], v[42:43] op_sel_hi:[0,1,1]
	v_pk_fma_f32 v[40:41], v[38:39], v[40:41], v[42:43] neg_lo:[0,0,1] neg_hi:[0,0,1]
	v_mov_b32_e32 v41, v83
	s_delay_alu instid0(VALU_DEP_1)
	v_mov_b64_e32 v[38:39], v[40:41]
	ds_store_b64 v56, v[40:41]
.LBB166_929:                            ;   in Loop: Header=BB166_3 Depth=1
	s_or_b32 exec_lo, exec_lo, s9
	s_wait_dscnt 0x0
	s_barrier_signal -1
	s_barrier_wait -1
	s_and_saveexec_b32 s9, s63
	s_cbranch_execz .LBB166_931
; %bb.930:                              ;   in Loop: Header=BB166_3 Depth=1
	ds_load_b64 v[40:41], v1 offset:32248
	ds_load_b64 v[42:43], v56
	s_wait_dscnt 0x0
	v_pk_mul_f32 v[82:83], v[42:43], v[40:41] op_sel:[1,1] op_sel_hi:[0,1]
	s_delay_alu instid0(VALU_DEP_1) | instskip(SKIP_1) | instid1(VALU_DEP_2)
	v_pk_fma_f32 v[84:85], v[42:43], v[40:41], v[82:83] op_sel_hi:[1,0,1]
	v_pk_fma_f32 v[40:41], v[42:43], v[40:41], v[82:83] neg_lo:[0,0,1] neg_hi:[0,0,1]
	v_mov_b32_e32 v41, v85
	s_delay_alu instid0(VALU_DEP_1)
	v_pk_add_f32 v[38:39], v[38:39], v[40:41]
.LBB166_931:                            ;   in Loop: Header=BB166_3 Depth=1
	s_or_b32 exec_lo, exec_lo, s9
	s_barrier_signal -1
	s_barrier_wait -1
	s_and_saveexec_b32 s9, s63
	s_cbranch_execz .LBB166_933
; %bb.932:                              ;   in Loop: Header=BB166_3 Depth=1
	ds_load_b64 v[40:41], v1 offset:32760
	s_wait_dscnt 0x0
	v_pk_mul_f32 v[42:43], v[38:39], v[40:41] op_sel:[1,1] op_sel_hi:[1,0]
	s_delay_alu instid0(VALU_DEP_1) | instskip(SKIP_1) | instid1(VALU_DEP_2)
	v_pk_fma_f32 v[82:83], v[38:39], v[40:41], v[42:43] op_sel_hi:[0,1,1]
	v_pk_fma_f32 v[40:41], v[38:39], v[40:41], v[42:43] neg_lo:[0,0,1] neg_hi:[0,0,1]
	v_mov_b32_e32 v41, v83
	s_delay_alu instid0(VALU_DEP_1)
	v_mov_b64_e32 v[38:39], v[40:41]
	ds_store_b64 v56, v[40:41]
.LBB166_933:                            ;   in Loop: Header=BB166_3 Depth=1
	s_or_b32 exec_lo, exec_lo, s9
	s_wait_dscnt 0x0
	s_barrier_signal -1
	s_barrier_wait -1
	s_barrier_signal -1
	s_barrier_wait -1
	s_and_saveexec_b32 s9, s5
; %bb.934:                              ;   in Loop: Header=BB166_3 Depth=1
	v_pk_add_f32 v[38:39], v[38:39], 0 neg_lo:[1,1] neg_hi:[1,1]
	ds_store_b64 v57, v[38:39] offset:25024
; %bb.935:                              ;   in Loop: Header=BB166_3 Depth=1
	s_or_b32 exec_lo, exec_lo, s9
	s_wait_dscnt 0x0
	s_barrier_signal -1
	s_barrier_wait -1
	s_barrier_signal -1
	s_barrier_wait -1
	s_and_saveexec_b32 s13, s14
	s_cbranch_execz .LBB166_937
; %bb.936:                              ;   in Loop: Header=BB166_3 Depth=1
	ds_load_b128 v[38:41], v1 offset:29120
	ds_load_b64 v[42:43], v1 offset:29640
	s_wait_dscnt 0x1
	v_dual_mov_b32 v82, v41 :: v_dual_mov_b32 v83, v40
	s_wait_dscnt 0x0
	v_dual_mul_f32 v81, v43, v39 :: v_dual_mul_f32 v0, v42, v39
	s_delay_alu instid0(VALU_DEP_1) | instskip(NEXT) | instid1(VALU_DEP_2)
	v_xor_b32_e32 v84, 0x80000000, v81
	v_fmac_f32_e32 v0, v43, v38
	s_delay_alu instid0(VALU_DEP_2) | instskip(NEXT) | instid1(VALU_DEP_2)
	v_fmac_f32_e32 v84, v42, v38
	v_pk_mul_f32 v[38:39], v[0:1], v[82:83] op_sel_hi:[0,1]
	s_delay_alu instid0(VALU_DEP_1) | instskip(SKIP_1) | instid1(VALU_DEP_2)
	v_pk_fma_f32 v[42:43], v[84:85], v[40:41], v[38:39] op_sel_hi:[0,1,1]
	v_pk_fma_f32 v[38:39], v[84:85], v[40:41], v[38:39] neg_lo:[0,0,1] neg_hi:[0,0,1]
	v_mov_b32_e32 v39, v43
	ds_store_b64 v1, v[38:39] offset:29128
.LBB166_937:                            ;   in Loop: Header=BB166_3 Depth=1
	s_or_b32 exec_lo, exec_lo, s13
	v_mov_b32_e32 v39, 0
	s_wait_dscnt 0x0
	s_barrier_signal -1
	s_barrier_wait -1
	s_delay_alu instid0(VALU_DEP_1)
	v_mov_b32_e32 v38, v39
	s_and_saveexec_b32 s13, s3
	s_cbranch_execz .LBB166_941
; %bb.938:                              ;   in Loop: Header=BB166_3 Depth=1
	ds_load_b64 v[38:39], v46 offset:29136
	ds_load_b64 v[40:41], v47 offset:29120
	s_wait_dscnt 0x0
	v_dual_mul_f32 v0, v41, v39 :: v_dual_mul_f32 v43, v40, v39
	s_delay_alu instid0(VALU_DEP_1) | instskip(NEXT) | instid1(VALU_DEP_1)
	v_dual_fma_f32 v42, v40, v38, -v0 :: v_dual_fmac_f32 v43, v41, v38
	v_pk_add_f32 v[38:39], v[42:43], 0 op_sel_hi:[1,0]
	s_and_saveexec_b32 s9, s15
	s_cbranch_execz .LBB166_940
; %bb.939:                              ;   in Loop: Header=BB166_3 Depth=1
	ds_load_b64 v[40:41], v48 offset:29648
	ds_load_b64 v[42:43], v1 offset:29128
	s_wait_dscnt 0x0
	v_pk_mul_f32 v[82:83], v[42:43], v[40:41] op_sel:[1,1] op_sel_hi:[0,1]
	s_delay_alu instid0(VALU_DEP_1) | instskip(SKIP_1) | instid1(VALU_DEP_2)
	v_pk_fma_f32 v[84:85], v[42:43], v[40:41], v[82:83] op_sel_hi:[1,0,1]
	v_pk_fma_f32 v[40:41], v[42:43], v[40:41], v[82:83] neg_lo:[0,0,1] neg_hi:[0,0,1]
	v_mov_b32_e32 v41, v85
	s_delay_alu instid0(VALU_DEP_1)
	v_pk_add_f32 v[38:39], v[38:39], v[40:41]
.LBB166_940:                            ;   in Loop: Header=BB166_3 Depth=1
	s_or_b32 exec_lo, exec_lo, s9
	s_delay_alu instid0(VALU_DEP_1)
	v_pk_add_f32 v[38:39], v[38:39], 0 neg_lo:[1,1] neg_hi:[1,1]
.LBB166_941:                            ;   in Loop: Header=BB166_3 Depth=1
	s_or_b32 exec_lo, exec_lo, s13
	s_and_saveexec_b32 s9, vcc_hi
	s_cbranch_execz .LBB166_943
; %bb.942:                              ;   in Loop: Header=BB166_3 Depth=1
	ds_load_b64 v[40:41], v1 offset:30160
	s_wait_dscnt 0x0
	v_pk_mul_f32 v[42:43], v[38:39], v[40:41] op_sel:[1,1] op_sel_hi:[1,0]
	s_delay_alu instid0(VALU_DEP_1) | instskip(SKIP_1) | instid1(VALU_DEP_2)
	v_pk_fma_f32 v[82:83], v[38:39], v[40:41], v[42:43] op_sel_hi:[0,1,1]
	v_pk_fma_f32 v[40:41], v[38:39], v[40:41], v[42:43] neg_lo:[0,0,1] neg_hi:[0,0,1]
	v_mov_b32_e32 v41, v83
	s_delay_alu instid0(VALU_DEP_1)
	v_mov_b64_e32 v[38:39], v[40:41]
	ds_store_b64 v3, v[40:41]
.LBB166_943:                            ;   in Loop: Header=BB166_3 Depth=1
	s_or_b32 exec_lo, exec_lo, s9
	s_wait_dscnt 0x0
	s_barrier_signal -1
	s_barrier_wait -1
	s_and_saveexec_b32 s9, s43
	s_cbranch_execz .LBB166_945
; %bb.944:                              ;   in Loop: Header=BB166_3 Depth=1
	ds_load_b64 v[40:41], v1 offset:30168
	ds_load_b64 v[42:43], v3
	s_wait_dscnt 0x0
	v_pk_mul_f32 v[82:83], v[42:43], v[40:41] op_sel:[1,1] op_sel_hi:[0,1]
	s_delay_alu instid0(VALU_DEP_1) | instskip(SKIP_1) | instid1(VALU_DEP_2)
	v_pk_fma_f32 v[84:85], v[42:43], v[40:41], v[82:83] op_sel_hi:[1,0,1]
	v_pk_fma_f32 v[40:41], v[42:43], v[40:41], v[82:83] neg_lo:[0,0,1] neg_hi:[0,0,1]
	v_mov_b32_e32 v41, v85
	s_delay_alu instid0(VALU_DEP_1)
	v_pk_add_f32 v[38:39], v[38:39], v[40:41]
.LBB166_945:                            ;   in Loop: Header=BB166_3 Depth=1
	s_or_b32 exec_lo, exec_lo, s9
	s_barrier_signal -1
	s_barrier_wait -1
	s_and_saveexec_b32 s9, s43
	s_cbranch_execz .LBB166_947
; %bb.946:                              ;   in Loop: Header=BB166_3 Depth=1
	ds_load_b64 v[40:41], v1 offset:30680
	s_wait_dscnt 0x0
	v_pk_mul_f32 v[42:43], v[38:39], v[40:41] op_sel:[1,1] op_sel_hi:[1,0]
	s_delay_alu instid0(VALU_DEP_1) | instskip(SKIP_1) | instid1(VALU_DEP_2)
	v_pk_fma_f32 v[82:83], v[38:39], v[40:41], v[42:43] op_sel_hi:[0,1,1]
	v_pk_fma_f32 v[40:41], v[38:39], v[40:41], v[42:43] neg_lo:[0,0,1] neg_hi:[0,0,1]
	v_mov_b32_e32 v41, v83
	s_delay_alu instid0(VALU_DEP_1)
	v_mov_b64_e32 v[38:39], v[40:41]
	ds_store_b64 v3, v[40:41]
.LBB166_947:                            ;   in Loop: Header=BB166_3 Depth=1
	s_or_b32 exec_lo, exec_lo, s9
	s_wait_dscnt 0x0
	s_barrier_signal -1
	s_barrier_wait -1
	s_barrier_signal -1
	s_barrier_wait -1
	s_and_saveexec_b32 s9, s3
; %bb.948:                              ;   in Loop: Header=BB166_3 Depth=1
	v_pk_add_f32 v[38:39], v[38:39], 0 neg_lo:[1,1] neg_hi:[1,1]
	ds_store_b64 v46, v[38:39] offset:29136
; %bb.949:                              ;   in Loop: Header=BB166_3 Depth=1
	s_or_b32 exec_lo, exec_lo, s9
	s_wait_dscnt 0x0
	s_barrier_signal -1
	s_barrier_wait -1
	s_barrier_signal -1
	s_barrier_wait -1
	s_and_saveexec_b32 s13, s14
	s_cbranch_execz .LBB166_951
; %bb.950:                              ;   in Loop: Header=BB166_3 Depth=1
	ds_load_b128 v[38:41], v1 offset:30160
	ds_load_b64 v[42:43], v1 offset:30680
	s_wait_dscnt 0x1
	v_dual_mov_b32 v82, v41 :: v_dual_mov_b32 v83, v40
	s_wait_dscnt 0x0
	v_dual_mul_f32 v81, v43, v39 :: v_dual_mul_f32 v0, v42, v39
	s_delay_alu instid0(VALU_DEP_1) | instskip(NEXT) | instid1(VALU_DEP_2)
	v_xor_b32_e32 v84, 0x80000000, v81
	v_fmac_f32_e32 v0, v43, v38
	s_delay_alu instid0(VALU_DEP_2) | instskip(NEXT) | instid1(VALU_DEP_2)
	v_fmac_f32_e32 v84, v42, v38
	v_pk_mul_f32 v[38:39], v[0:1], v[82:83] op_sel_hi:[0,1]
	s_delay_alu instid0(VALU_DEP_1) | instskip(SKIP_1) | instid1(VALU_DEP_2)
	v_pk_fma_f32 v[42:43], v[84:85], v[40:41], v[38:39] op_sel_hi:[0,1,1]
	v_pk_fma_f32 v[38:39], v[84:85], v[40:41], v[38:39] neg_lo:[0,0,1] neg_hi:[0,0,1]
	v_mov_b32_e32 v39, v43
	ds_store_b64 v1, v[38:39] offset:30168
.LBB166_951:                            ;   in Loop: Header=BB166_3 Depth=1
	s_or_b32 exec_lo, exec_lo, s13
	v_mov_b32_e32 v38, 0
	s_wait_dscnt 0x0
	s_barrier_signal -1
	s_barrier_wait -1
	s_delay_alu instid0(VALU_DEP_1)
	v_mov_b32_e32 v39, v38
	s_and_saveexec_b32 s13, s4
	s_cbranch_execz .LBB166_957
; %bb.952:                              ;   in Loop: Header=BB166_3 Depth=1
	ds_load_b64 v[38:39], v52 offset:29152
	ds_load_b64 v[40:41], v50 offset:29120
	s_wait_dscnt 0x0
	v_pk_mul_f32 v[42:43], v[40:41], v[38:39] op_sel:[0,1]
	s_delay_alu instid0(VALU_DEP_1) | instskip(SKIP_1) | instid1(VALU_DEP_2)
	v_pk_fma_f32 v[82:83], v[40:41], v[38:39], v[42:43] op_sel:[1,0,0] op_sel_hi:[0,0,1] neg_lo:[0,0,1] neg_hi:[0,0,1]
	v_pk_fma_f32 v[38:39], v[40:41], v[38:39], v[42:43] op_sel:[1,0,0] op_sel_hi:[0,1,1]
	v_mov_b32_e32 v39, v83
	s_delay_alu instid0(VALU_DEP_1)
	v_pk_add_f32 v[38:39], v[38:39], 0 op_sel_hi:[1,0]
	s_and_saveexec_b32 s9, s16
	s_cbranch_execnz .LBB166_1096
; %bb.953:                              ;   in Loop: Header=BB166_3 Depth=1
	s_or_b32 exec_lo, exec_lo, s9
	s_and_saveexec_b32 s9, s17
	s_cbranch_execnz .LBB166_1097
.LBB166_954:                            ;   in Loop: Header=BB166_3 Depth=1
	s_or_b32 exec_lo, exec_lo, s9
	s_and_saveexec_b32 s9, s3
	s_cbranch_execz .LBB166_956
.LBB166_955:                            ;   in Loop: Header=BB166_3 Depth=1
	ds_load_b64 v[40:41], v48 offset:30688
	ds_load_b64 v[42:43], v1 offset:29144
	s_wait_dscnt 0x0
	v_pk_mul_f32 v[82:83], v[42:43], v[40:41] op_sel:[0,1]
	s_delay_alu instid0(VALU_DEP_1) | instskip(SKIP_1) | instid1(VALU_DEP_2)
	v_pk_fma_f32 v[84:85], v[42:43], v[40:41], v[82:83] op_sel:[1,0,0] op_sel_hi:[0,0,1] neg_lo:[0,0,1] neg_hi:[0,0,1]
	v_pk_fma_f32 v[40:41], v[42:43], v[40:41], v[82:83] op_sel:[1,0,0] op_sel_hi:[0,1,1]
	v_mov_b32_e32 v41, v85
	s_delay_alu instid0(VALU_DEP_1)
	v_pk_add_f32 v[38:39], v[38:39], v[40:41]
.LBB166_956:                            ;   in Loop: Header=BB166_3 Depth=1
	s_or_b32 exec_lo, exec_lo, s9
	s_delay_alu instid0(VALU_DEP_1) | instskip(NEXT) | instid1(VALU_DEP_1)
	v_pk_add_f32 v[40:41], v[38:39], 0 neg_lo:[1,1] neg_hi:[1,1]
	v_dual_mov_b32 v38, v41 :: v_dual_mov_b32 v39, v40
.LBB166_957:                            ;   in Loop: Header=BB166_3 Depth=1
	s_or_b32 exec_lo, exec_lo, s13
	s_and_saveexec_b32 s9, s44
	s_cbranch_execz .LBB166_959
; %bb.958:                              ;   in Loop: Header=BB166_3 Depth=1
	ds_load_b64 v[40:41], v1 offset:31200
	v_dual_mov_b32 v42, v39 :: v_dual_mov_b32 v43, v38
	s_wait_dscnt 0x0
	s_delay_alu instid0(VALU_DEP_1) | instskip(NEXT) | instid1(VALU_DEP_1)
	v_dual_mul_f32 v0, v42, v40 :: v_dual_mul_f32 v82, v39, v41
	v_pk_fma_f32 v[42:43], v[42:43], v[40:41], v[0:1] op_sel_hi:[1,1,0]
	s_delay_alu instid0(VALU_DEP_2) | instskip(NEXT) | instid1(VALU_DEP_2)
	v_pk_fma_f32 v[38:39], v[38:39], v[40:41], v[82:83] op_sel_hi:[1,1,0] neg_lo:[0,0,1] neg_hi:[0,0,1]
	v_mov_b32_e32 v39, v43
	ds_store_b64 v51, v[38:39]
.LBB166_959:                            ;   in Loop: Header=BB166_3 Depth=1
	s_or_b32 exec_lo, exec_lo, s9
	s_wait_dscnt 0x0
	s_barrier_signal -1
	s_barrier_wait -1
	s_and_saveexec_b32 s9, s45
	s_cbranch_execz .LBB166_961
; %bb.960:                              ;   in Loop: Header=BB166_3 Depth=1
	ds_load_b64 v[40:41], v49 offset:31200
	ds_load_b64 v[42:43], v51
	s_wait_dscnt 0x0
	v_dual_mul_f32 v0, v43, v41 :: v_dual_mul_f32 v83, v42, v41
	s_delay_alu instid0(VALU_DEP_1) | instskip(NEXT) | instid1(VALU_DEP_1)
	v_dual_fma_f32 v82, v42, v40, -v0 :: v_dual_fmac_f32 v83, v43, v40
	v_pk_add_f32 v[38:39], v[38:39], v[82:83]
.LBB166_961:                            ;   in Loop: Header=BB166_3 Depth=1
	s_or_b32 exec_lo, exec_lo, s9
	s_barrier_signal -1
	s_barrier_wait -1
	s_and_saveexec_b32 s9, s46
	s_cbranch_execz .LBB166_963
; %bb.962:                              ;   in Loop: Header=BB166_3 Depth=1
	ds_load_b64 v[40:41], v1 offset:31720
	s_wait_dscnt 0x0
	v_pk_mul_f32 v[42:43], v[38:39], v[40:41] op_sel:[1,1] op_sel_hi:[1,0]
	s_delay_alu instid0(VALU_DEP_1) | instskip(SKIP_1) | instid1(VALU_DEP_2)
	v_pk_fma_f32 v[82:83], v[38:39], v[40:41], v[42:43] op_sel_hi:[0,1,1]
	v_pk_fma_f32 v[40:41], v[38:39], v[40:41], v[42:43] neg_lo:[0,0,1] neg_hi:[0,0,1]
	v_mov_b32_e32 v41, v83
	s_delay_alu instid0(VALU_DEP_1)
	v_mov_b64_e32 v[38:39], v[40:41]
	ds_store_b64 v51, v[40:41]
.LBB166_963:                            ;   in Loop: Header=BB166_3 Depth=1
	s_or_b32 exec_lo, exec_lo, s9
	s_wait_dscnt 0x0
	s_barrier_signal -1
	s_barrier_wait -1
	s_and_saveexec_b32 s9, s47
	s_cbranch_execz .LBB166_965
; %bb.964:                              ;   in Loop: Header=BB166_3 Depth=1
	ds_load_b64 v[40:41], v49 offset:31712
	ds_load_b64 v[42:43], v51
	s_wait_dscnt 0x0
	v_pk_mul_f32 v[82:83], v[42:43], v[40:41] op_sel:[1,1] op_sel_hi:[0,1]
	s_delay_alu instid0(VALU_DEP_1) | instskip(SKIP_1) | instid1(VALU_DEP_2)
	v_pk_fma_f32 v[84:85], v[42:43], v[40:41], v[82:83] op_sel_hi:[1,0,1]
	v_pk_fma_f32 v[40:41], v[42:43], v[40:41], v[82:83] neg_lo:[0,0,1] neg_hi:[0,0,1]
	v_mov_b32_e32 v41, v85
	s_delay_alu instid0(VALU_DEP_1)
	v_pk_add_f32 v[38:39], v[38:39], v[40:41]
.LBB166_965:                            ;   in Loop: Header=BB166_3 Depth=1
	s_or_b32 exec_lo, exec_lo, s9
	s_barrier_signal -1
	s_barrier_wait -1
	s_and_saveexec_b32 s9, s48
	s_cbranch_execz .LBB166_967
; %bb.966:                              ;   in Loop: Header=BB166_3 Depth=1
	ds_load_b64 v[40:41], v1 offset:32240
	s_wait_dscnt 0x0
	v_pk_mul_f32 v[42:43], v[38:39], v[40:41] op_sel:[1,1] op_sel_hi:[1,0]
	s_delay_alu instid0(VALU_DEP_1) | instskip(SKIP_1) | instid1(VALU_DEP_2)
	v_pk_fma_f32 v[82:83], v[38:39], v[40:41], v[42:43] op_sel_hi:[0,1,1]
	v_pk_fma_f32 v[40:41], v[38:39], v[40:41], v[42:43] neg_lo:[0,0,1] neg_hi:[0,0,1]
	v_mov_b32_e32 v41, v83
	s_delay_alu instid0(VALU_DEP_1)
	v_mov_b64_e32 v[38:39], v[40:41]
	ds_store_b64 v51, v[40:41]
.LBB166_967:                            ;   in Loop: Header=BB166_3 Depth=1
	s_or_b32 exec_lo, exec_lo, s9
	s_wait_dscnt 0x0
	s_barrier_signal -1
	s_barrier_wait -1
	s_and_saveexec_b32 s9, s49
	s_cbranch_execz .LBB166_969
; %bb.968:                              ;   in Loop: Header=BB166_3 Depth=1
	ds_load_b64 v[40:41], v1 offset:32248
	ds_load_b64 v[42:43], v51
	s_wait_dscnt 0x0
	v_pk_mul_f32 v[82:83], v[42:43], v[40:41] op_sel:[1,1] op_sel_hi:[0,1]
	s_delay_alu instid0(VALU_DEP_1) | instskip(SKIP_1) | instid1(VALU_DEP_2)
	v_pk_fma_f32 v[84:85], v[42:43], v[40:41], v[82:83] op_sel_hi:[1,0,1]
	v_pk_fma_f32 v[40:41], v[42:43], v[40:41], v[82:83] neg_lo:[0,0,1] neg_hi:[0,0,1]
	v_mov_b32_e32 v41, v85
	s_delay_alu instid0(VALU_DEP_1)
	v_pk_add_f32 v[38:39], v[38:39], v[40:41]
.LBB166_969:                            ;   in Loop: Header=BB166_3 Depth=1
	s_or_b32 exec_lo, exec_lo, s9
	s_barrier_signal -1
	s_barrier_wait -1
	s_and_saveexec_b32 s9, s49
	s_cbranch_execz .LBB166_971
; %bb.970:                              ;   in Loop: Header=BB166_3 Depth=1
	ds_load_b64 v[40:41], v1 offset:32760
	s_wait_dscnt 0x0
	v_pk_mul_f32 v[42:43], v[38:39], v[40:41] op_sel:[1,1] op_sel_hi:[1,0]
	s_delay_alu instid0(VALU_DEP_1) | instskip(SKIP_1) | instid1(VALU_DEP_2)
	v_pk_fma_f32 v[82:83], v[38:39], v[40:41], v[42:43] op_sel_hi:[0,1,1]
	v_pk_fma_f32 v[40:41], v[38:39], v[40:41], v[42:43] neg_lo:[0,0,1] neg_hi:[0,0,1]
	v_mov_b32_e32 v41, v83
	s_delay_alu instid0(VALU_DEP_1)
	v_mov_b64_e32 v[38:39], v[40:41]
	ds_store_b64 v51, v[40:41]
.LBB166_971:                            ;   in Loop: Header=BB166_3 Depth=1
	s_or_b32 exec_lo, exec_lo, s9
	s_wait_dscnt 0x0
	s_barrier_signal -1
	s_barrier_wait -1
	s_barrier_signal -1
	s_barrier_wait -1
	s_and_saveexec_b32 s9, s4
; %bb.972:                              ;   in Loop: Header=BB166_3 Depth=1
	v_pk_add_f32 v[38:39], v[38:39], 0 neg_lo:[1,1] neg_hi:[1,1]
	ds_store_b64 v52, v[38:39] offset:29152
; %bb.973:                              ;   in Loop: Header=BB166_3 Depth=1
	s_or_b32 exec_lo, exec_lo, s9
	s_wait_dscnt 0x0
	s_barrier_signal -1
	s_barrier_wait -1
	s_barrier_signal -1
	s_barrier_wait -1
	s_and_saveexec_b32 s13, s14
	s_cbranch_execz .LBB166_975
; %bb.974:                              ;   in Loop: Header=BB166_3 Depth=1
	ds_load_b128 v[38:41], v1 offset:31200
	ds_load_b64 v[42:43], v1 offset:31720
	s_wait_dscnt 0x1
	v_dual_mov_b32 v82, v41 :: v_dual_mov_b32 v83, v40
	s_wait_dscnt 0x0
	v_dual_mul_f32 v81, v43, v39 :: v_dual_mul_f32 v0, v42, v39
	s_delay_alu instid0(VALU_DEP_1) | instskip(NEXT) | instid1(VALU_DEP_2)
	v_xor_b32_e32 v84, 0x80000000, v81
	v_fmac_f32_e32 v0, v43, v38
	s_delay_alu instid0(VALU_DEP_2) | instskip(NEXT) | instid1(VALU_DEP_2)
	v_fmac_f32_e32 v84, v42, v38
	v_pk_mul_f32 v[38:39], v[0:1], v[82:83] op_sel_hi:[0,1]
	s_delay_alu instid0(VALU_DEP_1) | instskip(SKIP_1) | instid1(VALU_DEP_2)
	v_pk_fma_f32 v[42:43], v[84:85], v[40:41], v[38:39] op_sel_hi:[0,1,1]
	v_pk_fma_f32 v[38:39], v[84:85], v[40:41], v[38:39] neg_lo:[0,0,1] neg_hi:[0,0,1]
	v_mov_b32_e32 v39, v43
	ds_store_b64 v1, v[38:39] offset:31208
.LBB166_975:                            ;   in Loop: Header=BB166_3 Depth=1
	s_or_b32 exec_lo, exec_lo, s13
	v_mov_b32_e32 v39, 0
	s_wait_dscnt 0x0
	s_barrier_signal -1
	s_barrier_wait -1
	s_delay_alu instid0(VALU_DEP_1)
	v_mov_b32_e32 v38, v39
	s_and_saveexec_b32 s13, s3
	s_cbranch_execz .LBB166_979
; %bb.976:                              ;   in Loop: Header=BB166_3 Depth=1
	ds_load_b64 v[38:39], v46 offset:31216
	ds_load_b64 v[40:41], v47 offset:31200
	s_wait_dscnt 0x0
	v_dual_mul_f32 v0, v41, v39 :: v_dual_mul_f32 v43, v40, v39
	s_delay_alu instid0(VALU_DEP_1) | instskip(NEXT) | instid1(VALU_DEP_1)
	v_dual_fma_f32 v42, v40, v38, -v0 :: v_dual_fmac_f32 v43, v41, v38
	v_pk_add_f32 v[38:39], v[42:43], 0 op_sel_hi:[1,0]
	s_and_saveexec_b32 s9, s15
	s_cbranch_execz .LBB166_978
; %bb.977:                              ;   in Loop: Header=BB166_3 Depth=1
	ds_load_b64 v[40:41], v48 offset:31728
	ds_load_b64 v[42:43], v1 offset:31208
	s_wait_dscnt 0x0
	v_pk_mul_f32 v[82:83], v[42:43], v[40:41] op_sel:[1,1] op_sel_hi:[0,1]
	s_delay_alu instid0(VALU_DEP_1) | instskip(SKIP_1) | instid1(VALU_DEP_2)
	v_pk_fma_f32 v[84:85], v[42:43], v[40:41], v[82:83] op_sel_hi:[1,0,1]
	v_pk_fma_f32 v[40:41], v[42:43], v[40:41], v[82:83] neg_lo:[0,0,1] neg_hi:[0,0,1]
	v_mov_b32_e32 v41, v85
	s_delay_alu instid0(VALU_DEP_1)
	v_pk_add_f32 v[38:39], v[38:39], v[40:41]
.LBB166_978:                            ;   in Loop: Header=BB166_3 Depth=1
	s_or_b32 exec_lo, exec_lo, s9
	s_delay_alu instid0(VALU_DEP_1)
	v_pk_add_f32 v[38:39], v[38:39], 0 neg_lo:[1,1] neg_hi:[1,1]
.LBB166_979:                            ;   in Loop: Header=BB166_3 Depth=1
	s_or_b32 exec_lo, exec_lo, s13
	s_and_saveexec_b32 s9, vcc_hi
	s_cbranch_execz .LBB166_981
; %bb.980:                              ;   in Loop: Header=BB166_3 Depth=1
	ds_load_b64 v[40:41], v1 offset:32240
	s_wait_dscnt 0x0
	v_pk_mul_f32 v[42:43], v[38:39], v[40:41] op_sel:[1,1] op_sel_hi:[1,0]
	s_delay_alu instid0(VALU_DEP_1) | instskip(SKIP_1) | instid1(VALU_DEP_2)
	v_pk_fma_f32 v[82:83], v[38:39], v[40:41], v[42:43] op_sel_hi:[0,1,1]
	v_pk_fma_f32 v[40:41], v[38:39], v[40:41], v[42:43] neg_lo:[0,0,1] neg_hi:[0,0,1]
	v_mov_b32_e32 v41, v83
	s_delay_alu instid0(VALU_DEP_1)
	v_mov_b64_e32 v[38:39], v[40:41]
	ds_store_b64 v3, v[40:41]
.LBB166_981:                            ;   in Loop: Header=BB166_3 Depth=1
	s_or_b32 exec_lo, exec_lo, s9
	s_wait_dscnt 0x0
	s_barrier_signal -1
	s_barrier_wait -1
	s_and_saveexec_b32 s9, s43
	s_cbranch_execz .LBB166_983
; %bb.982:                              ;   in Loop: Header=BB166_3 Depth=1
	ds_load_b64 v[40:41], v1 offset:32248
	ds_load_b64 v[42:43], v3
	s_wait_dscnt 0x0
	v_pk_mul_f32 v[82:83], v[42:43], v[40:41] op_sel:[1,1] op_sel_hi:[0,1]
	s_delay_alu instid0(VALU_DEP_1) | instskip(SKIP_1) | instid1(VALU_DEP_2)
	v_pk_fma_f32 v[84:85], v[42:43], v[40:41], v[82:83] op_sel_hi:[1,0,1]
	v_pk_fma_f32 v[40:41], v[42:43], v[40:41], v[82:83] neg_lo:[0,0,1] neg_hi:[0,0,1]
	v_mov_b32_e32 v41, v85
	s_delay_alu instid0(VALU_DEP_1)
	v_pk_add_f32 v[38:39], v[38:39], v[40:41]
.LBB166_983:                            ;   in Loop: Header=BB166_3 Depth=1
	s_or_b32 exec_lo, exec_lo, s9
	s_barrier_signal -1
	s_barrier_wait -1
	s_and_saveexec_b32 s9, s43
	s_cbranch_execz .LBB166_985
; %bb.984:                              ;   in Loop: Header=BB166_3 Depth=1
	ds_load_b64 v[40:41], v1 offset:32760
	s_wait_dscnt 0x0
	v_pk_mul_f32 v[42:43], v[38:39], v[40:41] op_sel:[1,1] op_sel_hi:[1,0]
	s_delay_alu instid0(VALU_DEP_1) | instskip(SKIP_1) | instid1(VALU_DEP_2)
	v_pk_fma_f32 v[82:83], v[38:39], v[40:41], v[42:43] op_sel_hi:[0,1,1]
	v_pk_fma_f32 v[40:41], v[38:39], v[40:41], v[42:43] neg_lo:[0,0,1] neg_hi:[0,0,1]
	v_mov_b32_e32 v41, v83
	s_delay_alu instid0(VALU_DEP_1)
	v_mov_b64_e32 v[38:39], v[40:41]
	ds_store_b64 v3, v[40:41]
.LBB166_985:                            ;   in Loop: Header=BB166_3 Depth=1
	s_or_b32 exec_lo, exec_lo, s9
	s_wait_dscnt 0x0
	s_barrier_signal -1
	s_barrier_wait -1
	s_barrier_signal -1
	s_barrier_wait -1
	s_and_saveexec_b32 s9, s3
; %bb.986:                              ;   in Loop: Header=BB166_3 Depth=1
	v_pk_add_f32 v[38:39], v[38:39], 0 neg_lo:[1,1] neg_hi:[1,1]
	ds_store_b64 v46, v[38:39] offset:31216
; %bb.987:                              ;   in Loop: Header=BB166_3 Depth=1
	s_or_b32 exec_lo, exec_lo, s9
	s_wait_dscnt 0x0
	s_barrier_signal -1
	s_barrier_wait -1
	s_barrier_signal -1
	s_barrier_wait -1
	s_and_saveexec_b32 s13, s14
	s_cbranch_execz .LBB166_989
; %bb.988:                              ;   in Loop: Header=BB166_3 Depth=1
	ds_load_b128 v[38:41], v1 offset:32240
	ds_load_b64 v[42:43], v1 offset:32760
	s_wait_dscnt 0x1
	v_dual_mov_b32 v82, v41 :: v_dual_mov_b32 v83, v40
	s_wait_dscnt 0x0
	v_dual_mul_f32 v81, v43, v39 :: v_dual_mul_f32 v0, v42, v39
	s_delay_alu instid0(VALU_DEP_1) | instskip(NEXT) | instid1(VALU_DEP_2)
	v_xor_b32_e32 v84, 0x80000000, v81
	v_fmac_f32_e32 v0, v43, v38
	s_delay_alu instid0(VALU_DEP_2) | instskip(NEXT) | instid1(VALU_DEP_2)
	v_fmac_f32_e32 v84, v42, v38
	v_pk_mul_f32 v[38:39], v[0:1], v[82:83] op_sel_hi:[0,1]
	s_delay_alu instid0(VALU_DEP_1) | instskip(SKIP_1) | instid1(VALU_DEP_2)
	v_pk_fma_f32 v[42:43], v[84:85], v[40:41], v[38:39] op_sel_hi:[0,1,1]
	v_pk_fma_f32 v[38:39], v[84:85], v[40:41], v[38:39] neg_lo:[0,0,1] neg_hi:[0,0,1]
	v_mov_b32_e32 v39, v43
	ds_store_b64 v1, v[38:39] offset:32248
.LBB166_989:                            ;   in Loop: Header=BB166_3 Depth=1
	s_or_b32 exec_lo, exec_lo, s13
.LBB166_990:                            ;   in Loop: Header=BB166_3 Depth=1
	v_add_nc_u64_e32 v[36:37], s[78:79], v[36:37]
	v_mov_b64_e32 v[38:39], 0
	s_wait_dscnt 0x0
	s_barrier_signal -1
	s_barrier_wait -1
	s_wait_xcnt 0x0
	s_and_saveexec_b32 s9, s66
	s_cbranch_execz .LBB166_992
; %bb.991:                              ;   in Loop: Header=BB166_3 Depth=1
	v_lshl_add_u64 v[38:39], v[28:29], 3, v[36:37]
	v_readlane_b32 s98, v92, 25
	v_readlane_b32 s99, v92, 26
	flat_load_b64 v[38:39], v[38:39]
	v_mov_b64_e32 v[40:41], s[98:99]
	v_readlane_b32 s98, v92, 27
	v_readlane_b32 s99, v92, 28
	s_delay_alu instid0(VALU_DEP_1) | instskip(SKIP_1) | instid1(VALU_DEP_4)
	v_mov_b64_e32 v[42:43], s[98:99]
	s_wait_loadcnt_dscnt 0x0
	v_pk_mul_f32 v[40:41], v[40:41], v[38:39]
	s_delay_alu instid0(VALU_DEP_1)
	v_pk_fma_f32 v[38:39], v[42:43], v[38:39], v[40:41] op_sel:[0,0,1] op_sel_hi:[1,1,0] neg_lo:[1,0,0] neg_hi:[1,0,0]
.LBB166_992:                            ;   in Loop: Header=BB166_3 Depth=1
	s_or_b32 exec_lo, exec_lo, s9
	s_delay_alu instid0(SALU_CYCLE_1)
	s_and_not1_b32 vcc_lo, exec_lo, s67
	s_cbranch_vccnz .LBB166_1011
; %bb.993:                              ;   in Loop: Header=BB166_3 Depth=1
	v_lshl_add_u64 v[34:35], v[6:7], 3, v[34:35]
	v_mov_b32_e32 v42, -1
	s_lshl_b64 s[98:99], s[80:81], 2
	s_mov_b32 s13, 0
	s_add_nc_u64 s[98:99], s[88:89], s[98:99]
	s_branch .LBB166_995
.LBB166_994:                            ;   in Loop: Header=BB166_995 Depth=2
	s_or_b32 exec_lo, exec_lo, s9
	s_add_co_i32 s13, s13, 1
	s_delay_alu instid0(SALU_CYCLE_1)
	s_cmp_eq_u32 s13, s101
	s_cbranch_scc1 .LBB166_1011
.LBB166_995:                            ;   Parent Loop BB166_3 Depth=1
                                        ; =>  This Loop Header: Depth=2
                                        ;       Child Loop BB166_997 Depth 3
	v_cmp_gt_i32_e32 vcc_lo, s13, v42
	s_and_b32 s70, s36, vcc_lo
	s_delay_alu instid0(SALU_CYCLE_1)
	s_and_saveexec_b32 s9, s70
	s_cbranch_execz .LBB166_998
; %bb.996:                              ;   in Loop: Header=BB166_995 Depth=2
	global_load_b32 v42, v1, s[98:99]
	s_wait_loadcnt 0x0
	v_cmp_le_i32_e32 vcc_lo, s13, v42
	s_cbranch_vccnz .LBB166_998
.LBB166_997:                            ;   Parent Loop BB166_3 Depth=1
                                        ;     Parent Loop BB166_995 Depth=2
                                        ; =>    This Inner Loop Header: Depth=3
	global_wb scope:SCOPE_DEV
	s_wait_storecnt 0x0
	global_inv scope:SCOPE_DEV
	global_load_b32 v42, v1, s[98:99]
	s_wait_loadcnt 0x0
	v_cmp_gt_i32_e32 vcc_lo, s13, v42
	s_cbranch_vccnz .LBB166_997
.LBB166_998:                            ;   in Loop: Header=BB166_995 Depth=2
	s_or_b32 exec_lo, exec_lo, s9
	s_lshl_b32 s70, s13, 6
	global_wb scope:SCOPE_DEV
	s_wait_storecnt 0x0
	global_inv scope:SCOPE_DEV
	s_wait_loadcnt 0x0
	s_barrier_signal -1
	s_barrier_wait -1
	s_and_saveexec_b32 s9, s37
	s_cbranch_execz .LBB166_1003
; %bb.999:                              ;   in Loop: Header=BB166_995 Depth=2
	v_or_b32_e32 v0, s70, v4
	s_delay_alu instid0(VALU_DEP_1) | instskip(SKIP_1) | instid1(SALU_CYCLE_1)
	v_cmp_le_i32_e32 vcc_lo, s100, v0
	s_and_saveexec_b32 s1, vcc_lo
	s_xor_b32 vcc_lo, exec_lo, s1
; %bb.1000:                             ;   in Loop: Header=BB166_995 Depth=2
	ds_store_b64 v70, v[32:33]
; %bb.1001:                             ;   in Loop: Header=BB166_995 Depth=2
	s_and_not1_saveexec_b32 s1, vcc_lo
	s_cbranch_execz .LBB166_1003
; %bb.1002:                             ;   in Loop: Header=BB166_995 Depth=2
	v_mul_u64_e32 v[40:41], s[86:87], v[0:1]
	s_delay_alu instid0(VALU_DEP_1)
	v_lshl_add_u64 v[40:41], v[40:41], 3, v[36:37]
	flat_load_b64 v[40:41], v[40:41]
	s_wait_loadcnt_dscnt 0x0
	ds_store_b64 v70, v[40:41]
.LBB166_1003:                           ;   in Loop: Header=BB166_995 Depth=2
	s_or_b32 exec_lo, exec_lo, s9
	v_add_nc_u32_e32 v0, s70, v44
	s_wait_dscnt 0x0
	v_cmp_eq_u32_e32 vcc_lo, s13, v45
	s_barrier_signal -1
	s_barrier_wait -1
	v_mul_u64_e32 v[40:41], s[82:83], v[0:1]
	v_cmp_gt_i32_e64 s70, s100, v0
	s_and_b32 s1, s2, s70
	v_lshl_add_u64 v[40:41], v[40:41], 3, v[34:35]
	s_and_saveexec_b32 s9, s1
	s_cbranch_execz .LBB166_1005
; %bb.1004:                             ;   in Loop: Header=BB166_995 Depth=2
	s_delay_alu instid0(VALU_DEP_1) | instskip(SKIP_4) | instid1(VALU_DEP_1)
	v_dual_cndmask_b32 v83, v41, v21 :: v_dual_cndmask_b32 v82, v40, v20
	ds_load_b64 v[84:85], v69
	flat_load_b64 v[82:83], v[82:83]
	s_wait_loadcnt_dscnt 0x0
	v_dual_mul_f32 v43, v85, v83 :: v_dual_mul_f32 v81, v84, v83
	v_dual_fma_f32 v43, v84, v82, -v43 :: v_dual_fmac_f32 v81, v85, v82
	s_delay_alu instid0(VALU_DEP_1)
	v_dual_add_f32 v38, v38, v43 :: v_dual_add_f32 v39, v39, v81
.LBB166_1005:                           ;   in Loop: Header=BB166_995 Depth=2
	s_or_b32 exec_lo, exec_lo, s9
	v_add_nc_u32_e32 v43, 16, v0
	s_delay_alu instid0(VALU_DEP_1) | instskip(SKIP_1) | instid1(SALU_CYCLE_1)
	v_cmp_gt_i32_e64 s70, s100, v43
	s_and_b32 s1, s2, s70
	s_and_saveexec_b32 s9, s1
	s_cbranch_execz .LBB166_1007
; %bb.1006:                             ;   in Loop: Header=BB166_995 Depth=2
	v_add_nc_u64_e32 v[82:83], s[92:93], v[40:41]
	ds_load_b64 v[84:85], v69 offset:128
	v_dual_cndmask_b32 v83, v83, v23 :: v_dual_cndmask_b32 v82, v82, v22
	flat_load_b64 v[82:83], v[82:83]
	s_wait_loadcnt_dscnt 0x0
	v_dual_mul_f32 v43, v85, v83 :: v_dual_mul_f32 v81, v84, v83
	s_delay_alu instid0(VALU_DEP_1) | instskip(NEXT) | instid1(VALU_DEP_1)
	v_dual_fma_f32 v43, v84, v82, -v43 :: v_dual_fmac_f32 v81, v85, v82
	v_dual_add_f32 v38, v38, v43 :: v_dual_add_f32 v39, v39, v81
.LBB166_1007:                           ;   in Loop: Header=BB166_995 Depth=2
	s_or_b32 exec_lo, exec_lo, s9
	v_add_nc_u32_e32 v43, 32, v0
	s_delay_alu instid0(VALU_DEP_1) | instskip(SKIP_1) | instid1(SALU_CYCLE_1)
	v_cmp_gt_i32_e64 s70, s100, v43
	s_and_b32 s1, s2, s70
	s_and_saveexec_b32 s9, s1
	s_cbranch_execz .LBB166_1009
; %bb.1008:                             ;   in Loop: Header=BB166_995 Depth=2
	v_add_nc_u64_e32 v[82:83], s[94:95], v[40:41]
	ds_load_b64 v[84:85], v69 offset:256
	v_dual_cndmask_b32 v83, v83, v25 :: v_dual_cndmask_b32 v82, v82, v24
	flat_load_b64 v[82:83], v[82:83]
	s_wait_loadcnt_dscnt 0x0
	v_dual_mul_f32 v43, v85, v83 :: v_dual_mul_f32 v87, v84, v83
	s_delay_alu instid0(VALU_DEP_1) | instskip(NEXT) | instid1(VALU_DEP_2)
	v_fma_f32 v86, v84, v82, -v43
	v_fmac_f32_e32 v87, v85, v82
	s_delay_alu instid0(VALU_DEP_1)
	v_pk_add_f32 v[38:39], v[38:39], v[86:87]
.LBB166_1009:                           ;   in Loop: Header=BB166_995 Depth=2
	s_or_b32 exec_lo, exec_lo, s9
	v_add_nc_u32_e32 v0, 48, v0
	s_delay_alu instid0(VALU_DEP_1) | instskip(SKIP_1) | instid1(SALU_CYCLE_1)
	v_cmp_gt_i32_e64 s70, s100, v0
	s_and_b32 s1, s2, s70
	s_and_saveexec_b32 s9, s1
	s_cbranch_execz .LBB166_994
; %bb.1010:                             ;   in Loop: Header=BB166_995 Depth=2
	v_add_nc_u64_e32 v[40:41], s[96:97], v[40:41]
	ds_load_b64 v[82:83], v69 offset:384
	v_dual_cndmask_b32 v41, v41, v27 :: v_dual_cndmask_b32 v40, v40, v26
	flat_load_b64 v[40:41], v[40:41]
	s_wait_loadcnt_dscnt 0x0
	v_pk_mul_f32 v[84:85], v[82:83], v[40:41] op_sel:[1,1] op_sel_hi:[0,1]
	s_delay_alu instid0(VALU_DEP_1) | instskip(SKIP_1) | instid1(VALU_DEP_2)
	v_pk_fma_f32 v[86:87], v[82:83], v[40:41], v[84:85] op_sel_hi:[1,0,1]
	v_pk_fma_f32 v[40:41], v[82:83], v[40:41], v[84:85] neg_lo:[0,0,1] neg_hi:[0,0,1]
	v_mov_b32_e32 v41, v87
	s_delay_alu instid0(VALU_DEP_1)
	v_pk_add_f32 v[38:39], v[38:39], v[40:41]
	s_branch .LBB166_994
.LBB166_1011:                           ;   in Loop: Header=BB166_3 Depth=1
	ds_store_b64 v71, v[38:39]
	s_wait_dscnt 0x0
	s_barrier_signal -1
	s_barrier_wait -1
	s_and_saveexec_b32 s13, s7
	s_cbranch_execz .LBB166_1013
; %bb.1012:                             ;   in Loop: Header=BB166_3 Depth=1
	ds_load_2addr_stride64_b64 v[40:43], v72 offset0:1 offset1:2
	ds_load_2addr_stride64_b64 v[82:85], v72 offset0:3 offset1:4
	;; [unrolled: 1-line block ×3, first 2 shown]
	s_wait_dscnt 0x2
	v_pk_add_f32 v[34:35], v[38:39], v[40:41]
	ds_load_2addr_stride64_b64 v[38:41], v72 offset0:7 offset1:8
	v_pk_add_f32 v[34:35], v[34:35], v[42:43]
	ds_load_b64 v[42:43], v72 offset:7680
	s_wait_dscnt 0x3
	v_pk_add_f32 v[34:35], v[34:35], v[82:83]
	s_delay_alu instid0(VALU_DEP_1) | instskip(SKIP_3) | instid1(VALU_DEP_1)
	v_pk_add_f32 v[34:35], v[34:35], v[84:85]
	ds_load_2addr_stride64_b64 v[82:85], v72 offset0:9 offset1:10
	s_wait_dscnt 0x3
	v_pk_add_f32 v[34:35], v[34:35], v[86:87]
	v_pk_add_f32 v[34:35], v[34:35], v[88:89]
	ds_load_2addr_stride64_b64 v[86:89], v72 offset0:11 offset1:12
	s_wait_dscnt 0x3
	v_pk_add_f32 v[34:35], v[34:35], v[38:39]
	s_delay_alu instid0(VALU_DEP_1) | instskip(SKIP_3) | instid1(VALU_DEP_1)
	v_pk_add_f32 v[34:35], v[34:35], v[40:41]
	ds_load_2addr_stride64_b64 v[38:41], v72 offset0:13 offset1:14
	s_wait_dscnt 0x2
	v_pk_add_f32 v[34:35], v[34:35], v[82:83]
	v_pk_add_f32 v[34:35], v[34:35], v[84:85]
	s_wait_dscnt 0x1
	s_delay_alu instid0(VALU_DEP_1) | instskip(NEXT) | instid1(VALU_DEP_1)
	v_pk_add_f32 v[34:35], v[34:35], v[86:87]
	v_pk_add_f32 v[34:35], v[34:35], v[88:89]
	s_wait_dscnt 0x0
	s_delay_alu instid0(VALU_DEP_1) | instskip(NEXT) | instid1(VALU_DEP_1)
	v_pk_add_f32 v[34:35], v[34:35], v[38:39]
	v_pk_add_f32 v[34:35], v[34:35], v[40:41]
	s_delay_alu instid0(VALU_DEP_1) | instskip(NEXT) | instid1(VALU_DEP_1)
	v_pk_add_f32 v[34:35], v[34:35], v[42:43]
	v_cndmask_b32_e64 v39, -v35, 0, s65
	s_delay_alu instid0(VALU_DEP_2)
	v_cndmask_b32_e64 v38, -v34, 0, s65
.LBB166_1013:                           ;   in Loop: Header=BB166_3 Depth=1
	s_or_b32 exec_lo, exec_lo, s13
	s_delay_alu instid0(SALU_CYCLE_1)
	s_and_not1_b32 vcc_lo, exec_lo, s104
	s_cbranch_vccnz .LBB166_1026
; %bb.1014:                             ;   in Loop: Header=BB166_3 Depth=1
	s_and_saveexec_b32 s9, s7
; %bb.1015:                             ;   in Loop: Header=BB166_3 Depth=1
	ds_store_b64 v74, v[38:39]
; %bb.1016:                             ;   in Loop: Header=BB166_3 Depth=1
	s_or_b32 exec_lo, exec_lo, s9
	v_mov_b64_e32 v[34:35], 0
	s_wait_dscnt 0x0
	s_barrier_signal -1
	s_barrier_wait -1
	s_mov_b32 s9, exec_lo
	v_readlane_b32 s1, v91, 7
	s_and_b32 s1, s9, s1
	s_delay_alu instid0(SALU_CYCLE_1)
	s_mov_b32 exec_lo, s1
	s_cbranch_execz .LBB166_1018
; %bb.1017:                             ;   in Loop: Header=BB166_3 Depth=1
	ds_load_b64 v[34:35], v73
	ds_load_b64 v[40:41], v69
	s_wait_dscnt 0x0
	v_dual_mul_f32 v0, v41, v35 :: v_dual_mul_f32 v35, v40, v35
	s_delay_alu instid0(VALU_DEP_1) | instskip(NEXT) | instid1(VALU_DEP_1)
	v_dual_fma_f32 v0, v40, v34, -v0 :: v_dual_fmac_f32 v35, v41, v34
	v_dual_add_f32 v34, 0, v0 :: v_dual_add_f32 v35, 0, v35
.LBB166_1018:                           ;   in Loop: Header=BB166_3 Depth=1
	s_or_b32 exec_lo, exec_lo, s9
	s_delay_alu instid0(SALU_CYCLE_1) | instskip(SKIP_2) | instid1(SALU_CYCLE_1)
	s_mov_b32 s9, exec_lo
	v_readlane_b32 s1, v91, 8
	s_and_b32 s1, s9, s1
	s_mov_b32 exec_lo, s1
	s_cbranch_execz .LBB166_1020
; %bb.1019:                             ;   in Loop: Header=BB166_3 Depth=1
	ds_load_b64 v[40:41], v73 offset:8192
	ds_load_b64 v[42:43], v69 offset:128
	s_wait_dscnt 0x0
	v_dual_mul_f32 v0, v43, v41 :: v_dual_mul_f32 v83, v42, v41
	s_delay_alu instid0(VALU_DEP_1) | instskip(NEXT) | instid1(VALU_DEP_1)
	v_dual_fma_f32 v82, v42, v40, -v0 :: v_dual_fmac_f32 v83, v43, v40
	v_pk_add_f32 v[34:35], v[34:35], v[82:83]
.LBB166_1020:                           ;   in Loop: Header=BB166_3 Depth=1
	s_or_b32 exec_lo, exec_lo, s9
	s_delay_alu instid0(SALU_CYCLE_1) | instskip(SKIP_2) | instid1(SALU_CYCLE_1)
	s_mov_b32 s9, exec_lo
	v_readlane_b32 s1, v91, 9
	s_and_b32 s1, s9, s1
	s_mov_b32 exec_lo, s1
	s_cbranch_execz .LBB166_1022
; %bb.1021:                             ;   in Loop: Header=BB166_3 Depth=1
	ds_load_b64 v[40:41], v73 offset:16384
	ds_load_b64 v[42:43], v69 offset:256
	s_wait_dscnt 0x0
	v_pk_mul_f32 v[82:83], v[42:43], v[40:41] op_sel:[1,1] op_sel_hi:[0,1]
	s_delay_alu instid0(VALU_DEP_1) | instskip(SKIP_1) | instid1(VALU_DEP_2)
	v_pk_fma_f32 v[84:85], v[42:43], v[40:41], v[82:83] op_sel_hi:[1,0,1]
	v_pk_fma_f32 v[40:41], v[42:43], v[40:41], v[82:83] neg_lo:[0,0,1] neg_hi:[0,0,1]
	v_mov_b32_e32 v41, v85
	s_delay_alu instid0(VALU_DEP_1)
	v_pk_add_f32 v[34:35], v[34:35], v[40:41]
.LBB166_1022:                           ;   in Loop: Header=BB166_3 Depth=1
	s_or_b32 exec_lo, exec_lo, s9
	s_delay_alu instid0(SALU_CYCLE_1) | instskip(SKIP_2) | instid1(SALU_CYCLE_1)
	s_mov_b32 s9, exec_lo
	v_readlane_b32 s1, v91, 10
	s_and_b32 s1, s9, s1
	s_mov_b32 exec_lo, s1
	s_cbranch_execz .LBB166_1024
; %bb.1023:                             ;   in Loop: Header=BB166_3 Depth=1
	ds_load_b64 v[40:41], v73 offset:24576
	ds_load_b64 v[42:43], v69 offset:384
	s_wait_dscnt 0x0
	v_pk_mul_f32 v[82:83], v[42:43], v[40:41] op_sel:[1,1] op_sel_hi:[0,1]
	s_delay_alu instid0(VALU_DEP_1) | instskip(SKIP_1) | instid1(VALU_DEP_2)
	v_pk_fma_f32 v[84:85], v[42:43], v[40:41], v[82:83] op_sel_hi:[1,0,1]
	v_pk_fma_f32 v[40:41], v[42:43], v[40:41], v[82:83] neg_lo:[0,0,1] neg_hi:[0,0,1]
	v_mov_b32_e32 v41, v85
	s_delay_alu instid0(VALU_DEP_1)
	v_pk_add_f32 v[34:35], v[34:35], v[40:41]
.LBB166_1024:                           ;   in Loop: Header=BB166_3 Depth=1
	s_or_b32 exec_lo, exec_lo, s9
	s_mov_b32 s13, 0
	s_mov_b32 s70, 0
	ds_store_b64 v71, v[34:35]
	s_wait_dscnt 0x0
	s_barrier_signal -1
	s_barrier_wait -1
                                        ; implicit-def: $vgpr40_vgpr41
	s_and_saveexec_b32 s98, s7
	s_cbranch_execz .LBB166_1042
; %bb.1025:                             ;   in Loop: Header=BB166_3 Depth=1
	ds_load_2addr_stride64_b64 v[40:43], v72 offset0:1 offset1:2
	ds_load_2addr_stride64_b64 v[82:85], v72 offset0:3 offset1:4
	;; [unrolled: 1-line block ×3, first 2 shown]
	s_mov_b32 s70, exec_lo
	s_wait_dscnt 0x2
	v_pk_add_f32 v[34:35], v[34:35], v[40:41]
	s_delay_alu instid0(VALU_DEP_1) | instskip(SKIP_3) | instid1(VALU_DEP_1)
	v_pk_add_f32 v[34:35], v[34:35], v[42:43]
	ds_load_2addr_stride64_b64 v[40:43], v72 offset0:7 offset1:8
	s_wait_dscnt 0x2
	v_pk_add_f32 v[34:35], v[34:35], v[82:83]
	v_pk_add_f32 v[34:35], v[34:35], v[84:85]
	ds_load_2addr_stride64_b64 v[82:85], v72 offset0:9 offset1:10
	s_wait_dscnt 0x2
	v_pk_add_f32 v[34:35], v[34:35], v[86:87]
	s_delay_alu instid0(VALU_DEP_1) | instskip(SKIP_3) | instid1(VALU_DEP_1)
	v_pk_add_f32 v[34:35], v[34:35], v[88:89]
	ds_load_2addr_stride64_b64 v[86:89], v72 offset0:11 offset1:12
	s_wait_dscnt 0x2
	v_pk_add_f32 v[34:35], v[34:35], v[40:41]
	v_pk_add_f32 v[34:35], v[34:35], v[42:43]
	ds_load_2addr_stride64_b64 v[40:43], v72 offset0:13 offset1:14
	s_wait_dscnt 0x2
	v_pk_add_f32 v[34:35], v[34:35], v[82:83]
	ds_load_b64 v[82:83], v72 offset:7680
	v_pk_add_f32 v[34:35], v[34:35], v[84:85]
	s_wait_dscnt 0x2
	s_delay_alu instid0(VALU_DEP_1) | instskip(NEXT) | instid1(VALU_DEP_1)
	v_pk_add_f32 v[34:35], v[34:35], v[86:87]
	v_pk_add_f32 v[34:35], v[34:35], v[88:89]
	s_wait_dscnt 0x1
	s_delay_alu instid0(VALU_DEP_1) | instskip(NEXT) | instid1(VALU_DEP_1)
	v_pk_add_f32 v[34:35], v[34:35], v[40:41]
	v_pk_add_f32 v[34:35], v[34:35], v[42:43]
	s_wait_dscnt 0x0
	s_delay_alu instid0(VALU_DEP_1) | instskip(SKIP_1) | instid1(SALU_CYCLE_1)
	v_pk_add_f32 v[40:41], v[34:35], v[82:83]
	s_or_b32 exec_lo, exec_lo, s98
	s_and_b32 vcc_lo, exec_lo, s13
	s_cbranch_vccnz .LBB166_1027
	s_branch .LBB166_1043
.LBB166_1026:                           ;   in Loop: Header=BB166_3 Depth=1
	s_mov_b32 s70, 0
                                        ; implicit-def: $vgpr40_vgpr41
	s_cbranch_execz .LBB166_1043
.LBB166_1027:                           ;   in Loop: Header=BB166_3 Depth=1
	v_dual_mov_b32 v0, v2 :: v_dual_mov_b32 v34, v48
	s_mov_b32 s13, 0
	s_branch .LBB166_1029
.LBB166_1028:                           ;   in Loop: Header=BB166_1029 Depth=2
	s_or_b32 exec_lo, exec_lo, s9
	v_add_nc_u32_e32 v34, 0x400, v34
	v_add_nc_u32_e32 v0, -2, v0
	s_add_co_i32 s13, s13, 2
	s_delay_alu instid0(SALU_CYCLE_1)
	s_cmp_lg_u32 s13, 64
	s_barrier_signal -1
	s_barrier_wait -1
	s_cbranch_scc0 .LBB166_1037
.LBB166_1029:                           ;   Parent Loop BB166_3 Depth=1
                                        ; =>  This Inner Loop Header: Depth=2
	s_delay_alu instid0(VALU_DEP_1) | instskip(SKIP_1) | instid1(SALU_CYCLE_1)
	v_cmp_eq_u32_e32 vcc_lo, 0, v0
	s_and_b32 s1, s7, vcc_lo
	s_and_saveexec_b32 s9, s1
	s_cbranch_execz .LBB166_1031
; %bb.1030:                             ;   in Loop: Header=BB166_1029 Depth=2
	ds_load_b64 v[40:41], v75
	s_wait_dscnt 0x0
	v_pk_mul_f32 v[42:43], v[38:39], v[40:41] op_sel:[1,1] op_sel_hi:[1,0]
	s_delay_alu instid0(VALU_DEP_1) | instskip(SKIP_1) | instid1(VALU_DEP_2)
	v_pk_fma_f32 v[82:83], v[38:39], v[40:41], v[42:43] op_sel_hi:[0,1,1]
	v_pk_fma_f32 v[40:41], v[38:39], v[40:41], v[42:43] neg_lo:[0,0,1] neg_hi:[0,0,1]
	v_mov_b32_e32 v41, v83
	s_delay_alu instid0(VALU_DEP_1)
	v_mov_b64_e32 v[38:39], v[40:41]
	ds_store_b64 v1, v[40:41] offset:41472
.LBB166_1031:                           ;   in Loop: Header=BB166_1029 Depth=2
	s_or_b32 exec_lo, exec_lo, s9
	v_cmp_lt_u32_e32 vcc_lo, s13, v2
	s_wait_dscnt 0x0
	s_barrier_signal -1
	s_barrier_wait -1
	s_and_b32 s1, s7, vcc_lo
	s_delay_alu instid0(SALU_CYCLE_1)
	s_and_saveexec_b32 s9, s1
	s_cbranch_execz .LBB166_1033
; %bb.1032:                             ;   in Loop: Header=BB166_1029 Depth=2
	ds_load_b64 v[40:41], v34
	ds_load_b64 v[42:43], v1 offset:41472
	s_wait_dscnt 0x0
	v_pk_mul_f32 v[82:83], v[42:43], v[40:41] op_sel:[1,1] op_sel_hi:[0,1]
	s_delay_alu instid0(VALU_DEP_1) | instskip(SKIP_1) | instid1(VALU_DEP_2)
	v_pk_fma_f32 v[84:85], v[42:43], v[40:41], v[82:83] op_sel_hi:[1,0,1]
	v_pk_fma_f32 v[40:41], v[42:43], v[40:41], v[82:83] neg_lo:[0,0,1] neg_hi:[0,0,1]
	v_mov_b32_e32 v41, v85
	s_delay_alu instid0(VALU_DEP_1)
	v_pk_add_f32 v[38:39], v[38:39], v[40:41]
.LBB166_1033:                           ;   in Loop: Header=BB166_1029 Depth=2
	s_or_b32 exec_lo, exec_lo, s9
	s_or_b32 s9, s13, 1
	s_delay_alu instid0(SALU_CYCLE_1) | instskip(SKIP_3) | instid1(SALU_CYCLE_1)
	v_cmp_eq_u32_e32 vcc_lo, s9, v2
	s_barrier_signal -1
	s_barrier_wait -1
	s_and_b32 s1, s7, vcc_lo
	s_and_saveexec_b32 s98, s1
	s_cbranch_execz .LBB166_1035
; %bb.1034:                             ;   in Loop: Header=BB166_1029 Depth=2
	ds_load_b64 v[40:41], v75
	s_wait_dscnt 0x0
	v_pk_mul_f32 v[42:43], v[38:39], v[40:41] op_sel:[1,1] op_sel_hi:[1,0]
	s_delay_alu instid0(VALU_DEP_1) | instskip(SKIP_1) | instid1(VALU_DEP_2)
	v_pk_fma_f32 v[82:83], v[38:39], v[40:41], v[42:43] op_sel_hi:[0,1,1]
	v_pk_fma_f32 v[40:41], v[38:39], v[40:41], v[42:43] neg_lo:[0,0,1] neg_hi:[0,0,1]
	v_mov_b32_e32 v41, v83
	s_delay_alu instid0(VALU_DEP_1)
	v_mov_b64_e32 v[38:39], v[40:41]
	ds_store_b64 v1, v[40:41] offset:41472
.LBB166_1035:                           ;   in Loop: Header=BB166_1029 Depth=2
	s_or_b32 exec_lo, exec_lo, s98
	v_cmp_lt_u32_e32 vcc_lo, s9, v2
	s_wait_dscnt 0x0
	s_barrier_signal -1
	s_barrier_wait -1
	s_and_b32 s1, s7, vcc_lo
	s_delay_alu instid0(SALU_CYCLE_1)
	s_and_saveexec_b32 s9, s1
	s_cbranch_execz .LBB166_1028
; %bb.1036:                             ;   in Loop: Header=BB166_1029 Depth=2
	ds_load_b64 v[40:41], v34 offset:512
	ds_load_b64 v[42:43], v1 offset:41472
	s_wait_dscnt 0x0
	v_pk_mul_f32 v[82:83], v[42:43], v[40:41] op_sel:[1,1] op_sel_hi:[0,1]
	s_delay_alu instid0(VALU_DEP_1) | instskip(SKIP_1) | instid1(VALU_DEP_2)
	v_pk_fma_f32 v[84:85], v[42:43], v[40:41], v[82:83] op_sel_hi:[1,0,1]
	v_pk_fma_f32 v[40:41], v[42:43], v[40:41], v[82:83] neg_lo:[0,0,1] neg_hi:[0,0,1]
	v_mov_b32_e32 v41, v85
	s_delay_alu instid0(VALU_DEP_1)
	v_pk_add_f32 v[38:39], v[38:39], v[40:41]
	s_branch .LBB166_1028
.LBB166_1037:                           ;   in Loop: Header=BB166_3 Depth=1
	s_and_b32 vcc_lo, exec_lo, s103
	s_mov_b32 s9, -1
	s_cbranch_vccz .LBB166_1039
; %bb.1038:                             ;   in Loop: Header=BB166_3 Depth=1
	s_and_not1_b32 s1, s70, exec_lo
	s_and_b32 s8, s7, exec_lo
	s_mov_b32 s9, 0
	s_or_b32 s70, s1, s8
.LBB166_1039:                           ;   in Loop: Header=BB166_3 Depth=1
	s_and_not1_b32 vcc_lo, exec_lo, s9
	s_cbranch_vccnz .LBB166_1041
; %bb.1040:                             ;   in Loop: Header=BB166_3 Depth=1
	v_readlane_b32 s8, v92, 5
	s_and_not1_b32 s1, s70, exec_lo
	s_and_b32 s8, s8, exec_lo
	s_delay_alu instid0(SALU_CYCLE_1)
	s_or_b32 s70, s1, s8
.LBB166_1041:                           ;   in Loop: Header=BB166_3 Depth=1
	v_mov_b64_e32 v[34:35], v[14:15]
	s_and_saveexec_b32 s9, s70
	s_cbranch_execnz .LBB166_1044
	s_branch .LBB166_1045
.LBB166_1042:                           ;   in Loop: Header=BB166_3 Depth=1
	s_or_b32 exec_lo, exec_lo, s98
	s_delay_alu instid0(SALU_CYCLE_1)
	s_and_b32 vcc_lo, exec_lo, s13
	s_cbranch_vccnz .LBB166_1027
.LBB166_1043:                           ;   in Loop: Header=BB166_3 Depth=1
	v_mov_b64_e32 v[38:39], v[40:41]
	v_mov_b64_e32 v[34:35], v[30:31]
	s_and_saveexec_b32 s9, s70
	s_cbranch_execz .LBB166_1045
.LBB166_1044:                           ;   in Loop: Header=BB166_3 Depth=1
	s_delay_alu instid0(VALU_DEP_1)
	v_lshl_add_u64 v[34:35], v[34:35], 3, v[36:37]
	flat_store_b64 v[34:35], v[38:39]
.LBB166_1045:                           ;   in Loop: Header=BB166_3 Depth=1
	s_wait_xcnt 0x0
	s_or_b32 exec_lo, exec_lo, s9
	global_wb scope:SCOPE_DEV
	s_wait_storecnt_dscnt 0x0
	global_inv scope:SCOPE_DEV
	s_wait_loadcnt 0x0
	s_barrier_signal -1
	s_barrier_wait -1
	s_and_saveexec_b32 s9, s36
	s_cbranch_execz .LBB166_2
; %bb.1046:                             ;   in Loop: Header=BB166_3 Depth=1
	s_lshl_b64 s[98:99], s[80:81], 2
	s_delay_alu instid0(SALU_CYCLE_1)
	s_add_nc_u64 s[98:99], s[88:89], s[98:99]
	global_load_b32 v0, v1, s[98:99]
	s_wait_loadcnt 0x0
	v_add_nc_u32_e32 v0, 1, v0
	global_store_b32 v1, v0, s[98:99]
	s_branch .LBB166_2
.LBB166_1047:                           ;   in Loop: Header=BB166_3 Depth=1
	ds_load_b64 v[40:41], v53 offset:544
	ds_load_b64 v[42:43], v50 offset:8
	s_wait_dscnt 0x0
	v_pk_mul_f32 v[82:83], v[42:43], v[40:41] op_sel:[0,1]
	s_delay_alu instid0(VALU_DEP_1) | instskip(SKIP_1) | instid1(VALU_DEP_2)
	v_pk_fma_f32 v[84:85], v[42:43], v[40:41], v[82:83] op_sel:[1,0,0] op_sel_hi:[0,0,1] neg_lo:[0,0,1] neg_hi:[0,0,1]
	v_pk_fma_f32 v[40:41], v[42:43], v[40:41], v[82:83] op_sel:[1,0,0] op_sel_hi:[0,1,1]
	v_mov_b32_e32 v41, v85
	s_delay_alu instid0(VALU_DEP_1)
	v_pk_add_f32 v[38:39], v[38:39], v[40:41]
	s_or_b32 exec_lo, exec_lo, s9
	s_and_saveexec_b32 s9, s17
	s_cbranch_execz .LBB166_151
.LBB166_1048:                           ;   in Loop: Header=BB166_3 Depth=1
	ds_load_b64 v[40:41], v52 offset:1056
	ds_load_b64 v[42:43], v50 offset:16
	s_wait_dscnt 0x0
	v_pk_mul_f32 v[82:83], v[42:43], v[40:41] op_sel:[0,1]
	s_delay_alu instid0(VALU_DEP_1) | instskip(SKIP_1) | instid1(VALU_DEP_2)
	v_pk_fma_f32 v[84:85], v[42:43], v[40:41], v[82:83] op_sel:[1,0,0] op_sel_hi:[0,0,1] neg_lo:[0,0,1] neg_hi:[0,0,1]
	v_pk_fma_f32 v[40:41], v[42:43], v[40:41], v[82:83] op_sel:[1,0,0] op_sel_hi:[0,1,1]
	v_mov_b32_e32 v41, v85
	s_delay_alu instid0(VALU_DEP_1)
	v_pk_add_f32 v[38:39], v[38:39], v[40:41]
	s_or_b32 exec_lo, exec_lo, s9
	s_and_saveexec_b32 s9, s3
	s_cbranch_execnz .LBB166_152
	s_branch .LBB166_153
.LBB166_1049:                           ;   in Loop: Header=BB166_3 Depth=1
	ds_load_b64 v[40:41], v58 offset:576
	ds_load_b64 v[42:43], v54 offset:8
	s_wait_dscnt 0x0
	v_dual_mul_f32 v0, v43, v41 :: v_dual_mul_f32 v41, v42, v41
	s_delay_alu instid0(VALU_DEP_1) | instskip(NEXT) | instid1(VALU_DEP_1)
	v_dual_fma_f32 v0, v42, v40, -v0 :: v_dual_fmac_f32 v41, v43, v40
	v_dual_add_f32 v39, v39, v0 :: v_dual_add_f32 v38, v38, v41
	s_or_b32 exec_lo, exec_lo, s9
	s_and_saveexec_b32 s9, s19
	s_cbranch_execz .LBB166_189
.LBB166_1050:                           ;   in Loop: Header=BB166_3 Depth=1
	ds_load_b64 v[40:41], v58 offset:1088
	ds_load_b64 v[42:43], v54 offset:16
	s_wait_dscnt 0x0
	v_dual_mul_f32 v0, v43, v41 :: v_dual_mul_f32 v41, v42, v41
	s_delay_alu instid0(VALU_DEP_1) | instskip(NEXT) | instid1(VALU_DEP_1)
	v_dual_fma_f32 v0, v42, v40, -v0 :: v_dual_fmac_f32 v41, v43, v40
	v_dual_add_f32 v39, v39, v0 :: v_dual_add_f32 v38, v38, v41
	s_or_b32 exec_lo, exec_lo, s9
	s_and_saveexec_b32 s9, s20
	s_cbranch_execz .LBB166_190
.LBB166_1051:                           ;   in Loop: Header=BB166_3 Depth=1
	ds_load_b64 v[40:41], v58 offset:1600
	ds_load_b64 v[42:43], v54 offset:24
	s_wait_dscnt 0x0
	v_dual_mul_f32 v0, v43, v41 :: v_dual_mul_f32 v41, v42, v41
	s_delay_alu instid0(VALU_DEP_1) | instskip(NEXT) | instid1(VALU_DEP_1)
	v_dual_fma_f32 v0, v42, v40, -v0 :: v_dual_fmac_f32 v41, v43, v40
	v_dual_add_f32 v39, v39, v0 :: v_dual_add_f32 v38, v38, v41
	s_or_b32 exec_lo, exec_lo, s9
	s_and_saveexec_b32 s9, s21
	s_cbranch_execz .LBB166_191
.LBB166_1052:                           ;   in Loop: Header=BB166_3 Depth=1
	ds_load_b64 v[40:41], v57 offset:2112
	ds_load_b64 v[42:43], v54 offset:32
	s_wait_dscnt 0x0
	v_dual_mul_f32 v0, v43, v41 :: v_dual_mul_f32 v82, v42, v41
	s_delay_alu instid0(VALU_DEP_1) | instskip(NEXT) | instid1(VALU_DEP_1)
	v_dual_fma_f32 v83, v42, v40, -v0 :: v_dual_fmac_f32 v82, v43, v40
	v_pk_add_f32 v[38:39], v[38:39], v[82:83]
	s_or_b32 exec_lo, exec_lo, s9
	s_and_saveexec_b32 s9, s22
	s_cbranch_execz .LBB166_192
.LBB166_1053:                           ;   in Loop: Header=BB166_3 Depth=1
	ds_load_b64 v[40:41], v58 offset:2624
	ds_load_b64 v[42:43], v54 offset:40
	s_wait_dscnt 0x0
	v_pk_mul_f32 v[82:83], v[42:43], v[40:41] op_sel:[0,1]
	s_delay_alu instid0(VALU_DEP_1) | instskip(SKIP_1) | instid1(VALU_DEP_2)
	v_pk_fma_f32 v[84:85], v[42:43], v[40:41], v[82:83] op_sel:[1,0,0] op_sel_hi:[0,0,1] neg_lo:[0,0,1] neg_hi:[0,0,1]
	v_pk_fma_f32 v[40:41], v[42:43], v[40:41], v[82:83] op_sel:[1,0,0] op_sel_hi:[0,1,1]
	v_mov_b32_e32 v41, v85
	s_delay_alu instid0(VALU_DEP_1)
	v_pk_add_f32 v[38:39], v[38:39], v[40:41]
	s_or_b32 exec_lo, exec_lo, s9
	s_and_saveexec_b32 s9, s4
	s_cbranch_execz .LBB166_193
.LBB166_1054:                           ;   in Loop: Header=BB166_3 Depth=1
	ds_load_b64 v[40:41], v57 offset:3136
	ds_load_b64 v[42:43], v54 offset:48
	s_wait_dscnt 0x0
	v_pk_mul_f32 v[82:83], v[42:43], v[40:41] op_sel:[0,1]
	s_delay_alu instid0(VALU_DEP_1) | instskip(SKIP_1) | instid1(VALU_DEP_2)
	v_pk_fma_f32 v[84:85], v[42:43], v[40:41], v[82:83] op_sel:[1,0,0] op_sel_hi:[0,0,1] neg_lo:[0,0,1] neg_hi:[0,0,1]
	v_pk_fma_f32 v[40:41], v[42:43], v[40:41], v[82:83] op_sel:[1,0,0] op_sel_hi:[0,1,1]
	v_mov_b32_e32 v41, v85
	s_delay_alu instid0(VALU_DEP_1)
	v_pk_add_f32 v[38:39], v[38:39], v[40:41]
	s_or_b32 exec_lo, exec_lo, s9
	s_and_saveexec_b32 s9, s17
	s_cbranch_execnz .LBB166_194
	s_branch .LBB166_195
.LBB166_1055:                           ;   in Loop: Header=BB166_3 Depth=1
	ds_load_b64 v[40:41], v53 offset:4704
	ds_load_b64 v[42:43], v50 offset:4168
	s_wait_dscnt 0x0
	v_pk_mul_f32 v[82:83], v[42:43], v[40:41] op_sel:[0,1]
	s_delay_alu instid0(VALU_DEP_1) | instskip(SKIP_1) | instid1(VALU_DEP_2)
	v_pk_fma_f32 v[84:85], v[42:43], v[40:41], v[82:83] op_sel:[1,0,0] op_sel_hi:[0,0,1] neg_lo:[0,0,1] neg_hi:[0,0,1]
	v_pk_fma_f32 v[40:41], v[42:43], v[40:41], v[82:83] op_sel:[1,0,0] op_sel_hi:[0,1,1]
	v_mov_b32_e32 v41, v85
	s_delay_alu instid0(VALU_DEP_1)
	v_pk_add_f32 v[38:39], v[38:39], v[40:41]
	s_or_b32 exec_lo, exec_lo, s9
	s_and_saveexec_b32 s9, s17
	s_cbranch_execz .LBB166_247
.LBB166_1056:                           ;   in Loop: Header=BB166_3 Depth=1
	ds_load_b64 v[40:41], v52 offset:5216
	ds_load_b64 v[42:43], v50 offset:4176
	s_wait_dscnt 0x0
	v_pk_mul_f32 v[82:83], v[42:43], v[40:41] op_sel:[0,1]
	s_delay_alu instid0(VALU_DEP_1) | instskip(SKIP_1) | instid1(VALU_DEP_2)
	v_pk_fma_f32 v[84:85], v[42:43], v[40:41], v[82:83] op_sel:[1,0,0] op_sel_hi:[0,0,1] neg_lo:[0,0,1] neg_hi:[0,0,1]
	v_pk_fma_f32 v[40:41], v[42:43], v[40:41], v[82:83] op_sel:[1,0,0] op_sel_hi:[0,1,1]
	v_mov_b32_e32 v41, v85
	s_delay_alu instid0(VALU_DEP_1)
	v_pk_add_f32 v[38:39], v[38:39], v[40:41]
	s_or_b32 exec_lo, exec_lo, s9
	s_and_saveexec_b32 s9, s3
	s_cbranch_execnz .LBB166_248
	s_branch .LBB166_249
.LBB166_1057:                           ;   in Loop: Header=BB166_3 Depth=1
	ds_load_b64 v[40:41], v63 offset:5760
	ds_load_b64 v[42:43], v59 offset:88
	s_wait_dscnt 0x0
	v_dual_mul_f32 v0, v43, v41 :: v_dual_mul_f32 v41, v42, v41
	s_delay_alu instid0(VALU_DEP_1) | instskip(NEXT) | instid1(VALU_DEP_1)
	v_dual_fma_f32 v0, v42, v40, -v0 :: v_dual_fmac_f32 v41, v43, v40
	v_dual_add_f32 v39, v39, v0 :: v_dual_add_f32 v38, v38, v41
	s_or_b32 exec_lo, exec_lo, s9
	s_and_saveexec_b32 s9, s5
	s_cbranch_execz .LBB166_305
.LBB166_1058:                           ;   in Loop: Header=BB166_3 Depth=1
	ds_load_b64 v[40:41], v62 offset:6272
	ds_load_b64 v[42:43], v59 offset:96
	s_wait_dscnt 0x0
	v_dual_mul_f32 v0, v43, v41 :: v_dual_mul_f32 v82, v42, v41
	s_delay_alu instid0(VALU_DEP_1) | instskip(NEXT) | instid1(VALU_DEP_1)
	v_dual_fma_f32 v83, v42, v40, -v0 :: v_dual_fmac_f32 v82, v43, v40
	v_pk_add_f32 v[38:39], v[38:39], v[82:83]
	s_or_b32 exec_lo, exec_lo, s9
	s_and_saveexec_b32 s9, s19
	s_cbranch_execz .LBB166_306
.LBB166_1059:                           ;   in Loop: Header=BB166_3 Depth=1
	ds_load_b64 v[40:41], v63 offset:6784
	ds_load_b64 v[42:43], v59 offset:104
	s_wait_dscnt 0x0
	v_pk_mul_f32 v[82:83], v[42:43], v[40:41] op_sel:[0,1]
	s_delay_alu instid0(VALU_DEP_1) | instskip(SKIP_1) | instid1(VALU_DEP_2)
	v_pk_fma_f32 v[84:85], v[42:43], v[40:41], v[82:83] op_sel:[1,0,0] op_sel_hi:[0,0,1] neg_lo:[0,0,1] neg_hi:[0,0,1]
	v_pk_fma_f32 v[40:41], v[42:43], v[40:41], v[82:83] op_sel:[1,0,0] op_sel_hi:[0,1,1]
	v_mov_b32_e32 v41, v85
	s_delay_alu instid0(VALU_DEP_1)
	v_pk_add_f32 v[38:39], v[38:39], v[40:41]
	s_or_b32 exec_lo, exec_lo, s9
	s_and_saveexec_b32 s9, s21
	s_cbranch_execz .LBB166_307
.LBB166_1060:                           ;   in Loop: Header=BB166_3 Depth=1
	ds_load_b64 v[40:41], v62 offset:7296
	ds_load_b64 v[42:43], v59 offset:112
	s_wait_dscnt 0x0
	v_pk_mul_f32 v[82:83], v[42:43], v[40:41] op_sel:[0,1]
	s_delay_alu instid0(VALU_DEP_1) | instskip(SKIP_1) | instid1(VALU_DEP_2)
	v_pk_fma_f32 v[84:85], v[42:43], v[40:41], v[82:83] op_sel:[1,0,0] op_sel_hi:[0,0,1] neg_lo:[0,0,1] neg_hi:[0,0,1]
	v_pk_fma_f32 v[40:41], v[42:43], v[40:41], v[82:83] op_sel:[1,0,0] op_sel_hi:[0,1,1]
	v_mov_b32_e32 v41, v85
	s_delay_alu instid0(VALU_DEP_1)
	v_pk_add_f32 v[38:39], v[38:39], v[40:41]
	s_or_b32 exec_lo, exec_lo, s9
	s_and_saveexec_b32 s9, s4
	s_cbranch_execnz .LBB166_308
	s_branch .LBB166_309
.LBB166_1061:                           ;   in Loop: Header=BB166_3 Depth=1
	ds_load_b64 v[40:41], v53 offset:8864
	ds_load_b64 v[42:43], v50 offset:8328
	s_wait_dscnt 0x0
	v_pk_mul_f32 v[82:83], v[42:43], v[40:41] op_sel:[0,1]
	s_delay_alu instid0(VALU_DEP_1) | instskip(SKIP_1) | instid1(VALU_DEP_2)
	v_pk_fma_f32 v[84:85], v[42:43], v[40:41], v[82:83] op_sel:[1,0,0] op_sel_hi:[0,0,1] neg_lo:[0,0,1] neg_hi:[0,0,1]
	v_pk_fma_f32 v[40:41], v[42:43], v[40:41], v[82:83] op_sel:[1,0,0] op_sel_hi:[0,1,1]
	v_mov_b32_e32 v41, v85
	s_delay_alu instid0(VALU_DEP_1)
	v_pk_add_f32 v[38:39], v[38:39], v[40:41]
	s_or_b32 exec_lo, exec_lo, s9
	s_and_saveexec_b32 s9, s17
	s_cbranch_execz .LBB166_393
.LBB166_1062:                           ;   in Loop: Header=BB166_3 Depth=1
	ds_load_b64 v[40:41], v52 offset:9376
	ds_load_b64 v[42:43], v50 offset:8336
	s_wait_dscnt 0x0
	v_pk_mul_f32 v[82:83], v[42:43], v[40:41] op_sel:[0,1]
	s_delay_alu instid0(VALU_DEP_1) | instskip(SKIP_1) | instid1(VALU_DEP_2)
	v_pk_fma_f32 v[84:85], v[42:43], v[40:41], v[82:83] op_sel:[1,0,0] op_sel_hi:[0,0,1] neg_lo:[0,0,1] neg_hi:[0,0,1]
	v_pk_fma_f32 v[40:41], v[42:43], v[40:41], v[82:83] op_sel:[1,0,0] op_sel_hi:[0,1,1]
	v_mov_b32_e32 v41, v85
	s_delay_alu instid0(VALU_DEP_1)
	v_pk_add_f32 v[38:39], v[38:39], v[40:41]
	s_or_b32 exec_lo, exec_lo, s9
	s_and_saveexec_b32 s9, s3
	s_cbranch_execnz .LBB166_394
	s_branch .LBB166_395
.LBB166_1063:                           ;   in Loop: Header=BB166_3 Depth=1
	ds_load_b64 v[40:41], v58 offset:8896
	ds_load_b64 v[42:43], v54 offset:8328
	s_wait_dscnt 0x0
	v_dual_mul_f32 v0, v43, v41 :: v_dual_mul_f32 v41, v42, v41
	s_delay_alu instid0(VALU_DEP_1) | instskip(NEXT) | instid1(VALU_DEP_1)
	v_dual_fma_f32 v0, v42, v40, -v0 :: v_dual_fmac_f32 v41, v43, v40
	v_dual_add_f32 v39, v39, v0 :: v_dual_add_f32 v38, v38, v41
	s_or_b32 exec_lo, exec_lo, s9
	s_and_saveexec_b32 s9, s19
	s_cbranch_execz .LBB166_431
.LBB166_1064:                           ;   in Loop: Header=BB166_3 Depth=1
	ds_load_b64 v[40:41], v58 offset:9408
	ds_load_b64 v[42:43], v54 offset:8336
	s_wait_dscnt 0x0
	v_dual_mul_f32 v0, v43, v41 :: v_dual_mul_f32 v41, v42, v41
	s_delay_alu instid0(VALU_DEP_1) | instskip(NEXT) | instid1(VALU_DEP_1)
	v_dual_fma_f32 v0, v42, v40, -v0 :: v_dual_fmac_f32 v41, v43, v40
	v_dual_add_f32 v39, v39, v0 :: v_dual_add_f32 v38, v38, v41
	s_or_b32 exec_lo, exec_lo, s9
	s_and_saveexec_b32 s9, s20
	s_cbranch_execz .LBB166_432
.LBB166_1065:                           ;   in Loop: Header=BB166_3 Depth=1
	ds_load_b64 v[40:41], v58 offset:9920
	ds_load_b64 v[42:43], v54 offset:8344
	s_wait_dscnt 0x0
	v_dual_mul_f32 v0, v43, v41 :: v_dual_mul_f32 v41, v42, v41
	s_delay_alu instid0(VALU_DEP_1) | instskip(NEXT) | instid1(VALU_DEP_1)
	v_dual_fma_f32 v0, v42, v40, -v0 :: v_dual_fmac_f32 v41, v43, v40
	v_dual_add_f32 v39, v39, v0 :: v_dual_add_f32 v38, v38, v41
	s_or_b32 exec_lo, exec_lo, s9
	s_and_saveexec_b32 s9, s21
	s_cbranch_execz .LBB166_433
.LBB166_1066:                           ;   in Loop: Header=BB166_3 Depth=1
	ds_load_b64 v[40:41], v57 offset:10432
	ds_load_b64 v[42:43], v54 offset:8352
	s_wait_dscnt 0x0
	v_dual_mul_f32 v0, v43, v41 :: v_dual_mul_f32 v82, v42, v41
	s_delay_alu instid0(VALU_DEP_1) | instskip(NEXT) | instid1(VALU_DEP_1)
	v_dual_fma_f32 v83, v42, v40, -v0 :: v_dual_fmac_f32 v82, v43, v40
	v_pk_add_f32 v[38:39], v[38:39], v[82:83]
	s_or_b32 exec_lo, exec_lo, s9
	s_and_saveexec_b32 s9, s22
	s_cbranch_execz .LBB166_434
.LBB166_1067:                           ;   in Loop: Header=BB166_3 Depth=1
	ds_load_b64 v[40:41], v58 offset:10944
	ds_load_b64 v[42:43], v54 offset:8360
	s_wait_dscnt 0x0
	v_pk_mul_f32 v[82:83], v[42:43], v[40:41] op_sel:[0,1]
	s_delay_alu instid0(VALU_DEP_1) | instskip(SKIP_1) | instid1(VALU_DEP_2)
	v_pk_fma_f32 v[84:85], v[42:43], v[40:41], v[82:83] op_sel:[1,0,0] op_sel_hi:[0,0,1] neg_lo:[0,0,1] neg_hi:[0,0,1]
	v_pk_fma_f32 v[40:41], v[42:43], v[40:41], v[82:83] op_sel:[1,0,0] op_sel_hi:[0,1,1]
	v_mov_b32_e32 v41, v85
	s_delay_alu instid0(VALU_DEP_1)
	v_pk_add_f32 v[38:39], v[38:39], v[40:41]
	s_or_b32 exec_lo, exec_lo, s9
	s_and_saveexec_b32 s9, s4
	s_cbranch_execz .LBB166_435
.LBB166_1068:                           ;   in Loop: Header=BB166_3 Depth=1
	ds_load_b64 v[40:41], v57 offset:11456
	ds_load_b64 v[42:43], v54 offset:8368
	s_wait_dscnt 0x0
	v_pk_mul_f32 v[82:83], v[42:43], v[40:41] op_sel:[0,1]
	s_delay_alu instid0(VALU_DEP_1) | instskip(SKIP_1) | instid1(VALU_DEP_2)
	v_pk_fma_f32 v[84:85], v[42:43], v[40:41], v[82:83] op_sel:[1,0,0] op_sel_hi:[0,0,1] neg_lo:[0,0,1] neg_hi:[0,0,1]
	v_pk_fma_f32 v[40:41], v[42:43], v[40:41], v[82:83] op_sel:[1,0,0] op_sel_hi:[0,1,1]
	v_mov_b32_e32 v41, v85
	s_delay_alu instid0(VALU_DEP_1)
	v_pk_add_f32 v[38:39], v[38:39], v[40:41]
	s_or_b32 exec_lo, exec_lo, s9
	s_and_saveexec_b32 s9, s17
	s_cbranch_execnz .LBB166_436
	s_branch .LBB166_437
.LBB166_1069:                           ;   in Loop: Header=BB166_3 Depth=1
	ds_load_b64 v[40:41], v53 offset:13024
	ds_load_b64 v[42:43], v50 offset:12488
	s_wait_dscnt 0x0
	v_pk_mul_f32 v[82:83], v[42:43], v[40:41] op_sel:[0,1]
	s_delay_alu instid0(VALU_DEP_1) | instskip(SKIP_1) | instid1(VALU_DEP_2)
	v_pk_fma_f32 v[84:85], v[42:43], v[40:41], v[82:83] op_sel:[1,0,0] op_sel_hi:[0,0,1] neg_lo:[0,0,1] neg_hi:[0,0,1]
	v_pk_fma_f32 v[40:41], v[42:43], v[40:41], v[82:83] op_sel:[1,0,0] op_sel_hi:[0,1,1]
	v_mov_b32_e32 v41, v85
	s_delay_alu instid0(VALU_DEP_1)
	v_pk_add_f32 v[38:39], v[38:39], v[40:41]
	s_or_b32 exec_lo, exec_lo, s9
	s_and_saveexec_b32 s9, s17
	s_cbranch_execz .LBB166_489
.LBB166_1070:                           ;   in Loop: Header=BB166_3 Depth=1
	ds_load_b64 v[40:41], v52 offset:13536
	ds_load_b64 v[42:43], v50 offset:12496
	s_wait_dscnt 0x0
	v_pk_mul_f32 v[82:83], v[42:43], v[40:41] op_sel:[0,1]
	s_delay_alu instid0(VALU_DEP_1) | instskip(SKIP_1) | instid1(VALU_DEP_2)
	v_pk_fma_f32 v[84:85], v[42:43], v[40:41], v[82:83] op_sel:[1,0,0] op_sel_hi:[0,0,1] neg_lo:[0,0,1] neg_hi:[0,0,1]
	v_pk_fma_f32 v[40:41], v[42:43], v[40:41], v[82:83] op_sel:[1,0,0] op_sel_hi:[0,1,1]
	v_mov_b32_e32 v41, v85
	s_delay_alu instid0(VALU_DEP_1)
	v_pk_add_f32 v[38:39], v[38:39], v[40:41]
	s_or_b32 exec_lo, exec_lo, s9
	s_and_saveexec_b32 s9, s3
	s_cbranch_execnz .LBB166_490
	s_branch .LBB166_491
.LBB166_1071:                           ;   in Loop: Header=BB166_3 Depth=1
	ds_load_b64 v[42:43], v40 offset:14592
	ds_load_b64 v[82:83], v0 offset:224
	s_wait_dscnt 0x0
	v_pk_mul_f32 v[84:85], v[82:83], v[42:43] op_sel:[1,1] op_sel_hi:[0,1]
	s_delay_alu instid0(VALU_DEP_1) | instskip(SKIP_1) | instid1(VALU_DEP_2)
	v_pk_fma_f32 v[86:87], v[82:83], v[42:43], v[84:85] op_sel_hi:[1,0,1]
	v_pk_fma_f32 v[42:43], v[82:83], v[42:43], v[84:85] neg_lo:[0,0,1] neg_hi:[0,0,1]
	v_mov_b32_e32 v43, v87
	s_delay_alu instid0(VALU_DEP_1)
	v_pk_add_f32 v[38:39], v[38:39], v[42:43]
	s_or_b32 exec_lo, exec_lo, s9
	s_and_saveexec_b32 s9, s0
	s_cbranch_execz .LBB166_581
.LBB166_1072:                           ;   in Loop: Header=BB166_3 Depth=1
	ds_load_b64 v[42:43], v40 offset:15104
	ds_load_b64 v[82:83], v0 offset:232
	s_wait_dscnt 0x0
	v_pk_mul_f32 v[84:85], v[82:83], v[42:43] op_sel:[1,1] op_sel_hi:[0,1]
	s_delay_alu instid0(VALU_DEP_1) | instskip(SKIP_1) | instid1(VALU_DEP_2)
	v_pk_fma_f32 v[86:87], v[82:83], v[42:43], v[84:85] op_sel_hi:[1,0,1]
	v_pk_fma_f32 v[42:43], v[82:83], v[42:43], v[84:85] neg_lo:[0,0,1] neg_hi:[0,0,1]
	v_mov_b32_e32 v43, v87
	s_delay_alu instid0(VALU_DEP_1)
	v_pk_add_f32 v[38:39], v[38:39], v[42:43]
	s_or_b32 exec_lo, exec_lo, s9
	s_and_saveexec_b32 s9, s5
	s_cbranch_execz .LBB166_582
.LBB166_1073:                           ;   in Loop: Header=BB166_3 Depth=1
	ds_load_b64 v[40:41], v40 offset:15616
	ds_load_b64 v[42:43], v0 offset:240
	s_wait_dscnt 0x0
	v_pk_mul_f32 v[82:83], v[42:43], v[40:41] op_sel:[1,1] op_sel_hi:[0,1]
	s_delay_alu instid0(VALU_DEP_1) | instskip(SKIP_1) | instid1(VALU_DEP_2)
	v_pk_fma_f32 v[84:85], v[42:43], v[40:41], v[82:83] op_sel_hi:[1,0,1]
	v_pk_fma_f32 v[40:41], v[42:43], v[40:41], v[82:83] neg_lo:[0,0,1] neg_hi:[0,0,1]
	v_mov_b32_e32 v41, v85
	s_delay_alu instid0(VALU_DEP_1)
	v_pk_add_f32 v[38:39], v[38:39], v[40:41]
	s_or_b32 exec_lo, exec_lo, s9
	s_and_saveexec_b32 s9, s21
	s_cbranch_execnz .LBB166_583
	s_branch .LBB166_584
.LBB166_1074:                           ;   in Loop: Header=BB166_3 Depth=1
	ds_load_b64 v[40:41], v53 offset:17184
	ds_load_b64 v[42:43], v50 offset:16648
	s_wait_dscnt 0x0
	v_pk_mul_f32 v[82:83], v[42:43], v[40:41] op_sel:[0,1]
	s_delay_alu instid0(VALU_DEP_1) | instskip(SKIP_1) | instid1(VALU_DEP_2)
	v_pk_fma_f32 v[84:85], v[42:43], v[40:41], v[82:83] op_sel:[1,0,0] op_sel_hi:[0,0,1] neg_lo:[0,0,1] neg_hi:[0,0,1]
	v_pk_fma_f32 v[40:41], v[42:43], v[40:41], v[82:83] op_sel:[1,0,0] op_sel_hi:[0,1,1]
	v_mov_b32_e32 v41, v85
	s_delay_alu instid0(VALU_DEP_1)
	v_pk_add_f32 v[38:39], v[38:39], v[40:41]
	s_or_b32 exec_lo, exec_lo, s9
	s_and_saveexec_b32 s9, s17
	s_cbranch_execz .LBB166_616
.LBB166_1075:                           ;   in Loop: Header=BB166_3 Depth=1
	ds_load_b64 v[40:41], v52 offset:17696
	ds_load_b64 v[42:43], v50 offset:16656
	s_wait_dscnt 0x0
	v_pk_mul_f32 v[82:83], v[42:43], v[40:41] op_sel:[0,1]
	s_delay_alu instid0(VALU_DEP_1) | instskip(SKIP_1) | instid1(VALU_DEP_2)
	v_pk_fma_f32 v[84:85], v[42:43], v[40:41], v[82:83] op_sel:[1,0,0] op_sel_hi:[0,0,1] neg_lo:[0,0,1] neg_hi:[0,0,1]
	v_pk_fma_f32 v[40:41], v[42:43], v[40:41], v[82:83] op_sel:[1,0,0] op_sel_hi:[0,1,1]
	v_mov_b32_e32 v41, v85
	s_delay_alu instid0(VALU_DEP_1)
	v_pk_add_f32 v[38:39], v[38:39], v[40:41]
	s_or_b32 exec_lo, exec_lo, s9
	s_and_saveexec_b32 s9, s3
	s_cbranch_execnz .LBB166_617
	s_branch .LBB166_618
.LBB166_1076:                           ;   in Loop: Header=BB166_3 Depth=1
	ds_load_b64 v[40:41], v58 offset:17216
	ds_load_b64 v[42:43], v54 offset:16648
	s_wait_dscnt 0x0
	v_dual_mul_f32 v0, v43, v41 :: v_dual_mul_f32 v41, v42, v41
	s_delay_alu instid0(VALU_DEP_1) | instskip(NEXT) | instid1(VALU_DEP_1)
	v_dual_fma_f32 v0, v42, v40, -v0 :: v_dual_fmac_f32 v41, v43, v40
	v_dual_add_f32 v39, v39, v0 :: v_dual_add_f32 v38, v38, v41
	s_or_b32 exec_lo, exec_lo, s9
	s_and_saveexec_b32 s9, s19
	s_cbranch_execz .LBB166_654
.LBB166_1077:                           ;   in Loop: Header=BB166_3 Depth=1
	ds_load_b64 v[40:41], v58 offset:17728
	ds_load_b64 v[42:43], v54 offset:16656
	s_wait_dscnt 0x0
	v_dual_mul_f32 v0, v43, v41 :: v_dual_mul_f32 v41, v42, v41
	s_delay_alu instid0(VALU_DEP_1) | instskip(NEXT) | instid1(VALU_DEP_1)
	v_dual_fma_f32 v0, v42, v40, -v0 :: v_dual_fmac_f32 v41, v43, v40
	v_dual_add_f32 v39, v39, v0 :: v_dual_add_f32 v38, v38, v41
	s_or_b32 exec_lo, exec_lo, s9
	s_and_saveexec_b32 s9, s20
	s_cbranch_execz .LBB166_655
.LBB166_1078:                           ;   in Loop: Header=BB166_3 Depth=1
	ds_load_b64 v[40:41], v58 offset:18240
	ds_load_b64 v[42:43], v54 offset:16664
	s_wait_dscnt 0x0
	v_dual_mul_f32 v0, v43, v41 :: v_dual_mul_f32 v41, v42, v41
	s_delay_alu instid0(VALU_DEP_1) | instskip(NEXT) | instid1(VALU_DEP_1)
	v_dual_fma_f32 v0, v42, v40, -v0 :: v_dual_fmac_f32 v41, v43, v40
	v_dual_add_f32 v39, v39, v0 :: v_dual_add_f32 v38, v38, v41
	s_or_b32 exec_lo, exec_lo, s9
	s_and_saveexec_b32 s9, s21
	s_cbranch_execz .LBB166_656
.LBB166_1079:                           ;   in Loop: Header=BB166_3 Depth=1
	ds_load_b64 v[40:41], v57 offset:18752
	ds_load_b64 v[42:43], v54 offset:16672
	s_wait_dscnt 0x0
	v_dual_mul_f32 v0, v43, v41 :: v_dual_mul_f32 v82, v42, v41
	s_delay_alu instid0(VALU_DEP_1) | instskip(NEXT) | instid1(VALU_DEP_1)
	v_dual_fma_f32 v83, v42, v40, -v0 :: v_dual_fmac_f32 v82, v43, v40
	v_pk_add_f32 v[38:39], v[38:39], v[82:83]
	s_or_b32 exec_lo, exec_lo, s9
	s_and_saveexec_b32 s9, s22
	s_cbranch_execz .LBB166_657
.LBB166_1080:                           ;   in Loop: Header=BB166_3 Depth=1
	ds_load_b64 v[40:41], v58 offset:19264
	ds_load_b64 v[42:43], v54 offset:16680
	s_wait_dscnt 0x0
	v_pk_mul_f32 v[82:83], v[42:43], v[40:41] op_sel:[0,1]
	s_delay_alu instid0(VALU_DEP_1) | instskip(SKIP_1) | instid1(VALU_DEP_2)
	v_pk_fma_f32 v[84:85], v[42:43], v[40:41], v[82:83] op_sel:[1,0,0] op_sel_hi:[0,0,1] neg_lo:[0,0,1] neg_hi:[0,0,1]
	v_pk_fma_f32 v[40:41], v[42:43], v[40:41], v[82:83] op_sel:[1,0,0] op_sel_hi:[0,1,1]
	v_mov_b32_e32 v41, v85
	s_delay_alu instid0(VALU_DEP_1)
	v_pk_add_f32 v[38:39], v[38:39], v[40:41]
	s_or_b32 exec_lo, exec_lo, s9
	s_and_saveexec_b32 s9, s4
	s_cbranch_execz .LBB166_658
.LBB166_1081:                           ;   in Loop: Header=BB166_3 Depth=1
	ds_load_b64 v[40:41], v57 offset:19776
	ds_load_b64 v[42:43], v54 offset:16688
	s_wait_dscnt 0x0
	v_pk_mul_f32 v[82:83], v[42:43], v[40:41] op_sel:[0,1]
	s_delay_alu instid0(VALU_DEP_1) | instskip(SKIP_1) | instid1(VALU_DEP_2)
	v_pk_fma_f32 v[84:85], v[42:43], v[40:41], v[82:83] op_sel:[1,0,0] op_sel_hi:[0,0,1] neg_lo:[0,0,1] neg_hi:[0,0,1]
	v_pk_fma_f32 v[40:41], v[42:43], v[40:41], v[82:83] op_sel:[1,0,0] op_sel_hi:[0,1,1]
	v_mov_b32_e32 v41, v85
	s_delay_alu instid0(VALU_DEP_1)
	v_pk_add_f32 v[38:39], v[38:39], v[40:41]
	s_or_b32 exec_lo, exec_lo, s9
	s_and_saveexec_b32 s9, s17
	s_cbranch_execnz .LBB166_659
	s_branch .LBB166_660
.LBB166_1082:                           ;   in Loop: Header=BB166_3 Depth=1
	ds_load_b64 v[40:41], v53 offset:21344
	ds_load_b64 v[42:43], v50 offset:20808
	s_wait_dscnt 0x0
	v_pk_mul_f32 v[82:83], v[42:43], v[40:41] op_sel:[0,1]
	s_delay_alu instid0(VALU_DEP_1) | instskip(SKIP_1) | instid1(VALU_DEP_2)
	v_pk_fma_f32 v[84:85], v[42:43], v[40:41], v[82:83] op_sel:[1,0,0] op_sel_hi:[0,0,1] neg_lo:[0,0,1] neg_hi:[0,0,1]
	v_pk_fma_f32 v[40:41], v[42:43], v[40:41], v[82:83] op_sel:[1,0,0] op_sel_hi:[0,1,1]
	v_mov_b32_e32 v41, v85
	s_delay_alu instid0(VALU_DEP_1)
	v_pk_add_f32 v[38:39], v[38:39], v[40:41]
	s_or_b32 exec_lo, exec_lo, s9
	s_and_saveexec_b32 s9, s17
	s_cbranch_execz .LBB166_712
.LBB166_1083:                           ;   in Loop: Header=BB166_3 Depth=1
	ds_load_b64 v[40:41], v52 offset:21856
	ds_load_b64 v[42:43], v50 offset:20816
	s_wait_dscnt 0x0
	v_pk_mul_f32 v[82:83], v[42:43], v[40:41] op_sel:[0,1]
	s_delay_alu instid0(VALU_DEP_1) | instskip(SKIP_1) | instid1(VALU_DEP_2)
	v_pk_fma_f32 v[84:85], v[42:43], v[40:41], v[82:83] op_sel:[1,0,0] op_sel_hi:[0,0,1] neg_lo:[0,0,1] neg_hi:[0,0,1]
	v_pk_fma_f32 v[40:41], v[42:43], v[40:41], v[82:83] op_sel:[1,0,0] op_sel_hi:[0,1,1]
	v_mov_b32_e32 v41, v85
	s_delay_alu instid0(VALU_DEP_1)
	v_pk_add_f32 v[38:39], v[38:39], v[40:41]
	s_or_b32 exec_lo, exec_lo, s9
	s_and_saveexec_b32 s9, s3
	s_cbranch_execnz .LBB166_713
	s_branch .LBB166_714
.LBB166_1084:                           ;   in Loop: Header=BB166_3 Depth=1
	ds_load_b64 v[40:41], v63 offset:22400
	ds_load_b64 v[42:43], v59 offset:16728
	s_wait_dscnt 0x0
	v_dual_mul_f32 v0, v43, v41 :: v_dual_mul_f32 v41, v42, v41
	s_delay_alu instid0(VALU_DEP_1) | instskip(NEXT) | instid1(VALU_DEP_1)
	v_dual_fma_f32 v0, v42, v40, -v0 :: v_dual_fmac_f32 v41, v43, v40
	v_dual_add_f32 v39, v39, v0 :: v_dual_add_f32 v38, v38, v41
	s_or_b32 exec_lo, exec_lo, s9
	s_and_saveexec_b32 s9, s5
	s_cbranch_execz .LBB166_770
.LBB166_1085:                           ;   in Loop: Header=BB166_3 Depth=1
	ds_load_b64 v[40:41], v62 offset:22912
	ds_load_b64 v[42:43], v59 offset:16736
	s_wait_dscnt 0x0
	v_dual_mul_f32 v0, v43, v41 :: v_dual_mul_f32 v82, v42, v41
	s_delay_alu instid0(VALU_DEP_1) | instskip(NEXT) | instid1(VALU_DEP_1)
	v_dual_fma_f32 v83, v42, v40, -v0 :: v_dual_fmac_f32 v82, v43, v40
	v_pk_add_f32 v[38:39], v[38:39], v[82:83]
	s_or_b32 exec_lo, exec_lo, s9
	s_and_saveexec_b32 s9, s19
	s_cbranch_execz .LBB166_771
.LBB166_1086:                           ;   in Loop: Header=BB166_3 Depth=1
	ds_load_b64 v[40:41], v63 offset:23424
	ds_load_b64 v[42:43], v59 offset:16744
	s_wait_dscnt 0x0
	v_pk_mul_f32 v[82:83], v[42:43], v[40:41] op_sel:[0,1]
	s_delay_alu instid0(VALU_DEP_1) | instskip(SKIP_1) | instid1(VALU_DEP_2)
	v_pk_fma_f32 v[84:85], v[42:43], v[40:41], v[82:83] op_sel:[1,0,0] op_sel_hi:[0,0,1] neg_lo:[0,0,1] neg_hi:[0,0,1]
	v_pk_fma_f32 v[40:41], v[42:43], v[40:41], v[82:83] op_sel:[1,0,0] op_sel_hi:[0,1,1]
	v_mov_b32_e32 v41, v85
	s_delay_alu instid0(VALU_DEP_1)
	v_pk_add_f32 v[38:39], v[38:39], v[40:41]
	s_or_b32 exec_lo, exec_lo, s9
	s_and_saveexec_b32 s9, s21
	s_cbranch_execz .LBB166_772
.LBB166_1087:                           ;   in Loop: Header=BB166_3 Depth=1
	ds_load_b64 v[40:41], v62 offset:23936
	ds_load_b64 v[42:43], v59 offset:16752
	s_wait_dscnt 0x0
	v_pk_mul_f32 v[82:83], v[42:43], v[40:41] op_sel:[0,1]
	s_delay_alu instid0(VALU_DEP_1) | instskip(SKIP_1) | instid1(VALU_DEP_2)
	v_pk_fma_f32 v[84:85], v[42:43], v[40:41], v[82:83] op_sel:[1,0,0] op_sel_hi:[0,0,1] neg_lo:[0,0,1] neg_hi:[0,0,1]
	v_pk_fma_f32 v[40:41], v[42:43], v[40:41], v[82:83] op_sel:[1,0,0] op_sel_hi:[0,1,1]
	v_mov_b32_e32 v41, v85
	s_delay_alu instid0(VALU_DEP_1)
	v_pk_add_f32 v[38:39], v[38:39], v[40:41]
	s_or_b32 exec_lo, exec_lo, s9
	s_and_saveexec_b32 s9, s4
	s_cbranch_execnz .LBB166_773
	s_branch .LBB166_774
.LBB166_1088:                           ;   in Loop: Header=BB166_3 Depth=1
	ds_load_b64 v[40:41], v53 offset:25504
	ds_load_b64 v[42:43], v50 offset:24968
	s_wait_dscnt 0x0
	v_pk_mul_f32 v[82:83], v[42:43], v[40:41] op_sel:[0,1]
	s_delay_alu instid0(VALU_DEP_1) | instskip(SKIP_1) | instid1(VALU_DEP_2)
	v_pk_fma_f32 v[84:85], v[42:43], v[40:41], v[82:83] op_sel:[1,0,0] op_sel_hi:[0,0,1] neg_lo:[0,0,1] neg_hi:[0,0,1]
	v_pk_fma_f32 v[40:41], v[42:43], v[40:41], v[82:83] op_sel:[1,0,0] op_sel_hi:[0,1,1]
	v_mov_b32_e32 v41, v85
	s_delay_alu instid0(VALU_DEP_1)
	v_pk_add_f32 v[38:39], v[38:39], v[40:41]
	s_or_b32 exec_lo, exec_lo, s9
	s_and_saveexec_b32 s9, s17
	s_cbranch_execz .LBB166_858
.LBB166_1089:                           ;   in Loop: Header=BB166_3 Depth=1
	ds_load_b64 v[40:41], v52 offset:26016
	ds_load_b64 v[42:43], v50 offset:24976
	s_wait_dscnt 0x0
	v_pk_mul_f32 v[82:83], v[42:43], v[40:41] op_sel:[0,1]
	s_delay_alu instid0(VALU_DEP_1) | instskip(SKIP_1) | instid1(VALU_DEP_2)
	v_pk_fma_f32 v[84:85], v[42:43], v[40:41], v[82:83] op_sel:[1,0,0] op_sel_hi:[0,0,1] neg_lo:[0,0,1] neg_hi:[0,0,1]
	v_pk_fma_f32 v[40:41], v[42:43], v[40:41], v[82:83] op_sel:[1,0,0] op_sel_hi:[0,1,1]
	v_mov_b32_e32 v41, v85
	s_delay_alu instid0(VALU_DEP_1)
	v_pk_add_f32 v[38:39], v[38:39], v[40:41]
	s_or_b32 exec_lo, exec_lo, s9
	s_and_saveexec_b32 s9, s3
	s_cbranch_execnz .LBB166_859
	s_branch .LBB166_860
.LBB166_1090:                           ;   in Loop: Header=BB166_3 Depth=1
	ds_load_b64 v[40:41], v58 offset:25536
	ds_load_b64 v[42:43], v54 offset:24968
	s_wait_dscnt 0x0
	v_dual_mul_f32 v0, v43, v41 :: v_dual_mul_f32 v41, v42, v41
	s_delay_alu instid0(VALU_DEP_1) | instskip(NEXT) | instid1(VALU_DEP_1)
	v_dual_fma_f32 v0, v42, v40, -v0 :: v_dual_fmac_f32 v41, v43, v40
	v_dual_add_f32 v39, v39, v0 :: v_dual_add_f32 v38, v38, v41
	s_or_b32 exec_lo, exec_lo, s9
	s_and_saveexec_b32 s9, s19
	s_cbranch_execz .LBB166_896
.LBB166_1091:                           ;   in Loop: Header=BB166_3 Depth=1
	ds_load_b64 v[40:41], v58 offset:26048
	ds_load_b64 v[42:43], v54 offset:24976
	s_wait_dscnt 0x0
	v_dual_mul_f32 v0, v43, v41 :: v_dual_mul_f32 v41, v42, v41
	s_delay_alu instid0(VALU_DEP_1) | instskip(NEXT) | instid1(VALU_DEP_1)
	v_dual_fma_f32 v0, v42, v40, -v0 :: v_dual_fmac_f32 v41, v43, v40
	v_dual_add_f32 v39, v39, v0 :: v_dual_add_f32 v38, v38, v41
	s_or_b32 exec_lo, exec_lo, s9
	s_and_saveexec_b32 s9, s20
	s_cbranch_execz .LBB166_897
.LBB166_1092:                           ;   in Loop: Header=BB166_3 Depth=1
	ds_load_b64 v[40:41], v58 offset:26560
	ds_load_b64 v[42:43], v54 offset:24984
	s_wait_dscnt 0x0
	v_dual_mul_f32 v0, v43, v41 :: v_dual_mul_f32 v41, v42, v41
	s_delay_alu instid0(VALU_DEP_1) | instskip(NEXT) | instid1(VALU_DEP_1)
	v_dual_fma_f32 v0, v42, v40, -v0 :: v_dual_fmac_f32 v41, v43, v40
	v_dual_add_f32 v39, v39, v0 :: v_dual_add_f32 v38, v38, v41
	s_or_b32 exec_lo, exec_lo, s9
	s_and_saveexec_b32 s9, s21
	s_cbranch_execz .LBB166_898
.LBB166_1093:                           ;   in Loop: Header=BB166_3 Depth=1
	ds_load_b64 v[40:41], v57 offset:27072
	ds_load_b64 v[42:43], v54 offset:24992
	s_wait_dscnt 0x0
	v_dual_mul_f32 v0, v43, v41 :: v_dual_mul_f32 v82, v42, v41
	s_delay_alu instid0(VALU_DEP_1) | instskip(NEXT) | instid1(VALU_DEP_1)
	v_dual_fma_f32 v83, v42, v40, -v0 :: v_dual_fmac_f32 v82, v43, v40
	v_pk_add_f32 v[38:39], v[38:39], v[82:83]
	s_or_b32 exec_lo, exec_lo, s9
	s_and_saveexec_b32 s9, s22
	s_cbranch_execz .LBB166_899
.LBB166_1094:                           ;   in Loop: Header=BB166_3 Depth=1
	ds_load_b64 v[40:41], v58 offset:27584
	ds_load_b64 v[42:43], v54 offset:25000
	s_wait_dscnt 0x0
	v_pk_mul_f32 v[82:83], v[42:43], v[40:41] op_sel:[0,1]
	s_delay_alu instid0(VALU_DEP_1) | instskip(SKIP_1) | instid1(VALU_DEP_2)
	v_pk_fma_f32 v[84:85], v[42:43], v[40:41], v[82:83] op_sel:[1,0,0] op_sel_hi:[0,0,1] neg_lo:[0,0,1] neg_hi:[0,0,1]
	v_pk_fma_f32 v[40:41], v[42:43], v[40:41], v[82:83] op_sel:[1,0,0] op_sel_hi:[0,1,1]
	v_mov_b32_e32 v41, v85
	s_delay_alu instid0(VALU_DEP_1)
	v_pk_add_f32 v[38:39], v[38:39], v[40:41]
	s_or_b32 exec_lo, exec_lo, s9
	s_and_saveexec_b32 s9, s4
	s_cbranch_execz .LBB166_900
.LBB166_1095:                           ;   in Loop: Header=BB166_3 Depth=1
	ds_load_b64 v[40:41], v57 offset:28096
	ds_load_b64 v[42:43], v54 offset:25008
	s_wait_dscnt 0x0
	v_pk_mul_f32 v[82:83], v[42:43], v[40:41] op_sel:[0,1]
	s_delay_alu instid0(VALU_DEP_1) | instskip(SKIP_1) | instid1(VALU_DEP_2)
	v_pk_fma_f32 v[84:85], v[42:43], v[40:41], v[82:83] op_sel:[1,0,0] op_sel_hi:[0,0,1] neg_lo:[0,0,1] neg_hi:[0,0,1]
	v_pk_fma_f32 v[40:41], v[42:43], v[40:41], v[82:83] op_sel:[1,0,0] op_sel_hi:[0,1,1]
	v_mov_b32_e32 v41, v85
	s_delay_alu instid0(VALU_DEP_1)
	v_pk_add_f32 v[38:39], v[38:39], v[40:41]
	s_or_b32 exec_lo, exec_lo, s9
	s_and_saveexec_b32 s9, s17
	s_cbranch_execnz .LBB166_901
	s_branch .LBB166_902
.LBB166_1096:                           ;   in Loop: Header=BB166_3 Depth=1
	ds_load_b64 v[40:41], v53 offset:29664
	ds_load_b64 v[42:43], v50 offset:29128
	s_wait_dscnt 0x0
	v_pk_mul_f32 v[82:83], v[42:43], v[40:41] op_sel:[0,1]
	s_delay_alu instid0(VALU_DEP_1) | instskip(SKIP_1) | instid1(VALU_DEP_2)
	v_pk_fma_f32 v[84:85], v[42:43], v[40:41], v[82:83] op_sel:[1,0,0] op_sel_hi:[0,0,1] neg_lo:[0,0,1] neg_hi:[0,0,1]
	v_pk_fma_f32 v[40:41], v[42:43], v[40:41], v[82:83] op_sel:[1,0,0] op_sel_hi:[0,1,1]
	v_mov_b32_e32 v41, v85
	s_delay_alu instid0(VALU_DEP_1)
	v_pk_add_f32 v[38:39], v[38:39], v[40:41]
	s_or_b32 exec_lo, exec_lo, s9
	s_and_saveexec_b32 s9, s17
	s_cbranch_execz .LBB166_954
.LBB166_1097:                           ;   in Loop: Header=BB166_3 Depth=1
	ds_load_b64 v[40:41], v52 offset:30176
	ds_load_b64 v[42:43], v50 offset:29136
	s_wait_dscnt 0x0
	v_pk_mul_f32 v[82:83], v[42:43], v[40:41] op_sel:[0,1]
	s_delay_alu instid0(VALU_DEP_1) | instskip(SKIP_1) | instid1(VALU_DEP_2)
	v_pk_fma_f32 v[84:85], v[42:43], v[40:41], v[82:83] op_sel:[1,0,0] op_sel_hi:[0,0,1] neg_lo:[0,0,1] neg_hi:[0,0,1]
	v_pk_fma_f32 v[40:41], v[42:43], v[40:41], v[82:83] op_sel:[1,0,0] op_sel_hi:[0,1,1]
	v_mov_b32_e32 v41, v85
	s_delay_alu instid0(VALU_DEP_1)
	v_pk_add_f32 v[38:39], v[38:39], v[40:41]
	s_or_b32 exec_lo, exec_lo, s9
	s_and_saveexec_b32 s9, s3
	s_cbranch_execnz .LBB166_955
	s_branch .LBB166_956
.LBB166_1098:
	s_endpgm
	.section	.rodata,"a",@progbits
	.p2align	6, 0x0
	.amdhsa_kernel _ZL19rocblas_trsv_deviceILi64ELi16ELb1ELb0ELb0ELb0E19rocblas_complex_numIfES1_PKPKS1_PKPS1_EviT7_lllT6_T8_lllPii
		.amdhsa_group_segment_fixed_size 41480
		.amdhsa_private_segment_fixed_size 48
		.amdhsa_kernarg_size 352
		.amdhsa_user_sgpr_count 2
		.amdhsa_user_sgpr_dispatch_ptr 0
		.amdhsa_user_sgpr_queue_ptr 0
		.amdhsa_user_sgpr_kernarg_segment_ptr 1
		.amdhsa_user_sgpr_dispatch_id 0
		.amdhsa_user_sgpr_kernarg_preload_length 0
		.amdhsa_user_sgpr_kernarg_preload_offset 0
		.amdhsa_user_sgpr_private_segment_size 0
		.amdhsa_wavefront_size32 1
		.amdhsa_uses_dynamic_stack 0
		.amdhsa_enable_private_segment 1
		.amdhsa_system_sgpr_workgroup_id_x 1
		.amdhsa_system_sgpr_workgroup_id_y 0
		.amdhsa_system_sgpr_workgroup_id_z 1
		.amdhsa_system_sgpr_workgroup_info 0
		.amdhsa_system_vgpr_workitem_id 1
		.amdhsa_next_free_vgpr 93
		.amdhsa_next_free_sgpr 105
		.amdhsa_named_barrier_count 0
		.amdhsa_reserve_vcc 1
		.amdhsa_float_round_mode_32 0
		.amdhsa_float_round_mode_16_64 0
		.amdhsa_float_denorm_mode_32 3
		.amdhsa_float_denorm_mode_16_64 3
		.amdhsa_fp16_overflow 0
		.amdhsa_memory_ordered 1
		.amdhsa_forward_progress 1
		.amdhsa_inst_pref_size 255
		.amdhsa_round_robin_scheduling 0
		.amdhsa_exception_fp_ieee_invalid_op 0
		.amdhsa_exception_fp_denorm_src 0
		.amdhsa_exception_fp_ieee_div_zero 0
		.amdhsa_exception_fp_ieee_overflow 0
		.amdhsa_exception_fp_ieee_underflow 0
		.amdhsa_exception_fp_ieee_inexact 0
		.amdhsa_exception_int_div_zero 0
	.end_amdhsa_kernel
	.section	.text._ZL19rocblas_trsv_deviceILi64ELi16ELb1ELb0ELb0ELb0E19rocblas_complex_numIfES1_PKPKS1_PKPS1_EviT7_lllT6_T8_lllPii,"axG",@progbits,_ZL19rocblas_trsv_deviceILi64ELi16ELb1ELb0ELb0ELb0E19rocblas_complex_numIfES1_PKPKS1_PKPS1_EviT7_lllT6_T8_lllPii,comdat
.Lfunc_end166:
	.size	_ZL19rocblas_trsv_deviceILi64ELi16ELb1ELb0ELb0ELb0E19rocblas_complex_numIfES1_PKPKS1_PKPS1_EviT7_lllT6_T8_lllPii, .Lfunc_end166-_ZL19rocblas_trsv_deviceILi64ELi16ELb1ELb0ELb0ELb0E19rocblas_complex_numIfES1_PKPKS1_PKPS1_EviT7_lllT6_T8_lllPii
                                        ; -- End function
	.set _ZL19rocblas_trsv_deviceILi64ELi16ELb1ELb0ELb0ELb0E19rocblas_complex_numIfES1_PKPKS1_PKPS1_EviT7_lllT6_T8_lllPii.num_vgpr, 93
	.set _ZL19rocblas_trsv_deviceILi64ELi16ELb1ELb0ELb0ELb0E19rocblas_complex_numIfES1_PKPKS1_PKPS1_EviT7_lllT6_T8_lllPii.num_agpr, 0
	.set _ZL19rocblas_trsv_deviceILi64ELi16ELb1ELb0ELb0ELb0E19rocblas_complex_numIfES1_PKPKS1_PKPS1_EviT7_lllT6_T8_lllPii.numbered_sgpr, 105
	.set _ZL19rocblas_trsv_deviceILi64ELi16ELb1ELb0ELb0ELb0E19rocblas_complex_numIfES1_PKPKS1_PKPS1_EviT7_lllT6_T8_lllPii.num_named_barrier, 0
	.set _ZL19rocblas_trsv_deviceILi64ELi16ELb1ELb0ELb0ELb0E19rocblas_complex_numIfES1_PKPKS1_PKPS1_EviT7_lllT6_T8_lllPii.private_seg_size, 48
	.set _ZL19rocblas_trsv_deviceILi64ELi16ELb1ELb0ELb0ELb0E19rocblas_complex_numIfES1_PKPKS1_PKPS1_EviT7_lllT6_T8_lllPii.uses_vcc, 1
	.set _ZL19rocblas_trsv_deviceILi64ELi16ELb1ELb0ELb0ELb0E19rocblas_complex_numIfES1_PKPKS1_PKPS1_EviT7_lllT6_T8_lllPii.uses_flat_scratch, 0
	.set _ZL19rocblas_trsv_deviceILi64ELi16ELb1ELb0ELb0ELb0E19rocblas_complex_numIfES1_PKPKS1_PKPS1_EviT7_lllT6_T8_lllPii.has_dyn_sized_stack, 0
	.set _ZL19rocblas_trsv_deviceILi64ELi16ELb1ELb0ELb0ELb0E19rocblas_complex_numIfES1_PKPKS1_PKPS1_EviT7_lllT6_T8_lllPii.has_recursion, 0
	.set _ZL19rocblas_trsv_deviceILi64ELi16ELb1ELb0ELb0ELb0E19rocblas_complex_numIfES1_PKPKS1_PKPS1_EviT7_lllT6_T8_lllPii.has_indirect_call, 0
	.section	.AMDGPU.csdata,"",@progbits
; Kernel info:
; codeLenInByte = 49380
; TotalNumSgprs: 107
; NumVgprs: 93
; ScratchSize: 48
; MemoryBound: 0
; FloatMode: 240
; IeeeMode: 1
; LDSByteSize: 41480 bytes/workgroup (compile time only)
; SGPRBlocks: 0
; VGPRBlocks: 5
; NumSGPRsForWavesPerEU: 107
; NumVGPRsForWavesPerEU: 93
; NamedBarCnt: 0
; Occupancy: 10
; WaveLimiterHint : 1
; COMPUTE_PGM_RSRC2:SCRATCH_EN: 1
; COMPUTE_PGM_RSRC2:USER_SGPR: 2
; COMPUTE_PGM_RSRC2:TRAP_HANDLER: 0
; COMPUTE_PGM_RSRC2:TGID_X_EN: 1
; COMPUTE_PGM_RSRC2:TGID_Y_EN: 0
; COMPUTE_PGM_RSRC2:TGID_Z_EN: 1
; COMPUTE_PGM_RSRC2:TIDIG_COMP_CNT: 1
	.section	.text._ZL19rocblas_trsv_deviceILi64ELi16ELb1ELb1ELb0ELb0E19rocblas_complex_numIfES1_PKPKS1_PKPS1_EviT7_lllT6_T8_lllPii,"axG",@progbits,_ZL19rocblas_trsv_deviceILi64ELi16ELb1ELb1ELb0ELb0E19rocblas_complex_numIfES1_PKPKS1_PKPS1_EviT7_lllT6_T8_lllPii,comdat
	.globl	_ZL19rocblas_trsv_deviceILi64ELi16ELb1ELb1ELb0ELb0E19rocblas_complex_numIfES1_PKPKS1_PKPS1_EviT7_lllT6_T8_lllPii ; -- Begin function _ZL19rocblas_trsv_deviceILi64ELi16ELb1ELb1ELb0ELb0E19rocblas_complex_numIfES1_PKPKS1_PKPS1_EviT7_lllT6_T8_lllPii
	.p2align	8
	.type	_ZL19rocblas_trsv_deviceILi64ELi16ELb1ELb1ELb0ELb0E19rocblas_complex_numIfES1_PKPKS1_PKPS1_EviT7_lllT6_T8_lllPii,@function
_ZL19rocblas_trsv_deviceILi64ELi16ELb1ELb1ELb0ELb0E19rocblas_complex_numIfES1_PKPKS1_PKPS1_EviT7_lllT6_T8_lllPii: ; @_ZL19rocblas_trsv_deviceILi64ELi16ELb1ELb1ELb0ELb0E19rocblas_complex_numIfES1_PKPKS1_PKPS1_EviT7_lllT6_T8_lllPii
; %bb.0:
	s_load_b32 s67, s[0:1], 0x58
	s_bfe_u32 s2, ttmp6, 0x40014
	s_lshr_b32 s3, ttmp7, 16
	s_add_co_i32 s2, s2, 1
	s_bfe_u32 s5, ttmp6, 0x40008
	s_mul_i32 s4, s3, s2
	s_getreg_b32 s2, hwreg(HW_REG_IB_STS2, 6, 4)
	s_add_co_i32 s5, s5, s4
	s_cmp_eq_u32 s2, 0
	s_mov_b32 s77, 0
	s_cselect_b32 s76, s3, s5
	s_wait_kmcnt 0x0
	s_cmp_ge_u32 s76, s67
	s_cbranch_scc1 .LBB167_1160
; %bb.1:
	s_clause 0x2
	s_load_b32 s3, s[0:1], 0x6c
	s_load_b32 s91, s[0:1], 0x60
	;; [unrolled: 1-line block ×3, first 2 shown]
	s_bfe_u32 s5, ttmp6, 0x4000c
	s_and_b32 s4, ttmp6, 15
	s_add_co_i32 s5, s5, 1
	s_clause 0x2
	s_load_b64 s[16:17], s[0:1], 0x18
	s_load_b64 s[22:23], s[0:1], 0x28
	;; [unrolled: 1-line block ×3, first 2 shown]
	s_mul_i32 s5, ttmp9, s5
	v_and_b32_e32 v2, 0x3ff, v0
	s_add_co_i32 s4, s4, s5
	s_cmp_eq_u32 s2, 0
	v_mov_b32_e32 v5, 0
	s_cselect_b32 s90, ttmp9, s4
	v_bfe_u32 v42, v0, 10, 10
	v_lshlrev_b32_e32 v20, 6, v2
                                        ; implicit-def: $vgpr106 : SGPR spill to VGPR lane
	v_cmp_gt_u32_e64 s6, 2, v2
	v_mov_b32_e32 v3, v5
	s_load_b64 s[84:85], s[0:1], 0x50
	v_lshl_add_u32 v30, v42, 6, v2
	v_add_nc_u32_e32 v26, 16, v42
	s_wait_kmcnt 0x0
	s_and_b32 s2, s3, 0xffff
	s_add_co_i32 s91, s91, -1
	s_add_co_i32 s3, s78, -1
	s_ashr_i32 s79, s78, 31
	s_ashr_i32 s4, s3, 31
	s_lshr_b32 s5, s79, 26
	s_lshr_b32 s4, s4, 26
	s_add_co_i32 s5, s78, s5
	s_add_co_i32 s3, s3, s4
	s_and_not1_b32 s5, s5, 63
	s_sub_co_i32 s55, s91, s90
	s_ashr_i32 s3, s3, 6
	s_sub_co_i32 s15, s78, s5
	s_cmp_eq_u32 s3, s55
	v_lshl_add_u32 v10, v26, 6, v2
	s_cselect_b32 s3, -1, 0
	s_cmp_lg_u32 s15, 0
	v_dual_add_nc_u32 v27, 32, v42 :: v_dual_add_nc_u32 v32, 48, v42
	s_cselect_b32 s4, -1, 0
	v_cmp_le_i32_e64 s14, s15, v2
	s_and_b32 s20, s4, s3
	s_add_nc_u64 s[4:5], s[16:17], 1
	s_xor_b32 s92, s20, -1
	s_cmp_lg_u32 s90, 0
	v_add_nc_u32_e32 v1, v42, v20
	s_cselect_b32 s3, -1, 0
	s_lshl_b32 s18, s55, 6
	s_cmp_lt_i32 s90, 5
	v_add_nc_u32_e32 v21, s18, v42
	v_mad_nc_u64_u32 v[18:19], s4, s18, v[2:3]
	s_cselect_b32 vcc_lo, -1, 0
	v_add_nc_u32_e32 v3, v26, v20
	v_dual_cndmask_b32 v22, v30, v1, vcc_lo :: v_dual_bitop2_b32 v1, 1, v0 bitop3:0x40
	s_ashr_i32 s19, s18, 31
	v_writelane_b32 v106, s3, 0
	s_or_b32 vcc_lo, vcc_lo, s20
	s_mul_i32 s3, s4, s19
	s_mul_i32 s4, s5, s18
	v_cmp_eq_u32_e64 s5, 1, v1
	v_dual_cndmask_b32 v23, v10, v3, vcc_lo :: v_dual_lshrrev_b32 v3, 10, v0
	v_add3_u32 v19, s3, s4, v19
	v_dual_lshrrev_b32 v10, 1, v30 :: v_dual_lshlrev_b32 v11, 3, v1
	v_lshlrev_b32_e32 v45, 3, v2
	v_cmp_gt_u32_e64 s3, 4, v30
	s_xor_b32 s4, s5, -1
	v_bitop3_b32 v31, v0, v3, 0x3ff bitop3:0xa8
	v_lshl_add_u32 v3, v10, 3, 0x8000
	v_lshl_or_b32 v43, v10, 9, v11
	v_mul_u32_u24_e32 v44, 0x208, v10
	v_dual_lshrrev_b32 v1, 2, v30 :: v_dual_bitop2_b32 v10, 3, v0 bitop3:0x40
	s_and_b32 s95, s4, s3
	v_cmp_eq_u32_e64 s4, 0, v42
	s_and_b32 s96, s5, s3
	v_dual_lshlrev_b32 v11, 3, v1 :: v_dual_lshlrev_b32 v47, 3, v10
	v_mul_u32_u24_e32 v46, 0x208, v1
	s_and_b32 s97, s4, s6
	v_cmp_gt_u32_e64 s5, 16, v30
	v_cmp_eq_u32_e64 s6, 0, v10
	v_cmp_ne_u32_e64 s7, 0, v10
	v_sub_nc_u32_e32 v12, v46, v11
	v_lshl_or_b32 v50, v1, 9, v47
	v_cmp_eq_u32_e64 s9, 1, v10
	s_and_b32 s98, s6, s5
	v_cmp_lt_u32_e64 s6, 1, v10
	v_cmp_eq_u32_e64 s10, 2, v10
	s_and_b32 s99, s7, s5
	v_cmp_eq_u32_e64 s7, 3, v10
	v_dual_lshrrev_b32 v1, 3, v30 :: v_dual_add_nc_u32 v51, v12, v47
	v_and_b32_e32 v10, 7, v0
	s_and_b32 s101, s6, s5
	v_cmp_gt_u32_e64 s6, 4, v2
	s_and_b32 s100, s9, s5
	s_and_b32 s103, s7, s5
	v_cmp_eq_u32_e64 s7, 0, v10
	v_cmp_ne_u32_e64 s9, 0, v10
	s_and_b32 s104, s4, s6
	v_cmp_gt_u32_e64 s6, 64, v30
	s_and_b32 s102, s10, s5
	v_mul_u32_u24_e32 v54, 0x208, v1
	v_lshlrev_b32_e32 v56, 3, v10
	v_cmp_eq_u32_e64 s10, 2, v10
	s_and_b32 vcc_hi, s7, s6
	s_and_b32 s39, s9, s6
	v_cmp_eq_u32_e64 s7, 1, v10
	v_cmp_lt_u32_e64 s9, 1, v10
	v_cmp_lt_u32_e64 s11, 2, v10
	v_cmp_eq_u32_e64 s12, 3, v10
	v_dual_add_nc_u32 v25, v27, v20 :: v_dual_lshlrev_b32 v72, 3, v22
	s_and_b32 s40, s7, s6
	s_and_b32 s41, s9, s6
	v_cmp_lt_u32_e64 s7, 3, v10
	v_cmp_eq_u32_e64 s9, 4, v10
	v_lshl_add_u32 v28, v27, 6, v2
	v_add_nc_u32_e32 v49, 0x8000, v11
	v_and_b32_e32 v11, -8, v30
	s_and_b32 s42, s10, s6
	s_and_b32 s43, s11, s6
	;; [unrolled: 1-line block ×3, first 2 shown]
	v_cmp_lt_u32_e64 s10, 4, v10
	v_sub_nc_u32_e32 v12, v54, v11
	v_lshl_or_b32 v58, v1, 9, v56
	v_cmp_eq_u32_e64 s11, 5, v10
	v_cmp_lt_u32_e64 s12, 5, v10
	s_and_b32 s45, s7, s6
	s_and_b32 s46, s9, s6
	v_lshrrev_b32_e32 v1, 4, v30
	v_cmp_eq_u32_e64 s7, 6, v10
	v_cmp_eq_u32_e64 s9, 7, v10
	v_and_b32_e32 v10, 15, v0
	s_and_b32 s47, s10, s6
	v_cmp_gt_u32_e64 s10, 8, v2
	s_and_b32 s50, s7, s6
	s_and_b32 s51, s9, s6
	v_cmp_gt_u32_e64 s7, 0x100, v30
	v_cmp_eq_u32_e64 s9, 0, v10
	s_and_b32 s52, s4, s10
	v_cmp_ne_u32_e64 s10, 0, v10
	s_and_b32 s48, s11, s6
	v_cmp_eq_u32_e64 s11, 1, v10
	s_and_b32 s9, s9, s7
	s_and_b32 s49, s12, s6
	v_writelane_b32 v106, s9, 1
	s_and_b32 s10, s10, s7
	v_cmp_lt_u32_e64 s9, 1, v10
	v_cmp_eq_u32_e64 s12, 2, v10
	s_and_b32 s93, s14, s20
	v_writelane_b32 v106, s10, 2
	s_and_b32 s10, s11, s7
	s_and_b32 s9, s9, s7
	v_cmp_lt_u32_e64 s11, 3, v10
	v_dual_add_nc_u32 v16, s18, v2 :: v_dual_add_nc_u32 v6, 64, v21
	v_writelane_b32 v106, s10, 3
	v_cmp_lt_u32_e64 s10, 2, v10
	s_and_b32 s60, s11, s7
	v_cmp_eq_u32_e64 s11, 6, v10
	v_cmp_gt_i32_e64 s8, s15, v2
	v_writelane_b32 v106, s9, 4
	s_and_b32 s9, s12, s7
	s_and_b32 s10, s10, s7
	v_cmp_lt_u32_e64 s12, 4, v10
	s_and_b32 s65, s11, s7
	v_writelane_b32 v106, s9, 5
	v_cmp_eq_u32_e64 s9, 3, v10
	v_cmp_lt_u32_e64 s11, 8, v10
	s_and_b32 s62, s12, s7
	v_cmp_eq_u32_e64 s12, 7, v10
	v_writelane_b32 v106, s10, 6
	s_and_b32 s9, s9, s7
	v_cmp_eq_u32_e64 s10, 4, v10
	s_and_b32 s30, s11, s7
	s_and_b32 s24, s12, s7
	v_writelane_b32 v106, s9, 7
	v_cmp_eq_u32_e64 s9, 5, v10
	s_and_b32 s61, s10, s7
	v_cmp_lt_u32_e64 s10, 5, v10
	v_cmp_lt_u32_e64 s12, 9, v10
	v_cmp_eq_u32_e64 s11, 11, v10
	s_and_b32 s63, s9, s7
	v_cmp_lt_u32_e64 s9, 6, v10
	s_and_b32 s64, s10, s7
	v_cmp_lt_u32_e64 s10, 7, v10
	s_and_b32 s35, s12, s7
	v_cmp_eq_u32_e64 s12, 12, v10
	s_and_b32 s13, s9, s7
	v_cmp_eq_u32_e64 s9, 8, v10
	;; [unrolled: 2-line block ×3, first 2 shown]
	s_and_b32 s80, s11, s7
	s_and_b32 s25, s12, s7
	;; [unrolled: 1-line block ×3, first 2 shown]
	v_cmp_eq_u32_e64 s9, 10, v10
	s_and_b32 s33, s10, s7
	v_cmp_lt_u32_e64 s10, 10, v10
	v_cmp_lt_u32_e64 s11, 13, v10
	v_cmp_eq_u32_e64 s12, 15, v10
	s_and_b32 s86, s9, s7
	v_cmp_lt_u32_e64 s9, 11, v10
	s_and_b32 s87, s10, s7
	v_cmp_lt_u32_e64 s10, 12, v10
	s_xor_b32 s94, vcc_lo, -1
	s_and_b32 s11, s11, s7
	s_and_b32 s81, s9, s7
	v_cmp_eq_u32_e64 s9, 13, v10
	s_and_b32 s27, s10, s7
	v_cmp_eq_u32_e64 s10, 14, v10
	s_and_b32 s12, s12, s7
	s_xor_b32 s20, s23, 0x80000000
	s_and_b32 s29, s9, s7
	v_cmp_gt_u32_e64 s9, 16, v2
	s_and_b32 s31, s10, s7
	s_xor_b32 s10, s93, -1
	s_clause 0x1
	s_load_b128 s[68:71], s[0:1], 0x8
	s_load_b128 s[72:75], s[0:1], 0x30
	s_and_b32 s34, s4, s9
	v_cmp_gt_u32_e64 s9, 32, v2
	s_and_b32 s53, s4, s10
	v_mad_u32_u24 v4, v42, s2, v2
	v_cmp_gt_i32_e64 s2, s78, v16
	v_add_nc_u32_e32 v14, 0x50, v21
	s_and_b32 s9, s4, s9
	s_cmp_gt_i32 s90, 0
	v_writelane_b32 v106, s9, 8
	s_cselect_b32 s54, -1, 0
	s_wait_xcnt 0x0
	v_cmp_gt_i32_e64 s1, s78, v6
	s_and_b32 s8, s4, s8
	v_add_nc_u32_e32 v15, 0x60, v21
	v_writelane_b32 v106, s8, 9
	v_cmp_gt_i32_e64 s9, s78, v14
	s_and_b32 s1, s1, s2
	v_cndmask_b32_e32 v22, v28, v25, vcc_lo
	v_dual_add_nc_u32 v20, v32, v20 :: v_dual_bitop2_b32 v34, v26, v2 bitop3:0x54
	v_writelane_b32 v106, s1, 10
	v_lshl_add_u32 v25, v32, 6, v2
	s_and_b32 s1, s9, s2
	v_mov_b32_e32 v28, 0
	v_cmp_gt_i32_e64 s10, s78, v15
	v_writelane_b32 v106, s1, 11
	v_add_nc_u32_e32 v59, v12, v56
	v_dual_cndmask_b32 v20, v25, v20 :: v_dual_add_nc_u32 v57, 0x8000, v11
	v_cmp_le_i32_e32 vcc_lo, s15, v42
	v_cmp_le_u32_e64 s0, v2, v42
	s_and_b32 s1, s10, s2
	v_dual_lshlrev_b32 v11, 3, v1 :: v_dual_lshlrev_b32 v61, 3, v10
	v_writelane_b32 v106, s1, 12
	v_cmp_le_i32_e64 s1, s15, v26
	s_or_b32 s8, vcc_lo, s14
	v_cmp_le_i32_e32 vcc_lo, s15, v27
	s_or_b32 s8, s8, s0
	v_mul_u32_u24_e32 v60, 0x208, v1
	v_writelane_b32 v106, s8, 13
	s_or_b32 s9, s1, s14
	v_cmp_le_i32_e64 s8, s15, v32
	v_cmp_le_u32_e64 s1, v2, v26
	v_cmp_ne_u32_e64 s15, v2, v26
	v_dual_ashrrev_i32 v17, 31, v16 :: v_dual_ashrrev_i32 v7, 31, v6
	s_or_b32 s10, s8, s14
	s_or_b32 s9, s9, s1
	v_cmp_le_u32_e64 s8, v2, v27
	v_writelane_b32 v106, s9, 14
	s_or_b32 s9, vcc_lo, s14
	v_sub_nc_u32_e32 v12, v60, v11
	v_lshl_or_b32 v63, v1, 9, v61
	s_or_b32 s9, s9, s8
	v_lshrrev_b32_e32 v1, 5, v30
	v_writelane_b32 v106, s9, 15
	v_cmp_le_u32_e64 s9, v2, v32
	v_mul_u64_e32 v[8:9], s[16:17], v[16:17]
	v_add_nc_u32_e32 v62, 0x8000, v11
	v_dual_add_nc_u32 v64, v12, v61 :: v_dual_bitop2_b32 v65, 31, v0 bitop3:0x40
	s_or_b32 s10, s10, s9
	v_dual_lshlrev_b32 v66, 3, v1 :: v_dual_lshlrev_b32 v67, 9, v1
	v_writelane_b32 v106, s10, 16
	v_cmp_ne_u32_e64 s10, v2, v42
	v_mul_u64_e32 v[0:1], s[82:83], v[16:17]
	v_mad_nc_u64_u32 v[10:11], s16, v42, v[18:19]
	v_mad_nc_u64_u32 v[14:15], s16, v26, v[18:19]
	v_add_max_i32_e64 v33, 0x70, v21, v16
	v_writelane_b32 v106, s10, 17
	s_or_b32 s10, s14, s10
	v_mad_nc_u64_u32 v[16:17], s16, v27, v[18:19]
	v_mad_nc_u64_u32 v[18:19], s16, v32, v[18:19]
	v_cmp_ne_u32_e64 s16, v2, v27
	v_writelane_b32 v106, s10, 18
	s_or_b32 s10, s14, s15
	s_mov_b32 s21, s23
	v_mad_u32 v11, s17, v42, v11
	v_mad_u32 v15, s17, v26, v15
	v_writelane_b32 v106, s15, 19
	s_mov_b32 s23, s22
	v_mad_u32_u24 v48, 0x1f8, v2, v45
	v_mad_u32 v17, s17, v27, v17
	v_mad_u32 v19, s17, v32, v19
	v_writelane_b32 v106, s10, 20
	s_or_b32 s10, s14, s16
	v_cmp_ne_u32_e64 s17, v2, v32
	v_mad_i32_i24 v53, 0xfffffe08, v2, v48
                                        ; implicit-def: $vgpr105 : SGPR spill to VGPR lane
	v_mul_i32_i24_e32 v52, 0xfffffe08, v2
	v_writelane_b32 v106, s16, 21
	v_mul_u32_u24_e32 v24, 0x1f8, v2
	v_dual_lshlrev_b32 v75, 3, v23 :: v_dual_lshlrev_b32 v77, 3, v22
	v_mad_u32_u24 v55, 0x1f8, v2, v53
	v_writelane_b32 v106, s10, 22
	s_or_b32 s10, s14, s17
	v_mul_lo_u32 v21, v52, 6
	v_mbcnt_lo_u32_b32 v22, -1, 0
	v_mad_i32_i24 v68, 0xfffffe08, v2, v55
	v_writelane_b32 v106, s17, 23
	v_mul_u32_u24_e32 v23, 0x1f0, v2
	s_delay_alu instid0(VALU_DEP_4) | instskip(NEXT) | instid1(VALU_DEP_4)
	v_dual_lshlrev_b32 v80, 3, v20 :: v_dual_lshlrev_b32 v29, 20, v22
	v_mad_u32_u24 v69, 0x1f8, v2, v68
	v_writelane_b32 v106, s10, 24
	v_cmp_le_i32_e64 s10, s78, v33
	v_or_b32_e32 v36, v27, v2
	v_mad_u32 v21, v24, 7, v21
	v_mad_i32_i24 v70, 0xfffffe08, v2, v69
	v_writelane_b32 v106, s20, 25
	v_lshlrev_b32_e32 v20, 3, v42
	v_or_b32_e32 v37, v32, v2
	v_add_nc_u64_e32 v[12:13], s[18:19], v[4:5]
	v_mad_u32_u24 v71, 0x1f8, v2, v70
	v_writelane_b32 v106, s21, 26
                                        ; implicit-def: $vgpr104 : SGPR spill to VGPR lane
	v_lshlrev_b32_e32 v85, 3, v65
	v_cmp_lt_u32_e32 vcc_lo, 0x3ff, v30
	v_add_nc_u32_e32 v87, 0x8000, v66
	v_mad_i32_i24 v73, 0xfffffe08, v2, v71
	v_writelane_b32 v106, s22, 27
	v_sub_nc_u32_e32 v35, v21, v23
	v_or_b32_e32 v82, 0xa000, v20
	v_mul_u64_e32 v[12:13], s[82:83], v[12:13]
	v_mad_u32_u24 v74, 0x1f8, v2, v73
	v_writelane_b32 v106, s23, 28
	v_add_nc_u32_e32 v84, 0x7c00, v35
	v_lshl_add_u32 v89, v4, 3, 0xa000
	v_lshl_add_u32 v90, v30, 3, 0x8000
	v_mad_i32_i24 v76, 0xfffffe08, v2, v74
	v_writelane_b32 v106, s10, 29
	v_cmp_gt_u32_e64 s10, 0xf0, v30
	v_add_nc_u32_e32 v91, 0x8000, v45
	v_add_nc_u32_e32 v93, v82, v45
	v_mad_u32_u24 v78, 0x1f8, v2, v76
	v_lshl_add_u32 v92, v42, 9, v76
	v_writelane_b32 v106, s10, 30
	v_cmp_gt_u32_e64 s10, 0xe0, v30
	v_subrev_nc_u32_e32 v95, 63, v2
	v_mad_i32_i24 v79, 0xfffffe08, v2, v78
	v_cmp_eq_u32_e64 s15, 0, v31
	v_cmp_gt_u32_e64 s16, 2, v30
	v_writelane_b32 v106, s10, 31
	v_cmp_gt_u32_e64 s10, 0xd0, v30
	v_mad_u32_u24 v81, 0x1f8, v2, v79
	v_cmp_gt_u32_e64 s17, 12, v30
	v_cmp_gt_u32_e64 s18, 8, v30
	;; [unrolled: 1-line block ×3, first 2 shown]
	v_writelane_b32 v105, s10, 0
	v_cmp_gt_u32_e64 s10, 0xc0, v30
	v_add_nc_u32_e32 v83, v81, v20
	v_add_nc_u64_e32 v[20:21], src_flat_scratch_base_lo, v[28:29]
	v_mov_b32_e32 v28, 8
	v_cmp_gt_u32_e64 s20, 48, v30
	v_writelane_b32 v105, s10, 1
	v_cmp_gt_u32_e64 s10, 0xb0, v30
	v_cmp_gt_u32_e64 s21, 40, v30
	v_add_nc_u64_e32 v[22:23], src_flat_scratch_base_lo, v[28:29]
	v_mov_b32_e32 v28, 16
	v_cmp_gt_u32_e64 s22, 32, v30
	v_writelane_b32 v105, s10, 2
	v_cmp_gt_u32_e64 s10, 0xa0, v30
	v_cmp_gt_u32_e64 s23, 24, v30
	v_add_nc_u64_e32 v[24:25], src_flat_scratch_base_lo, v[28:29]
	v_mov_b32_e32 v28, 24
	v_cmp_gt_u32_e64 s36, 0x400, v30
	v_writelane_b32 v105, s10, 3
	v_cmp_gt_u32_e64 s10, 0x90, v30
	v_cmp_eq_u32_e64 s37, 0, v4
	v_add_nc_u64_e32 v[26:27], src_flat_scratch_base_lo, v[28:29]
	v_lshlrev_b32_e32 v28, 9, v65
	v_or_b32_e32 v88, v67, v85
	v_writelane_b32 v105, s10, 4
	v_cmp_gt_u32_e64 s10, 0x80, v30
	v_or_b32_e32 v94, 0x4100, v85
	v_add_nc_u32_e32 v86, v85, v28
	v_mov_b64_e32 v[28:29], 0
	v_cmp_gt_u32_e64 s38, 64, v4
	v_writelane_b32 v105, s10, 5
	v_cmp_gt_u32_e64 s10, 0x70, v30
	s_add_co_i32 s55, s55, 1
	s_xor_b32 s14, vcc_lo, -1
	s_wait_kmcnt 0x0
	s_lshl_b64 s[70:71], s[70:71], 3
	s_lshl_b64 s[74:75], s[74:75], 3
	v_writelane_b32 v105, s10, 6
	v_cmp_gt_u32_e64 s10, 0x60, v30
	s_delay_alu instid0(VALU_DEP_1) | instskip(SKIP_1) | instid1(VALU_DEP_1)
	v_writelane_b32 v105, s10, 7
	v_cmp_gt_u32_e64 s10, 0x50, v30
	v_writelane_b32 v105, s10, 8
	v_cmp_gt_u32_e64 s10, 64, v31
	s_delay_alu instid0(VALU_DEP_1) | instskip(SKIP_1) | instid1(VALU_DEP_1)
	v_writelane_b32 v105, s10, 9
	v_cmp_gt_u32_e64 s10, 64, v34
	;; [unrolled: 5-line block ×14, first 2 shown]
	v_writelane_b32 v104, s10, 2
	v_cmp_gt_u32_e64 s10, 0x120, v30
	s_delay_alu instid0(VALU_DEP_1)
	v_writelane_b32 v104, s10, 3
	s_branch .LBB167_3
.LBB167_2:                              ;   in Loop: Header=BB167_3 Depth=1
	s_wait_xcnt 0x0
	s_or_b32 exec_lo, exec_lo, s10
	s_add_co_i32 s76, s76, 0x10000
	global_wb scope:SCOPE_DEV
	s_wait_storecnt 0x0
	global_inv scope:SCOPE_DEV
	s_cmp_lt_u32 s76, s67
	s_cbranch_scc0 .LBB167_1160
.LBB167_3:                              ; =>This Loop Header: Depth=1
                                        ;     Child Loop BB167_571 Depth 2
                                        ;     Child Loop BB167_1011 Depth 2
                                        ;       Child Loop BB167_1013 Depth 3
                                        ;     Child Loop BB167_1042 Depth 2
	v_mov_b32_e32 v32, s76
	v_readlane_b32 s10, v106, 0
	s_clause 0x1
	global_load_b64 v[30:31], v32, s[68:69] scale_offset
	global_load_b64 v[32:33], v32, s[72:73] scale_offset
	s_and_not1_b32 vcc_lo, exec_lo, s10
	s_wait_loadcnt 0x1
	v_add_nc_u64_e32 v[34:35], s[70:71], v[30:31]
	s_delay_alu instid0(VALU_DEP_1)
	v_lshl_add_u64 v[30:31], v[8:9], 3, v[34:35]
	s_cbranch_vccnz .LBB167_15
; %bb.4:                                ;   in Loop: Header=BB167_3 Depth=1
	s_delay_alu instid0(VALU_DEP_1)
	v_lshl_add_u64 v[36:37], v[6:7], 3, v[30:31]
	v_dual_mov_b32 v38, 0 :: v_dual_mov_b32 v40, 0
	v_mov_b32_e32 v41, 0
	s_wait_loadcnt 0x0
	s_barrier_signal -1
	s_barrier_wait -1
	s_wait_xcnt 0x0
	s_mov_b32 s10, exec_lo
	v_readlane_b32 s56, v106, 10
	s_and_b32 s56, s10, s56
	s_delay_alu instid0(SALU_CYCLE_1)
	s_mov_b32 exec_lo, s56
	s_cbranch_execz .LBB167_6
; %bb.5:                                ;   in Loop: Header=BB167_3 Depth=1
	flat_load_b64 v[40:41], v[36:37]
.LBB167_6:                              ;   in Loop: Header=BB167_3 Depth=1
	s_wait_xcnt 0x0
	s_or_b32 exec_lo, exec_lo, s10
	v_mov_b32_e32 v39, 0
	s_wait_loadcnt_dscnt 0x0
	scratch_store_b64 off, v[40:41], off
	s_wait_storecnt 0x0
	s_barrier_signal -1
	s_barrier_wait -1
	s_wait_xcnt 0x0
	s_mov_b32 s10, exec_lo
	v_readlane_b32 s56, v106, 11
	s_and_b32 s56, s10, s56
	s_delay_alu instid0(SALU_CYCLE_1)
	s_mov_b32 exec_lo, s56
	s_cbranch_execz .LBB167_8
; %bb.7:                                ;   in Loop: Header=BB167_3 Depth=1
	flat_load_b64 v[38:39], v[36:37] offset:128
.LBB167_8:                              ;   in Loop: Header=BB167_3 Depth=1
	s_wait_xcnt 0x0
	s_or_b32 exec_lo, exec_lo, s10
	s_wait_loadcnt_dscnt 0x0
	scratch_store_b64 off, v[38:39], off offset:8
	s_wait_xcnt 0x0
	v_dual_mov_b32 v38, 0 :: v_dual_mov_b32 v39, 0
	s_wait_storecnt 0x0
	s_barrier_signal -1
	s_barrier_wait -1
	s_mov_b32 s10, exec_lo
	v_readlane_b32 s56, v106, 12
	s_and_b32 s56, s10, s56
	s_delay_alu instid0(SALU_CYCLE_1)
	s_mov_b32 exec_lo, s56
	s_cbranch_execz .LBB167_10
; %bb.9:                                ;   in Loop: Header=BB167_3 Depth=1
	flat_load_b64 v[38:39], v[36:37] offset:256
.LBB167_10:                             ;   in Loop: Header=BB167_3 Depth=1
	s_wait_xcnt 0x0
	s_or_b32 exec_lo, exec_lo, s10
	s_wait_loadcnt_dscnt 0x0
	scratch_store_b64 off, v[38:39], off offset:16
	s_wait_storecnt 0x0
	s_barrier_signal -1
	s_barrier_wait -1
	s_wait_xcnt 0x0
	s_mov_b32 s10, exec_lo
	v_readlane_b32 s56, v106, 29
	s_and_b32 s56, s10, s56
	s_delay_alu instid0(SALU_CYCLE_1)
	s_xor_b32 s10, s56, s10
	s_mov_b32 exec_lo, s56
	s_cbranch_execz .LBB167_12
; %bb.11:                               ;   in Loop: Header=BB167_3 Depth=1
	scratch_store_b64 off, v[28:29], off offset:24
                                        ; implicit-def: $vgpr36_vgpr37
.LBB167_12:                             ;   in Loop: Header=BB167_3 Depth=1
	s_wait_xcnt 0x0
	s_and_not1_saveexec_b32 s10, s10
	s_cbranch_execz .LBB167_14
; %bb.13:                               ;   in Loop: Header=BB167_3 Depth=1
	flat_load_b64 v[36:37], v[36:37] offset:384
	s_wait_loadcnt_dscnt 0x0
	scratch_store_b64 off, v[36:37], off offset:24
.LBB167_14:                             ;   in Loop: Header=BB167_3 Depth=1
	s_wait_xcnt 0x0
	s_or_b32 exec_lo, exec_lo, s10
.LBB167_15:                             ;   in Loop: Header=BB167_3 Depth=1
	s_delay_alu instid0(SALU_CYCLE_1)
	s_and_not1_b32 vcc_lo, exec_lo, s92
	s_mov_b32 s10, -1
	s_cbranch_vccnz .LBB167_26
; %bb.16:                               ;   in Loop: Header=BB167_3 Depth=1
	s_wait_xcnt 0x0
	s_and_saveexec_b32 s10, s0
	s_delay_alu instid0(SALU_CYCLE_1)
	s_xor_b32 s10, exec_lo, s10
	s_cbranch_execnz .LBB167_1056
; %bb.17:                               ;   in Loop: Header=BB167_3 Depth=1
	s_and_not1_saveexec_b32 s10, s10
	s_cbranch_execnz .LBB167_1067
.LBB167_18:                             ;   in Loop: Header=BB167_3 Depth=1
	s_or_b32 exec_lo, exec_lo, s10
	s_and_saveexec_b32 s10, s1
	s_delay_alu instid0(SALU_CYCLE_1)
	s_xor_b32 s10, exec_lo, s10
	s_cbranch_execnz .LBB167_1068
.LBB167_19:                             ;   in Loop: Header=BB167_3 Depth=1
	s_and_not1_saveexec_b32 s10, s10
	s_cbranch_execnz .LBB167_1079
.LBB167_20:                             ;   in Loop: Header=BB167_3 Depth=1
	s_or_b32 exec_lo, exec_lo, s10
	s_and_saveexec_b32 s10, s8
	s_delay_alu instid0(SALU_CYCLE_1)
	s_xor_b32 s10, exec_lo, s10
	s_cbranch_execnz .LBB167_1080
.LBB167_21:                             ;   in Loop: Header=BB167_3 Depth=1
	s_and_not1_saveexec_b32 s10, s10
	s_cbranch_execnz .LBB167_1091
.LBB167_22:                             ;   in Loop: Header=BB167_3 Depth=1
	s_or_b32 exec_lo, exec_lo, s10
	s_and_saveexec_b32 s10, s9
	s_delay_alu instid0(SALU_CYCLE_1)
	s_xor_b32 s10, exec_lo, s10
	s_cbranch_execnz .LBB167_1092
.LBB167_23:                             ;   in Loop: Header=BB167_3 Depth=1
	s_and_not1_saveexec_b32 s10, s10
	s_cbranch_execz .LBB167_25
.LBB167_24:                             ;   in Loop: Header=BB167_3 Depth=1
	v_lshl_add_u64 v[36:37], v[18:19], 3, v[34:35]
	flat_load_b64 v[36:37], v[36:37]
	s_wait_loadcnt_dscnt 0x0
	v_pk_add_f32 v[36:37], v[36:37], 0 neg_lo:[1,1] neg_hi:[1,1]
	ds_store_b64 v80, v[36:37]
.LBB167_25:                             ;   in Loop: Header=BB167_3 Depth=1
	s_or_b32 exec_lo, exec_lo, s10
	s_mov_b32 s10, 0
.LBB167_26:                             ;   in Loop: Header=BB167_3 Depth=1
	s_delay_alu instid0(SALU_CYCLE_1)
	s_and_b32 vcc_lo, exec_lo, s10
	s_cbranch_vccz .LBB167_84
; %bb.27:                               ;   in Loop: Header=BB167_3 Depth=1
	s_wait_xcnt 0x0
	s_mov_b32 s10, exec_lo
	v_readlane_b32 s56, v106, 13
	s_and_b32 s56, s10, s56
	s_delay_alu instid0(SALU_CYCLE_1)
	s_xor_b32 s10, s56, s10
	s_mov_b32 exec_lo, s56
	s_cbranch_execz .LBB167_39
; %bb.28:                               ;   in Loop: Header=BB167_3 Depth=1
	s_mov_b32 s56, exec_lo
	v_readlane_b32 s57, v106, 18
	s_and_b32 s57, s56, s57
	s_delay_alu instid0(SALU_CYCLE_1)
	s_xor_b32 s56, s57, s56
	s_mov_b32 exec_lo, s57
	s_cbranch_execz .LBB167_32
; %bb.29:                               ;   in Loop: Header=BB167_3 Depth=1
	v_readlane_b32 s58, v105, 9
	s_and_saveexec_b32 s57, s58
; %bb.30:                               ;   in Loop: Header=BB167_3 Depth=1
	ds_store_b64 v83, v[28:29]
; %bb.31:                               ;   in Loop: Header=BB167_3 Depth=1
	s_or_b32 exec_lo, exec_lo, s57
.LBB167_32:                             ;   in Loop: Header=BB167_3 Depth=1
	s_and_not1_saveexec_b32 s66, s56
	s_cbranch_execz .LBB167_38
; %bb.33:                               ;   in Loop: Header=BB167_3 Depth=1
	v_lshl_add_u64 v[36:37], v[10:11], 3, v[34:35]
                                        ; implicit-def: $vgpr38_vgpr39
	flat_load_b64 v[36:37], v[36:37]
	s_wait_loadcnt_dscnt 0x0
	v_cmp_ngt_f32_e64 s56, |v36|, |v37|
	s_wait_xcnt 0x0
	s_and_saveexec_b32 s57, s56
	s_delay_alu instid0(SALU_CYCLE_1)
	s_xor_b32 s56, exec_lo, s57
	s_cbranch_execz .LBB167_35
; %bb.34:                               ;   in Loop: Header=BB167_3 Depth=1
	v_div_scale_f32 v38, null, v37, v37, v36
	v_div_scale_f32 v41, vcc_lo, v36, v37, v36
	s_delay_alu instid0(VALU_DEP_2) | instskip(SKIP_1) | instid1(TRANS32_DEP_1)
	v_rcp_f32_e32 v39, v38
	v_nop
	v_fma_f32 v40, -v38, v39, 1.0
	s_delay_alu instid0(VALU_DEP_1) | instskip(NEXT) | instid1(VALU_DEP_1)
	v_fmac_f32_e32 v39, v40, v39
	v_mul_f32_e32 v40, v41, v39
	s_delay_alu instid0(VALU_DEP_1) | instskip(NEXT) | instid1(VALU_DEP_1)
	v_fma_f32 v96, -v38, v40, v41
	v_fmac_f32_e32 v40, v96, v39
	s_delay_alu instid0(VALU_DEP_1) | instskip(NEXT) | instid1(VALU_DEP_1)
	v_fma_f32 v38, -v38, v40, v41
	v_div_fmas_f32 v38, v38, v39, v40
	s_delay_alu instid0(VALU_DEP_1) | instskip(NEXT) | instid1(VALU_DEP_1)
	v_div_fixup_f32 v38, v38, v37, v36
	v_fmac_f32_e32 v37, v36, v38
	s_delay_alu instid0(VALU_DEP_1) | instskip(SKIP_1) | instid1(VALU_DEP_2)
	v_div_scale_f32 v36, null, v37, v37, 1.0
	v_div_scale_f32 v41, vcc_lo, 1.0, v37, 1.0
	v_rcp_f32_e32 v39, v36
	v_nop
	s_delay_alu instid0(TRANS32_DEP_1) | instskip(NEXT) | instid1(VALU_DEP_1)
	v_fma_f32 v40, -v36, v39, 1.0
	v_fmac_f32_e32 v39, v40, v39
	s_delay_alu instid0(VALU_DEP_1) | instskip(NEXT) | instid1(VALU_DEP_1)
	v_mul_f32_e32 v40, v41, v39
	v_fma_f32 v96, -v36, v40, v41
	s_delay_alu instid0(VALU_DEP_1) | instskip(NEXT) | instid1(VALU_DEP_1)
	v_fmac_f32_e32 v40, v96, v39
	v_fma_f32 v36, -v36, v40, v41
	s_delay_alu instid0(VALU_DEP_1) | instskip(NEXT) | instid1(VALU_DEP_1)
	v_div_fmas_f32 v36, v36, v39, v40
	v_div_fixup_f32 v36, v36, v37, 1.0
	s_delay_alu instid0(VALU_DEP_1)
	v_mul_f32_e32 v38, v38, v36
	v_xor_b32_e32 v39, 0x80000000, v36
                                        ; implicit-def: $vgpr36_vgpr37
.LBB167_35:                             ;   in Loop: Header=BB167_3 Depth=1
	s_and_not1_saveexec_b32 s56, s56
	s_cbranch_execz .LBB167_37
; %bb.36:                               ;   in Loop: Header=BB167_3 Depth=1
	v_div_scale_f32 v38, null, v36, v36, v37
	v_div_scale_f32 v41, vcc_lo, v37, v36, v37
	s_delay_alu instid0(VALU_DEP_2) | instskip(SKIP_1) | instid1(TRANS32_DEP_1)
	v_rcp_f32_e32 v39, v38
	v_nop
	v_fma_f32 v40, -v38, v39, 1.0
	s_delay_alu instid0(VALU_DEP_1) | instskip(NEXT) | instid1(VALU_DEP_1)
	v_fmac_f32_e32 v39, v40, v39
	v_mul_f32_e32 v40, v41, v39
	s_delay_alu instid0(VALU_DEP_1) | instskip(NEXT) | instid1(VALU_DEP_1)
	v_fma_f32 v96, -v38, v40, v41
	v_fmac_f32_e32 v40, v96, v39
	s_delay_alu instid0(VALU_DEP_1) | instskip(NEXT) | instid1(VALU_DEP_1)
	v_fma_f32 v38, -v38, v40, v41
	v_div_fmas_f32 v38, v38, v39, v40
	s_delay_alu instid0(VALU_DEP_1) | instskip(NEXT) | instid1(VALU_DEP_1)
	v_div_fixup_f32 v39, v38, v36, v37
	v_fmac_f32_e32 v36, v37, v39
	s_delay_alu instid0(VALU_DEP_1) | instskip(NEXT) | instid1(VALU_DEP_1)
	v_div_scale_f32 v37, null, v36, v36, 1.0
	v_rcp_f32_e32 v38, v37
	v_nop
	s_delay_alu instid0(TRANS32_DEP_1) | instskip(NEXT) | instid1(VALU_DEP_1)
	v_fma_f32 v40, -v37, v38, 1.0
	v_fmac_f32_e32 v38, v40, v38
	v_div_scale_f32 v40, vcc_lo, 1.0, v36, 1.0
	s_delay_alu instid0(VALU_DEP_1) | instskip(NEXT) | instid1(VALU_DEP_1)
	v_mul_f32_e32 v41, v40, v38
	v_fma_f32 v96, -v37, v41, v40
	s_delay_alu instid0(VALU_DEP_1) | instskip(NEXT) | instid1(VALU_DEP_1)
	v_fmac_f32_e32 v41, v96, v38
	v_fma_f32 v37, -v37, v41, v40
	s_delay_alu instid0(VALU_DEP_1) | instskip(NEXT) | instid1(VALU_DEP_1)
	v_div_fmas_f32 v37, v37, v38, v41
	v_div_fixup_f32 v38, v37, v36, 1.0
	s_delay_alu instid0(VALU_DEP_1)
	v_mul_f32_e64 v39, v39, -v38
.LBB167_37:                             ;   in Loop: Header=BB167_3 Depth=1
	s_or_b32 exec_lo, exec_lo, s56
	ds_store_b64 v83, v[38:39]
.LBB167_38:                             ;   in Loop: Header=BB167_3 Depth=1
	s_or_b32 exec_lo, exec_lo, s66
.LBB167_39:                             ;   in Loop: Header=BB167_3 Depth=1
	s_and_not1_saveexec_b32 s10, s10
	s_cbranch_execz .LBB167_41
; %bb.40:                               ;   in Loop: Header=BB167_3 Depth=1
	v_lshl_add_u64 v[36:37], v[10:11], 3, v[34:35]
	flat_load_b64 v[36:37], v[36:37]
	s_wait_loadcnt_dscnt 0x0
	v_pk_add_f32 v[36:37], v[36:37], 0 neg_lo:[1,1] neg_hi:[1,1]
	ds_store_b64 v83, v[36:37]
.LBB167_41:                             ;   in Loop: Header=BB167_3 Depth=1
	s_or_b32 exec_lo, exec_lo, s10
	s_delay_alu instid0(SALU_CYCLE_1) | instskip(SKIP_2) | instid1(SALU_CYCLE_1)
	s_mov_b32 s10, exec_lo
	v_readlane_b32 s56, v106, 14
	s_and_b32 s56, s10, s56
	s_xor_b32 s10, s56, s10
	s_mov_b32 exec_lo, s56
	s_cbranch_execz .LBB167_53
; %bb.42:                               ;   in Loop: Header=BB167_3 Depth=1
	s_mov_b32 s56, exec_lo
	v_readlane_b32 s57, v106, 20
	s_and_b32 s57, s56, s57
	s_delay_alu instid0(SALU_CYCLE_1)
	s_xor_b32 s56, s57, s56
	s_mov_b32 exec_lo, s57
	s_cbranch_execz .LBB167_46
; %bb.43:                               ;   in Loop: Header=BB167_3 Depth=1
	v_readlane_b32 s58, v105, 10
	s_and_saveexec_b32 s57, s58
; %bb.44:                               ;   in Loop: Header=BB167_3 Depth=1
	ds_store_b64 v75, v[28:29]
; %bb.45:                               ;   in Loop: Header=BB167_3 Depth=1
	s_or_b32 exec_lo, exec_lo, s57
.LBB167_46:                             ;   in Loop: Header=BB167_3 Depth=1
	s_and_not1_saveexec_b32 s66, s56
	s_cbranch_execz .LBB167_52
; %bb.47:                               ;   in Loop: Header=BB167_3 Depth=1
	v_lshl_add_u64 v[36:37], v[14:15], 3, v[34:35]
                                        ; implicit-def: $vgpr38_vgpr39
	flat_load_b64 v[36:37], v[36:37]
	s_wait_loadcnt_dscnt 0x0
	v_cmp_ngt_f32_e64 s56, |v36|, |v37|
	s_wait_xcnt 0x0
	s_and_saveexec_b32 s57, s56
	s_delay_alu instid0(SALU_CYCLE_1)
	s_xor_b32 s56, exec_lo, s57
	s_cbranch_execz .LBB167_49
; %bb.48:                               ;   in Loop: Header=BB167_3 Depth=1
	v_div_scale_f32 v38, null, v37, v37, v36
	v_div_scale_f32 v41, vcc_lo, v36, v37, v36
	s_delay_alu instid0(VALU_DEP_2) | instskip(SKIP_1) | instid1(TRANS32_DEP_1)
	v_rcp_f32_e32 v39, v38
	v_nop
	v_fma_f32 v40, -v38, v39, 1.0
	s_delay_alu instid0(VALU_DEP_1) | instskip(NEXT) | instid1(VALU_DEP_1)
	v_fmac_f32_e32 v39, v40, v39
	v_mul_f32_e32 v40, v41, v39
	s_delay_alu instid0(VALU_DEP_1) | instskip(NEXT) | instid1(VALU_DEP_1)
	v_fma_f32 v96, -v38, v40, v41
	v_fmac_f32_e32 v40, v96, v39
	s_delay_alu instid0(VALU_DEP_1) | instskip(NEXT) | instid1(VALU_DEP_1)
	v_fma_f32 v38, -v38, v40, v41
	v_div_fmas_f32 v38, v38, v39, v40
	s_delay_alu instid0(VALU_DEP_1) | instskip(NEXT) | instid1(VALU_DEP_1)
	v_div_fixup_f32 v38, v38, v37, v36
	v_fmac_f32_e32 v37, v36, v38
	s_delay_alu instid0(VALU_DEP_1) | instskip(SKIP_1) | instid1(VALU_DEP_2)
	v_div_scale_f32 v36, null, v37, v37, 1.0
	v_div_scale_f32 v41, vcc_lo, 1.0, v37, 1.0
	v_rcp_f32_e32 v39, v36
	v_nop
	s_delay_alu instid0(TRANS32_DEP_1) | instskip(NEXT) | instid1(VALU_DEP_1)
	v_fma_f32 v40, -v36, v39, 1.0
	v_fmac_f32_e32 v39, v40, v39
	s_delay_alu instid0(VALU_DEP_1) | instskip(NEXT) | instid1(VALU_DEP_1)
	v_mul_f32_e32 v40, v41, v39
	v_fma_f32 v96, -v36, v40, v41
	s_delay_alu instid0(VALU_DEP_1) | instskip(NEXT) | instid1(VALU_DEP_1)
	v_fmac_f32_e32 v40, v96, v39
	v_fma_f32 v36, -v36, v40, v41
	s_delay_alu instid0(VALU_DEP_1) | instskip(NEXT) | instid1(VALU_DEP_1)
	v_div_fmas_f32 v36, v36, v39, v40
	v_div_fixup_f32 v36, v36, v37, 1.0
	s_delay_alu instid0(VALU_DEP_1)
	v_mul_f32_e32 v38, v38, v36
	v_xor_b32_e32 v39, 0x80000000, v36
                                        ; implicit-def: $vgpr36_vgpr37
.LBB167_49:                             ;   in Loop: Header=BB167_3 Depth=1
	s_and_not1_saveexec_b32 s56, s56
	s_cbranch_execz .LBB167_51
; %bb.50:                               ;   in Loop: Header=BB167_3 Depth=1
	v_div_scale_f32 v38, null, v36, v36, v37
	v_div_scale_f32 v41, vcc_lo, v37, v36, v37
	s_delay_alu instid0(VALU_DEP_2) | instskip(SKIP_1) | instid1(TRANS32_DEP_1)
	v_rcp_f32_e32 v39, v38
	v_nop
	v_fma_f32 v40, -v38, v39, 1.0
	s_delay_alu instid0(VALU_DEP_1) | instskip(NEXT) | instid1(VALU_DEP_1)
	v_fmac_f32_e32 v39, v40, v39
	v_mul_f32_e32 v40, v41, v39
	s_delay_alu instid0(VALU_DEP_1) | instskip(NEXT) | instid1(VALU_DEP_1)
	v_fma_f32 v96, -v38, v40, v41
	v_fmac_f32_e32 v40, v96, v39
	s_delay_alu instid0(VALU_DEP_1) | instskip(NEXT) | instid1(VALU_DEP_1)
	v_fma_f32 v38, -v38, v40, v41
	v_div_fmas_f32 v38, v38, v39, v40
	s_delay_alu instid0(VALU_DEP_1) | instskip(NEXT) | instid1(VALU_DEP_1)
	v_div_fixup_f32 v39, v38, v36, v37
	v_fmac_f32_e32 v36, v37, v39
	s_delay_alu instid0(VALU_DEP_1) | instskip(NEXT) | instid1(VALU_DEP_1)
	v_div_scale_f32 v37, null, v36, v36, 1.0
	v_rcp_f32_e32 v38, v37
	v_nop
	s_delay_alu instid0(TRANS32_DEP_1) | instskip(NEXT) | instid1(VALU_DEP_1)
	v_fma_f32 v40, -v37, v38, 1.0
	v_fmac_f32_e32 v38, v40, v38
	v_div_scale_f32 v40, vcc_lo, 1.0, v36, 1.0
	s_delay_alu instid0(VALU_DEP_1) | instskip(NEXT) | instid1(VALU_DEP_1)
	v_mul_f32_e32 v41, v40, v38
	v_fma_f32 v96, -v37, v41, v40
	s_delay_alu instid0(VALU_DEP_1) | instskip(NEXT) | instid1(VALU_DEP_1)
	v_fmac_f32_e32 v41, v96, v38
	v_fma_f32 v37, -v37, v41, v40
	s_delay_alu instid0(VALU_DEP_1) | instskip(NEXT) | instid1(VALU_DEP_1)
	v_div_fmas_f32 v37, v37, v38, v41
	v_div_fixup_f32 v38, v37, v36, 1.0
	s_delay_alu instid0(VALU_DEP_1)
	v_mul_f32_e64 v39, v39, -v38
.LBB167_51:                             ;   in Loop: Header=BB167_3 Depth=1
	s_or_b32 exec_lo, exec_lo, s56
	ds_store_b64 v75, v[38:39]
.LBB167_52:                             ;   in Loop: Header=BB167_3 Depth=1
	s_or_b32 exec_lo, exec_lo, s66
.LBB167_53:                             ;   in Loop: Header=BB167_3 Depth=1
	s_and_not1_saveexec_b32 s10, s10
	s_cbranch_execz .LBB167_55
; %bb.54:                               ;   in Loop: Header=BB167_3 Depth=1
	v_lshl_add_u64 v[36:37], v[14:15], 3, v[34:35]
	flat_load_b64 v[36:37], v[36:37]
	s_wait_loadcnt_dscnt 0x0
	v_pk_add_f32 v[36:37], v[36:37], 0 neg_lo:[1,1] neg_hi:[1,1]
	ds_store_b64 v75, v[36:37]
.LBB167_55:                             ;   in Loop: Header=BB167_3 Depth=1
	s_or_b32 exec_lo, exec_lo, s10
	s_delay_alu instid0(SALU_CYCLE_1) | instskip(SKIP_2) | instid1(SALU_CYCLE_1)
	s_mov_b32 s10, exec_lo
	v_readlane_b32 s56, v106, 15
	s_and_b32 s56, s10, s56
	s_xor_b32 s10, s56, s10
	s_mov_b32 exec_lo, s56
	s_cbranch_execz .LBB167_67
; %bb.56:                               ;   in Loop: Header=BB167_3 Depth=1
	s_mov_b32 s56, exec_lo
	v_readlane_b32 s57, v106, 22
	s_and_b32 s57, s56, s57
	s_delay_alu instid0(SALU_CYCLE_1)
	s_xor_b32 s56, s57, s56
	s_mov_b32 exec_lo, s57
	s_cbranch_execz .LBB167_60
; %bb.57:                               ;   in Loop: Header=BB167_3 Depth=1
	v_readlane_b32 s58, v105, 11
	s_and_saveexec_b32 s57, s58
; %bb.58:                               ;   in Loop: Header=BB167_3 Depth=1
	ds_store_b64 v77, v[28:29]
; %bb.59:                               ;   in Loop: Header=BB167_3 Depth=1
	s_or_b32 exec_lo, exec_lo, s57
.LBB167_60:                             ;   in Loop: Header=BB167_3 Depth=1
	s_and_not1_saveexec_b32 s66, s56
	s_cbranch_execz .LBB167_66
; %bb.61:                               ;   in Loop: Header=BB167_3 Depth=1
	v_lshl_add_u64 v[36:37], v[16:17], 3, v[34:35]
                                        ; implicit-def: $vgpr38_vgpr39
	flat_load_b64 v[36:37], v[36:37]
	s_wait_loadcnt_dscnt 0x0
	v_cmp_ngt_f32_e64 s56, |v36|, |v37|
	s_wait_xcnt 0x0
	s_and_saveexec_b32 s57, s56
	s_delay_alu instid0(SALU_CYCLE_1)
	s_xor_b32 s56, exec_lo, s57
	s_cbranch_execz .LBB167_63
; %bb.62:                               ;   in Loop: Header=BB167_3 Depth=1
	v_div_scale_f32 v38, null, v37, v37, v36
	v_div_scale_f32 v41, vcc_lo, v36, v37, v36
	s_delay_alu instid0(VALU_DEP_2) | instskip(SKIP_1) | instid1(TRANS32_DEP_1)
	v_rcp_f32_e32 v39, v38
	v_nop
	v_fma_f32 v40, -v38, v39, 1.0
	s_delay_alu instid0(VALU_DEP_1) | instskip(NEXT) | instid1(VALU_DEP_1)
	v_fmac_f32_e32 v39, v40, v39
	v_mul_f32_e32 v40, v41, v39
	s_delay_alu instid0(VALU_DEP_1) | instskip(NEXT) | instid1(VALU_DEP_1)
	v_fma_f32 v96, -v38, v40, v41
	v_fmac_f32_e32 v40, v96, v39
	s_delay_alu instid0(VALU_DEP_1) | instskip(NEXT) | instid1(VALU_DEP_1)
	v_fma_f32 v38, -v38, v40, v41
	v_div_fmas_f32 v38, v38, v39, v40
	s_delay_alu instid0(VALU_DEP_1) | instskip(NEXT) | instid1(VALU_DEP_1)
	v_div_fixup_f32 v38, v38, v37, v36
	v_fmac_f32_e32 v37, v36, v38
	s_delay_alu instid0(VALU_DEP_1) | instskip(SKIP_1) | instid1(VALU_DEP_2)
	v_div_scale_f32 v36, null, v37, v37, 1.0
	v_div_scale_f32 v41, vcc_lo, 1.0, v37, 1.0
	v_rcp_f32_e32 v39, v36
	v_nop
	s_delay_alu instid0(TRANS32_DEP_1) | instskip(NEXT) | instid1(VALU_DEP_1)
	v_fma_f32 v40, -v36, v39, 1.0
	v_fmac_f32_e32 v39, v40, v39
	s_delay_alu instid0(VALU_DEP_1) | instskip(NEXT) | instid1(VALU_DEP_1)
	v_mul_f32_e32 v40, v41, v39
	v_fma_f32 v96, -v36, v40, v41
	s_delay_alu instid0(VALU_DEP_1) | instskip(NEXT) | instid1(VALU_DEP_1)
	v_fmac_f32_e32 v40, v96, v39
	v_fma_f32 v36, -v36, v40, v41
	s_delay_alu instid0(VALU_DEP_1) | instskip(NEXT) | instid1(VALU_DEP_1)
	v_div_fmas_f32 v36, v36, v39, v40
	v_div_fixup_f32 v36, v36, v37, 1.0
	s_delay_alu instid0(VALU_DEP_1)
	v_mul_f32_e32 v38, v38, v36
	v_xor_b32_e32 v39, 0x80000000, v36
                                        ; implicit-def: $vgpr36_vgpr37
.LBB167_63:                             ;   in Loop: Header=BB167_3 Depth=1
	s_and_not1_saveexec_b32 s56, s56
	s_cbranch_execz .LBB167_65
; %bb.64:                               ;   in Loop: Header=BB167_3 Depth=1
	v_div_scale_f32 v38, null, v36, v36, v37
	v_div_scale_f32 v41, vcc_lo, v37, v36, v37
	s_delay_alu instid0(VALU_DEP_2) | instskip(SKIP_1) | instid1(TRANS32_DEP_1)
	v_rcp_f32_e32 v39, v38
	v_nop
	v_fma_f32 v40, -v38, v39, 1.0
	s_delay_alu instid0(VALU_DEP_1) | instskip(NEXT) | instid1(VALU_DEP_1)
	v_fmac_f32_e32 v39, v40, v39
	v_mul_f32_e32 v40, v41, v39
	s_delay_alu instid0(VALU_DEP_1) | instskip(NEXT) | instid1(VALU_DEP_1)
	v_fma_f32 v96, -v38, v40, v41
	v_fmac_f32_e32 v40, v96, v39
	s_delay_alu instid0(VALU_DEP_1) | instskip(NEXT) | instid1(VALU_DEP_1)
	v_fma_f32 v38, -v38, v40, v41
	v_div_fmas_f32 v38, v38, v39, v40
	s_delay_alu instid0(VALU_DEP_1) | instskip(NEXT) | instid1(VALU_DEP_1)
	v_div_fixup_f32 v39, v38, v36, v37
	v_fmac_f32_e32 v36, v37, v39
	s_delay_alu instid0(VALU_DEP_1) | instskip(NEXT) | instid1(VALU_DEP_1)
	v_div_scale_f32 v37, null, v36, v36, 1.0
	v_rcp_f32_e32 v38, v37
	v_nop
	s_delay_alu instid0(TRANS32_DEP_1) | instskip(NEXT) | instid1(VALU_DEP_1)
	v_fma_f32 v40, -v37, v38, 1.0
	v_fmac_f32_e32 v38, v40, v38
	v_div_scale_f32 v40, vcc_lo, 1.0, v36, 1.0
	s_delay_alu instid0(VALU_DEP_1) | instskip(NEXT) | instid1(VALU_DEP_1)
	v_mul_f32_e32 v41, v40, v38
	v_fma_f32 v96, -v37, v41, v40
	s_delay_alu instid0(VALU_DEP_1) | instskip(NEXT) | instid1(VALU_DEP_1)
	v_fmac_f32_e32 v41, v96, v38
	v_fma_f32 v37, -v37, v41, v40
	s_delay_alu instid0(VALU_DEP_1) | instskip(NEXT) | instid1(VALU_DEP_1)
	v_div_fmas_f32 v37, v37, v38, v41
	v_div_fixup_f32 v38, v37, v36, 1.0
	s_delay_alu instid0(VALU_DEP_1)
	v_mul_f32_e64 v39, v39, -v38
.LBB167_65:                             ;   in Loop: Header=BB167_3 Depth=1
	s_or_b32 exec_lo, exec_lo, s56
	ds_store_b64 v77, v[38:39]
.LBB167_66:                             ;   in Loop: Header=BB167_3 Depth=1
	s_or_b32 exec_lo, exec_lo, s66
.LBB167_67:                             ;   in Loop: Header=BB167_3 Depth=1
	s_and_not1_saveexec_b32 s10, s10
	s_cbranch_execz .LBB167_69
; %bb.68:                               ;   in Loop: Header=BB167_3 Depth=1
	v_lshl_add_u64 v[36:37], v[16:17], 3, v[34:35]
	flat_load_b64 v[36:37], v[36:37]
	s_wait_loadcnt_dscnt 0x0
	v_pk_add_f32 v[36:37], v[36:37], 0 neg_lo:[1,1] neg_hi:[1,1]
	ds_store_b64 v77, v[36:37]
.LBB167_69:                             ;   in Loop: Header=BB167_3 Depth=1
	s_or_b32 exec_lo, exec_lo, s10
	s_delay_alu instid0(SALU_CYCLE_1) | instskip(SKIP_2) | instid1(SALU_CYCLE_1)
	s_mov_b32 s10, exec_lo
	v_readlane_b32 s56, v106, 16
	s_and_b32 s56, s10, s56
	s_xor_b32 s10, s56, s10
	s_mov_b32 exec_lo, s56
	s_cbranch_execz .LBB167_81
; %bb.70:                               ;   in Loop: Header=BB167_3 Depth=1
	s_mov_b32 s56, exec_lo
	v_readlane_b32 s57, v106, 24
	s_and_b32 s57, s56, s57
	s_delay_alu instid0(SALU_CYCLE_1)
	s_xor_b32 s56, s57, s56
	s_mov_b32 exec_lo, s57
	s_cbranch_execz .LBB167_74
; %bb.71:                               ;   in Loop: Header=BB167_3 Depth=1
	v_readlane_b32 s58, v105, 12
	s_and_saveexec_b32 s57, s58
; %bb.72:                               ;   in Loop: Header=BB167_3 Depth=1
	ds_store_b64 v80, v[28:29]
; %bb.73:                               ;   in Loop: Header=BB167_3 Depth=1
	s_or_b32 exec_lo, exec_lo, s57
                                        ; implicit-def: $vgpr34_vgpr35
.LBB167_74:                             ;   in Loop: Header=BB167_3 Depth=1
	s_and_not1_saveexec_b32 s66, s56
	s_cbranch_execz .LBB167_80
; %bb.75:                               ;   in Loop: Header=BB167_3 Depth=1
	v_lshl_add_u64 v[34:35], v[18:19], 3, v[34:35]
                                        ; implicit-def: $vgpr36_vgpr37
	flat_load_b64 v[34:35], v[34:35]
	s_wait_loadcnt_dscnt 0x0
	v_cmp_ngt_f32_e64 s56, |v34|, |v35|
	s_wait_xcnt 0x0
	s_and_saveexec_b32 s57, s56
	s_delay_alu instid0(SALU_CYCLE_1)
	s_xor_b32 s56, exec_lo, s57
	s_cbranch_execz .LBB167_77
; %bb.76:                               ;   in Loop: Header=BB167_3 Depth=1
	v_div_scale_f32 v36, null, v35, v35, v34
	v_div_scale_f32 v39, vcc_lo, v34, v35, v34
	s_delay_alu instid0(VALU_DEP_2) | instskip(SKIP_1) | instid1(TRANS32_DEP_1)
	v_rcp_f32_e32 v37, v36
	v_nop
	v_fma_f32 v38, -v36, v37, 1.0
	s_delay_alu instid0(VALU_DEP_1) | instskip(NEXT) | instid1(VALU_DEP_1)
	v_fmac_f32_e32 v37, v38, v37
	v_mul_f32_e32 v38, v39, v37
	s_delay_alu instid0(VALU_DEP_1) | instskip(NEXT) | instid1(VALU_DEP_1)
	v_fma_f32 v40, -v36, v38, v39
	v_fmac_f32_e32 v38, v40, v37
	s_delay_alu instid0(VALU_DEP_1) | instskip(NEXT) | instid1(VALU_DEP_1)
	v_fma_f32 v36, -v36, v38, v39
	v_div_fmas_f32 v36, v36, v37, v38
	s_delay_alu instid0(VALU_DEP_1) | instskip(NEXT) | instid1(VALU_DEP_1)
	v_div_fixup_f32 v36, v36, v35, v34
	v_fmac_f32_e32 v35, v34, v36
	s_delay_alu instid0(VALU_DEP_1) | instskip(SKIP_1) | instid1(VALU_DEP_2)
	v_div_scale_f32 v34, null, v35, v35, 1.0
	v_div_scale_f32 v39, vcc_lo, 1.0, v35, 1.0
	v_rcp_f32_e32 v37, v34
	v_nop
	s_delay_alu instid0(TRANS32_DEP_1) | instskip(NEXT) | instid1(VALU_DEP_1)
	v_fma_f32 v38, -v34, v37, 1.0
	v_fmac_f32_e32 v37, v38, v37
	s_delay_alu instid0(VALU_DEP_1) | instskip(NEXT) | instid1(VALU_DEP_1)
	v_mul_f32_e32 v38, v39, v37
	v_fma_f32 v40, -v34, v38, v39
	s_delay_alu instid0(VALU_DEP_1) | instskip(NEXT) | instid1(VALU_DEP_1)
	v_fmac_f32_e32 v38, v40, v37
	v_fma_f32 v34, -v34, v38, v39
	s_delay_alu instid0(VALU_DEP_1) | instskip(NEXT) | instid1(VALU_DEP_1)
	v_div_fmas_f32 v34, v34, v37, v38
	v_div_fixup_f32 v34, v34, v35, 1.0
	s_delay_alu instid0(VALU_DEP_1)
	v_mul_f32_e32 v36, v36, v34
	v_xor_b32_e32 v37, 0x80000000, v34
                                        ; implicit-def: $vgpr34_vgpr35
.LBB167_77:                             ;   in Loop: Header=BB167_3 Depth=1
	s_and_not1_saveexec_b32 s56, s56
	s_cbranch_execz .LBB167_79
; %bb.78:                               ;   in Loop: Header=BB167_3 Depth=1
	v_div_scale_f32 v36, null, v34, v34, v35
	v_div_scale_f32 v39, vcc_lo, v35, v34, v35
	s_delay_alu instid0(VALU_DEP_2) | instskip(SKIP_1) | instid1(TRANS32_DEP_1)
	v_rcp_f32_e32 v37, v36
	v_nop
	v_fma_f32 v38, -v36, v37, 1.0
	s_delay_alu instid0(VALU_DEP_1) | instskip(NEXT) | instid1(VALU_DEP_1)
	v_fmac_f32_e32 v37, v38, v37
	v_mul_f32_e32 v38, v39, v37
	s_delay_alu instid0(VALU_DEP_1) | instskip(NEXT) | instid1(VALU_DEP_1)
	v_fma_f32 v40, -v36, v38, v39
	v_fmac_f32_e32 v38, v40, v37
	s_delay_alu instid0(VALU_DEP_1) | instskip(NEXT) | instid1(VALU_DEP_1)
	v_fma_f32 v36, -v36, v38, v39
	v_div_fmas_f32 v36, v36, v37, v38
	s_delay_alu instid0(VALU_DEP_1) | instskip(NEXT) | instid1(VALU_DEP_1)
	v_div_fixup_f32 v37, v36, v34, v35
	v_fmac_f32_e32 v34, v35, v37
	s_delay_alu instid0(VALU_DEP_1) | instskip(NEXT) | instid1(VALU_DEP_1)
	v_div_scale_f32 v35, null, v34, v34, 1.0
	v_rcp_f32_e32 v36, v35
	v_nop
	s_delay_alu instid0(TRANS32_DEP_1) | instskip(NEXT) | instid1(VALU_DEP_1)
	v_fma_f32 v38, -v35, v36, 1.0
	v_fmac_f32_e32 v36, v38, v36
	v_div_scale_f32 v38, vcc_lo, 1.0, v34, 1.0
	s_delay_alu instid0(VALU_DEP_1) | instskip(NEXT) | instid1(VALU_DEP_1)
	v_mul_f32_e32 v39, v38, v36
	v_fma_f32 v40, -v35, v39, v38
	s_delay_alu instid0(VALU_DEP_1) | instskip(NEXT) | instid1(VALU_DEP_1)
	v_fmac_f32_e32 v39, v40, v36
	v_fma_f32 v35, -v35, v39, v38
	s_delay_alu instid0(VALU_DEP_1) | instskip(NEXT) | instid1(VALU_DEP_1)
	v_div_fmas_f32 v35, v35, v36, v39
	v_div_fixup_f32 v36, v35, v34, 1.0
	s_delay_alu instid0(VALU_DEP_1)
	v_mul_f32_e64 v37, v37, -v36
.LBB167_79:                             ;   in Loop: Header=BB167_3 Depth=1
	s_or_b32 exec_lo, exec_lo, s56
	ds_store_b64 v80, v[36:37]
.LBB167_80:                             ;   in Loop: Header=BB167_3 Depth=1
	s_or_b32 exec_lo, exec_lo, s66
                                        ; implicit-def: $vgpr34_vgpr35
.LBB167_81:                             ;   in Loop: Header=BB167_3 Depth=1
	s_and_not1_saveexec_b32 s10, s10
	s_cbranch_execz .LBB167_83
; %bb.82:                               ;   in Loop: Header=BB167_3 Depth=1
	v_lshl_add_u64 v[34:35], v[18:19], 3, v[34:35]
	flat_load_b64 v[34:35], v[34:35]
	s_wait_loadcnt_dscnt 0x0
	v_pk_add_f32 v[34:35], v[34:35], 0 neg_lo:[1,1] neg_hi:[1,1]
	ds_store_b64 v80, v[34:35]
.LBB167_83:                             ;   in Loop: Header=BB167_3 Depth=1
	s_or_b32 exec_lo, exec_lo, s10
.LBB167_84:                             ;   in Loop: Header=BB167_3 Depth=1
	s_delay_alu instid0(SALU_CYCLE_1)
	s_and_not1_b32 vcc_lo, exec_lo, s94
	s_wait_storecnt 0x0
	s_wait_loadcnt_dscnt 0x0
	s_barrier_signal -1
	s_barrier_wait -1
	s_cbranch_vccnz .LBB167_1006
; %bb.85:                               ;   in Loop: Header=BB167_3 Depth=1
	s_and_saveexec_b32 s10, s15
	s_cbranch_execz .LBB167_87
; %bb.86:                               ;   in Loop: Header=BB167_3 Depth=1
	ds_load_b128 v[34:37], v5
	ds_load_b64 v[38:39], v5 offset:520
	s_wait_dscnt 0x1
	v_dual_mov_b32 v96, v37 :: v_dual_mov_b32 v97, v36
	s_wait_dscnt 0x0
	v_dual_mul_f32 v41, v39, v35 :: v_dual_mul_f32 v40, v38, v35
	s_delay_alu instid0(VALU_DEP_1) | instskip(NEXT) | instid1(VALU_DEP_1)
	v_xor_b32_e32 v98, 0x80000000, v41
	v_dual_fmac_f32 v40, v39, v34 :: v_dual_fmac_f32 v98, v38, v34
	s_delay_alu instid0(VALU_DEP_1) | instskip(NEXT) | instid1(VALU_DEP_1)
	v_pk_mul_f32 v[34:35], v[40:41], v[96:97] op_sel_hi:[0,1]
	v_pk_fma_f32 v[38:39], v[98:99], v[36:37], v[34:35] op_sel_hi:[0,1,1]
	v_pk_fma_f32 v[34:35], v[98:99], v[36:37], v[34:35] neg_lo:[0,0,1] neg_hi:[0,0,1]
	s_delay_alu instid0(VALU_DEP_2)
	v_mov_b32_e32 v35, v39
	ds_store_2addr_b64 v5, v[34:35], v[34:35] offset0:1 offset1:64
.LBB167_87:                             ;   in Loop: Header=BB167_3 Depth=1
	s_or_b32 exec_lo, exec_lo, s10
	v_mov_b32_e32 v35, 0
	s_wait_dscnt 0x0
	s_barrier_signal -1
	s_barrier_wait -1
	s_delay_alu instid0(VALU_DEP_1)
	v_mov_b32_e32 v34, v35
	s_and_saveexec_b32 s10, s3
	s_cbranch_execz .LBB167_91
; %bb.88:                               ;   in Loop: Header=BB167_3 Depth=1
	ds_load_b64 v[34:35], v43 offset:16
	ds_load_b64 v[36:37], v44
	s_wait_dscnt 0x0
	v_dual_mul_f32 v38, v37, v35 :: v_dual_mul_f32 v39, v36, v35
	s_delay_alu instid0(VALU_DEP_1) | instskip(NEXT) | instid1(VALU_DEP_1)
	v_dual_fma_f32 v38, v36, v34, -v38 :: v_dual_fmac_f32 v39, v37, v34
	v_pk_add_f32 v[34:35], v[38:39], 0 op_sel_hi:[1,0]
	s_and_saveexec_b32 s56, s16
	s_cbranch_execz .LBB167_90
; %bb.89:                               ;   in Loop: Header=BB167_3 Depth=1
	ds_load_b64 v[36:37], v45 offset:528
	ds_load_b64 v[38:39], v5 offset:8
	s_wait_dscnt 0x0
	v_pk_mul_f32 v[40:41], v[38:39], v[36:37] op_sel:[1,1] op_sel_hi:[0,1]
	s_delay_alu instid0(VALU_DEP_1) | instskip(SKIP_1) | instid1(VALU_DEP_2)
	v_pk_fma_f32 v[96:97], v[38:39], v[36:37], v[40:41] op_sel_hi:[1,0,1]
	v_pk_fma_f32 v[36:37], v[38:39], v[36:37], v[40:41] neg_lo:[0,0,1] neg_hi:[0,0,1]
	v_mov_b32_e32 v37, v97
	s_delay_alu instid0(VALU_DEP_1)
	v_pk_add_f32 v[34:35], v[34:35], v[36:37]
.LBB167_90:                             ;   in Loop: Header=BB167_3 Depth=1
	s_or_b32 exec_lo, exec_lo, s56
	s_delay_alu instid0(VALU_DEP_1)
	v_pk_add_f32 v[34:35], v[34:35], 0 neg_lo:[1,1] neg_hi:[1,1]
.LBB167_91:                             ;   in Loop: Header=BB167_3 Depth=1
	s_or_b32 exec_lo, exec_lo, s10
	s_and_saveexec_b32 s10, s95
	s_cbranch_execz .LBB167_93
; %bb.92:                               ;   in Loop: Header=BB167_3 Depth=1
	ds_load_b64 v[36:37], v5 offset:1040
	s_wait_dscnt 0x0
	v_pk_mul_f32 v[38:39], v[34:35], v[36:37] op_sel:[1,1] op_sel_hi:[1,0]
	s_delay_alu instid0(VALU_DEP_1) | instskip(SKIP_1) | instid1(VALU_DEP_2)
	v_pk_fma_f32 v[40:41], v[34:35], v[36:37], v[38:39] op_sel_hi:[0,1,1]
	v_pk_fma_f32 v[36:37], v[34:35], v[36:37], v[38:39] neg_lo:[0,0,1] neg_hi:[0,0,1]
	v_mov_b32_e32 v37, v41
	s_delay_alu instid0(VALU_DEP_1)
	v_mov_b64_e32 v[34:35], v[36:37]
	ds_store_b64 v3, v[36:37]
.LBB167_93:                             ;   in Loop: Header=BB167_3 Depth=1
	s_or_b32 exec_lo, exec_lo, s10
	s_wait_dscnt 0x0
	s_barrier_signal -1
	s_barrier_wait -1
	s_and_saveexec_b32 s10, s96
	s_cbranch_execz .LBB167_95
; %bb.94:                               ;   in Loop: Header=BB167_3 Depth=1
	ds_load_b64 v[36:37], v5 offset:1048
	ds_load_b64 v[38:39], v3
	s_wait_dscnt 0x0
	v_pk_mul_f32 v[40:41], v[38:39], v[36:37] op_sel:[1,1] op_sel_hi:[0,1]
	s_delay_alu instid0(VALU_DEP_1) | instskip(SKIP_1) | instid1(VALU_DEP_2)
	v_pk_fma_f32 v[96:97], v[38:39], v[36:37], v[40:41] op_sel_hi:[1,0,1]
	v_pk_fma_f32 v[36:37], v[38:39], v[36:37], v[40:41] neg_lo:[0,0,1] neg_hi:[0,0,1]
	v_mov_b32_e32 v37, v97
	s_delay_alu instid0(VALU_DEP_1)
	v_pk_add_f32 v[34:35], v[34:35], v[36:37]
.LBB167_95:                             ;   in Loop: Header=BB167_3 Depth=1
	s_or_b32 exec_lo, exec_lo, s10
	s_barrier_signal -1
	s_barrier_wait -1
	s_and_saveexec_b32 s10, s96
	s_cbranch_execz .LBB167_97
; %bb.96:                               ;   in Loop: Header=BB167_3 Depth=1
	ds_load_b64 v[36:37], v5 offset:1560
	s_wait_dscnt 0x0
	v_pk_mul_f32 v[38:39], v[34:35], v[36:37] op_sel:[1,1] op_sel_hi:[1,0]
	s_delay_alu instid0(VALU_DEP_1) | instskip(SKIP_1) | instid1(VALU_DEP_2)
	v_pk_fma_f32 v[40:41], v[34:35], v[36:37], v[38:39] op_sel_hi:[0,1,1]
	v_pk_fma_f32 v[36:37], v[34:35], v[36:37], v[38:39] neg_lo:[0,0,1] neg_hi:[0,0,1]
	v_mov_b32_e32 v37, v41
	s_delay_alu instid0(VALU_DEP_1)
	v_mov_b64_e32 v[34:35], v[36:37]
	ds_store_b64 v3, v[36:37]
.LBB167_97:                             ;   in Loop: Header=BB167_3 Depth=1
	s_or_b32 exec_lo, exec_lo, s10
	s_wait_dscnt 0x0
	s_barrier_signal -1
	s_barrier_wait -1
	s_barrier_signal -1
	s_barrier_wait -1
	s_and_saveexec_b32 s10, s3
; %bb.98:                               ;   in Loop: Header=BB167_3 Depth=1
	v_pk_add_f32 v[34:35], v[34:35], 0 neg_lo:[1,1] neg_hi:[1,1]
	ds_store_b64 v43, v[34:35] offset:16
; %bb.99:                               ;   in Loop: Header=BB167_3 Depth=1
	s_or_b32 exec_lo, exec_lo, s10
	s_wait_dscnt 0x0
	s_barrier_signal -1
	s_barrier_wait -1
	s_barrier_signal -1
	s_barrier_wait -1
	s_and_saveexec_b32 s10, s97
	s_cbranch_execz .LBB167_101
; %bb.100:                              ;   in Loop: Header=BB167_3 Depth=1
	ds_load_b64 v[34:35], v48 offset:16
	s_wait_dscnt 0x0
	ds_store_b64 v45, v[34:35] offset:1024
	ds_load_b64 v[34:35], v48 offset:24
	s_wait_dscnt 0x0
	ds_store_b64 v45, v[34:35] offset:1536
.LBB167_101:                            ;   in Loop: Header=BB167_3 Depth=1
	s_or_b32 exec_lo, exec_lo, s10
	s_wait_dscnt 0x0
	s_barrier_signal -1
	s_barrier_wait -1
	s_and_saveexec_b32 s10, s15
	s_cbranch_execz .LBB167_103
; %bb.102:                              ;   in Loop: Header=BB167_3 Depth=1
	ds_load_b128 v[34:37], v5 offset:1040
	ds_load_b64 v[38:39], v5 offset:1560
	s_wait_dscnt 0x1
	v_dual_mov_b32 v96, v37 :: v_dual_mov_b32 v97, v36
	s_wait_dscnt 0x0
	v_dual_mul_f32 v41, v39, v35 :: v_dual_mul_f32 v40, v38, v35
	s_delay_alu instid0(VALU_DEP_1) | instskip(NEXT) | instid1(VALU_DEP_1)
	v_xor_b32_e32 v98, 0x80000000, v41
	v_dual_fmac_f32 v40, v39, v34 :: v_dual_fmac_f32 v98, v38, v34
	s_delay_alu instid0(VALU_DEP_1) | instskip(NEXT) | instid1(VALU_DEP_1)
	v_pk_mul_f32 v[34:35], v[40:41], v[96:97] op_sel_hi:[0,1]
	v_pk_fma_f32 v[38:39], v[98:99], v[36:37], v[34:35] op_sel_hi:[0,1,1]
	v_pk_fma_f32 v[34:35], v[98:99], v[36:37], v[34:35] neg_lo:[0,0,1] neg_hi:[0,0,1]
	s_delay_alu instid0(VALU_DEP_2)
	v_mov_b32_e32 v35, v39
	ds_store_2addr_b64 v5, v[34:35], v[34:35] offset0:131 offset1:194
.LBB167_103:                            ;   in Loop: Header=BB167_3 Depth=1
	s_or_b32 exec_lo, exec_lo, s10
	v_mov_b32_e32 v34, 0
	s_wait_dscnt 0x0
	s_barrier_signal -1
	s_barrier_wait -1
	s_delay_alu instid0(VALU_DEP_1)
	v_mov_b32_e32 v35, v34
	s_and_saveexec_b32 s10, s5
	s_cbranch_execz .LBB167_109
; %bb.104:                              ;   in Loop: Header=BB167_3 Depth=1
	ds_load_b64 v[34:35], v50 offset:32
	ds_load_b64 v[36:37], v46
	s_wait_dscnt 0x0
	v_pk_mul_f32 v[38:39], v[36:37], v[34:35] op_sel:[0,1]
	s_delay_alu instid0(VALU_DEP_1) | instskip(SKIP_1) | instid1(VALU_DEP_2)
	v_pk_fma_f32 v[40:41], v[36:37], v[34:35], v[38:39] op_sel:[1,0,0] op_sel_hi:[0,0,1] neg_lo:[0,0,1] neg_hi:[0,0,1]
	v_pk_fma_f32 v[34:35], v[36:37], v[34:35], v[38:39] op_sel:[1,0,0] op_sel_hi:[0,1,1]
	v_mov_b32_e32 v35, v41
	s_delay_alu instid0(VALU_DEP_1)
	v_pk_add_f32 v[34:35], v[34:35], 0 op_sel_hi:[1,0]
	s_and_saveexec_b32 s56, s17
	s_cbranch_execnz .LBB167_1110
; %bb.105:                              ;   in Loop: Header=BB167_3 Depth=1
	s_or_b32 exec_lo, exec_lo, s56
	s_and_saveexec_b32 s56, s18
	s_cbranch_execnz .LBB167_1111
.LBB167_106:                            ;   in Loop: Header=BB167_3 Depth=1
	s_or_b32 exec_lo, exec_lo, s56
	s_and_saveexec_b32 s56, s3
	s_cbranch_execz .LBB167_108
.LBB167_107:                            ;   in Loop: Header=BB167_3 Depth=1
	ds_load_b64 v[36:37], v53 offset:1568
	ds_load_b64 v[38:39], v5 offset:24
	s_wait_dscnt 0x0
	v_pk_mul_f32 v[40:41], v[38:39], v[36:37] op_sel:[0,1]
	s_delay_alu instid0(VALU_DEP_1) | instskip(SKIP_1) | instid1(VALU_DEP_2)
	v_pk_fma_f32 v[96:97], v[38:39], v[36:37], v[40:41] op_sel:[1,0,0] op_sel_hi:[0,0,1] neg_lo:[0,0,1] neg_hi:[0,0,1]
	v_pk_fma_f32 v[36:37], v[38:39], v[36:37], v[40:41] op_sel:[1,0,0] op_sel_hi:[0,1,1]
	v_mov_b32_e32 v37, v97
	s_delay_alu instid0(VALU_DEP_1)
	v_pk_add_f32 v[34:35], v[34:35], v[36:37]
.LBB167_108:                            ;   in Loop: Header=BB167_3 Depth=1
	s_or_b32 exec_lo, exec_lo, s56
	s_delay_alu instid0(VALU_DEP_1) | instskip(NEXT) | instid1(VALU_DEP_1)
	v_pk_add_f32 v[36:37], v[34:35], 0 neg_lo:[1,1] neg_hi:[1,1]
	v_dual_mov_b32 v34, v37 :: v_dual_mov_b32 v35, v36
.LBB167_109:                            ;   in Loop: Header=BB167_3 Depth=1
	s_or_b32 exec_lo, exec_lo, s10
	s_and_saveexec_b32 s10, s98
	s_cbranch_execz .LBB167_111
; %bb.110:                              ;   in Loop: Header=BB167_3 Depth=1
	ds_load_b64 v[36:37], v5 offset:2080
	v_dual_mov_b32 v38, v35 :: v_dual_mov_b32 v39, v34
	s_wait_dscnt 0x0
	s_delay_alu instid0(VALU_DEP_1) | instskip(NEXT) | instid1(VALU_DEP_1)
	v_dual_mul_f32 v40, v38, v36 :: v_dual_mul_f32 v96, v35, v37
	v_pk_fma_f32 v[38:39], v[38:39], v[36:37], v[40:41] op_sel_hi:[1,1,0]
	s_delay_alu instid0(VALU_DEP_2) | instskip(NEXT) | instid1(VALU_DEP_2)
	v_pk_fma_f32 v[34:35], v[34:35], v[36:37], v[96:97] op_sel_hi:[1,1,0] neg_lo:[0,0,1] neg_hi:[0,0,1]
	v_mov_b32_e32 v35, v39
	ds_store_b64 v49, v[34:35]
.LBB167_111:                            ;   in Loop: Header=BB167_3 Depth=1
	s_or_b32 exec_lo, exec_lo, s10
	s_wait_dscnt 0x0
	s_barrier_signal -1
	s_barrier_wait -1
	s_and_saveexec_b32 s10, s99
	s_cbranch_execz .LBB167_113
; %bb.112:                              ;   in Loop: Header=BB167_3 Depth=1
	ds_load_b64 v[36:37], v47 offset:2080
	ds_load_b64 v[38:39], v49
	s_wait_dscnt 0x0
	v_dual_mul_f32 v40, v39, v37 :: v_dual_mul_f32 v41, v38, v37
	s_delay_alu instid0(VALU_DEP_1) | instskip(NEXT) | instid1(VALU_DEP_1)
	v_dual_fma_f32 v40, v38, v36, -v40 :: v_dual_fmac_f32 v41, v39, v36
	v_pk_add_f32 v[34:35], v[34:35], v[40:41]
.LBB167_113:                            ;   in Loop: Header=BB167_3 Depth=1
	s_or_b32 exec_lo, exec_lo, s10
	s_barrier_signal -1
	s_barrier_wait -1
	s_and_saveexec_b32 s10, s100
	s_cbranch_execz .LBB167_115
; %bb.114:                              ;   in Loop: Header=BB167_3 Depth=1
	ds_load_b64 v[36:37], v5 offset:2600
	s_wait_dscnt 0x0
	v_pk_mul_f32 v[38:39], v[34:35], v[36:37] op_sel:[1,1] op_sel_hi:[1,0]
	s_delay_alu instid0(VALU_DEP_1) | instskip(SKIP_1) | instid1(VALU_DEP_2)
	v_pk_fma_f32 v[40:41], v[34:35], v[36:37], v[38:39] op_sel_hi:[0,1,1]
	v_pk_fma_f32 v[36:37], v[34:35], v[36:37], v[38:39] neg_lo:[0,0,1] neg_hi:[0,0,1]
	v_mov_b32_e32 v37, v41
	s_delay_alu instid0(VALU_DEP_1)
	v_mov_b64_e32 v[34:35], v[36:37]
	ds_store_b64 v49, v[36:37]
.LBB167_115:                            ;   in Loop: Header=BB167_3 Depth=1
	s_or_b32 exec_lo, exec_lo, s10
	s_wait_dscnt 0x0
	s_barrier_signal -1
	s_barrier_wait -1
	s_and_saveexec_b32 s10, s101
	s_cbranch_execz .LBB167_117
; %bb.116:                              ;   in Loop: Header=BB167_3 Depth=1
	ds_load_b64 v[36:37], v47 offset:2592
	ds_load_b64 v[38:39], v49
	s_wait_dscnt 0x0
	v_pk_mul_f32 v[40:41], v[38:39], v[36:37] op_sel:[1,1] op_sel_hi:[0,1]
	s_delay_alu instid0(VALU_DEP_1) | instskip(SKIP_1) | instid1(VALU_DEP_2)
	v_pk_fma_f32 v[96:97], v[38:39], v[36:37], v[40:41] op_sel_hi:[1,0,1]
	v_pk_fma_f32 v[36:37], v[38:39], v[36:37], v[40:41] neg_lo:[0,0,1] neg_hi:[0,0,1]
	v_mov_b32_e32 v37, v97
	s_delay_alu instid0(VALU_DEP_1)
	v_pk_add_f32 v[34:35], v[34:35], v[36:37]
.LBB167_117:                            ;   in Loop: Header=BB167_3 Depth=1
	s_or_b32 exec_lo, exec_lo, s10
	s_barrier_signal -1
	s_barrier_wait -1
	s_and_saveexec_b32 s10, s102
	s_cbranch_execz .LBB167_119
; %bb.118:                              ;   in Loop: Header=BB167_3 Depth=1
	ds_load_b64 v[36:37], v5 offset:3120
	s_wait_dscnt 0x0
	v_pk_mul_f32 v[38:39], v[34:35], v[36:37] op_sel:[1,1] op_sel_hi:[1,0]
	s_delay_alu instid0(VALU_DEP_1) | instskip(SKIP_1) | instid1(VALU_DEP_2)
	v_pk_fma_f32 v[40:41], v[34:35], v[36:37], v[38:39] op_sel_hi:[0,1,1]
	v_pk_fma_f32 v[36:37], v[34:35], v[36:37], v[38:39] neg_lo:[0,0,1] neg_hi:[0,0,1]
	v_mov_b32_e32 v37, v41
	s_delay_alu instid0(VALU_DEP_1)
	v_mov_b64_e32 v[34:35], v[36:37]
	ds_store_b64 v49, v[36:37]
.LBB167_119:                            ;   in Loop: Header=BB167_3 Depth=1
	s_or_b32 exec_lo, exec_lo, s10
	s_wait_dscnt 0x0
	s_barrier_signal -1
	s_barrier_wait -1
	s_and_saveexec_b32 s10, s103
	s_cbranch_execz .LBB167_121
; %bb.120:                              ;   in Loop: Header=BB167_3 Depth=1
	ds_load_b64 v[36:37], v5 offset:3128
	ds_load_b64 v[38:39], v49
	s_wait_dscnt 0x0
	v_pk_mul_f32 v[40:41], v[38:39], v[36:37] op_sel:[1,1] op_sel_hi:[0,1]
	s_delay_alu instid0(VALU_DEP_1) | instskip(SKIP_1) | instid1(VALU_DEP_2)
	v_pk_fma_f32 v[96:97], v[38:39], v[36:37], v[40:41] op_sel_hi:[1,0,1]
	v_pk_fma_f32 v[36:37], v[38:39], v[36:37], v[40:41] neg_lo:[0,0,1] neg_hi:[0,0,1]
	v_mov_b32_e32 v37, v97
	s_delay_alu instid0(VALU_DEP_1)
	v_pk_add_f32 v[34:35], v[34:35], v[36:37]
.LBB167_121:                            ;   in Loop: Header=BB167_3 Depth=1
	s_or_b32 exec_lo, exec_lo, s10
	s_barrier_signal -1
	s_barrier_wait -1
	s_and_saveexec_b32 s10, s103
	s_cbranch_execz .LBB167_123
; %bb.122:                              ;   in Loop: Header=BB167_3 Depth=1
	ds_load_b64 v[36:37], v5 offset:3640
	s_wait_dscnt 0x0
	v_pk_mul_f32 v[38:39], v[34:35], v[36:37] op_sel:[1,1] op_sel_hi:[1,0]
	s_delay_alu instid0(VALU_DEP_1) | instskip(SKIP_1) | instid1(VALU_DEP_2)
	v_pk_fma_f32 v[40:41], v[34:35], v[36:37], v[38:39] op_sel_hi:[0,1,1]
	v_pk_fma_f32 v[36:37], v[34:35], v[36:37], v[38:39] neg_lo:[0,0,1] neg_hi:[0,0,1]
	v_mov_b32_e32 v37, v41
	s_delay_alu instid0(VALU_DEP_1)
	v_mov_b64_e32 v[34:35], v[36:37]
	ds_store_b64 v49, v[36:37]
.LBB167_123:                            ;   in Loop: Header=BB167_3 Depth=1
	s_or_b32 exec_lo, exec_lo, s10
	s_wait_dscnt 0x0
	s_barrier_signal -1
	s_barrier_wait -1
	s_barrier_signal -1
	s_barrier_wait -1
	s_and_saveexec_b32 s10, s5
; %bb.124:                              ;   in Loop: Header=BB167_3 Depth=1
	v_pk_add_f32 v[34:35], v[34:35], 0 neg_lo:[1,1] neg_hi:[1,1]
	ds_store_b64 v50, v[34:35] offset:32
; %bb.125:                              ;   in Loop: Header=BB167_3 Depth=1
	s_or_b32 exec_lo, exec_lo, s10
	s_wait_dscnt 0x0
	s_barrier_signal -1
	s_barrier_wait -1
	s_barrier_signal -1
	s_barrier_wait -1
	s_and_saveexec_b32 s10, s104
	s_cbranch_execz .LBB167_127
; %bb.126:                              ;   in Loop: Header=BB167_3 Depth=1
	ds_load_b64 v[34:35], v55 offset:32
	s_wait_dscnt 0x0
	ds_store_b64 v68, v[34:35] offset:2048
	ds_load_b64 v[34:35], v55 offset:40
	s_wait_dscnt 0x0
	ds_store_b64 v68, v[34:35] offset:2560
	;; [unrolled: 3-line block ×4, first 2 shown]
.LBB167_127:                            ;   in Loop: Header=BB167_3 Depth=1
	s_or_b32 exec_lo, exec_lo, s10
	s_wait_dscnt 0x0
	s_barrier_signal -1
	s_barrier_wait -1
	s_and_saveexec_b32 s10, s15
	s_cbranch_execz .LBB167_129
; %bb.128:                              ;   in Loop: Header=BB167_3 Depth=1
	ds_load_b128 v[34:37], v5 offset:2080
	ds_load_b64 v[38:39], v5 offset:2600
	s_wait_dscnt 0x1
	v_dual_mov_b32 v96, v37 :: v_dual_mov_b32 v97, v36
	s_wait_dscnt 0x0
	v_dual_mul_f32 v41, v39, v35 :: v_dual_mul_f32 v40, v38, v35
	s_delay_alu instid0(VALU_DEP_1) | instskip(NEXT) | instid1(VALU_DEP_1)
	v_xor_b32_e32 v98, 0x80000000, v41
	v_dual_fmac_f32 v40, v39, v34 :: v_dual_fmac_f32 v98, v38, v34
	s_delay_alu instid0(VALU_DEP_1) | instskip(NEXT) | instid1(VALU_DEP_1)
	v_pk_mul_f32 v[34:35], v[40:41], v[96:97] op_sel_hi:[0,1]
	v_pk_fma_f32 v[38:39], v[98:99], v[36:37], v[34:35] op_sel_hi:[0,1,1]
	v_pk_fma_f32 v[34:35], v[98:99], v[36:37], v[34:35] neg_lo:[0,0,1] neg_hi:[0,0,1]
	v_add_nc_u32_e64 v36, 0x800, 0
	s_delay_alu instid0(VALU_DEP_3)
	v_mov_b32_e32 v35, v39
	ds_store_2addr_b64 v36, v[34:35], v[34:35] offset0:5 offset1:68
.LBB167_129:                            ;   in Loop: Header=BB167_3 Depth=1
	s_or_b32 exec_lo, exec_lo, s10
	v_mov_b32_e32 v35, 0
	s_wait_dscnt 0x0
	s_barrier_signal -1
	s_barrier_wait -1
	s_delay_alu instid0(VALU_DEP_1)
	v_mov_b32_e32 v34, v35
	s_and_saveexec_b32 s10, s3
	s_cbranch_execz .LBB167_133
; %bb.130:                              ;   in Loop: Header=BB167_3 Depth=1
	ds_load_b64 v[34:35], v43 offset:2096
	ds_load_b64 v[36:37], v44 offset:2080
	s_wait_dscnt 0x0
	v_dual_mul_f32 v38, v37, v35 :: v_dual_mul_f32 v39, v36, v35
	s_delay_alu instid0(VALU_DEP_1) | instskip(NEXT) | instid1(VALU_DEP_1)
	v_dual_fma_f32 v38, v36, v34, -v38 :: v_dual_fmac_f32 v39, v37, v34
	v_pk_add_f32 v[34:35], v[38:39], 0 op_sel_hi:[1,0]
	s_and_saveexec_b32 s56, s16
	s_cbranch_execz .LBB167_132
; %bb.131:                              ;   in Loop: Header=BB167_3 Depth=1
	ds_load_b64 v[36:37], v68 offset:2608
	ds_load_b64 v[38:39], v5 offset:2088
	s_wait_dscnt 0x0
	v_pk_mul_f32 v[40:41], v[38:39], v[36:37] op_sel:[1,1] op_sel_hi:[0,1]
	s_delay_alu instid0(VALU_DEP_1) | instskip(SKIP_1) | instid1(VALU_DEP_2)
	v_pk_fma_f32 v[96:97], v[38:39], v[36:37], v[40:41] op_sel_hi:[1,0,1]
	v_pk_fma_f32 v[36:37], v[38:39], v[36:37], v[40:41] neg_lo:[0,0,1] neg_hi:[0,0,1]
	v_mov_b32_e32 v37, v97
	s_delay_alu instid0(VALU_DEP_1)
	v_pk_add_f32 v[34:35], v[34:35], v[36:37]
.LBB167_132:                            ;   in Loop: Header=BB167_3 Depth=1
	s_or_b32 exec_lo, exec_lo, s56
	s_delay_alu instid0(VALU_DEP_1)
	v_pk_add_f32 v[34:35], v[34:35], 0 neg_lo:[1,1] neg_hi:[1,1]
.LBB167_133:                            ;   in Loop: Header=BB167_3 Depth=1
	s_or_b32 exec_lo, exec_lo, s10
	s_and_saveexec_b32 s10, s95
	s_cbranch_execz .LBB167_135
; %bb.134:                              ;   in Loop: Header=BB167_3 Depth=1
	ds_load_b64 v[36:37], v5 offset:3120
	s_wait_dscnt 0x0
	v_pk_mul_f32 v[38:39], v[34:35], v[36:37] op_sel:[1,1] op_sel_hi:[1,0]
	s_delay_alu instid0(VALU_DEP_1) | instskip(SKIP_1) | instid1(VALU_DEP_2)
	v_pk_fma_f32 v[40:41], v[34:35], v[36:37], v[38:39] op_sel_hi:[0,1,1]
	v_pk_fma_f32 v[36:37], v[34:35], v[36:37], v[38:39] neg_lo:[0,0,1] neg_hi:[0,0,1]
	v_mov_b32_e32 v37, v41
	s_delay_alu instid0(VALU_DEP_1)
	v_mov_b64_e32 v[34:35], v[36:37]
	ds_store_b64 v3, v[36:37]
.LBB167_135:                            ;   in Loop: Header=BB167_3 Depth=1
	s_or_b32 exec_lo, exec_lo, s10
	s_wait_dscnt 0x0
	s_barrier_signal -1
	s_barrier_wait -1
	s_and_saveexec_b32 s10, s96
	s_cbranch_execz .LBB167_137
; %bb.136:                              ;   in Loop: Header=BB167_3 Depth=1
	ds_load_b64 v[36:37], v5 offset:3128
	ds_load_b64 v[38:39], v3
	s_wait_dscnt 0x0
	v_pk_mul_f32 v[40:41], v[38:39], v[36:37] op_sel:[1,1] op_sel_hi:[0,1]
	s_delay_alu instid0(VALU_DEP_1) | instskip(SKIP_1) | instid1(VALU_DEP_2)
	v_pk_fma_f32 v[96:97], v[38:39], v[36:37], v[40:41] op_sel_hi:[1,0,1]
	v_pk_fma_f32 v[36:37], v[38:39], v[36:37], v[40:41] neg_lo:[0,0,1] neg_hi:[0,0,1]
	v_mov_b32_e32 v37, v97
	s_delay_alu instid0(VALU_DEP_1)
	v_pk_add_f32 v[34:35], v[34:35], v[36:37]
.LBB167_137:                            ;   in Loop: Header=BB167_3 Depth=1
	s_or_b32 exec_lo, exec_lo, s10
	s_barrier_signal -1
	s_barrier_wait -1
	s_and_saveexec_b32 s10, s96
	s_cbranch_execz .LBB167_139
; %bb.138:                              ;   in Loop: Header=BB167_3 Depth=1
	ds_load_b64 v[36:37], v5 offset:3640
	s_wait_dscnt 0x0
	v_pk_mul_f32 v[38:39], v[34:35], v[36:37] op_sel:[1,1] op_sel_hi:[1,0]
	s_delay_alu instid0(VALU_DEP_1) | instskip(SKIP_1) | instid1(VALU_DEP_2)
	v_pk_fma_f32 v[40:41], v[34:35], v[36:37], v[38:39] op_sel_hi:[0,1,1]
	v_pk_fma_f32 v[36:37], v[34:35], v[36:37], v[38:39] neg_lo:[0,0,1] neg_hi:[0,0,1]
	v_mov_b32_e32 v37, v41
	s_delay_alu instid0(VALU_DEP_1)
	v_mov_b64_e32 v[34:35], v[36:37]
	ds_store_b64 v3, v[36:37]
.LBB167_139:                            ;   in Loop: Header=BB167_3 Depth=1
	s_or_b32 exec_lo, exec_lo, s10
	s_wait_dscnt 0x0
	s_barrier_signal -1
	s_barrier_wait -1
	s_barrier_signal -1
	s_barrier_wait -1
	s_and_saveexec_b32 s10, s3
; %bb.140:                              ;   in Loop: Header=BB167_3 Depth=1
	v_pk_add_f32 v[34:35], v[34:35], 0 neg_lo:[1,1] neg_hi:[1,1]
	ds_store_b64 v43, v[34:35] offset:2096
; %bb.141:                              ;   in Loop: Header=BB167_3 Depth=1
	s_or_b32 exec_lo, exec_lo, s10
	s_wait_dscnt 0x0
	s_barrier_signal -1
	s_barrier_wait -1
	s_barrier_signal -1
	s_barrier_wait -1
	s_and_saveexec_b32 s10, s97
	s_cbranch_execz .LBB167_143
; %bb.142:                              ;   in Loop: Header=BB167_3 Depth=1
	ds_load_b64 v[34:35], v69 offset:2096
	s_wait_dscnt 0x0
	ds_store_b64 v68, v[34:35] offset:3104
	ds_load_b64 v[34:35], v69 offset:2104
	s_wait_dscnt 0x0
	ds_store_b64 v68, v[34:35] offset:3616
.LBB167_143:                            ;   in Loop: Header=BB167_3 Depth=1
	s_or_b32 exec_lo, exec_lo, s10
	s_wait_dscnt 0x0
	s_barrier_signal -1
	s_barrier_wait -1
	s_and_saveexec_b32 s10, s15
	s_cbranch_execz .LBB167_145
; %bb.144:                              ;   in Loop: Header=BB167_3 Depth=1
	ds_load_b128 v[34:37], v5 offset:3120
	ds_load_b64 v[38:39], v5 offset:3640
	s_wait_dscnt 0x1
	v_dual_mov_b32 v96, v37 :: v_dual_mov_b32 v97, v36
	s_wait_dscnt 0x0
	v_dual_mul_f32 v41, v39, v35 :: v_dual_mul_f32 v40, v38, v35
	s_delay_alu instid0(VALU_DEP_1) | instskip(NEXT) | instid1(VALU_DEP_1)
	v_xor_b32_e32 v98, 0x80000000, v41
	v_dual_fmac_f32 v40, v39, v34 :: v_dual_fmac_f32 v98, v38, v34
	s_delay_alu instid0(VALU_DEP_1) | instskip(NEXT) | instid1(VALU_DEP_1)
	v_pk_mul_f32 v[34:35], v[40:41], v[96:97] op_sel_hi:[0,1]
	v_pk_fma_f32 v[38:39], v[98:99], v[36:37], v[34:35] op_sel_hi:[0,1,1]
	v_pk_fma_f32 v[34:35], v[98:99], v[36:37], v[34:35] neg_lo:[0,0,1] neg_hi:[0,0,1]
	v_add_nc_u32_e64 v36, 0x800, 0
	s_delay_alu instid0(VALU_DEP_3)
	v_mov_b32_e32 v35, v39
	ds_store_2addr_b64 v36, v[34:35], v[34:35] offset0:135 offset1:198
.LBB167_145:                            ;   in Loop: Header=BB167_3 Depth=1
	s_or_b32 exec_lo, exec_lo, s10
	v_mov_b32_e32 v34, 0
	s_wait_dscnt 0x0
	s_barrier_signal -1
	s_barrier_wait -1
	s_delay_alu instid0(VALU_DEP_1)
	v_mov_b32_e32 v35, v34
	s_and_saveexec_b32 s10, s6
	s_cbranch_execz .LBB167_155
; %bb.146:                              ;   in Loop: Header=BB167_3 Depth=1
	ds_load_b64 v[34:35], v58 offset:64
	ds_load_b64 v[36:37], v54
	s_wait_dscnt 0x0
	v_dual_mul_f32 v38, v37, v35 :: v_dual_mul_f32 v39, v36, v35
	s_delay_alu instid0(VALU_DEP_1) | instskip(NEXT) | instid1(VALU_DEP_1)
	v_dual_fma_f32 v35, v36, v34, -v38 :: v_dual_fmac_f32 v39, v37, v34
	v_add_f32_e32 v35, 0, v35
	s_delay_alu instid0(VALU_DEP_2)
	v_add_f32_e32 v34, 0, v39
	s_and_saveexec_b32 s56, s19
	s_cbranch_execnz .LBB167_1112
; %bb.147:                              ;   in Loop: Header=BB167_3 Depth=1
	s_or_b32 exec_lo, exec_lo, s56
	s_and_saveexec_b32 s56, s20
	s_cbranch_execnz .LBB167_1113
.LBB167_148:                            ;   in Loop: Header=BB167_3 Depth=1
	s_or_b32 exec_lo, exec_lo, s56
	s_and_saveexec_b32 s56, s21
	s_cbranch_execnz .LBB167_1114
.LBB167_149:                            ;   in Loop: Header=BB167_3 Depth=1
	s_or_b32 exec_lo, exec_lo, s56
	s_and_saveexec_b32 s56, s22
	s_cbranch_execnz .LBB167_1115
.LBB167_150:                            ;   in Loop: Header=BB167_3 Depth=1
	s_or_b32 exec_lo, exec_lo, s56
	s_and_saveexec_b32 s56, s23
	s_cbranch_execnz .LBB167_1116
.LBB167_151:                            ;   in Loop: Header=BB167_3 Depth=1
	s_or_b32 exec_lo, exec_lo, s56
	s_and_saveexec_b32 s56, s5
	s_cbranch_execnz .LBB167_1117
.LBB167_152:                            ;   in Loop: Header=BB167_3 Depth=1
	s_or_b32 exec_lo, exec_lo, s56
	s_and_saveexec_b32 s56, s18
	s_cbranch_execz .LBB167_154
.LBB167_153:                            ;   in Loop: Header=BB167_3 Depth=1
	ds_load_b64 v[36:37], v70 offset:3648
	ds_load_b64 v[38:39], v5 offset:56
	s_wait_dscnt 0x0
	v_pk_mul_f32 v[40:41], v[38:39], v[36:37] op_sel:[0,1]
	s_delay_alu instid0(VALU_DEP_1) | instskip(SKIP_1) | instid1(VALU_DEP_2)
	v_pk_fma_f32 v[96:97], v[38:39], v[36:37], v[40:41] op_sel:[1,0,0] op_sel_hi:[0,0,1] neg_lo:[0,0,1] neg_hi:[0,0,1]
	v_pk_fma_f32 v[36:37], v[38:39], v[36:37], v[40:41] op_sel:[1,0,0] op_sel_hi:[0,1,1]
	v_mov_b32_e32 v37, v97
	s_delay_alu instid0(VALU_DEP_1)
	v_pk_add_f32 v[34:35], v[34:35], v[36:37]
.LBB167_154:                            ;   in Loop: Header=BB167_3 Depth=1
	s_or_b32 exec_lo, exec_lo, s56
	s_delay_alu instid0(VALU_DEP_1) | instskip(NEXT) | instid1(VALU_DEP_1)
	v_pk_add_f32 v[36:37], v[34:35], 0 neg_lo:[1,1] neg_hi:[1,1]
	v_dual_mov_b32 v34, v37 :: v_dual_mov_b32 v35, v36
.LBB167_155:                            ;   in Loop: Header=BB167_3 Depth=1
	s_or_b32 exec_lo, exec_lo, s10
	s_and_saveexec_b32 s10, vcc_hi
	s_cbranch_execz .LBB167_157
; %bb.156:                              ;   in Loop: Header=BB167_3 Depth=1
	ds_load_b64 v[36:37], v5 offset:4160
	v_dual_mov_b32 v38, v35 :: v_dual_mov_b32 v39, v34
	s_wait_dscnt 0x0
	s_delay_alu instid0(VALU_DEP_1) | instskip(NEXT) | instid1(VALU_DEP_1)
	v_dual_mul_f32 v40, v38, v36 :: v_dual_mul_f32 v96, v35, v37
	v_pk_fma_f32 v[38:39], v[38:39], v[36:37], v[40:41] op_sel_hi:[1,1,0]
	s_delay_alu instid0(VALU_DEP_2) | instskip(NEXT) | instid1(VALU_DEP_2)
	v_pk_fma_f32 v[34:35], v[34:35], v[36:37], v[96:97] op_sel_hi:[1,1,0] neg_lo:[0,0,1] neg_hi:[0,0,1]
	v_mov_b32_e32 v35, v39
	ds_store_b64 v57, v[34:35]
.LBB167_157:                            ;   in Loop: Header=BB167_3 Depth=1
	s_or_b32 exec_lo, exec_lo, s10
	s_wait_dscnt 0x0
	s_barrier_signal -1
	s_barrier_wait -1
	s_and_saveexec_b32 s10, s39
	s_cbranch_execz .LBB167_159
; %bb.158:                              ;   in Loop: Header=BB167_3 Depth=1
	ds_load_b64 v[36:37], v56 offset:4160
	ds_load_b64 v[38:39], v57
	s_wait_dscnt 0x0
	v_dual_mul_f32 v40, v39, v37 :: v_dual_mul_f32 v41, v38, v37
	s_delay_alu instid0(VALU_DEP_1) | instskip(NEXT) | instid1(VALU_DEP_1)
	v_dual_fma_f32 v40, v38, v36, -v40 :: v_dual_fmac_f32 v41, v39, v36
	v_pk_add_f32 v[34:35], v[34:35], v[40:41]
.LBB167_159:                            ;   in Loop: Header=BB167_3 Depth=1
	s_or_b32 exec_lo, exec_lo, s10
	s_barrier_signal -1
	s_barrier_wait -1
	s_and_saveexec_b32 s10, s40
	s_cbranch_execz .LBB167_161
; %bb.160:                              ;   in Loop: Header=BB167_3 Depth=1
	ds_load_b64 v[36:37], v5 offset:4680
	s_wait_dscnt 0x0
	v_pk_mul_f32 v[38:39], v[34:35], v[36:37] op_sel:[1,1] op_sel_hi:[1,0]
	s_delay_alu instid0(VALU_DEP_1) | instskip(SKIP_1) | instid1(VALU_DEP_2)
	v_pk_fma_f32 v[40:41], v[34:35], v[36:37], v[38:39] op_sel_hi:[0,1,1]
	v_pk_fma_f32 v[34:35], v[34:35], v[36:37], v[38:39] op_sel_hi:[0,1,1] neg_lo:[0,0,1] neg_hi:[0,0,1]
	v_mov_b32_e32 v35, v41
	ds_store_b64 v57, v[34:35]
.LBB167_161:                            ;   in Loop: Header=BB167_3 Depth=1
	s_or_b32 exec_lo, exec_lo, s10
	s_wait_dscnt 0x0
	s_barrier_signal -1
	s_barrier_wait -1
	s_and_saveexec_b32 s10, s41
	s_cbranch_execz .LBB167_163
; %bb.162:                              ;   in Loop: Header=BB167_3 Depth=1
	ds_load_b64 v[36:37], v56 offset:4672
	ds_load_b64 v[38:39], v57
	s_wait_dscnt 0x0
	v_pk_mul_f32 v[40:41], v[38:39], v[36:37] op_sel:[1,1] op_sel_hi:[0,1]
	s_delay_alu instid0(VALU_DEP_1) | instskip(SKIP_1) | instid1(VALU_DEP_2)
	v_pk_fma_f32 v[96:97], v[38:39], v[36:37], v[40:41] op_sel_hi:[1,0,1]
	v_pk_fma_f32 v[36:37], v[38:39], v[36:37], v[40:41] op_sel_hi:[1,0,1] neg_lo:[0,0,1] neg_hi:[0,0,1]
	v_mov_b32_e32 v37, v97
	s_delay_alu instid0(VALU_DEP_1)
	v_pk_add_f32 v[34:35], v[34:35], v[36:37]
.LBB167_163:                            ;   in Loop: Header=BB167_3 Depth=1
	s_or_b32 exec_lo, exec_lo, s10
	s_barrier_signal -1
	s_barrier_wait -1
	s_and_saveexec_b32 s10, s42
	s_cbranch_execz .LBB167_165
; %bb.164:                              ;   in Loop: Header=BB167_3 Depth=1
	ds_load_b64 v[36:37], v5 offset:5200
	s_wait_dscnt 0x0
	v_pk_mul_f32 v[38:39], v[34:35], v[36:37] op_sel:[1,1] op_sel_hi:[1,0]
	s_delay_alu instid0(VALU_DEP_1) | instskip(SKIP_1) | instid1(VALU_DEP_2)
	v_pk_fma_f32 v[40:41], v[34:35], v[36:37], v[38:39] op_sel_hi:[0,1,1]
	v_pk_fma_f32 v[34:35], v[34:35], v[36:37], v[38:39] op_sel_hi:[0,1,1] neg_lo:[0,0,1] neg_hi:[0,0,1]
	v_mov_b32_e32 v35, v41
	ds_store_b64 v57, v[34:35]
.LBB167_165:                            ;   in Loop: Header=BB167_3 Depth=1
	s_or_b32 exec_lo, exec_lo, s10
	s_wait_dscnt 0x0
	s_barrier_signal -1
	s_barrier_wait -1
	s_and_saveexec_b32 s10, s43
	s_cbranch_execz .LBB167_167
; %bb.166:                              ;   in Loop: Header=BB167_3 Depth=1
	ds_load_b64 v[36:37], v56 offset:5184
	ds_load_b64 v[38:39], v57
	s_wait_dscnt 0x0
	v_pk_mul_f32 v[40:41], v[38:39], v[36:37] op_sel:[1,1] op_sel_hi:[0,1]
	s_delay_alu instid0(VALU_DEP_1) | instskip(SKIP_1) | instid1(VALU_DEP_2)
	v_pk_fma_f32 v[96:97], v[38:39], v[36:37], v[40:41] op_sel_hi:[1,0,1]
	v_pk_fma_f32 v[36:37], v[38:39], v[36:37], v[40:41] op_sel_hi:[1,0,1] neg_lo:[0,0,1] neg_hi:[0,0,1]
	v_mov_b32_e32 v37, v97
	s_delay_alu instid0(VALU_DEP_1)
	v_pk_add_f32 v[34:35], v[34:35], v[36:37]
.LBB167_167:                            ;   in Loop: Header=BB167_3 Depth=1
	;; [unrolled: 33-line block ×3, first 2 shown]
	s_or_b32 exec_lo, exec_lo, s10
	s_barrier_signal -1
	s_barrier_wait -1
	s_and_saveexec_b32 s10, s46
	s_cbranch_execz .LBB167_173
; %bb.172:                              ;   in Loop: Header=BB167_3 Depth=1
	ds_load_b64 v[36:37], v5 offset:6240
	s_wait_dscnt 0x0
	v_dual_mul_f32 v38, v34, v37 :: v_dual_mul_f32 v40, v35, v37
	s_delay_alu instid0(VALU_DEP_1) | instskip(NEXT) | instid1(VALU_DEP_2)
	v_pk_fma_f32 v[38:39], v[34:35], v[36:37], v[38:39] op_sel:[0,1,0] op_sel_hi:[1,0,0]
	v_pk_fma_f32 v[36:37], v[34:35], v[36:37], v[40:41] op_sel_hi:[1,1,0] neg_lo:[0,0,1] neg_hi:[0,0,1]
	s_delay_alu instid0(VALU_DEP_2) | instskip(NEXT) | instid1(VALU_DEP_1)
	v_mov_b32_e32 v37, v39
	v_mov_b64_e32 v[34:35], v[36:37]
	ds_store_b64 v57, v[36:37]
.LBB167_173:                            ;   in Loop: Header=BB167_3 Depth=1
	s_or_b32 exec_lo, exec_lo, s10
	s_wait_dscnt 0x0
	s_barrier_signal -1
	s_barrier_wait -1
	s_and_saveexec_b32 s10, s47
	s_cbranch_execz .LBB167_175
; %bb.174:                              ;   in Loop: Header=BB167_3 Depth=1
	ds_load_b64 v[36:37], v56 offset:6208
	ds_load_b64 v[38:39], v57
	s_wait_dscnt 0x0
	v_dual_mul_f32 v40, v39, v37 :: v_dual_mul_f32 v41, v38, v37
	s_delay_alu instid0(VALU_DEP_1) | instskip(NEXT) | instid1(VALU_DEP_1)
	v_dual_fma_f32 v40, v38, v36, -v40 :: v_dual_fmac_f32 v41, v39, v36
	v_pk_add_f32 v[34:35], v[34:35], v[40:41]
.LBB167_175:                            ;   in Loop: Header=BB167_3 Depth=1
	s_or_b32 exec_lo, exec_lo, s10
	s_barrier_signal -1
	s_barrier_wait -1
	s_and_saveexec_b32 s10, s48
	s_cbranch_execz .LBB167_177
; %bb.176:                              ;   in Loop: Header=BB167_3 Depth=1
	ds_load_b64 v[36:37], v5 offset:6760
	s_wait_dscnt 0x0
	v_pk_mul_f32 v[38:39], v[34:35], v[36:37] op_sel:[1,1] op_sel_hi:[1,0]
	s_delay_alu instid0(VALU_DEP_1) | instskip(SKIP_1) | instid1(VALU_DEP_2)
	v_pk_fma_f32 v[40:41], v[34:35], v[36:37], v[38:39] op_sel_hi:[0,1,1]
	v_pk_fma_f32 v[36:37], v[34:35], v[36:37], v[38:39] neg_lo:[0,0,1] neg_hi:[0,0,1]
	v_mov_b32_e32 v37, v41
	s_delay_alu instid0(VALU_DEP_1)
	v_mov_b64_e32 v[34:35], v[36:37]
	ds_store_b64 v57, v[36:37]
.LBB167_177:                            ;   in Loop: Header=BB167_3 Depth=1
	s_or_b32 exec_lo, exec_lo, s10
	s_wait_dscnt 0x0
	s_barrier_signal -1
	s_barrier_wait -1
	s_and_saveexec_b32 s10, s49
	s_cbranch_execz .LBB167_179
; %bb.178:                              ;   in Loop: Header=BB167_3 Depth=1
	ds_load_b64 v[36:37], v56 offset:6720
	ds_load_b64 v[38:39], v57
	s_wait_dscnt 0x0
	v_pk_mul_f32 v[40:41], v[38:39], v[36:37] op_sel:[1,1] op_sel_hi:[0,1]
	s_delay_alu instid0(VALU_DEP_1) | instskip(SKIP_1) | instid1(VALU_DEP_2)
	v_pk_fma_f32 v[96:97], v[38:39], v[36:37], v[40:41] op_sel_hi:[1,0,1]
	v_pk_fma_f32 v[36:37], v[38:39], v[36:37], v[40:41] neg_lo:[0,0,1] neg_hi:[0,0,1]
	v_mov_b32_e32 v37, v97
	s_delay_alu instid0(VALU_DEP_1)
	v_pk_add_f32 v[34:35], v[34:35], v[36:37]
.LBB167_179:                            ;   in Loop: Header=BB167_3 Depth=1
	s_or_b32 exec_lo, exec_lo, s10
	s_barrier_signal -1
	s_barrier_wait -1
	s_and_saveexec_b32 s10, s50
	s_cbranch_execz .LBB167_181
; %bb.180:                              ;   in Loop: Header=BB167_3 Depth=1
	ds_load_b64 v[36:37], v5 offset:7280
	s_wait_dscnt 0x0
	v_pk_mul_f32 v[38:39], v[34:35], v[36:37] op_sel:[1,1] op_sel_hi:[1,0]
	s_delay_alu instid0(VALU_DEP_1) | instskip(SKIP_1) | instid1(VALU_DEP_2)
	v_pk_fma_f32 v[40:41], v[34:35], v[36:37], v[38:39] op_sel_hi:[0,1,1]
	v_pk_fma_f32 v[36:37], v[34:35], v[36:37], v[38:39] neg_lo:[0,0,1] neg_hi:[0,0,1]
	v_mov_b32_e32 v37, v41
	s_delay_alu instid0(VALU_DEP_1)
	v_mov_b64_e32 v[34:35], v[36:37]
	ds_store_b64 v57, v[36:37]
.LBB167_181:                            ;   in Loop: Header=BB167_3 Depth=1
	s_or_b32 exec_lo, exec_lo, s10
	s_wait_dscnt 0x0
	s_barrier_signal -1
	s_barrier_wait -1
	s_and_saveexec_b32 s10, s51
	s_cbranch_execz .LBB167_183
; %bb.182:                              ;   in Loop: Header=BB167_3 Depth=1
	ds_load_b64 v[36:37], v5 offset:7288
	ds_load_b64 v[38:39], v57
	s_wait_dscnt 0x0
	v_pk_mul_f32 v[40:41], v[38:39], v[36:37] op_sel:[1,1] op_sel_hi:[0,1]
	s_delay_alu instid0(VALU_DEP_1) | instskip(SKIP_1) | instid1(VALU_DEP_2)
	v_pk_fma_f32 v[96:97], v[38:39], v[36:37], v[40:41] op_sel_hi:[1,0,1]
	v_pk_fma_f32 v[36:37], v[38:39], v[36:37], v[40:41] neg_lo:[0,0,1] neg_hi:[0,0,1]
	v_mov_b32_e32 v37, v97
	s_delay_alu instid0(VALU_DEP_1)
	v_pk_add_f32 v[34:35], v[34:35], v[36:37]
.LBB167_183:                            ;   in Loop: Header=BB167_3 Depth=1
	s_or_b32 exec_lo, exec_lo, s10
	s_barrier_signal -1
	s_barrier_wait -1
	s_and_saveexec_b32 s10, s51
	s_cbranch_execz .LBB167_185
; %bb.184:                              ;   in Loop: Header=BB167_3 Depth=1
	ds_load_b64 v[36:37], v5 offset:7800
	s_wait_dscnt 0x0
	v_pk_mul_f32 v[38:39], v[34:35], v[36:37] op_sel:[1,1] op_sel_hi:[1,0]
	s_delay_alu instid0(VALU_DEP_1) | instskip(SKIP_1) | instid1(VALU_DEP_2)
	v_pk_fma_f32 v[40:41], v[34:35], v[36:37], v[38:39] op_sel_hi:[0,1,1]
	v_pk_fma_f32 v[36:37], v[34:35], v[36:37], v[38:39] neg_lo:[0,0,1] neg_hi:[0,0,1]
	v_mov_b32_e32 v37, v41
	s_delay_alu instid0(VALU_DEP_1)
	v_mov_b64_e32 v[34:35], v[36:37]
	ds_store_b64 v57, v[36:37]
.LBB167_185:                            ;   in Loop: Header=BB167_3 Depth=1
	s_or_b32 exec_lo, exec_lo, s10
	s_wait_dscnt 0x0
	s_barrier_signal -1
	s_barrier_wait -1
	s_barrier_signal -1
	s_barrier_wait -1
	s_and_saveexec_b32 s10, s6
; %bb.186:                              ;   in Loop: Header=BB167_3 Depth=1
	v_pk_add_f32 v[34:35], v[34:35], 0 neg_lo:[1,1] neg_hi:[1,1]
	ds_store_b64 v58, v[34:35] offset:64
; %bb.187:                              ;   in Loop: Header=BB167_3 Depth=1
	s_or_b32 exec_lo, exec_lo, s10
	s_wait_dscnt 0x0
	s_barrier_signal -1
	s_barrier_wait -1
	s_barrier_signal -1
	s_barrier_wait -1
	s_and_saveexec_b32 s10, s52
	s_cbranch_execz .LBB167_189
; %bb.188:                              ;   in Loop: Header=BB167_3 Depth=1
	ds_load_b64 v[34:35], v71 offset:64
	s_wait_dscnt 0x0
	ds_store_b64 v73, v[34:35] offset:4096
	ds_load_b64 v[34:35], v71 offset:72
	s_wait_dscnt 0x0
	ds_store_b64 v73, v[34:35] offset:4608
	;; [unrolled: 3-line block ×8, first 2 shown]
.LBB167_189:                            ;   in Loop: Header=BB167_3 Depth=1
	s_or_b32 exec_lo, exec_lo, s10
	s_wait_dscnt 0x0
	s_barrier_signal -1
	s_barrier_wait -1
	s_and_saveexec_b32 s10, s15
	s_cbranch_execz .LBB167_191
; %bb.190:                              ;   in Loop: Header=BB167_3 Depth=1
	ds_load_b128 v[34:37], v5 offset:4160
	ds_load_b64 v[38:39], v5 offset:4680
	s_wait_dscnt 0x1
	v_dual_mov_b32 v96, v37 :: v_dual_mov_b32 v97, v36
	s_wait_dscnt 0x0
	v_dual_mul_f32 v41, v39, v35 :: v_dual_mul_f32 v40, v38, v35
	s_delay_alu instid0(VALU_DEP_1) | instskip(NEXT) | instid1(VALU_DEP_1)
	v_xor_b32_e32 v98, 0x80000000, v41
	v_dual_fmac_f32 v40, v39, v34 :: v_dual_fmac_f32 v98, v38, v34
	s_delay_alu instid0(VALU_DEP_1) | instskip(NEXT) | instid1(VALU_DEP_1)
	v_pk_mul_f32 v[34:35], v[40:41], v[96:97] op_sel_hi:[0,1]
	v_pk_fma_f32 v[38:39], v[98:99], v[36:37], v[34:35] op_sel_hi:[0,1,1]
	v_pk_fma_f32 v[34:35], v[98:99], v[36:37], v[34:35] neg_lo:[0,0,1] neg_hi:[0,0,1]
	v_add_nc_u32_e64 v36, 0x1000, 0
	s_delay_alu instid0(VALU_DEP_3)
	v_mov_b32_e32 v35, v39
	ds_store_2addr_b64 v36, v[34:35], v[34:35] offset0:9 offset1:72
.LBB167_191:                            ;   in Loop: Header=BB167_3 Depth=1
	s_or_b32 exec_lo, exec_lo, s10
	v_mov_b32_e32 v35, 0
	s_wait_dscnt 0x0
	s_barrier_signal -1
	s_barrier_wait -1
	s_delay_alu instid0(VALU_DEP_1)
	v_mov_b32_e32 v34, v35
	s_and_saveexec_b32 s10, s3
	s_cbranch_execz .LBB167_195
; %bb.192:                              ;   in Loop: Header=BB167_3 Depth=1
	ds_load_b64 v[34:35], v43 offset:4176
	ds_load_b64 v[36:37], v44 offset:4160
	s_wait_dscnt 0x0
	v_dual_mul_f32 v38, v37, v35 :: v_dual_mul_f32 v39, v36, v35
	s_delay_alu instid0(VALU_DEP_1) | instskip(NEXT) | instid1(VALU_DEP_1)
	v_dual_fma_f32 v38, v36, v34, -v38 :: v_dual_fmac_f32 v39, v37, v34
	v_pk_add_f32 v[34:35], v[38:39], 0 op_sel_hi:[1,0]
	s_and_saveexec_b32 s56, s16
	s_cbranch_execz .LBB167_194
; %bb.193:                              ;   in Loop: Header=BB167_3 Depth=1
	ds_load_b64 v[36:37], v73 offset:4688
	ds_load_b64 v[38:39], v5 offset:4168
	s_wait_dscnt 0x0
	v_pk_mul_f32 v[40:41], v[38:39], v[36:37] op_sel:[1,1] op_sel_hi:[0,1]
	s_delay_alu instid0(VALU_DEP_1) | instskip(SKIP_1) | instid1(VALU_DEP_2)
	v_pk_fma_f32 v[96:97], v[38:39], v[36:37], v[40:41] op_sel_hi:[1,0,1]
	v_pk_fma_f32 v[36:37], v[38:39], v[36:37], v[40:41] neg_lo:[0,0,1] neg_hi:[0,0,1]
	v_mov_b32_e32 v37, v97
	s_delay_alu instid0(VALU_DEP_1)
	v_pk_add_f32 v[34:35], v[34:35], v[36:37]
.LBB167_194:                            ;   in Loop: Header=BB167_3 Depth=1
	s_or_b32 exec_lo, exec_lo, s56
	s_delay_alu instid0(VALU_DEP_1)
	v_pk_add_f32 v[34:35], v[34:35], 0 neg_lo:[1,1] neg_hi:[1,1]
.LBB167_195:                            ;   in Loop: Header=BB167_3 Depth=1
	s_or_b32 exec_lo, exec_lo, s10
	s_and_saveexec_b32 s10, s95
	s_cbranch_execz .LBB167_197
; %bb.196:                              ;   in Loop: Header=BB167_3 Depth=1
	ds_load_b64 v[36:37], v5 offset:5200
	s_wait_dscnt 0x0
	v_pk_mul_f32 v[38:39], v[34:35], v[36:37] op_sel:[1,1] op_sel_hi:[1,0]
	s_delay_alu instid0(VALU_DEP_1) | instskip(SKIP_1) | instid1(VALU_DEP_2)
	v_pk_fma_f32 v[40:41], v[34:35], v[36:37], v[38:39] op_sel_hi:[0,1,1]
	v_pk_fma_f32 v[36:37], v[34:35], v[36:37], v[38:39] neg_lo:[0,0,1] neg_hi:[0,0,1]
	v_mov_b32_e32 v37, v41
	s_delay_alu instid0(VALU_DEP_1)
	v_mov_b64_e32 v[34:35], v[36:37]
	ds_store_b64 v3, v[36:37]
.LBB167_197:                            ;   in Loop: Header=BB167_3 Depth=1
	s_or_b32 exec_lo, exec_lo, s10
	s_wait_dscnt 0x0
	s_barrier_signal -1
	s_barrier_wait -1
	s_and_saveexec_b32 s10, s96
	s_cbranch_execz .LBB167_199
; %bb.198:                              ;   in Loop: Header=BB167_3 Depth=1
	ds_load_b64 v[36:37], v5 offset:5208
	ds_load_b64 v[38:39], v3
	s_wait_dscnt 0x0
	v_pk_mul_f32 v[40:41], v[38:39], v[36:37] op_sel:[1,1] op_sel_hi:[0,1]
	s_delay_alu instid0(VALU_DEP_1) | instskip(SKIP_1) | instid1(VALU_DEP_2)
	v_pk_fma_f32 v[96:97], v[38:39], v[36:37], v[40:41] op_sel_hi:[1,0,1]
	v_pk_fma_f32 v[36:37], v[38:39], v[36:37], v[40:41] neg_lo:[0,0,1] neg_hi:[0,0,1]
	v_mov_b32_e32 v37, v97
	s_delay_alu instid0(VALU_DEP_1)
	v_pk_add_f32 v[34:35], v[34:35], v[36:37]
.LBB167_199:                            ;   in Loop: Header=BB167_3 Depth=1
	s_or_b32 exec_lo, exec_lo, s10
	s_barrier_signal -1
	s_barrier_wait -1
	s_and_saveexec_b32 s10, s96
	s_cbranch_execz .LBB167_201
; %bb.200:                              ;   in Loop: Header=BB167_3 Depth=1
	ds_load_b64 v[36:37], v5 offset:5720
	s_wait_dscnt 0x0
	v_pk_mul_f32 v[38:39], v[34:35], v[36:37] op_sel:[1,1] op_sel_hi:[1,0]
	s_delay_alu instid0(VALU_DEP_1) | instskip(SKIP_1) | instid1(VALU_DEP_2)
	v_pk_fma_f32 v[40:41], v[34:35], v[36:37], v[38:39] op_sel_hi:[0,1,1]
	v_pk_fma_f32 v[36:37], v[34:35], v[36:37], v[38:39] neg_lo:[0,0,1] neg_hi:[0,0,1]
	v_mov_b32_e32 v37, v41
	s_delay_alu instid0(VALU_DEP_1)
	v_mov_b64_e32 v[34:35], v[36:37]
	ds_store_b64 v3, v[36:37]
.LBB167_201:                            ;   in Loop: Header=BB167_3 Depth=1
	s_or_b32 exec_lo, exec_lo, s10
	s_wait_dscnt 0x0
	s_barrier_signal -1
	s_barrier_wait -1
	s_barrier_signal -1
	s_barrier_wait -1
	s_and_saveexec_b32 s10, s3
; %bb.202:                              ;   in Loop: Header=BB167_3 Depth=1
	v_pk_add_f32 v[34:35], v[34:35], 0 neg_lo:[1,1] neg_hi:[1,1]
	ds_store_b64 v43, v[34:35] offset:4176
; %bb.203:                              ;   in Loop: Header=BB167_3 Depth=1
	s_or_b32 exec_lo, exec_lo, s10
	s_wait_dscnt 0x0
	s_barrier_signal -1
	s_barrier_wait -1
	s_barrier_signal -1
	s_barrier_wait -1
	s_and_saveexec_b32 s10, s97
	s_cbranch_execz .LBB167_205
; %bb.204:                              ;   in Loop: Header=BB167_3 Depth=1
	ds_load_b64 v[34:35], v74 offset:4176
	s_wait_dscnt 0x0
	ds_store_b64 v73, v[34:35] offset:5184
	ds_load_b64 v[34:35], v74 offset:4184
	s_wait_dscnt 0x0
	ds_store_b64 v73, v[34:35] offset:5696
.LBB167_205:                            ;   in Loop: Header=BB167_3 Depth=1
	s_or_b32 exec_lo, exec_lo, s10
	s_wait_dscnt 0x0
	s_barrier_signal -1
	s_barrier_wait -1
	s_and_saveexec_b32 s10, s15
	s_cbranch_execz .LBB167_207
; %bb.206:                              ;   in Loop: Header=BB167_3 Depth=1
	ds_load_b128 v[34:37], v5 offset:5200
	ds_load_b64 v[38:39], v5 offset:5720
	s_wait_dscnt 0x1
	v_dual_mov_b32 v96, v37 :: v_dual_mov_b32 v97, v36
	s_wait_dscnt 0x0
	v_dual_mul_f32 v41, v39, v35 :: v_dual_mul_f32 v40, v38, v35
	s_delay_alu instid0(VALU_DEP_1) | instskip(NEXT) | instid1(VALU_DEP_1)
	v_xor_b32_e32 v98, 0x80000000, v41
	v_dual_fmac_f32 v40, v39, v34 :: v_dual_fmac_f32 v98, v38, v34
	s_delay_alu instid0(VALU_DEP_1) | instskip(NEXT) | instid1(VALU_DEP_1)
	v_pk_mul_f32 v[34:35], v[40:41], v[96:97] op_sel_hi:[0,1]
	v_pk_fma_f32 v[38:39], v[98:99], v[36:37], v[34:35] op_sel_hi:[0,1,1]
	v_pk_fma_f32 v[34:35], v[98:99], v[36:37], v[34:35] neg_lo:[0,0,1] neg_hi:[0,0,1]
	v_add_nc_u32_e64 v36, 0x1000, 0
	s_delay_alu instid0(VALU_DEP_3)
	v_mov_b32_e32 v35, v39
	ds_store_2addr_b64 v36, v[34:35], v[34:35] offset0:139 offset1:202
.LBB167_207:                            ;   in Loop: Header=BB167_3 Depth=1
	s_or_b32 exec_lo, exec_lo, s10
	v_mov_b32_e32 v34, 0
	s_wait_dscnt 0x0
	s_barrier_signal -1
	s_barrier_wait -1
	s_delay_alu instid0(VALU_DEP_1)
	v_mov_b32_e32 v35, v34
	s_and_saveexec_b32 s10, s5
	s_cbranch_execz .LBB167_213
; %bb.208:                              ;   in Loop: Header=BB167_3 Depth=1
	ds_load_b64 v[34:35], v50 offset:4192
	ds_load_b64 v[36:37], v46 offset:4160
	s_wait_dscnt 0x0
	v_pk_mul_f32 v[38:39], v[36:37], v[34:35] op_sel:[0,1]
	s_delay_alu instid0(VALU_DEP_1) | instskip(SKIP_1) | instid1(VALU_DEP_2)
	v_pk_fma_f32 v[40:41], v[36:37], v[34:35], v[38:39] op_sel:[1,0,0] op_sel_hi:[0,0,1] neg_lo:[0,0,1] neg_hi:[0,0,1]
	v_pk_fma_f32 v[34:35], v[36:37], v[34:35], v[38:39] op_sel:[1,0,0] op_sel_hi:[0,1,1]
	v_mov_b32_e32 v35, v41
	s_delay_alu instid0(VALU_DEP_1)
	v_pk_add_f32 v[34:35], v[34:35], 0 op_sel_hi:[1,0]
	s_and_saveexec_b32 s56, s17
	s_cbranch_execnz .LBB167_1118
; %bb.209:                              ;   in Loop: Header=BB167_3 Depth=1
	s_or_b32 exec_lo, exec_lo, s56
	s_and_saveexec_b32 s56, s18
	s_cbranch_execnz .LBB167_1119
.LBB167_210:                            ;   in Loop: Header=BB167_3 Depth=1
	s_or_b32 exec_lo, exec_lo, s56
	s_and_saveexec_b32 s56, s3
	s_cbranch_execz .LBB167_212
.LBB167_211:                            ;   in Loop: Header=BB167_3 Depth=1
	ds_load_b64 v[36:37], v76 offset:5728
	ds_load_b64 v[38:39], v5 offset:4184
	s_wait_dscnt 0x0
	v_pk_mul_f32 v[40:41], v[38:39], v[36:37] op_sel:[0,1]
	s_delay_alu instid0(VALU_DEP_1) | instskip(SKIP_1) | instid1(VALU_DEP_2)
	v_pk_fma_f32 v[96:97], v[38:39], v[36:37], v[40:41] op_sel:[1,0,0] op_sel_hi:[0,0,1] neg_lo:[0,0,1] neg_hi:[0,0,1]
	v_pk_fma_f32 v[36:37], v[38:39], v[36:37], v[40:41] op_sel:[1,0,0] op_sel_hi:[0,1,1]
	v_mov_b32_e32 v37, v97
	s_delay_alu instid0(VALU_DEP_1)
	v_pk_add_f32 v[34:35], v[34:35], v[36:37]
.LBB167_212:                            ;   in Loop: Header=BB167_3 Depth=1
	s_or_b32 exec_lo, exec_lo, s56
	s_delay_alu instid0(VALU_DEP_1) | instskip(NEXT) | instid1(VALU_DEP_1)
	v_pk_add_f32 v[36:37], v[34:35], 0 neg_lo:[1,1] neg_hi:[1,1]
	v_dual_mov_b32 v34, v37 :: v_dual_mov_b32 v35, v36
.LBB167_213:                            ;   in Loop: Header=BB167_3 Depth=1
	s_or_b32 exec_lo, exec_lo, s10
	s_and_saveexec_b32 s10, s98
	s_cbranch_execz .LBB167_215
; %bb.214:                              ;   in Loop: Header=BB167_3 Depth=1
	ds_load_b64 v[36:37], v5 offset:6240
	v_dual_mov_b32 v38, v35 :: v_dual_mov_b32 v39, v34
	s_wait_dscnt 0x0
	s_delay_alu instid0(VALU_DEP_1) | instskip(NEXT) | instid1(VALU_DEP_1)
	v_dual_mul_f32 v40, v38, v36 :: v_dual_mul_f32 v96, v35, v37
	v_pk_fma_f32 v[38:39], v[38:39], v[36:37], v[40:41] op_sel_hi:[1,1,0]
	s_delay_alu instid0(VALU_DEP_2) | instskip(NEXT) | instid1(VALU_DEP_2)
	v_pk_fma_f32 v[34:35], v[34:35], v[36:37], v[96:97] op_sel_hi:[1,1,0] neg_lo:[0,0,1] neg_hi:[0,0,1]
	v_mov_b32_e32 v35, v39
	ds_store_b64 v49, v[34:35]
.LBB167_215:                            ;   in Loop: Header=BB167_3 Depth=1
	s_or_b32 exec_lo, exec_lo, s10
	s_wait_dscnt 0x0
	s_barrier_signal -1
	s_barrier_wait -1
	s_and_saveexec_b32 s10, s99
	s_cbranch_execz .LBB167_217
; %bb.216:                              ;   in Loop: Header=BB167_3 Depth=1
	ds_load_b64 v[36:37], v47 offset:6240
	ds_load_b64 v[38:39], v49
	s_wait_dscnt 0x0
	v_dual_mul_f32 v40, v39, v37 :: v_dual_mul_f32 v41, v38, v37
	s_delay_alu instid0(VALU_DEP_1) | instskip(NEXT) | instid1(VALU_DEP_1)
	v_dual_fma_f32 v40, v38, v36, -v40 :: v_dual_fmac_f32 v41, v39, v36
	v_pk_add_f32 v[34:35], v[34:35], v[40:41]
.LBB167_217:                            ;   in Loop: Header=BB167_3 Depth=1
	s_or_b32 exec_lo, exec_lo, s10
	s_barrier_signal -1
	s_barrier_wait -1
	s_and_saveexec_b32 s10, s100
	s_cbranch_execz .LBB167_219
; %bb.218:                              ;   in Loop: Header=BB167_3 Depth=1
	ds_load_b64 v[36:37], v5 offset:6760
	s_wait_dscnt 0x0
	v_pk_mul_f32 v[38:39], v[34:35], v[36:37] op_sel:[1,1] op_sel_hi:[1,0]
	s_delay_alu instid0(VALU_DEP_1) | instskip(SKIP_1) | instid1(VALU_DEP_2)
	v_pk_fma_f32 v[40:41], v[34:35], v[36:37], v[38:39] op_sel_hi:[0,1,1]
	v_pk_fma_f32 v[36:37], v[34:35], v[36:37], v[38:39] neg_lo:[0,0,1] neg_hi:[0,0,1]
	v_mov_b32_e32 v37, v41
	s_delay_alu instid0(VALU_DEP_1)
	v_mov_b64_e32 v[34:35], v[36:37]
	ds_store_b64 v49, v[36:37]
.LBB167_219:                            ;   in Loop: Header=BB167_3 Depth=1
	s_or_b32 exec_lo, exec_lo, s10
	s_wait_dscnt 0x0
	s_barrier_signal -1
	s_barrier_wait -1
	s_and_saveexec_b32 s10, s101
	s_cbranch_execz .LBB167_221
; %bb.220:                              ;   in Loop: Header=BB167_3 Depth=1
	ds_load_b64 v[36:37], v47 offset:6752
	ds_load_b64 v[38:39], v49
	s_wait_dscnt 0x0
	v_pk_mul_f32 v[40:41], v[38:39], v[36:37] op_sel:[1,1] op_sel_hi:[0,1]
	s_delay_alu instid0(VALU_DEP_1) | instskip(SKIP_1) | instid1(VALU_DEP_2)
	v_pk_fma_f32 v[96:97], v[38:39], v[36:37], v[40:41] op_sel_hi:[1,0,1]
	v_pk_fma_f32 v[36:37], v[38:39], v[36:37], v[40:41] neg_lo:[0,0,1] neg_hi:[0,0,1]
	v_mov_b32_e32 v37, v97
	s_delay_alu instid0(VALU_DEP_1)
	v_pk_add_f32 v[34:35], v[34:35], v[36:37]
.LBB167_221:                            ;   in Loop: Header=BB167_3 Depth=1
	s_or_b32 exec_lo, exec_lo, s10
	s_barrier_signal -1
	s_barrier_wait -1
	s_and_saveexec_b32 s10, s102
	s_cbranch_execz .LBB167_223
; %bb.222:                              ;   in Loop: Header=BB167_3 Depth=1
	ds_load_b64 v[36:37], v5 offset:7280
	s_wait_dscnt 0x0
	v_pk_mul_f32 v[38:39], v[34:35], v[36:37] op_sel:[1,1] op_sel_hi:[1,0]
	s_delay_alu instid0(VALU_DEP_1) | instskip(SKIP_1) | instid1(VALU_DEP_2)
	v_pk_fma_f32 v[40:41], v[34:35], v[36:37], v[38:39] op_sel_hi:[0,1,1]
	v_pk_fma_f32 v[36:37], v[34:35], v[36:37], v[38:39] neg_lo:[0,0,1] neg_hi:[0,0,1]
	v_mov_b32_e32 v37, v41
	s_delay_alu instid0(VALU_DEP_1)
	v_mov_b64_e32 v[34:35], v[36:37]
	ds_store_b64 v49, v[36:37]
.LBB167_223:                            ;   in Loop: Header=BB167_3 Depth=1
	s_or_b32 exec_lo, exec_lo, s10
	s_wait_dscnt 0x0
	s_barrier_signal -1
	s_barrier_wait -1
	s_and_saveexec_b32 s10, s103
	s_cbranch_execz .LBB167_225
; %bb.224:                              ;   in Loop: Header=BB167_3 Depth=1
	ds_load_b64 v[36:37], v5 offset:7288
	ds_load_b64 v[38:39], v49
	s_wait_dscnt 0x0
	v_pk_mul_f32 v[40:41], v[38:39], v[36:37] op_sel:[1,1] op_sel_hi:[0,1]
	s_delay_alu instid0(VALU_DEP_1) | instskip(SKIP_1) | instid1(VALU_DEP_2)
	v_pk_fma_f32 v[96:97], v[38:39], v[36:37], v[40:41] op_sel_hi:[1,0,1]
	v_pk_fma_f32 v[36:37], v[38:39], v[36:37], v[40:41] neg_lo:[0,0,1] neg_hi:[0,0,1]
	v_mov_b32_e32 v37, v97
	s_delay_alu instid0(VALU_DEP_1)
	v_pk_add_f32 v[34:35], v[34:35], v[36:37]
.LBB167_225:                            ;   in Loop: Header=BB167_3 Depth=1
	s_or_b32 exec_lo, exec_lo, s10
	s_barrier_signal -1
	s_barrier_wait -1
	s_and_saveexec_b32 s10, s103
	s_cbranch_execz .LBB167_227
; %bb.226:                              ;   in Loop: Header=BB167_3 Depth=1
	ds_load_b64 v[36:37], v5 offset:7800
	s_wait_dscnt 0x0
	v_pk_mul_f32 v[38:39], v[34:35], v[36:37] op_sel:[1,1] op_sel_hi:[1,0]
	s_delay_alu instid0(VALU_DEP_1) | instskip(SKIP_1) | instid1(VALU_DEP_2)
	v_pk_fma_f32 v[40:41], v[34:35], v[36:37], v[38:39] op_sel_hi:[0,1,1]
	v_pk_fma_f32 v[36:37], v[34:35], v[36:37], v[38:39] neg_lo:[0,0,1] neg_hi:[0,0,1]
	v_mov_b32_e32 v37, v41
	s_delay_alu instid0(VALU_DEP_1)
	v_mov_b64_e32 v[34:35], v[36:37]
	ds_store_b64 v49, v[36:37]
.LBB167_227:                            ;   in Loop: Header=BB167_3 Depth=1
	s_or_b32 exec_lo, exec_lo, s10
	s_wait_dscnt 0x0
	s_barrier_signal -1
	s_barrier_wait -1
	s_barrier_signal -1
	s_barrier_wait -1
	s_and_saveexec_b32 s10, s5
; %bb.228:                              ;   in Loop: Header=BB167_3 Depth=1
	v_pk_add_f32 v[34:35], v[34:35], 0 neg_lo:[1,1] neg_hi:[1,1]
	ds_store_b64 v50, v[34:35] offset:4192
; %bb.229:                              ;   in Loop: Header=BB167_3 Depth=1
	s_or_b32 exec_lo, exec_lo, s10
	s_wait_dscnt 0x0
	s_barrier_signal -1
	s_barrier_wait -1
	s_barrier_signal -1
	s_barrier_wait -1
	s_and_saveexec_b32 s10, s104
	s_cbranch_execz .LBB167_231
; %bb.230:                              ;   in Loop: Header=BB167_3 Depth=1
	ds_load_b64 v[34:35], v78 offset:4192
	s_wait_dscnt 0x0
	ds_store_b64 v79, v[34:35] offset:6208
	ds_load_b64 v[34:35], v78 offset:4200
	s_wait_dscnt 0x0
	ds_store_b64 v79, v[34:35] offset:6720
	;; [unrolled: 3-line block ×4, first 2 shown]
.LBB167_231:                            ;   in Loop: Header=BB167_3 Depth=1
	s_or_b32 exec_lo, exec_lo, s10
	s_wait_dscnt 0x0
	s_barrier_signal -1
	s_barrier_wait -1
	s_and_saveexec_b32 s10, s15
	s_cbranch_execz .LBB167_233
; %bb.232:                              ;   in Loop: Header=BB167_3 Depth=1
	ds_load_b128 v[34:37], v5 offset:6240
	ds_load_b64 v[38:39], v5 offset:6760
	s_wait_dscnt 0x1
	v_dual_mov_b32 v96, v37 :: v_dual_mov_b32 v97, v36
	s_wait_dscnt 0x0
	v_dual_mul_f32 v41, v39, v35 :: v_dual_mul_f32 v40, v38, v35
	s_delay_alu instid0(VALU_DEP_1) | instskip(NEXT) | instid1(VALU_DEP_1)
	v_xor_b32_e32 v98, 0x80000000, v41
	v_dual_fmac_f32 v40, v39, v34 :: v_dual_fmac_f32 v98, v38, v34
	s_delay_alu instid0(VALU_DEP_1) | instskip(NEXT) | instid1(VALU_DEP_1)
	v_pk_mul_f32 v[34:35], v[40:41], v[96:97] op_sel_hi:[0,1]
	v_pk_fma_f32 v[38:39], v[98:99], v[36:37], v[34:35] op_sel_hi:[0,1,1]
	v_pk_fma_f32 v[34:35], v[98:99], v[36:37], v[34:35] neg_lo:[0,0,1] neg_hi:[0,0,1]
	v_add_nc_u32_e64 v36, 0x1800, 0
	s_delay_alu instid0(VALU_DEP_3)
	v_mov_b32_e32 v35, v39
	ds_store_2addr_b64 v36, v[34:35], v[34:35] offset0:13 offset1:76
.LBB167_233:                            ;   in Loop: Header=BB167_3 Depth=1
	s_or_b32 exec_lo, exec_lo, s10
	v_mov_b32_e32 v35, 0
	s_wait_dscnt 0x0
	s_barrier_signal -1
	s_barrier_wait -1
	s_delay_alu instid0(VALU_DEP_1)
	v_mov_b32_e32 v34, v35
	s_and_saveexec_b32 s10, s3
	s_cbranch_execz .LBB167_237
; %bb.234:                              ;   in Loop: Header=BB167_3 Depth=1
	ds_load_b64 v[34:35], v43 offset:6256
	ds_load_b64 v[36:37], v44 offset:6240
	s_wait_dscnt 0x0
	v_dual_mul_f32 v38, v37, v35 :: v_dual_mul_f32 v39, v36, v35
	s_delay_alu instid0(VALU_DEP_1) | instskip(NEXT) | instid1(VALU_DEP_1)
	v_dual_fma_f32 v38, v36, v34, -v38 :: v_dual_fmac_f32 v39, v37, v34
	v_pk_add_f32 v[34:35], v[38:39], 0 op_sel_hi:[1,0]
	s_and_saveexec_b32 s56, s16
	s_cbranch_execz .LBB167_236
; %bb.235:                              ;   in Loop: Header=BB167_3 Depth=1
	ds_load_b64 v[36:37], v79 offset:6768
	ds_load_b64 v[38:39], v5 offset:6248
	s_wait_dscnt 0x0
	v_pk_mul_f32 v[40:41], v[38:39], v[36:37] op_sel:[1,1] op_sel_hi:[0,1]
	s_delay_alu instid0(VALU_DEP_1) | instskip(SKIP_1) | instid1(VALU_DEP_2)
	v_pk_fma_f32 v[96:97], v[38:39], v[36:37], v[40:41] op_sel_hi:[1,0,1]
	v_pk_fma_f32 v[36:37], v[38:39], v[36:37], v[40:41] neg_lo:[0,0,1] neg_hi:[0,0,1]
	v_mov_b32_e32 v37, v97
	s_delay_alu instid0(VALU_DEP_1)
	v_pk_add_f32 v[34:35], v[34:35], v[36:37]
.LBB167_236:                            ;   in Loop: Header=BB167_3 Depth=1
	s_or_b32 exec_lo, exec_lo, s56
	s_delay_alu instid0(VALU_DEP_1)
	v_pk_add_f32 v[34:35], v[34:35], 0 neg_lo:[1,1] neg_hi:[1,1]
.LBB167_237:                            ;   in Loop: Header=BB167_3 Depth=1
	s_or_b32 exec_lo, exec_lo, s10
	s_and_saveexec_b32 s10, s95
	s_cbranch_execz .LBB167_239
; %bb.238:                              ;   in Loop: Header=BB167_3 Depth=1
	ds_load_b64 v[36:37], v5 offset:7280
	s_wait_dscnt 0x0
	v_pk_mul_f32 v[38:39], v[34:35], v[36:37] op_sel:[1,1] op_sel_hi:[1,0]
	s_delay_alu instid0(VALU_DEP_1) | instskip(SKIP_1) | instid1(VALU_DEP_2)
	v_pk_fma_f32 v[40:41], v[34:35], v[36:37], v[38:39] op_sel_hi:[0,1,1]
	v_pk_fma_f32 v[36:37], v[34:35], v[36:37], v[38:39] neg_lo:[0,0,1] neg_hi:[0,0,1]
	v_mov_b32_e32 v37, v41
	s_delay_alu instid0(VALU_DEP_1)
	v_mov_b64_e32 v[34:35], v[36:37]
	ds_store_b64 v3, v[36:37]
.LBB167_239:                            ;   in Loop: Header=BB167_3 Depth=1
	s_or_b32 exec_lo, exec_lo, s10
	s_wait_dscnt 0x0
	s_barrier_signal -1
	s_barrier_wait -1
	s_and_saveexec_b32 s10, s96
	s_cbranch_execz .LBB167_241
; %bb.240:                              ;   in Loop: Header=BB167_3 Depth=1
	ds_load_b64 v[36:37], v5 offset:7288
	ds_load_b64 v[38:39], v3
	s_wait_dscnt 0x0
	v_pk_mul_f32 v[40:41], v[38:39], v[36:37] op_sel:[1,1] op_sel_hi:[0,1]
	s_delay_alu instid0(VALU_DEP_1) | instskip(SKIP_1) | instid1(VALU_DEP_2)
	v_pk_fma_f32 v[96:97], v[38:39], v[36:37], v[40:41] op_sel_hi:[1,0,1]
	v_pk_fma_f32 v[36:37], v[38:39], v[36:37], v[40:41] neg_lo:[0,0,1] neg_hi:[0,0,1]
	v_mov_b32_e32 v37, v97
	s_delay_alu instid0(VALU_DEP_1)
	v_pk_add_f32 v[34:35], v[34:35], v[36:37]
.LBB167_241:                            ;   in Loop: Header=BB167_3 Depth=1
	s_or_b32 exec_lo, exec_lo, s10
	s_barrier_signal -1
	s_barrier_wait -1
	s_and_saveexec_b32 s10, s96
	s_cbranch_execz .LBB167_243
; %bb.242:                              ;   in Loop: Header=BB167_3 Depth=1
	ds_load_b64 v[36:37], v5 offset:7800
	s_wait_dscnt 0x0
	v_pk_mul_f32 v[38:39], v[34:35], v[36:37] op_sel:[1,1] op_sel_hi:[1,0]
	s_delay_alu instid0(VALU_DEP_1) | instskip(SKIP_1) | instid1(VALU_DEP_2)
	v_pk_fma_f32 v[40:41], v[34:35], v[36:37], v[38:39] op_sel_hi:[0,1,1]
	v_pk_fma_f32 v[36:37], v[34:35], v[36:37], v[38:39] neg_lo:[0,0,1] neg_hi:[0,0,1]
	v_mov_b32_e32 v37, v41
	s_delay_alu instid0(VALU_DEP_1)
	v_mov_b64_e32 v[34:35], v[36:37]
	ds_store_b64 v3, v[36:37]
.LBB167_243:                            ;   in Loop: Header=BB167_3 Depth=1
	s_or_b32 exec_lo, exec_lo, s10
	s_wait_dscnt 0x0
	s_barrier_signal -1
	s_barrier_wait -1
	s_barrier_signal -1
	s_barrier_wait -1
	s_and_saveexec_b32 s10, s3
; %bb.244:                              ;   in Loop: Header=BB167_3 Depth=1
	v_pk_add_f32 v[34:35], v[34:35], 0 neg_lo:[1,1] neg_hi:[1,1]
	ds_store_b64 v43, v[34:35] offset:6256
; %bb.245:                              ;   in Loop: Header=BB167_3 Depth=1
	s_or_b32 exec_lo, exec_lo, s10
	s_wait_dscnt 0x0
	s_barrier_signal -1
	s_barrier_wait -1
	s_barrier_signal -1
	s_barrier_wait -1
	s_and_saveexec_b32 s10, s97
	s_cbranch_execz .LBB167_247
; %bb.246:                              ;   in Loop: Header=BB167_3 Depth=1
	ds_load_b64 v[34:35], v81 offset:6256
	s_wait_dscnt 0x0
	ds_store_b64 v79, v[34:35] offset:7264
	ds_load_b64 v[34:35], v81 offset:6264
	s_wait_dscnt 0x0
	ds_store_b64 v79, v[34:35] offset:7776
.LBB167_247:                            ;   in Loop: Header=BB167_3 Depth=1
	s_or_b32 exec_lo, exec_lo, s10
	s_wait_dscnt 0x0
	s_barrier_signal -1
	s_barrier_wait -1
	s_and_saveexec_b32 s10, s15
	s_cbranch_execz .LBB167_249
; %bb.248:                              ;   in Loop: Header=BB167_3 Depth=1
	ds_load_b128 v[34:37], v5 offset:7280
	ds_load_b64 v[38:39], v5 offset:7800
	s_wait_dscnt 0x1
	v_dual_mov_b32 v96, v37 :: v_dual_mov_b32 v97, v36
	s_wait_dscnt 0x0
	v_dual_mul_f32 v41, v39, v35 :: v_dual_mul_f32 v40, v38, v35
	s_delay_alu instid0(VALU_DEP_1) | instskip(NEXT) | instid1(VALU_DEP_1)
	v_xor_b32_e32 v98, 0x80000000, v41
	v_dual_fmac_f32 v40, v39, v34 :: v_dual_fmac_f32 v98, v38, v34
	s_delay_alu instid0(VALU_DEP_1) | instskip(NEXT) | instid1(VALU_DEP_1)
	v_pk_mul_f32 v[34:35], v[40:41], v[96:97] op_sel_hi:[0,1]
	v_pk_fma_f32 v[38:39], v[98:99], v[36:37], v[34:35] op_sel_hi:[0,1,1]
	v_pk_fma_f32 v[34:35], v[98:99], v[36:37], v[34:35] neg_lo:[0,0,1] neg_hi:[0,0,1]
	v_add_nc_u32_e64 v36, 0x1800, 0
	s_delay_alu instid0(VALU_DEP_3)
	v_mov_b32_e32 v35, v39
	ds_store_2addr_b64 v36, v[34:35], v[34:35] offset0:143 offset1:206
.LBB167_249:                            ;   in Loop: Header=BB167_3 Depth=1
	s_or_b32 exec_lo, exec_lo, s10
	v_mov_b32_e32 v34, 0
	s_wait_dscnt 0x0
	s_barrier_signal -1
	s_barrier_wait -1
	s_delay_alu instid0(VALU_DEP_1)
	v_mov_b32_e32 v35, v34
	s_and_saveexec_b32 s66, s7
	s_cbranch_execz .LBB167_277
; %bb.250:                              ;   in Loop: Header=BB167_3 Depth=1
	ds_load_b64 v[34:35], v63 offset:128
	ds_load_b64 v[36:37], v60
	s_wait_dscnt 0x0
	v_dual_mul_f32 v38, v37, v35 :: v_dual_mul_f32 v39, v36, v35
	s_delay_alu instid0(VALU_DEP_1) | instskip(NEXT) | instid1(VALU_DEP_1)
	v_dual_fma_f32 v35, v36, v34, -v38 :: v_dual_fmac_f32 v39, v37, v34
	v_add_f32_e32 v35, 0, v35
	s_delay_alu instid0(VALU_DEP_2) | instskip(SKIP_3) | instid1(SALU_CYCLE_1)
	v_add_f32_e32 v34, 0, v39
	s_mov_b32 s10, exec_lo
	v_readlane_b32 s56, v106, 30
	s_and_b32 s56, s10, s56
	s_mov_b32 exec_lo, s56
	s_cbranch_execz .LBB167_252
; %bb.251:                              ;   in Loop: Header=BB167_3 Depth=1
	ds_load_b64 v[36:37], v64 offset:640
	ds_load_b64 v[38:39], v60 offset:8
	s_wait_dscnt 0x0
	v_dual_mul_f32 v40, v39, v37 :: v_dual_mul_f32 v37, v38, v37
	s_delay_alu instid0(VALU_DEP_1) | instskip(NEXT) | instid1(VALU_DEP_1)
	v_dual_fma_f32 v38, v38, v36, -v40 :: v_dual_fmac_f32 v37, v39, v36
	v_dual_add_f32 v35, v35, v38 :: v_dual_add_f32 v34, v34, v37
.LBB167_252:                            ;   in Loop: Header=BB167_3 Depth=1
	s_or_b32 exec_lo, exec_lo, s10
	s_delay_alu instid0(SALU_CYCLE_1) | instskip(SKIP_2) | instid1(SALU_CYCLE_1)
	s_mov_b32 s10, exec_lo
	v_readlane_b32 s56, v106, 31
	s_and_b32 s56, s10, s56
	s_mov_b32 exec_lo, s56
	s_cbranch_execz .LBB167_254
; %bb.253:                              ;   in Loop: Header=BB167_3 Depth=1
	ds_load_b64 v[36:37], v64 offset:1152
	ds_load_b64 v[38:39], v60 offset:16
	s_wait_dscnt 0x0
	v_dual_mul_f32 v40, v39, v37 :: v_dual_mul_f32 v37, v38, v37
	s_delay_alu instid0(VALU_DEP_1) | instskip(NEXT) | instid1(VALU_DEP_1)
	v_dual_fma_f32 v38, v38, v36, -v40 :: v_dual_fmac_f32 v37, v39, v36
	v_dual_add_f32 v35, v35, v38 :: v_dual_add_f32 v34, v34, v37
.LBB167_254:                            ;   in Loop: Header=BB167_3 Depth=1
	s_or_b32 exec_lo, exec_lo, s10
	s_delay_alu instid0(SALU_CYCLE_1) | instskip(SKIP_2) | instid1(SALU_CYCLE_1)
	;; [unrolled: 16-line block ×10, first 2 shown]
	s_mov_b32 s10, exec_lo
	v_readlane_b32 s56, v105, 8
	s_and_b32 s56, s10, s56
	s_mov_b32 exec_lo, s56
	s_cbranch_execnz .LBB167_1120
; %bb.271:                              ;   in Loop: Header=BB167_3 Depth=1
	s_or_b32 exec_lo, exec_lo, s10
	s_and_saveexec_b32 s10, s6
	s_cbranch_execnz .LBB167_1121
.LBB167_272:                            ;   in Loop: Header=BB167_3 Depth=1
	s_or_b32 exec_lo, exec_lo, s10
	s_and_saveexec_b32 s10, s20
	s_cbranch_execnz .LBB167_1122
.LBB167_273:                            ;   in Loop: Header=BB167_3 Depth=1
	s_or_b32 exec_lo, exec_lo, s10
	s_and_saveexec_b32 s10, s22
	s_cbranch_execnz .LBB167_1123
.LBB167_274:                            ;   in Loop: Header=BB167_3 Depth=1
	s_or_b32 exec_lo, exec_lo, s10
	s_and_saveexec_b32 s10, s5
	s_cbranch_execz .LBB167_276
.LBB167_275:                            ;   in Loop: Header=BB167_3 Depth=1
	ds_load_b64 v[36:37], v45 offset:7808
	ds_load_b64 v[38:39], v5 offset:120
	s_wait_dscnt 0x0
	v_pk_mul_f32 v[40:41], v[38:39], v[36:37] op_sel:[0,1]
	s_delay_alu instid0(VALU_DEP_1) | instskip(SKIP_1) | instid1(VALU_DEP_2)
	v_pk_fma_f32 v[96:97], v[38:39], v[36:37], v[40:41] op_sel:[1,0,0] op_sel_hi:[0,0,1] neg_lo:[0,0,1] neg_hi:[0,0,1]
	v_pk_fma_f32 v[36:37], v[38:39], v[36:37], v[40:41] op_sel:[1,0,0] op_sel_hi:[0,1,1]
	v_mov_b32_e32 v37, v97
	s_delay_alu instid0(VALU_DEP_1)
	v_pk_add_f32 v[34:35], v[34:35], v[36:37]
.LBB167_276:                            ;   in Loop: Header=BB167_3 Depth=1
	s_or_b32 exec_lo, exec_lo, s10
	s_delay_alu instid0(VALU_DEP_1) | instskip(NEXT) | instid1(VALU_DEP_1)
	v_pk_add_f32 v[36:37], v[34:35], 0 neg_lo:[1,1] neg_hi:[1,1]
	v_dual_mov_b32 v34, v37 :: v_dual_mov_b32 v35, v36
.LBB167_277:                            ;   in Loop: Header=BB167_3 Depth=1
	s_or_b32 exec_lo, exec_lo, s66
	s_delay_alu instid0(SALU_CYCLE_1) | instskip(SKIP_2) | instid1(SALU_CYCLE_1)
	s_mov_b32 s10, exec_lo
	v_readlane_b32 s56, v106, 1
	s_and_b32 s56, s10, s56
	s_mov_b32 exec_lo, s56
	s_cbranch_execz .LBB167_279
; %bb.278:                              ;   in Loop: Header=BB167_3 Depth=1
	ds_load_b64 v[36:37], v5 offset:8320
	v_dual_mov_b32 v38, v35 :: v_dual_mov_b32 v39, v34
	s_wait_dscnt 0x0
	s_delay_alu instid0(VALU_DEP_1) | instskip(NEXT) | instid1(VALU_DEP_1)
	v_dual_mul_f32 v40, v38, v36 :: v_dual_mul_f32 v96, v35, v37
	v_pk_fma_f32 v[38:39], v[38:39], v[36:37], v[40:41] op_sel_hi:[1,1,0]
	s_delay_alu instid0(VALU_DEP_2) | instskip(NEXT) | instid1(VALU_DEP_2)
	v_pk_fma_f32 v[34:35], v[34:35], v[36:37], v[96:97] op_sel_hi:[1,1,0] neg_lo:[0,0,1] neg_hi:[0,0,1]
	v_mov_b32_e32 v35, v39
	ds_store_b64 v62, v[34:35]
.LBB167_279:                            ;   in Loop: Header=BB167_3 Depth=1
	s_or_b32 exec_lo, exec_lo, s10
	s_wait_dscnt 0x0
	s_barrier_signal -1
	s_barrier_wait -1
	s_mov_b32 s10, exec_lo
	v_readlane_b32 s56, v106, 2
	s_and_b32 s56, s10, s56
	s_delay_alu instid0(SALU_CYCLE_1)
	s_mov_b32 exec_lo, s56
	s_cbranch_execz .LBB167_281
; %bb.280:                              ;   in Loop: Header=BB167_3 Depth=1
	ds_load_b64 v[36:37], v61 offset:8320
	ds_load_b64 v[38:39], v62
	s_wait_dscnt 0x0
	v_dual_mul_f32 v40, v39, v37 :: v_dual_mul_f32 v41, v38, v37
	s_delay_alu instid0(VALU_DEP_1) | instskip(NEXT) | instid1(VALU_DEP_1)
	v_dual_fma_f32 v40, v38, v36, -v40 :: v_dual_fmac_f32 v41, v39, v36
	v_pk_add_f32 v[34:35], v[34:35], v[40:41]
.LBB167_281:                            ;   in Loop: Header=BB167_3 Depth=1
	s_or_b32 exec_lo, exec_lo, s10
	s_barrier_signal -1
	s_barrier_wait -1
	s_mov_b32 s10, exec_lo
	v_readlane_b32 s56, v106, 3
	s_and_b32 s56, s10, s56
	s_delay_alu instid0(SALU_CYCLE_1)
	s_mov_b32 exec_lo, s56
	s_cbranch_execz .LBB167_283
; %bb.282:                              ;   in Loop: Header=BB167_3 Depth=1
	ds_load_b64 v[36:37], v5 offset:8840
	s_wait_dscnt 0x0
	v_pk_mul_f32 v[38:39], v[34:35], v[36:37] op_sel:[1,1] op_sel_hi:[1,0]
	s_delay_alu instid0(VALU_DEP_1) | instskip(SKIP_1) | instid1(VALU_DEP_2)
	v_pk_fma_f32 v[40:41], v[34:35], v[36:37], v[38:39] op_sel_hi:[0,1,1]
	v_pk_fma_f32 v[34:35], v[34:35], v[36:37], v[38:39] op_sel_hi:[0,1,1] neg_lo:[0,0,1] neg_hi:[0,0,1]
	v_mov_b32_e32 v35, v41
	ds_store_b64 v62, v[34:35]
.LBB167_283:                            ;   in Loop: Header=BB167_3 Depth=1
	s_or_b32 exec_lo, exec_lo, s10
	s_wait_dscnt 0x0
	s_barrier_signal -1
	s_barrier_wait -1
	s_mov_b32 s10, exec_lo
	v_readlane_b32 s56, v106, 4
	s_and_b32 s56, s10, s56
	s_delay_alu instid0(SALU_CYCLE_1)
	s_mov_b32 exec_lo, s56
	s_cbranch_execz .LBB167_285
; %bb.284:                              ;   in Loop: Header=BB167_3 Depth=1
	ds_load_b64 v[36:37], v61 offset:8832
	ds_load_b64 v[38:39], v62
	s_wait_dscnt 0x0
	v_pk_mul_f32 v[40:41], v[38:39], v[36:37] op_sel:[1,1] op_sel_hi:[0,1]
	s_delay_alu instid0(VALU_DEP_1) | instskip(SKIP_1) | instid1(VALU_DEP_2)
	v_pk_fma_f32 v[96:97], v[38:39], v[36:37], v[40:41] op_sel_hi:[1,0,1]
	v_pk_fma_f32 v[36:37], v[38:39], v[36:37], v[40:41] op_sel_hi:[1,0,1] neg_lo:[0,0,1] neg_hi:[0,0,1]
	v_mov_b32_e32 v37, v97
	s_delay_alu instid0(VALU_DEP_1)
	v_pk_add_f32 v[34:35], v[34:35], v[36:37]
.LBB167_285:                            ;   in Loop: Header=BB167_3 Depth=1
	s_or_b32 exec_lo, exec_lo, s10
	s_barrier_signal -1
	s_barrier_wait -1
	s_mov_b32 s10, exec_lo
	v_readlane_b32 s56, v106, 5
	s_and_b32 s56, s10, s56
	s_delay_alu instid0(SALU_CYCLE_1)
	s_mov_b32 exec_lo, s56
	s_cbranch_execz .LBB167_287
; %bb.286:                              ;   in Loop: Header=BB167_3 Depth=1
	ds_load_b64 v[36:37], v5 offset:9360
	s_wait_dscnt 0x0
	v_pk_mul_f32 v[38:39], v[34:35], v[36:37] op_sel:[1,1] op_sel_hi:[1,0]
	s_delay_alu instid0(VALU_DEP_1) | instskip(SKIP_1) | instid1(VALU_DEP_2)
	v_pk_fma_f32 v[40:41], v[34:35], v[36:37], v[38:39] op_sel_hi:[0,1,1]
	v_pk_fma_f32 v[34:35], v[34:35], v[36:37], v[38:39] op_sel_hi:[0,1,1] neg_lo:[0,0,1] neg_hi:[0,0,1]
	v_mov_b32_e32 v35, v41
	ds_store_b64 v62, v[34:35]
.LBB167_287:                            ;   in Loop: Header=BB167_3 Depth=1
	s_or_b32 exec_lo, exec_lo, s10
	s_wait_dscnt 0x0
	s_barrier_signal -1
	s_barrier_wait -1
	s_mov_b32 s10, exec_lo
	v_readlane_b32 s56, v106, 6
	s_and_b32 s56, s10, s56
	s_delay_alu instid0(SALU_CYCLE_1)
	s_mov_b32 exec_lo, s56
	s_cbranch_execz .LBB167_289
; %bb.288:                              ;   in Loop: Header=BB167_3 Depth=1
	ds_load_b64 v[36:37], v61 offset:9344
	ds_load_b64 v[38:39], v62
	s_wait_dscnt 0x0
	v_pk_mul_f32 v[40:41], v[38:39], v[36:37] op_sel:[1,1] op_sel_hi:[0,1]
	s_delay_alu instid0(VALU_DEP_1) | instskip(SKIP_1) | instid1(VALU_DEP_2)
	v_pk_fma_f32 v[96:97], v[38:39], v[36:37], v[40:41] op_sel_hi:[1,0,1]
	v_pk_fma_f32 v[36:37], v[38:39], v[36:37], v[40:41] op_sel_hi:[1,0,1] neg_lo:[0,0,1] neg_hi:[0,0,1]
	v_mov_b32_e32 v37, v97
	s_delay_alu instid0(VALU_DEP_1)
	v_pk_add_f32 v[34:35], v[34:35], v[36:37]
.LBB167_289:                            ;   in Loop: Header=BB167_3 Depth=1
	s_or_b32 exec_lo, exec_lo, s10
	s_barrier_signal -1
	s_barrier_wait -1
	s_mov_b32 s10, exec_lo
	v_readlane_b32 s56, v106, 7
	s_and_b32 s56, s10, s56
	s_delay_alu instid0(SALU_CYCLE_1)
	s_mov_b32 exec_lo, s56
	s_cbranch_execz .LBB167_291
; %bb.290:                              ;   in Loop: Header=BB167_3 Depth=1
	ds_load_b64 v[36:37], v5 offset:9880
	s_wait_dscnt 0x0
	v_pk_mul_f32 v[38:39], v[34:35], v[36:37] op_sel:[1,1] op_sel_hi:[1,0]
	s_delay_alu instid0(VALU_DEP_1) | instskip(SKIP_1) | instid1(VALU_DEP_2)
	v_pk_fma_f32 v[40:41], v[34:35], v[36:37], v[38:39] op_sel_hi:[0,1,1]
	v_pk_fma_f32 v[34:35], v[34:35], v[36:37], v[38:39] op_sel_hi:[0,1,1] neg_lo:[0,0,1] neg_hi:[0,0,1]
	v_mov_b32_e32 v35, v41
	ds_store_b64 v62, v[34:35]
.LBB167_291:                            ;   in Loop: Header=BB167_3 Depth=1
	s_or_b32 exec_lo, exec_lo, s10
	s_wait_dscnt 0x0
	s_barrier_signal -1
	s_barrier_wait -1
	s_and_saveexec_b32 s10, s60
	s_cbranch_execz .LBB167_293
; %bb.292:                              ;   in Loop: Header=BB167_3 Depth=1
	ds_load_b64 v[36:37], v61 offset:9856
	ds_load_b64 v[38:39], v62
	s_wait_dscnt 0x0
	v_pk_mul_f32 v[40:41], v[38:39], v[36:37] op_sel:[1,1] op_sel_hi:[0,1]
	s_delay_alu instid0(VALU_DEP_1) | instskip(SKIP_1) | instid1(VALU_DEP_2)
	v_pk_fma_f32 v[96:97], v[38:39], v[36:37], v[40:41] op_sel_hi:[1,0,1]
	v_pk_fma_f32 v[36:37], v[38:39], v[36:37], v[40:41] op_sel_hi:[1,0,1] neg_lo:[0,0,1] neg_hi:[0,0,1]
	v_mov_b32_e32 v37, v97
	s_delay_alu instid0(VALU_DEP_1)
	v_pk_add_f32 v[34:35], v[34:35], v[36:37]
.LBB167_293:                            ;   in Loop: Header=BB167_3 Depth=1
	s_or_b32 exec_lo, exec_lo, s10
	s_barrier_signal -1
	s_barrier_wait -1
	s_and_saveexec_b32 s10, s61
	s_cbranch_execz .LBB167_295
; %bb.294:                              ;   in Loop: Header=BB167_3 Depth=1
	ds_load_b64 v[36:37], v5 offset:10400
	s_wait_dscnt 0x0
	v_dual_mul_f32 v38, v34, v37 :: v_dual_mul_f32 v40, v35, v37
	s_delay_alu instid0(VALU_DEP_1) | instskip(NEXT) | instid1(VALU_DEP_2)
	v_pk_fma_f32 v[38:39], v[34:35], v[36:37], v[38:39] op_sel:[0,1,0] op_sel_hi:[1,0,0]
	v_pk_fma_f32 v[36:37], v[34:35], v[36:37], v[40:41] op_sel_hi:[1,1,0] neg_lo:[0,0,1] neg_hi:[0,0,1]
	s_delay_alu instid0(VALU_DEP_2) | instskip(NEXT) | instid1(VALU_DEP_1)
	v_mov_b32_e32 v37, v39
	v_mov_b64_e32 v[34:35], v[36:37]
	ds_store_b64 v62, v[36:37]
.LBB167_295:                            ;   in Loop: Header=BB167_3 Depth=1
	s_or_b32 exec_lo, exec_lo, s10
	s_wait_dscnt 0x0
	s_barrier_signal -1
	s_barrier_wait -1
	s_and_saveexec_b32 s10, s62
	s_cbranch_execz .LBB167_297
; %bb.296:                              ;   in Loop: Header=BB167_3 Depth=1
	ds_load_b64 v[36:37], v61 offset:10368
	ds_load_b64 v[38:39], v62
	s_wait_dscnt 0x0
	v_dual_mul_f32 v40, v39, v37 :: v_dual_mul_f32 v41, v38, v37
	s_delay_alu instid0(VALU_DEP_1) | instskip(NEXT) | instid1(VALU_DEP_1)
	v_dual_fma_f32 v40, v38, v36, -v40 :: v_dual_fmac_f32 v41, v39, v36
	v_pk_add_f32 v[34:35], v[34:35], v[40:41]
.LBB167_297:                            ;   in Loop: Header=BB167_3 Depth=1
	s_or_b32 exec_lo, exec_lo, s10
	s_barrier_signal -1
	s_barrier_wait -1
	s_and_saveexec_b32 s10, s63
	s_cbranch_execz .LBB167_299
; %bb.298:                              ;   in Loop: Header=BB167_3 Depth=1
	ds_load_b64 v[36:37], v5 offset:10920
	s_wait_dscnt 0x0
	v_pk_mul_f32 v[38:39], v[34:35], v[36:37] op_sel:[1,1] op_sel_hi:[1,0]
	s_delay_alu instid0(VALU_DEP_1) | instskip(SKIP_1) | instid1(VALU_DEP_2)
	v_pk_fma_f32 v[40:41], v[34:35], v[36:37], v[38:39] op_sel_hi:[0,1,1]
	v_pk_fma_f32 v[34:35], v[34:35], v[36:37], v[38:39] op_sel_hi:[0,1,1] neg_lo:[0,0,1] neg_hi:[0,0,1]
	v_mov_b32_e32 v35, v41
	ds_store_b64 v62, v[34:35]
.LBB167_299:                            ;   in Loop: Header=BB167_3 Depth=1
	s_or_b32 exec_lo, exec_lo, s10
	s_wait_dscnt 0x0
	s_barrier_signal -1
	s_barrier_wait -1
	s_and_saveexec_b32 s10, s64
	s_cbranch_execz .LBB167_301
; %bb.300:                              ;   in Loop: Header=BB167_3 Depth=1
	ds_load_b64 v[36:37], v61 offset:10880
	ds_load_b64 v[38:39], v62
	s_wait_dscnt 0x0
	v_pk_mul_f32 v[40:41], v[38:39], v[36:37] op_sel:[1,1] op_sel_hi:[0,1]
	s_delay_alu instid0(VALU_DEP_1) | instskip(SKIP_1) | instid1(VALU_DEP_2)
	v_pk_fma_f32 v[96:97], v[38:39], v[36:37], v[40:41] op_sel_hi:[1,0,1]
	v_pk_fma_f32 v[36:37], v[38:39], v[36:37], v[40:41] op_sel_hi:[1,0,1] neg_lo:[0,0,1] neg_hi:[0,0,1]
	v_mov_b32_e32 v37, v97
	s_delay_alu instid0(VALU_DEP_1)
	v_pk_add_f32 v[34:35], v[34:35], v[36:37]
.LBB167_301:                            ;   in Loop: Header=BB167_3 Depth=1
	s_or_b32 exec_lo, exec_lo, s10
	s_barrier_signal -1
	s_barrier_wait -1
	s_and_saveexec_b32 s10, s65
	s_cbranch_execz .LBB167_303
; %bb.302:                              ;   in Loop: Header=BB167_3 Depth=1
	ds_load_b64 v[36:37], v5 offset:11440
	s_wait_dscnt 0x0
	v_pk_mul_f32 v[38:39], v[34:35], v[36:37] op_sel:[1,1] op_sel_hi:[1,0]
	s_delay_alu instid0(VALU_DEP_1) | instskip(SKIP_1) | instid1(VALU_DEP_2)
	v_pk_fma_f32 v[40:41], v[34:35], v[36:37], v[38:39] op_sel_hi:[0,1,1]
	v_pk_fma_f32 v[34:35], v[34:35], v[36:37], v[38:39] op_sel_hi:[0,1,1] neg_lo:[0,0,1] neg_hi:[0,0,1]
	v_mov_b32_e32 v35, v41
	ds_store_b64 v62, v[34:35]
.LBB167_303:                            ;   in Loop: Header=BB167_3 Depth=1
	s_or_b32 exec_lo, exec_lo, s10
	s_wait_dscnt 0x0
	s_barrier_signal -1
	s_barrier_wait -1
	s_and_saveexec_b32 s10, s13
	s_cbranch_execz .LBB167_305
; %bb.304:                              ;   in Loop: Header=BB167_3 Depth=1
	ds_load_b64 v[36:37], v61 offset:11392
	ds_load_b64 v[38:39], v62
	s_wait_dscnt 0x0
	v_pk_mul_f32 v[40:41], v[38:39], v[36:37] op_sel:[1,1] op_sel_hi:[0,1]
	s_delay_alu instid0(VALU_DEP_1) | instskip(SKIP_1) | instid1(VALU_DEP_2)
	v_pk_fma_f32 v[96:97], v[38:39], v[36:37], v[40:41] op_sel_hi:[1,0,1]
	v_pk_fma_f32 v[36:37], v[38:39], v[36:37], v[40:41] op_sel_hi:[1,0,1] neg_lo:[0,0,1] neg_hi:[0,0,1]
	v_mov_b32_e32 v37, v97
	s_delay_alu instid0(VALU_DEP_1)
	v_pk_add_f32 v[34:35], v[34:35], v[36:37]
.LBB167_305:                            ;   in Loop: Header=BB167_3 Depth=1
	;; [unrolled: 33-line block ×3, first 2 shown]
	s_or_b32 exec_lo, exec_lo, s10
	s_barrier_signal -1
	s_barrier_wait -1
	s_and_saveexec_b32 s10, s28
	s_cbranch_execz .LBB167_311
; %bb.310:                              ;   in Loop: Header=BB167_3 Depth=1
	ds_load_b64 v[36:37], v5 offset:12480
	s_wait_dscnt 0x0
	v_dual_mul_f32 v38, v34, v37 :: v_dual_mul_f32 v40, v35, v37
	s_delay_alu instid0(VALU_DEP_1) | instskip(NEXT) | instid1(VALU_DEP_2)
	v_pk_fma_f32 v[38:39], v[34:35], v[36:37], v[38:39] op_sel:[0,1,0] op_sel_hi:[1,0,0]
	v_pk_fma_f32 v[36:37], v[34:35], v[36:37], v[40:41] op_sel_hi:[1,1,0] neg_lo:[0,0,1] neg_hi:[0,0,1]
	s_delay_alu instid0(VALU_DEP_2) | instskip(NEXT) | instid1(VALU_DEP_1)
	v_mov_b32_e32 v37, v39
	v_mov_b64_e32 v[34:35], v[36:37]
	ds_store_b64 v62, v[36:37]
.LBB167_311:                            ;   in Loop: Header=BB167_3 Depth=1
	s_or_b32 exec_lo, exec_lo, s10
	s_wait_dscnt 0x0
	s_barrier_signal -1
	s_barrier_wait -1
	s_and_saveexec_b32 s10, s30
	s_cbranch_execz .LBB167_313
; %bb.312:                              ;   in Loop: Header=BB167_3 Depth=1
	ds_load_b64 v[36:37], v61 offset:12416
	ds_load_b64 v[38:39], v62
	s_wait_dscnt 0x0
	v_dual_mul_f32 v40, v39, v37 :: v_dual_mul_f32 v41, v38, v37
	s_delay_alu instid0(VALU_DEP_1) | instskip(NEXT) | instid1(VALU_DEP_1)
	v_dual_fma_f32 v40, v38, v36, -v40 :: v_dual_fmac_f32 v41, v39, v36
	v_pk_add_f32 v[34:35], v[34:35], v[40:41]
.LBB167_313:                            ;   in Loop: Header=BB167_3 Depth=1
	s_or_b32 exec_lo, exec_lo, s10
	s_barrier_signal -1
	s_barrier_wait -1
	s_and_saveexec_b32 s10, s33
	s_cbranch_execz .LBB167_315
; %bb.314:                              ;   in Loop: Header=BB167_3 Depth=1
	ds_load_b64 v[36:37], v5 offset:13000
	s_wait_dscnt 0x0
	v_pk_mul_f32 v[38:39], v[34:35], v[36:37] op_sel:[1,1] op_sel_hi:[1,0]
	s_delay_alu instid0(VALU_DEP_1) | instskip(SKIP_1) | instid1(VALU_DEP_2)
	v_pk_fma_f32 v[40:41], v[34:35], v[36:37], v[38:39] op_sel_hi:[0,1,1]
	v_pk_fma_f32 v[34:35], v[34:35], v[36:37], v[38:39] op_sel_hi:[0,1,1] neg_lo:[0,0,1] neg_hi:[0,0,1]
	v_mov_b32_e32 v35, v41
	ds_store_b64 v62, v[34:35]
.LBB167_315:                            ;   in Loop: Header=BB167_3 Depth=1
	s_or_b32 exec_lo, exec_lo, s10
	s_wait_dscnt 0x0
	s_barrier_signal -1
	s_barrier_wait -1
	s_and_saveexec_b32 s10, s35
	s_cbranch_execz .LBB167_317
; %bb.316:                              ;   in Loop: Header=BB167_3 Depth=1
	ds_load_b64 v[36:37], v61 offset:12928
	ds_load_b64 v[38:39], v62
	s_wait_dscnt 0x0
	v_pk_mul_f32 v[40:41], v[38:39], v[36:37] op_sel:[1,1] op_sel_hi:[0,1]
	s_delay_alu instid0(VALU_DEP_1) | instskip(SKIP_1) | instid1(VALU_DEP_2)
	v_pk_fma_f32 v[96:97], v[38:39], v[36:37], v[40:41] op_sel_hi:[1,0,1]
	v_pk_fma_f32 v[36:37], v[38:39], v[36:37], v[40:41] op_sel_hi:[1,0,1] neg_lo:[0,0,1] neg_hi:[0,0,1]
	v_mov_b32_e32 v37, v97
	s_delay_alu instid0(VALU_DEP_1)
	v_pk_add_f32 v[34:35], v[34:35], v[36:37]
.LBB167_317:                            ;   in Loop: Header=BB167_3 Depth=1
	s_or_b32 exec_lo, exec_lo, s10
	s_barrier_signal -1
	s_barrier_wait -1
	s_and_saveexec_b32 s10, s86
	s_cbranch_execz .LBB167_319
; %bb.318:                              ;   in Loop: Header=BB167_3 Depth=1
	ds_load_b64 v[36:37], v5 offset:13520
	s_wait_dscnt 0x0
	v_pk_mul_f32 v[38:39], v[34:35], v[36:37] op_sel:[1,1] op_sel_hi:[1,0]
	s_delay_alu instid0(VALU_DEP_1) | instskip(SKIP_1) | instid1(VALU_DEP_2)
	v_pk_fma_f32 v[40:41], v[34:35], v[36:37], v[38:39] op_sel_hi:[0,1,1]
	v_pk_fma_f32 v[34:35], v[34:35], v[36:37], v[38:39] op_sel_hi:[0,1,1] neg_lo:[0,0,1] neg_hi:[0,0,1]
	v_mov_b32_e32 v35, v41
	ds_store_b64 v62, v[34:35]
.LBB167_319:                            ;   in Loop: Header=BB167_3 Depth=1
	s_or_b32 exec_lo, exec_lo, s10
	s_wait_dscnt 0x0
	s_barrier_signal -1
	s_barrier_wait -1
	s_and_saveexec_b32 s10, s87
	s_cbranch_execz .LBB167_321
; %bb.320:                              ;   in Loop: Header=BB167_3 Depth=1
	ds_load_b64 v[36:37], v61 offset:13440
	ds_load_b64 v[38:39], v62
	s_wait_dscnt 0x0
	v_pk_mul_f32 v[40:41], v[38:39], v[36:37] op_sel:[1,1] op_sel_hi:[0,1]
	s_delay_alu instid0(VALU_DEP_1) | instskip(SKIP_1) | instid1(VALU_DEP_2)
	v_pk_fma_f32 v[96:97], v[38:39], v[36:37], v[40:41] op_sel_hi:[1,0,1]
	v_pk_fma_f32 v[36:37], v[38:39], v[36:37], v[40:41] op_sel_hi:[1,0,1] neg_lo:[0,0,1] neg_hi:[0,0,1]
	v_mov_b32_e32 v37, v97
	s_delay_alu instid0(VALU_DEP_1)
	v_pk_add_f32 v[34:35], v[34:35], v[36:37]
.LBB167_321:                            ;   in Loop: Header=BB167_3 Depth=1
	;; [unrolled: 33-line block ×3, first 2 shown]
	s_or_b32 exec_lo, exec_lo, s10
	s_barrier_signal -1
	s_barrier_wait -1
	s_and_saveexec_b32 s10, s25
	s_cbranch_execz .LBB167_327
; %bb.326:                              ;   in Loop: Header=BB167_3 Depth=1
	ds_load_b64 v[36:37], v5 offset:14560
	s_wait_dscnt 0x0
	v_dual_mul_f32 v38, v34, v37 :: v_dual_mul_f32 v40, v35, v37
	s_delay_alu instid0(VALU_DEP_1) | instskip(NEXT) | instid1(VALU_DEP_2)
	v_pk_fma_f32 v[38:39], v[34:35], v[36:37], v[38:39] op_sel:[0,1,0] op_sel_hi:[1,0,0]
	v_pk_fma_f32 v[36:37], v[34:35], v[36:37], v[40:41] op_sel_hi:[1,1,0] neg_lo:[0,0,1] neg_hi:[0,0,1]
	s_delay_alu instid0(VALU_DEP_2) | instskip(NEXT) | instid1(VALU_DEP_1)
	v_mov_b32_e32 v37, v39
	v_mov_b64_e32 v[34:35], v[36:37]
	ds_store_b64 v62, v[36:37]
.LBB167_327:                            ;   in Loop: Header=BB167_3 Depth=1
	s_or_b32 exec_lo, exec_lo, s10
	s_wait_dscnt 0x0
	s_barrier_signal -1
	s_barrier_wait -1
	s_and_saveexec_b32 s10, s27
	s_cbranch_execz .LBB167_329
; %bb.328:                              ;   in Loop: Header=BB167_3 Depth=1
	ds_load_b64 v[36:37], v61 offset:14464
	ds_load_b64 v[38:39], v62
	s_wait_dscnt 0x0
	v_dual_mul_f32 v40, v39, v37 :: v_dual_mul_f32 v41, v38, v37
	s_delay_alu instid0(VALU_DEP_1) | instskip(NEXT) | instid1(VALU_DEP_1)
	v_dual_fma_f32 v40, v38, v36, -v40 :: v_dual_fmac_f32 v41, v39, v36
	v_pk_add_f32 v[34:35], v[34:35], v[40:41]
.LBB167_329:                            ;   in Loop: Header=BB167_3 Depth=1
	s_or_b32 exec_lo, exec_lo, s10
	s_barrier_signal -1
	s_barrier_wait -1
	s_and_saveexec_b32 s10, s29
	s_cbranch_execz .LBB167_331
; %bb.330:                              ;   in Loop: Header=BB167_3 Depth=1
	ds_load_b64 v[36:37], v5 offset:15080
	s_wait_dscnt 0x0
	v_pk_mul_f32 v[38:39], v[34:35], v[36:37] op_sel:[1,1] op_sel_hi:[1,0]
	s_delay_alu instid0(VALU_DEP_1) | instskip(SKIP_1) | instid1(VALU_DEP_2)
	v_pk_fma_f32 v[40:41], v[34:35], v[36:37], v[38:39] op_sel_hi:[0,1,1]
	v_pk_fma_f32 v[36:37], v[34:35], v[36:37], v[38:39] neg_lo:[0,0,1] neg_hi:[0,0,1]
	v_mov_b32_e32 v37, v41
	s_delay_alu instid0(VALU_DEP_1)
	v_mov_b64_e32 v[34:35], v[36:37]
	ds_store_b64 v62, v[36:37]
.LBB167_331:                            ;   in Loop: Header=BB167_3 Depth=1
	s_or_b32 exec_lo, exec_lo, s10
	s_wait_dscnt 0x0
	s_barrier_signal -1
	s_barrier_wait -1
	s_and_saveexec_b32 s10, s11
	s_cbranch_execz .LBB167_333
; %bb.332:                              ;   in Loop: Header=BB167_3 Depth=1
	ds_load_b64 v[36:37], v61 offset:14976
	ds_load_b64 v[38:39], v62
	s_wait_dscnt 0x0
	v_pk_mul_f32 v[40:41], v[38:39], v[36:37] op_sel:[1,1] op_sel_hi:[0,1]
	s_delay_alu instid0(VALU_DEP_1) | instskip(SKIP_1) | instid1(VALU_DEP_2)
	v_pk_fma_f32 v[96:97], v[38:39], v[36:37], v[40:41] op_sel_hi:[1,0,1]
	v_pk_fma_f32 v[36:37], v[38:39], v[36:37], v[40:41] neg_lo:[0,0,1] neg_hi:[0,0,1]
	v_mov_b32_e32 v37, v97
	s_delay_alu instid0(VALU_DEP_1)
	v_pk_add_f32 v[34:35], v[34:35], v[36:37]
.LBB167_333:                            ;   in Loop: Header=BB167_3 Depth=1
	s_or_b32 exec_lo, exec_lo, s10
	s_barrier_signal -1
	s_barrier_wait -1
	s_and_saveexec_b32 s10, s31
	s_cbranch_execz .LBB167_335
; %bb.334:                              ;   in Loop: Header=BB167_3 Depth=1
	ds_load_b64 v[36:37], v5 offset:15600
	s_wait_dscnt 0x0
	v_pk_mul_f32 v[38:39], v[34:35], v[36:37] op_sel:[1,1] op_sel_hi:[1,0]
	s_delay_alu instid0(VALU_DEP_1) | instskip(SKIP_1) | instid1(VALU_DEP_2)
	v_pk_fma_f32 v[40:41], v[34:35], v[36:37], v[38:39] op_sel_hi:[0,1,1]
	v_pk_fma_f32 v[36:37], v[34:35], v[36:37], v[38:39] neg_lo:[0,0,1] neg_hi:[0,0,1]
	v_mov_b32_e32 v37, v41
	s_delay_alu instid0(VALU_DEP_1)
	v_mov_b64_e32 v[34:35], v[36:37]
	ds_store_b64 v62, v[36:37]
.LBB167_335:                            ;   in Loop: Header=BB167_3 Depth=1
	s_or_b32 exec_lo, exec_lo, s10
	s_wait_dscnt 0x0
	s_barrier_signal -1
	s_barrier_wait -1
	s_and_saveexec_b32 s10, s12
	s_cbranch_execz .LBB167_337
; %bb.336:                              ;   in Loop: Header=BB167_3 Depth=1
	ds_load_b64 v[36:37], v5 offset:15608
	ds_load_b64 v[38:39], v62
	s_wait_dscnt 0x0
	v_pk_mul_f32 v[40:41], v[38:39], v[36:37] op_sel:[1,1] op_sel_hi:[0,1]
	s_delay_alu instid0(VALU_DEP_1) | instskip(SKIP_1) | instid1(VALU_DEP_2)
	v_pk_fma_f32 v[96:97], v[38:39], v[36:37], v[40:41] op_sel_hi:[1,0,1]
	v_pk_fma_f32 v[36:37], v[38:39], v[36:37], v[40:41] neg_lo:[0,0,1] neg_hi:[0,0,1]
	v_mov_b32_e32 v37, v97
	s_delay_alu instid0(VALU_DEP_1)
	v_pk_add_f32 v[34:35], v[34:35], v[36:37]
.LBB167_337:                            ;   in Loop: Header=BB167_3 Depth=1
	s_or_b32 exec_lo, exec_lo, s10
	s_barrier_signal -1
	s_barrier_wait -1
	s_and_saveexec_b32 s10, s12
	s_cbranch_execz .LBB167_339
; %bb.338:                              ;   in Loop: Header=BB167_3 Depth=1
	ds_load_b64 v[36:37], v5 offset:16120
	s_wait_dscnt 0x0
	v_pk_mul_f32 v[38:39], v[34:35], v[36:37] op_sel:[1,1] op_sel_hi:[1,0]
	s_delay_alu instid0(VALU_DEP_1) | instskip(SKIP_1) | instid1(VALU_DEP_2)
	v_pk_fma_f32 v[40:41], v[34:35], v[36:37], v[38:39] op_sel_hi:[0,1,1]
	v_pk_fma_f32 v[36:37], v[34:35], v[36:37], v[38:39] neg_lo:[0,0,1] neg_hi:[0,0,1]
	v_mov_b32_e32 v37, v41
	s_delay_alu instid0(VALU_DEP_1)
	v_mov_b64_e32 v[34:35], v[36:37]
	ds_store_b64 v62, v[36:37]
.LBB167_339:                            ;   in Loop: Header=BB167_3 Depth=1
	s_or_b32 exec_lo, exec_lo, s10
	s_wait_dscnt 0x0
	s_barrier_signal -1
	s_barrier_wait -1
	s_barrier_signal -1
	s_barrier_wait -1
	s_and_saveexec_b32 s10, s7
; %bb.340:                              ;   in Loop: Header=BB167_3 Depth=1
	v_pk_add_f32 v[34:35], v[34:35], 0 neg_lo:[1,1] neg_hi:[1,1]
	ds_store_b64 v63, v[34:35] offset:128
; %bb.341:                              ;   in Loop: Header=BB167_3 Depth=1
	s_or_b32 exec_lo, exec_lo, s10
	s_wait_dscnt 0x0
	s_barrier_signal -1
	s_barrier_wait -1
	s_barrier_signal -1
	s_barrier_wait -1
	s_and_saveexec_b32 s10, s34
	s_cbranch_execz .LBB167_343
; %bb.342:                              ;   in Loop: Header=BB167_3 Depth=1
	ds_load_b64 v[34:35], v48 offset:128
	s_wait_dscnt 0x0
	ds_store_b64 v53, v[34:35] offset:8192
	ds_load_b64 v[34:35], v48 offset:136
	s_wait_dscnt 0x0
	ds_store_b64 v53, v[34:35] offset:8704
	;; [unrolled: 3-line block ×16, first 2 shown]
.LBB167_343:                            ;   in Loop: Header=BB167_3 Depth=1
	s_or_b32 exec_lo, exec_lo, s10
	s_wait_dscnt 0x0
	s_barrier_signal -1
	s_barrier_wait -1
	s_and_saveexec_b32 s10, s15
	s_cbranch_execz .LBB167_345
; %bb.344:                              ;   in Loop: Header=BB167_3 Depth=1
	ds_load_b128 v[34:37], v5 offset:8320
	ds_load_b64 v[38:39], v5 offset:8840
	s_wait_dscnt 0x1
	v_dual_mov_b32 v96, v37 :: v_dual_mov_b32 v97, v36
	s_wait_dscnt 0x0
	v_dual_mul_f32 v41, v39, v35 :: v_dual_mul_f32 v40, v38, v35
	s_delay_alu instid0(VALU_DEP_1) | instskip(NEXT) | instid1(VALU_DEP_1)
	v_xor_b32_e32 v98, 0x80000000, v41
	v_dual_fmac_f32 v40, v39, v34 :: v_dual_fmac_f32 v98, v38, v34
	s_delay_alu instid0(VALU_DEP_1) | instskip(NEXT) | instid1(VALU_DEP_1)
	v_pk_mul_f32 v[34:35], v[40:41], v[96:97] op_sel_hi:[0,1]
	v_pk_fma_f32 v[38:39], v[98:99], v[36:37], v[34:35] op_sel_hi:[0,1,1]
	v_pk_fma_f32 v[34:35], v[98:99], v[36:37], v[34:35] neg_lo:[0,0,1] neg_hi:[0,0,1]
	v_add_nc_u32_e64 v36, 0x2000, 0
	s_delay_alu instid0(VALU_DEP_3)
	v_mov_b32_e32 v35, v39
	ds_store_2addr_b64 v36, v[34:35], v[34:35] offset0:17 offset1:80
.LBB167_345:                            ;   in Loop: Header=BB167_3 Depth=1
	s_or_b32 exec_lo, exec_lo, s10
	v_mov_b32_e32 v35, 0
	s_wait_dscnt 0x0
	s_barrier_signal -1
	s_barrier_wait -1
	s_delay_alu instid0(VALU_DEP_1)
	v_mov_b32_e32 v34, v35
	s_and_saveexec_b32 s10, s3
	s_cbranch_execz .LBB167_349
; %bb.346:                              ;   in Loop: Header=BB167_3 Depth=1
	ds_load_b64 v[34:35], v43 offset:8336
	ds_load_b64 v[36:37], v44 offset:8320
	s_wait_dscnt 0x0
	v_dual_mul_f32 v38, v37, v35 :: v_dual_mul_f32 v39, v36, v35
	s_delay_alu instid0(VALU_DEP_1) | instskip(NEXT) | instid1(VALU_DEP_1)
	v_dual_fma_f32 v38, v36, v34, -v38 :: v_dual_fmac_f32 v39, v37, v34
	v_pk_add_f32 v[34:35], v[38:39], 0 op_sel_hi:[1,0]
	s_and_saveexec_b32 s56, s16
	s_cbranch_execz .LBB167_348
; %bb.347:                              ;   in Loop: Header=BB167_3 Depth=1
	ds_load_b64 v[36:37], v45 offset:8848
	ds_load_b64 v[38:39], v5 offset:8328
	s_wait_dscnt 0x0
	v_pk_mul_f32 v[40:41], v[38:39], v[36:37] op_sel:[1,1] op_sel_hi:[0,1]
	s_delay_alu instid0(VALU_DEP_1) | instskip(SKIP_1) | instid1(VALU_DEP_2)
	v_pk_fma_f32 v[96:97], v[38:39], v[36:37], v[40:41] op_sel_hi:[1,0,1]
	v_pk_fma_f32 v[36:37], v[38:39], v[36:37], v[40:41] neg_lo:[0,0,1] neg_hi:[0,0,1]
	v_mov_b32_e32 v37, v97
	s_delay_alu instid0(VALU_DEP_1)
	v_pk_add_f32 v[34:35], v[34:35], v[36:37]
.LBB167_348:                            ;   in Loop: Header=BB167_3 Depth=1
	s_or_b32 exec_lo, exec_lo, s56
	s_delay_alu instid0(VALU_DEP_1)
	v_pk_add_f32 v[34:35], v[34:35], 0 neg_lo:[1,1] neg_hi:[1,1]
.LBB167_349:                            ;   in Loop: Header=BB167_3 Depth=1
	s_or_b32 exec_lo, exec_lo, s10
	s_and_saveexec_b32 s10, s95
	s_cbranch_execz .LBB167_351
; %bb.350:                              ;   in Loop: Header=BB167_3 Depth=1
	ds_load_b64 v[36:37], v5 offset:9360
	s_wait_dscnt 0x0
	v_pk_mul_f32 v[38:39], v[34:35], v[36:37] op_sel:[1,1] op_sel_hi:[1,0]
	s_delay_alu instid0(VALU_DEP_1) | instskip(SKIP_1) | instid1(VALU_DEP_2)
	v_pk_fma_f32 v[40:41], v[34:35], v[36:37], v[38:39] op_sel_hi:[0,1,1]
	v_pk_fma_f32 v[36:37], v[34:35], v[36:37], v[38:39] neg_lo:[0,0,1] neg_hi:[0,0,1]
	v_mov_b32_e32 v37, v41
	s_delay_alu instid0(VALU_DEP_1)
	v_mov_b64_e32 v[34:35], v[36:37]
	ds_store_b64 v3, v[36:37]
.LBB167_351:                            ;   in Loop: Header=BB167_3 Depth=1
	s_or_b32 exec_lo, exec_lo, s10
	s_wait_dscnt 0x0
	s_barrier_signal -1
	s_barrier_wait -1
	s_and_saveexec_b32 s10, s96
	s_cbranch_execz .LBB167_353
; %bb.352:                              ;   in Loop: Header=BB167_3 Depth=1
	ds_load_b64 v[36:37], v5 offset:9368
	ds_load_b64 v[38:39], v3
	s_wait_dscnt 0x0
	v_pk_mul_f32 v[40:41], v[38:39], v[36:37] op_sel:[1,1] op_sel_hi:[0,1]
	s_delay_alu instid0(VALU_DEP_1) | instskip(SKIP_1) | instid1(VALU_DEP_2)
	v_pk_fma_f32 v[96:97], v[38:39], v[36:37], v[40:41] op_sel_hi:[1,0,1]
	v_pk_fma_f32 v[36:37], v[38:39], v[36:37], v[40:41] neg_lo:[0,0,1] neg_hi:[0,0,1]
	v_mov_b32_e32 v37, v97
	s_delay_alu instid0(VALU_DEP_1)
	v_pk_add_f32 v[34:35], v[34:35], v[36:37]
.LBB167_353:                            ;   in Loop: Header=BB167_3 Depth=1
	s_or_b32 exec_lo, exec_lo, s10
	s_barrier_signal -1
	s_barrier_wait -1
	s_and_saveexec_b32 s10, s96
	s_cbranch_execz .LBB167_355
; %bb.354:                              ;   in Loop: Header=BB167_3 Depth=1
	ds_load_b64 v[36:37], v5 offset:9880
	s_wait_dscnt 0x0
	v_pk_mul_f32 v[38:39], v[34:35], v[36:37] op_sel:[1,1] op_sel_hi:[1,0]
	s_delay_alu instid0(VALU_DEP_1) | instskip(SKIP_1) | instid1(VALU_DEP_2)
	v_pk_fma_f32 v[40:41], v[34:35], v[36:37], v[38:39] op_sel_hi:[0,1,1]
	v_pk_fma_f32 v[36:37], v[34:35], v[36:37], v[38:39] neg_lo:[0,0,1] neg_hi:[0,0,1]
	v_mov_b32_e32 v37, v41
	s_delay_alu instid0(VALU_DEP_1)
	v_mov_b64_e32 v[34:35], v[36:37]
	ds_store_b64 v3, v[36:37]
.LBB167_355:                            ;   in Loop: Header=BB167_3 Depth=1
	s_or_b32 exec_lo, exec_lo, s10
	s_wait_dscnt 0x0
	s_barrier_signal -1
	s_barrier_wait -1
	s_barrier_signal -1
	s_barrier_wait -1
	s_and_saveexec_b32 s10, s3
; %bb.356:                              ;   in Loop: Header=BB167_3 Depth=1
	v_pk_add_f32 v[34:35], v[34:35], 0 neg_lo:[1,1] neg_hi:[1,1]
	ds_store_b64 v43, v[34:35] offset:8336
; %bb.357:                              ;   in Loop: Header=BB167_3 Depth=1
	s_or_b32 exec_lo, exec_lo, s10
	s_wait_dscnt 0x0
	s_barrier_signal -1
	s_barrier_wait -1
	s_barrier_signal -1
	s_barrier_wait -1
	s_and_saveexec_b32 s10, s97
	s_cbranch_execz .LBB167_359
; %bb.358:                              ;   in Loop: Header=BB167_3 Depth=1
	ds_load_b64 v[34:35], v48 offset:8336
	s_wait_dscnt 0x0
	ds_store_b64 v45, v[34:35] offset:9344
	ds_load_b64 v[34:35], v48 offset:8344
	s_wait_dscnt 0x0
	ds_store_b64 v45, v[34:35] offset:9856
.LBB167_359:                            ;   in Loop: Header=BB167_3 Depth=1
	s_or_b32 exec_lo, exec_lo, s10
	s_wait_dscnt 0x0
	s_barrier_signal -1
	s_barrier_wait -1
	s_and_saveexec_b32 s10, s15
	s_cbranch_execz .LBB167_361
; %bb.360:                              ;   in Loop: Header=BB167_3 Depth=1
	ds_load_b128 v[34:37], v5 offset:9360
	ds_load_b64 v[38:39], v5 offset:9880
	s_wait_dscnt 0x1
	v_dual_mov_b32 v96, v37 :: v_dual_mov_b32 v97, v36
	s_wait_dscnt 0x0
	v_dual_mul_f32 v41, v39, v35 :: v_dual_mul_f32 v40, v38, v35
	s_delay_alu instid0(VALU_DEP_1) | instskip(NEXT) | instid1(VALU_DEP_1)
	v_xor_b32_e32 v98, 0x80000000, v41
	v_dual_fmac_f32 v40, v39, v34 :: v_dual_fmac_f32 v98, v38, v34
	s_delay_alu instid0(VALU_DEP_1) | instskip(NEXT) | instid1(VALU_DEP_1)
	v_pk_mul_f32 v[34:35], v[40:41], v[96:97] op_sel_hi:[0,1]
	v_pk_fma_f32 v[38:39], v[98:99], v[36:37], v[34:35] op_sel_hi:[0,1,1]
	v_pk_fma_f32 v[34:35], v[98:99], v[36:37], v[34:35] neg_lo:[0,0,1] neg_hi:[0,0,1]
	v_add_nc_u32_e64 v36, 0x2000, 0
	s_delay_alu instid0(VALU_DEP_3)
	v_mov_b32_e32 v35, v39
	ds_store_2addr_b64 v36, v[34:35], v[34:35] offset0:147 offset1:210
.LBB167_361:                            ;   in Loop: Header=BB167_3 Depth=1
	s_or_b32 exec_lo, exec_lo, s10
	v_mov_b32_e32 v34, 0
	s_wait_dscnt 0x0
	s_barrier_signal -1
	s_barrier_wait -1
	s_delay_alu instid0(VALU_DEP_1)
	v_mov_b32_e32 v35, v34
	s_and_saveexec_b32 s10, s5
	s_cbranch_execz .LBB167_367
; %bb.362:                              ;   in Loop: Header=BB167_3 Depth=1
	ds_load_b64 v[34:35], v50 offset:8352
	ds_load_b64 v[36:37], v46 offset:8320
	s_wait_dscnt 0x0
	v_pk_mul_f32 v[38:39], v[36:37], v[34:35] op_sel:[0,1]
	s_delay_alu instid0(VALU_DEP_1) | instskip(SKIP_1) | instid1(VALU_DEP_2)
	v_pk_fma_f32 v[40:41], v[36:37], v[34:35], v[38:39] op_sel:[1,0,0] op_sel_hi:[0,0,1] neg_lo:[0,0,1] neg_hi:[0,0,1]
	v_pk_fma_f32 v[34:35], v[36:37], v[34:35], v[38:39] op_sel:[1,0,0] op_sel_hi:[0,1,1]
	v_mov_b32_e32 v35, v41
	s_delay_alu instid0(VALU_DEP_1)
	v_pk_add_f32 v[34:35], v[34:35], 0 op_sel_hi:[1,0]
	s_and_saveexec_b32 s56, s17
	s_cbranch_execnz .LBB167_1124
; %bb.363:                              ;   in Loop: Header=BB167_3 Depth=1
	s_or_b32 exec_lo, exec_lo, s56
	s_and_saveexec_b32 s56, s18
	s_cbranch_execnz .LBB167_1125
.LBB167_364:                            ;   in Loop: Header=BB167_3 Depth=1
	s_or_b32 exec_lo, exec_lo, s56
	s_and_saveexec_b32 s56, s3
	s_cbranch_execz .LBB167_366
.LBB167_365:                            ;   in Loop: Header=BB167_3 Depth=1
	ds_load_b64 v[36:37], v53 offset:9888
	ds_load_b64 v[38:39], v5 offset:8344
	s_wait_dscnt 0x0
	v_pk_mul_f32 v[40:41], v[38:39], v[36:37] op_sel:[0,1]
	s_delay_alu instid0(VALU_DEP_1) | instskip(SKIP_1) | instid1(VALU_DEP_2)
	v_pk_fma_f32 v[96:97], v[38:39], v[36:37], v[40:41] op_sel:[1,0,0] op_sel_hi:[0,0,1] neg_lo:[0,0,1] neg_hi:[0,0,1]
	v_pk_fma_f32 v[36:37], v[38:39], v[36:37], v[40:41] op_sel:[1,0,0] op_sel_hi:[0,1,1]
	v_mov_b32_e32 v37, v97
	s_delay_alu instid0(VALU_DEP_1)
	v_pk_add_f32 v[34:35], v[34:35], v[36:37]
.LBB167_366:                            ;   in Loop: Header=BB167_3 Depth=1
	s_or_b32 exec_lo, exec_lo, s56
	s_delay_alu instid0(VALU_DEP_1) | instskip(NEXT) | instid1(VALU_DEP_1)
	v_pk_add_f32 v[36:37], v[34:35], 0 neg_lo:[1,1] neg_hi:[1,1]
	v_dual_mov_b32 v34, v37 :: v_dual_mov_b32 v35, v36
.LBB167_367:                            ;   in Loop: Header=BB167_3 Depth=1
	s_or_b32 exec_lo, exec_lo, s10
	s_and_saveexec_b32 s10, s98
	s_cbranch_execz .LBB167_369
; %bb.368:                              ;   in Loop: Header=BB167_3 Depth=1
	ds_load_b64 v[36:37], v5 offset:10400
	v_dual_mov_b32 v38, v35 :: v_dual_mov_b32 v39, v34
	s_wait_dscnt 0x0
	s_delay_alu instid0(VALU_DEP_1) | instskip(NEXT) | instid1(VALU_DEP_1)
	v_dual_mul_f32 v40, v38, v36 :: v_dual_mul_f32 v96, v35, v37
	v_pk_fma_f32 v[38:39], v[38:39], v[36:37], v[40:41] op_sel_hi:[1,1,0]
	s_delay_alu instid0(VALU_DEP_2) | instskip(NEXT) | instid1(VALU_DEP_2)
	v_pk_fma_f32 v[34:35], v[34:35], v[36:37], v[96:97] op_sel_hi:[1,1,0] neg_lo:[0,0,1] neg_hi:[0,0,1]
	v_mov_b32_e32 v35, v39
	ds_store_b64 v49, v[34:35]
.LBB167_369:                            ;   in Loop: Header=BB167_3 Depth=1
	s_or_b32 exec_lo, exec_lo, s10
	s_wait_dscnt 0x0
	s_barrier_signal -1
	s_barrier_wait -1
	s_and_saveexec_b32 s10, s99
	s_cbranch_execz .LBB167_371
; %bb.370:                              ;   in Loop: Header=BB167_3 Depth=1
	ds_load_b64 v[36:37], v47 offset:10400
	ds_load_b64 v[38:39], v49
	s_wait_dscnt 0x0
	v_dual_mul_f32 v40, v39, v37 :: v_dual_mul_f32 v41, v38, v37
	s_delay_alu instid0(VALU_DEP_1) | instskip(NEXT) | instid1(VALU_DEP_1)
	v_dual_fma_f32 v40, v38, v36, -v40 :: v_dual_fmac_f32 v41, v39, v36
	v_pk_add_f32 v[34:35], v[34:35], v[40:41]
.LBB167_371:                            ;   in Loop: Header=BB167_3 Depth=1
	s_or_b32 exec_lo, exec_lo, s10
	s_barrier_signal -1
	s_barrier_wait -1
	s_and_saveexec_b32 s10, s100
	s_cbranch_execz .LBB167_373
; %bb.372:                              ;   in Loop: Header=BB167_3 Depth=1
	ds_load_b64 v[36:37], v5 offset:10920
	s_wait_dscnt 0x0
	v_pk_mul_f32 v[38:39], v[34:35], v[36:37] op_sel:[1,1] op_sel_hi:[1,0]
	s_delay_alu instid0(VALU_DEP_1) | instskip(SKIP_1) | instid1(VALU_DEP_2)
	v_pk_fma_f32 v[40:41], v[34:35], v[36:37], v[38:39] op_sel_hi:[0,1,1]
	v_pk_fma_f32 v[36:37], v[34:35], v[36:37], v[38:39] neg_lo:[0,0,1] neg_hi:[0,0,1]
	v_mov_b32_e32 v37, v41
	s_delay_alu instid0(VALU_DEP_1)
	v_mov_b64_e32 v[34:35], v[36:37]
	ds_store_b64 v49, v[36:37]
.LBB167_373:                            ;   in Loop: Header=BB167_3 Depth=1
	s_or_b32 exec_lo, exec_lo, s10
	s_wait_dscnt 0x0
	s_barrier_signal -1
	s_barrier_wait -1
	s_and_saveexec_b32 s10, s101
	s_cbranch_execz .LBB167_375
; %bb.374:                              ;   in Loop: Header=BB167_3 Depth=1
	ds_load_b64 v[36:37], v47 offset:10912
	ds_load_b64 v[38:39], v49
	s_wait_dscnt 0x0
	v_pk_mul_f32 v[40:41], v[38:39], v[36:37] op_sel:[1,1] op_sel_hi:[0,1]
	s_delay_alu instid0(VALU_DEP_1) | instskip(SKIP_1) | instid1(VALU_DEP_2)
	v_pk_fma_f32 v[96:97], v[38:39], v[36:37], v[40:41] op_sel_hi:[1,0,1]
	v_pk_fma_f32 v[36:37], v[38:39], v[36:37], v[40:41] neg_lo:[0,0,1] neg_hi:[0,0,1]
	v_mov_b32_e32 v37, v97
	s_delay_alu instid0(VALU_DEP_1)
	v_pk_add_f32 v[34:35], v[34:35], v[36:37]
.LBB167_375:                            ;   in Loop: Header=BB167_3 Depth=1
	s_or_b32 exec_lo, exec_lo, s10
	s_barrier_signal -1
	s_barrier_wait -1
	s_and_saveexec_b32 s10, s102
	s_cbranch_execz .LBB167_377
; %bb.376:                              ;   in Loop: Header=BB167_3 Depth=1
	ds_load_b64 v[36:37], v5 offset:11440
	s_wait_dscnt 0x0
	v_pk_mul_f32 v[38:39], v[34:35], v[36:37] op_sel:[1,1] op_sel_hi:[1,0]
	s_delay_alu instid0(VALU_DEP_1) | instskip(SKIP_1) | instid1(VALU_DEP_2)
	v_pk_fma_f32 v[40:41], v[34:35], v[36:37], v[38:39] op_sel_hi:[0,1,1]
	v_pk_fma_f32 v[36:37], v[34:35], v[36:37], v[38:39] neg_lo:[0,0,1] neg_hi:[0,0,1]
	v_mov_b32_e32 v37, v41
	s_delay_alu instid0(VALU_DEP_1)
	v_mov_b64_e32 v[34:35], v[36:37]
	ds_store_b64 v49, v[36:37]
.LBB167_377:                            ;   in Loop: Header=BB167_3 Depth=1
	s_or_b32 exec_lo, exec_lo, s10
	s_wait_dscnt 0x0
	s_barrier_signal -1
	s_barrier_wait -1
	s_and_saveexec_b32 s10, s103
	s_cbranch_execz .LBB167_379
; %bb.378:                              ;   in Loop: Header=BB167_3 Depth=1
	ds_load_b64 v[36:37], v5 offset:11448
	ds_load_b64 v[38:39], v49
	s_wait_dscnt 0x0
	v_pk_mul_f32 v[40:41], v[38:39], v[36:37] op_sel:[1,1] op_sel_hi:[0,1]
	s_delay_alu instid0(VALU_DEP_1) | instskip(SKIP_1) | instid1(VALU_DEP_2)
	v_pk_fma_f32 v[96:97], v[38:39], v[36:37], v[40:41] op_sel_hi:[1,0,1]
	v_pk_fma_f32 v[36:37], v[38:39], v[36:37], v[40:41] neg_lo:[0,0,1] neg_hi:[0,0,1]
	v_mov_b32_e32 v37, v97
	s_delay_alu instid0(VALU_DEP_1)
	v_pk_add_f32 v[34:35], v[34:35], v[36:37]
.LBB167_379:                            ;   in Loop: Header=BB167_3 Depth=1
	s_or_b32 exec_lo, exec_lo, s10
	s_barrier_signal -1
	s_barrier_wait -1
	s_and_saveexec_b32 s10, s103
	s_cbranch_execz .LBB167_381
; %bb.380:                              ;   in Loop: Header=BB167_3 Depth=1
	ds_load_b64 v[36:37], v5 offset:11960
	s_wait_dscnt 0x0
	v_pk_mul_f32 v[38:39], v[34:35], v[36:37] op_sel:[1,1] op_sel_hi:[1,0]
	s_delay_alu instid0(VALU_DEP_1) | instskip(SKIP_1) | instid1(VALU_DEP_2)
	v_pk_fma_f32 v[40:41], v[34:35], v[36:37], v[38:39] op_sel_hi:[0,1,1]
	v_pk_fma_f32 v[36:37], v[34:35], v[36:37], v[38:39] neg_lo:[0,0,1] neg_hi:[0,0,1]
	v_mov_b32_e32 v37, v41
	s_delay_alu instid0(VALU_DEP_1)
	v_mov_b64_e32 v[34:35], v[36:37]
	ds_store_b64 v49, v[36:37]
.LBB167_381:                            ;   in Loop: Header=BB167_3 Depth=1
	s_or_b32 exec_lo, exec_lo, s10
	s_wait_dscnt 0x0
	s_barrier_signal -1
	s_barrier_wait -1
	s_barrier_signal -1
	s_barrier_wait -1
	s_and_saveexec_b32 s10, s5
; %bb.382:                              ;   in Loop: Header=BB167_3 Depth=1
	v_pk_add_f32 v[34:35], v[34:35], 0 neg_lo:[1,1] neg_hi:[1,1]
	ds_store_b64 v50, v[34:35] offset:8352
; %bb.383:                              ;   in Loop: Header=BB167_3 Depth=1
	s_or_b32 exec_lo, exec_lo, s10
	s_wait_dscnt 0x0
	s_barrier_signal -1
	s_barrier_wait -1
	s_barrier_signal -1
	s_barrier_wait -1
	s_and_saveexec_b32 s10, s104
	s_cbranch_execz .LBB167_385
; %bb.384:                              ;   in Loop: Header=BB167_3 Depth=1
	ds_load_b64 v[34:35], v55 offset:8352
	s_wait_dscnt 0x0
	ds_store_b64 v68, v[34:35] offset:10368
	ds_load_b64 v[34:35], v55 offset:8360
	s_wait_dscnt 0x0
	ds_store_b64 v68, v[34:35] offset:10880
	;; [unrolled: 3-line block ×4, first 2 shown]
.LBB167_385:                            ;   in Loop: Header=BB167_3 Depth=1
	s_or_b32 exec_lo, exec_lo, s10
	s_wait_dscnt 0x0
	s_barrier_signal -1
	s_barrier_wait -1
	s_and_saveexec_b32 s10, s15
	s_cbranch_execz .LBB167_387
; %bb.386:                              ;   in Loop: Header=BB167_3 Depth=1
	ds_load_b128 v[34:37], v5 offset:10400
	ds_load_b64 v[38:39], v5 offset:10920
	s_wait_dscnt 0x1
	v_dual_mov_b32 v96, v37 :: v_dual_mov_b32 v97, v36
	s_wait_dscnt 0x0
	v_dual_mul_f32 v41, v39, v35 :: v_dual_mul_f32 v40, v38, v35
	s_delay_alu instid0(VALU_DEP_1) | instskip(NEXT) | instid1(VALU_DEP_1)
	v_xor_b32_e32 v98, 0x80000000, v41
	v_dual_fmac_f32 v40, v39, v34 :: v_dual_fmac_f32 v98, v38, v34
	s_delay_alu instid0(VALU_DEP_1) | instskip(NEXT) | instid1(VALU_DEP_1)
	v_pk_mul_f32 v[34:35], v[40:41], v[96:97] op_sel_hi:[0,1]
	v_pk_fma_f32 v[38:39], v[98:99], v[36:37], v[34:35] op_sel_hi:[0,1,1]
	v_pk_fma_f32 v[34:35], v[98:99], v[36:37], v[34:35] neg_lo:[0,0,1] neg_hi:[0,0,1]
	v_add_nc_u32_e64 v36, 0x2800, 0
	s_delay_alu instid0(VALU_DEP_3)
	v_mov_b32_e32 v35, v39
	ds_store_2addr_b64 v36, v[34:35], v[34:35] offset0:21 offset1:84
.LBB167_387:                            ;   in Loop: Header=BB167_3 Depth=1
	s_or_b32 exec_lo, exec_lo, s10
	v_mov_b32_e32 v35, 0
	s_wait_dscnt 0x0
	s_barrier_signal -1
	s_barrier_wait -1
	s_delay_alu instid0(VALU_DEP_1)
	v_mov_b32_e32 v34, v35
	s_and_saveexec_b32 s10, s3
	s_cbranch_execz .LBB167_391
; %bb.388:                              ;   in Loop: Header=BB167_3 Depth=1
	ds_load_b64 v[34:35], v43 offset:10416
	ds_load_b64 v[36:37], v44 offset:10400
	s_wait_dscnt 0x0
	v_dual_mul_f32 v38, v37, v35 :: v_dual_mul_f32 v39, v36, v35
	s_delay_alu instid0(VALU_DEP_1) | instskip(NEXT) | instid1(VALU_DEP_1)
	v_dual_fma_f32 v38, v36, v34, -v38 :: v_dual_fmac_f32 v39, v37, v34
	v_pk_add_f32 v[34:35], v[38:39], 0 op_sel_hi:[1,0]
	s_and_saveexec_b32 s56, s16
	s_cbranch_execz .LBB167_390
; %bb.389:                              ;   in Loop: Header=BB167_3 Depth=1
	ds_load_b64 v[36:37], v68 offset:10928
	ds_load_b64 v[38:39], v5 offset:10408
	s_wait_dscnt 0x0
	v_pk_mul_f32 v[40:41], v[38:39], v[36:37] op_sel:[1,1] op_sel_hi:[0,1]
	s_delay_alu instid0(VALU_DEP_1) | instskip(SKIP_1) | instid1(VALU_DEP_2)
	v_pk_fma_f32 v[96:97], v[38:39], v[36:37], v[40:41] op_sel_hi:[1,0,1]
	v_pk_fma_f32 v[36:37], v[38:39], v[36:37], v[40:41] neg_lo:[0,0,1] neg_hi:[0,0,1]
	v_mov_b32_e32 v37, v97
	s_delay_alu instid0(VALU_DEP_1)
	v_pk_add_f32 v[34:35], v[34:35], v[36:37]
.LBB167_390:                            ;   in Loop: Header=BB167_3 Depth=1
	s_or_b32 exec_lo, exec_lo, s56
	s_delay_alu instid0(VALU_DEP_1)
	v_pk_add_f32 v[34:35], v[34:35], 0 neg_lo:[1,1] neg_hi:[1,1]
.LBB167_391:                            ;   in Loop: Header=BB167_3 Depth=1
	s_or_b32 exec_lo, exec_lo, s10
	s_and_saveexec_b32 s10, s95
	s_cbranch_execz .LBB167_393
; %bb.392:                              ;   in Loop: Header=BB167_3 Depth=1
	ds_load_b64 v[36:37], v5 offset:11440
	s_wait_dscnt 0x0
	v_pk_mul_f32 v[38:39], v[34:35], v[36:37] op_sel:[1,1] op_sel_hi:[1,0]
	s_delay_alu instid0(VALU_DEP_1) | instskip(SKIP_1) | instid1(VALU_DEP_2)
	v_pk_fma_f32 v[40:41], v[34:35], v[36:37], v[38:39] op_sel_hi:[0,1,1]
	v_pk_fma_f32 v[36:37], v[34:35], v[36:37], v[38:39] neg_lo:[0,0,1] neg_hi:[0,0,1]
	v_mov_b32_e32 v37, v41
	s_delay_alu instid0(VALU_DEP_1)
	v_mov_b64_e32 v[34:35], v[36:37]
	ds_store_b64 v3, v[36:37]
.LBB167_393:                            ;   in Loop: Header=BB167_3 Depth=1
	s_or_b32 exec_lo, exec_lo, s10
	s_wait_dscnt 0x0
	s_barrier_signal -1
	s_barrier_wait -1
	s_and_saveexec_b32 s10, s96
	s_cbranch_execz .LBB167_395
; %bb.394:                              ;   in Loop: Header=BB167_3 Depth=1
	ds_load_b64 v[36:37], v5 offset:11448
	ds_load_b64 v[38:39], v3
	s_wait_dscnt 0x0
	v_pk_mul_f32 v[40:41], v[38:39], v[36:37] op_sel:[1,1] op_sel_hi:[0,1]
	s_delay_alu instid0(VALU_DEP_1) | instskip(SKIP_1) | instid1(VALU_DEP_2)
	v_pk_fma_f32 v[96:97], v[38:39], v[36:37], v[40:41] op_sel_hi:[1,0,1]
	v_pk_fma_f32 v[36:37], v[38:39], v[36:37], v[40:41] neg_lo:[0,0,1] neg_hi:[0,0,1]
	v_mov_b32_e32 v37, v97
	s_delay_alu instid0(VALU_DEP_1)
	v_pk_add_f32 v[34:35], v[34:35], v[36:37]
.LBB167_395:                            ;   in Loop: Header=BB167_3 Depth=1
	s_or_b32 exec_lo, exec_lo, s10
	s_barrier_signal -1
	s_barrier_wait -1
	s_and_saveexec_b32 s10, s96
	s_cbranch_execz .LBB167_397
; %bb.396:                              ;   in Loop: Header=BB167_3 Depth=1
	ds_load_b64 v[36:37], v5 offset:11960
	s_wait_dscnt 0x0
	v_pk_mul_f32 v[38:39], v[34:35], v[36:37] op_sel:[1,1] op_sel_hi:[1,0]
	s_delay_alu instid0(VALU_DEP_1) | instskip(SKIP_1) | instid1(VALU_DEP_2)
	v_pk_fma_f32 v[40:41], v[34:35], v[36:37], v[38:39] op_sel_hi:[0,1,1]
	v_pk_fma_f32 v[36:37], v[34:35], v[36:37], v[38:39] neg_lo:[0,0,1] neg_hi:[0,0,1]
	v_mov_b32_e32 v37, v41
	s_delay_alu instid0(VALU_DEP_1)
	v_mov_b64_e32 v[34:35], v[36:37]
	ds_store_b64 v3, v[36:37]
.LBB167_397:                            ;   in Loop: Header=BB167_3 Depth=1
	s_or_b32 exec_lo, exec_lo, s10
	s_wait_dscnt 0x0
	s_barrier_signal -1
	s_barrier_wait -1
	s_barrier_signal -1
	s_barrier_wait -1
	s_and_saveexec_b32 s10, s3
; %bb.398:                              ;   in Loop: Header=BB167_3 Depth=1
	v_pk_add_f32 v[34:35], v[34:35], 0 neg_lo:[1,1] neg_hi:[1,1]
	ds_store_b64 v43, v[34:35] offset:10416
; %bb.399:                              ;   in Loop: Header=BB167_3 Depth=1
	s_or_b32 exec_lo, exec_lo, s10
	s_wait_dscnt 0x0
	s_barrier_signal -1
	s_barrier_wait -1
	s_barrier_signal -1
	s_barrier_wait -1
	s_and_saveexec_b32 s10, s97
	s_cbranch_execz .LBB167_401
; %bb.400:                              ;   in Loop: Header=BB167_3 Depth=1
	ds_load_b64 v[34:35], v69 offset:10416
	s_wait_dscnt 0x0
	ds_store_b64 v68, v[34:35] offset:11424
	ds_load_b64 v[34:35], v69 offset:10424
	s_wait_dscnt 0x0
	ds_store_b64 v68, v[34:35] offset:11936
.LBB167_401:                            ;   in Loop: Header=BB167_3 Depth=1
	s_or_b32 exec_lo, exec_lo, s10
	s_wait_dscnt 0x0
	s_barrier_signal -1
	s_barrier_wait -1
	s_and_saveexec_b32 s10, s15
	s_cbranch_execz .LBB167_403
; %bb.402:                              ;   in Loop: Header=BB167_3 Depth=1
	ds_load_b128 v[34:37], v5 offset:11440
	ds_load_b64 v[38:39], v5 offset:11960
	s_wait_dscnt 0x1
	v_dual_mov_b32 v96, v37 :: v_dual_mov_b32 v97, v36
	s_wait_dscnt 0x0
	v_dual_mul_f32 v41, v39, v35 :: v_dual_mul_f32 v40, v38, v35
	s_delay_alu instid0(VALU_DEP_1) | instskip(NEXT) | instid1(VALU_DEP_1)
	v_xor_b32_e32 v98, 0x80000000, v41
	v_dual_fmac_f32 v40, v39, v34 :: v_dual_fmac_f32 v98, v38, v34
	s_delay_alu instid0(VALU_DEP_1) | instskip(NEXT) | instid1(VALU_DEP_1)
	v_pk_mul_f32 v[34:35], v[40:41], v[96:97] op_sel_hi:[0,1]
	v_pk_fma_f32 v[38:39], v[98:99], v[36:37], v[34:35] op_sel_hi:[0,1,1]
	v_pk_fma_f32 v[34:35], v[98:99], v[36:37], v[34:35] neg_lo:[0,0,1] neg_hi:[0,0,1]
	v_add_nc_u32_e64 v36, 0x2800, 0
	s_delay_alu instid0(VALU_DEP_3)
	v_mov_b32_e32 v35, v39
	ds_store_2addr_b64 v36, v[34:35], v[34:35] offset0:151 offset1:214
.LBB167_403:                            ;   in Loop: Header=BB167_3 Depth=1
	s_or_b32 exec_lo, exec_lo, s10
	v_mov_b32_e32 v34, 0
	s_wait_dscnt 0x0
	s_barrier_signal -1
	s_barrier_wait -1
	s_delay_alu instid0(VALU_DEP_1)
	v_mov_b32_e32 v35, v34
	s_and_saveexec_b32 s10, s6
	s_cbranch_execz .LBB167_413
; %bb.404:                              ;   in Loop: Header=BB167_3 Depth=1
	ds_load_b64 v[34:35], v58 offset:8384
	ds_load_b64 v[36:37], v54 offset:8320
	s_wait_dscnt 0x0
	v_dual_mul_f32 v38, v37, v35 :: v_dual_mul_f32 v39, v36, v35
	s_delay_alu instid0(VALU_DEP_1) | instskip(NEXT) | instid1(VALU_DEP_1)
	v_dual_fma_f32 v35, v36, v34, -v38 :: v_dual_fmac_f32 v39, v37, v34
	v_add_f32_e32 v35, 0, v35
	s_delay_alu instid0(VALU_DEP_2)
	v_add_f32_e32 v34, 0, v39
	s_and_saveexec_b32 s56, s19
	s_cbranch_execnz .LBB167_1126
; %bb.405:                              ;   in Loop: Header=BB167_3 Depth=1
	s_or_b32 exec_lo, exec_lo, s56
	s_and_saveexec_b32 s56, s20
	s_cbranch_execnz .LBB167_1127
.LBB167_406:                            ;   in Loop: Header=BB167_3 Depth=1
	s_or_b32 exec_lo, exec_lo, s56
	s_and_saveexec_b32 s56, s21
	s_cbranch_execnz .LBB167_1128
.LBB167_407:                            ;   in Loop: Header=BB167_3 Depth=1
	s_or_b32 exec_lo, exec_lo, s56
	s_and_saveexec_b32 s56, s22
	s_cbranch_execnz .LBB167_1129
.LBB167_408:                            ;   in Loop: Header=BB167_3 Depth=1
	s_or_b32 exec_lo, exec_lo, s56
	s_and_saveexec_b32 s56, s23
	s_cbranch_execnz .LBB167_1130
.LBB167_409:                            ;   in Loop: Header=BB167_3 Depth=1
	s_or_b32 exec_lo, exec_lo, s56
	s_and_saveexec_b32 s56, s5
	s_cbranch_execnz .LBB167_1131
.LBB167_410:                            ;   in Loop: Header=BB167_3 Depth=1
	s_or_b32 exec_lo, exec_lo, s56
	s_and_saveexec_b32 s56, s18
	s_cbranch_execz .LBB167_412
.LBB167_411:                            ;   in Loop: Header=BB167_3 Depth=1
	ds_load_b64 v[36:37], v70 offset:11968
	ds_load_b64 v[38:39], v5 offset:8376
	s_wait_dscnt 0x0
	v_pk_mul_f32 v[40:41], v[38:39], v[36:37] op_sel:[0,1]
	s_delay_alu instid0(VALU_DEP_1) | instskip(SKIP_1) | instid1(VALU_DEP_2)
	v_pk_fma_f32 v[96:97], v[38:39], v[36:37], v[40:41] op_sel:[1,0,0] op_sel_hi:[0,0,1] neg_lo:[0,0,1] neg_hi:[0,0,1]
	v_pk_fma_f32 v[36:37], v[38:39], v[36:37], v[40:41] op_sel:[1,0,0] op_sel_hi:[0,1,1]
	v_mov_b32_e32 v37, v97
	s_delay_alu instid0(VALU_DEP_1)
	v_pk_add_f32 v[34:35], v[34:35], v[36:37]
.LBB167_412:                            ;   in Loop: Header=BB167_3 Depth=1
	s_or_b32 exec_lo, exec_lo, s56
	s_delay_alu instid0(VALU_DEP_1) | instskip(NEXT) | instid1(VALU_DEP_1)
	v_pk_add_f32 v[36:37], v[34:35], 0 neg_lo:[1,1] neg_hi:[1,1]
	v_dual_mov_b32 v34, v37 :: v_dual_mov_b32 v35, v36
.LBB167_413:                            ;   in Loop: Header=BB167_3 Depth=1
	s_or_b32 exec_lo, exec_lo, s10
	s_and_saveexec_b32 s10, vcc_hi
	s_cbranch_execz .LBB167_415
; %bb.414:                              ;   in Loop: Header=BB167_3 Depth=1
	ds_load_b64 v[36:37], v5 offset:12480
	v_dual_mov_b32 v38, v35 :: v_dual_mov_b32 v39, v34
	s_wait_dscnt 0x0
	s_delay_alu instid0(VALU_DEP_1) | instskip(NEXT) | instid1(VALU_DEP_1)
	v_dual_mul_f32 v40, v38, v36 :: v_dual_mul_f32 v96, v35, v37
	v_pk_fma_f32 v[38:39], v[38:39], v[36:37], v[40:41] op_sel_hi:[1,1,0]
	s_delay_alu instid0(VALU_DEP_2) | instskip(NEXT) | instid1(VALU_DEP_2)
	v_pk_fma_f32 v[34:35], v[34:35], v[36:37], v[96:97] op_sel_hi:[1,1,0] neg_lo:[0,0,1] neg_hi:[0,0,1]
	v_mov_b32_e32 v35, v39
	ds_store_b64 v57, v[34:35]
.LBB167_415:                            ;   in Loop: Header=BB167_3 Depth=1
	s_or_b32 exec_lo, exec_lo, s10
	s_wait_dscnt 0x0
	s_barrier_signal -1
	s_barrier_wait -1
	s_and_saveexec_b32 s10, s39
	s_cbranch_execz .LBB167_417
; %bb.416:                              ;   in Loop: Header=BB167_3 Depth=1
	ds_load_b64 v[36:37], v56 offset:12480
	ds_load_b64 v[38:39], v57
	s_wait_dscnt 0x0
	v_dual_mul_f32 v40, v39, v37 :: v_dual_mul_f32 v41, v38, v37
	s_delay_alu instid0(VALU_DEP_1) | instskip(NEXT) | instid1(VALU_DEP_1)
	v_dual_fma_f32 v40, v38, v36, -v40 :: v_dual_fmac_f32 v41, v39, v36
	v_pk_add_f32 v[34:35], v[34:35], v[40:41]
.LBB167_417:                            ;   in Loop: Header=BB167_3 Depth=1
	s_or_b32 exec_lo, exec_lo, s10
	s_barrier_signal -1
	s_barrier_wait -1
	s_and_saveexec_b32 s10, s40
	s_cbranch_execz .LBB167_419
; %bb.418:                              ;   in Loop: Header=BB167_3 Depth=1
	ds_load_b64 v[36:37], v5 offset:13000
	s_wait_dscnt 0x0
	v_pk_mul_f32 v[38:39], v[34:35], v[36:37] op_sel:[1,1] op_sel_hi:[1,0]
	s_delay_alu instid0(VALU_DEP_1) | instskip(SKIP_1) | instid1(VALU_DEP_2)
	v_pk_fma_f32 v[40:41], v[34:35], v[36:37], v[38:39] op_sel_hi:[0,1,1]
	v_pk_fma_f32 v[34:35], v[34:35], v[36:37], v[38:39] op_sel_hi:[0,1,1] neg_lo:[0,0,1] neg_hi:[0,0,1]
	v_mov_b32_e32 v35, v41
	ds_store_b64 v57, v[34:35]
.LBB167_419:                            ;   in Loop: Header=BB167_3 Depth=1
	s_or_b32 exec_lo, exec_lo, s10
	s_wait_dscnt 0x0
	s_barrier_signal -1
	s_barrier_wait -1
	s_and_saveexec_b32 s10, s41
	s_cbranch_execz .LBB167_421
; %bb.420:                              ;   in Loop: Header=BB167_3 Depth=1
	ds_load_b64 v[36:37], v56 offset:12992
	ds_load_b64 v[38:39], v57
	s_wait_dscnt 0x0
	v_pk_mul_f32 v[40:41], v[38:39], v[36:37] op_sel:[1,1] op_sel_hi:[0,1]
	s_delay_alu instid0(VALU_DEP_1) | instskip(SKIP_1) | instid1(VALU_DEP_2)
	v_pk_fma_f32 v[96:97], v[38:39], v[36:37], v[40:41] op_sel_hi:[1,0,1]
	v_pk_fma_f32 v[36:37], v[38:39], v[36:37], v[40:41] op_sel_hi:[1,0,1] neg_lo:[0,0,1] neg_hi:[0,0,1]
	v_mov_b32_e32 v37, v97
	s_delay_alu instid0(VALU_DEP_1)
	v_pk_add_f32 v[34:35], v[34:35], v[36:37]
.LBB167_421:                            ;   in Loop: Header=BB167_3 Depth=1
	s_or_b32 exec_lo, exec_lo, s10
	s_barrier_signal -1
	s_barrier_wait -1
	s_and_saveexec_b32 s10, s42
	s_cbranch_execz .LBB167_423
; %bb.422:                              ;   in Loop: Header=BB167_3 Depth=1
	ds_load_b64 v[36:37], v5 offset:13520
	s_wait_dscnt 0x0
	v_pk_mul_f32 v[38:39], v[34:35], v[36:37] op_sel:[1,1] op_sel_hi:[1,0]
	s_delay_alu instid0(VALU_DEP_1) | instskip(SKIP_1) | instid1(VALU_DEP_2)
	v_pk_fma_f32 v[40:41], v[34:35], v[36:37], v[38:39] op_sel_hi:[0,1,1]
	v_pk_fma_f32 v[34:35], v[34:35], v[36:37], v[38:39] op_sel_hi:[0,1,1] neg_lo:[0,0,1] neg_hi:[0,0,1]
	v_mov_b32_e32 v35, v41
	ds_store_b64 v57, v[34:35]
.LBB167_423:                            ;   in Loop: Header=BB167_3 Depth=1
	s_or_b32 exec_lo, exec_lo, s10
	s_wait_dscnt 0x0
	s_barrier_signal -1
	s_barrier_wait -1
	s_and_saveexec_b32 s10, s43
	s_cbranch_execz .LBB167_425
; %bb.424:                              ;   in Loop: Header=BB167_3 Depth=1
	ds_load_b64 v[36:37], v56 offset:13504
	ds_load_b64 v[38:39], v57
	s_wait_dscnt 0x0
	v_pk_mul_f32 v[40:41], v[38:39], v[36:37] op_sel:[1,1] op_sel_hi:[0,1]
	s_delay_alu instid0(VALU_DEP_1) | instskip(SKIP_1) | instid1(VALU_DEP_2)
	v_pk_fma_f32 v[96:97], v[38:39], v[36:37], v[40:41] op_sel_hi:[1,0,1]
	v_pk_fma_f32 v[36:37], v[38:39], v[36:37], v[40:41] op_sel_hi:[1,0,1] neg_lo:[0,0,1] neg_hi:[0,0,1]
	v_mov_b32_e32 v37, v97
	s_delay_alu instid0(VALU_DEP_1)
	v_pk_add_f32 v[34:35], v[34:35], v[36:37]
.LBB167_425:                            ;   in Loop: Header=BB167_3 Depth=1
	;; [unrolled: 33-line block ×3, first 2 shown]
	s_or_b32 exec_lo, exec_lo, s10
	s_barrier_signal -1
	s_barrier_wait -1
	s_and_saveexec_b32 s10, s46
	s_cbranch_execz .LBB167_431
; %bb.430:                              ;   in Loop: Header=BB167_3 Depth=1
	ds_load_b64 v[36:37], v5 offset:14560
	s_wait_dscnt 0x0
	v_dual_mul_f32 v38, v34, v37 :: v_dual_mul_f32 v40, v35, v37
	s_delay_alu instid0(VALU_DEP_1) | instskip(NEXT) | instid1(VALU_DEP_2)
	v_pk_fma_f32 v[38:39], v[34:35], v[36:37], v[38:39] op_sel:[0,1,0] op_sel_hi:[1,0,0]
	v_pk_fma_f32 v[36:37], v[34:35], v[36:37], v[40:41] op_sel_hi:[1,1,0] neg_lo:[0,0,1] neg_hi:[0,0,1]
	s_delay_alu instid0(VALU_DEP_2) | instskip(NEXT) | instid1(VALU_DEP_1)
	v_mov_b32_e32 v37, v39
	v_mov_b64_e32 v[34:35], v[36:37]
	ds_store_b64 v57, v[36:37]
.LBB167_431:                            ;   in Loop: Header=BB167_3 Depth=1
	s_or_b32 exec_lo, exec_lo, s10
	s_wait_dscnt 0x0
	s_barrier_signal -1
	s_barrier_wait -1
	s_and_saveexec_b32 s10, s47
	s_cbranch_execz .LBB167_433
; %bb.432:                              ;   in Loop: Header=BB167_3 Depth=1
	ds_load_b64 v[36:37], v56 offset:14528
	ds_load_b64 v[38:39], v57
	s_wait_dscnt 0x0
	v_dual_mul_f32 v40, v39, v37 :: v_dual_mul_f32 v41, v38, v37
	s_delay_alu instid0(VALU_DEP_1) | instskip(NEXT) | instid1(VALU_DEP_1)
	v_dual_fma_f32 v40, v38, v36, -v40 :: v_dual_fmac_f32 v41, v39, v36
	v_pk_add_f32 v[34:35], v[34:35], v[40:41]
.LBB167_433:                            ;   in Loop: Header=BB167_3 Depth=1
	s_or_b32 exec_lo, exec_lo, s10
	s_barrier_signal -1
	s_barrier_wait -1
	s_and_saveexec_b32 s10, s48
	s_cbranch_execz .LBB167_435
; %bb.434:                              ;   in Loop: Header=BB167_3 Depth=1
	ds_load_b64 v[36:37], v5 offset:15080
	s_wait_dscnt 0x0
	v_pk_mul_f32 v[38:39], v[34:35], v[36:37] op_sel:[1,1] op_sel_hi:[1,0]
	s_delay_alu instid0(VALU_DEP_1) | instskip(SKIP_1) | instid1(VALU_DEP_2)
	v_pk_fma_f32 v[40:41], v[34:35], v[36:37], v[38:39] op_sel_hi:[0,1,1]
	v_pk_fma_f32 v[36:37], v[34:35], v[36:37], v[38:39] neg_lo:[0,0,1] neg_hi:[0,0,1]
	v_mov_b32_e32 v37, v41
	s_delay_alu instid0(VALU_DEP_1)
	v_mov_b64_e32 v[34:35], v[36:37]
	ds_store_b64 v57, v[36:37]
.LBB167_435:                            ;   in Loop: Header=BB167_3 Depth=1
	s_or_b32 exec_lo, exec_lo, s10
	s_wait_dscnt 0x0
	s_barrier_signal -1
	s_barrier_wait -1
	s_and_saveexec_b32 s10, s49
	s_cbranch_execz .LBB167_437
; %bb.436:                              ;   in Loop: Header=BB167_3 Depth=1
	ds_load_b64 v[36:37], v56 offset:15040
	ds_load_b64 v[38:39], v57
	s_wait_dscnt 0x0
	v_pk_mul_f32 v[40:41], v[38:39], v[36:37] op_sel:[1,1] op_sel_hi:[0,1]
	s_delay_alu instid0(VALU_DEP_1) | instskip(SKIP_1) | instid1(VALU_DEP_2)
	v_pk_fma_f32 v[96:97], v[38:39], v[36:37], v[40:41] op_sel_hi:[1,0,1]
	v_pk_fma_f32 v[36:37], v[38:39], v[36:37], v[40:41] neg_lo:[0,0,1] neg_hi:[0,0,1]
	v_mov_b32_e32 v37, v97
	s_delay_alu instid0(VALU_DEP_1)
	v_pk_add_f32 v[34:35], v[34:35], v[36:37]
.LBB167_437:                            ;   in Loop: Header=BB167_3 Depth=1
	s_or_b32 exec_lo, exec_lo, s10
	s_barrier_signal -1
	s_barrier_wait -1
	s_and_saveexec_b32 s10, s50
	s_cbranch_execz .LBB167_439
; %bb.438:                              ;   in Loop: Header=BB167_3 Depth=1
	ds_load_b64 v[36:37], v5 offset:15600
	s_wait_dscnt 0x0
	v_pk_mul_f32 v[38:39], v[34:35], v[36:37] op_sel:[1,1] op_sel_hi:[1,0]
	s_delay_alu instid0(VALU_DEP_1) | instskip(SKIP_1) | instid1(VALU_DEP_2)
	v_pk_fma_f32 v[40:41], v[34:35], v[36:37], v[38:39] op_sel_hi:[0,1,1]
	v_pk_fma_f32 v[36:37], v[34:35], v[36:37], v[38:39] neg_lo:[0,0,1] neg_hi:[0,0,1]
	v_mov_b32_e32 v37, v41
	s_delay_alu instid0(VALU_DEP_1)
	v_mov_b64_e32 v[34:35], v[36:37]
	ds_store_b64 v57, v[36:37]
.LBB167_439:                            ;   in Loop: Header=BB167_3 Depth=1
	s_or_b32 exec_lo, exec_lo, s10
	s_wait_dscnt 0x0
	s_barrier_signal -1
	s_barrier_wait -1
	s_and_saveexec_b32 s10, s51
	s_cbranch_execz .LBB167_441
; %bb.440:                              ;   in Loop: Header=BB167_3 Depth=1
	ds_load_b64 v[36:37], v5 offset:15608
	ds_load_b64 v[38:39], v57
	s_wait_dscnt 0x0
	v_pk_mul_f32 v[40:41], v[38:39], v[36:37] op_sel:[1,1] op_sel_hi:[0,1]
	s_delay_alu instid0(VALU_DEP_1) | instskip(SKIP_1) | instid1(VALU_DEP_2)
	v_pk_fma_f32 v[96:97], v[38:39], v[36:37], v[40:41] op_sel_hi:[1,0,1]
	v_pk_fma_f32 v[36:37], v[38:39], v[36:37], v[40:41] neg_lo:[0,0,1] neg_hi:[0,0,1]
	v_mov_b32_e32 v37, v97
	s_delay_alu instid0(VALU_DEP_1)
	v_pk_add_f32 v[34:35], v[34:35], v[36:37]
.LBB167_441:                            ;   in Loop: Header=BB167_3 Depth=1
	s_or_b32 exec_lo, exec_lo, s10
	s_barrier_signal -1
	s_barrier_wait -1
	s_and_saveexec_b32 s10, s51
	s_cbranch_execz .LBB167_443
; %bb.442:                              ;   in Loop: Header=BB167_3 Depth=1
	ds_load_b64 v[36:37], v5 offset:16120
	s_wait_dscnt 0x0
	v_pk_mul_f32 v[38:39], v[34:35], v[36:37] op_sel:[1,1] op_sel_hi:[1,0]
	s_delay_alu instid0(VALU_DEP_1) | instskip(SKIP_1) | instid1(VALU_DEP_2)
	v_pk_fma_f32 v[40:41], v[34:35], v[36:37], v[38:39] op_sel_hi:[0,1,1]
	v_pk_fma_f32 v[36:37], v[34:35], v[36:37], v[38:39] neg_lo:[0,0,1] neg_hi:[0,0,1]
	v_mov_b32_e32 v37, v41
	s_delay_alu instid0(VALU_DEP_1)
	v_mov_b64_e32 v[34:35], v[36:37]
	ds_store_b64 v57, v[36:37]
.LBB167_443:                            ;   in Loop: Header=BB167_3 Depth=1
	s_or_b32 exec_lo, exec_lo, s10
	s_wait_dscnt 0x0
	s_barrier_signal -1
	s_barrier_wait -1
	s_barrier_signal -1
	s_barrier_wait -1
	s_and_saveexec_b32 s10, s6
; %bb.444:                              ;   in Loop: Header=BB167_3 Depth=1
	v_pk_add_f32 v[34:35], v[34:35], 0 neg_lo:[1,1] neg_hi:[1,1]
	ds_store_b64 v58, v[34:35] offset:8384
; %bb.445:                              ;   in Loop: Header=BB167_3 Depth=1
	s_or_b32 exec_lo, exec_lo, s10
	s_wait_dscnt 0x0
	s_barrier_signal -1
	s_barrier_wait -1
	s_barrier_signal -1
	s_barrier_wait -1
	s_and_saveexec_b32 s10, s52
	s_cbranch_execz .LBB167_447
; %bb.446:                              ;   in Loop: Header=BB167_3 Depth=1
	ds_load_b64 v[34:35], v71 offset:8384
	s_wait_dscnt 0x0
	ds_store_b64 v73, v[34:35] offset:12416
	ds_load_b64 v[34:35], v71 offset:8392
	s_wait_dscnt 0x0
	ds_store_b64 v73, v[34:35] offset:12928
	;; [unrolled: 3-line block ×8, first 2 shown]
.LBB167_447:                            ;   in Loop: Header=BB167_3 Depth=1
	s_or_b32 exec_lo, exec_lo, s10
	s_wait_dscnt 0x0
	s_barrier_signal -1
	s_barrier_wait -1
	s_and_saveexec_b32 s10, s15
	s_cbranch_execz .LBB167_449
; %bb.448:                              ;   in Loop: Header=BB167_3 Depth=1
	ds_load_b128 v[34:37], v5 offset:12480
	ds_load_b64 v[38:39], v5 offset:13000
	s_wait_dscnt 0x1
	v_dual_mov_b32 v96, v37 :: v_dual_mov_b32 v97, v36
	s_wait_dscnt 0x0
	v_dual_mul_f32 v41, v39, v35 :: v_dual_mul_f32 v40, v38, v35
	s_delay_alu instid0(VALU_DEP_1) | instskip(NEXT) | instid1(VALU_DEP_1)
	v_xor_b32_e32 v98, 0x80000000, v41
	v_dual_fmac_f32 v40, v39, v34 :: v_dual_fmac_f32 v98, v38, v34
	s_delay_alu instid0(VALU_DEP_1) | instskip(NEXT) | instid1(VALU_DEP_1)
	v_pk_mul_f32 v[34:35], v[40:41], v[96:97] op_sel_hi:[0,1]
	v_pk_fma_f32 v[38:39], v[98:99], v[36:37], v[34:35] op_sel_hi:[0,1,1]
	v_pk_fma_f32 v[34:35], v[98:99], v[36:37], v[34:35] neg_lo:[0,0,1] neg_hi:[0,0,1]
	v_add_nc_u32_e64 v36, 0x3000, 0
	s_delay_alu instid0(VALU_DEP_3)
	v_mov_b32_e32 v35, v39
	ds_store_2addr_b64 v36, v[34:35], v[34:35] offset0:25 offset1:88
.LBB167_449:                            ;   in Loop: Header=BB167_3 Depth=1
	s_or_b32 exec_lo, exec_lo, s10
	v_mov_b32_e32 v35, 0
	s_wait_dscnt 0x0
	s_barrier_signal -1
	s_barrier_wait -1
	s_delay_alu instid0(VALU_DEP_1)
	v_mov_b32_e32 v34, v35
	s_and_saveexec_b32 s10, s3
	s_cbranch_execz .LBB167_453
; %bb.450:                              ;   in Loop: Header=BB167_3 Depth=1
	ds_load_b64 v[34:35], v43 offset:12496
	ds_load_b64 v[36:37], v44 offset:12480
	s_wait_dscnt 0x0
	v_dual_mul_f32 v38, v37, v35 :: v_dual_mul_f32 v39, v36, v35
	s_delay_alu instid0(VALU_DEP_1) | instskip(NEXT) | instid1(VALU_DEP_1)
	v_dual_fma_f32 v38, v36, v34, -v38 :: v_dual_fmac_f32 v39, v37, v34
	v_pk_add_f32 v[34:35], v[38:39], 0 op_sel_hi:[1,0]
	s_and_saveexec_b32 s56, s16
	s_cbranch_execz .LBB167_452
; %bb.451:                              ;   in Loop: Header=BB167_3 Depth=1
	ds_load_b64 v[36:37], v73 offset:13008
	ds_load_b64 v[38:39], v5 offset:12488
	s_wait_dscnt 0x0
	v_pk_mul_f32 v[40:41], v[38:39], v[36:37] op_sel:[1,1] op_sel_hi:[0,1]
	s_delay_alu instid0(VALU_DEP_1) | instskip(SKIP_1) | instid1(VALU_DEP_2)
	v_pk_fma_f32 v[96:97], v[38:39], v[36:37], v[40:41] op_sel_hi:[1,0,1]
	v_pk_fma_f32 v[36:37], v[38:39], v[36:37], v[40:41] neg_lo:[0,0,1] neg_hi:[0,0,1]
	v_mov_b32_e32 v37, v97
	s_delay_alu instid0(VALU_DEP_1)
	v_pk_add_f32 v[34:35], v[34:35], v[36:37]
.LBB167_452:                            ;   in Loop: Header=BB167_3 Depth=1
	s_or_b32 exec_lo, exec_lo, s56
	s_delay_alu instid0(VALU_DEP_1)
	v_pk_add_f32 v[34:35], v[34:35], 0 neg_lo:[1,1] neg_hi:[1,1]
.LBB167_453:                            ;   in Loop: Header=BB167_3 Depth=1
	s_or_b32 exec_lo, exec_lo, s10
	s_and_saveexec_b32 s10, s95
	s_cbranch_execz .LBB167_455
; %bb.454:                              ;   in Loop: Header=BB167_3 Depth=1
	ds_load_b64 v[36:37], v5 offset:13520
	s_wait_dscnt 0x0
	v_pk_mul_f32 v[38:39], v[34:35], v[36:37] op_sel:[1,1] op_sel_hi:[1,0]
	s_delay_alu instid0(VALU_DEP_1) | instskip(SKIP_1) | instid1(VALU_DEP_2)
	v_pk_fma_f32 v[40:41], v[34:35], v[36:37], v[38:39] op_sel_hi:[0,1,1]
	v_pk_fma_f32 v[36:37], v[34:35], v[36:37], v[38:39] neg_lo:[0,0,1] neg_hi:[0,0,1]
	v_mov_b32_e32 v37, v41
	s_delay_alu instid0(VALU_DEP_1)
	v_mov_b64_e32 v[34:35], v[36:37]
	ds_store_b64 v3, v[36:37]
.LBB167_455:                            ;   in Loop: Header=BB167_3 Depth=1
	s_or_b32 exec_lo, exec_lo, s10
	s_wait_dscnt 0x0
	s_barrier_signal -1
	s_barrier_wait -1
	s_and_saveexec_b32 s10, s96
	s_cbranch_execz .LBB167_457
; %bb.456:                              ;   in Loop: Header=BB167_3 Depth=1
	ds_load_b64 v[36:37], v5 offset:13528
	ds_load_b64 v[38:39], v3
	s_wait_dscnt 0x0
	v_pk_mul_f32 v[40:41], v[38:39], v[36:37] op_sel:[1,1] op_sel_hi:[0,1]
	s_delay_alu instid0(VALU_DEP_1) | instskip(SKIP_1) | instid1(VALU_DEP_2)
	v_pk_fma_f32 v[96:97], v[38:39], v[36:37], v[40:41] op_sel_hi:[1,0,1]
	v_pk_fma_f32 v[36:37], v[38:39], v[36:37], v[40:41] neg_lo:[0,0,1] neg_hi:[0,0,1]
	v_mov_b32_e32 v37, v97
	s_delay_alu instid0(VALU_DEP_1)
	v_pk_add_f32 v[34:35], v[34:35], v[36:37]
.LBB167_457:                            ;   in Loop: Header=BB167_3 Depth=1
	s_or_b32 exec_lo, exec_lo, s10
	s_barrier_signal -1
	s_barrier_wait -1
	s_and_saveexec_b32 s10, s96
	s_cbranch_execz .LBB167_459
; %bb.458:                              ;   in Loop: Header=BB167_3 Depth=1
	ds_load_b64 v[36:37], v5 offset:14040
	s_wait_dscnt 0x0
	v_pk_mul_f32 v[38:39], v[34:35], v[36:37] op_sel:[1,1] op_sel_hi:[1,0]
	s_delay_alu instid0(VALU_DEP_1) | instskip(SKIP_1) | instid1(VALU_DEP_2)
	v_pk_fma_f32 v[40:41], v[34:35], v[36:37], v[38:39] op_sel_hi:[0,1,1]
	v_pk_fma_f32 v[36:37], v[34:35], v[36:37], v[38:39] neg_lo:[0,0,1] neg_hi:[0,0,1]
	v_mov_b32_e32 v37, v41
	s_delay_alu instid0(VALU_DEP_1)
	v_mov_b64_e32 v[34:35], v[36:37]
	ds_store_b64 v3, v[36:37]
.LBB167_459:                            ;   in Loop: Header=BB167_3 Depth=1
	s_or_b32 exec_lo, exec_lo, s10
	s_wait_dscnt 0x0
	s_barrier_signal -1
	s_barrier_wait -1
	s_barrier_signal -1
	s_barrier_wait -1
	s_and_saveexec_b32 s10, s3
; %bb.460:                              ;   in Loop: Header=BB167_3 Depth=1
	v_pk_add_f32 v[34:35], v[34:35], 0 neg_lo:[1,1] neg_hi:[1,1]
	ds_store_b64 v43, v[34:35] offset:12496
; %bb.461:                              ;   in Loop: Header=BB167_3 Depth=1
	s_or_b32 exec_lo, exec_lo, s10
	s_wait_dscnt 0x0
	s_barrier_signal -1
	s_barrier_wait -1
	s_barrier_signal -1
	s_barrier_wait -1
	s_and_saveexec_b32 s10, s97
	s_cbranch_execz .LBB167_463
; %bb.462:                              ;   in Loop: Header=BB167_3 Depth=1
	ds_load_b64 v[34:35], v74 offset:12496
	s_wait_dscnt 0x0
	ds_store_b64 v73, v[34:35] offset:13504
	ds_load_b64 v[34:35], v74 offset:12504
	s_wait_dscnt 0x0
	ds_store_b64 v73, v[34:35] offset:14016
.LBB167_463:                            ;   in Loop: Header=BB167_3 Depth=1
	s_or_b32 exec_lo, exec_lo, s10
	s_wait_dscnt 0x0
	s_barrier_signal -1
	s_barrier_wait -1
	s_and_saveexec_b32 s10, s15
	s_cbranch_execz .LBB167_465
; %bb.464:                              ;   in Loop: Header=BB167_3 Depth=1
	ds_load_b128 v[34:37], v5 offset:13520
	ds_load_b64 v[38:39], v5 offset:14040
	s_wait_dscnt 0x1
	v_dual_mov_b32 v96, v37 :: v_dual_mov_b32 v97, v36
	s_wait_dscnt 0x0
	v_dual_mul_f32 v41, v39, v35 :: v_dual_mul_f32 v40, v38, v35
	s_delay_alu instid0(VALU_DEP_1) | instskip(NEXT) | instid1(VALU_DEP_1)
	v_xor_b32_e32 v98, 0x80000000, v41
	v_dual_fmac_f32 v40, v39, v34 :: v_dual_fmac_f32 v98, v38, v34
	s_delay_alu instid0(VALU_DEP_1) | instskip(NEXT) | instid1(VALU_DEP_1)
	v_pk_mul_f32 v[34:35], v[40:41], v[96:97] op_sel_hi:[0,1]
	v_pk_fma_f32 v[38:39], v[98:99], v[36:37], v[34:35] op_sel_hi:[0,1,1]
	v_pk_fma_f32 v[34:35], v[98:99], v[36:37], v[34:35] neg_lo:[0,0,1] neg_hi:[0,0,1]
	v_add_nc_u32_e64 v36, 0x3000, 0
	s_delay_alu instid0(VALU_DEP_3)
	v_mov_b32_e32 v35, v39
	ds_store_2addr_b64 v36, v[34:35], v[34:35] offset0:155 offset1:218
.LBB167_465:                            ;   in Loop: Header=BB167_3 Depth=1
	s_or_b32 exec_lo, exec_lo, s10
	v_mov_b32_e32 v34, 0
	s_wait_dscnt 0x0
	s_barrier_signal -1
	s_barrier_wait -1
	s_delay_alu instid0(VALU_DEP_1)
	v_mov_b32_e32 v35, v34
	s_and_saveexec_b32 s10, s5
	s_cbranch_execz .LBB167_471
; %bb.466:                              ;   in Loop: Header=BB167_3 Depth=1
	ds_load_b64 v[34:35], v50 offset:12512
	ds_load_b64 v[36:37], v46 offset:12480
	s_wait_dscnt 0x0
	v_pk_mul_f32 v[38:39], v[36:37], v[34:35] op_sel:[0,1]
	s_delay_alu instid0(VALU_DEP_1) | instskip(SKIP_1) | instid1(VALU_DEP_2)
	v_pk_fma_f32 v[40:41], v[36:37], v[34:35], v[38:39] op_sel:[1,0,0] op_sel_hi:[0,0,1] neg_lo:[0,0,1] neg_hi:[0,0,1]
	v_pk_fma_f32 v[34:35], v[36:37], v[34:35], v[38:39] op_sel:[1,0,0] op_sel_hi:[0,1,1]
	v_mov_b32_e32 v35, v41
	s_delay_alu instid0(VALU_DEP_1)
	v_pk_add_f32 v[34:35], v[34:35], 0 op_sel_hi:[1,0]
	s_and_saveexec_b32 s56, s17
	s_cbranch_execnz .LBB167_1132
; %bb.467:                              ;   in Loop: Header=BB167_3 Depth=1
	s_or_b32 exec_lo, exec_lo, s56
	s_and_saveexec_b32 s56, s18
	s_cbranch_execnz .LBB167_1133
.LBB167_468:                            ;   in Loop: Header=BB167_3 Depth=1
	s_or_b32 exec_lo, exec_lo, s56
	s_and_saveexec_b32 s56, s3
	s_cbranch_execz .LBB167_470
.LBB167_469:                            ;   in Loop: Header=BB167_3 Depth=1
	ds_load_b64 v[36:37], v76 offset:14048
	ds_load_b64 v[38:39], v5 offset:12504
	s_wait_dscnt 0x0
	v_pk_mul_f32 v[40:41], v[38:39], v[36:37] op_sel:[0,1]
	s_delay_alu instid0(VALU_DEP_1) | instskip(SKIP_1) | instid1(VALU_DEP_2)
	v_pk_fma_f32 v[96:97], v[38:39], v[36:37], v[40:41] op_sel:[1,0,0] op_sel_hi:[0,0,1] neg_lo:[0,0,1] neg_hi:[0,0,1]
	v_pk_fma_f32 v[36:37], v[38:39], v[36:37], v[40:41] op_sel:[1,0,0] op_sel_hi:[0,1,1]
	v_mov_b32_e32 v37, v97
	s_delay_alu instid0(VALU_DEP_1)
	v_pk_add_f32 v[34:35], v[34:35], v[36:37]
.LBB167_470:                            ;   in Loop: Header=BB167_3 Depth=1
	s_or_b32 exec_lo, exec_lo, s56
	s_delay_alu instid0(VALU_DEP_1) | instskip(NEXT) | instid1(VALU_DEP_1)
	v_pk_add_f32 v[36:37], v[34:35], 0 neg_lo:[1,1] neg_hi:[1,1]
	v_dual_mov_b32 v34, v37 :: v_dual_mov_b32 v35, v36
.LBB167_471:                            ;   in Loop: Header=BB167_3 Depth=1
	s_or_b32 exec_lo, exec_lo, s10
	s_and_saveexec_b32 s10, s98
	s_cbranch_execz .LBB167_473
; %bb.472:                              ;   in Loop: Header=BB167_3 Depth=1
	ds_load_b64 v[36:37], v5 offset:14560
	v_dual_mov_b32 v38, v35 :: v_dual_mov_b32 v39, v34
	s_wait_dscnt 0x0
	s_delay_alu instid0(VALU_DEP_1) | instskip(NEXT) | instid1(VALU_DEP_1)
	v_dual_mul_f32 v40, v38, v36 :: v_dual_mul_f32 v96, v35, v37
	v_pk_fma_f32 v[38:39], v[38:39], v[36:37], v[40:41] op_sel_hi:[1,1,0]
	s_delay_alu instid0(VALU_DEP_2) | instskip(NEXT) | instid1(VALU_DEP_2)
	v_pk_fma_f32 v[34:35], v[34:35], v[36:37], v[96:97] op_sel_hi:[1,1,0] neg_lo:[0,0,1] neg_hi:[0,0,1]
	v_mov_b32_e32 v35, v39
	ds_store_b64 v49, v[34:35]
.LBB167_473:                            ;   in Loop: Header=BB167_3 Depth=1
	s_or_b32 exec_lo, exec_lo, s10
	s_wait_dscnt 0x0
	s_barrier_signal -1
	s_barrier_wait -1
	s_and_saveexec_b32 s10, s99
	s_cbranch_execz .LBB167_475
; %bb.474:                              ;   in Loop: Header=BB167_3 Depth=1
	ds_load_b64 v[36:37], v47 offset:14560
	ds_load_b64 v[38:39], v49
	s_wait_dscnt 0x0
	v_dual_mul_f32 v40, v39, v37 :: v_dual_mul_f32 v41, v38, v37
	s_delay_alu instid0(VALU_DEP_1) | instskip(NEXT) | instid1(VALU_DEP_1)
	v_dual_fma_f32 v40, v38, v36, -v40 :: v_dual_fmac_f32 v41, v39, v36
	v_pk_add_f32 v[34:35], v[34:35], v[40:41]
.LBB167_475:                            ;   in Loop: Header=BB167_3 Depth=1
	s_or_b32 exec_lo, exec_lo, s10
	s_barrier_signal -1
	s_barrier_wait -1
	s_and_saveexec_b32 s10, s100
	s_cbranch_execz .LBB167_477
; %bb.476:                              ;   in Loop: Header=BB167_3 Depth=1
	ds_load_b64 v[36:37], v5 offset:15080
	s_wait_dscnt 0x0
	v_pk_mul_f32 v[38:39], v[34:35], v[36:37] op_sel:[1,1] op_sel_hi:[1,0]
	s_delay_alu instid0(VALU_DEP_1) | instskip(SKIP_1) | instid1(VALU_DEP_2)
	v_pk_fma_f32 v[40:41], v[34:35], v[36:37], v[38:39] op_sel_hi:[0,1,1]
	v_pk_fma_f32 v[36:37], v[34:35], v[36:37], v[38:39] neg_lo:[0,0,1] neg_hi:[0,0,1]
	v_mov_b32_e32 v37, v41
	s_delay_alu instid0(VALU_DEP_1)
	v_mov_b64_e32 v[34:35], v[36:37]
	ds_store_b64 v49, v[36:37]
.LBB167_477:                            ;   in Loop: Header=BB167_3 Depth=1
	s_or_b32 exec_lo, exec_lo, s10
	s_wait_dscnt 0x0
	s_barrier_signal -1
	s_barrier_wait -1
	s_and_saveexec_b32 s10, s101
	s_cbranch_execz .LBB167_479
; %bb.478:                              ;   in Loop: Header=BB167_3 Depth=1
	ds_load_b64 v[36:37], v47 offset:15072
	ds_load_b64 v[38:39], v49
	s_wait_dscnt 0x0
	v_pk_mul_f32 v[40:41], v[38:39], v[36:37] op_sel:[1,1] op_sel_hi:[0,1]
	s_delay_alu instid0(VALU_DEP_1) | instskip(SKIP_1) | instid1(VALU_DEP_2)
	v_pk_fma_f32 v[96:97], v[38:39], v[36:37], v[40:41] op_sel_hi:[1,0,1]
	v_pk_fma_f32 v[36:37], v[38:39], v[36:37], v[40:41] neg_lo:[0,0,1] neg_hi:[0,0,1]
	v_mov_b32_e32 v37, v97
	s_delay_alu instid0(VALU_DEP_1)
	v_pk_add_f32 v[34:35], v[34:35], v[36:37]
.LBB167_479:                            ;   in Loop: Header=BB167_3 Depth=1
	s_or_b32 exec_lo, exec_lo, s10
	s_barrier_signal -1
	s_barrier_wait -1
	s_and_saveexec_b32 s10, s102
	s_cbranch_execz .LBB167_481
; %bb.480:                              ;   in Loop: Header=BB167_3 Depth=1
	ds_load_b64 v[36:37], v5 offset:15600
	s_wait_dscnt 0x0
	v_pk_mul_f32 v[38:39], v[34:35], v[36:37] op_sel:[1,1] op_sel_hi:[1,0]
	s_delay_alu instid0(VALU_DEP_1) | instskip(SKIP_1) | instid1(VALU_DEP_2)
	v_pk_fma_f32 v[40:41], v[34:35], v[36:37], v[38:39] op_sel_hi:[0,1,1]
	v_pk_fma_f32 v[36:37], v[34:35], v[36:37], v[38:39] neg_lo:[0,0,1] neg_hi:[0,0,1]
	v_mov_b32_e32 v37, v41
	s_delay_alu instid0(VALU_DEP_1)
	v_mov_b64_e32 v[34:35], v[36:37]
	ds_store_b64 v49, v[36:37]
.LBB167_481:                            ;   in Loop: Header=BB167_3 Depth=1
	s_or_b32 exec_lo, exec_lo, s10
	s_wait_dscnt 0x0
	s_barrier_signal -1
	s_barrier_wait -1
	s_and_saveexec_b32 s10, s103
	s_cbranch_execz .LBB167_483
; %bb.482:                              ;   in Loop: Header=BB167_3 Depth=1
	ds_load_b64 v[36:37], v5 offset:15608
	ds_load_b64 v[38:39], v49
	s_wait_dscnt 0x0
	v_pk_mul_f32 v[40:41], v[38:39], v[36:37] op_sel:[1,1] op_sel_hi:[0,1]
	s_delay_alu instid0(VALU_DEP_1) | instskip(SKIP_1) | instid1(VALU_DEP_2)
	v_pk_fma_f32 v[96:97], v[38:39], v[36:37], v[40:41] op_sel_hi:[1,0,1]
	v_pk_fma_f32 v[36:37], v[38:39], v[36:37], v[40:41] neg_lo:[0,0,1] neg_hi:[0,0,1]
	v_mov_b32_e32 v37, v97
	s_delay_alu instid0(VALU_DEP_1)
	v_pk_add_f32 v[34:35], v[34:35], v[36:37]
.LBB167_483:                            ;   in Loop: Header=BB167_3 Depth=1
	s_or_b32 exec_lo, exec_lo, s10
	s_barrier_signal -1
	s_barrier_wait -1
	s_and_saveexec_b32 s10, s103
	s_cbranch_execz .LBB167_485
; %bb.484:                              ;   in Loop: Header=BB167_3 Depth=1
	ds_load_b64 v[36:37], v5 offset:16120
	s_wait_dscnt 0x0
	v_pk_mul_f32 v[38:39], v[34:35], v[36:37] op_sel:[1,1] op_sel_hi:[1,0]
	s_delay_alu instid0(VALU_DEP_1) | instskip(SKIP_1) | instid1(VALU_DEP_2)
	v_pk_fma_f32 v[40:41], v[34:35], v[36:37], v[38:39] op_sel_hi:[0,1,1]
	v_pk_fma_f32 v[36:37], v[34:35], v[36:37], v[38:39] neg_lo:[0,0,1] neg_hi:[0,0,1]
	v_mov_b32_e32 v37, v41
	s_delay_alu instid0(VALU_DEP_1)
	v_mov_b64_e32 v[34:35], v[36:37]
	ds_store_b64 v49, v[36:37]
.LBB167_485:                            ;   in Loop: Header=BB167_3 Depth=1
	s_or_b32 exec_lo, exec_lo, s10
	s_wait_dscnt 0x0
	s_barrier_signal -1
	s_barrier_wait -1
	s_barrier_signal -1
	s_barrier_wait -1
	s_and_saveexec_b32 s10, s5
; %bb.486:                              ;   in Loop: Header=BB167_3 Depth=1
	v_pk_add_f32 v[34:35], v[34:35], 0 neg_lo:[1,1] neg_hi:[1,1]
	ds_store_b64 v50, v[34:35] offset:12512
; %bb.487:                              ;   in Loop: Header=BB167_3 Depth=1
	s_or_b32 exec_lo, exec_lo, s10
	s_wait_dscnt 0x0
	s_barrier_signal -1
	s_barrier_wait -1
	s_barrier_signal -1
	s_barrier_wait -1
	s_and_saveexec_b32 s10, s104
	s_cbranch_execz .LBB167_489
; %bb.488:                              ;   in Loop: Header=BB167_3 Depth=1
	ds_load_b64 v[34:35], v78 offset:12512
	s_wait_dscnt 0x0
	ds_store_b64 v79, v[34:35] offset:14528
	ds_load_b64 v[34:35], v78 offset:12520
	s_wait_dscnt 0x0
	ds_store_b64 v79, v[34:35] offset:15040
	;; [unrolled: 3-line block ×4, first 2 shown]
.LBB167_489:                            ;   in Loop: Header=BB167_3 Depth=1
	s_or_b32 exec_lo, exec_lo, s10
	s_wait_dscnt 0x0
	s_barrier_signal -1
	s_barrier_wait -1
	s_and_saveexec_b32 s10, s15
	s_cbranch_execz .LBB167_491
; %bb.490:                              ;   in Loop: Header=BB167_3 Depth=1
	ds_load_b128 v[34:37], v5 offset:14560
	ds_load_b64 v[38:39], v5 offset:15080
	s_wait_dscnt 0x1
	v_dual_mov_b32 v96, v37 :: v_dual_mov_b32 v97, v36
	s_wait_dscnt 0x0
	v_dual_mul_f32 v41, v39, v35 :: v_dual_mul_f32 v40, v38, v35
	s_delay_alu instid0(VALU_DEP_1) | instskip(NEXT) | instid1(VALU_DEP_1)
	v_xor_b32_e32 v98, 0x80000000, v41
	v_dual_fmac_f32 v40, v39, v34 :: v_dual_fmac_f32 v98, v38, v34
	s_delay_alu instid0(VALU_DEP_1) | instskip(NEXT) | instid1(VALU_DEP_1)
	v_pk_mul_f32 v[34:35], v[40:41], v[96:97] op_sel_hi:[0,1]
	v_pk_fma_f32 v[38:39], v[98:99], v[36:37], v[34:35] op_sel_hi:[0,1,1]
	v_pk_fma_f32 v[34:35], v[98:99], v[36:37], v[34:35] neg_lo:[0,0,1] neg_hi:[0,0,1]
	v_add_nc_u32_e64 v36, 0x3800, 0
	s_delay_alu instid0(VALU_DEP_3)
	v_mov_b32_e32 v35, v39
	ds_store_2addr_b64 v36, v[34:35], v[34:35] offset0:29 offset1:92
.LBB167_491:                            ;   in Loop: Header=BB167_3 Depth=1
	s_or_b32 exec_lo, exec_lo, s10
	v_mov_b32_e32 v35, 0
	s_wait_dscnt 0x0
	s_barrier_signal -1
	s_barrier_wait -1
	s_delay_alu instid0(VALU_DEP_1)
	v_mov_b32_e32 v34, v35
	s_and_saveexec_b32 s10, s3
	s_cbranch_execz .LBB167_495
; %bb.492:                              ;   in Loop: Header=BB167_3 Depth=1
	ds_load_b64 v[34:35], v43 offset:14576
	ds_load_b64 v[36:37], v44 offset:14560
	s_wait_dscnt 0x0
	v_dual_mul_f32 v38, v37, v35 :: v_dual_mul_f32 v39, v36, v35
	s_delay_alu instid0(VALU_DEP_1) | instskip(NEXT) | instid1(VALU_DEP_1)
	v_dual_fma_f32 v38, v36, v34, -v38 :: v_dual_fmac_f32 v39, v37, v34
	v_pk_add_f32 v[34:35], v[38:39], 0 op_sel_hi:[1,0]
	s_and_saveexec_b32 s56, s16
	s_cbranch_execz .LBB167_494
; %bb.493:                              ;   in Loop: Header=BB167_3 Depth=1
	ds_load_b64 v[36:37], v79 offset:15088
	ds_load_b64 v[38:39], v5 offset:14568
	s_wait_dscnt 0x0
	v_pk_mul_f32 v[40:41], v[38:39], v[36:37] op_sel:[1,1] op_sel_hi:[0,1]
	s_delay_alu instid0(VALU_DEP_1) | instskip(SKIP_1) | instid1(VALU_DEP_2)
	v_pk_fma_f32 v[96:97], v[38:39], v[36:37], v[40:41] op_sel_hi:[1,0,1]
	v_pk_fma_f32 v[36:37], v[38:39], v[36:37], v[40:41] neg_lo:[0,0,1] neg_hi:[0,0,1]
	v_mov_b32_e32 v37, v97
	s_delay_alu instid0(VALU_DEP_1)
	v_pk_add_f32 v[34:35], v[34:35], v[36:37]
.LBB167_494:                            ;   in Loop: Header=BB167_3 Depth=1
	s_or_b32 exec_lo, exec_lo, s56
	s_delay_alu instid0(VALU_DEP_1)
	v_pk_add_f32 v[34:35], v[34:35], 0 neg_lo:[1,1] neg_hi:[1,1]
.LBB167_495:                            ;   in Loop: Header=BB167_3 Depth=1
	s_or_b32 exec_lo, exec_lo, s10
	s_and_saveexec_b32 s10, s95
	s_cbranch_execz .LBB167_497
; %bb.496:                              ;   in Loop: Header=BB167_3 Depth=1
	ds_load_b64 v[36:37], v5 offset:15600
	s_wait_dscnt 0x0
	v_pk_mul_f32 v[38:39], v[34:35], v[36:37] op_sel:[1,1] op_sel_hi:[1,0]
	s_delay_alu instid0(VALU_DEP_1) | instskip(SKIP_1) | instid1(VALU_DEP_2)
	v_pk_fma_f32 v[40:41], v[34:35], v[36:37], v[38:39] op_sel_hi:[0,1,1]
	v_pk_fma_f32 v[36:37], v[34:35], v[36:37], v[38:39] neg_lo:[0,0,1] neg_hi:[0,0,1]
	v_mov_b32_e32 v37, v41
	s_delay_alu instid0(VALU_DEP_1)
	v_mov_b64_e32 v[34:35], v[36:37]
	ds_store_b64 v3, v[36:37]
.LBB167_497:                            ;   in Loop: Header=BB167_3 Depth=1
	s_or_b32 exec_lo, exec_lo, s10
	s_wait_dscnt 0x0
	s_barrier_signal -1
	s_barrier_wait -1
	s_and_saveexec_b32 s10, s96
	s_cbranch_execz .LBB167_499
; %bb.498:                              ;   in Loop: Header=BB167_3 Depth=1
	ds_load_b64 v[36:37], v5 offset:15608
	ds_load_b64 v[38:39], v3
	s_wait_dscnt 0x0
	v_pk_mul_f32 v[40:41], v[38:39], v[36:37] op_sel:[1,1] op_sel_hi:[0,1]
	s_delay_alu instid0(VALU_DEP_1) | instskip(SKIP_1) | instid1(VALU_DEP_2)
	v_pk_fma_f32 v[96:97], v[38:39], v[36:37], v[40:41] op_sel_hi:[1,0,1]
	v_pk_fma_f32 v[36:37], v[38:39], v[36:37], v[40:41] neg_lo:[0,0,1] neg_hi:[0,0,1]
	v_mov_b32_e32 v37, v97
	s_delay_alu instid0(VALU_DEP_1)
	v_pk_add_f32 v[34:35], v[34:35], v[36:37]
.LBB167_499:                            ;   in Loop: Header=BB167_3 Depth=1
	s_or_b32 exec_lo, exec_lo, s10
	s_barrier_signal -1
	s_barrier_wait -1
	s_and_saveexec_b32 s10, s96
	s_cbranch_execz .LBB167_501
; %bb.500:                              ;   in Loop: Header=BB167_3 Depth=1
	ds_load_b64 v[36:37], v5 offset:16120
	s_wait_dscnt 0x0
	v_pk_mul_f32 v[38:39], v[34:35], v[36:37] op_sel:[1,1] op_sel_hi:[1,0]
	s_delay_alu instid0(VALU_DEP_1) | instskip(SKIP_1) | instid1(VALU_DEP_2)
	v_pk_fma_f32 v[40:41], v[34:35], v[36:37], v[38:39] op_sel_hi:[0,1,1]
	v_pk_fma_f32 v[36:37], v[34:35], v[36:37], v[38:39] neg_lo:[0,0,1] neg_hi:[0,0,1]
	v_mov_b32_e32 v37, v41
	s_delay_alu instid0(VALU_DEP_1)
	v_mov_b64_e32 v[34:35], v[36:37]
	ds_store_b64 v3, v[36:37]
.LBB167_501:                            ;   in Loop: Header=BB167_3 Depth=1
	s_or_b32 exec_lo, exec_lo, s10
	s_wait_dscnt 0x0
	s_barrier_signal -1
	s_barrier_wait -1
	s_barrier_signal -1
	s_barrier_wait -1
	s_and_saveexec_b32 s10, s3
; %bb.502:                              ;   in Loop: Header=BB167_3 Depth=1
	v_pk_add_f32 v[34:35], v[34:35], 0 neg_lo:[1,1] neg_hi:[1,1]
	ds_store_b64 v43, v[34:35] offset:14576
; %bb.503:                              ;   in Loop: Header=BB167_3 Depth=1
	s_or_b32 exec_lo, exec_lo, s10
	s_wait_dscnt 0x0
	s_barrier_signal -1
	s_barrier_wait -1
	s_barrier_signal -1
	s_barrier_wait -1
	s_and_saveexec_b32 s10, s97
	s_cbranch_execz .LBB167_505
; %bb.504:                              ;   in Loop: Header=BB167_3 Depth=1
	ds_load_b64 v[34:35], v81 offset:14576
	s_wait_dscnt 0x0
	ds_store_b64 v79, v[34:35] offset:15584
	ds_load_b64 v[34:35], v81 offset:14584
	s_wait_dscnt 0x0
	ds_store_b64 v79, v[34:35] offset:16096
.LBB167_505:                            ;   in Loop: Header=BB167_3 Depth=1
	s_or_b32 exec_lo, exec_lo, s10
	s_wait_dscnt 0x0
	s_barrier_signal -1
	s_barrier_wait -1
	s_and_saveexec_b32 s10, s15
	s_cbranch_execz .LBB167_507
; %bb.506:                              ;   in Loop: Header=BB167_3 Depth=1
	ds_load_b128 v[34:37], v5 offset:15600
	ds_load_b64 v[38:39], v5 offset:16120
	s_wait_dscnt 0x1
	v_dual_mov_b32 v96, v37 :: v_dual_mov_b32 v97, v36
	s_wait_dscnt 0x0
	v_dual_mul_f32 v41, v39, v35 :: v_dual_mul_f32 v40, v38, v35
	s_delay_alu instid0(VALU_DEP_1) | instskip(NEXT) | instid1(VALU_DEP_1)
	v_xor_b32_e32 v98, 0x80000000, v41
	v_dual_fmac_f32 v40, v39, v34 :: v_dual_fmac_f32 v98, v38, v34
	s_delay_alu instid0(VALU_DEP_1) | instskip(NEXT) | instid1(VALU_DEP_1)
	v_pk_mul_f32 v[34:35], v[40:41], v[96:97] op_sel_hi:[0,1]
	v_pk_fma_f32 v[38:39], v[98:99], v[36:37], v[34:35] op_sel_hi:[0,1,1]
	v_pk_fma_f32 v[34:35], v[98:99], v[36:37], v[34:35] neg_lo:[0,0,1] neg_hi:[0,0,1]
	v_add_nc_u32_e64 v36, 0x3800, 0
	s_delay_alu instid0(VALU_DEP_3)
	v_mov_b32_e32 v35, v39
	ds_store_2addr_b64 v36, v[34:35], v[34:35] offset0:159 offset1:222
.LBB167_507:                            ;   in Loop: Header=BB167_3 Depth=1
	s_or_b32 exec_lo, exec_lo, s10
	v_mov_b64_e32 v[34:35], 0
	s_wait_dscnt 0x0
	s_barrier_signal -1
	s_barrier_wait -1
	s_and_saveexec_b32 s66, s36
	s_cbranch_execz .LBB167_569
; %bb.508:                              ;   in Loop: Header=BB167_3 Depth=1
	v_dual_add_nc_u32 v37, v85, v67 :: v_dual_add_nc_u32 v36, v67, v66
	ds_load_b64 v[34:35], v37 offset:256
	ds_load_b64 v[38:39], v36
	s_wait_dscnt 0x0
	v_pk_mul_f32 v[40:41], v[38:39], v[34:35] op_sel:[1,1] op_sel_hi:[0,1]
	s_delay_alu instid0(VALU_DEP_1) | instskip(SKIP_1) | instid1(VALU_DEP_2)
	v_pk_fma_f32 v[96:97], v[38:39], v[34:35], v[40:41] op_sel_hi:[1,0,1]
	v_pk_fma_f32 v[34:35], v[38:39], v[34:35], v[40:41] neg_lo:[0,0,1] neg_hi:[0,0,1]
	v_mov_b32_e32 v35, v97
	s_delay_alu instid0(VALU_DEP_1) | instskip(SKIP_3) | instid1(SALU_CYCLE_1)
	v_pk_add_f32 v[34:35], v[34:35], 0 op_sel_hi:[1,0]
	s_mov_b32 s10, exec_lo
	v_readlane_b32 s56, v105, 13
	s_and_b32 s56, s10, s56
	s_mov_b32 exec_lo, s56
	s_cbranch_execz .LBB167_510
; %bb.509:                              ;   in Loop: Header=BB167_3 Depth=1
	ds_load_b64 v[38:39], v37 offset:768
	ds_load_b64 v[40:41], v36 offset:8
	s_wait_dscnt 0x0
	v_pk_mul_f32 v[96:97], v[40:41], v[38:39] op_sel:[1,1] op_sel_hi:[0,1]
	s_delay_alu instid0(VALU_DEP_1) | instskip(SKIP_1) | instid1(VALU_DEP_2)
	v_pk_fma_f32 v[98:99], v[40:41], v[38:39], v[96:97] op_sel_hi:[1,0,1]
	v_pk_fma_f32 v[38:39], v[40:41], v[38:39], v[96:97] neg_lo:[0,0,1] neg_hi:[0,0,1]
	v_mov_b32_e32 v39, v99
	s_delay_alu instid0(VALU_DEP_1)
	v_pk_add_f32 v[34:35], v[34:35], v[38:39]
.LBB167_510:                            ;   in Loop: Header=BB167_3 Depth=1
	s_or_b32 exec_lo, exec_lo, s10
	s_delay_alu instid0(SALU_CYCLE_1) | instskip(SKIP_2) | instid1(SALU_CYCLE_1)
	s_mov_b32 s10, exec_lo
	v_readlane_b32 s56, v105, 14
	s_and_b32 s56, s10, s56
	s_mov_b32 exec_lo, s56
	s_cbranch_execz .LBB167_512
; %bb.511:                              ;   in Loop: Header=BB167_3 Depth=1
	ds_load_b64 v[38:39], v37 offset:1280
	ds_load_b64 v[40:41], v36 offset:16
	s_wait_dscnt 0x0
	v_pk_mul_f32 v[96:97], v[40:41], v[38:39] op_sel:[1,1] op_sel_hi:[0,1]
	s_delay_alu instid0(VALU_DEP_1) | instskip(SKIP_1) | instid1(VALU_DEP_2)
	v_pk_fma_f32 v[98:99], v[40:41], v[38:39], v[96:97] op_sel_hi:[1,0,1]
	v_pk_fma_f32 v[38:39], v[40:41], v[38:39], v[96:97] neg_lo:[0,0,1] neg_hi:[0,0,1]
	v_mov_b32_e32 v39, v99
	s_delay_alu instid0(VALU_DEP_1)
	v_pk_add_f32 v[34:35], v[34:35], v[38:39]
.LBB167_512:                            ;   in Loop: Header=BB167_3 Depth=1
	s_or_b32 exec_lo, exec_lo, s10
	s_delay_alu instid0(SALU_CYCLE_1) | instskip(SKIP_2) | instid1(SALU_CYCLE_1)
	;; [unrolled: 19-line block ×22, first 2 shown]
	s_mov_b32 s10, exec_lo
	v_readlane_b32 s56, v104, 3
	s_and_b32 s56, s10, s56
	s_mov_b32 exec_lo, s56
	s_cbranch_execz .LBB167_554
; %bb.553:                              ;   in Loop: Header=BB167_3 Depth=1
	ds_load_b64 v[38:39], v37 offset:12032
	ds_load_b64 v[40:41], v36 offset:184
	s_wait_dscnt 0x0
	v_pk_mul_f32 v[96:97], v[40:41], v[38:39] op_sel:[1,1] op_sel_hi:[0,1]
	s_delay_alu instid0(VALU_DEP_1) | instskip(SKIP_1) | instid1(VALU_DEP_2)
	v_pk_fma_f32 v[98:99], v[40:41], v[38:39], v[96:97] op_sel_hi:[1,0,1]
	v_pk_fma_f32 v[38:39], v[40:41], v[38:39], v[96:97] neg_lo:[0,0,1] neg_hi:[0,0,1]
	v_mov_b32_e32 v39, v99
	s_delay_alu instid0(VALU_DEP_1)
	v_pk_add_f32 v[34:35], v[34:35], v[38:39]
.LBB167_554:                            ;   in Loop: Header=BB167_3 Depth=1
	s_or_b32 exec_lo, exec_lo, s10
	s_and_saveexec_b32 s10, s7
	s_cbranch_execz .LBB167_556
; %bb.555:                              ;   in Loop: Header=BB167_3 Depth=1
	ds_load_b64 v[38:39], v37 offset:12544
	ds_load_b64 v[40:41], v36 offset:192
	s_wait_dscnt 0x0
	v_pk_mul_f32 v[96:97], v[40:41], v[38:39] op_sel:[1,1] op_sel_hi:[0,1]
	s_delay_alu instid0(VALU_DEP_1) | instskip(SKIP_1) | instid1(VALU_DEP_2)
	v_pk_fma_f32 v[98:99], v[40:41], v[38:39], v[96:97] op_sel_hi:[1,0,1]
	v_pk_fma_f32 v[38:39], v[40:41], v[38:39], v[96:97] neg_lo:[0,0,1] neg_hi:[0,0,1]
	v_mov_b32_e32 v39, v99
	s_delay_alu instid0(VALU_DEP_1)
	v_pk_add_f32 v[34:35], v[34:35], v[38:39]
.LBB167_556:                            ;   in Loop: Header=BB167_3 Depth=1
	s_or_b32 exec_lo, exec_lo, s10
	s_delay_alu instid0(SALU_CYCLE_1) | instskip(SKIP_2) | instid1(SALU_CYCLE_1)
	s_mov_b32 s10, exec_lo
	v_readlane_b32 s56, v106, 31
	s_and_b32 s56, s10, s56
	s_mov_b32 exec_lo, s56
	s_cbranch_execz .LBB167_558
; %bb.557:                              ;   in Loop: Header=BB167_3 Depth=1
	ds_load_b64 v[38:39], v37 offset:13056
	ds_load_b64 v[40:41], v36 offset:200
	s_wait_dscnt 0x0
	v_pk_mul_f32 v[96:97], v[40:41], v[38:39] op_sel:[1,1] op_sel_hi:[0,1]
	s_delay_alu instid0(VALU_DEP_1) | instskip(SKIP_1) | instid1(VALU_DEP_2)
	v_pk_fma_f32 v[98:99], v[40:41], v[38:39], v[96:97] op_sel_hi:[1,0,1]
	v_pk_fma_f32 v[38:39], v[40:41], v[38:39], v[96:97] neg_lo:[0,0,1] neg_hi:[0,0,1]
	v_mov_b32_e32 v39, v99
	s_delay_alu instid0(VALU_DEP_1)
	v_pk_add_f32 v[34:35], v[34:35], v[38:39]
.LBB167_558:                            ;   in Loop: Header=BB167_3 Depth=1
	s_or_b32 exec_lo, exec_lo, s10
	s_delay_alu instid0(SALU_CYCLE_1) | instskip(SKIP_2) | instid1(SALU_CYCLE_1)
	s_mov_b32 s10, exec_lo
	v_readlane_b32 s56, v105, 1
	s_and_b32 s56, s10, s56
	s_mov_b32 exec_lo, s56
	;; [unrolled: 19-line block ×5, first 2 shown]
	s_cbranch_execnz .LBB167_1134
; %bb.565:                              ;   in Loop: Header=BB167_3 Depth=1
	s_or_b32 exec_lo, exec_lo, s10
	s_and_saveexec_b32 s10, s6
	s_cbranch_execnz .LBB167_1135
.LBB167_566:                            ;   in Loop: Header=BB167_3 Depth=1
	s_or_b32 exec_lo, exec_lo, s10
	s_and_saveexec_b32 s10, s22
	s_cbranch_execz .LBB167_568
.LBB167_567:                            ;   in Loop: Header=BB167_3 Depth=1
	ds_load_b64 v[38:39], v85 offset:16128
	ds_load_b64 v[36:37], v36 offset:248
	s_wait_dscnt 0x0
	v_pk_mul_f32 v[40:41], v[36:37], v[38:39] op_sel:[1,1] op_sel_hi:[0,1]
	s_delay_alu instid0(VALU_DEP_1) | instskip(SKIP_1) | instid1(VALU_DEP_2)
	v_pk_fma_f32 v[96:97], v[36:37], v[38:39], v[40:41] op_sel_hi:[1,0,1]
	v_pk_fma_f32 v[36:37], v[36:37], v[38:39], v[40:41] neg_lo:[0,0,1] neg_hi:[0,0,1]
	v_mov_b32_e32 v37, v97
	s_delay_alu instid0(VALU_DEP_1)
	v_pk_add_f32 v[34:35], v[34:35], v[36:37]
.LBB167_568:                            ;   in Loop: Header=BB167_3 Depth=1
	s_or_b32 exec_lo, exec_lo, s10
	s_delay_alu instid0(VALU_DEP_1)
	v_pk_add_f32 v[34:35], v[34:35], 0 neg_lo:[1,1] neg_hi:[1,1]
.LBB167_569:                            ;   in Loop: Header=BB167_3 Depth=1
	s_or_b32 exec_lo, exec_lo, s66
	v_dual_mov_b32 v36, v65 :: v_dual_mov_b32 v37, v94
	s_mov_b32 s10, 0
	s_branch .LBB167_571
.LBB167_570:                            ;   in Loop: Header=BB167_571 Depth=2
	s_or_b32 exec_lo, exec_lo, s56
	v_add_nc_u32_e32 v37, 0x400, v37
	v_add_nc_u32_e32 v36, -2, v36
	s_add_co_i32 s10, s10, 2
	s_delay_alu instid0(SALU_CYCLE_1)
	s_cmp_eq_u32 s10, 32
	s_barrier_signal -1
	s_barrier_wait -1
	s_cbranch_scc1 .LBB167_579
.LBB167_571:                            ;   Parent Loop BB167_3 Depth=1
                                        ; =>  This Inner Loop Header: Depth=2
	s_delay_alu instid0(VALU_DEP_1) | instskip(SKIP_1) | instid1(SALU_CYCLE_1)
	v_cmp_eq_u32_e32 vcc_lo, 0, v36
	s_and_b32 s57, s14, vcc_lo
	s_and_saveexec_b32 s56, s57
	s_cbranch_execz .LBB167_573
; %bb.572:                              ;   in Loop: Header=BB167_571 Depth=2
	ds_load_b64 v[38:39], v86 offset:16640
	s_wait_dscnt 0x0
	v_pk_mul_f32 v[40:41], v[34:35], v[38:39] op_sel:[1,1] op_sel_hi:[1,0]
	s_delay_alu instid0(VALU_DEP_1) | instskip(SKIP_1) | instid1(VALU_DEP_2)
	v_pk_fma_f32 v[96:97], v[34:35], v[38:39], v[40:41] op_sel_hi:[0,1,1]
	v_pk_fma_f32 v[38:39], v[34:35], v[38:39], v[40:41] neg_lo:[0,0,1] neg_hi:[0,0,1]
	v_mov_b32_e32 v39, v97
	s_delay_alu instid0(VALU_DEP_1)
	v_mov_b64_e32 v[34:35], v[38:39]
	ds_store_b64 v87, v[38:39]
.LBB167_573:                            ;   in Loop: Header=BB167_571 Depth=2
	s_or_b32 exec_lo, exec_lo, s56
	v_cmp_lt_u32_e32 vcc_lo, s10, v65
	s_wait_dscnt 0x0
	s_barrier_signal -1
	s_barrier_wait -1
	s_and_b32 s57, s14, vcc_lo
	s_delay_alu instid0(SALU_CYCLE_1)
	s_and_saveexec_b32 s56, s57
	s_cbranch_execz .LBB167_575
; %bb.574:                              ;   in Loop: Header=BB167_571 Depth=2
	ds_load_b64 v[38:39], v37
	ds_load_b64 v[40:41], v87
	s_wait_dscnt 0x0
	v_pk_mul_f32 v[96:97], v[40:41], v[38:39] op_sel:[1,1] op_sel_hi:[0,1]
	s_delay_alu instid0(VALU_DEP_1) | instskip(SKIP_1) | instid1(VALU_DEP_2)
	v_pk_fma_f32 v[98:99], v[40:41], v[38:39], v[96:97] op_sel_hi:[1,0,1]
	v_pk_fma_f32 v[38:39], v[40:41], v[38:39], v[96:97] neg_lo:[0,0,1] neg_hi:[0,0,1]
	v_mov_b32_e32 v39, v99
	s_delay_alu instid0(VALU_DEP_1)
	v_pk_add_f32 v[34:35], v[34:35], v[38:39]
.LBB167_575:                            ;   in Loop: Header=BB167_571 Depth=2
	s_or_b32 exec_lo, exec_lo, s56
	s_or_b32 s56, s10, 1
	s_delay_alu instid0(SALU_CYCLE_1) | instskip(SKIP_3) | instid1(SALU_CYCLE_1)
	v_cmp_eq_u32_e32 vcc_lo, s56, v65
	s_barrier_signal -1
	s_barrier_wait -1
	s_and_b32 s66, s14, vcc_lo
	s_and_saveexec_b32 s57, s66
	s_cbranch_execz .LBB167_577
; %bb.576:                              ;   in Loop: Header=BB167_571 Depth=2
	ds_load_b64 v[38:39], v86 offset:16640
	s_wait_dscnt 0x0
	v_pk_mul_f32 v[40:41], v[34:35], v[38:39] op_sel:[1,1] op_sel_hi:[1,0]
	s_delay_alu instid0(VALU_DEP_1) | instskip(SKIP_1) | instid1(VALU_DEP_2)
	v_pk_fma_f32 v[96:97], v[34:35], v[38:39], v[40:41] op_sel_hi:[0,1,1]
	v_pk_fma_f32 v[38:39], v[34:35], v[38:39], v[40:41] neg_lo:[0,0,1] neg_hi:[0,0,1]
	v_mov_b32_e32 v39, v97
	s_delay_alu instid0(VALU_DEP_1)
	v_mov_b64_e32 v[34:35], v[38:39]
	ds_store_b64 v87, v[38:39]
.LBB167_577:                            ;   in Loop: Header=BB167_571 Depth=2
	s_or_b32 exec_lo, exec_lo, s57
	v_cmp_lt_u32_e32 vcc_lo, s56, v65
	s_wait_dscnt 0x0
	s_barrier_signal -1
	s_barrier_wait -1
	s_and_b32 s57, s14, vcc_lo
	s_delay_alu instid0(SALU_CYCLE_1)
	s_and_saveexec_b32 s56, s57
	s_cbranch_execz .LBB167_570
; %bb.578:                              ;   in Loop: Header=BB167_571 Depth=2
	ds_load_b64 v[38:39], v37 offset:512
	ds_load_b64 v[40:41], v87
	s_wait_dscnt 0x0
	v_pk_mul_f32 v[96:97], v[40:41], v[38:39] op_sel:[1,1] op_sel_hi:[0,1]
	s_delay_alu instid0(VALU_DEP_1) | instskip(SKIP_1) | instid1(VALU_DEP_2)
	v_pk_fma_f32 v[98:99], v[40:41], v[38:39], v[96:97] op_sel_hi:[1,0,1]
	v_pk_fma_f32 v[38:39], v[40:41], v[38:39], v[96:97] neg_lo:[0,0,1] neg_hi:[0,0,1]
	v_mov_b32_e32 v39, v99
	s_delay_alu instid0(VALU_DEP_1)
	v_pk_add_f32 v[34:35], v[34:35], v[38:39]
	s_branch .LBB167_570
.LBB167_579:                            ;   in Loop: Header=BB167_3 Depth=1
	s_and_saveexec_b32 s10, s36
; %bb.580:                              ;   in Loop: Header=BB167_3 Depth=1
	v_pk_add_f32 v[34:35], v[34:35], 0 neg_lo:[1,1] neg_hi:[1,1]
	ds_store_b64 v88, v[34:35] offset:256
; %bb.581:                              ;   in Loop: Header=BB167_3 Depth=1
	s_or_b32 exec_lo, exec_lo, s10
	s_wait_dscnt 0x0
	s_barrier_signal -1
	s_barrier_wait -1
	s_barrier_signal -1
	s_barrier_wait -1
	s_mov_b32 s10, exec_lo
	v_readlane_b32 s56, v106, 8
	s_and_b32 s56, s10, s56
	s_delay_alu instid0(SALU_CYCLE_1)
	s_mov_b32 exec_lo, s56
	s_cbranch_execz .LBB167_583
; %bb.582:                              ;   in Loop: Header=BB167_3 Depth=1
	ds_load_b64 v[34:35], v81 offset:256
	v_add_nc_u32_e32 v36, v81, v52
	s_wait_dscnt 0x0
	ds_store_b64 v36, v[34:35] offset:16384
	ds_load_b64 v[34:35], v81 offset:264
	s_wait_dscnt 0x0
	ds_store_b64 v36, v[34:35] offset:16896
	ds_load_b64 v[34:35], v81 offset:272
	;; [unrolled: 3-line block ×31, first 2 shown]
	s_wait_dscnt 0x0
	ds_store_b64 v36, v[34:35] offset:32256
.LBB167_583:                            ;   in Loop: Header=BB167_3 Depth=1
	s_or_b32 exec_lo, exec_lo, s10
	s_wait_dscnt 0x0
	s_barrier_signal -1
	s_barrier_wait -1
	s_and_saveexec_b32 s10, s15
	s_cbranch_execz .LBB167_585
; %bb.584:                              ;   in Loop: Header=BB167_3 Depth=1
	ds_load_b128 v[34:37], v5 offset:16640
	ds_load_b64 v[38:39], v5 offset:17160
	s_wait_dscnt 0x1
	v_dual_mov_b32 v96, v37 :: v_dual_mov_b32 v97, v36
	s_wait_dscnt 0x0
	v_dual_mul_f32 v41, v39, v35 :: v_dual_mul_f32 v40, v38, v35
	s_delay_alu instid0(VALU_DEP_1) | instskip(NEXT) | instid1(VALU_DEP_1)
	v_xor_b32_e32 v98, 0x80000000, v41
	v_dual_fmac_f32 v40, v39, v34 :: v_dual_fmac_f32 v98, v38, v34
	s_delay_alu instid0(VALU_DEP_1) | instskip(NEXT) | instid1(VALU_DEP_1)
	v_pk_mul_f32 v[34:35], v[40:41], v[96:97] op_sel_hi:[0,1]
	v_pk_fma_f32 v[38:39], v[98:99], v[36:37], v[34:35] op_sel_hi:[0,1,1]
	v_pk_fma_f32 v[34:35], v[98:99], v[36:37], v[34:35] neg_lo:[0,0,1] neg_hi:[0,0,1]
	v_add_nc_u32_e64 v36, 0x4000, 0
	s_delay_alu instid0(VALU_DEP_3)
	v_mov_b32_e32 v35, v39
	ds_store_2addr_b64 v36, v[34:35], v[34:35] offset0:33 offset1:96
.LBB167_585:                            ;   in Loop: Header=BB167_3 Depth=1
	s_or_b32 exec_lo, exec_lo, s10
	v_mov_b32_e32 v35, 0
	s_wait_dscnt 0x0
	s_barrier_signal -1
	s_barrier_wait -1
	s_delay_alu instid0(VALU_DEP_1)
	v_mov_b32_e32 v34, v35
	s_and_saveexec_b32 s10, s3
	s_cbranch_execz .LBB167_589
; %bb.586:                              ;   in Loop: Header=BB167_3 Depth=1
	ds_load_b64 v[34:35], v43 offset:16656
	ds_load_b64 v[36:37], v44 offset:16640
	s_wait_dscnt 0x0
	v_dual_mul_f32 v38, v37, v35 :: v_dual_mul_f32 v39, v36, v35
	s_delay_alu instid0(VALU_DEP_1) | instskip(NEXT) | instid1(VALU_DEP_1)
	v_dual_fma_f32 v38, v36, v34, -v38 :: v_dual_fmac_f32 v39, v37, v34
	v_pk_add_f32 v[34:35], v[38:39], 0 op_sel_hi:[1,0]
	s_and_saveexec_b32 s56, s16
	s_cbranch_execz .LBB167_588
; %bb.587:                              ;   in Loop: Header=BB167_3 Depth=1
	ds_load_b64 v[36:37], v45 offset:17168
	ds_load_b64 v[38:39], v5 offset:16648
	s_wait_dscnt 0x0
	v_pk_mul_f32 v[40:41], v[38:39], v[36:37] op_sel:[1,1] op_sel_hi:[0,1]
	s_delay_alu instid0(VALU_DEP_1) | instskip(SKIP_1) | instid1(VALU_DEP_2)
	v_pk_fma_f32 v[96:97], v[38:39], v[36:37], v[40:41] op_sel_hi:[1,0,1]
	v_pk_fma_f32 v[36:37], v[38:39], v[36:37], v[40:41] neg_lo:[0,0,1] neg_hi:[0,0,1]
	v_mov_b32_e32 v37, v97
	s_delay_alu instid0(VALU_DEP_1)
	v_pk_add_f32 v[34:35], v[34:35], v[36:37]
.LBB167_588:                            ;   in Loop: Header=BB167_3 Depth=1
	s_or_b32 exec_lo, exec_lo, s56
	s_delay_alu instid0(VALU_DEP_1)
	v_pk_add_f32 v[34:35], v[34:35], 0 neg_lo:[1,1] neg_hi:[1,1]
.LBB167_589:                            ;   in Loop: Header=BB167_3 Depth=1
	s_or_b32 exec_lo, exec_lo, s10
	s_and_saveexec_b32 s10, s95
	s_cbranch_execz .LBB167_591
; %bb.590:                              ;   in Loop: Header=BB167_3 Depth=1
	ds_load_b64 v[36:37], v5 offset:17680
	s_wait_dscnt 0x0
	v_pk_mul_f32 v[38:39], v[34:35], v[36:37] op_sel:[1,1] op_sel_hi:[1,0]
	s_delay_alu instid0(VALU_DEP_1) | instskip(SKIP_1) | instid1(VALU_DEP_2)
	v_pk_fma_f32 v[40:41], v[34:35], v[36:37], v[38:39] op_sel_hi:[0,1,1]
	v_pk_fma_f32 v[36:37], v[34:35], v[36:37], v[38:39] neg_lo:[0,0,1] neg_hi:[0,0,1]
	v_mov_b32_e32 v37, v41
	s_delay_alu instid0(VALU_DEP_1)
	v_mov_b64_e32 v[34:35], v[36:37]
	ds_store_b64 v3, v[36:37]
.LBB167_591:                            ;   in Loop: Header=BB167_3 Depth=1
	s_or_b32 exec_lo, exec_lo, s10
	s_wait_dscnt 0x0
	s_barrier_signal -1
	s_barrier_wait -1
	s_and_saveexec_b32 s10, s96
	s_cbranch_execz .LBB167_593
; %bb.592:                              ;   in Loop: Header=BB167_3 Depth=1
	ds_load_b64 v[36:37], v5 offset:17688
	ds_load_b64 v[38:39], v3
	s_wait_dscnt 0x0
	v_pk_mul_f32 v[40:41], v[38:39], v[36:37] op_sel:[1,1] op_sel_hi:[0,1]
	s_delay_alu instid0(VALU_DEP_1) | instskip(SKIP_1) | instid1(VALU_DEP_2)
	v_pk_fma_f32 v[96:97], v[38:39], v[36:37], v[40:41] op_sel_hi:[1,0,1]
	v_pk_fma_f32 v[36:37], v[38:39], v[36:37], v[40:41] neg_lo:[0,0,1] neg_hi:[0,0,1]
	v_mov_b32_e32 v37, v97
	s_delay_alu instid0(VALU_DEP_1)
	v_pk_add_f32 v[34:35], v[34:35], v[36:37]
.LBB167_593:                            ;   in Loop: Header=BB167_3 Depth=1
	s_or_b32 exec_lo, exec_lo, s10
	s_barrier_signal -1
	s_barrier_wait -1
	s_and_saveexec_b32 s10, s96
	s_cbranch_execz .LBB167_595
; %bb.594:                              ;   in Loop: Header=BB167_3 Depth=1
	ds_load_b64 v[36:37], v5 offset:18200
	s_wait_dscnt 0x0
	v_pk_mul_f32 v[38:39], v[34:35], v[36:37] op_sel:[1,1] op_sel_hi:[1,0]
	s_delay_alu instid0(VALU_DEP_1) | instskip(SKIP_1) | instid1(VALU_DEP_2)
	v_pk_fma_f32 v[40:41], v[34:35], v[36:37], v[38:39] op_sel_hi:[0,1,1]
	v_pk_fma_f32 v[36:37], v[34:35], v[36:37], v[38:39] neg_lo:[0,0,1] neg_hi:[0,0,1]
	v_mov_b32_e32 v37, v41
	s_delay_alu instid0(VALU_DEP_1)
	v_mov_b64_e32 v[34:35], v[36:37]
	ds_store_b64 v3, v[36:37]
.LBB167_595:                            ;   in Loop: Header=BB167_3 Depth=1
	s_or_b32 exec_lo, exec_lo, s10
	s_wait_dscnt 0x0
	s_barrier_signal -1
	s_barrier_wait -1
	s_barrier_signal -1
	s_barrier_wait -1
	s_and_saveexec_b32 s10, s3
; %bb.596:                              ;   in Loop: Header=BB167_3 Depth=1
	v_pk_add_f32 v[34:35], v[34:35], 0 neg_lo:[1,1] neg_hi:[1,1]
	ds_store_b64 v43, v[34:35] offset:16656
; %bb.597:                              ;   in Loop: Header=BB167_3 Depth=1
	s_or_b32 exec_lo, exec_lo, s10
	s_wait_dscnt 0x0
	s_barrier_signal -1
	s_barrier_wait -1
	s_barrier_signal -1
	s_barrier_wait -1
	s_and_saveexec_b32 s10, s97
	s_cbranch_execz .LBB167_599
; %bb.598:                              ;   in Loop: Header=BB167_3 Depth=1
	ds_load_b64 v[34:35], v48 offset:16656
	s_wait_dscnt 0x0
	ds_store_b64 v45, v[34:35] offset:17664
	ds_load_b64 v[34:35], v48 offset:16664
	s_wait_dscnt 0x0
	ds_store_b64 v45, v[34:35] offset:18176
.LBB167_599:                            ;   in Loop: Header=BB167_3 Depth=1
	s_or_b32 exec_lo, exec_lo, s10
	s_wait_dscnt 0x0
	s_barrier_signal -1
	s_barrier_wait -1
	s_and_saveexec_b32 s10, s15
	s_cbranch_execz .LBB167_601
; %bb.600:                              ;   in Loop: Header=BB167_3 Depth=1
	ds_load_b128 v[34:37], v5 offset:17680
	ds_load_b64 v[38:39], v5 offset:18200
	s_wait_dscnt 0x1
	v_dual_mov_b32 v96, v37 :: v_dual_mov_b32 v97, v36
	s_wait_dscnt 0x0
	v_dual_mul_f32 v41, v39, v35 :: v_dual_mul_f32 v40, v38, v35
	s_delay_alu instid0(VALU_DEP_1) | instskip(NEXT) | instid1(VALU_DEP_1)
	v_xor_b32_e32 v98, 0x80000000, v41
	v_dual_fmac_f32 v40, v39, v34 :: v_dual_fmac_f32 v98, v38, v34
	s_delay_alu instid0(VALU_DEP_1) | instskip(NEXT) | instid1(VALU_DEP_1)
	v_pk_mul_f32 v[34:35], v[40:41], v[96:97] op_sel_hi:[0,1]
	v_pk_fma_f32 v[38:39], v[98:99], v[36:37], v[34:35] op_sel_hi:[0,1,1]
	v_pk_fma_f32 v[34:35], v[98:99], v[36:37], v[34:35] neg_lo:[0,0,1] neg_hi:[0,0,1]
	v_add_nc_u32_e64 v36, 0x4000, 0
	s_delay_alu instid0(VALU_DEP_3)
	v_mov_b32_e32 v35, v39
	ds_store_2addr_b64 v36, v[34:35], v[34:35] offset0:163 offset1:226
.LBB167_601:                            ;   in Loop: Header=BB167_3 Depth=1
	s_or_b32 exec_lo, exec_lo, s10
	v_mov_b32_e32 v34, 0
	s_wait_dscnt 0x0
	s_barrier_signal -1
	s_barrier_wait -1
	s_delay_alu instid0(VALU_DEP_1)
	v_mov_b32_e32 v35, v34
	s_and_saveexec_b32 s10, s5
	s_cbranch_execz .LBB167_607
; %bb.602:                              ;   in Loop: Header=BB167_3 Depth=1
	ds_load_b64 v[34:35], v50 offset:16672
	ds_load_b64 v[36:37], v46 offset:16640
	s_wait_dscnt 0x0
	v_pk_mul_f32 v[38:39], v[36:37], v[34:35] op_sel:[0,1]
	s_delay_alu instid0(VALU_DEP_1) | instskip(SKIP_1) | instid1(VALU_DEP_2)
	v_pk_fma_f32 v[40:41], v[36:37], v[34:35], v[38:39] op_sel:[1,0,0] op_sel_hi:[0,0,1] neg_lo:[0,0,1] neg_hi:[0,0,1]
	v_pk_fma_f32 v[34:35], v[36:37], v[34:35], v[38:39] op_sel:[1,0,0] op_sel_hi:[0,1,1]
	v_mov_b32_e32 v35, v41
	s_delay_alu instid0(VALU_DEP_1)
	v_pk_add_f32 v[34:35], v[34:35], 0 op_sel_hi:[1,0]
	s_and_saveexec_b32 s56, s17
	s_cbranch_execnz .LBB167_1136
; %bb.603:                              ;   in Loop: Header=BB167_3 Depth=1
	s_or_b32 exec_lo, exec_lo, s56
	s_and_saveexec_b32 s56, s18
	s_cbranch_execnz .LBB167_1137
.LBB167_604:                            ;   in Loop: Header=BB167_3 Depth=1
	s_or_b32 exec_lo, exec_lo, s56
	s_and_saveexec_b32 s56, s3
	s_cbranch_execz .LBB167_606
.LBB167_605:                            ;   in Loop: Header=BB167_3 Depth=1
	ds_load_b64 v[36:37], v53 offset:18208
	ds_load_b64 v[38:39], v5 offset:16664
	s_wait_dscnt 0x0
	v_pk_mul_f32 v[40:41], v[38:39], v[36:37] op_sel:[0,1]
	s_delay_alu instid0(VALU_DEP_1) | instskip(SKIP_1) | instid1(VALU_DEP_2)
	v_pk_fma_f32 v[96:97], v[38:39], v[36:37], v[40:41] op_sel:[1,0,0] op_sel_hi:[0,0,1] neg_lo:[0,0,1] neg_hi:[0,0,1]
	v_pk_fma_f32 v[36:37], v[38:39], v[36:37], v[40:41] op_sel:[1,0,0] op_sel_hi:[0,1,1]
	v_mov_b32_e32 v37, v97
	s_delay_alu instid0(VALU_DEP_1)
	v_pk_add_f32 v[34:35], v[34:35], v[36:37]
.LBB167_606:                            ;   in Loop: Header=BB167_3 Depth=1
	s_or_b32 exec_lo, exec_lo, s56
	s_delay_alu instid0(VALU_DEP_1) | instskip(NEXT) | instid1(VALU_DEP_1)
	v_pk_add_f32 v[36:37], v[34:35], 0 neg_lo:[1,1] neg_hi:[1,1]
	v_dual_mov_b32 v34, v37 :: v_dual_mov_b32 v35, v36
.LBB167_607:                            ;   in Loop: Header=BB167_3 Depth=1
	s_or_b32 exec_lo, exec_lo, s10
	s_and_saveexec_b32 s10, s98
	s_cbranch_execz .LBB167_609
; %bb.608:                              ;   in Loop: Header=BB167_3 Depth=1
	ds_load_b64 v[36:37], v5 offset:18720
	v_dual_mov_b32 v38, v35 :: v_dual_mov_b32 v39, v34
	s_wait_dscnt 0x0
	s_delay_alu instid0(VALU_DEP_1) | instskip(NEXT) | instid1(VALU_DEP_1)
	v_dual_mul_f32 v40, v38, v36 :: v_dual_mul_f32 v96, v35, v37
	v_pk_fma_f32 v[38:39], v[38:39], v[36:37], v[40:41] op_sel_hi:[1,1,0]
	s_delay_alu instid0(VALU_DEP_2) | instskip(NEXT) | instid1(VALU_DEP_2)
	v_pk_fma_f32 v[34:35], v[34:35], v[36:37], v[96:97] op_sel_hi:[1,1,0] neg_lo:[0,0,1] neg_hi:[0,0,1]
	v_mov_b32_e32 v35, v39
	ds_store_b64 v49, v[34:35]
.LBB167_609:                            ;   in Loop: Header=BB167_3 Depth=1
	s_or_b32 exec_lo, exec_lo, s10
	s_wait_dscnt 0x0
	s_barrier_signal -1
	s_barrier_wait -1
	s_and_saveexec_b32 s10, s99
	s_cbranch_execz .LBB167_611
; %bb.610:                              ;   in Loop: Header=BB167_3 Depth=1
	ds_load_b64 v[36:37], v47 offset:18720
	ds_load_b64 v[38:39], v49
	s_wait_dscnt 0x0
	v_dual_mul_f32 v40, v39, v37 :: v_dual_mul_f32 v41, v38, v37
	s_delay_alu instid0(VALU_DEP_1) | instskip(NEXT) | instid1(VALU_DEP_1)
	v_dual_fma_f32 v40, v38, v36, -v40 :: v_dual_fmac_f32 v41, v39, v36
	v_pk_add_f32 v[34:35], v[34:35], v[40:41]
.LBB167_611:                            ;   in Loop: Header=BB167_3 Depth=1
	s_or_b32 exec_lo, exec_lo, s10
	s_barrier_signal -1
	s_barrier_wait -1
	s_and_saveexec_b32 s10, s100
	s_cbranch_execz .LBB167_613
; %bb.612:                              ;   in Loop: Header=BB167_3 Depth=1
	ds_load_b64 v[36:37], v5 offset:19240
	s_wait_dscnt 0x0
	v_pk_mul_f32 v[38:39], v[34:35], v[36:37] op_sel:[1,1] op_sel_hi:[1,0]
	s_delay_alu instid0(VALU_DEP_1) | instskip(SKIP_1) | instid1(VALU_DEP_2)
	v_pk_fma_f32 v[40:41], v[34:35], v[36:37], v[38:39] op_sel_hi:[0,1,1]
	v_pk_fma_f32 v[36:37], v[34:35], v[36:37], v[38:39] neg_lo:[0,0,1] neg_hi:[0,0,1]
	v_mov_b32_e32 v37, v41
	s_delay_alu instid0(VALU_DEP_1)
	v_mov_b64_e32 v[34:35], v[36:37]
	ds_store_b64 v49, v[36:37]
.LBB167_613:                            ;   in Loop: Header=BB167_3 Depth=1
	s_or_b32 exec_lo, exec_lo, s10
	s_wait_dscnt 0x0
	s_barrier_signal -1
	s_barrier_wait -1
	s_and_saveexec_b32 s10, s101
	s_cbranch_execz .LBB167_615
; %bb.614:                              ;   in Loop: Header=BB167_3 Depth=1
	ds_load_b64 v[36:37], v47 offset:19232
	ds_load_b64 v[38:39], v49
	s_wait_dscnt 0x0
	v_pk_mul_f32 v[40:41], v[38:39], v[36:37] op_sel:[1,1] op_sel_hi:[0,1]
	s_delay_alu instid0(VALU_DEP_1) | instskip(SKIP_1) | instid1(VALU_DEP_2)
	v_pk_fma_f32 v[96:97], v[38:39], v[36:37], v[40:41] op_sel_hi:[1,0,1]
	v_pk_fma_f32 v[36:37], v[38:39], v[36:37], v[40:41] neg_lo:[0,0,1] neg_hi:[0,0,1]
	v_mov_b32_e32 v37, v97
	s_delay_alu instid0(VALU_DEP_1)
	v_pk_add_f32 v[34:35], v[34:35], v[36:37]
.LBB167_615:                            ;   in Loop: Header=BB167_3 Depth=1
	s_or_b32 exec_lo, exec_lo, s10
	s_barrier_signal -1
	s_barrier_wait -1
	s_and_saveexec_b32 s10, s102
	s_cbranch_execz .LBB167_617
; %bb.616:                              ;   in Loop: Header=BB167_3 Depth=1
	ds_load_b64 v[36:37], v5 offset:19760
	s_wait_dscnt 0x0
	v_pk_mul_f32 v[38:39], v[34:35], v[36:37] op_sel:[1,1] op_sel_hi:[1,0]
	s_delay_alu instid0(VALU_DEP_1) | instskip(SKIP_1) | instid1(VALU_DEP_2)
	v_pk_fma_f32 v[40:41], v[34:35], v[36:37], v[38:39] op_sel_hi:[0,1,1]
	v_pk_fma_f32 v[36:37], v[34:35], v[36:37], v[38:39] neg_lo:[0,0,1] neg_hi:[0,0,1]
	v_mov_b32_e32 v37, v41
	s_delay_alu instid0(VALU_DEP_1)
	v_mov_b64_e32 v[34:35], v[36:37]
	ds_store_b64 v49, v[36:37]
.LBB167_617:                            ;   in Loop: Header=BB167_3 Depth=1
	s_or_b32 exec_lo, exec_lo, s10
	s_wait_dscnt 0x0
	s_barrier_signal -1
	s_barrier_wait -1
	s_and_saveexec_b32 s10, s103
	s_cbranch_execz .LBB167_619
; %bb.618:                              ;   in Loop: Header=BB167_3 Depth=1
	ds_load_b64 v[36:37], v5 offset:19768
	ds_load_b64 v[38:39], v49
	s_wait_dscnt 0x0
	v_pk_mul_f32 v[40:41], v[38:39], v[36:37] op_sel:[1,1] op_sel_hi:[0,1]
	s_delay_alu instid0(VALU_DEP_1) | instskip(SKIP_1) | instid1(VALU_DEP_2)
	v_pk_fma_f32 v[96:97], v[38:39], v[36:37], v[40:41] op_sel_hi:[1,0,1]
	v_pk_fma_f32 v[36:37], v[38:39], v[36:37], v[40:41] neg_lo:[0,0,1] neg_hi:[0,0,1]
	v_mov_b32_e32 v37, v97
	s_delay_alu instid0(VALU_DEP_1)
	v_pk_add_f32 v[34:35], v[34:35], v[36:37]
.LBB167_619:                            ;   in Loop: Header=BB167_3 Depth=1
	s_or_b32 exec_lo, exec_lo, s10
	s_barrier_signal -1
	s_barrier_wait -1
	s_and_saveexec_b32 s10, s103
	s_cbranch_execz .LBB167_621
; %bb.620:                              ;   in Loop: Header=BB167_3 Depth=1
	ds_load_b64 v[36:37], v5 offset:20280
	s_wait_dscnt 0x0
	v_pk_mul_f32 v[38:39], v[34:35], v[36:37] op_sel:[1,1] op_sel_hi:[1,0]
	s_delay_alu instid0(VALU_DEP_1) | instskip(SKIP_1) | instid1(VALU_DEP_2)
	v_pk_fma_f32 v[40:41], v[34:35], v[36:37], v[38:39] op_sel_hi:[0,1,1]
	v_pk_fma_f32 v[36:37], v[34:35], v[36:37], v[38:39] neg_lo:[0,0,1] neg_hi:[0,0,1]
	v_mov_b32_e32 v37, v41
	s_delay_alu instid0(VALU_DEP_1)
	v_mov_b64_e32 v[34:35], v[36:37]
	ds_store_b64 v49, v[36:37]
.LBB167_621:                            ;   in Loop: Header=BB167_3 Depth=1
	s_or_b32 exec_lo, exec_lo, s10
	s_wait_dscnt 0x0
	s_barrier_signal -1
	s_barrier_wait -1
	s_barrier_signal -1
	s_barrier_wait -1
	s_and_saveexec_b32 s10, s5
; %bb.622:                              ;   in Loop: Header=BB167_3 Depth=1
	v_pk_add_f32 v[34:35], v[34:35], 0 neg_lo:[1,1] neg_hi:[1,1]
	ds_store_b64 v50, v[34:35] offset:16672
; %bb.623:                              ;   in Loop: Header=BB167_3 Depth=1
	s_or_b32 exec_lo, exec_lo, s10
	s_wait_dscnt 0x0
	s_barrier_signal -1
	s_barrier_wait -1
	s_barrier_signal -1
	s_barrier_wait -1
	s_and_saveexec_b32 s10, s104
	s_cbranch_execz .LBB167_625
; %bb.624:                              ;   in Loop: Header=BB167_3 Depth=1
	ds_load_b64 v[34:35], v55 offset:16672
	s_wait_dscnt 0x0
	ds_store_b64 v68, v[34:35] offset:18688
	ds_load_b64 v[34:35], v55 offset:16680
	s_wait_dscnt 0x0
	ds_store_b64 v68, v[34:35] offset:19200
	;; [unrolled: 3-line block ×4, first 2 shown]
.LBB167_625:                            ;   in Loop: Header=BB167_3 Depth=1
	s_or_b32 exec_lo, exec_lo, s10
	s_wait_dscnt 0x0
	s_barrier_signal -1
	s_barrier_wait -1
	s_and_saveexec_b32 s10, s15
	s_cbranch_execz .LBB167_627
; %bb.626:                              ;   in Loop: Header=BB167_3 Depth=1
	ds_load_b128 v[34:37], v5 offset:18720
	ds_load_b64 v[38:39], v5 offset:19240
	s_wait_dscnt 0x1
	v_dual_mov_b32 v96, v37 :: v_dual_mov_b32 v97, v36
	s_wait_dscnt 0x0
	v_dual_mul_f32 v41, v39, v35 :: v_dual_mul_f32 v40, v38, v35
	s_delay_alu instid0(VALU_DEP_1) | instskip(NEXT) | instid1(VALU_DEP_1)
	v_xor_b32_e32 v98, 0x80000000, v41
	v_dual_fmac_f32 v40, v39, v34 :: v_dual_fmac_f32 v98, v38, v34
	s_delay_alu instid0(VALU_DEP_1) | instskip(NEXT) | instid1(VALU_DEP_1)
	v_pk_mul_f32 v[34:35], v[40:41], v[96:97] op_sel_hi:[0,1]
	v_pk_fma_f32 v[38:39], v[98:99], v[36:37], v[34:35] op_sel_hi:[0,1,1]
	v_pk_fma_f32 v[34:35], v[98:99], v[36:37], v[34:35] neg_lo:[0,0,1] neg_hi:[0,0,1]
	v_add_nc_u32_e64 v36, 0x4800, 0
	s_delay_alu instid0(VALU_DEP_3)
	v_mov_b32_e32 v35, v39
	ds_store_2addr_b64 v36, v[34:35], v[34:35] offset0:37 offset1:100
.LBB167_627:                            ;   in Loop: Header=BB167_3 Depth=1
	s_or_b32 exec_lo, exec_lo, s10
	v_mov_b32_e32 v35, 0
	s_wait_dscnt 0x0
	s_barrier_signal -1
	s_barrier_wait -1
	s_delay_alu instid0(VALU_DEP_1)
	v_mov_b32_e32 v34, v35
	s_and_saveexec_b32 s10, s3
	s_cbranch_execz .LBB167_631
; %bb.628:                              ;   in Loop: Header=BB167_3 Depth=1
	ds_load_b64 v[34:35], v43 offset:18736
	ds_load_b64 v[36:37], v44 offset:18720
	s_wait_dscnt 0x0
	v_dual_mul_f32 v38, v37, v35 :: v_dual_mul_f32 v39, v36, v35
	s_delay_alu instid0(VALU_DEP_1) | instskip(NEXT) | instid1(VALU_DEP_1)
	v_dual_fma_f32 v38, v36, v34, -v38 :: v_dual_fmac_f32 v39, v37, v34
	v_pk_add_f32 v[34:35], v[38:39], 0 op_sel_hi:[1,0]
	s_and_saveexec_b32 s56, s16
	s_cbranch_execz .LBB167_630
; %bb.629:                              ;   in Loop: Header=BB167_3 Depth=1
	ds_load_b64 v[36:37], v68 offset:19248
	ds_load_b64 v[38:39], v5 offset:18728
	s_wait_dscnt 0x0
	v_pk_mul_f32 v[40:41], v[38:39], v[36:37] op_sel:[1,1] op_sel_hi:[0,1]
	s_delay_alu instid0(VALU_DEP_1) | instskip(SKIP_1) | instid1(VALU_DEP_2)
	v_pk_fma_f32 v[96:97], v[38:39], v[36:37], v[40:41] op_sel_hi:[1,0,1]
	v_pk_fma_f32 v[36:37], v[38:39], v[36:37], v[40:41] neg_lo:[0,0,1] neg_hi:[0,0,1]
	v_mov_b32_e32 v37, v97
	s_delay_alu instid0(VALU_DEP_1)
	v_pk_add_f32 v[34:35], v[34:35], v[36:37]
.LBB167_630:                            ;   in Loop: Header=BB167_3 Depth=1
	s_or_b32 exec_lo, exec_lo, s56
	s_delay_alu instid0(VALU_DEP_1)
	v_pk_add_f32 v[34:35], v[34:35], 0 neg_lo:[1,1] neg_hi:[1,1]
.LBB167_631:                            ;   in Loop: Header=BB167_3 Depth=1
	s_or_b32 exec_lo, exec_lo, s10
	s_and_saveexec_b32 s10, s95
	s_cbranch_execz .LBB167_633
; %bb.632:                              ;   in Loop: Header=BB167_3 Depth=1
	ds_load_b64 v[36:37], v5 offset:19760
	s_wait_dscnt 0x0
	v_pk_mul_f32 v[38:39], v[34:35], v[36:37] op_sel:[1,1] op_sel_hi:[1,0]
	s_delay_alu instid0(VALU_DEP_1) | instskip(SKIP_1) | instid1(VALU_DEP_2)
	v_pk_fma_f32 v[40:41], v[34:35], v[36:37], v[38:39] op_sel_hi:[0,1,1]
	v_pk_fma_f32 v[36:37], v[34:35], v[36:37], v[38:39] neg_lo:[0,0,1] neg_hi:[0,0,1]
	v_mov_b32_e32 v37, v41
	s_delay_alu instid0(VALU_DEP_1)
	v_mov_b64_e32 v[34:35], v[36:37]
	ds_store_b64 v3, v[36:37]
.LBB167_633:                            ;   in Loop: Header=BB167_3 Depth=1
	s_or_b32 exec_lo, exec_lo, s10
	s_wait_dscnt 0x0
	s_barrier_signal -1
	s_barrier_wait -1
	s_and_saveexec_b32 s10, s96
	s_cbranch_execz .LBB167_635
; %bb.634:                              ;   in Loop: Header=BB167_3 Depth=1
	ds_load_b64 v[36:37], v5 offset:19768
	ds_load_b64 v[38:39], v3
	s_wait_dscnt 0x0
	v_pk_mul_f32 v[40:41], v[38:39], v[36:37] op_sel:[1,1] op_sel_hi:[0,1]
	s_delay_alu instid0(VALU_DEP_1) | instskip(SKIP_1) | instid1(VALU_DEP_2)
	v_pk_fma_f32 v[96:97], v[38:39], v[36:37], v[40:41] op_sel_hi:[1,0,1]
	v_pk_fma_f32 v[36:37], v[38:39], v[36:37], v[40:41] neg_lo:[0,0,1] neg_hi:[0,0,1]
	v_mov_b32_e32 v37, v97
	s_delay_alu instid0(VALU_DEP_1)
	v_pk_add_f32 v[34:35], v[34:35], v[36:37]
.LBB167_635:                            ;   in Loop: Header=BB167_3 Depth=1
	s_or_b32 exec_lo, exec_lo, s10
	s_barrier_signal -1
	s_barrier_wait -1
	s_and_saveexec_b32 s10, s96
	s_cbranch_execz .LBB167_637
; %bb.636:                              ;   in Loop: Header=BB167_3 Depth=1
	ds_load_b64 v[36:37], v5 offset:20280
	s_wait_dscnt 0x0
	v_pk_mul_f32 v[38:39], v[34:35], v[36:37] op_sel:[1,1] op_sel_hi:[1,0]
	s_delay_alu instid0(VALU_DEP_1) | instskip(SKIP_1) | instid1(VALU_DEP_2)
	v_pk_fma_f32 v[40:41], v[34:35], v[36:37], v[38:39] op_sel_hi:[0,1,1]
	v_pk_fma_f32 v[36:37], v[34:35], v[36:37], v[38:39] neg_lo:[0,0,1] neg_hi:[0,0,1]
	v_mov_b32_e32 v37, v41
	s_delay_alu instid0(VALU_DEP_1)
	v_mov_b64_e32 v[34:35], v[36:37]
	ds_store_b64 v3, v[36:37]
.LBB167_637:                            ;   in Loop: Header=BB167_3 Depth=1
	s_or_b32 exec_lo, exec_lo, s10
	s_wait_dscnt 0x0
	s_barrier_signal -1
	s_barrier_wait -1
	s_barrier_signal -1
	s_barrier_wait -1
	s_and_saveexec_b32 s10, s3
; %bb.638:                              ;   in Loop: Header=BB167_3 Depth=1
	v_pk_add_f32 v[34:35], v[34:35], 0 neg_lo:[1,1] neg_hi:[1,1]
	ds_store_b64 v43, v[34:35] offset:18736
; %bb.639:                              ;   in Loop: Header=BB167_3 Depth=1
	s_or_b32 exec_lo, exec_lo, s10
	s_wait_dscnt 0x0
	s_barrier_signal -1
	s_barrier_wait -1
	s_barrier_signal -1
	s_barrier_wait -1
	s_and_saveexec_b32 s10, s97
	s_cbranch_execz .LBB167_641
; %bb.640:                              ;   in Loop: Header=BB167_3 Depth=1
	ds_load_b64 v[34:35], v69 offset:18736
	s_wait_dscnt 0x0
	ds_store_b64 v68, v[34:35] offset:19744
	ds_load_b64 v[34:35], v69 offset:18744
	s_wait_dscnt 0x0
	ds_store_b64 v68, v[34:35] offset:20256
.LBB167_641:                            ;   in Loop: Header=BB167_3 Depth=1
	s_or_b32 exec_lo, exec_lo, s10
	s_wait_dscnt 0x0
	s_barrier_signal -1
	s_barrier_wait -1
	s_and_saveexec_b32 s10, s15
	s_cbranch_execz .LBB167_643
; %bb.642:                              ;   in Loop: Header=BB167_3 Depth=1
	ds_load_b128 v[34:37], v5 offset:19760
	ds_load_b64 v[38:39], v5 offset:20280
	s_wait_dscnt 0x1
	v_dual_mov_b32 v96, v37 :: v_dual_mov_b32 v97, v36
	s_wait_dscnt 0x0
	v_dual_mul_f32 v41, v39, v35 :: v_dual_mul_f32 v40, v38, v35
	s_delay_alu instid0(VALU_DEP_1) | instskip(NEXT) | instid1(VALU_DEP_1)
	v_xor_b32_e32 v98, 0x80000000, v41
	v_dual_fmac_f32 v40, v39, v34 :: v_dual_fmac_f32 v98, v38, v34
	s_delay_alu instid0(VALU_DEP_1) | instskip(NEXT) | instid1(VALU_DEP_1)
	v_pk_mul_f32 v[34:35], v[40:41], v[96:97] op_sel_hi:[0,1]
	v_pk_fma_f32 v[38:39], v[98:99], v[36:37], v[34:35] op_sel_hi:[0,1,1]
	v_pk_fma_f32 v[34:35], v[98:99], v[36:37], v[34:35] neg_lo:[0,0,1] neg_hi:[0,0,1]
	v_add_nc_u32_e64 v36, 0x4800, 0
	s_delay_alu instid0(VALU_DEP_3)
	v_mov_b32_e32 v35, v39
	ds_store_2addr_b64 v36, v[34:35], v[34:35] offset0:167 offset1:230
.LBB167_643:                            ;   in Loop: Header=BB167_3 Depth=1
	s_or_b32 exec_lo, exec_lo, s10
	v_mov_b32_e32 v34, 0
	s_wait_dscnt 0x0
	s_barrier_signal -1
	s_barrier_wait -1
	s_delay_alu instid0(VALU_DEP_1)
	v_mov_b32_e32 v35, v34
	s_and_saveexec_b32 s10, s6
	s_cbranch_execz .LBB167_653
; %bb.644:                              ;   in Loop: Header=BB167_3 Depth=1
	ds_load_b64 v[34:35], v58 offset:16704
	ds_load_b64 v[36:37], v54 offset:16640
	s_wait_dscnt 0x0
	v_dual_mul_f32 v38, v37, v35 :: v_dual_mul_f32 v39, v36, v35
	s_delay_alu instid0(VALU_DEP_1) | instskip(NEXT) | instid1(VALU_DEP_1)
	v_dual_fma_f32 v35, v36, v34, -v38 :: v_dual_fmac_f32 v39, v37, v34
	v_add_f32_e32 v35, 0, v35
	s_delay_alu instid0(VALU_DEP_2)
	v_add_f32_e32 v34, 0, v39
	s_and_saveexec_b32 s56, s19
	s_cbranch_execnz .LBB167_1138
; %bb.645:                              ;   in Loop: Header=BB167_3 Depth=1
	s_or_b32 exec_lo, exec_lo, s56
	s_and_saveexec_b32 s56, s20
	s_cbranch_execnz .LBB167_1139
.LBB167_646:                            ;   in Loop: Header=BB167_3 Depth=1
	s_or_b32 exec_lo, exec_lo, s56
	s_and_saveexec_b32 s56, s21
	s_cbranch_execnz .LBB167_1140
.LBB167_647:                            ;   in Loop: Header=BB167_3 Depth=1
	s_or_b32 exec_lo, exec_lo, s56
	s_and_saveexec_b32 s56, s22
	s_cbranch_execnz .LBB167_1141
.LBB167_648:                            ;   in Loop: Header=BB167_3 Depth=1
	s_or_b32 exec_lo, exec_lo, s56
	s_and_saveexec_b32 s56, s23
	s_cbranch_execnz .LBB167_1142
.LBB167_649:                            ;   in Loop: Header=BB167_3 Depth=1
	s_or_b32 exec_lo, exec_lo, s56
	s_and_saveexec_b32 s56, s5
	s_cbranch_execnz .LBB167_1143
.LBB167_650:                            ;   in Loop: Header=BB167_3 Depth=1
	s_or_b32 exec_lo, exec_lo, s56
	s_and_saveexec_b32 s56, s18
	s_cbranch_execz .LBB167_652
.LBB167_651:                            ;   in Loop: Header=BB167_3 Depth=1
	ds_load_b64 v[36:37], v70 offset:20288
	ds_load_b64 v[38:39], v5 offset:16696
	s_wait_dscnt 0x0
	v_pk_mul_f32 v[40:41], v[38:39], v[36:37] op_sel:[0,1]
	s_delay_alu instid0(VALU_DEP_1) | instskip(SKIP_1) | instid1(VALU_DEP_2)
	v_pk_fma_f32 v[96:97], v[38:39], v[36:37], v[40:41] op_sel:[1,0,0] op_sel_hi:[0,0,1] neg_lo:[0,0,1] neg_hi:[0,0,1]
	v_pk_fma_f32 v[36:37], v[38:39], v[36:37], v[40:41] op_sel:[1,0,0] op_sel_hi:[0,1,1]
	v_mov_b32_e32 v37, v97
	s_delay_alu instid0(VALU_DEP_1)
	v_pk_add_f32 v[34:35], v[34:35], v[36:37]
.LBB167_652:                            ;   in Loop: Header=BB167_3 Depth=1
	s_or_b32 exec_lo, exec_lo, s56
	s_delay_alu instid0(VALU_DEP_1) | instskip(NEXT) | instid1(VALU_DEP_1)
	v_pk_add_f32 v[36:37], v[34:35], 0 neg_lo:[1,1] neg_hi:[1,1]
	v_dual_mov_b32 v34, v37 :: v_dual_mov_b32 v35, v36
.LBB167_653:                            ;   in Loop: Header=BB167_3 Depth=1
	s_or_b32 exec_lo, exec_lo, s10
	s_and_saveexec_b32 s10, vcc_hi
	s_cbranch_execz .LBB167_655
; %bb.654:                              ;   in Loop: Header=BB167_3 Depth=1
	ds_load_b64 v[36:37], v5 offset:20800
	v_dual_mov_b32 v38, v35 :: v_dual_mov_b32 v39, v34
	s_wait_dscnt 0x0
	s_delay_alu instid0(VALU_DEP_1) | instskip(NEXT) | instid1(VALU_DEP_1)
	v_dual_mul_f32 v40, v38, v36 :: v_dual_mul_f32 v96, v35, v37
	v_pk_fma_f32 v[38:39], v[38:39], v[36:37], v[40:41] op_sel_hi:[1,1,0]
	s_delay_alu instid0(VALU_DEP_2) | instskip(NEXT) | instid1(VALU_DEP_2)
	v_pk_fma_f32 v[34:35], v[34:35], v[36:37], v[96:97] op_sel_hi:[1,1,0] neg_lo:[0,0,1] neg_hi:[0,0,1]
	v_mov_b32_e32 v35, v39
	ds_store_b64 v57, v[34:35]
.LBB167_655:                            ;   in Loop: Header=BB167_3 Depth=1
	s_or_b32 exec_lo, exec_lo, s10
	s_wait_dscnt 0x0
	s_barrier_signal -1
	s_barrier_wait -1
	s_and_saveexec_b32 s10, s39
	s_cbranch_execz .LBB167_657
; %bb.656:                              ;   in Loop: Header=BB167_3 Depth=1
	ds_load_b64 v[36:37], v56 offset:20800
	ds_load_b64 v[38:39], v57
	s_wait_dscnt 0x0
	v_dual_mul_f32 v40, v39, v37 :: v_dual_mul_f32 v41, v38, v37
	s_delay_alu instid0(VALU_DEP_1) | instskip(NEXT) | instid1(VALU_DEP_1)
	v_dual_fma_f32 v40, v38, v36, -v40 :: v_dual_fmac_f32 v41, v39, v36
	v_pk_add_f32 v[34:35], v[34:35], v[40:41]
.LBB167_657:                            ;   in Loop: Header=BB167_3 Depth=1
	s_or_b32 exec_lo, exec_lo, s10
	s_barrier_signal -1
	s_barrier_wait -1
	s_and_saveexec_b32 s10, s40
	s_cbranch_execz .LBB167_659
; %bb.658:                              ;   in Loop: Header=BB167_3 Depth=1
	ds_load_b64 v[36:37], v5 offset:21320
	s_wait_dscnt 0x0
	v_pk_mul_f32 v[38:39], v[34:35], v[36:37] op_sel:[1,1] op_sel_hi:[1,0]
	s_delay_alu instid0(VALU_DEP_1) | instskip(SKIP_1) | instid1(VALU_DEP_2)
	v_pk_fma_f32 v[40:41], v[34:35], v[36:37], v[38:39] op_sel_hi:[0,1,1]
	v_pk_fma_f32 v[34:35], v[34:35], v[36:37], v[38:39] op_sel_hi:[0,1,1] neg_lo:[0,0,1] neg_hi:[0,0,1]
	v_mov_b32_e32 v35, v41
	ds_store_b64 v57, v[34:35]
.LBB167_659:                            ;   in Loop: Header=BB167_3 Depth=1
	s_or_b32 exec_lo, exec_lo, s10
	s_wait_dscnt 0x0
	s_barrier_signal -1
	s_barrier_wait -1
	s_and_saveexec_b32 s10, s41
	s_cbranch_execz .LBB167_661
; %bb.660:                              ;   in Loop: Header=BB167_3 Depth=1
	ds_load_b64 v[36:37], v56 offset:21312
	ds_load_b64 v[38:39], v57
	s_wait_dscnt 0x0
	v_pk_mul_f32 v[40:41], v[38:39], v[36:37] op_sel:[1,1] op_sel_hi:[0,1]
	s_delay_alu instid0(VALU_DEP_1) | instskip(SKIP_1) | instid1(VALU_DEP_2)
	v_pk_fma_f32 v[96:97], v[38:39], v[36:37], v[40:41] op_sel_hi:[1,0,1]
	v_pk_fma_f32 v[36:37], v[38:39], v[36:37], v[40:41] op_sel_hi:[1,0,1] neg_lo:[0,0,1] neg_hi:[0,0,1]
	v_mov_b32_e32 v37, v97
	s_delay_alu instid0(VALU_DEP_1)
	v_pk_add_f32 v[34:35], v[34:35], v[36:37]
.LBB167_661:                            ;   in Loop: Header=BB167_3 Depth=1
	s_or_b32 exec_lo, exec_lo, s10
	s_barrier_signal -1
	s_barrier_wait -1
	s_and_saveexec_b32 s10, s42
	s_cbranch_execz .LBB167_663
; %bb.662:                              ;   in Loop: Header=BB167_3 Depth=1
	ds_load_b64 v[36:37], v5 offset:21840
	s_wait_dscnt 0x0
	v_pk_mul_f32 v[38:39], v[34:35], v[36:37] op_sel:[1,1] op_sel_hi:[1,0]
	s_delay_alu instid0(VALU_DEP_1) | instskip(SKIP_1) | instid1(VALU_DEP_2)
	v_pk_fma_f32 v[40:41], v[34:35], v[36:37], v[38:39] op_sel_hi:[0,1,1]
	v_pk_fma_f32 v[34:35], v[34:35], v[36:37], v[38:39] op_sel_hi:[0,1,1] neg_lo:[0,0,1] neg_hi:[0,0,1]
	v_mov_b32_e32 v35, v41
	ds_store_b64 v57, v[34:35]
.LBB167_663:                            ;   in Loop: Header=BB167_3 Depth=1
	s_or_b32 exec_lo, exec_lo, s10
	s_wait_dscnt 0x0
	s_barrier_signal -1
	s_barrier_wait -1
	s_and_saveexec_b32 s10, s43
	s_cbranch_execz .LBB167_665
; %bb.664:                              ;   in Loop: Header=BB167_3 Depth=1
	ds_load_b64 v[36:37], v56 offset:21824
	ds_load_b64 v[38:39], v57
	s_wait_dscnt 0x0
	v_pk_mul_f32 v[40:41], v[38:39], v[36:37] op_sel:[1,1] op_sel_hi:[0,1]
	s_delay_alu instid0(VALU_DEP_1) | instskip(SKIP_1) | instid1(VALU_DEP_2)
	v_pk_fma_f32 v[96:97], v[38:39], v[36:37], v[40:41] op_sel_hi:[1,0,1]
	v_pk_fma_f32 v[36:37], v[38:39], v[36:37], v[40:41] op_sel_hi:[1,0,1] neg_lo:[0,0,1] neg_hi:[0,0,1]
	v_mov_b32_e32 v37, v97
	s_delay_alu instid0(VALU_DEP_1)
	v_pk_add_f32 v[34:35], v[34:35], v[36:37]
.LBB167_665:                            ;   in Loop: Header=BB167_3 Depth=1
	;; [unrolled: 33-line block ×3, first 2 shown]
	s_or_b32 exec_lo, exec_lo, s10
	s_barrier_signal -1
	s_barrier_wait -1
	s_and_saveexec_b32 s10, s46
	s_cbranch_execz .LBB167_671
; %bb.670:                              ;   in Loop: Header=BB167_3 Depth=1
	ds_load_b64 v[36:37], v5 offset:22880
	s_wait_dscnt 0x0
	v_dual_mul_f32 v38, v34, v37 :: v_dual_mul_f32 v40, v35, v37
	s_delay_alu instid0(VALU_DEP_1) | instskip(NEXT) | instid1(VALU_DEP_2)
	v_pk_fma_f32 v[38:39], v[34:35], v[36:37], v[38:39] op_sel:[0,1,0] op_sel_hi:[1,0,0]
	v_pk_fma_f32 v[36:37], v[34:35], v[36:37], v[40:41] op_sel_hi:[1,1,0] neg_lo:[0,0,1] neg_hi:[0,0,1]
	s_delay_alu instid0(VALU_DEP_2) | instskip(NEXT) | instid1(VALU_DEP_1)
	v_mov_b32_e32 v37, v39
	v_mov_b64_e32 v[34:35], v[36:37]
	ds_store_b64 v57, v[36:37]
.LBB167_671:                            ;   in Loop: Header=BB167_3 Depth=1
	s_or_b32 exec_lo, exec_lo, s10
	s_wait_dscnt 0x0
	s_barrier_signal -1
	s_barrier_wait -1
	s_and_saveexec_b32 s10, s47
	s_cbranch_execz .LBB167_673
; %bb.672:                              ;   in Loop: Header=BB167_3 Depth=1
	ds_load_b64 v[36:37], v56 offset:22848
	ds_load_b64 v[38:39], v57
	s_wait_dscnt 0x0
	v_dual_mul_f32 v40, v39, v37 :: v_dual_mul_f32 v41, v38, v37
	s_delay_alu instid0(VALU_DEP_1) | instskip(NEXT) | instid1(VALU_DEP_1)
	v_dual_fma_f32 v40, v38, v36, -v40 :: v_dual_fmac_f32 v41, v39, v36
	v_pk_add_f32 v[34:35], v[34:35], v[40:41]
.LBB167_673:                            ;   in Loop: Header=BB167_3 Depth=1
	s_or_b32 exec_lo, exec_lo, s10
	s_barrier_signal -1
	s_barrier_wait -1
	s_and_saveexec_b32 s10, s48
	s_cbranch_execz .LBB167_675
; %bb.674:                              ;   in Loop: Header=BB167_3 Depth=1
	ds_load_b64 v[36:37], v5 offset:23400
	s_wait_dscnt 0x0
	v_pk_mul_f32 v[38:39], v[34:35], v[36:37] op_sel:[1,1] op_sel_hi:[1,0]
	s_delay_alu instid0(VALU_DEP_1) | instskip(SKIP_1) | instid1(VALU_DEP_2)
	v_pk_fma_f32 v[40:41], v[34:35], v[36:37], v[38:39] op_sel_hi:[0,1,1]
	v_pk_fma_f32 v[36:37], v[34:35], v[36:37], v[38:39] neg_lo:[0,0,1] neg_hi:[0,0,1]
	v_mov_b32_e32 v37, v41
	s_delay_alu instid0(VALU_DEP_1)
	v_mov_b64_e32 v[34:35], v[36:37]
	ds_store_b64 v57, v[36:37]
.LBB167_675:                            ;   in Loop: Header=BB167_3 Depth=1
	s_or_b32 exec_lo, exec_lo, s10
	s_wait_dscnt 0x0
	s_barrier_signal -1
	s_barrier_wait -1
	s_and_saveexec_b32 s10, s49
	s_cbranch_execz .LBB167_677
; %bb.676:                              ;   in Loop: Header=BB167_3 Depth=1
	ds_load_b64 v[36:37], v56 offset:23360
	ds_load_b64 v[38:39], v57
	s_wait_dscnt 0x0
	v_pk_mul_f32 v[40:41], v[38:39], v[36:37] op_sel:[1,1] op_sel_hi:[0,1]
	s_delay_alu instid0(VALU_DEP_1) | instskip(SKIP_1) | instid1(VALU_DEP_2)
	v_pk_fma_f32 v[96:97], v[38:39], v[36:37], v[40:41] op_sel_hi:[1,0,1]
	v_pk_fma_f32 v[36:37], v[38:39], v[36:37], v[40:41] neg_lo:[0,0,1] neg_hi:[0,0,1]
	v_mov_b32_e32 v37, v97
	s_delay_alu instid0(VALU_DEP_1)
	v_pk_add_f32 v[34:35], v[34:35], v[36:37]
.LBB167_677:                            ;   in Loop: Header=BB167_3 Depth=1
	s_or_b32 exec_lo, exec_lo, s10
	s_barrier_signal -1
	s_barrier_wait -1
	s_and_saveexec_b32 s10, s50
	s_cbranch_execz .LBB167_679
; %bb.678:                              ;   in Loop: Header=BB167_3 Depth=1
	ds_load_b64 v[36:37], v5 offset:23920
	s_wait_dscnt 0x0
	v_pk_mul_f32 v[38:39], v[34:35], v[36:37] op_sel:[1,1] op_sel_hi:[1,0]
	s_delay_alu instid0(VALU_DEP_1) | instskip(SKIP_1) | instid1(VALU_DEP_2)
	v_pk_fma_f32 v[40:41], v[34:35], v[36:37], v[38:39] op_sel_hi:[0,1,1]
	v_pk_fma_f32 v[36:37], v[34:35], v[36:37], v[38:39] neg_lo:[0,0,1] neg_hi:[0,0,1]
	v_mov_b32_e32 v37, v41
	s_delay_alu instid0(VALU_DEP_1)
	v_mov_b64_e32 v[34:35], v[36:37]
	ds_store_b64 v57, v[36:37]
.LBB167_679:                            ;   in Loop: Header=BB167_3 Depth=1
	s_or_b32 exec_lo, exec_lo, s10
	s_wait_dscnt 0x0
	s_barrier_signal -1
	s_barrier_wait -1
	s_and_saveexec_b32 s10, s51
	s_cbranch_execz .LBB167_681
; %bb.680:                              ;   in Loop: Header=BB167_3 Depth=1
	ds_load_b64 v[36:37], v5 offset:23928
	ds_load_b64 v[38:39], v57
	s_wait_dscnt 0x0
	v_pk_mul_f32 v[40:41], v[38:39], v[36:37] op_sel:[1,1] op_sel_hi:[0,1]
	s_delay_alu instid0(VALU_DEP_1) | instskip(SKIP_1) | instid1(VALU_DEP_2)
	v_pk_fma_f32 v[96:97], v[38:39], v[36:37], v[40:41] op_sel_hi:[1,0,1]
	v_pk_fma_f32 v[36:37], v[38:39], v[36:37], v[40:41] neg_lo:[0,0,1] neg_hi:[0,0,1]
	v_mov_b32_e32 v37, v97
	s_delay_alu instid0(VALU_DEP_1)
	v_pk_add_f32 v[34:35], v[34:35], v[36:37]
.LBB167_681:                            ;   in Loop: Header=BB167_3 Depth=1
	s_or_b32 exec_lo, exec_lo, s10
	s_barrier_signal -1
	s_barrier_wait -1
	s_and_saveexec_b32 s10, s51
	s_cbranch_execz .LBB167_683
; %bb.682:                              ;   in Loop: Header=BB167_3 Depth=1
	ds_load_b64 v[36:37], v5 offset:24440
	s_wait_dscnt 0x0
	v_pk_mul_f32 v[38:39], v[34:35], v[36:37] op_sel:[1,1] op_sel_hi:[1,0]
	s_delay_alu instid0(VALU_DEP_1) | instskip(SKIP_1) | instid1(VALU_DEP_2)
	v_pk_fma_f32 v[40:41], v[34:35], v[36:37], v[38:39] op_sel_hi:[0,1,1]
	v_pk_fma_f32 v[36:37], v[34:35], v[36:37], v[38:39] neg_lo:[0,0,1] neg_hi:[0,0,1]
	v_mov_b32_e32 v37, v41
	s_delay_alu instid0(VALU_DEP_1)
	v_mov_b64_e32 v[34:35], v[36:37]
	ds_store_b64 v57, v[36:37]
.LBB167_683:                            ;   in Loop: Header=BB167_3 Depth=1
	s_or_b32 exec_lo, exec_lo, s10
	s_wait_dscnt 0x0
	s_barrier_signal -1
	s_barrier_wait -1
	s_barrier_signal -1
	s_barrier_wait -1
	s_and_saveexec_b32 s10, s6
; %bb.684:                              ;   in Loop: Header=BB167_3 Depth=1
	v_pk_add_f32 v[34:35], v[34:35], 0 neg_lo:[1,1] neg_hi:[1,1]
	ds_store_b64 v58, v[34:35] offset:16704
; %bb.685:                              ;   in Loop: Header=BB167_3 Depth=1
	s_or_b32 exec_lo, exec_lo, s10
	s_wait_dscnt 0x0
	s_barrier_signal -1
	s_barrier_wait -1
	s_barrier_signal -1
	s_barrier_wait -1
	s_and_saveexec_b32 s10, s52
	s_cbranch_execz .LBB167_687
; %bb.686:                              ;   in Loop: Header=BB167_3 Depth=1
	ds_load_b64 v[34:35], v71 offset:16704
	s_wait_dscnt 0x0
	ds_store_b64 v73, v[34:35] offset:20736
	ds_load_b64 v[34:35], v71 offset:16712
	s_wait_dscnt 0x0
	ds_store_b64 v73, v[34:35] offset:21248
	;; [unrolled: 3-line block ×8, first 2 shown]
.LBB167_687:                            ;   in Loop: Header=BB167_3 Depth=1
	s_or_b32 exec_lo, exec_lo, s10
	s_wait_dscnt 0x0
	s_barrier_signal -1
	s_barrier_wait -1
	s_and_saveexec_b32 s10, s15
	s_cbranch_execz .LBB167_689
; %bb.688:                              ;   in Loop: Header=BB167_3 Depth=1
	ds_load_b128 v[34:37], v5 offset:20800
	ds_load_b64 v[38:39], v5 offset:21320
	s_wait_dscnt 0x1
	v_dual_mov_b32 v96, v37 :: v_dual_mov_b32 v97, v36
	s_wait_dscnt 0x0
	v_dual_mul_f32 v41, v39, v35 :: v_dual_mul_f32 v40, v38, v35
	s_delay_alu instid0(VALU_DEP_1) | instskip(NEXT) | instid1(VALU_DEP_1)
	v_xor_b32_e32 v98, 0x80000000, v41
	v_dual_fmac_f32 v40, v39, v34 :: v_dual_fmac_f32 v98, v38, v34
	s_delay_alu instid0(VALU_DEP_1) | instskip(NEXT) | instid1(VALU_DEP_1)
	v_pk_mul_f32 v[34:35], v[40:41], v[96:97] op_sel_hi:[0,1]
	v_pk_fma_f32 v[38:39], v[98:99], v[36:37], v[34:35] op_sel_hi:[0,1,1]
	v_pk_fma_f32 v[34:35], v[98:99], v[36:37], v[34:35] neg_lo:[0,0,1] neg_hi:[0,0,1]
	v_add_nc_u32_e64 v36, 0x5000, 0
	s_delay_alu instid0(VALU_DEP_3)
	v_mov_b32_e32 v35, v39
	ds_store_2addr_b64 v36, v[34:35], v[34:35] offset0:41 offset1:104
.LBB167_689:                            ;   in Loop: Header=BB167_3 Depth=1
	s_or_b32 exec_lo, exec_lo, s10
	v_mov_b32_e32 v35, 0
	s_wait_dscnt 0x0
	s_barrier_signal -1
	s_barrier_wait -1
	s_delay_alu instid0(VALU_DEP_1)
	v_mov_b32_e32 v34, v35
	s_and_saveexec_b32 s10, s3
	s_cbranch_execz .LBB167_693
; %bb.690:                              ;   in Loop: Header=BB167_3 Depth=1
	ds_load_b64 v[34:35], v43 offset:20816
	ds_load_b64 v[36:37], v44 offset:20800
	s_wait_dscnt 0x0
	v_dual_mul_f32 v38, v37, v35 :: v_dual_mul_f32 v39, v36, v35
	s_delay_alu instid0(VALU_DEP_1) | instskip(NEXT) | instid1(VALU_DEP_1)
	v_dual_fma_f32 v38, v36, v34, -v38 :: v_dual_fmac_f32 v39, v37, v34
	v_pk_add_f32 v[34:35], v[38:39], 0 op_sel_hi:[1,0]
	s_and_saveexec_b32 s56, s16
	s_cbranch_execz .LBB167_692
; %bb.691:                              ;   in Loop: Header=BB167_3 Depth=1
	ds_load_b64 v[36:37], v73 offset:21328
	ds_load_b64 v[38:39], v5 offset:20808
	s_wait_dscnt 0x0
	v_pk_mul_f32 v[40:41], v[38:39], v[36:37] op_sel:[1,1] op_sel_hi:[0,1]
	s_delay_alu instid0(VALU_DEP_1) | instskip(SKIP_1) | instid1(VALU_DEP_2)
	v_pk_fma_f32 v[96:97], v[38:39], v[36:37], v[40:41] op_sel_hi:[1,0,1]
	v_pk_fma_f32 v[36:37], v[38:39], v[36:37], v[40:41] neg_lo:[0,0,1] neg_hi:[0,0,1]
	v_mov_b32_e32 v37, v97
	s_delay_alu instid0(VALU_DEP_1)
	v_pk_add_f32 v[34:35], v[34:35], v[36:37]
.LBB167_692:                            ;   in Loop: Header=BB167_3 Depth=1
	s_or_b32 exec_lo, exec_lo, s56
	s_delay_alu instid0(VALU_DEP_1)
	v_pk_add_f32 v[34:35], v[34:35], 0 neg_lo:[1,1] neg_hi:[1,1]
.LBB167_693:                            ;   in Loop: Header=BB167_3 Depth=1
	s_or_b32 exec_lo, exec_lo, s10
	s_and_saveexec_b32 s10, s95
	s_cbranch_execz .LBB167_695
; %bb.694:                              ;   in Loop: Header=BB167_3 Depth=1
	ds_load_b64 v[36:37], v5 offset:21840
	s_wait_dscnt 0x0
	v_pk_mul_f32 v[38:39], v[34:35], v[36:37] op_sel:[1,1] op_sel_hi:[1,0]
	s_delay_alu instid0(VALU_DEP_1) | instskip(SKIP_1) | instid1(VALU_DEP_2)
	v_pk_fma_f32 v[40:41], v[34:35], v[36:37], v[38:39] op_sel_hi:[0,1,1]
	v_pk_fma_f32 v[36:37], v[34:35], v[36:37], v[38:39] neg_lo:[0,0,1] neg_hi:[0,0,1]
	v_mov_b32_e32 v37, v41
	s_delay_alu instid0(VALU_DEP_1)
	v_mov_b64_e32 v[34:35], v[36:37]
	ds_store_b64 v3, v[36:37]
.LBB167_695:                            ;   in Loop: Header=BB167_3 Depth=1
	s_or_b32 exec_lo, exec_lo, s10
	s_wait_dscnt 0x0
	s_barrier_signal -1
	s_barrier_wait -1
	s_and_saveexec_b32 s10, s96
	s_cbranch_execz .LBB167_697
; %bb.696:                              ;   in Loop: Header=BB167_3 Depth=1
	ds_load_b64 v[36:37], v5 offset:21848
	ds_load_b64 v[38:39], v3
	s_wait_dscnt 0x0
	v_pk_mul_f32 v[40:41], v[38:39], v[36:37] op_sel:[1,1] op_sel_hi:[0,1]
	s_delay_alu instid0(VALU_DEP_1) | instskip(SKIP_1) | instid1(VALU_DEP_2)
	v_pk_fma_f32 v[96:97], v[38:39], v[36:37], v[40:41] op_sel_hi:[1,0,1]
	v_pk_fma_f32 v[36:37], v[38:39], v[36:37], v[40:41] neg_lo:[0,0,1] neg_hi:[0,0,1]
	v_mov_b32_e32 v37, v97
	s_delay_alu instid0(VALU_DEP_1)
	v_pk_add_f32 v[34:35], v[34:35], v[36:37]
.LBB167_697:                            ;   in Loop: Header=BB167_3 Depth=1
	s_or_b32 exec_lo, exec_lo, s10
	s_barrier_signal -1
	s_barrier_wait -1
	s_and_saveexec_b32 s10, s96
	s_cbranch_execz .LBB167_699
; %bb.698:                              ;   in Loop: Header=BB167_3 Depth=1
	ds_load_b64 v[36:37], v5 offset:22360
	s_wait_dscnt 0x0
	v_pk_mul_f32 v[38:39], v[34:35], v[36:37] op_sel:[1,1] op_sel_hi:[1,0]
	s_delay_alu instid0(VALU_DEP_1) | instskip(SKIP_1) | instid1(VALU_DEP_2)
	v_pk_fma_f32 v[40:41], v[34:35], v[36:37], v[38:39] op_sel_hi:[0,1,1]
	v_pk_fma_f32 v[36:37], v[34:35], v[36:37], v[38:39] neg_lo:[0,0,1] neg_hi:[0,0,1]
	v_mov_b32_e32 v37, v41
	s_delay_alu instid0(VALU_DEP_1)
	v_mov_b64_e32 v[34:35], v[36:37]
	ds_store_b64 v3, v[36:37]
.LBB167_699:                            ;   in Loop: Header=BB167_3 Depth=1
	s_or_b32 exec_lo, exec_lo, s10
	s_wait_dscnt 0x0
	s_barrier_signal -1
	s_barrier_wait -1
	s_barrier_signal -1
	s_barrier_wait -1
	s_and_saveexec_b32 s10, s3
; %bb.700:                              ;   in Loop: Header=BB167_3 Depth=1
	v_pk_add_f32 v[34:35], v[34:35], 0 neg_lo:[1,1] neg_hi:[1,1]
	ds_store_b64 v43, v[34:35] offset:20816
; %bb.701:                              ;   in Loop: Header=BB167_3 Depth=1
	s_or_b32 exec_lo, exec_lo, s10
	s_wait_dscnt 0x0
	s_barrier_signal -1
	s_barrier_wait -1
	s_barrier_signal -1
	s_barrier_wait -1
	s_and_saveexec_b32 s10, s97
	s_cbranch_execz .LBB167_703
; %bb.702:                              ;   in Loop: Header=BB167_3 Depth=1
	ds_load_b64 v[34:35], v74 offset:20816
	s_wait_dscnt 0x0
	ds_store_b64 v73, v[34:35] offset:21824
	ds_load_b64 v[34:35], v74 offset:20824
	s_wait_dscnt 0x0
	ds_store_b64 v73, v[34:35] offset:22336
.LBB167_703:                            ;   in Loop: Header=BB167_3 Depth=1
	s_or_b32 exec_lo, exec_lo, s10
	s_wait_dscnt 0x0
	s_barrier_signal -1
	s_barrier_wait -1
	s_and_saveexec_b32 s10, s15
	s_cbranch_execz .LBB167_705
; %bb.704:                              ;   in Loop: Header=BB167_3 Depth=1
	ds_load_b128 v[34:37], v5 offset:21840
	ds_load_b64 v[38:39], v5 offset:22360
	s_wait_dscnt 0x1
	v_dual_mov_b32 v96, v37 :: v_dual_mov_b32 v97, v36
	s_wait_dscnt 0x0
	v_dual_mul_f32 v41, v39, v35 :: v_dual_mul_f32 v40, v38, v35
	s_delay_alu instid0(VALU_DEP_1) | instskip(NEXT) | instid1(VALU_DEP_1)
	v_xor_b32_e32 v98, 0x80000000, v41
	v_dual_fmac_f32 v40, v39, v34 :: v_dual_fmac_f32 v98, v38, v34
	s_delay_alu instid0(VALU_DEP_1) | instskip(NEXT) | instid1(VALU_DEP_1)
	v_pk_mul_f32 v[34:35], v[40:41], v[96:97] op_sel_hi:[0,1]
	v_pk_fma_f32 v[38:39], v[98:99], v[36:37], v[34:35] op_sel_hi:[0,1,1]
	v_pk_fma_f32 v[34:35], v[98:99], v[36:37], v[34:35] neg_lo:[0,0,1] neg_hi:[0,0,1]
	v_add_nc_u32_e64 v36, 0x5000, 0
	s_delay_alu instid0(VALU_DEP_3)
	v_mov_b32_e32 v35, v39
	ds_store_2addr_b64 v36, v[34:35], v[34:35] offset0:171 offset1:234
.LBB167_705:                            ;   in Loop: Header=BB167_3 Depth=1
	s_or_b32 exec_lo, exec_lo, s10
	v_mov_b32_e32 v34, 0
	s_wait_dscnt 0x0
	s_barrier_signal -1
	s_barrier_wait -1
	s_delay_alu instid0(VALU_DEP_1)
	v_mov_b32_e32 v35, v34
	s_and_saveexec_b32 s10, s5
	s_cbranch_execz .LBB167_711
; %bb.706:                              ;   in Loop: Header=BB167_3 Depth=1
	ds_load_b64 v[34:35], v50 offset:20832
	ds_load_b64 v[36:37], v46 offset:20800
	s_wait_dscnt 0x0
	v_pk_mul_f32 v[38:39], v[36:37], v[34:35] op_sel:[0,1]
	s_delay_alu instid0(VALU_DEP_1) | instskip(SKIP_1) | instid1(VALU_DEP_2)
	v_pk_fma_f32 v[40:41], v[36:37], v[34:35], v[38:39] op_sel:[1,0,0] op_sel_hi:[0,0,1] neg_lo:[0,0,1] neg_hi:[0,0,1]
	v_pk_fma_f32 v[34:35], v[36:37], v[34:35], v[38:39] op_sel:[1,0,0] op_sel_hi:[0,1,1]
	v_mov_b32_e32 v35, v41
	s_delay_alu instid0(VALU_DEP_1)
	v_pk_add_f32 v[34:35], v[34:35], 0 op_sel_hi:[1,0]
	s_and_saveexec_b32 s56, s17
	s_cbranch_execnz .LBB167_1144
; %bb.707:                              ;   in Loop: Header=BB167_3 Depth=1
	s_or_b32 exec_lo, exec_lo, s56
	s_and_saveexec_b32 s56, s18
	s_cbranch_execnz .LBB167_1145
.LBB167_708:                            ;   in Loop: Header=BB167_3 Depth=1
	s_or_b32 exec_lo, exec_lo, s56
	s_and_saveexec_b32 s56, s3
	s_cbranch_execz .LBB167_710
.LBB167_709:                            ;   in Loop: Header=BB167_3 Depth=1
	ds_load_b64 v[36:37], v76 offset:22368
	ds_load_b64 v[38:39], v5 offset:20824
	s_wait_dscnt 0x0
	v_pk_mul_f32 v[40:41], v[38:39], v[36:37] op_sel:[0,1]
	s_delay_alu instid0(VALU_DEP_1) | instskip(SKIP_1) | instid1(VALU_DEP_2)
	v_pk_fma_f32 v[96:97], v[38:39], v[36:37], v[40:41] op_sel:[1,0,0] op_sel_hi:[0,0,1] neg_lo:[0,0,1] neg_hi:[0,0,1]
	v_pk_fma_f32 v[36:37], v[38:39], v[36:37], v[40:41] op_sel:[1,0,0] op_sel_hi:[0,1,1]
	v_mov_b32_e32 v37, v97
	s_delay_alu instid0(VALU_DEP_1)
	v_pk_add_f32 v[34:35], v[34:35], v[36:37]
.LBB167_710:                            ;   in Loop: Header=BB167_3 Depth=1
	s_or_b32 exec_lo, exec_lo, s56
	s_delay_alu instid0(VALU_DEP_1) | instskip(NEXT) | instid1(VALU_DEP_1)
	v_pk_add_f32 v[36:37], v[34:35], 0 neg_lo:[1,1] neg_hi:[1,1]
	v_dual_mov_b32 v34, v37 :: v_dual_mov_b32 v35, v36
.LBB167_711:                            ;   in Loop: Header=BB167_3 Depth=1
	s_or_b32 exec_lo, exec_lo, s10
	s_and_saveexec_b32 s10, s98
	s_cbranch_execz .LBB167_713
; %bb.712:                              ;   in Loop: Header=BB167_3 Depth=1
	ds_load_b64 v[36:37], v5 offset:22880
	v_dual_mov_b32 v38, v35 :: v_dual_mov_b32 v39, v34
	s_wait_dscnt 0x0
	s_delay_alu instid0(VALU_DEP_1) | instskip(NEXT) | instid1(VALU_DEP_1)
	v_dual_mul_f32 v40, v38, v36 :: v_dual_mul_f32 v96, v35, v37
	v_pk_fma_f32 v[38:39], v[38:39], v[36:37], v[40:41] op_sel_hi:[1,1,0]
	s_delay_alu instid0(VALU_DEP_2) | instskip(NEXT) | instid1(VALU_DEP_2)
	v_pk_fma_f32 v[34:35], v[34:35], v[36:37], v[96:97] op_sel_hi:[1,1,0] neg_lo:[0,0,1] neg_hi:[0,0,1]
	v_mov_b32_e32 v35, v39
	ds_store_b64 v49, v[34:35]
.LBB167_713:                            ;   in Loop: Header=BB167_3 Depth=1
	s_or_b32 exec_lo, exec_lo, s10
	s_wait_dscnt 0x0
	s_barrier_signal -1
	s_barrier_wait -1
	s_and_saveexec_b32 s10, s99
	s_cbranch_execz .LBB167_715
; %bb.714:                              ;   in Loop: Header=BB167_3 Depth=1
	ds_load_b64 v[36:37], v47 offset:22880
	ds_load_b64 v[38:39], v49
	s_wait_dscnt 0x0
	v_dual_mul_f32 v40, v39, v37 :: v_dual_mul_f32 v41, v38, v37
	s_delay_alu instid0(VALU_DEP_1) | instskip(NEXT) | instid1(VALU_DEP_1)
	v_dual_fma_f32 v40, v38, v36, -v40 :: v_dual_fmac_f32 v41, v39, v36
	v_pk_add_f32 v[34:35], v[34:35], v[40:41]
.LBB167_715:                            ;   in Loop: Header=BB167_3 Depth=1
	s_or_b32 exec_lo, exec_lo, s10
	s_barrier_signal -1
	s_barrier_wait -1
	s_and_saveexec_b32 s10, s100
	s_cbranch_execz .LBB167_717
; %bb.716:                              ;   in Loop: Header=BB167_3 Depth=1
	ds_load_b64 v[36:37], v5 offset:23400
	s_wait_dscnt 0x0
	v_pk_mul_f32 v[38:39], v[34:35], v[36:37] op_sel:[1,1] op_sel_hi:[1,0]
	s_delay_alu instid0(VALU_DEP_1) | instskip(SKIP_1) | instid1(VALU_DEP_2)
	v_pk_fma_f32 v[40:41], v[34:35], v[36:37], v[38:39] op_sel_hi:[0,1,1]
	v_pk_fma_f32 v[36:37], v[34:35], v[36:37], v[38:39] neg_lo:[0,0,1] neg_hi:[0,0,1]
	v_mov_b32_e32 v37, v41
	s_delay_alu instid0(VALU_DEP_1)
	v_mov_b64_e32 v[34:35], v[36:37]
	ds_store_b64 v49, v[36:37]
.LBB167_717:                            ;   in Loop: Header=BB167_3 Depth=1
	s_or_b32 exec_lo, exec_lo, s10
	s_wait_dscnt 0x0
	s_barrier_signal -1
	s_barrier_wait -1
	s_and_saveexec_b32 s10, s101
	s_cbranch_execz .LBB167_719
; %bb.718:                              ;   in Loop: Header=BB167_3 Depth=1
	ds_load_b64 v[36:37], v47 offset:23392
	ds_load_b64 v[38:39], v49
	s_wait_dscnt 0x0
	v_pk_mul_f32 v[40:41], v[38:39], v[36:37] op_sel:[1,1] op_sel_hi:[0,1]
	s_delay_alu instid0(VALU_DEP_1) | instskip(SKIP_1) | instid1(VALU_DEP_2)
	v_pk_fma_f32 v[96:97], v[38:39], v[36:37], v[40:41] op_sel_hi:[1,0,1]
	v_pk_fma_f32 v[36:37], v[38:39], v[36:37], v[40:41] neg_lo:[0,0,1] neg_hi:[0,0,1]
	v_mov_b32_e32 v37, v97
	s_delay_alu instid0(VALU_DEP_1)
	v_pk_add_f32 v[34:35], v[34:35], v[36:37]
.LBB167_719:                            ;   in Loop: Header=BB167_3 Depth=1
	s_or_b32 exec_lo, exec_lo, s10
	s_barrier_signal -1
	s_barrier_wait -1
	s_and_saveexec_b32 s10, s102
	s_cbranch_execz .LBB167_721
; %bb.720:                              ;   in Loop: Header=BB167_3 Depth=1
	ds_load_b64 v[36:37], v5 offset:23920
	s_wait_dscnt 0x0
	v_pk_mul_f32 v[38:39], v[34:35], v[36:37] op_sel:[1,1] op_sel_hi:[1,0]
	s_delay_alu instid0(VALU_DEP_1) | instskip(SKIP_1) | instid1(VALU_DEP_2)
	v_pk_fma_f32 v[40:41], v[34:35], v[36:37], v[38:39] op_sel_hi:[0,1,1]
	v_pk_fma_f32 v[36:37], v[34:35], v[36:37], v[38:39] neg_lo:[0,0,1] neg_hi:[0,0,1]
	v_mov_b32_e32 v37, v41
	s_delay_alu instid0(VALU_DEP_1)
	v_mov_b64_e32 v[34:35], v[36:37]
	ds_store_b64 v49, v[36:37]
.LBB167_721:                            ;   in Loop: Header=BB167_3 Depth=1
	s_or_b32 exec_lo, exec_lo, s10
	s_wait_dscnt 0x0
	s_barrier_signal -1
	s_barrier_wait -1
	s_and_saveexec_b32 s10, s103
	s_cbranch_execz .LBB167_723
; %bb.722:                              ;   in Loop: Header=BB167_3 Depth=1
	ds_load_b64 v[36:37], v5 offset:23928
	ds_load_b64 v[38:39], v49
	s_wait_dscnt 0x0
	v_pk_mul_f32 v[40:41], v[38:39], v[36:37] op_sel:[1,1] op_sel_hi:[0,1]
	s_delay_alu instid0(VALU_DEP_1) | instskip(SKIP_1) | instid1(VALU_DEP_2)
	v_pk_fma_f32 v[96:97], v[38:39], v[36:37], v[40:41] op_sel_hi:[1,0,1]
	v_pk_fma_f32 v[36:37], v[38:39], v[36:37], v[40:41] neg_lo:[0,0,1] neg_hi:[0,0,1]
	v_mov_b32_e32 v37, v97
	s_delay_alu instid0(VALU_DEP_1)
	v_pk_add_f32 v[34:35], v[34:35], v[36:37]
.LBB167_723:                            ;   in Loop: Header=BB167_3 Depth=1
	s_or_b32 exec_lo, exec_lo, s10
	s_barrier_signal -1
	s_barrier_wait -1
	s_and_saveexec_b32 s10, s103
	s_cbranch_execz .LBB167_725
; %bb.724:                              ;   in Loop: Header=BB167_3 Depth=1
	ds_load_b64 v[36:37], v5 offset:24440
	s_wait_dscnt 0x0
	v_pk_mul_f32 v[38:39], v[34:35], v[36:37] op_sel:[1,1] op_sel_hi:[1,0]
	s_delay_alu instid0(VALU_DEP_1) | instskip(SKIP_1) | instid1(VALU_DEP_2)
	v_pk_fma_f32 v[40:41], v[34:35], v[36:37], v[38:39] op_sel_hi:[0,1,1]
	v_pk_fma_f32 v[36:37], v[34:35], v[36:37], v[38:39] neg_lo:[0,0,1] neg_hi:[0,0,1]
	v_mov_b32_e32 v37, v41
	s_delay_alu instid0(VALU_DEP_1)
	v_mov_b64_e32 v[34:35], v[36:37]
	ds_store_b64 v49, v[36:37]
.LBB167_725:                            ;   in Loop: Header=BB167_3 Depth=1
	s_or_b32 exec_lo, exec_lo, s10
	s_wait_dscnt 0x0
	s_barrier_signal -1
	s_barrier_wait -1
	s_barrier_signal -1
	s_barrier_wait -1
	s_and_saveexec_b32 s10, s5
; %bb.726:                              ;   in Loop: Header=BB167_3 Depth=1
	v_pk_add_f32 v[34:35], v[34:35], 0 neg_lo:[1,1] neg_hi:[1,1]
	ds_store_b64 v50, v[34:35] offset:20832
; %bb.727:                              ;   in Loop: Header=BB167_3 Depth=1
	s_or_b32 exec_lo, exec_lo, s10
	s_wait_dscnt 0x0
	s_barrier_signal -1
	s_barrier_wait -1
	s_barrier_signal -1
	s_barrier_wait -1
	s_and_saveexec_b32 s10, s104
	s_cbranch_execz .LBB167_729
; %bb.728:                              ;   in Loop: Header=BB167_3 Depth=1
	ds_load_b64 v[34:35], v78 offset:20832
	s_wait_dscnt 0x0
	ds_store_b64 v79, v[34:35] offset:22848
	ds_load_b64 v[34:35], v78 offset:20840
	s_wait_dscnt 0x0
	ds_store_b64 v79, v[34:35] offset:23360
	;; [unrolled: 3-line block ×4, first 2 shown]
.LBB167_729:                            ;   in Loop: Header=BB167_3 Depth=1
	s_or_b32 exec_lo, exec_lo, s10
	s_wait_dscnt 0x0
	s_barrier_signal -1
	s_barrier_wait -1
	s_and_saveexec_b32 s10, s15
	s_cbranch_execz .LBB167_731
; %bb.730:                              ;   in Loop: Header=BB167_3 Depth=1
	ds_load_b128 v[34:37], v5 offset:22880
	ds_load_b64 v[38:39], v5 offset:23400
	s_wait_dscnt 0x1
	v_dual_mov_b32 v96, v37 :: v_dual_mov_b32 v97, v36
	s_wait_dscnt 0x0
	v_dual_mul_f32 v41, v39, v35 :: v_dual_mul_f32 v40, v38, v35
	s_delay_alu instid0(VALU_DEP_1) | instskip(NEXT) | instid1(VALU_DEP_1)
	v_xor_b32_e32 v98, 0x80000000, v41
	v_dual_fmac_f32 v40, v39, v34 :: v_dual_fmac_f32 v98, v38, v34
	s_delay_alu instid0(VALU_DEP_1) | instskip(NEXT) | instid1(VALU_DEP_1)
	v_pk_mul_f32 v[34:35], v[40:41], v[96:97] op_sel_hi:[0,1]
	v_pk_fma_f32 v[38:39], v[98:99], v[36:37], v[34:35] op_sel_hi:[0,1,1]
	v_pk_fma_f32 v[34:35], v[98:99], v[36:37], v[34:35] neg_lo:[0,0,1] neg_hi:[0,0,1]
	v_add_nc_u32_e64 v36, 0x5800, 0
	s_delay_alu instid0(VALU_DEP_3)
	v_mov_b32_e32 v35, v39
	ds_store_2addr_b64 v36, v[34:35], v[34:35] offset0:45 offset1:108
.LBB167_731:                            ;   in Loop: Header=BB167_3 Depth=1
	s_or_b32 exec_lo, exec_lo, s10
	v_mov_b32_e32 v35, 0
	s_wait_dscnt 0x0
	s_barrier_signal -1
	s_barrier_wait -1
	s_delay_alu instid0(VALU_DEP_1)
	v_mov_b32_e32 v34, v35
	s_and_saveexec_b32 s10, s3
	s_cbranch_execz .LBB167_735
; %bb.732:                              ;   in Loop: Header=BB167_3 Depth=1
	ds_load_b64 v[34:35], v43 offset:22896
	ds_load_b64 v[36:37], v44 offset:22880
	s_wait_dscnt 0x0
	v_dual_mul_f32 v38, v37, v35 :: v_dual_mul_f32 v39, v36, v35
	s_delay_alu instid0(VALU_DEP_1) | instskip(NEXT) | instid1(VALU_DEP_1)
	v_dual_fma_f32 v38, v36, v34, -v38 :: v_dual_fmac_f32 v39, v37, v34
	v_pk_add_f32 v[34:35], v[38:39], 0 op_sel_hi:[1,0]
	s_and_saveexec_b32 s56, s16
	s_cbranch_execz .LBB167_734
; %bb.733:                              ;   in Loop: Header=BB167_3 Depth=1
	ds_load_b64 v[36:37], v79 offset:23408
	ds_load_b64 v[38:39], v5 offset:22888
	s_wait_dscnt 0x0
	v_pk_mul_f32 v[40:41], v[38:39], v[36:37] op_sel:[1,1] op_sel_hi:[0,1]
	s_delay_alu instid0(VALU_DEP_1) | instskip(SKIP_1) | instid1(VALU_DEP_2)
	v_pk_fma_f32 v[96:97], v[38:39], v[36:37], v[40:41] op_sel_hi:[1,0,1]
	v_pk_fma_f32 v[36:37], v[38:39], v[36:37], v[40:41] neg_lo:[0,0,1] neg_hi:[0,0,1]
	v_mov_b32_e32 v37, v97
	s_delay_alu instid0(VALU_DEP_1)
	v_pk_add_f32 v[34:35], v[34:35], v[36:37]
.LBB167_734:                            ;   in Loop: Header=BB167_3 Depth=1
	s_or_b32 exec_lo, exec_lo, s56
	s_delay_alu instid0(VALU_DEP_1)
	v_pk_add_f32 v[34:35], v[34:35], 0 neg_lo:[1,1] neg_hi:[1,1]
.LBB167_735:                            ;   in Loop: Header=BB167_3 Depth=1
	s_or_b32 exec_lo, exec_lo, s10
	s_and_saveexec_b32 s10, s95
	s_cbranch_execz .LBB167_737
; %bb.736:                              ;   in Loop: Header=BB167_3 Depth=1
	ds_load_b64 v[36:37], v5 offset:23920
	s_wait_dscnt 0x0
	v_pk_mul_f32 v[38:39], v[34:35], v[36:37] op_sel:[1,1] op_sel_hi:[1,0]
	s_delay_alu instid0(VALU_DEP_1) | instskip(SKIP_1) | instid1(VALU_DEP_2)
	v_pk_fma_f32 v[40:41], v[34:35], v[36:37], v[38:39] op_sel_hi:[0,1,1]
	v_pk_fma_f32 v[36:37], v[34:35], v[36:37], v[38:39] neg_lo:[0,0,1] neg_hi:[0,0,1]
	v_mov_b32_e32 v37, v41
	s_delay_alu instid0(VALU_DEP_1)
	v_mov_b64_e32 v[34:35], v[36:37]
	ds_store_b64 v3, v[36:37]
.LBB167_737:                            ;   in Loop: Header=BB167_3 Depth=1
	s_or_b32 exec_lo, exec_lo, s10
	s_wait_dscnt 0x0
	s_barrier_signal -1
	s_barrier_wait -1
	s_and_saveexec_b32 s10, s96
	s_cbranch_execz .LBB167_739
; %bb.738:                              ;   in Loop: Header=BB167_3 Depth=1
	ds_load_b64 v[36:37], v5 offset:23928
	ds_load_b64 v[38:39], v3
	s_wait_dscnt 0x0
	v_pk_mul_f32 v[40:41], v[38:39], v[36:37] op_sel:[1,1] op_sel_hi:[0,1]
	s_delay_alu instid0(VALU_DEP_1) | instskip(SKIP_1) | instid1(VALU_DEP_2)
	v_pk_fma_f32 v[96:97], v[38:39], v[36:37], v[40:41] op_sel_hi:[1,0,1]
	v_pk_fma_f32 v[36:37], v[38:39], v[36:37], v[40:41] neg_lo:[0,0,1] neg_hi:[0,0,1]
	v_mov_b32_e32 v37, v97
	s_delay_alu instid0(VALU_DEP_1)
	v_pk_add_f32 v[34:35], v[34:35], v[36:37]
.LBB167_739:                            ;   in Loop: Header=BB167_3 Depth=1
	s_or_b32 exec_lo, exec_lo, s10
	s_barrier_signal -1
	s_barrier_wait -1
	s_and_saveexec_b32 s10, s96
	s_cbranch_execz .LBB167_741
; %bb.740:                              ;   in Loop: Header=BB167_3 Depth=1
	ds_load_b64 v[36:37], v5 offset:24440
	s_wait_dscnt 0x0
	v_pk_mul_f32 v[38:39], v[34:35], v[36:37] op_sel:[1,1] op_sel_hi:[1,0]
	s_delay_alu instid0(VALU_DEP_1) | instskip(SKIP_1) | instid1(VALU_DEP_2)
	v_pk_fma_f32 v[40:41], v[34:35], v[36:37], v[38:39] op_sel_hi:[0,1,1]
	v_pk_fma_f32 v[36:37], v[34:35], v[36:37], v[38:39] neg_lo:[0,0,1] neg_hi:[0,0,1]
	v_mov_b32_e32 v37, v41
	s_delay_alu instid0(VALU_DEP_1)
	v_mov_b64_e32 v[34:35], v[36:37]
	ds_store_b64 v3, v[36:37]
.LBB167_741:                            ;   in Loop: Header=BB167_3 Depth=1
	s_or_b32 exec_lo, exec_lo, s10
	s_wait_dscnt 0x0
	s_barrier_signal -1
	s_barrier_wait -1
	s_barrier_signal -1
	s_barrier_wait -1
	s_and_saveexec_b32 s10, s3
; %bb.742:                              ;   in Loop: Header=BB167_3 Depth=1
	v_pk_add_f32 v[34:35], v[34:35], 0 neg_lo:[1,1] neg_hi:[1,1]
	ds_store_b64 v43, v[34:35] offset:22896
; %bb.743:                              ;   in Loop: Header=BB167_3 Depth=1
	s_or_b32 exec_lo, exec_lo, s10
	s_wait_dscnt 0x0
	s_barrier_signal -1
	s_barrier_wait -1
	s_barrier_signal -1
	s_barrier_wait -1
	s_and_saveexec_b32 s10, s97
	s_cbranch_execz .LBB167_745
; %bb.744:                              ;   in Loop: Header=BB167_3 Depth=1
	ds_load_b64 v[34:35], v81 offset:22896
	s_wait_dscnt 0x0
	ds_store_b64 v79, v[34:35] offset:23904
	ds_load_b64 v[34:35], v81 offset:22904
	s_wait_dscnt 0x0
	ds_store_b64 v79, v[34:35] offset:24416
.LBB167_745:                            ;   in Loop: Header=BB167_3 Depth=1
	s_or_b32 exec_lo, exec_lo, s10
	s_wait_dscnt 0x0
	s_barrier_signal -1
	s_barrier_wait -1
	s_and_saveexec_b32 s10, s15
	s_cbranch_execz .LBB167_747
; %bb.746:                              ;   in Loop: Header=BB167_3 Depth=1
	ds_load_b128 v[34:37], v5 offset:23920
	ds_load_b64 v[38:39], v5 offset:24440
	s_wait_dscnt 0x1
	v_dual_mov_b32 v96, v37 :: v_dual_mov_b32 v97, v36
	s_wait_dscnt 0x0
	v_dual_mul_f32 v41, v39, v35 :: v_dual_mul_f32 v40, v38, v35
	s_delay_alu instid0(VALU_DEP_1) | instskip(NEXT) | instid1(VALU_DEP_1)
	v_xor_b32_e32 v98, 0x80000000, v41
	v_dual_fmac_f32 v40, v39, v34 :: v_dual_fmac_f32 v98, v38, v34
	s_delay_alu instid0(VALU_DEP_1) | instskip(NEXT) | instid1(VALU_DEP_1)
	v_pk_mul_f32 v[34:35], v[40:41], v[96:97] op_sel_hi:[0,1]
	v_pk_fma_f32 v[38:39], v[98:99], v[36:37], v[34:35] op_sel_hi:[0,1,1]
	v_pk_fma_f32 v[34:35], v[98:99], v[36:37], v[34:35] neg_lo:[0,0,1] neg_hi:[0,0,1]
	v_add_nc_u32_e64 v36, 0x5800, 0
	s_delay_alu instid0(VALU_DEP_3)
	v_mov_b32_e32 v35, v39
	ds_store_2addr_b64 v36, v[34:35], v[34:35] offset0:175 offset1:238
.LBB167_747:                            ;   in Loop: Header=BB167_3 Depth=1
	s_or_b32 exec_lo, exec_lo, s10
	v_mov_b32_e32 v34, 0
	s_wait_dscnt 0x0
	s_barrier_signal -1
	s_barrier_wait -1
	s_delay_alu instid0(VALU_DEP_1)
	v_mov_b32_e32 v35, v34
	s_and_saveexec_b32 s66, s7
	s_cbranch_execz .LBB167_775
; %bb.748:                              ;   in Loop: Header=BB167_3 Depth=1
	ds_load_b64 v[34:35], v63 offset:16768
	ds_load_b64 v[36:37], v60 offset:16640
	s_wait_dscnt 0x0
	v_dual_mul_f32 v38, v37, v35 :: v_dual_mul_f32 v39, v36, v35
	s_delay_alu instid0(VALU_DEP_1) | instskip(NEXT) | instid1(VALU_DEP_1)
	v_dual_fma_f32 v35, v36, v34, -v38 :: v_dual_fmac_f32 v39, v37, v34
	v_add_f32_e32 v35, 0, v35
	s_delay_alu instid0(VALU_DEP_2) | instskip(SKIP_3) | instid1(SALU_CYCLE_1)
	v_add_f32_e32 v34, 0, v39
	s_mov_b32 s10, exec_lo
	v_readlane_b32 s56, v106, 30
	s_and_b32 s56, s10, s56
	s_mov_b32 exec_lo, s56
	s_cbranch_execz .LBB167_750
; %bb.749:                              ;   in Loop: Header=BB167_3 Depth=1
	ds_load_b64 v[36:37], v64 offset:17280
	ds_load_b64 v[38:39], v60 offset:16648
	s_wait_dscnt 0x0
	v_dual_mul_f32 v40, v39, v37 :: v_dual_mul_f32 v37, v38, v37
	s_delay_alu instid0(VALU_DEP_1) | instskip(NEXT) | instid1(VALU_DEP_1)
	v_dual_fma_f32 v38, v38, v36, -v40 :: v_dual_fmac_f32 v37, v39, v36
	v_dual_add_f32 v35, v35, v38 :: v_dual_add_f32 v34, v34, v37
.LBB167_750:                            ;   in Loop: Header=BB167_3 Depth=1
	s_or_b32 exec_lo, exec_lo, s10
	s_delay_alu instid0(SALU_CYCLE_1) | instskip(SKIP_2) | instid1(SALU_CYCLE_1)
	s_mov_b32 s10, exec_lo
	v_readlane_b32 s56, v106, 31
	s_and_b32 s56, s10, s56
	s_mov_b32 exec_lo, s56
	s_cbranch_execz .LBB167_752
; %bb.751:                              ;   in Loop: Header=BB167_3 Depth=1
	ds_load_b64 v[36:37], v64 offset:17792
	ds_load_b64 v[38:39], v60 offset:16656
	s_wait_dscnt 0x0
	v_dual_mul_f32 v40, v39, v37 :: v_dual_mul_f32 v37, v38, v37
	s_delay_alu instid0(VALU_DEP_1) | instskip(NEXT) | instid1(VALU_DEP_1)
	v_dual_fma_f32 v38, v38, v36, -v40 :: v_dual_fmac_f32 v37, v39, v36
	v_dual_add_f32 v35, v35, v38 :: v_dual_add_f32 v34, v34, v37
.LBB167_752:                            ;   in Loop: Header=BB167_3 Depth=1
	s_or_b32 exec_lo, exec_lo, s10
	s_delay_alu instid0(SALU_CYCLE_1) | instskip(SKIP_2) | instid1(SALU_CYCLE_1)
	;; [unrolled: 16-line block ×10, first 2 shown]
	s_mov_b32 s10, exec_lo
	v_readlane_b32 s56, v105, 8
	s_and_b32 s56, s10, s56
	s_mov_b32 exec_lo, s56
	s_cbranch_execnz .LBB167_1146
; %bb.769:                              ;   in Loop: Header=BB167_3 Depth=1
	s_or_b32 exec_lo, exec_lo, s10
	s_and_saveexec_b32 s10, s6
	s_cbranch_execnz .LBB167_1147
.LBB167_770:                            ;   in Loop: Header=BB167_3 Depth=1
	s_or_b32 exec_lo, exec_lo, s10
	s_and_saveexec_b32 s10, s20
	s_cbranch_execnz .LBB167_1148
.LBB167_771:                            ;   in Loop: Header=BB167_3 Depth=1
	s_or_b32 exec_lo, exec_lo, s10
	s_and_saveexec_b32 s10, s22
	s_cbranch_execnz .LBB167_1149
.LBB167_772:                            ;   in Loop: Header=BB167_3 Depth=1
	s_or_b32 exec_lo, exec_lo, s10
	s_and_saveexec_b32 s10, s5
	s_cbranch_execz .LBB167_774
.LBB167_773:                            ;   in Loop: Header=BB167_3 Depth=1
	ds_load_b64 v[36:37], v45 offset:24448
	ds_load_b64 v[38:39], v5 offset:16760
	s_wait_dscnt 0x0
	v_pk_mul_f32 v[40:41], v[38:39], v[36:37] op_sel:[0,1]
	s_delay_alu instid0(VALU_DEP_1) | instskip(SKIP_1) | instid1(VALU_DEP_2)
	v_pk_fma_f32 v[96:97], v[38:39], v[36:37], v[40:41] op_sel:[1,0,0] op_sel_hi:[0,0,1] neg_lo:[0,0,1] neg_hi:[0,0,1]
	v_pk_fma_f32 v[36:37], v[38:39], v[36:37], v[40:41] op_sel:[1,0,0] op_sel_hi:[0,1,1]
	v_mov_b32_e32 v37, v97
	s_delay_alu instid0(VALU_DEP_1)
	v_pk_add_f32 v[34:35], v[34:35], v[36:37]
.LBB167_774:                            ;   in Loop: Header=BB167_3 Depth=1
	s_or_b32 exec_lo, exec_lo, s10
	s_delay_alu instid0(VALU_DEP_1) | instskip(NEXT) | instid1(VALU_DEP_1)
	v_pk_add_f32 v[36:37], v[34:35], 0 neg_lo:[1,1] neg_hi:[1,1]
	v_dual_mov_b32 v34, v37 :: v_dual_mov_b32 v35, v36
.LBB167_775:                            ;   in Loop: Header=BB167_3 Depth=1
	s_or_b32 exec_lo, exec_lo, s66
	s_delay_alu instid0(SALU_CYCLE_1) | instskip(SKIP_2) | instid1(SALU_CYCLE_1)
	s_mov_b32 s10, exec_lo
	v_readlane_b32 s56, v106, 1
	s_and_b32 s56, s10, s56
	s_mov_b32 exec_lo, s56
	s_cbranch_execz .LBB167_777
; %bb.776:                              ;   in Loop: Header=BB167_3 Depth=1
	ds_load_b64 v[36:37], v5 offset:24960
	v_dual_mov_b32 v38, v35 :: v_dual_mov_b32 v39, v34
	s_wait_dscnt 0x0
	s_delay_alu instid0(VALU_DEP_1) | instskip(NEXT) | instid1(VALU_DEP_1)
	v_dual_mul_f32 v40, v38, v36 :: v_dual_mul_f32 v96, v35, v37
	v_pk_fma_f32 v[38:39], v[38:39], v[36:37], v[40:41] op_sel_hi:[1,1,0]
	s_delay_alu instid0(VALU_DEP_2) | instskip(NEXT) | instid1(VALU_DEP_2)
	v_pk_fma_f32 v[34:35], v[34:35], v[36:37], v[96:97] op_sel_hi:[1,1,0] neg_lo:[0,0,1] neg_hi:[0,0,1]
	v_mov_b32_e32 v35, v39
	ds_store_b64 v62, v[34:35]
.LBB167_777:                            ;   in Loop: Header=BB167_3 Depth=1
	s_or_b32 exec_lo, exec_lo, s10
	s_wait_dscnt 0x0
	s_barrier_signal -1
	s_barrier_wait -1
	s_mov_b32 s10, exec_lo
	v_readlane_b32 s56, v106, 2
	s_and_b32 s56, s10, s56
	s_delay_alu instid0(SALU_CYCLE_1)
	s_mov_b32 exec_lo, s56
	s_cbranch_execz .LBB167_779
; %bb.778:                              ;   in Loop: Header=BB167_3 Depth=1
	ds_load_b64 v[36:37], v61 offset:24960
	ds_load_b64 v[38:39], v62
	s_wait_dscnt 0x0
	v_dual_mul_f32 v40, v39, v37 :: v_dual_mul_f32 v41, v38, v37
	s_delay_alu instid0(VALU_DEP_1) | instskip(NEXT) | instid1(VALU_DEP_1)
	v_dual_fma_f32 v40, v38, v36, -v40 :: v_dual_fmac_f32 v41, v39, v36
	v_pk_add_f32 v[34:35], v[34:35], v[40:41]
.LBB167_779:                            ;   in Loop: Header=BB167_3 Depth=1
	s_or_b32 exec_lo, exec_lo, s10
	s_barrier_signal -1
	s_barrier_wait -1
	s_mov_b32 s10, exec_lo
	v_readlane_b32 s56, v106, 3
	s_and_b32 s56, s10, s56
	s_delay_alu instid0(SALU_CYCLE_1)
	s_mov_b32 exec_lo, s56
	s_cbranch_execz .LBB167_781
; %bb.780:                              ;   in Loop: Header=BB167_3 Depth=1
	ds_load_b64 v[36:37], v5 offset:25480
	s_wait_dscnt 0x0
	v_pk_mul_f32 v[38:39], v[34:35], v[36:37] op_sel:[1,1] op_sel_hi:[1,0]
	s_delay_alu instid0(VALU_DEP_1) | instskip(SKIP_1) | instid1(VALU_DEP_2)
	v_pk_fma_f32 v[40:41], v[34:35], v[36:37], v[38:39] op_sel_hi:[0,1,1]
	v_pk_fma_f32 v[34:35], v[34:35], v[36:37], v[38:39] op_sel_hi:[0,1,1] neg_lo:[0,0,1] neg_hi:[0,0,1]
	v_mov_b32_e32 v35, v41
	ds_store_b64 v62, v[34:35]
.LBB167_781:                            ;   in Loop: Header=BB167_3 Depth=1
	s_or_b32 exec_lo, exec_lo, s10
	s_wait_dscnt 0x0
	s_barrier_signal -1
	s_barrier_wait -1
	s_mov_b32 s10, exec_lo
	v_readlane_b32 s56, v106, 4
	s_and_b32 s56, s10, s56
	s_delay_alu instid0(SALU_CYCLE_1)
	s_mov_b32 exec_lo, s56
	s_cbranch_execz .LBB167_783
; %bb.782:                              ;   in Loop: Header=BB167_3 Depth=1
	ds_load_b64 v[36:37], v61 offset:25472
	ds_load_b64 v[38:39], v62
	s_wait_dscnt 0x0
	v_pk_mul_f32 v[40:41], v[38:39], v[36:37] op_sel:[1,1] op_sel_hi:[0,1]
	s_delay_alu instid0(VALU_DEP_1) | instskip(SKIP_1) | instid1(VALU_DEP_2)
	v_pk_fma_f32 v[96:97], v[38:39], v[36:37], v[40:41] op_sel_hi:[1,0,1]
	v_pk_fma_f32 v[36:37], v[38:39], v[36:37], v[40:41] op_sel_hi:[1,0,1] neg_lo:[0,0,1] neg_hi:[0,0,1]
	v_mov_b32_e32 v37, v97
	s_delay_alu instid0(VALU_DEP_1)
	v_pk_add_f32 v[34:35], v[34:35], v[36:37]
.LBB167_783:                            ;   in Loop: Header=BB167_3 Depth=1
	s_or_b32 exec_lo, exec_lo, s10
	s_barrier_signal -1
	s_barrier_wait -1
	s_mov_b32 s10, exec_lo
	v_readlane_b32 s56, v106, 5
	s_and_b32 s56, s10, s56
	s_delay_alu instid0(SALU_CYCLE_1)
	s_mov_b32 exec_lo, s56
	s_cbranch_execz .LBB167_785
; %bb.784:                              ;   in Loop: Header=BB167_3 Depth=1
	ds_load_b64 v[36:37], v5 offset:26000
	s_wait_dscnt 0x0
	v_pk_mul_f32 v[38:39], v[34:35], v[36:37] op_sel:[1,1] op_sel_hi:[1,0]
	s_delay_alu instid0(VALU_DEP_1) | instskip(SKIP_1) | instid1(VALU_DEP_2)
	v_pk_fma_f32 v[40:41], v[34:35], v[36:37], v[38:39] op_sel_hi:[0,1,1]
	v_pk_fma_f32 v[34:35], v[34:35], v[36:37], v[38:39] op_sel_hi:[0,1,1] neg_lo:[0,0,1] neg_hi:[0,0,1]
	v_mov_b32_e32 v35, v41
	ds_store_b64 v62, v[34:35]
.LBB167_785:                            ;   in Loop: Header=BB167_3 Depth=1
	s_or_b32 exec_lo, exec_lo, s10
	s_wait_dscnt 0x0
	s_barrier_signal -1
	s_barrier_wait -1
	s_mov_b32 s10, exec_lo
	v_readlane_b32 s56, v106, 6
	s_and_b32 s56, s10, s56
	s_delay_alu instid0(SALU_CYCLE_1)
	s_mov_b32 exec_lo, s56
	s_cbranch_execz .LBB167_787
; %bb.786:                              ;   in Loop: Header=BB167_3 Depth=1
	ds_load_b64 v[36:37], v61 offset:25984
	ds_load_b64 v[38:39], v62
	s_wait_dscnt 0x0
	v_pk_mul_f32 v[40:41], v[38:39], v[36:37] op_sel:[1,1] op_sel_hi:[0,1]
	s_delay_alu instid0(VALU_DEP_1) | instskip(SKIP_1) | instid1(VALU_DEP_2)
	v_pk_fma_f32 v[96:97], v[38:39], v[36:37], v[40:41] op_sel_hi:[1,0,1]
	v_pk_fma_f32 v[36:37], v[38:39], v[36:37], v[40:41] op_sel_hi:[1,0,1] neg_lo:[0,0,1] neg_hi:[0,0,1]
	v_mov_b32_e32 v37, v97
	s_delay_alu instid0(VALU_DEP_1)
	v_pk_add_f32 v[34:35], v[34:35], v[36:37]
.LBB167_787:                            ;   in Loop: Header=BB167_3 Depth=1
	s_or_b32 exec_lo, exec_lo, s10
	s_barrier_signal -1
	s_barrier_wait -1
	s_mov_b32 s10, exec_lo
	v_readlane_b32 s56, v106, 7
	s_and_b32 s56, s10, s56
	s_delay_alu instid0(SALU_CYCLE_1)
	s_mov_b32 exec_lo, s56
	s_cbranch_execz .LBB167_789
; %bb.788:                              ;   in Loop: Header=BB167_3 Depth=1
	ds_load_b64 v[36:37], v5 offset:26520
	s_wait_dscnt 0x0
	v_pk_mul_f32 v[38:39], v[34:35], v[36:37] op_sel:[1,1] op_sel_hi:[1,0]
	s_delay_alu instid0(VALU_DEP_1) | instskip(SKIP_1) | instid1(VALU_DEP_2)
	v_pk_fma_f32 v[40:41], v[34:35], v[36:37], v[38:39] op_sel_hi:[0,1,1]
	v_pk_fma_f32 v[34:35], v[34:35], v[36:37], v[38:39] op_sel_hi:[0,1,1] neg_lo:[0,0,1] neg_hi:[0,0,1]
	v_mov_b32_e32 v35, v41
	ds_store_b64 v62, v[34:35]
.LBB167_789:                            ;   in Loop: Header=BB167_3 Depth=1
	s_or_b32 exec_lo, exec_lo, s10
	s_wait_dscnt 0x0
	s_barrier_signal -1
	s_barrier_wait -1
	s_and_saveexec_b32 s10, s60
	s_cbranch_execz .LBB167_791
; %bb.790:                              ;   in Loop: Header=BB167_3 Depth=1
	ds_load_b64 v[36:37], v61 offset:26496
	ds_load_b64 v[38:39], v62
	s_wait_dscnt 0x0
	v_pk_mul_f32 v[40:41], v[38:39], v[36:37] op_sel:[1,1] op_sel_hi:[0,1]
	s_delay_alu instid0(VALU_DEP_1) | instskip(SKIP_1) | instid1(VALU_DEP_2)
	v_pk_fma_f32 v[96:97], v[38:39], v[36:37], v[40:41] op_sel_hi:[1,0,1]
	v_pk_fma_f32 v[36:37], v[38:39], v[36:37], v[40:41] op_sel_hi:[1,0,1] neg_lo:[0,0,1] neg_hi:[0,0,1]
	v_mov_b32_e32 v37, v97
	s_delay_alu instid0(VALU_DEP_1)
	v_pk_add_f32 v[34:35], v[34:35], v[36:37]
.LBB167_791:                            ;   in Loop: Header=BB167_3 Depth=1
	s_or_b32 exec_lo, exec_lo, s10
	s_barrier_signal -1
	s_barrier_wait -1
	s_and_saveexec_b32 s10, s61
	s_cbranch_execz .LBB167_793
; %bb.792:                              ;   in Loop: Header=BB167_3 Depth=1
	ds_load_b64 v[36:37], v5 offset:27040
	s_wait_dscnt 0x0
	v_dual_mul_f32 v38, v34, v37 :: v_dual_mul_f32 v40, v35, v37
	s_delay_alu instid0(VALU_DEP_1) | instskip(NEXT) | instid1(VALU_DEP_2)
	v_pk_fma_f32 v[38:39], v[34:35], v[36:37], v[38:39] op_sel:[0,1,0] op_sel_hi:[1,0,0]
	v_pk_fma_f32 v[36:37], v[34:35], v[36:37], v[40:41] op_sel_hi:[1,1,0] neg_lo:[0,0,1] neg_hi:[0,0,1]
	s_delay_alu instid0(VALU_DEP_2) | instskip(NEXT) | instid1(VALU_DEP_1)
	v_mov_b32_e32 v37, v39
	v_mov_b64_e32 v[34:35], v[36:37]
	ds_store_b64 v62, v[36:37]
.LBB167_793:                            ;   in Loop: Header=BB167_3 Depth=1
	s_or_b32 exec_lo, exec_lo, s10
	s_wait_dscnt 0x0
	s_barrier_signal -1
	s_barrier_wait -1
	s_and_saveexec_b32 s10, s62
	s_cbranch_execz .LBB167_795
; %bb.794:                              ;   in Loop: Header=BB167_3 Depth=1
	ds_load_b64 v[36:37], v61 offset:27008
	ds_load_b64 v[38:39], v62
	s_wait_dscnt 0x0
	v_dual_mul_f32 v40, v39, v37 :: v_dual_mul_f32 v41, v38, v37
	s_delay_alu instid0(VALU_DEP_1) | instskip(NEXT) | instid1(VALU_DEP_1)
	v_dual_fma_f32 v40, v38, v36, -v40 :: v_dual_fmac_f32 v41, v39, v36
	v_pk_add_f32 v[34:35], v[34:35], v[40:41]
.LBB167_795:                            ;   in Loop: Header=BB167_3 Depth=1
	s_or_b32 exec_lo, exec_lo, s10
	s_barrier_signal -1
	s_barrier_wait -1
	s_and_saveexec_b32 s10, s63
	s_cbranch_execz .LBB167_797
; %bb.796:                              ;   in Loop: Header=BB167_3 Depth=1
	ds_load_b64 v[36:37], v5 offset:27560
	s_wait_dscnt 0x0
	v_pk_mul_f32 v[38:39], v[34:35], v[36:37] op_sel:[1,1] op_sel_hi:[1,0]
	s_delay_alu instid0(VALU_DEP_1) | instskip(SKIP_1) | instid1(VALU_DEP_2)
	v_pk_fma_f32 v[40:41], v[34:35], v[36:37], v[38:39] op_sel_hi:[0,1,1]
	v_pk_fma_f32 v[34:35], v[34:35], v[36:37], v[38:39] op_sel_hi:[0,1,1] neg_lo:[0,0,1] neg_hi:[0,0,1]
	v_mov_b32_e32 v35, v41
	ds_store_b64 v62, v[34:35]
.LBB167_797:                            ;   in Loop: Header=BB167_3 Depth=1
	s_or_b32 exec_lo, exec_lo, s10
	s_wait_dscnt 0x0
	s_barrier_signal -1
	s_barrier_wait -1
	s_and_saveexec_b32 s10, s64
	s_cbranch_execz .LBB167_799
; %bb.798:                              ;   in Loop: Header=BB167_3 Depth=1
	ds_load_b64 v[36:37], v61 offset:27520
	ds_load_b64 v[38:39], v62
	s_wait_dscnt 0x0
	v_pk_mul_f32 v[40:41], v[38:39], v[36:37] op_sel:[1,1] op_sel_hi:[0,1]
	s_delay_alu instid0(VALU_DEP_1) | instskip(SKIP_1) | instid1(VALU_DEP_2)
	v_pk_fma_f32 v[96:97], v[38:39], v[36:37], v[40:41] op_sel_hi:[1,0,1]
	v_pk_fma_f32 v[36:37], v[38:39], v[36:37], v[40:41] op_sel_hi:[1,0,1] neg_lo:[0,0,1] neg_hi:[0,0,1]
	v_mov_b32_e32 v37, v97
	s_delay_alu instid0(VALU_DEP_1)
	v_pk_add_f32 v[34:35], v[34:35], v[36:37]
.LBB167_799:                            ;   in Loop: Header=BB167_3 Depth=1
	s_or_b32 exec_lo, exec_lo, s10
	s_barrier_signal -1
	s_barrier_wait -1
	s_and_saveexec_b32 s10, s65
	s_cbranch_execz .LBB167_801
; %bb.800:                              ;   in Loop: Header=BB167_3 Depth=1
	ds_load_b64 v[36:37], v5 offset:28080
	s_wait_dscnt 0x0
	v_pk_mul_f32 v[38:39], v[34:35], v[36:37] op_sel:[1,1] op_sel_hi:[1,0]
	s_delay_alu instid0(VALU_DEP_1) | instskip(SKIP_1) | instid1(VALU_DEP_2)
	v_pk_fma_f32 v[40:41], v[34:35], v[36:37], v[38:39] op_sel_hi:[0,1,1]
	v_pk_fma_f32 v[34:35], v[34:35], v[36:37], v[38:39] op_sel_hi:[0,1,1] neg_lo:[0,0,1] neg_hi:[0,0,1]
	v_mov_b32_e32 v35, v41
	ds_store_b64 v62, v[34:35]
.LBB167_801:                            ;   in Loop: Header=BB167_3 Depth=1
	s_or_b32 exec_lo, exec_lo, s10
	s_wait_dscnt 0x0
	s_barrier_signal -1
	s_barrier_wait -1
	s_and_saveexec_b32 s10, s13
	s_cbranch_execz .LBB167_803
; %bb.802:                              ;   in Loop: Header=BB167_3 Depth=1
	ds_load_b64 v[36:37], v61 offset:28032
	ds_load_b64 v[38:39], v62
	s_wait_dscnt 0x0
	v_pk_mul_f32 v[40:41], v[38:39], v[36:37] op_sel:[1,1] op_sel_hi:[0,1]
	s_delay_alu instid0(VALU_DEP_1) | instskip(SKIP_1) | instid1(VALU_DEP_2)
	v_pk_fma_f32 v[96:97], v[38:39], v[36:37], v[40:41] op_sel_hi:[1,0,1]
	v_pk_fma_f32 v[36:37], v[38:39], v[36:37], v[40:41] op_sel_hi:[1,0,1] neg_lo:[0,0,1] neg_hi:[0,0,1]
	v_mov_b32_e32 v37, v97
	s_delay_alu instid0(VALU_DEP_1)
	v_pk_add_f32 v[34:35], v[34:35], v[36:37]
.LBB167_803:                            ;   in Loop: Header=BB167_3 Depth=1
	;; [unrolled: 33-line block ×3, first 2 shown]
	s_or_b32 exec_lo, exec_lo, s10
	s_barrier_signal -1
	s_barrier_wait -1
	s_and_saveexec_b32 s10, s28
	s_cbranch_execz .LBB167_809
; %bb.808:                              ;   in Loop: Header=BB167_3 Depth=1
	ds_load_b64 v[36:37], v5 offset:29120
	s_wait_dscnt 0x0
	v_dual_mul_f32 v38, v34, v37 :: v_dual_mul_f32 v40, v35, v37
	s_delay_alu instid0(VALU_DEP_1) | instskip(NEXT) | instid1(VALU_DEP_2)
	v_pk_fma_f32 v[38:39], v[34:35], v[36:37], v[38:39] op_sel:[0,1,0] op_sel_hi:[1,0,0]
	v_pk_fma_f32 v[36:37], v[34:35], v[36:37], v[40:41] op_sel_hi:[1,1,0] neg_lo:[0,0,1] neg_hi:[0,0,1]
	s_delay_alu instid0(VALU_DEP_2) | instskip(NEXT) | instid1(VALU_DEP_1)
	v_mov_b32_e32 v37, v39
	v_mov_b64_e32 v[34:35], v[36:37]
	ds_store_b64 v62, v[36:37]
.LBB167_809:                            ;   in Loop: Header=BB167_3 Depth=1
	s_or_b32 exec_lo, exec_lo, s10
	s_wait_dscnt 0x0
	s_barrier_signal -1
	s_barrier_wait -1
	s_and_saveexec_b32 s10, s30
	s_cbranch_execz .LBB167_811
; %bb.810:                              ;   in Loop: Header=BB167_3 Depth=1
	ds_load_b64 v[36:37], v61 offset:29056
	ds_load_b64 v[38:39], v62
	s_wait_dscnt 0x0
	v_dual_mul_f32 v40, v39, v37 :: v_dual_mul_f32 v41, v38, v37
	s_delay_alu instid0(VALU_DEP_1) | instskip(NEXT) | instid1(VALU_DEP_1)
	v_dual_fma_f32 v40, v38, v36, -v40 :: v_dual_fmac_f32 v41, v39, v36
	v_pk_add_f32 v[34:35], v[34:35], v[40:41]
.LBB167_811:                            ;   in Loop: Header=BB167_3 Depth=1
	s_or_b32 exec_lo, exec_lo, s10
	s_barrier_signal -1
	s_barrier_wait -1
	s_and_saveexec_b32 s10, s33
	s_cbranch_execz .LBB167_813
; %bb.812:                              ;   in Loop: Header=BB167_3 Depth=1
	ds_load_b64 v[36:37], v5 offset:29640
	s_wait_dscnt 0x0
	v_pk_mul_f32 v[38:39], v[34:35], v[36:37] op_sel:[1,1] op_sel_hi:[1,0]
	s_delay_alu instid0(VALU_DEP_1) | instskip(SKIP_1) | instid1(VALU_DEP_2)
	v_pk_fma_f32 v[40:41], v[34:35], v[36:37], v[38:39] op_sel_hi:[0,1,1]
	v_pk_fma_f32 v[34:35], v[34:35], v[36:37], v[38:39] op_sel_hi:[0,1,1] neg_lo:[0,0,1] neg_hi:[0,0,1]
	v_mov_b32_e32 v35, v41
	ds_store_b64 v62, v[34:35]
.LBB167_813:                            ;   in Loop: Header=BB167_3 Depth=1
	s_or_b32 exec_lo, exec_lo, s10
	s_wait_dscnt 0x0
	s_barrier_signal -1
	s_barrier_wait -1
	s_and_saveexec_b32 s10, s35
	s_cbranch_execz .LBB167_815
; %bb.814:                              ;   in Loop: Header=BB167_3 Depth=1
	ds_load_b64 v[36:37], v61 offset:29568
	ds_load_b64 v[38:39], v62
	s_wait_dscnt 0x0
	v_pk_mul_f32 v[40:41], v[38:39], v[36:37] op_sel:[1,1] op_sel_hi:[0,1]
	s_delay_alu instid0(VALU_DEP_1) | instskip(SKIP_1) | instid1(VALU_DEP_2)
	v_pk_fma_f32 v[96:97], v[38:39], v[36:37], v[40:41] op_sel_hi:[1,0,1]
	v_pk_fma_f32 v[36:37], v[38:39], v[36:37], v[40:41] op_sel_hi:[1,0,1] neg_lo:[0,0,1] neg_hi:[0,0,1]
	v_mov_b32_e32 v37, v97
	s_delay_alu instid0(VALU_DEP_1)
	v_pk_add_f32 v[34:35], v[34:35], v[36:37]
.LBB167_815:                            ;   in Loop: Header=BB167_3 Depth=1
	s_or_b32 exec_lo, exec_lo, s10
	s_barrier_signal -1
	s_barrier_wait -1
	s_and_saveexec_b32 s10, s86
	s_cbranch_execz .LBB167_817
; %bb.816:                              ;   in Loop: Header=BB167_3 Depth=1
	ds_load_b64 v[36:37], v5 offset:30160
	s_wait_dscnt 0x0
	v_pk_mul_f32 v[38:39], v[34:35], v[36:37] op_sel:[1,1] op_sel_hi:[1,0]
	s_delay_alu instid0(VALU_DEP_1) | instskip(SKIP_1) | instid1(VALU_DEP_2)
	v_pk_fma_f32 v[40:41], v[34:35], v[36:37], v[38:39] op_sel_hi:[0,1,1]
	v_pk_fma_f32 v[34:35], v[34:35], v[36:37], v[38:39] op_sel_hi:[0,1,1] neg_lo:[0,0,1] neg_hi:[0,0,1]
	v_mov_b32_e32 v35, v41
	ds_store_b64 v62, v[34:35]
.LBB167_817:                            ;   in Loop: Header=BB167_3 Depth=1
	s_or_b32 exec_lo, exec_lo, s10
	s_wait_dscnt 0x0
	s_barrier_signal -1
	s_barrier_wait -1
	s_and_saveexec_b32 s10, s87
	s_cbranch_execz .LBB167_819
; %bb.818:                              ;   in Loop: Header=BB167_3 Depth=1
	ds_load_b64 v[36:37], v61 offset:30080
	ds_load_b64 v[38:39], v62
	s_wait_dscnt 0x0
	v_pk_mul_f32 v[40:41], v[38:39], v[36:37] op_sel:[1,1] op_sel_hi:[0,1]
	s_delay_alu instid0(VALU_DEP_1) | instskip(SKIP_1) | instid1(VALU_DEP_2)
	v_pk_fma_f32 v[96:97], v[38:39], v[36:37], v[40:41] op_sel_hi:[1,0,1]
	v_pk_fma_f32 v[36:37], v[38:39], v[36:37], v[40:41] op_sel_hi:[1,0,1] neg_lo:[0,0,1] neg_hi:[0,0,1]
	v_mov_b32_e32 v37, v97
	s_delay_alu instid0(VALU_DEP_1)
	v_pk_add_f32 v[34:35], v[34:35], v[36:37]
.LBB167_819:                            ;   in Loop: Header=BB167_3 Depth=1
	;; [unrolled: 33-line block ×3, first 2 shown]
	s_or_b32 exec_lo, exec_lo, s10
	s_barrier_signal -1
	s_barrier_wait -1
	s_and_saveexec_b32 s10, s25
	s_cbranch_execz .LBB167_825
; %bb.824:                              ;   in Loop: Header=BB167_3 Depth=1
	ds_load_b64 v[36:37], v5 offset:31200
	s_wait_dscnt 0x0
	v_dual_mul_f32 v38, v34, v37 :: v_dual_mul_f32 v40, v35, v37
	s_delay_alu instid0(VALU_DEP_1) | instskip(NEXT) | instid1(VALU_DEP_2)
	v_pk_fma_f32 v[38:39], v[34:35], v[36:37], v[38:39] op_sel:[0,1,0] op_sel_hi:[1,0,0]
	v_pk_fma_f32 v[36:37], v[34:35], v[36:37], v[40:41] op_sel_hi:[1,1,0] neg_lo:[0,0,1] neg_hi:[0,0,1]
	s_delay_alu instid0(VALU_DEP_2) | instskip(NEXT) | instid1(VALU_DEP_1)
	v_mov_b32_e32 v37, v39
	v_mov_b64_e32 v[34:35], v[36:37]
	ds_store_b64 v62, v[36:37]
.LBB167_825:                            ;   in Loop: Header=BB167_3 Depth=1
	s_or_b32 exec_lo, exec_lo, s10
	s_wait_dscnt 0x0
	s_barrier_signal -1
	s_barrier_wait -1
	s_and_saveexec_b32 s10, s27
	s_cbranch_execz .LBB167_827
; %bb.826:                              ;   in Loop: Header=BB167_3 Depth=1
	ds_load_b64 v[36:37], v61 offset:31104
	ds_load_b64 v[38:39], v62
	s_wait_dscnt 0x0
	v_dual_mul_f32 v40, v39, v37 :: v_dual_mul_f32 v41, v38, v37
	s_delay_alu instid0(VALU_DEP_1) | instskip(NEXT) | instid1(VALU_DEP_1)
	v_dual_fma_f32 v40, v38, v36, -v40 :: v_dual_fmac_f32 v41, v39, v36
	v_pk_add_f32 v[34:35], v[34:35], v[40:41]
.LBB167_827:                            ;   in Loop: Header=BB167_3 Depth=1
	s_or_b32 exec_lo, exec_lo, s10
	s_barrier_signal -1
	s_barrier_wait -1
	s_and_saveexec_b32 s10, s29
	s_cbranch_execz .LBB167_829
; %bb.828:                              ;   in Loop: Header=BB167_3 Depth=1
	ds_load_b64 v[36:37], v5 offset:31720
	s_wait_dscnt 0x0
	v_pk_mul_f32 v[38:39], v[34:35], v[36:37] op_sel:[1,1] op_sel_hi:[1,0]
	s_delay_alu instid0(VALU_DEP_1) | instskip(SKIP_1) | instid1(VALU_DEP_2)
	v_pk_fma_f32 v[40:41], v[34:35], v[36:37], v[38:39] op_sel_hi:[0,1,1]
	v_pk_fma_f32 v[36:37], v[34:35], v[36:37], v[38:39] neg_lo:[0,0,1] neg_hi:[0,0,1]
	v_mov_b32_e32 v37, v41
	s_delay_alu instid0(VALU_DEP_1)
	v_mov_b64_e32 v[34:35], v[36:37]
	ds_store_b64 v62, v[36:37]
.LBB167_829:                            ;   in Loop: Header=BB167_3 Depth=1
	s_or_b32 exec_lo, exec_lo, s10
	s_wait_dscnt 0x0
	s_barrier_signal -1
	s_barrier_wait -1
	s_and_saveexec_b32 s10, s11
	s_cbranch_execz .LBB167_831
; %bb.830:                              ;   in Loop: Header=BB167_3 Depth=1
	ds_load_b64 v[36:37], v61 offset:31616
	ds_load_b64 v[38:39], v62
	s_wait_dscnt 0x0
	v_pk_mul_f32 v[40:41], v[38:39], v[36:37] op_sel:[1,1] op_sel_hi:[0,1]
	s_delay_alu instid0(VALU_DEP_1) | instskip(SKIP_1) | instid1(VALU_DEP_2)
	v_pk_fma_f32 v[96:97], v[38:39], v[36:37], v[40:41] op_sel_hi:[1,0,1]
	v_pk_fma_f32 v[36:37], v[38:39], v[36:37], v[40:41] neg_lo:[0,0,1] neg_hi:[0,0,1]
	v_mov_b32_e32 v37, v97
	s_delay_alu instid0(VALU_DEP_1)
	v_pk_add_f32 v[34:35], v[34:35], v[36:37]
.LBB167_831:                            ;   in Loop: Header=BB167_3 Depth=1
	s_or_b32 exec_lo, exec_lo, s10
	s_barrier_signal -1
	s_barrier_wait -1
	s_and_saveexec_b32 s10, s31
	s_cbranch_execz .LBB167_833
; %bb.832:                              ;   in Loop: Header=BB167_3 Depth=1
	ds_load_b64 v[36:37], v5 offset:32240
	s_wait_dscnt 0x0
	v_pk_mul_f32 v[38:39], v[34:35], v[36:37] op_sel:[1,1] op_sel_hi:[1,0]
	s_delay_alu instid0(VALU_DEP_1) | instskip(SKIP_1) | instid1(VALU_DEP_2)
	v_pk_fma_f32 v[40:41], v[34:35], v[36:37], v[38:39] op_sel_hi:[0,1,1]
	v_pk_fma_f32 v[36:37], v[34:35], v[36:37], v[38:39] neg_lo:[0,0,1] neg_hi:[0,0,1]
	v_mov_b32_e32 v37, v41
	s_delay_alu instid0(VALU_DEP_1)
	v_mov_b64_e32 v[34:35], v[36:37]
	ds_store_b64 v62, v[36:37]
.LBB167_833:                            ;   in Loop: Header=BB167_3 Depth=1
	s_or_b32 exec_lo, exec_lo, s10
	s_wait_dscnt 0x0
	s_barrier_signal -1
	s_barrier_wait -1
	s_and_saveexec_b32 s10, s12
	s_cbranch_execz .LBB167_835
; %bb.834:                              ;   in Loop: Header=BB167_3 Depth=1
	ds_load_b64 v[36:37], v5 offset:32248
	ds_load_b64 v[38:39], v62
	s_wait_dscnt 0x0
	v_pk_mul_f32 v[40:41], v[38:39], v[36:37] op_sel:[1,1] op_sel_hi:[0,1]
	s_delay_alu instid0(VALU_DEP_1) | instskip(SKIP_1) | instid1(VALU_DEP_2)
	v_pk_fma_f32 v[96:97], v[38:39], v[36:37], v[40:41] op_sel_hi:[1,0,1]
	v_pk_fma_f32 v[36:37], v[38:39], v[36:37], v[40:41] neg_lo:[0,0,1] neg_hi:[0,0,1]
	v_mov_b32_e32 v37, v97
	s_delay_alu instid0(VALU_DEP_1)
	v_pk_add_f32 v[34:35], v[34:35], v[36:37]
.LBB167_835:                            ;   in Loop: Header=BB167_3 Depth=1
	s_or_b32 exec_lo, exec_lo, s10
	s_barrier_signal -1
	s_barrier_wait -1
	s_and_saveexec_b32 s10, s12
	s_cbranch_execz .LBB167_837
; %bb.836:                              ;   in Loop: Header=BB167_3 Depth=1
	ds_load_b64 v[36:37], v5 offset:32760
	s_wait_dscnt 0x0
	v_pk_mul_f32 v[38:39], v[34:35], v[36:37] op_sel:[1,1] op_sel_hi:[1,0]
	s_delay_alu instid0(VALU_DEP_1) | instskip(SKIP_1) | instid1(VALU_DEP_2)
	v_pk_fma_f32 v[40:41], v[34:35], v[36:37], v[38:39] op_sel_hi:[0,1,1]
	v_pk_fma_f32 v[36:37], v[34:35], v[36:37], v[38:39] neg_lo:[0,0,1] neg_hi:[0,0,1]
	v_mov_b32_e32 v37, v41
	s_delay_alu instid0(VALU_DEP_1)
	v_mov_b64_e32 v[34:35], v[36:37]
	ds_store_b64 v62, v[36:37]
.LBB167_837:                            ;   in Loop: Header=BB167_3 Depth=1
	s_or_b32 exec_lo, exec_lo, s10
	s_wait_dscnt 0x0
	s_barrier_signal -1
	s_barrier_wait -1
	s_barrier_signal -1
	s_barrier_wait -1
	s_and_saveexec_b32 s10, s7
; %bb.838:                              ;   in Loop: Header=BB167_3 Depth=1
	v_pk_add_f32 v[34:35], v[34:35], 0 neg_lo:[1,1] neg_hi:[1,1]
	ds_store_b64 v63, v[34:35] offset:16768
; %bb.839:                              ;   in Loop: Header=BB167_3 Depth=1
	s_or_b32 exec_lo, exec_lo, s10
	s_wait_dscnt 0x0
	s_barrier_signal -1
	s_barrier_wait -1
	s_barrier_signal -1
	s_barrier_wait -1
	s_and_saveexec_b32 s10, s34
	s_cbranch_execz .LBB167_841
; %bb.840:                              ;   in Loop: Header=BB167_3 Depth=1
	ds_load_b64 v[34:35], v48 offset:16768
	s_wait_dscnt 0x0
	ds_store_b64 v53, v[34:35] offset:24832
	ds_load_b64 v[34:35], v48 offset:16776
	s_wait_dscnt 0x0
	ds_store_b64 v53, v[34:35] offset:25344
	;; [unrolled: 3-line block ×16, first 2 shown]
.LBB167_841:                            ;   in Loop: Header=BB167_3 Depth=1
	s_or_b32 exec_lo, exec_lo, s10
	s_wait_dscnt 0x0
	s_barrier_signal -1
	s_barrier_wait -1
	s_and_saveexec_b32 s10, s15
	s_cbranch_execz .LBB167_843
; %bb.842:                              ;   in Loop: Header=BB167_3 Depth=1
	ds_load_b128 v[34:37], v5 offset:24960
	ds_load_b64 v[38:39], v5 offset:25480
	s_wait_dscnt 0x1
	v_dual_mov_b32 v96, v37 :: v_dual_mov_b32 v97, v36
	s_wait_dscnt 0x0
	v_dual_mul_f32 v41, v39, v35 :: v_dual_mul_f32 v40, v38, v35
	s_delay_alu instid0(VALU_DEP_1) | instskip(NEXT) | instid1(VALU_DEP_1)
	v_xor_b32_e32 v98, 0x80000000, v41
	v_dual_fmac_f32 v40, v39, v34 :: v_dual_fmac_f32 v98, v38, v34
	s_delay_alu instid0(VALU_DEP_1) | instskip(NEXT) | instid1(VALU_DEP_1)
	v_pk_mul_f32 v[34:35], v[40:41], v[96:97] op_sel_hi:[0,1]
	v_pk_fma_f32 v[38:39], v[98:99], v[36:37], v[34:35] op_sel_hi:[0,1,1]
	v_pk_fma_f32 v[34:35], v[98:99], v[36:37], v[34:35] neg_lo:[0,0,1] neg_hi:[0,0,1]
	v_add_nc_u32_e64 v36, 0x6000, 0
	s_delay_alu instid0(VALU_DEP_3)
	v_mov_b32_e32 v35, v39
	ds_store_2addr_b64 v36, v[34:35], v[34:35] offset0:49 offset1:112
.LBB167_843:                            ;   in Loop: Header=BB167_3 Depth=1
	s_or_b32 exec_lo, exec_lo, s10
	v_mov_b32_e32 v35, 0
	s_wait_dscnt 0x0
	s_barrier_signal -1
	s_barrier_wait -1
	s_delay_alu instid0(VALU_DEP_1)
	v_mov_b32_e32 v34, v35
	s_and_saveexec_b32 s10, s3
	s_cbranch_execz .LBB167_847
; %bb.844:                              ;   in Loop: Header=BB167_3 Depth=1
	ds_load_b64 v[34:35], v43 offset:24976
	ds_load_b64 v[36:37], v44 offset:24960
	s_wait_dscnt 0x0
	v_dual_mul_f32 v38, v37, v35 :: v_dual_mul_f32 v39, v36, v35
	s_delay_alu instid0(VALU_DEP_1) | instskip(NEXT) | instid1(VALU_DEP_1)
	v_dual_fma_f32 v38, v36, v34, -v38 :: v_dual_fmac_f32 v39, v37, v34
	v_pk_add_f32 v[34:35], v[38:39], 0 op_sel_hi:[1,0]
	s_and_saveexec_b32 s56, s16
	s_cbranch_execz .LBB167_846
; %bb.845:                              ;   in Loop: Header=BB167_3 Depth=1
	ds_load_b64 v[36:37], v45 offset:25488
	ds_load_b64 v[38:39], v5 offset:24968
	s_wait_dscnt 0x0
	v_pk_mul_f32 v[40:41], v[38:39], v[36:37] op_sel:[1,1] op_sel_hi:[0,1]
	s_delay_alu instid0(VALU_DEP_1) | instskip(SKIP_1) | instid1(VALU_DEP_2)
	v_pk_fma_f32 v[96:97], v[38:39], v[36:37], v[40:41] op_sel_hi:[1,0,1]
	v_pk_fma_f32 v[36:37], v[38:39], v[36:37], v[40:41] neg_lo:[0,0,1] neg_hi:[0,0,1]
	v_mov_b32_e32 v37, v97
	s_delay_alu instid0(VALU_DEP_1)
	v_pk_add_f32 v[34:35], v[34:35], v[36:37]
.LBB167_846:                            ;   in Loop: Header=BB167_3 Depth=1
	s_or_b32 exec_lo, exec_lo, s56
	s_delay_alu instid0(VALU_DEP_1)
	v_pk_add_f32 v[34:35], v[34:35], 0 neg_lo:[1,1] neg_hi:[1,1]
.LBB167_847:                            ;   in Loop: Header=BB167_3 Depth=1
	s_or_b32 exec_lo, exec_lo, s10
	s_and_saveexec_b32 s10, s95
	s_cbranch_execz .LBB167_849
; %bb.848:                              ;   in Loop: Header=BB167_3 Depth=1
	ds_load_b64 v[36:37], v5 offset:26000
	s_wait_dscnt 0x0
	v_pk_mul_f32 v[38:39], v[34:35], v[36:37] op_sel:[1,1] op_sel_hi:[1,0]
	s_delay_alu instid0(VALU_DEP_1) | instskip(SKIP_1) | instid1(VALU_DEP_2)
	v_pk_fma_f32 v[40:41], v[34:35], v[36:37], v[38:39] op_sel_hi:[0,1,1]
	v_pk_fma_f32 v[36:37], v[34:35], v[36:37], v[38:39] neg_lo:[0,0,1] neg_hi:[0,0,1]
	v_mov_b32_e32 v37, v41
	s_delay_alu instid0(VALU_DEP_1)
	v_mov_b64_e32 v[34:35], v[36:37]
	ds_store_b64 v3, v[36:37]
.LBB167_849:                            ;   in Loop: Header=BB167_3 Depth=1
	s_or_b32 exec_lo, exec_lo, s10
	s_wait_dscnt 0x0
	s_barrier_signal -1
	s_barrier_wait -1
	s_and_saveexec_b32 s10, s96
	s_cbranch_execz .LBB167_851
; %bb.850:                              ;   in Loop: Header=BB167_3 Depth=1
	ds_load_b64 v[36:37], v5 offset:26008
	ds_load_b64 v[38:39], v3
	s_wait_dscnt 0x0
	v_pk_mul_f32 v[40:41], v[38:39], v[36:37] op_sel:[1,1] op_sel_hi:[0,1]
	s_delay_alu instid0(VALU_DEP_1) | instskip(SKIP_1) | instid1(VALU_DEP_2)
	v_pk_fma_f32 v[96:97], v[38:39], v[36:37], v[40:41] op_sel_hi:[1,0,1]
	v_pk_fma_f32 v[36:37], v[38:39], v[36:37], v[40:41] neg_lo:[0,0,1] neg_hi:[0,0,1]
	v_mov_b32_e32 v37, v97
	s_delay_alu instid0(VALU_DEP_1)
	v_pk_add_f32 v[34:35], v[34:35], v[36:37]
.LBB167_851:                            ;   in Loop: Header=BB167_3 Depth=1
	s_or_b32 exec_lo, exec_lo, s10
	s_barrier_signal -1
	s_barrier_wait -1
	s_and_saveexec_b32 s10, s96
	s_cbranch_execz .LBB167_853
; %bb.852:                              ;   in Loop: Header=BB167_3 Depth=1
	ds_load_b64 v[36:37], v5 offset:26520
	s_wait_dscnt 0x0
	v_pk_mul_f32 v[38:39], v[34:35], v[36:37] op_sel:[1,1] op_sel_hi:[1,0]
	s_delay_alu instid0(VALU_DEP_1) | instskip(SKIP_1) | instid1(VALU_DEP_2)
	v_pk_fma_f32 v[40:41], v[34:35], v[36:37], v[38:39] op_sel_hi:[0,1,1]
	v_pk_fma_f32 v[36:37], v[34:35], v[36:37], v[38:39] neg_lo:[0,0,1] neg_hi:[0,0,1]
	v_mov_b32_e32 v37, v41
	s_delay_alu instid0(VALU_DEP_1)
	v_mov_b64_e32 v[34:35], v[36:37]
	ds_store_b64 v3, v[36:37]
.LBB167_853:                            ;   in Loop: Header=BB167_3 Depth=1
	s_or_b32 exec_lo, exec_lo, s10
	s_wait_dscnt 0x0
	s_barrier_signal -1
	s_barrier_wait -1
	s_barrier_signal -1
	s_barrier_wait -1
	s_and_saveexec_b32 s10, s3
; %bb.854:                              ;   in Loop: Header=BB167_3 Depth=1
	v_pk_add_f32 v[34:35], v[34:35], 0 neg_lo:[1,1] neg_hi:[1,1]
	ds_store_b64 v43, v[34:35] offset:24976
; %bb.855:                              ;   in Loop: Header=BB167_3 Depth=1
	s_or_b32 exec_lo, exec_lo, s10
	s_wait_dscnt 0x0
	s_barrier_signal -1
	s_barrier_wait -1
	s_barrier_signal -1
	s_barrier_wait -1
	s_and_saveexec_b32 s10, s97
	s_cbranch_execz .LBB167_857
; %bb.856:                              ;   in Loop: Header=BB167_3 Depth=1
	ds_load_b64 v[34:35], v48 offset:24976
	s_wait_dscnt 0x0
	ds_store_b64 v45, v[34:35] offset:25984
	ds_load_b64 v[34:35], v48 offset:24984
	s_wait_dscnt 0x0
	ds_store_b64 v45, v[34:35] offset:26496
.LBB167_857:                            ;   in Loop: Header=BB167_3 Depth=1
	s_or_b32 exec_lo, exec_lo, s10
	s_wait_dscnt 0x0
	s_barrier_signal -1
	s_barrier_wait -1
	s_and_saveexec_b32 s10, s15
	s_cbranch_execz .LBB167_859
; %bb.858:                              ;   in Loop: Header=BB167_3 Depth=1
	ds_load_b128 v[34:37], v5 offset:26000
	ds_load_b64 v[38:39], v5 offset:26520
	s_wait_dscnt 0x1
	v_dual_mov_b32 v96, v37 :: v_dual_mov_b32 v97, v36
	s_wait_dscnt 0x0
	v_dual_mul_f32 v41, v39, v35 :: v_dual_mul_f32 v40, v38, v35
	s_delay_alu instid0(VALU_DEP_1) | instskip(NEXT) | instid1(VALU_DEP_1)
	v_xor_b32_e32 v98, 0x80000000, v41
	v_dual_fmac_f32 v40, v39, v34 :: v_dual_fmac_f32 v98, v38, v34
	s_delay_alu instid0(VALU_DEP_1) | instskip(NEXT) | instid1(VALU_DEP_1)
	v_pk_mul_f32 v[34:35], v[40:41], v[96:97] op_sel_hi:[0,1]
	v_pk_fma_f32 v[38:39], v[98:99], v[36:37], v[34:35] op_sel_hi:[0,1,1]
	v_pk_fma_f32 v[34:35], v[98:99], v[36:37], v[34:35] neg_lo:[0,0,1] neg_hi:[0,0,1]
	v_add_nc_u32_e64 v36, 0x6000, 0
	s_delay_alu instid0(VALU_DEP_3)
	v_mov_b32_e32 v35, v39
	ds_store_2addr_b64 v36, v[34:35], v[34:35] offset0:179 offset1:242
.LBB167_859:                            ;   in Loop: Header=BB167_3 Depth=1
	s_or_b32 exec_lo, exec_lo, s10
	v_mov_b32_e32 v34, 0
	s_wait_dscnt 0x0
	s_barrier_signal -1
	s_barrier_wait -1
	s_delay_alu instid0(VALU_DEP_1)
	v_mov_b32_e32 v35, v34
	s_and_saveexec_b32 s10, s5
	s_cbranch_execz .LBB167_865
; %bb.860:                              ;   in Loop: Header=BB167_3 Depth=1
	ds_load_b64 v[34:35], v50 offset:24992
	ds_load_b64 v[36:37], v46 offset:24960
	s_wait_dscnt 0x0
	v_pk_mul_f32 v[38:39], v[36:37], v[34:35] op_sel:[0,1]
	s_delay_alu instid0(VALU_DEP_1) | instskip(SKIP_1) | instid1(VALU_DEP_2)
	v_pk_fma_f32 v[40:41], v[36:37], v[34:35], v[38:39] op_sel:[1,0,0] op_sel_hi:[0,0,1] neg_lo:[0,0,1] neg_hi:[0,0,1]
	v_pk_fma_f32 v[34:35], v[36:37], v[34:35], v[38:39] op_sel:[1,0,0] op_sel_hi:[0,1,1]
	v_mov_b32_e32 v35, v41
	s_delay_alu instid0(VALU_DEP_1)
	v_pk_add_f32 v[34:35], v[34:35], 0 op_sel_hi:[1,0]
	s_and_saveexec_b32 s56, s17
	s_cbranch_execnz .LBB167_1150
; %bb.861:                              ;   in Loop: Header=BB167_3 Depth=1
	s_or_b32 exec_lo, exec_lo, s56
	s_and_saveexec_b32 s56, s18
	s_cbranch_execnz .LBB167_1151
.LBB167_862:                            ;   in Loop: Header=BB167_3 Depth=1
	s_or_b32 exec_lo, exec_lo, s56
	s_and_saveexec_b32 s56, s3
	s_cbranch_execz .LBB167_864
.LBB167_863:                            ;   in Loop: Header=BB167_3 Depth=1
	ds_load_b64 v[36:37], v53 offset:26528
	ds_load_b64 v[38:39], v5 offset:24984
	s_wait_dscnt 0x0
	v_pk_mul_f32 v[40:41], v[38:39], v[36:37] op_sel:[0,1]
	s_delay_alu instid0(VALU_DEP_1) | instskip(SKIP_1) | instid1(VALU_DEP_2)
	v_pk_fma_f32 v[96:97], v[38:39], v[36:37], v[40:41] op_sel:[1,0,0] op_sel_hi:[0,0,1] neg_lo:[0,0,1] neg_hi:[0,0,1]
	v_pk_fma_f32 v[36:37], v[38:39], v[36:37], v[40:41] op_sel:[1,0,0] op_sel_hi:[0,1,1]
	v_mov_b32_e32 v37, v97
	s_delay_alu instid0(VALU_DEP_1)
	v_pk_add_f32 v[34:35], v[34:35], v[36:37]
.LBB167_864:                            ;   in Loop: Header=BB167_3 Depth=1
	s_or_b32 exec_lo, exec_lo, s56
	s_delay_alu instid0(VALU_DEP_1) | instskip(NEXT) | instid1(VALU_DEP_1)
	v_pk_add_f32 v[36:37], v[34:35], 0 neg_lo:[1,1] neg_hi:[1,1]
	v_dual_mov_b32 v34, v37 :: v_dual_mov_b32 v35, v36
.LBB167_865:                            ;   in Loop: Header=BB167_3 Depth=1
	s_or_b32 exec_lo, exec_lo, s10
	s_and_saveexec_b32 s10, s98
	s_cbranch_execz .LBB167_867
; %bb.866:                              ;   in Loop: Header=BB167_3 Depth=1
	ds_load_b64 v[36:37], v5 offset:27040
	v_dual_mov_b32 v38, v35 :: v_dual_mov_b32 v39, v34
	s_wait_dscnt 0x0
	s_delay_alu instid0(VALU_DEP_1) | instskip(NEXT) | instid1(VALU_DEP_1)
	v_dual_mul_f32 v40, v38, v36 :: v_dual_mul_f32 v96, v35, v37
	v_pk_fma_f32 v[38:39], v[38:39], v[36:37], v[40:41] op_sel_hi:[1,1,0]
	s_delay_alu instid0(VALU_DEP_2) | instskip(NEXT) | instid1(VALU_DEP_2)
	v_pk_fma_f32 v[34:35], v[34:35], v[36:37], v[96:97] op_sel_hi:[1,1,0] neg_lo:[0,0,1] neg_hi:[0,0,1]
	v_mov_b32_e32 v35, v39
	ds_store_b64 v49, v[34:35]
.LBB167_867:                            ;   in Loop: Header=BB167_3 Depth=1
	s_or_b32 exec_lo, exec_lo, s10
	s_wait_dscnt 0x0
	s_barrier_signal -1
	s_barrier_wait -1
	s_and_saveexec_b32 s10, s99
	s_cbranch_execz .LBB167_869
; %bb.868:                              ;   in Loop: Header=BB167_3 Depth=1
	ds_load_b64 v[36:37], v47 offset:27040
	ds_load_b64 v[38:39], v49
	s_wait_dscnt 0x0
	v_dual_mul_f32 v40, v39, v37 :: v_dual_mul_f32 v41, v38, v37
	s_delay_alu instid0(VALU_DEP_1) | instskip(NEXT) | instid1(VALU_DEP_1)
	v_dual_fma_f32 v40, v38, v36, -v40 :: v_dual_fmac_f32 v41, v39, v36
	v_pk_add_f32 v[34:35], v[34:35], v[40:41]
.LBB167_869:                            ;   in Loop: Header=BB167_3 Depth=1
	s_or_b32 exec_lo, exec_lo, s10
	s_barrier_signal -1
	s_barrier_wait -1
	s_and_saveexec_b32 s10, s100
	s_cbranch_execz .LBB167_871
; %bb.870:                              ;   in Loop: Header=BB167_3 Depth=1
	ds_load_b64 v[36:37], v5 offset:27560
	s_wait_dscnt 0x0
	v_pk_mul_f32 v[38:39], v[34:35], v[36:37] op_sel:[1,1] op_sel_hi:[1,0]
	s_delay_alu instid0(VALU_DEP_1) | instskip(SKIP_1) | instid1(VALU_DEP_2)
	v_pk_fma_f32 v[40:41], v[34:35], v[36:37], v[38:39] op_sel_hi:[0,1,1]
	v_pk_fma_f32 v[36:37], v[34:35], v[36:37], v[38:39] neg_lo:[0,0,1] neg_hi:[0,0,1]
	v_mov_b32_e32 v37, v41
	s_delay_alu instid0(VALU_DEP_1)
	v_mov_b64_e32 v[34:35], v[36:37]
	ds_store_b64 v49, v[36:37]
.LBB167_871:                            ;   in Loop: Header=BB167_3 Depth=1
	s_or_b32 exec_lo, exec_lo, s10
	s_wait_dscnt 0x0
	s_barrier_signal -1
	s_barrier_wait -1
	s_and_saveexec_b32 s10, s101
	s_cbranch_execz .LBB167_873
; %bb.872:                              ;   in Loop: Header=BB167_3 Depth=1
	ds_load_b64 v[36:37], v47 offset:27552
	ds_load_b64 v[38:39], v49
	s_wait_dscnt 0x0
	v_pk_mul_f32 v[40:41], v[38:39], v[36:37] op_sel:[1,1] op_sel_hi:[0,1]
	s_delay_alu instid0(VALU_DEP_1) | instskip(SKIP_1) | instid1(VALU_DEP_2)
	v_pk_fma_f32 v[96:97], v[38:39], v[36:37], v[40:41] op_sel_hi:[1,0,1]
	v_pk_fma_f32 v[36:37], v[38:39], v[36:37], v[40:41] neg_lo:[0,0,1] neg_hi:[0,0,1]
	v_mov_b32_e32 v37, v97
	s_delay_alu instid0(VALU_DEP_1)
	v_pk_add_f32 v[34:35], v[34:35], v[36:37]
.LBB167_873:                            ;   in Loop: Header=BB167_3 Depth=1
	s_or_b32 exec_lo, exec_lo, s10
	s_barrier_signal -1
	s_barrier_wait -1
	s_and_saveexec_b32 s10, s102
	s_cbranch_execz .LBB167_875
; %bb.874:                              ;   in Loop: Header=BB167_3 Depth=1
	ds_load_b64 v[36:37], v5 offset:28080
	s_wait_dscnt 0x0
	v_pk_mul_f32 v[38:39], v[34:35], v[36:37] op_sel:[1,1] op_sel_hi:[1,0]
	s_delay_alu instid0(VALU_DEP_1) | instskip(SKIP_1) | instid1(VALU_DEP_2)
	v_pk_fma_f32 v[40:41], v[34:35], v[36:37], v[38:39] op_sel_hi:[0,1,1]
	v_pk_fma_f32 v[36:37], v[34:35], v[36:37], v[38:39] neg_lo:[0,0,1] neg_hi:[0,0,1]
	v_mov_b32_e32 v37, v41
	s_delay_alu instid0(VALU_DEP_1)
	v_mov_b64_e32 v[34:35], v[36:37]
	ds_store_b64 v49, v[36:37]
.LBB167_875:                            ;   in Loop: Header=BB167_3 Depth=1
	s_or_b32 exec_lo, exec_lo, s10
	s_wait_dscnt 0x0
	s_barrier_signal -1
	s_barrier_wait -1
	s_and_saveexec_b32 s10, s103
	s_cbranch_execz .LBB167_877
; %bb.876:                              ;   in Loop: Header=BB167_3 Depth=1
	ds_load_b64 v[36:37], v5 offset:28088
	ds_load_b64 v[38:39], v49
	s_wait_dscnt 0x0
	v_pk_mul_f32 v[40:41], v[38:39], v[36:37] op_sel:[1,1] op_sel_hi:[0,1]
	s_delay_alu instid0(VALU_DEP_1) | instskip(SKIP_1) | instid1(VALU_DEP_2)
	v_pk_fma_f32 v[96:97], v[38:39], v[36:37], v[40:41] op_sel_hi:[1,0,1]
	v_pk_fma_f32 v[36:37], v[38:39], v[36:37], v[40:41] neg_lo:[0,0,1] neg_hi:[0,0,1]
	v_mov_b32_e32 v37, v97
	s_delay_alu instid0(VALU_DEP_1)
	v_pk_add_f32 v[34:35], v[34:35], v[36:37]
.LBB167_877:                            ;   in Loop: Header=BB167_3 Depth=1
	s_or_b32 exec_lo, exec_lo, s10
	s_barrier_signal -1
	s_barrier_wait -1
	s_and_saveexec_b32 s10, s103
	s_cbranch_execz .LBB167_879
; %bb.878:                              ;   in Loop: Header=BB167_3 Depth=1
	ds_load_b64 v[36:37], v5 offset:28600
	s_wait_dscnt 0x0
	v_pk_mul_f32 v[38:39], v[34:35], v[36:37] op_sel:[1,1] op_sel_hi:[1,0]
	s_delay_alu instid0(VALU_DEP_1) | instskip(SKIP_1) | instid1(VALU_DEP_2)
	v_pk_fma_f32 v[40:41], v[34:35], v[36:37], v[38:39] op_sel_hi:[0,1,1]
	v_pk_fma_f32 v[36:37], v[34:35], v[36:37], v[38:39] neg_lo:[0,0,1] neg_hi:[0,0,1]
	v_mov_b32_e32 v37, v41
	s_delay_alu instid0(VALU_DEP_1)
	v_mov_b64_e32 v[34:35], v[36:37]
	ds_store_b64 v49, v[36:37]
.LBB167_879:                            ;   in Loop: Header=BB167_3 Depth=1
	s_or_b32 exec_lo, exec_lo, s10
	s_wait_dscnt 0x0
	s_barrier_signal -1
	s_barrier_wait -1
	s_barrier_signal -1
	s_barrier_wait -1
	s_and_saveexec_b32 s10, s5
; %bb.880:                              ;   in Loop: Header=BB167_3 Depth=1
	v_pk_add_f32 v[34:35], v[34:35], 0 neg_lo:[1,1] neg_hi:[1,1]
	ds_store_b64 v50, v[34:35] offset:24992
; %bb.881:                              ;   in Loop: Header=BB167_3 Depth=1
	s_or_b32 exec_lo, exec_lo, s10
	s_wait_dscnt 0x0
	s_barrier_signal -1
	s_barrier_wait -1
	s_barrier_signal -1
	s_barrier_wait -1
	s_and_saveexec_b32 s10, s104
	s_cbranch_execz .LBB167_883
; %bb.882:                              ;   in Loop: Header=BB167_3 Depth=1
	ds_load_b64 v[34:35], v55 offset:24992
	s_wait_dscnt 0x0
	ds_store_b64 v68, v[34:35] offset:27008
	ds_load_b64 v[34:35], v55 offset:25000
	s_wait_dscnt 0x0
	ds_store_b64 v68, v[34:35] offset:27520
	;; [unrolled: 3-line block ×4, first 2 shown]
.LBB167_883:                            ;   in Loop: Header=BB167_3 Depth=1
	s_or_b32 exec_lo, exec_lo, s10
	s_wait_dscnt 0x0
	s_barrier_signal -1
	s_barrier_wait -1
	s_and_saveexec_b32 s10, s15
	s_cbranch_execz .LBB167_885
; %bb.884:                              ;   in Loop: Header=BB167_3 Depth=1
	ds_load_b128 v[34:37], v5 offset:27040
	ds_load_b64 v[38:39], v5 offset:27560
	s_wait_dscnt 0x1
	v_dual_mov_b32 v96, v37 :: v_dual_mov_b32 v97, v36
	s_wait_dscnt 0x0
	v_dual_mul_f32 v41, v39, v35 :: v_dual_mul_f32 v40, v38, v35
	s_delay_alu instid0(VALU_DEP_1) | instskip(NEXT) | instid1(VALU_DEP_1)
	v_xor_b32_e32 v98, 0x80000000, v41
	v_dual_fmac_f32 v40, v39, v34 :: v_dual_fmac_f32 v98, v38, v34
	s_delay_alu instid0(VALU_DEP_1) | instskip(NEXT) | instid1(VALU_DEP_1)
	v_pk_mul_f32 v[34:35], v[40:41], v[96:97] op_sel_hi:[0,1]
	v_pk_fma_f32 v[38:39], v[98:99], v[36:37], v[34:35] op_sel_hi:[0,1,1]
	v_pk_fma_f32 v[34:35], v[98:99], v[36:37], v[34:35] neg_lo:[0,0,1] neg_hi:[0,0,1]
	v_add_nc_u32_e64 v36, 0x6800, 0
	s_delay_alu instid0(VALU_DEP_3)
	v_mov_b32_e32 v35, v39
	ds_store_2addr_b64 v36, v[34:35], v[34:35] offset0:53 offset1:116
.LBB167_885:                            ;   in Loop: Header=BB167_3 Depth=1
	s_or_b32 exec_lo, exec_lo, s10
	v_mov_b32_e32 v35, 0
	s_wait_dscnt 0x0
	s_barrier_signal -1
	s_barrier_wait -1
	s_delay_alu instid0(VALU_DEP_1)
	v_mov_b32_e32 v34, v35
	s_and_saveexec_b32 s10, s3
	s_cbranch_execz .LBB167_889
; %bb.886:                              ;   in Loop: Header=BB167_3 Depth=1
	ds_load_b64 v[34:35], v43 offset:27056
	ds_load_b64 v[36:37], v44 offset:27040
	s_wait_dscnt 0x0
	v_dual_mul_f32 v38, v37, v35 :: v_dual_mul_f32 v39, v36, v35
	s_delay_alu instid0(VALU_DEP_1) | instskip(NEXT) | instid1(VALU_DEP_1)
	v_dual_fma_f32 v38, v36, v34, -v38 :: v_dual_fmac_f32 v39, v37, v34
	v_pk_add_f32 v[34:35], v[38:39], 0 op_sel_hi:[1,0]
	s_and_saveexec_b32 s56, s16
	s_cbranch_execz .LBB167_888
; %bb.887:                              ;   in Loop: Header=BB167_3 Depth=1
	ds_load_b64 v[36:37], v68 offset:27568
	ds_load_b64 v[38:39], v5 offset:27048
	s_wait_dscnt 0x0
	v_pk_mul_f32 v[40:41], v[38:39], v[36:37] op_sel:[1,1] op_sel_hi:[0,1]
	s_delay_alu instid0(VALU_DEP_1) | instskip(SKIP_1) | instid1(VALU_DEP_2)
	v_pk_fma_f32 v[96:97], v[38:39], v[36:37], v[40:41] op_sel_hi:[1,0,1]
	v_pk_fma_f32 v[36:37], v[38:39], v[36:37], v[40:41] neg_lo:[0,0,1] neg_hi:[0,0,1]
	v_mov_b32_e32 v37, v97
	s_delay_alu instid0(VALU_DEP_1)
	v_pk_add_f32 v[34:35], v[34:35], v[36:37]
.LBB167_888:                            ;   in Loop: Header=BB167_3 Depth=1
	s_or_b32 exec_lo, exec_lo, s56
	s_delay_alu instid0(VALU_DEP_1)
	v_pk_add_f32 v[34:35], v[34:35], 0 neg_lo:[1,1] neg_hi:[1,1]
.LBB167_889:                            ;   in Loop: Header=BB167_3 Depth=1
	s_or_b32 exec_lo, exec_lo, s10
	s_and_saveexec_b32 s10, s95
	s_cbranch_execz .LBB167_891
; %bb.890:                              ;   in Loop: Header=BB167_3 Depth=1
	ds_load_b64 v[36:37], v5 offset:28080
	s_wait_dscnt 0x0
	v_pk_mul_f32 v[38:39], v[34:35], v[36:37] op_sel:[1,1] op_sel_hi:[1,0]
	s_delay_alu instid0(VALU_DEP_1) | instskip(SKIP_1) | instid1(VALU_DEP_2)
	v_pk_fma_f32 v[40:41], v[34:35], v[36:37], v[38:39] op_sel_hi:[0,1,1]
	v_pk_fma_f32 v[36:37], v[34:35], v[36:37], v[38:39] neg_lo:[0,0,1] neg_hi:[0,0,1]
	v_mov_b32_e32 v37, v41
	s_delay_alu instid0(VALU_DEP_1)
	v_mov_b64_e32 v[34:35], v[36:37]
	ds_store_b64 v3, v[36:37]
.LBB167_891:                            ;   in Loop: Header=BB167_3 Depth=1
	s_or_b32 exec_lo, exec_lo, s10
	s_wait_dscnt 0x0
	s_barrier_signal -1
	s_barrier_wait -1
	s_and_saveexec_b32 s10, s96
	s_cbranch_execz .LBB167_893
; %bb.892:                              ;   in Loop: Header=BB167_3 Depth=1
	ds_load_b64 v[36:37], v5 offset:28088
	ds_load_b64 v[38:39], v3
	s_wait_dscnt 0x0
	v_pk_mul_f32 v[40:41], v[38:39], v[36:37] op_sel:[1,1] op_sel_hi:[0,1]
	s_delay_alu instid0(VALU_DEP_1) | instskip(SKIP_1) | instid1(VALU_DEP_2)
	v_pk_fma_f32 v[96:97], v[38:39], v[36:37], v[40:41] op_sel_hi:[1,0,1]
	v_pk_fma_f32 v[36:37], v[38:39], v[36:37], v[40:41] neg_lo:[0,0,1] neg_hi:[0,0,1]
	v_mov_b32_e32 v37, v97
	s_delay_alu instid0(VALU_DEP_1)
	v_pk_add_f32 v[34:35], v[34:35], v[36:37]
.LBB167_893:                            ;   in Loop: Header=BB167_3 Depth=1
	s_or_b32 exec_lo, exec_lo, s10
	s_barrier_signal -1
	s_barrier_wait -1
	s_and_saveexec_b32 s10, s96
	s_cbranch_execz .LBB167_895
; %bb.894:                              ;   in Loop: Header=BB167_3 Depth=1
	ds_load_b64 v[36:37], v5 offset:28600
	s_wait_dscnt 0x0
	v_pk_mul_f32 v[38:39], v[34:35], v[36:37] op_sel:[1,1] op_sel_hi:[1,0]
	s_delay_alu instid0(VALU_DEP_1) | instskip(SKIP_1) | instid1(VALU_DEP_2)
	v_pk_fma_f32 v[40:41], v[34:35], v[36:37], v[38:39] op_sel_hi:[0,1,1]
	v_pk_fma_f32 v[36:37], v[34:35], v[36:37], v[38:39] neg_lo:[0,0,1] neg_hi:[0,0,1]
	v_mov_b32_e32 v37, v41
	s_delay_alu instid0(VALU_DEP_1)
	v_mov_b64_e32 v[34:35], v[36:37]
	ds_store_b64 v3, v[36:37]
.LBB167_895:                            ;   in Loop: Header=BB167_3 Depth=1
	s_or_b32 exec_lo, exec_lo, s10
	s_wait_dscnt 0x0
	s_barrier_signal -1
	s_barrier_wait -1
	s_barrier_signal -1
	s_barrier_wait -1
	s_and_saveexec_b32 s10, s3
; %bb.896:                              ;   in Loop: Header=BB167_3 Depth=1
	v_pk_add_f32 v[34:35], v[34:35], 0 neg_lo:[1,1] neg_hi:[1,1]
	ds_store_b64 v43, v[34:35] offset:27056
; %bb.897:                              ;   in Loop: Header=BB167_3 Depth=1
	s_or_b32 exec_lo, exec_lo, s10
	s_wait_dscnt 0x0
	s_barrier_signal -1
	s_barrier_wait -1
	s_barrier_signal -1
	s_barrier_wait -1
	s_and_saveexec_b32 s10, s97
	s_cbranch_execz .LBB167_899
; %bb.898:                              ;   in Loop: Header=BB167_3 Depth=1
	ds_load_b64 v[34:35], v69 offset:27056
	s_wait_dscnt 0x0
	ds_store_b64 v68, v[34:35] offset:28064
	ds_load_b64 v[34:35], v69 offset:27064
	s_wait_dscnt 0x0
	ds_store_b64 v68, v[34:35] offset:28576
.LBB167_899:                            ;   in Loop: Header=BB167_3 Depth=1
	s_or_b32 exec_lo, exec_lo, s10
	s_wait_dscnt 0x0
	s_barrier_signal -1
	s_barrier_wait -1
	s_and_saveexec_b32 s10, s15
	s_cbranch_execz .LBB167_901
; %bb.900:                              ;   in Loop: Header=BB167_3 Depth=1
	ds_load_b128 v[34:37], v5 offset:28080
	ds_load_b64 v[38:39], v5 offset:28600
	s_wait_dscnt 0x1
	v_dual_mov_b32 v96, v37 :: v_dual_mov_b32 v97, v36
	s_wait_dscnt 0x0
	v_dual_mul_f32 v41, v39, v35 :: v_dual_mul_f32 v40, v38, v35
	s_delay_alu instid0(VALU_DEP_1) | instskip(NEXT) | instid1(VALU_DEP_1)
	v_xor_b32_e32 v98, 0x80000000, v41
	v_dual_fmac_f32 v40, v39, v34 :: v_dual_fmac_f32 v98, v38, v34
	s_delay_alu instid0(VALU_DEP_1) | instskip(NEXT) | instid1(VALU_DEP_1)
	v_pk_mul_f32 v[34:35], v[40:41], v[96:97] op_sel_hi:[0,1]
	v_pk_fma_f32 v[38:39], v[98:99], v[36:37], v[34:35] op_sel_hi:[0,1,1]
	v_pk_fma_f32 v[34:35], v[98:99], v[36:37], v[34:35] neg_lo:[0,0,1] neg_hi:[0,0,1]
	v_add_nc_u32_e64 v36, 0x6800, 0
	s_delay_alu instid0(VALU_DEP_3)
	v_mov_b32_e32 v35, v39
	ds_store_2addr_b64 v36, v[34:35], v[34:35] offset0:183 offset1:246
.LBB167_901:                            ;   in Loop: Header=BB167_3 Depth=1
	s_or_b32 exec_lo, exec_lo, s10
	v_mov_b32_e32 v34, 0
	s_wait_dscnt 0x0
	s_barrier_signal -1
	s_barrier_wait -1
	s_delay_alu instid0(VALU_DEP_1)
	v_mov_b32_e32 v35, v34
	s_and_saveexec_b32 s10, s6
	s_cbranch_execz .LBB167_911
; %bb.902:                              ;   in Loop: Header=BB167_3 Depth=1
	ds_load_b64 v[34:35], v58 offset:25024
	ds_load_b64 v[36:37], v54 offset:24960
	s_wait_dscnt 0x0
	v_dual_mul_f32 v38, v37, v35 :: v_dual_mul_f32 v39, v36, v35
	s_delay_alu instid0(VALU_DEP_1) | instskip(NEXT) | instid1(VALU_DEP_1)
	v_dual_fma_f32 v35, v36, v34, -v38 :: v_dual_fmac_f32 v39, v37, v34
	v_add_f32_e32 v35, 0, v35
	s_delay_alu instid0(VALU_DEP_2)
	v_add_f32_e32 v34, 0, v39
	s_and_saveexec_b32 s56, s19
	s_cbranch_execnz .LBB167_1152
; %bb.903:                              ;   in Loop: Header=BB167_3 Depth=1
	s_or_b32 exec_lo, exec_lo, s56
	s_and_saveexec_b32 s56, s20
	s_cbranch_execnz .LBB167_1153
.LBB167_904:                            ;   in Loop: Header=BB167_3 Depth=1
	s_or_b32 exec_lo, exec_lo, s56
	s_and_saveexec_b32 s56, s21
	s_cbranch_execnz .LBB167_1154
.LBB167_905:                            ;   in Loop: Header=BB167_3 Depth=1
	s_or_b32 exec_lo, exec_lo, s56
	s_and_saveexec_b32 s56, s22
	s_cbranch_execnz .LBB167_1155
.LBB167_906:                            ;   in Loop: Header=BB167_3 Depth=1
	s_or_b32 exec_lo, exec_lo, s56
	s_and_saveexec_b32 s56, s23
	s_cbranch_execnz .LBB167_1156
.LBB167_907:                            ;   in Loop: Header=BB167_3 Depth=1
	s_or_b32 exec_lo, exec_lo, s56
	s_and_saveexec_b32 s56, s5
	s_cbranch_execnz .LBB167_1157
.LBB167_908:                            ;   in Loop: Header=BB167_3 Depth=1
	s_or_b32 exec_lo, exec_lo, s56
	s_and_saveexec_b32 s56, s18
	s_cbranch_execz .LBB167_910
.LBB167_909:                            ;   in Loop: Header=BB167_3 Depth=1
	ds_load_b64 v[36:37], v70 offset:28608
	ds_load_b64 v[38:39], v5 offset:25016
	s_wait_dscnt 0x0
	v_pk_mul_f32 v[40:41], v[38:39], v[36:37] op_sel:[0,1]
	s_delay_alu instid0(VALU_DEP_1) | instskip(SKIP_1) | instid1(VALU_DEP_2)
	v_pk_fma_f32 v[96:97], v[38:39], v[36:37], v[40:41] op_sel:[1,0,0] op_sel_hi:[0,0,1] neg_lo:[0,0,1] neg_hi:[0,0,1]
	v_pk_fma_f32 v[36:37], v[38:39], v[36:37], v[40:41] op_sel:[1,0,0] op_sel_hi:[0,1,1]
	v_mov_b32_e32 v37, v97
	s_delay_alu instid0(VALU_DEP_1)
	v_pk_add_f32 v[34:35], v[34:35], v[36:37]
.LBB167_910:                            ;   in Loop: Header=BB167_3 Depth=1
	s_or_b32 exec_lo, exec_lo, s56
	s_delay_alu instid0(VALU_DEP_1) | instskip(NEXT) | instid1(VALU_DEP_1)
	v_pk_add_f32 v[36:37], v[34:35], 0 neg_lo:[1,1] neg_hi:[1,1]
	v_dual_mov_b32 v34, v37 :: v_dual_mov_b32 v35, v36
.LBB167_911:                            ;   in Loop: Header=BB167_3 Depth=1
	s_or_b32 exec_lo, exec_lo, s10
	s_and_saveexec_b32 s10, vcc_hi
	s_cbranch_execz .LBB167_913
; %bb.912:                              ;   in Loop: Header=BB167_3 Depth=1
	ds_load_b64 v[36:37], v5 offset:29120
	v_dual_mov_b32 v38, v35 :: v_dual_mov_b32 v39, v34
	s_wait_dscnt 0x0
	s_delay_alu instid0(VALU_DEP_1) | instskip(NEXT) | instid1(VALU_DEP_1)
	v_dual_mul_f32 v40, v38, v36 :: v_dual_mul_f32 v96, v35, v37
	v_pk_fma_f32 v[38:39], v[38:39], v[36:37], v[40:41] op_sel_hi:[1,1,0]
	s_delay_alu instid0(VALU_DEP_2) | instskip(NEXT) | instid1(VALU_DEP_2)
	v_pk_fma_f32 v[34:35], v[34:35], v[36:37], v[96:97] op_sel_hi:[1,1,0] neg_lo:[0,0,1] neg_hi:[0,0,1]
	v_mov_b32_e32 v35, v39
	ds_store_b64 v57, v[34:35]
.LBB167_913:                            ;   in Loop: Header=BB167_3 Depth=1
	s_or_b32 exec_lo, exec_lo, s10
	s_wait_dscnt 0x0
	s_barrier_signal -1
	s_barrier_wait -1
	s_and_saveexec_b32 s10, s39
	s_cbranch_execz .LBB167_915
; %bb.914:                              ;   in Loop: Header=BB167_3 Depth=1
	ds_load_b64 v[36:37], v56 offset:29120
	ds_load_b64 v[38:39], v57
	s_wait_dscnt 0x0
	v_dual_mul_f32 v40, v39, v37 :: v_dual_mul_f32 v41, v38, v37
	s_delay_alu instid0(VALU_DEP_1) | instskip(NEXT) | instid1(VALU_DEP_1)
	v_dual_fma_f32 v40, v38, v36, -v40 :: v_dual_fmac_f32 v41, v39, v36
	v_pk_add_f32 v[34:35], v[34:35], v[40:41]
.LBB167_915:                            ;   in Loop: Header=BB167_3 Depth=1
	s_or_b32 exec_lo, exec_lo, s10
	s_barrier_signal -1
	s_barrier_wait -1
	s_and_saveexec_b32 s10, s40
	s_cbranch_execz .LBB167_917
; %bb.916:                              ;   in Loop: Header=BB167_3 Depth=1
	ds_load_b64 v[36:37], v5 offset:29640
	s_wait_dscnt 0x0
	v_pk_mul_f32 v[38:39], v[34:35], v[36:37] op_sel:[1,1] op_sel_hi:[1,0]
	s_delay_alu instid0(VALU_DEP_1) | instskip(SKIP_1) | instid1(VALU_DEP_2)
	v_pk_fma_f32 v[40:41], v[34:35], v[36:37], v[38:39] op_sel_hi:[0,1,1]
	v_pk_fma_f32 v[34:35], v[34:35], v[36:37], v[38:39] op_sel_hi:[0,1,1] neg_lo:[0,0,1] neg_hi:[0,0,1]
	v_mov_b32_e32 v35, v41
	ds_store_b64 v57, v[34:35]
.LBB167_917:                            ;   in Loop: Header=BB167_3 Depth=1
	s_or_b32 exec_lo, exec_lo, s10
	s_wait_dscnt 0x0
	s_barrier_signal -1
	s_barrier_wait -1
	s_and_saveexec_b32 s10, s41
	s_cbranch_execz .LBB167_919
; %bb.918:                              ;   in Loop: Header=BB167_3 Depth=1
	ds_load_b64 v[36:37], v56 offset:29632
	ds_load_b64 v[38:39], v57
	s_wait_dscnt 0x0
	v_pk_mul_f32 v[40:41], v[38:39], v[36:37] op_sel:[1,1] op_sel_hi:[0,1]
	s_delay_alu instid0(VALU_DEP_1) | instskip(SKIP_1) | instid1(VALU_DEP_2)
	v_pk_fma_f32 v[96:97], v[38:39], v[36:37], v[40:41] op_sel_hi:[1,0,1]
	v_pk_fma_f32 v[36:37], v[38:39], v[36:37], v[40:41] op_sel_hi:[1,0,1] neg_lo:[0,0,1] neg_hi:[0,0,1]
	v_mov_b32_e32 v37, v97
	s_delay_alu instid0(VALU_DEP_1)
	v_pk_add_f32 v[34:35], v[34:35], v[36:37]
.LBB167_919:                            ;   in Loop: Header=BB167_3 Depth=1
	s_or_b32 exec_lo, exec_lo, s10
	s_barrier_signal -1
	s_barrier_wait -1
	s_and_saveexec_b32 s10, s42
	s_cbranch_execz .LBB167_921
; %bb.920:                              ;   in Loop: Header=BB167_3 Depth=1
	ds_load_b64 v[36:37], v5 offset:30160
	s_wait_dscnt 0x0
	v_pk_mul_f32 v[38:39], v[34:35], v[36:37] op_sel:[1,1] op_sel_hi:[1,0]
	s_delay_alu instid0(VALU_DEP_1) | instskip(SKIP_1) | instid1(VALU_DEP_2)
	v_pk_fma_f32 v[40:41], v[34:35], v[36:37], v[38:39] op_sel_hi:[0,1,1]
	v_pk_fma_f32 v[34:35], v[34:35], v[36:37], v[38:39] op_sel_hi:[0,1,1] neg_lo:[0,0,1] neg_hi:[0,0,1]
	v_mov_b32_e32 v35, v41
	ds_store_b64 v57, v[34:35]
.LBB167_921:                            ;   in Loop: Header=BB167_3 Depth=1
	s_or_b32 exec_lo, exec_lo, s10
	s_wait_dscnt 0x0
	s_barrier_signal -1
	s_barrier_wait -1
	s_and_saveexec_b32 s10, s43
	s_cbranch_execz .LBB167_923
; %bb.922:                              ;   in Loop: Header=BB167_3 Depth=1
	ds_load_b64 v[36:37], v56 offset:30144
	ds_load_b64 v[38:39], v57
	s_wait_dscnt 0x0
	v_pk_mul_f32 v[40:41], v[38:39], v[36:37] op_sel:[1,1] op_sel_hi:[0,1]
	s_delay_alu instid0(VALU_DEP_1) | instskip(SKIP_1) | instid1(VALU_DEP_2)
	v_pk_fma_f32 v[96:97], v[38:39], v[36:37], v[40:41] op_sel_hi:[1,0,1]
	v_pk_fma_f32 v[36:37], v[38:39], v[36:37], v[40:41] op_sel_hi:[1,0,1] neg_lo:[0,0,1] neg_hi:[0,0,1]
	v_mov_b32_e32 v37, v97
	s_delay_alu instid0(VALU_DEP_1)
	v_pk_add_f32 v[34:35], v[34:35], v[36:37]
.LBB167_923:                            ;   in Loop: Header=BB167_3 Depth=1
	;; [unrolled: 33-line block ×3, first 2 shown]
	s_or_b32 exec_lo, exec_lo, s10
	s_barrier_signal -1
	s_barrier_wait -1
	s_and_saveexec_b32 s10, s46
	s_cbranch_execz .LBB167_929
; %bb.928:                              ;   in Loop: Header=BB167_3 Depth=1
	ds_load_b64 v[36:37], v5 offset:31200
	s_wait_dscnt 0x0
	v_dual_mul_f32 v38, v34, v37 :: v_dual_mul_f32 v40, v35, v37
	s_delay_alu instid0(VALU_DEP_1) | instskip(NEXT) | instid1(VALU_DEP_2)
	v_pk_fma_f32 v[38:39], v[34:35], v[36:37], v[38:39] op_sel:[0,1,0] op_sel_hi:[1,0,0]
	v_pk_fma_f32 v[36:37], v[34:35], v[36:37], v[40:41] op_sel_hi:[1,1,0] neg_lo:[0,0,1] neg_hi:[0,0,1]
	s_delay_alu instid0(VALU_DEP_2) | instskip(NEXT) | instid1(VALU_DEP_1)
	v_mov_b32_e32 v37, v39
	v_mov_b64_e32 v[34:35], v[36:37]
	ds_store_b64 v57, v[36:37]
.LBB167_929:                            ;   in Loop: Header=BB167_3 Depth=1
	s_or_b32 exec_lo, exec_lo, s10
	s_wait_dscnt 0x0
	s_barrier_signal -1
	s_barrier_wait -1
	s_and_saveexec_b32 s10, s47
	s_cbranch_execz .LBB167_931
; %bb.930:                              ;   in Loop: Header=BB167_3 Depth=1
	ds_load_b64 v[36:37], v56 offset:31168
	ds_load_b64 v[38:39], v57
	s_wait_dscnt 0x0
	v_dual_mul_f32 v40, v39, v37 :: v_dual_mul_f32 v41, v38, v37
	s_delay_alu instid0(VALU_DEP_1) | instskip(NEXT) | instid1(VALU_DEP_1)
	v_dual_fma_f32 v40, v38, v36, -v40 :: v_dual_fmac_f32 v41, v39, v36
	v_pk_add_f32 v[34:35], v[34:35], v[40:41]
.LBB167_931:                            ;   in Loop: Header=BB167_3 Depth=1
	s_or_b32 exec_lo, exec_lo, s10
	s_barrier_signal -1
	s_barrier_wait -1
	s_and_saveexec_b32 s10, s48
	s_cbranch_execz .LBB167_933
; %bb.932:                              ;   in Loop: Header=BB167_3 Depth=1
	ds_load_b64 v[36:37], v5 offset:31720
	s_wait_dscnt 0x0
	v_pk_mul_f32 v[38:39], v[34:35], v[36:37] op_sel:[1,1] op_sel_hi:[1,0]
	s_delay_alu instid0(VALU_DEP_1) | instskip(SKIP_1) | instid1(VALU_DEP_2)
	v_pk_fma_f32 v[40:41], v[34:35], v[36:37], v[38:39] op_sel_hi:[0,1,1]
	v_pk_fma_f32 v[36:37], v[34:35], v[36:37], v[38:39] neg_lo:[0,0,1] neg_hi:[0,0,1]
	v_mov_b32_e32 v37, v41
	s_delay_alu instid0(VALU_DEP_1)
	v_mov_b64_e32 v[34:35], v[36:37]
	ds_store_b64 v57, v[36:37]
.LBB167_933:                            ;   in Loop: Header=BB167_3 Depth=1
	s_or_b32 exec_lo, exec_lo, s10
	s_wait_dscnt 0x0
	s_barrier_signal -1
	s_barrier_wait -1
	s_and_saveexec_b32 s10, s49
	s_cbranch_execz .LBB167_935
; %bb.934:                              ;   in Loop: Header=BB167_3 Depth=1
	ds_load_b64 v[36:37], v56 offset:31680
	ds_load_b64 v[38:39], v57
	s_wait_dscnt 0x0
	v_pk_mul_f32 v[40:41], v[38:39], v[36:37] op_sel:[1,1] op_sel_hi:[0,1]
	s_delay_alu instid0(VALU_DEP_1) | instskip(SKIP_1) | instid1(VALU_DEP_2)
	v_pk_fma_f32 v[96:97], v[38:39], v[36:37], v[40:41] op_sel_hi:[1,0,1]
	v_pk_fma_f32 v[36:37], v[38:39], v[36:37], v[40:41] neg_lo:[0,0,1] neg_hi:[0,0,1]
	v_mov_b32_e32 v37, v97
	s_delay_alu instid0(VALU_DEP_1)
	v_pk_add_f32 v[34:35], v[34:35], v[36:37]
.LBB167_935:                            ;   in Loop: Header=BB167_3 Depth=1
	s_or_b32 exec_lo, exec_lo, s10
	s_barrier_signal -1
	s_barrier_wait -1
	s_and_saveexec_b32 s10, s50
	s_cbranch_execz .LBB167_937
; %bb.936:                              ;   in Loop: Header=BB167_3 Depth=1
	ds_load_b64 v[36:37], v5 offset:32240
	s_wait_dscnt 0x0
	v_pk_mul_f32 v[38:39], v[34:35], v[36:37] op_sel:[1,1] op_sel_hi:[1,0]
	s_delay_alu instid0(VALU_DEP_1) | instskip(SKIP_1) | instid1(VALU_DEP_2)
	v_pk_fma_f32 v[40:41], v[34:35], v[36:37], v[38:39] op_sel_hi:[0,1,1]
	v_pk_fma_f32 v[36:37], v[34:35], v[36:37], v[38:39] neg_lo:[0,0,1] neg_hi:[0,0,1]
	v_mov_b32_e32 v37, v41
	s_delay_alu instid0(VALU_DEP_1)
	v_mov_b64_e32 v[34:35], v[36:37]
	ds_store_b64 v57, v[36:37]
.LBB167_937:                            ;   in Loop: Header=BB167_3 Depth=1
	s_or_b32 exec_lo, exec_lo, s10
	s_wait_dscnt 0x0
	s_barrier_signal -1
	s_barrier_wait -1
	s_and_saveexec_b32 s10, s51
	s_cbranch_execz .LBB167_939
; %bb.938:                              ;   in Loop: Header=BB167_3 Depth=1
	ds_load_b64 v[36:37], v5 offset:32248
	ds_load_b64 v[38:39], v57
	s_wait_dscnt 0x0
	v_pk_mul_f32 v[40:41], v[38:39], v[36:37] op_sel:[1,1] op_sel_hi:[0,1]
	s_delay_alu instid0(VALU_DEP_1) | instskip(SKIP_1) | instid1(VALU_DEP_2)
	v_pk_fma_f32 v[96:97], v[38:39], v[36:37], v[40:41] op_sel_hi:[1,0,1]
	v_pk_fma_f32 v[36:37], v[38:39], v[36:37], v[40:41] neg_lo:[0,0,1] neg_hi:[0,0,1]
	v_mov_b32_e32 v37, v97
	s_delay_alu instid0(VALU_DEP_1)
	v_pk_add_f32 v[34:35], v[34:35], v[36:37]
.LBB167_939:                            ;   in Loop: Header=BB167_3 Depth=1
	s_or_b32 exec_lo, exec_lo, s10
	s_barrier_signal -1
	s_barrier_wait -1
	s_and_saveexec_b32 s10, s51
	s_cbranch_execz .LBB167_941
; %bb.940:                              ;   in Loop: Header=BB167_3 Depth=1
	ds_load_b64 v[36:37], v5 offset:32760
	s_wait_dscnt 0x0
	v_pk_mul_f32 v[38:39], v[34:35], v[36:37] op_sel:[1,1] op_sel_hi:[1,0]
	s_delay_alu instid0(VALU_DEP_1) | instskip(SKIP_1) | instid1(VALU_DEP_2)
	v_pk_fma_f32 v[40:41], v[34:35], v[36:37], v[38:39] op_sel_hi:[0,1,1]
	v_pk_fma_f32 v[36:37], v[34:35], v[36:37], v[38:39] neg_lo:[0,0,1] neg_hi:[0,0,1]
	v_mov_b32_e32 v37, v41
	s_delay_alu instid0(VALU_DEP_1)
	v_mov_b64_e32 v[34:35], v[36:37]
	ds_store_b64 v57, v[36:37]
.LBB167_941:                            ;   in Loop: Header=BB167_3 Depth=1
	s_or_b32 exec_lo, exec_lo, s10
	s_wait_dscnt 0x0
	s_barrier_signal -1
	s_barrier_wait -1
	s_barrier_signal -1
	s_barrier_wait -1
	s_and_saveexec_b32 s10, s6
; %bb.942:                              ;   in Loop: Header=BB167_3 Depth=1
	v_pk_add_f32 v[34:35], v[34:35], 0 neg_lo:[1,1] neg_hi:[1,1]
	ds_store_b64 v58, v[34:35] offset:25024
; %bb.943:                              ;   in Loop: Header=BB167_3 Depth=1
	s_or_b32 exec_lo, exec_lo, s10
	s_wait_dscnt 0x0
	s_barrier_signal -1
	s_barrier_wait -1
	s_barrier_signal -1
	s_barrier_wait -1
	s_and_saveexec_b32 s10, s52
	s_cbranch_execz .LBB167_945
; %bb.944:                              ;   in Loop: Header=BB167_3 Depth=1
	ds_load_b64 v[34:35], v71 offset:25024
	s_wait_dscnt 0x0
	ds_store_b64 v73, v[34:35] offset:29056
	ds_load_b64 v[34:35], v71 offset:25032
	s_wait_dscnt 0x0
	ds_store_b64 v73, v[34:35] offset:29568
	;; [unrolled: 3-line block ×8, first 2 shown]
.LBB167_945:                            ;   in Loop: Header=BB167_3 Depth=1
	s_or_b32 exec_lo, exec_lo, s10
	s_wait_dscnt 0x0
	s_barrier_signal -1
	s_barrier_wait -1
	s_and_saveexec_b32 s10, s15
	s_cbranch_execz .LBB167_947
; %bb.946:                              ;   in Loop: Header=BB167_3 Depth=1
	ds_load_b128 v[34:37], v5 offset:29120
	ds_load_b64 v[38:39], v5 offset:29640
	s_wait_dscnt 0x1
	v_dual_mov_b32 v96, v37 :: v_dual_mov_b32 v97, v36
	s_wait_dscnt 0x0
	v_dual_mul_f32 v41, v39, v35 :: v_dual_mul_f32 v40, v38, v35
	s_delay_alu instid0(VALU_DEP_1) | instskip(NEXT) | instid1(VALU_DEP_1)
	v_xor_b32_e32 v98, 0x80000000, v41
	v_dual_fmac_f32 v40, v39, v34 :: v_dual_fmac_f32 v98, v38, v34
	s_delay_alu instid0(VALU_DEP_1) | instskip(NEXT) | instid1(VALU_DEP_1)
	v_pk_mul_f32 v[34:35], v[40:41], v[96:97] op_sel_hi:[0,1]
	v_pk_fma_f32 v[38:39], v[98:99], v[36:37], v[34:35] op_sel_hi:[0,1,1]
	v_pk_fma_f32 v[34:35], v[98:99], v[36:37], v[34:35] neg_lo:[0,0,1] neg_hi:[0,0,1]
	v_add_nc_u32_e64 v36, 0x7000, 0
	s_delay_alu instid0(VALU_DEP_3)
	v_mov_b32_e32 v35, v39
	ds_store_2addr_b64 v36, v[34:35], v[34:35] offset0:57 offset1:120
.LBB167_947:                            ;   in Loop: Header=BB167_3 Depth=1
	s_or_b32 exec_lo, exec_lo, s10
	v_mov_b32_e32 v35, 0
	s_wait_dscnt 0x0
	s_barrier_signal -1
	s_barrier_wait -1
	s_delay_alu instid0(VALU_DEP_1)
	v_mov_b32_e32 v34, v35
	s_and_saveexec_b32 s10, s3
	s_cbranch_execz .LBB167_951
; %bb.948:                              ;   in Loop: Header=BB167_3 Depth=1
	ds_load_b64 v[34:35], v43 offset:29136
	ds_load_b64 v[36:37], v44 offset:29120
	s_wait_dscnt 0x0
	v_dual_mul_f32 v38, v37, v35 :: v_dual_mul_f32 v39, v36, v35
	s_delay_alu instid0(VALU_DEP_1) | instskip(NEXT) | instid1(VALU_DEP_1)
	v_dual_fma_f32 v38, v36, v34, -v38 :: v_dual_fmac_f32 v39, v37, v34
	v_pk_add_f32 v[34:35], v[38:39], 0 op_sel_hi:[1,0]
	s_and_saveexec_b32 s56, s16
	s_cbranch_execz .LBB167_950
; %bb.949:                              ;   in Loop: Header=BB167_3 Depth=1
	ds_load_b64 v[36:37], v73 offset:29648
	ds_load_b64 v[38:39], v5 offset:29128
	s_wait_dscnt 0x0
	v_pk_mul_f32 v[40:41], v[38:39], v[36:37] op_sel:[1,1] op_sel_hi:[0,1]
	s_delay_alu instid0(VALU_DEP_1) | instskip(SKIP_1) | instid1(VALU_DEP_2)
	v_pk_fma_f32 v[96:97], v[38:39], v[36:37], v[40:41] op_sel_hi:[1,0,1]
	v_pk_fma_f32 v[36:37], v[38:39], v[36:37], v[40:41] neg_lo:[0,0,1] neg_hi:[0,0,1]
	v_mov_b32_e32 v37, v97
	s_delay_alu instid0(VALU_DEP_1)
	v_pk_add_f32 v[34:35], v[34:35], v[36:37]
.LBB167_950:                            ;   in Loop: Header=BB167_3 Depth=1
	s_or_b32 exec_lo, exec_lo, s56
	s_delay_alu instid0(VALU_DEP_1)
	v_pk_add_f32 v[34:35], v[34:35], 0 neg_lo:[1,1] neg_hi:[1,1]
.LBB167_951:                            ;   in Loop: Header=BB167_3 Depth=1
	s_or_b32 exec_lo, exec_lo, s10
	s_and_saveexec_b32 s10, s95
	s_cbranch_execz .LBB167_953
; %bb.952:                              ;   in Loop: Header=BB167_3 Depth=1
	ds_load_b64 v[36:37], v5 offset:30160
	s_wait_dscnt 0x0
	v_pk_mul_f32 v[38:39], v[34:35], v[36:37] op_sel:[1,1] op_sel_hi:[1,0]
	s_delay_alu instid0(VALU_DEP_1) | instskip(SKIP_1) | instid1(VALU_DEP_2)
	v_pk_fma_f32 v[40:41], v[34:35], v[36:37], v[38:39] op_sel_hi:[0,1,1]
	v_pk_fma_f32 v[36:37], v[34:35], v[36:37], v[38:39] neg_lo:[0,0,1] neg_hi:[0,0,1]
	v_mov_b32_e32 v37, v41
	s_delay_alu instid0(VALU_DEP_1)
	v_mov_b64_e32 v[34:35], v[36:37]
	ds_store_b64 v3, v[36:37]
.LBB167_953:                            ;   in Loop: Header=BB167_3 Depth=1
	s_or_b32 exec_lo, exec_lo, s10
	s_wait_dscnt 0x0
	s_barrier_signal -1
	s_barrier_wait -1
	s_and_saveexec_b32 s10, s96
	s_cbranch_execz .LBB167_955
; %bb.954:                              ;   in Loop: Header=BB167_3 Depth=1
	ds_load_b64 v[36:37], v5 offset:30168
	ds_load_b64 v[38:39], v3
	s_wait_dscnt 0x0
	v_pk_mul_f32 v[40:41], v[38:39], v[36:37] op_sel:[1,1] op_sel_hi:[0,1]
	s_delay_alu instid0(VALU_DEP_1) | instskip(SKIP_1) | instid1(VALU_DEP_2)
	v_pk_fma_f32 v[96:97], v[38:39], v[36:37], v[40:41] op_sel_hi:[1,0,1]
	v_pk_fma_f32 v[36:37], v[38:39], v[36:37], v[40:41] neg_lo:[0,0,1] neg_hi:[0,0,1]
	v_mov_b32_e32 v37, v97
	s_delay_alu instid0(VALU_DEP_1)
	v_pk_add_f32 v[34:35], v[34:35], v[36:37]
.LBB167_955:                            ;   in Loop: Header=BB167_3 Depth=1
	s_or_b32 exec_lo, exec_lo, s10
	s_barrier_signal -1
	s_barrier_wait -1
	s_and_saveexec_b32 s10, s96
	s_cbranch_execz .LBB167_957
; %bb.956:                              ;   in Loop: Header=BB167_3 Depth=1
	ds_load_b64 v[36:37], v5 offset:30680
	s_wait_dscnt 0x0
	v_pk_mul_f32 v[38:39], v[34:35], v[36:37] op_sel:[1,1] op_sel_hi:[1,0]
	s_delay_alu instid0(VALU_DEP_1) | instskip(SKIP_1) | instid1(VALU_DEP_2)
	v_pk_fma_f32 v[40:41], v[34:35], v[36:37], v[38:39] op_sel_hi:[0,1,1]
	v_pk_fma_f32 v[36:37], v[34:35], v[36:37], v[38:39] neg_lo:[0,0,1] neg_hi:[0,0,1]
	v_mov_b32_e32 v37, v41
	s_delay_alu instid0(VALU_DEP_1)
	v_mov_b64_e32 v[34:35], v[36:37]
	ds_store_b64 v3, v[36:37]
.LBB167_957:                            ;   in Loop: Header=BB167_3 Depth=1
	s_or_b32 exec_lo, exec_lo, s10
	s_wait_dscnt 0x0
	s_barrier_signal -1
	s_barrier_wait -1
	s_barrier_signal -1
	s_barrier_wait -1
	s_and_saveexec_b32 s10, s3
; %bb.958:                              ;   in Loop: Header=BB167_3 Depth=1
	v_pk_add_f32 v[34:35], v[34:35], 0 neg_lo:[1,1] neg_hi:[1,1]
	ds_store_b64 v43, v[34:35] offset:29136
; %bb.959:                              ;   in Loop: Header=BB167_3 Depth=1
	s_or_b32 exec_lo, exec_lo, s10
	s_wait_dscnt 0x0
	s_barrier_signal -1
	s_barrier_wait -1
	s_barrier_signal -1
	s_barrier_wait -1
	s_and_saveexec_b32 s10, s97
	s_cbranch_execz .LBB167_961
; %bb.960:                              ;   in Loop: Header=BB167_3 Depth=1
	ds_load_b64 v[34:35], v74 offset:29136
	s_wait_dscnt 0x0
	ds_store_b64 v73, v[34:35] offset:30144
	ds_load_b64 v[34:35], v74 offset:29144
	s_wait_dscnt 0x0
	ds_store_b64 v73, v[34:35] offset:30656
.LBB167_961:                            ;   in Loop: Header=BB167_3 Depth=1
	s_or_b32 exec_lo, exec_lo, s10
	s_wait_dscnt 0x0
	s_barrier_signal -1
	s_barrier_wait -1
	s_and_saveexec_b32 s10, s15
	s_cbranch_execz .LBB167_963
; %bb.962:                              ;   in Loop: Header=BB167_3 Depth=1
	ds_load_b128 v[34:37], v5 offset:30160
	ds_load_b64 v[38:39], v5 offset:30680
	s_wait_dscnt 0x1
	v_dual_mov_b32 v96, v37 :: v_dual_mov_b32 v97, v36
	s_wait_dscnt 0x0
	v_dual_mul_f32 v41, v39, v35 :: v_dual_mul_f32 v40, v38, v35
	s_delay_alu instid0(VALU_DEP_1) | instskip(NEXT) | instid1(VALU_DEP_1)
	v_xor_b32_e32 v98, 0x80000000, v41
	v_dual_fmac_f32 v40, v39, v34 :: v_dual_fmac_f32 v98, v38, v34
	s_delay_alu instid0(VALU_DEP_1) | instskip(NEXT) | instid1(VALU_DEP_1)
	v_pk_mul_f32 v[34:35], v[40:41], v[96:97] op_sel_hi:[0,1]
	v_pk_fma_f32 v[38:39], v[98:99], v[36:37], v[34:35] op_sel_hi:[0,1,1]
	v_pk_fma_f32 v[34:35], v[98:99], v[36:37], v[34:35] neg_lo:[0,0,1] neg_hi:[0,0,1]
	v_add_nc_u32_e64 v36, 0x7000, 0
	s_delay_alu instid0(VALU_DEP_3)
	v_mov_b32_e32 v35, v39
	ds_store_2addr_b64 v36, v[34:35], v[34:35] offset0:187 offset1:250
.LBB167_963:                            ;   in Loop: Header=BB167_3 Depth=1
	s_or_b32 exec_lo, exec_lo, s10
	v_mov_b32_e32 v34, 0
	s_wait_dscnt 0x0
	s_barrier_signal -1
	s_barrier_wait -1
	s_delay_alu instid0(VALU_DEP_1)
	v_mov_b32_e32 v35, v34
	s_and_saveexec_b32 s10, s5
	s_cbranch_execz .LBB167_969
; %bb.964:                              ;   in Loop: Header=BB167_3 Depth=1
	ds_load_b64 v[34:35], v50 offset:29152
	ds_load_b64 v[36:37], v46 offset:29120
	s_wait_dscnt 0x0
	v_pk_mul_f32 v[38:39], v[36:37], v[34:35] op_sel:[0,1]
	s_delay_alu instid0(VALU_DEP_1) | instskip(SKIP_1) | instid1(VALU_DEP_2)
	v_pk_fma_f32 v[40:41], v[36:37], v[34:35], v[38:39] op_sel:[1,0,0] op_sel_hi:[0,0,1] neg_lo:[0,0,1] neg_hi:[0,0,1]
	v_pk_fma_f32 v[34:35], v[36:37], v[34:35], v[38:39] op_sel:[1,0,0] op_sel_hi:[0,1,1]
	v_mov_b32_e32 v35, v41
	s_delay_alu instid0(VALU_DEP_1)
	v_pk_add_f32 v[34:35], v[34:35], 0 op_sel_hi:[1,0]
	s_and_saveexec_b32 s56, s17
	s_cbranch_execnz .LBB167_1158
; %bb.965:                              ;   in Loop: Header=BB167_3 Depth=1
	s_or_b32 exec_lo, exec_lo, s56
	s_and_saveexec_b32 s56, s18
	s_cbranch_execnz .LBB167_1159
.LBB167_966:                            ;   in Loop: Header=BB167_3 Depth=1
	s_or_b32 exec_lo, exec_lo, s56
	s_and_saveexec_b32 s56, s3
	s_cbranch_execz .LBB167_968
.LBB167_967:                            ;   in Loop: Header=BB167_3 Depth=1
	ds_load_b64 v[36:37], v76 offset:30688
	ds_load_b64 v[38:39], v5 offset:29144
	s_wait_dscnt 0x0
	v_pk_mul_f32 v[40:41], v[38:39], v[36:37] op_sel:[0,1]
	s_delay_alu instid0(VALU_DEP_1) | instskip(SKIP_1) | instid1(VALU_DEP_2)
	v_pk_fma_f32 v[96:97], v[38:39], v[36:37], v[40:41] op_sel:[1,0,0] op_sel_hi:[0,0,1] neg_lo:[0,0,1] neg_hi:[0,0,1]
	v_pk_fma_f32 v[36:37], v[38:39], v[36:37], v[40:41] op_sel:[1,0,0] op_sel_hi:[0,1,1]
	v_mov_b32_e32 v37, v97
	s_delay_alu instid0(VALU_DEP_1)
	v_pk_add_f32 v[34:35], v[34:35], v[36:37]
.LBB167_968:                            ;   in Loop: Header=BB167_3 Depth=1
	s_or_b32 exec_lo, exec_lo, s56
	s_delay_alu instid0(VALU_DEP_1) | instskip(NEXT) | instid1(VALU_DEP_1)
	v_pk_add_f32 v[36:37], v[34:35], 0 neg_lo:[1,1] neg_hi:[1,1]
	v_dual_mov_b32 v34, v37 :: v_dual_mov_b32 v35, v36
.LBB167_969:                            ;   in Loop: Header=BB167_3 Depth=1
	s_or_b32 exec_lo, exec_lo, s10
	s_and_saveexec_b32 s10, s98
	s_cbranch_execz .LBB167_971
; %bb.970:                              ;   in Loop: Header=BB167_3 Depth=1
	ds_load_b64 v[36:37], v5 offset:31200
	v_dual_mov_b32 v38, v35 :: v_dual_mov_b32 v39, v34
	s_wait_dscnt 0x0
	s_delay_alu instid0(VALU_DEP_1) | instskip(NEXT) | instid1(VALU_DEP_1)
	v_dual_mul_f32 v40, v38, v36 :: v_dual_mul_f32 v96, v35, v37
	v_pk_fma_f32 v[38:39], v[38:39], v[36:37], v[40:41] op_sel_hi:[1,1,0]
	s_delay_alu instid0(VALU_DEP_2) | instskip(NEXT) | instid1(VALU_DEP_2)
	v_pk_fma_f32 v[34:35], v[34:35], v[36:37], v[96:97] op_sel_hi:[1,1,0] neg_lo:[0,0,1] neg_hi:[0,0,1]
	v_mov_b32_e32 v35, v39
	ds_store_b64 v49, v[34:35]
.LBB167_971:                            ;   in Loop: Header=BB167_3 Depth=1
	s_or_b32 exec_lo, exec_lo, s10
	s_wait_dscnt 0x0
	s_barrier_signal -1
	s_barrier_wait -1
	s_and_saveexec_b32 s10, s99
	s_cbranch_execz .LBB167_973
; %bb.972:                              ;   in Loop: Header=BB167_3 Depth=1
	ds_load_b64 v[36:37], v47 offset:31200
	ds_load_b64 v[38:39], v49
	s_wait_dscnt 0x0
	v_dual_mul_f32 v40, v39, v37 :: v_dual_mul_f32 v41, v38, v37
	s_delay_alu instid0(VALU_DEP_1) | instskip(NEXT) | instid1(VALU_DEP_1)
	v_dual_fma_f32 v40, v38, v36, -v40 :: v_dual_fmac_f32 v41, v39, v36
	v_pk_add_f32 v[34:35], v[34:35], v[40:41]
.LBB167_973:                            ;   in Loop: Header=BB167_3 Depth=1
	s_or_b32 exec_lo, exec_lo, s10
	s_barrier_signal -1
	s_barrier_wait -1
	s_and_saveexec_b32 s10, s100
	s_cbranch_execz .LBB167_975
; %bb.974:                              ;   in Loop: Header=BB167_3 Depth=1
	ds_load_b64 v[36:37], v5 offset:31720
	s_wait_dscnt 0x0
	v_pk_mul_f32 v[38:39], v[34:35], v[36:37] op_sel:[1,1] op_sel_hi:[1,0]
	s_delay_alu instid0(VALU_DEP_1) | instskip(SKIP_1) | instid1(VALU_DEP_2)
	v_pk_fma_f32 v[40:41], v[34:35], v[36:37], v[38:39] op_sel_hi:[0,1,1]
	v_pk_fma_f32 v[36:37], v[34:35], v[36:37], v[38:39] neg_lo:[0,0,1] neg_hi:[0,0,1]
	v_mov_b32_e32 v37, v41
	s_delay_alu instid0(VALU_DEP_1)
	v_mov_b64_e32 v[34:35], v[36:37]
	ds_store_b64 v49, v[36:37]
.LBB167_975:                            ;   in Loop: Header=BB167_3 Depth=1
	s_or_b32 exec_lo, exec_lo, s10
	s_wait_dscnt 0x0
	s_barrier_signal -1
	s_barrier_wait -1
	s_and_saveexec_b32 s10, s101
	s_cbranch_execz .LBB167_977
; %bb.976:                              ;   in Loop: Header=BB167_3 Depth=1
	ds_load_b64 v[36:37], v47 offset:31712
	ds_load_b64 v[38:39], v49
	s_wait_dscnt 0x0
	v_pk_mul_f32 v[40:41], v[38:39], v[36:37] op_sel:[1,1] op_sel_hi:[0,1]
	s_delay_alu instid0(VALU_DEP_1) | instskip(SKIP_1) | instid1(VALU_DEP_2)
	v_pk_fma_f32 v[96:97], v[38:39], v[36:37], v[40:41] op_sel_hi:[1,0,1]
	v_pk_fma_f32 v[36:37], v[38:39], v[36:37], v[40:41] neg_lo:[0,0,1] neg_hi:[0,0,1]
	v_mov_b32_e32 v37, v97
	s_delay_alu instid0(VALU_DEP_1)
	v_pk_add_f32 v[34:35], v[34:35], v[36:37]
.LBB167_977:                            ;   in Loop: Header=BB167_3 Depth=1
	s_or_b32 exec_lo, exec_lo, s10
	s_barrier_signal -1
	s_barrier_wait -1
	s_and_saveexec_b32 s10, s102
	s_cbranch_execz .LBB167_979
; %bb.978:                              ;   in Loop: Header=BB167_3 Depth=1
	ds_load_b64 v[36:37], v5 offset:32240
	s_wait_dscnt 0x0
	v_pk_mul_f32 v[38:39], v[34:35], v[36:37] op_sel:[1,1] op_sel_hi:[1,0]
	s_delay_alu instid0(VALU_DEP_1) | instskip(SKIP_1) | instid1(VALU_DEP_2)
	v_pk_fma_f32 v[40:41], v[34:35], v[36:37], v[38:39] op_sel_hi:[0,1,1]
	v_pk_fma_f32 v[36:37], v[34:35], v[36:37], v[38:39] neg_lo:[0,0,1] neg_hi:[0,0,1]
	v_mov_b32_e32 v37, v41
	s_delay_alu instid0(VALU_DEP_1)
	v_mov_b64_e32 v[34:35], v[36:37]
	ds_store_b64 v49, v[36:37]
.LBB167_979:                            ;   in Loop: Header=BB167_3 Depth=1
	s_or_b32 exec_lo, exec_lo, s10
	s_wait_dscnt 0x0
	s_barrier_signal -1
	s_barrier_wait -1
	s_and_saveexec_b32 s10, s103
	s_cbranch_execz .LBB167_981
; %bb.980:                              ;   in Loop: Header=BB167_3 Depth=1
	ds_load_b64 v[36:37], v5 offset:32248
	ds_load_b64 v[38:39], v49
	s_wait_dscnt 0x0
	v_pk_mul_f32 v[40:41], v[38:39], v[36:37] op_sel:[1,1] op_sel_hi:[0,1]
	s_delay_alu instid0(VALU_DEP_1) | instskip(SKIP_1) | instid1(VALU_DEP_2)
	v_pk_fma_f32 v[96:97], v[38:39], v[36:37], v[40:41] op_sel_hi:[1,0,1]
	v_pk_fma_f32 v[36:37], v[38:39], v[36:37], v[40:41] neg_lo:[0,0,1] neg_hi:[0,0,1]
	v_mov_b32_e32 v37, v97
	s_delay_alu instid0(VALU_DEP_1)
	v_pk_add_f32 v[34:35], v[34:35], v[36:37]
.LBB167_981:                            ;   in Loop: Header=BB167_3 Depth=1
	s_or_b32 exec_lo, exec_lo, s10
	s_barrier_signal -1
	s_barrier_wait -1
	s_and_saveexec_b32 s10, s103
	s_cbranch_execz .LBB167_983
; %bb.982:                              ;   in Loop: Header=BB167_3 Depth=1
	ds_load_b64 v[36:37], v5 offset:32760
	s_wait_dscnt 0x0
	v_pk_mul_f32 v[38:39], v[34:35], v[36:37] op_sel:[1,1] op_sel_hi:[1,0]
	s_delay_alu instid0(VALU_DEP_1) | instskip(SKIP_1) | instid1(VALU_DEP_2)
	v_pk_fma_f32 v[40:41], v[34:35], v[36:37], v[38:39] op_sel_hi:[0,1,1]
	v_pk_fma_f32 v[36:37], v[34:35], v[36:37], v[38:39] neg_lo:[0,0,1] neg_hi:[0,0,1]
	v_mov_b32_e32 v37, v41
	s_delay_alu instid0(VALU_DEP_1)
	v_mov_b64_e32 v[34:35], v[36:37]
	ds_store_b64 v49, v[36:37]
.LBB167_983:                            ;   in Loop: Header=BB167_3 Depth=1
	s_or_b32 exec_lo, exec_lo, s10
	s_wait_dscnt 0x0
	s_barrier_signal -1
	s_barrier_wait -1
	s_barrier_signal -1
	s_barrier_wait -1
	s_and_saveexec_b32 s10, s5
; %bb.984:                              ;   in Loop: Header=BB167_3 Depth=1
	v_pk_add_f32 v[34:35], v[34:35], 0 neg_lo:[1,1] neg_hi:[1,1]
	ds_store_b64 v50, v[34:35] offset:29152
; %bb.985:                              ;   in Loop: Header=BB167_3 Depth=1
	s_or_b32 exec_lo, exec_lo, s10
	s_wait_dscnt 0x0
	s_barrier_signal -1
	s_barrier_wait -1
	s_barrier_signal -1
	s_barrier_wait -1
	s_and_saveexec_b32 s10, s104
	s_cbranch_execz .LBB167_987
; %bb.986:                              ;   in Loop: Header=BB167_3 Depth=1
	ds_load_b64 v[34:35], v78 offset:29152
	s_wait_dscnt 0x0
	ds_store_b64 v79, v[34:35] offset:31168
	ds_load_b64 v[34:35], v78 offset:29160
	s_wait_dscnt 0x0
	ds_store_b64 v79, v[34:35] offset:31680
	;; [unrolled: 3-line block ×4, first 2 shown]
.LBB167_987:                            ;   in Loop: Header=BB167_3 Depth=1
	s_or_b32 exec_lo, exec_lo, s10
	s_wait_dscnt 0x0
	s_barrier_signal -1
	s_barrier_wait -1
	s_and_saveexec_b32 s10, s15
	s_cbranch_execz .LBB167_989
; %bb.988:                              ;   in Loop: Header=BB167_3 Depth=1
	ds_load_b128 v[34:37], v5 offset:31200
	ds_load_b64 v[38:39], v5 offset:31720
	s_wait_dscnt 0x1
	v_dual_mov_b32 v96, v37 :: v_dual_mov_b32 v97, v36
	s_wait_dscnt 0x0
	v_dual_mul_f32 v41, v39, v35 :: v_dual_mul_f32 v40, v38, v35
	s_delay_alu instid0(VALU_DEP_1) | instskip(NEXT) | instid1(VALU_DEP_1)
	v_xor_b32_e32 v98, 0x80000000, v41
	v_dual_fmac_f32 v40, v39, v34 :: v_dual_fmac_f32 v98, v38, v34
	s_delay_alu instid0(VALU_DEP_1) | instskip(NEXT) | instid1(VALU_DEP_1)
	v_pk_mul_f32 v[34:35], v[40:41], v[96:97] op_sel_hi:[0,1]
	v_pk_fma_f32 v[38:39], v[98:99], v[36:37], v[34:35] op_sel_hi:[0,1,1]
	v_pk_fma_f32 v[34:35], v[98:99], v[36:37], v[34:35] neg_lo:[0,0,1] neg_hi:[0,0,1]
	v_add_nc_u32_e64 v36, 0x7800, 0
	s_delay_alu instid0(VALU_DEP_3)
	v_mov_b32_e32 v35, v39
	ds_store_2addr_b64 v36, v[34:35], v[34:35] offset0:61 offset1:124
.LBB167_989:                            ;   in Loop: Header=BB167_3 Depth=1
	s_or_b32 exec_lo, exec_lo, s10
	v_mov_b32_e32 v35, 0
	s_wait_dscnt 0x0
	s_barrier_signal -1
	s_barrier_wait -1
	s_delay_alu instid0(VALU_DEP_1)
	v_mov_b32_e32 v34, v35
	s_and_saveexec_b32 s10, s3
	s_cbranch_execz .LBB167_993
; %bb.990:                              ;   in Loop: Header=BB167_3 Depth=1
	ds_load_b64 v[34:35], v43 offset:31216
	ds_load_b64 v[36:37], v44 offset:31200
	s_wait_dscnt 0x0
	v_dual_mul_f32 v38, v37, v35 :: v_dual_mul_f32 v39, v36, v35
	s_delay_alu instid0(VALU_DEP_1) | instskip(NEXT) | instid1(VALU_DEP_1)
	v_dual_fma_f32 v38, v36, v34, -v38 :: v_dual_fmac_f32 v39, v37, v34
	v_pk_add_f32 v[34:35], v[38:39], 0 op_sel_hi:[1,0]
	s_and_saveexec_b32 s56, s16
	s_cbranch_execz .LBB167_992
; %bb.991:                              ;   in Loop: Header=BB167_3 Depth=1
	ds_load_b64 v[36:37], v79 offset:31728
	ds_load_b64 v[38:39], v5 offset:31208
	s_wait_dscnt 0x0
	v_pk_mul_f32 v[40:41], v[38:39], v[36:37] op_sel:[1,1] op_sel_hi:[0,1]
	s_delay_alu instid0(VALU_DEP_1) | instskip(SKIP_1) | instid1(VALU_DEP_2)
	v_pk_fma_f32 v[96:97], v[38:39], v[36:37], v[40:41] op_sel_hi:[1,0,1]
	v_pk_fma_f32 v[36:37], v[38:39], v[36:37], v[40:41] neg_lo:[0,0,1] neg_hi:[0,0,1]
	v_mov_b32_e32 v37, v97
	s_delay_alu instid0(VALU_DEP_1)
	v_pk_add_f32 v[34:35], v[34:35], v[36:37]
.LBB167_992:                            ;   in Loop: Header=BB167_3 Depth=1
	s_or_b32 exec_lo, exec_lo, s56
	s_delay_alu instid0(VALU_DEP_1)
	v_pk_add_f32 v[34:35], v[34:35], 0 neg_lo:[1,1] neg_hi:[1,1]
.LBB167_993:                            ;   in Loop: Header=BB167_3 Depth=1
	s_or_b32 exec_lo, exec_lo, s10
	s_and_saveexec_b32 s10, s95
	s_cbranch_execz .LBB167_995
; %bb.994:                              ;   in Loop: Header=BB167_3 Depth=1
	ds_load_b64 v[36:37], v5 offset:32240
	s_wait_dscnt 0x0
	v_pk_mul_f32 v[38:39], v[34:35], v[36:37] op_sel:[1,1] op_sel_hi:[1,0]
	s_delay_alu instid0(VALU_DEP_1) | instskip(SKIP_1) | instid1(VALU_DEP_2)
	v_pk_fma_f32 v[40:41], v[34:35], v[36:37], v[38:39] op_sel_hi:[0,1,1]
	v_pk_fma_f32 v[36:37], v[34:35], v[36:37], v[38:39] neg_lo:[0,0,1] neg_hi:[0,0,1]
	v_mov_b32_e32 v37, v41
	s_delay_alu instid0(VALU_DEP_1)
	v_mov_b64_e32 v[34:35], v[36:37]
	ds_store_b64 v3, v[36:37]
.LBB167_995:                            ;   in Loop: Header=BB167_3 Depth=1
	s_or_b32 exec_lo, exec_lo, s10
	s_wait_dscnt 0x0
	s_barrier_signal -1
	s_barrier_wait -1
	s_and_saveexec_b32 s10, s96
	s_cbranch_execz .LBB167_997
; %bb.996:                              ;   in Loop: Header=BB167_3 Depth=1
	ds_load_b64 v[36:37], v5 offset:32248
	ds_load_b64 v[38:39], v3
	s_wait_dscnt 0x0
	v_pk_mul_f32 v[40:41], v[38:39], v[36:37] op_sel:[1,1] op_sel_hi:[0,1]
	s_delay_alu instid0(VALU_DEP_1) | instskip(SKIP_1) | instid1(VALU_DEP_2)
	v_pk_fma_f32 v[96:97], v[38:39], v[36:37], v[40:41] op_sel_hi:[1,0,1]
	v_pk_fma_f32 v[36:37], v[38:39], v[36:37], v[40:41] neg_lo:[0,0,1] neg_hi:[0,0,1]
	v_mov_b32_e32 v37, v97
	s_delay_alu instid0(VALU_DEP_1)
	v_pk_add_f32 v[34:35], v[34:35], v[36:37]
.LBB167_997:                            ;   in Loop: Header=BB167_3 Depth=1
	s_or_b32 exec_lo, exec_lo, s10
	s_barrier_signal -1
	s_barrier_wait -1
	s_and_saveexec_b32 s10, s96
	s_cbranch_execz .LBB167_999
; %bb.998:                              ;   in Loop: Header=BB167_3 Depth=1
	ds_load_b64 v[36:37], v5 offset:32760
	s_wait_dscnt 0x0
	v_pk_mul_f32 v[38:39], v[34:35], v[36:37] op_sel:[1,1] op_sel_hi:[1,0]
	s_delay_alu instid0(VALU_DEP_1) | instskip(SKIP_1) | instid1(VALU_DEP_2)
	v_pk_fma_f32 v[40:41], v[34:35], v[36:37], v[38:39] op_sel_hi:[0,1,1]
	v_pk_fma_f32 v[36:37], v[34:35], v[36:37], v[38:39] neg_lo:[0,0,1] neg_hi:[0,0,1]
	v_mov_b32_e32 v37, v41
	s_delay_alu instid0(VALU_DEP_1)
	v_mov_b64_e32 v[34:35], v[36:37]
	ds_store_b64 v3, v[36:37]
.LBB167_999:                            ;   in Loop: Header=BB167_3 Depth=1
	s_or_b32 exec_lo, exec_lo, s10
	s_wait_dscnt 0x0
	s_barrier_signal -1
	s_barrier_wait -1
	s_barrier_signal -1
	s_barrier_wait -1
	s_and_saveexec_b32 s10, s3
; %bb.1000:                             ;   in Loop: Header=BB167_3 Depth=1
	v_pk_add_f32 v[34:35], v[34:35], 0 neg_lo:[1,1] neg_hi:[1,1]
	ds_store_b64 v43, v[34:35] offset:31216
; %bb.1001:                             ;   in Loop: Header=BB167_3 Depth=1
	s_or_b32 exec_lo, exec_lo, s10
	s_wait_dscnt 0x0
	s_barrier_signal -1
	s_barrier_wait -1
	s_barrier_signal -1
	s_barrier_wait -1
	s_and_saveexec_b32 s10, s97
	s_cbranch_execz .LBB167_1003
; %bb.1002:                             ;   in Loop: Header=BB167_3 Depth=1
	ds_load_b64 v[34:35], v81 offset:31216
	s_wait_dscnt 0x0
	ds_store_b64 v79, v[34:35] offset:32224
	ds_load_b64 v[34:35], v81 offset:31224
	s_wait_dscnt 0x0
	ds_store_b64 v79, v[34:35] offset:32736
.LBB167_1003:                           ;   in Loop: Header=BB167_3 Depth=1
	s_or_b32 exec_lo, exec_lo, s10
	s_wait_dscnt 0x0
	s_barrier_signal -1
	s_barrier_wait -1
	s_and_saveexec_b32 s10, s15
	s_cbranch_execz .LBB167_1005
; %bb.1004:                             ;   in Loop: Header=BB167_3 Depth=1
	ds_load_b128 v[34:37], v5 offset:32240
	ds_load_b64 v[38:39], v5 offset:32760
	s_wait_dscnt 0x1
	v_dual_mov_b32 v96, v37 :: v_dual_mov_b32 v97, v36
	s_wait_dscnt 0x0
	v_dual_mul_f32 v41, v39, v35 :: v_dual_mul_f32 v40, v38, v35
	s_delay_alu instid0(VALU_DEP_1) | instskip(NEXT) | instid1(VALU_DEP_1)
	v_xor_b32_e32 v98, 0x80000000, v41
	v_dual_fmac_f32 v40, v39, v34 :: v_dual_fmac_f32 v98, v38, v34
	s_delay_alu instid0(VALU_DEP_1) | instskip(NEXT) | instid1(VALU_DEP_1)
	v_pk_mul_f32 v[34:35], v[40:41], v[96:97] op_sel_hi:[0,1]
	v_pk_fma_f32 v[38:39], v[98:99], v[36:37], v[34:35] op_sel_hi:[0,1,1]
	v_pk_fma_f32 v[34:35], v[98:99], v[36:37], v[34:35] neg_lo:[0,0,1] neg_hi:[0,0,1]
	v_add_nc_u32_e64 v36, 0x7800, 0
	s_delay_alu instid0(VALU_DEP_3)
	v_mov_b32_e32 v35, v39
	ds_store_2addr_b64 v36, v[34:35], v[34:35] offset0:191 offset1:254
.LBB167_1005:                           ;   in Loop: Header=BB167_3 Depth=1
	s_or_b32 exec_lo, exec_lo, s10
.LBB167_1006:                           ;   in Loop: Header=BB167_3 Depth=1
	v_add_nc_u64_e32 v[32:33], s[74:75], v[32:33]
	v_mov_b64_e32 v[34:35], 0
	s_wait_dscnt 0x0
	s_barrier_signal -1
	s_barrier_wait -1
	s_and_saveexec_b32 s10, s53
	s_cbranch_execz .LBB167_1008
; %bb.1007:                             ;   in Loop: Header=BB167_3 Depth=1
	v_lshl_add_u64 v[34:35], v[0:1], 3, v[32:33]
	v_readlane_b32 s56, v106, 25
	v_readlane_b32 s57, v106, 26
	flat_load_b64 v[34:35], v[34:35]
	v_mov_b64_e32 v[36:37], s[56:57]
	v_readlane_b32 s56, v106, 27
	v_readlane_b32 s57, v106, 28
	s_delay_alu instid0(VALU_DEP_1) | instskip(SKIP_1) | instid1(VALU_DEP_4)
	v_mov_b64_e32 v[38:39], s[56:57]
	s_wait_loadcnt_dscnt 0x0
	v_pk_mul_f32 v[36:37], v[36:37], v[34:35]
	s_delay_alu instid0(VALU_DEP_1)
	v_pk_fma_f32 v[34:35], v[38:39], v[34:35], v[36:37] op_sel:[0,0,1] op_sel_hi:[1,1,0] neg_lo:[1,0,0] neg_hi:[1,0,0]
.LBB167_1008:                           ;   in Loop: Header=BB167_3 Depth=1
	s_or_b32 exec_lo, exec_lo, s10
	s_delay_alu instid0(SALU_CYCLE_1)
	s_and_not1_b32 vcc_lo, exec_lo, s54
	s_cbranch_vccnz .LBB167_1027
; %bb.1009:                             ;   in Loop: Header=BB167_3 Depth=1
	v_mov_b32_e32 v40, -1
	s_lshl_b64 s[56:57], s[76:77], 2
	s_mov_b32 s10, 0
	s_add_nc_u64 s[88:89], s[84:85], s[56:57]
	s_branch .LBB167_1011
.LBB167_1010:                           ;   in Loop: Header=BB167_1011 Depth=2
	s_or_b32 exec_lo, exec_lo, s56
	s_add_co_i32 s10, s10, 1
	s_delay_alu instid0(SALU_CYCLE_1)
	s_cmp_eq_u32 s10, s90
	s_cbranch_scc1 .LBB167_1027
.LBB167_1011:                           ;   Parent Loop BB167_3 Depth=1
                                        ; =>  This Loop Header: Depth=2
                                        ;       Child Loop BB167_1013 Depth 3
	v_cmp_gt_i32_e32 vcc_lo, s10, v40
	s_and_b32 s57, s37, vcc_lo
	s_delay_alu instid0(SALU_CYCLE_1)
	s_and_saveexec_b32 s56, s57
	s_cbranch_execz .LBB167_1014
; %bb.1012:                             ;   in Loop: Header=BB167_1011 Depth=2
	global_load_b32 v40, v5, s[88:89]
	s_wait_loadcnt 0x0
	v_cmp_le_i32_e32 vcc_lo, s10, v40
	s_cbranch_vccnz .LBB167_1014
.LBB167_1013:                           ;   Parent Loop BB167_3 Depth=1
                                        ;     Parent Loop BB167_1011 Depth=2
                                        ; =>    This Inner Loop Header: Depth=3
	global_wb scope:SCOPE_DEV
	s_wait_storecnt 0x0
	global_inv scope:SCOPE_DEV
	global_load_b32 v40, v5, s[88:89]
	s_wait_loadcnt 0x0
	v_cmp_gt_i32_e32 vcc_lo, s10, v40
	s_cbranch_vccnz .LBB167_1013
.LBB167_1014:                           ;   in Loop: Header=BB167_1011 Depth=2
	s_or_b32 exec_lo, exec_lo, s56
	s_sub_co_i32 s56, s91, s10
	global_wb scope:SCOPE_DEV
	s_wait_storecnt 0x0
	global_inv scope:SCOPE_DEV
	s_lshl_b32 s66, s56, 6
	s_wait_loadcnt 0x0
	s_barrier_signal -1
	s_barrier_wait -1
	s_and_saveexec_b32 s57, s38
	s_cbranch_execz .LBB167_1019
; %bb.1015:                             ;   in Loop: Header=BB167_1011 Depth=2
	s_ashr_i32 vcc_lo, s66, 31
	s_delay_alu instid0(SALU_CYCLE_1) | instskip(NEXT) | instid1(VALU_DEP_1)
	v_dual_mov_b32 v37, vcc_lo :: v_dual_bitop2_b32 v36, s66, v4 bitop3:0x54
	v_cmp_le_i64_e32 vcc_lo, s[78:79], v[36:37]
	s_and_saveexec_b32 s58, vcc_lo
	s_delay_alu instid0(SALU_CYCLE_1)
	s_xor_b32 vcc_lo, exec_lo, s58
; %bb.1016:                             ;   in Loop: Header=BB167_1011 Depth=2
	ds_store_b64 v89, v[28:29]
                                        ; implicit-def: $vgpr36_vgpr37
; %bb.1017:                             ;   in Loop: Header=BB167_1011 Depth=2
	s_and_not1_saveexec_b32 s58, vcc_lo
	s_cbranch_execz .LBB167_1019
; %bb.1018:                             ;   in Loop: Header=BB167_1011 Depth=2
	v_mul_u64_e32 v[36:37], s[82:83], v[36:37]
	s_delay_alu instid0(VALU_DEP_1)
	v_lshl_add_u64 v[36:37], v[36:37], 3, v[32:33]
	flat_load_b64 v[36:37], v[36:37]
	s_wait_loadcnt_dscnt 0x0
	ds_store_b64 v89, v[36:37]
.LBB167_1019:                           ;   in Loop: Header=BB167_1011 Depth=2
	s_or_b32 exec_lo, exec_lo, s57
	v_add_nc_u32_e32 v36, s66, v42
	s_cmp_eq_u32 s56, s55
	s_wait_dscnt 0x0
	s_cselect_b32 vcc_lo, -1, 0
	s_barrier_signal -1
	v_ashrrev_i32_e32 v37, 31, v36
	v_cmp_gt_i32_e64 s66, s78, v36
	s_barrier_wait -1
	s_delay_alu instid0(VALU_DEP_2) | instskip(SKIP_1) | instid1(SALU_CYCLE_1)
	v_lshl_add_u64 v[38:39], v[36:37], 3, v[30:31]
	s_and_b32 s57, s66, s2
	s_and_saveexec_b32 s56, s57
	s_cbranch_execz .LBB167_1021
; %bb.1020:                             ;   in Loop: Header=BB167_1011 Depth=2
	s_delay_alu instid0(VALU_DEP_1) | instskip(SKIP_4) | instid1(VALU_DEP_1)
	v_dual_cndmask_b32 v97, v39, v21 :: v_dual_cndmask_b32 v96, v38, v20
	ds_load_b64 v[98:99], v82
	flat_load_b64 v[96:97], v[96:97]
	s_wait_loadcnt_dscnt 0x0
	v_dual_mul_f32 v37, v99, v97 :: v_dual_mul_f32 v41, v98, v97
	v_fmac_f32_e32 v41, v99, v96
	s_delay_alu instid0(VALU_DEP_1) | instskip(NEXT) | instid1(VALU_DEP_1)
	v_dual_fma_f32 v37, v98, v96, -v37 :: v_dual_add_f32 v35, v35, v41
	v_add_f32_e32 v34, v34, v37
.LBB167_1021:                           ;   in Loop: Header=BB167_1011 Depth=2
	s_or_b32 exec_lo, exec_lo, s56
	v_add_nc_u32_e32 v37, 16, v36
	s_delay_alu instid0(VALU_DEP_1) | instskip(SKIP_1) | instid1(SALU_CYCLE_1)
	v_cmp_gt_i32_e64 s66, s78, v37
	s_and_b32 s57, s66, s2
	s_and_saveexec_b32 s56, s57
	s_cbranch_execz .LBB167_1023
; %bb.1022:                             ;   in Loop: Header=BB167_1011 Depth=2
	v_add_nc_u64_e32 v[96:97], 0x80, v[38:39]
	ds_load_b64 v[98:99], v82 offset:128
	v_dual_cndmask_b32 v97, v97, v23 :: v_dual_cndmask_b32 v96, v96, v22
	flat_load_b64 v[96:97], v[96:97]
	s_wait_loadcnt_dscnt 0x0
	v_dual_mul_f32 v37, v99, v97 :: v_dual_mul_f32 v41, v98, v97
	s_delay_alu instid0(VALU_DEP_1) | instskip(NEXT) | instid1(VALU_DEP_1)
	v_fmac_f32_e32 v41, v99, v96
	v_dual_fma_f32 v37, v98, v96, -v37 :: v_dual_add_f32 v35, v35, v41
	s_delay_alu instid0(VALU_DEP_1)
	v_add_f32_e32 v34, v34, v37
.LBB167_1023:                           ;   in Loop: Header=BB167_1011 Depth=2
	s_or_b32 exec_lo, exec_lo, s56
	v_add_nc_u32_e32 v37, 32, v36
	s_delay_alu instid0(VALU_DEP_1) | instskip(SKIP_1) | instid1(SALU_CYCLE_1)
	v_cmp_gt_i32_e64 s66, s78, v37
	s_and_b32 s57, s66, s2
	s_and_saveexec_b32 s56, s57
	s_cbranch_execz .LBB167_1025
; %bb.1024:                             ;   in Loop: Header=BB167_1011 Depth=2
	v_add_nc_u64_e32 v[96:97], 0x100, v[38:39]
	ds_load_b64 v[98:99], v82 offset:256
	v_dual_cndmask_b32 v97, v97, v25 :: v_dual_cndmask_b32 v96, v96, v24
	flat_load_b64 v[96:97], v[96:97]
	s_wait_loadcnt_dscnt 0x0
	v_dual_mul_f32 v37, v99, v97 :: v_dual_mul_f32 v101, v98, v97
	s_delay_alu instid0(VALU_DEP_1) | instskip(NEXT) | instid1(VALU_DEP_2)
	v_fma_f32 v100, v98, v96, -v37
	v_fmac_f32_e32 v101, v99, v96
	s_delay_alu instid0(VALU_DEP_1)
	v_pk_add_f32 v[34:35], v[34:35], v[100:101]
.LBB167_1025:                           ;   in Loop: Header=BB167_1011 Depth=2
	s_or_b32 exec_lo, exec_lo, s56
	v_add_nc_u32_e32 v36, 48, v36
	s_delay_alu instid0(VALU_DEP_1) | instskip(SKIP_1) | instid1(SALU_CYCLE_1)
	v_cmp_gt_i32_e64 s66, s78, v36
	s_and_b32 s57, s66, s2
	s_and_saveexec_b32 s56, s57
	s_cbranch_execz .LBB167_1010
; %bb.1026:                             ;   in Loop: Header=BB167_1011 Depth=2
	v_add_nc_u64_e32 v[36:37], 0x180, v[38:39]
	ds_load_b64 v[38:39], v82 offset:384
	v_dual_cndmask_b32 v37, v37, v27 :: v_dual_cndmask_b32 v36, v36, v26
	flat_load_b64 v[36:37], v[36:37]
	s_wait_loadcnt_dscnt 0x0
	v_pk_mul_f32 v[96:97], v[38:39], v[36:37] op_sel:[1,1] op_sel_hi:[0,1]
	s_delay_alu instid0(VALU_DEP_1) | instskip(SKIP_1) | instid1(VALU_DEP_2)
	v_pk_fma_f32 v[98:99], v[38:39], v[36:37], v[96:97] op_sel_hi:[1,0,1]
	v_pk_fma_f32 v[36:37], v[38:39], v[36:37], v[96:97] neg_lo:[0,0,1] neg_hi:[0,0,1]
	v_mov_b32_e32 v37, v99
	s_delay_alu instid0(VALU_DEP_1)
	v_pk_add_f32 v[34:35], v[34:35], v[36:37]
	s_branch .LBB167_1010
.LBB167_1027:                           ;   in Loop: Header=BB167_3 Depth=1
	ds_store_b64 v90, v[34:35]
	s_wait_dscnt 0x0
	s_barrier_signal -1
	s_barrier_wait -1
	s_and_saveexec_b32 s10, s4
	s_cbranch_execz .LBB167_1029
; %bb.1028:                             ;   in Loop: Header=BB167_3 Depth=1
	ds_load_2addr_stride64_b64 v[36:39], v91 offset0:1 offset1:2
	ds_load_2addr_stride64_b64 v[96:99], v91 offset0:3 offset1:4
	;; [unrolled: 1-line block ×3, first 2 shown]
	s_wait_dscnt 0x2
	v_pk_add_f32 v[30:31], v[34:35], v[36:37]
	ds_load_2addr_stride64_b64 v[34:37], v91 offset0:7 offset1:8
	v_pk_add_f32 v[30:31], v[30:31], v[38:39]
	ds_load_2addr_stride64_b64 v[38:41], v91 offset0:9 offset1:10
	s_wait_dscnt 0x3
	v_pk_add_f32 v[30:31], v[30:31], v[96:97]
	s_delay_alu instid0(VALU_DEP_1) | instskip(SKIP_3) | instid1(VALU_DEP_1)
	v_pk_add_f32 v[30:31], v[30:31], v[98:99]
	ds_load_2addr_stride64_b64 v[96:99], v91 offset0:11 offset1:12
	s_wait_dscnt 0x3
	v_pk_add_f32 v[30:31], v[30:31], v[100:101]
	v_pk_add_f32 v[30:31], v[30:31], v[102:103]
	s_wait_dscnt 0x2
	s_delay_alu instid0(VALU_DEP_1) | instskip(NEXT) | instid1(VALU_DEP_1)
	v_pk_add_f32 v[30:31], v[30:31], v[34:35]
	v_pk_add_f32 v[30:31], v[30:31], v[36:37]
	ds_load_2addr_stride64_b64 v[34:37], v91 offset0:13 offset1:14
	s_wait_dscnt 0x2
	v_pk_add_f32 v[30:31], v[30:31], v[38:39]
	ds_load_b64 v[38:39], v91 offset:7680
	v_pk_add_f32 v[30:31], v[30:31], v[40:41]
	s_wait_dscnt 0x2
	s_delay_alu instid0(VALU_DEP_1) | instskip(NEXT) | instid1(VALU_DEP_1)
	v_pk_add_f32 v[30:31], v[30:31], v[96:97]
	v_pk_add_f32 v[30:31], v[30:31], v[98:99]
	s_wait_dscnt 0x1
	s_delay_alu instid0(VALU_DEP_1) | instskip(NEXT) | instid1(VALU_DEP_1)
	v_pk_add_f32 v[30:31], v[30:31], v[34:35]
	v_pk_add_f32 v[30:31], v[30:31], v[36:37]
	s_wait_dscnt 0x0
	s_delay_alu instid0(VALU_DEP_1) | instskip(NEXT) | instid1(VALU_DEP_1)
	v_pk_add_f32 v[30:31], v[30:31], v[38:39]
	v_cndmask_b32_e64 v35, -v31, 0, s93
	s_delay_alu instid0(VALU_DEP_2)
	v_cndmask_b32_e64 v34, -v30, 0, s93
.LBB167_1029:                           ;   in Loop: Header=BB167_3 Depth=1
	s_or_b32 exec_lo, exec_lo, s10
	s_delay_alu instid0(SALU_CYCLE_1)
	s_and_not1_b32 vcc_lo, exec_lo, s94
	s_cbranch_vccnz .LBB167_1039
; %bb.1030:                             ;   in Loop: Header=BB167_3 Depth=1
	s_and_saveexec_b32 s10, s4
; %bb.1031:                             ;   in Loop: Header=BB167_3 Depth=1
	ds_store_b64 v93, v[34:35]
; %bb.1032:                             ;   in Loop: Header=BB167_3 Depth=1
	s_or_b32 exec_lo, exec_lo, s10
	v_mov_b64_e32 v[30:31], 0
	s_wait_dscnt 0x0
	s_barrier_signal -1
	s_barrier_wait -1
	s_and_saveexec_b32 s10, s0
	s_cbranch_execnz .LBB167_1103
; %bb.1033:                             ;   in Loop: Header=BB167_3 Depth=1
	s_or_b32 exec_lo, exec_lo, s10
	s_and_saveexec_b32 s10, s1
	s_cbranch_execnz .LBB167_1104
.LBB167_1034:                           ;   in Loop: Header=BB167_3 Depth=1
	s_or_b32 exec_lo, exec_lo, s10
	s_and_saveexec_b32 s10, s8
	s_cbranch_execnz .LBB167_1105
.LBB167_1035:                           ;   in Loop: Header=BB167_3 Depth=1
	s_or_b32 exec_lo, exec_lo, s10
	s_and_saveexec_b32 s10, s9
	s_cbranch_execz .LBB167_1037
.LBB167_1036:                           ;   in Loop: Header=BB167_3 Depth=1
	ds_load_b64 v[36:37], v92 offset:24576
	ds_load_b64 v[38:39], v82 offset:384
	s_wait_dscnt 0x0
	v_pk_mul_f32 v[40:41], v[38:39], v[36:37] op_sel:[1,1] op_sel_hi:[0,1]
	s_delay_alu instid0(VALU_DEP_1) | instskip(SKIP_1) | instid1(VALU_DEP_2)
	v_pk_fma_f32 v[96:97], v[38:39], v[36:37], v[40:41] op_sel_hi:[1,0,1]
	v_pk_fma_f32 v[36:37], v[38:39], v[36:37], v[40:41] neg_lo:[0,0,1] neg_hi:[0,0,1]
	v_mov_b32_e32 v37, v97
	s_delay_alu instid0(VALU_DEP_1)
	v_pk_add_f32 v[30:31], v[30:31], v[36:37]
.LBB167_1037:                           ;   in Loop: Header=BB167_3 Depth=1
	s_or_b32 exec_lo, exec_lo, s10
	s_mov_b32 s10, 0
	s_mov_b32 s66, 0
	ds_store_b64 v90, v[30:31]
	s_wait_dscnt 0x0
	s_barrier_signal -1
	s_barrier_wait -1
                                        ; implicit-def: $vgpr36_vgpr37
	s_and_saveexec_b32 s56, s4
	s_cbranch_execz .LBB167_1106
; %bb.1038:                             ;   in Loop: Header=BB167_3 Depth=1
	ds_load_2addr_stride64_b64 v[36:39], v91 offset0:1 offset1:2
	ds_load_2addr_stride64_b64 v[96:99], v91 offset0:3 offset1:4
	;; [unrolled: 1-line block ×3, first 2 shown]
	ds_load_b64 v[40:41], v91 offset:7680
	s_mov_b32 s66, exec_lo
	s_wait_dscnt 0x3
	v_pk_add_f32 v[30:31], v[30:31], v[36:37]
	s_delay_alu instid0(VALU_DEP_1) | instskip(SKIP_3) | instid1(VALU_DEP_1)
	v_pk_add_f32 v[30:31], v[30:31], v[38:39]
	ds_load_2addr_stride64_b64 v[36:39], v91 offset0:7 offset1:8
	s_wait_dscnt 0x3
	v_pk_add_f32 v[30:31], v[30:31], v[96:97]
	v_pk_add_f32 v[30:31], v[30:31], v[98:99]
	ds_load_2addr_stride64_b64 v[96:99], v91 offset0:9 offset1:10
	s_wait_dscnt 0x3
	v_pk_add_f32 v[30:31], v[30:31], v[100:101]
	s_delay_alu instid0(VALU_DEP_1) | instskip(SKIP_3) | instid1(VALU_DEP_1)
	v_pk_add_f32 v[30:31], v[30:31], v[102:103]
	ds_load_2addr_stride64_b64 v[100:103], v91 offset0:11 offset1:12
	s_wait_dscnt 0x2
	v_pk_add_f32 v[30:31], v[30:31], v[36:37]
	v_pk_add_f32 v[30:31], v[30:31], v[38:39]
	ds_load_2addr_stride64_b64 v[36:39], v91 offset0:13 offset1:14
	s_wait_dscnt 0x2
	v_pk_add_f32 v[30:31], v[30:31], v[96:97]
	s_delay_alu instid0(VALU_DEP_1) | instskip(SKIP_1) | instid1(VALU_DEP_1)
	v_pk_add_f32 v[30:31], v[30:31], v[98:99]
	s_wait_dscnt 0x1
	v_pk_add_f32 v[30:31], v[30:31], v[100:101]
	s_delay_alu instid0(VALU_DEP_1) | instskip(SKIP_1) | instid1(VALU_DEP_1)
	v_pk_add_f32 v[30:31], v[30:31], v[102:103]
	s_wait_dscnt 0x0
	v_pk_add_f32 v[30:31], v[30:31], v[36:37]
	s_delay_alu instid0(VALU_DEP_1) | instskip(NEXT) | instid1(VALU_DEP_1)
	v_pk_add_f32 v[30:31], v[30:31], v[38:39]
	v_pk_add_f32 v[36:37], v[30:31], v[40:41]
	s_or_b32 exec_lo, exec_lo, s56
	s_delay_alu instid0(SALU_CYCLE_1)
	s_and_b32 vcc_lo, exec_lo, s10
	s_cbranch_vccnz .LBB167_1040
	s_branch .LBB167_1107
.LBB167_1039:                           ;   in Loop: Header=BB167_3 Depth=1
	s_mov_b32 s66, 0
                                        ; implicit-def: $vgpr36_vgpr37
	s_cbranch_execz .LBB167_1107
.LBB167_1040:                           ;   in Loop: Header=BB167_3 Depth=1
	v_dual_mov_b32 v30, v95 :: v_dual_mov_b32 v31, v84
	s_mov_b32 s10, 63
	s_branch .LBB167_1042
.LBB167_1041:                           ;   in Loop: Header=BB167_1042 Depth=2
	s_or_b32 exec_lo, exec_lo, s56
	v_add_nc_u32_e32 v31, 0xfffffc00, v31
	v_add_nc_u32_e32 v30, 2, v30
	s_add_co_i32 s10, s10, -2
	s_cmp_lg_u32 s88, 0
	s_barrier_signal -1
	s_barrier_wait -1
	s_cbranch_scc0 .LBB167_1050
.LBB167_1042:                           ;   Parent Loop BB167_3 Depth=1
                                        ; =>  This Inner Loop Header: Depth=2
	s_delay_alu instid0(VALU_DEP_1) | instskip(SKIP_2) | instid1(SALU_CYCLE_1)
	v_cmp_eq_u32_e32 vcc_lo, 0, v30
	v_add_nc_u32_e32 v36, v81, v45
	s_and_b32 s57, s4, vcc_lo
	s_and_saveexec_b32 s56, s57
	s_cbranch_execz .LBB167_1044
; %bb.1043:                             ;   in Loop: Header=BB167_1042 Depth=2
	ds_load_b64 v[38:39], v36
	s_wait_dscnt 0x0
	v_pk_mul_f32 v[40:41], v[34:35], v[38:39] op_sel:[1,1] op_sel_hi:[1,0]
	s_delay_alu instid0(VALU_DEP_1) | instskip(SKIP_1) | instid1(VALU_DEP_2)
	v_pk_fma_f32 v[96:97], v[34:35], v[38:39], v[40:41] op_sel_hi:[0,1,1]
	v_pk_fma_f32 v[38:39], v[34:35], v[38:39], v[40:41] neg_lo:[0,0,1] neg_hi:[0,0,1]
	v_mov_b32_e32 v39, v97
	s_delay_alu instid0(VALU_DEP_1)
	v_mov_b64_e32 v[34:35], v[38:39]
	ds_store_b64 v5, v[38:39] offset:41472
.LBB167_1044:                           ;   in Loop: Header=BB167_1042 Depth=2
	s_or_b32 exec_lo, exec_lo, s56
	v_cmp_gt_u32_e32 vcc_lo, s10, v2
	s_wait_dscnt 0x0
	s_barrier_signal -1
	s_barrier_wait -1
	s_and_b32 s57, s4, vcc_lo
	s_delay_alu instid0(SALU_CYCLE_1)
	s_and_saveexec_b32 s56, s57
	s_cbranch_execz .LBB167_1046
; %bb.1045:                             ;   in Loop: Header=BB167_1042 Depth=2
	ds_load_b64 v[38:39], v31 offset:512
	ds_load_b64 v[40:41], v5 offset:41472
	s_wait_dscnt 0x0
	v_pk_mul_f32 v[96:97], v[40:41], v[38:39] op_sel:[1,1] op_sel_hi:[0,1]
	s_delay_alu instid0(VALU_DEP_1) | instskip(SKIP_1) | instid1(VALU_DEP_2)
	v_pk_fma_f32 v[98:99], v[40:41], v[38:39], v[96:97] op_sel_hi:[1,0,1]
	v_pk_fma_f32 v[38:39], v[40:41], v[38:39], v[96:97] neg_lo:[0,0,1] neg_hi:[0,0,1]
	v_mov_b32_e32 v39, v99
	s_delay_alu instid0(VALU_DEP_1)
	v_pk_add_f32 v[34:35], v[34:35], v[38:39]
.LBB167_1046:                           ;   in Loop: Header=BB167_1042 Depth=2
	s_or_b32 exec_lo, exec_lo, s56
	s_add_co_i32 s88, s10, -1
	s_delay_alu instid0(SALU_CYCLE_1) | instskip(SKIP_3) | instid1(SALU_CYCLE_1)
	v_cmp_eq_u32_e32 vcc_lo, s88, v2
	s_barrier_signal -1
	s_barrier_wait -1
	s_and_b32 s57, s4, vcc_lo
	s_and_saveexec_b32 s56, s57
	s_cbranch_execz .LBB167_1048
; %bb.1047:                             ;   in Loop: Header=BB167_1042 Depth=2
	ds_load_b64 v[36:37], v36
	s_wait_dscnt 0x0
	v_pk_mul_f32 v[38:39], v[34:35], v[36:37] op_sel:[1,1] op_sel_hi:[1,0]
	s_delay_alu instid0(VALU_DEP_1) | instskip(SKIP_1) | instid1(VALU_DEP_2)
	v_pk_fma_f32 v[40:41], v[34:35], v[36:37], v[38:39] op_sel_hi:[0,1,1]
	v_pk_fma_f32 v[36:37], v[34:35], v[36:37], v[38:39] neg_lo:[0,0,1] neg_hi:[0,0,1]
	v_mov_b32_e32 v37, v41
	s_delay_alu instid0(VALU_DEP_1)
	v_mov_b64_e32 v[34:35], v[36:37]
	ds_store_b64 v5, v[36:37] offset:41472
.LBB167_1048:                           ;   in Loop: Header=BB167_1042 Depth=2
	s_or_b32 exec_lo, exec_lo, s56
	v_cmp_gt_u32_e32 vcc_lo, s88, v2
	s_wait_dscnt 0x0
	s_barrier_signal -1
	s_barrier_wait -1
	s_and_b32 s57, s4, vcc_lo
	s_delay_alu instid0(SALU_CYCLE_1)
	s_and_saveexec_b32 s56, s57
	s_cbranch_execz .LBB167_1041
; %bb.1049:                             ;   in Loop: Header=BB167_1042 Depth=2
	ds_load_b64 v[36:37], v31
	ds_load_b64 v[38:39], v5 offset:41472
	s_wait_dscnt 0x0
	v_pk_mul_f32 v[40:41], v[38:39], v[36:37] op_sel:[1,1] op_sel_hi:[0,1]
	s_delay_alu instid0(VALU_DEP_1) | instskip(SKIP_1) | instid1(VALU_DEP_2)
	v_pk_fma_f32 v[96:97], v[38:39], v[36:37], v[40:41] op_sel_hi:[1,0,1]
	v_pk_fma_f32 v[36:37], v[38:39], v[36:37], v[40:41] neg_lo:[0,0,1] neg_hi:[0,0,1]
	v_mov_b32_e32 v37, v97
	s_delay_alu instid0(VALU_DEP_1)
	v_pk_add_f32 v[34:35], v[34:35], v[36:37]
	s_branch .LBB167_1041
.LBB167_1050:                           ;   in Loop: Header=BB167_3 Depth=1
	s_and_b32 vcc_lo, exec_lo, s92
	s_mov_b32 s10, -1
	s_cbranch_vccnz .LBB167_1108
; %bb.1051:                             ;   in Loop: Header=BB167_3 Depth=1
	s_and_not1_b32 vcc_lo, exec_lo, s10
	s_cbranch_vccz .LBB167_1109
.LBB167_1052:                           ;   in Loop: Header=BB167_3 Depth=1
	s_and_saveexec_b32 s10, s66
	s_cbranch_execz .LBB167_1054
.LBB167_1053:                           ;   in Loop: Header=BB167_3 Depth=1
	v_lshl_add_u64 v[30:31], v[12:13], 3, v[32:33]
	flat_store_b64 v[30:31], v[34:35]
.LBB167_1054:                           ;   in Loop: Header=BB167_3 Depth=1
	s_wait_xcnt 0x0
	s_or_b32 exec_lo, exec_lo, s10
	global_wb scope:SCOPE_DEV
	s_wait_storecnt_dscnt 0x0
	global_inv scope:SCOPE_DEV
	s_wait_loadcnt 0x0
	s_barrier_signal -1
	s_barrier_wait -1
	s_and_saveexec_b32 s10, s37
	s_cbranch_execz .LBB167_2
; %bb.1055:                             ;   in Loop: Header=BB167_3 Depth=1
	s_lshl_b64 s[56:57], s[76:77], 2
	s_delay_alu instid0(SALU_CYCLE_1)
	s_add_nc_u64 s[56:57], s[84:85], s[56:57]
	global_load_b32 v30, v5, s[56:57]
	s_wait_loadcnt 0x0
	v_add_nc_u32_e32 v30, 1, v30
	global_store_b32 v5, v30, s[56:57]
	s_branch .LBB167_2
.LBB167_1056:                           ;   in Loop: Header=BB167_3 Depth=1
	s_mov_b32 s56, exec_lo
	v_readlane_b32 s57, v106, 17
	s_and_b32 s57, s56, s57
	s_delay_alu instid0(SALU_CYCLE_1)
	s_xor_b32 s56, s57, s56
	s_mov_b32 exec_lo, s57
	s_cbranch_execz .LBB167_1060
; %bb.1057:                             ;   in Loop: Header=BB167_3 Depth=1
	v_readlane_b32 s58, v105, 9
	s_and_saveexec_b32 s57, s58
; %bb.1058:                             ;   in Loop: Header=BB167_3 Depth=1
	ds_store_b64 v72, v[28:29]
; %bb.1059:                             ;   in Loop: Header=BB167_3 Depth=1
	s_or_b32 exec_lo, exec_lo, s57
.LBB167_1060:                           ;   in Loop: Header=BB167_3 Depth=1
	s_and_not1_saveexec_b32 s66, s56
	s_cbranch_execz .LBB167_1066
; %bb.1061:                             ;   in Loop: Header=BB167_3 Depth=1
	v_lshl_add_u64 v[36:37], v[10:11], 3, v[34:35]
                                        ; implicit-def: $vgpr38_vgpr39
	flat_load_b64 v[36:37], v[36:37]
	s_wait_loadcnt_dscnt 0x0
	v_cmp_ngt_f32_e64 s56, |v36|, |v37|
	s_wait_xcnt 0x0
	s_and_saveexec_b32 s57, s56
	s_delay_alu instid0(SALU_CYCLE_1)
	s_xor_b32 s56, exec_lo, s57
	s_cbranch_execz .LBB167_1063
; %bb.1062:                             ;   in Loop: Header=BB167_3 Depth=1
	v_div_scale_f32 v38, null, v37, v37, v36
	v_div_scale_f32 v41, vcc_lo, v36, v37, v36
	s_delay_alu instid0(VALU_DEP_2) | instskip(SKIP_1) | instid1(TRANS32_DEP_1)
	v_rcp_f32_e32 v39, v38
	v_nop
	v_fma_f32 v40, -v38, v39, 1.0
	s_delay_alu instid0(VALU_DEP_1) | instskip(NEXT) | instid1(VALU_DEP_1)
	v_fmac_f32_e32 v39, v40, v39
	v_mul_f32_e32 v40, v41, v39
	s_delay_alu instid0(VALU_DEP_1) | instskip(NEXT) | instid1(VALU_DEP_1)
	v_fma_f32 v96, -v38, v40, v41
	v_fmac_f32_e32 v40, v96, v39
	s_delay_alu instid0(VALU_DEP_1) | instskip(NEXT) | instid1(VALU_DEP_1)
	v_fma_f32 v38, -v38, v40, v41
	v_div_fmas_f32 v38, v38, v39, v40
	s_delay_alu instid0(VALU_DEP_1) | instskip(NEXT) | instid1(VALU_DEP_1)
	v_div_fixup_f32 v38, v38, v37, v36
	v_fmac_f32_e32 v37, v36, v38
	s_delay_alu instid0(VALU_DEP_1) | instskip(SKIP_1) | instid1(VALU_DEP_2)
	v_div_scale_f32 v36, null, v37, v37, 1.0
	v_div_scale_f32 v41, vcc_lo, 1.0, v37, 1.0
	v_rcp_f32_e32 v39, v36
	v_nop
	s_delay_alu instid0(TRANS32_DEP_1) | instskip(NEXT) | instid1(VALU_DEP_1)
	v_fma_f32 v40, -v36, v39, 1.0
	v_fmac_f32_e32 v39, v40, v39
	s_delay_alu instid0(VALU_DEP_1) | instskip(NEXT) | instid1(VALU_DEP_1)
	v_mul_f32_e32 v40, v41, v39
	v_fma_f32 v96, -v36, v40, v41
	s_delay_alu instid0(VALU_DEP_1) | instskip(NEXT) | instid1(VALU_DEP_1)
	v_fmac_f32_e32 v40, v96, v39
	v_fma_f32 v36, -v36, v40, v41
	s_delay_alu instid0(VALU_DEP_1) | instskip(NEXT) | instid1(VALU_DEP_1)
	v_div_fmas_f32 v36, v36, v39, v40
	v_div_fixup_f32 v36, v36, v37, 1.0
	s_delay_alu instid0(VALU_DEP_1)
	v_mul_f32_e32 v38, v38, v36
	v_xor_b32_e32 v39, 0x80000000, v36
                                        ; implicit-def: $vgpr36_vgpr37
.LBB167_1063:                           ;   in Loop: Header=BB167_3 Depth=1
	s_and_not1_saveexec_b32 s56, s56
	s_cbranch_execz .LBB167_1065
; %bb.1064:                             ;   in Loop: Header=BB167_3 Depth=1
	v_div_scale_f32 v38, null, v36, v36, v37
	v_div_scale_f32 v41, vcc_lo, v37, v36, v37
	s_delay_alu instid0(VALU_DEP_2) | instskip(SKIP_1) | instid1(TRANS32_DEP_1)
	v_rcp_f32_e32 v39, v38
	v_nop
	v_fma_f32 v40, -v38, v39, 1.0
	s_delay_alu instid0(VALU_DEP_1) | instskip(NEXT) | instid1(VALU_DEP_1)
	v_fmac_f32_e32 v39, v40, v39
	v_mul_f32_e32 v40, v41, v39
	s_delay_alu instid0(VALU_DEP_1) | instskip(NEXT) | instid1(VALU_DEP_1)
	v_fma_f32 v96, -v38, v40, v41
	v_fmac_f32_e32 v40, v96, v39
	s_delay_alu instid0(VALU_DEP_1) | instskip(NEXT) | instid1(VALU_DEP_1)
	v_fma_f32 v38, -v38, v40, v41
	v_div_fmas_f32 v38, v38, v39, v40
	s_delay_alu instid0(VALU_DEP_1) | instskip(NEXT) | instid1(VALU_DEP_1)
	v_div_fixup_f32 v39, v38, v36, v37
	v_fmac_f32_e32 v36, v37, v39
	s_delay_alu instid0(VALU_DEP_1) | instskip(NEXT) | instid1(VALU_DEP_1)
	v_div_scale_f32 v37, null, v36, v36, 1.0
	v_rcp_f32_e32 v38, v37
	v_nop
	s_delay_alu instid0(TRANS32_DEP_1) | instskip(NEXT) | instid1(VALU_DEP_1)
	v_fma_f32 v40, -v37, v38, 1.0
	v_fmac_f32_e32 v38, v40, v38
	v_div_scale_f32 v40, vcc_lo, 1.0, v36, 1.0
	s_delay_alu instid0(VALU_DEP_1) | instskip(NEXT) | instid1(VALU_DEP_1)
	v_mul_f32_e32 v41, v40, v38
	v_fma_f32 v96, -v37, v41, v40
	s_delay_alu instid0(VALU_DEP_1) | instskip(NEXT) | instid1(VALU_DEP_1)
	v_fmac_f32_e32 v41, v96, v38
	v_fma_f32 v37, -v37, v41, v40
	s_delay_alu instid0(VALU_DEP_1) | instskip(NEXT) | instid1(VALU_DEP_1)
	v_div_fmas_f32 v37, v37, v38, v41
	v_div_fixup_f32 v38, v37, v36, 1.0
	s_delay_alu instid0(VALU_DEP_1)
	v_mul_f32_e64 v39, v39, -v38
.LBB167_1065:                           ;   in Loop: Header=BB167_3 Depth=1
	s_or_b32 exec_lo, exec_lo, s56
	ds_store_b64 v72, v[38:39]
.LBB167_1066:                           ;   in Loop: Header=BB167_3 Depth=1
	s_or_b32 exec_lo, exec_lo, s66
	s_and_not1_saveexec_b32 s10, s10
	s_cbranch_execz .LBB167_18
.LBB167_1067:                           ;   in Loop: Header=BB167_3 Depth=1
	v_lshl_add_u64 v[36:37], v[10:11], 3, v[34:35]
	flat_load_b64 v[36:37], v[36:37]
	s_wait_loadcnt_dscnt 0x0
	v_pk_add_f32 v[36:37], v[36:37], 0 neg_lo:[1,1] neg_hi:[1,1]
	ds_store_b64 v72, v[36:37]
	s_or_b32 exec_lo, exec_lo, s10
	s_and_saveexec_b32 s10, s1
	s_delay_alu instid0(SALU_CYCLE_1)
	s_xor_b32 s10, exec_lo, s10
	s_cbranch_execz .LBB167_19
.LBB167_1068:                           ;   in Loop: Header=BB167_3 Depth=1
	s_mov_b32 s56, exec_lo
	v_readlane_b32 s57, v106, 19
	s_and_b32 s57, s56, s57
	s_delay_alu instid0(SALU_CYCLE_1)
	s_xor_b32 s56, s57, s56
	s_mov_b32 exec_lo, s57
	s_cbranch_execz .LBB167_1072
; %bb.1069:                             ;   in Loop: Header=BB167_3 Depth=1
	v_readlane_b32 s58, v105, 10
	s_and_saveexec_b32 s57, s58
; %bb.1070:                             ;   in Loop: Header=BB167_3 Depth=1
	ds_store_b64 v75, v[28:29]
; %bb.1071:                             ;   in Loop: Header=BB167_3 Depth=1
	s_or_b32 exec_lo, exec_lo, s57
.LBB167_1072:                           ;   in Loop: Header=BB167_3 Depth=1
	s_and_not1_saveexec_b32 s66, s56
	s_cbranch_execz .LBB167_1078
; %bb.1073:                             ;   in Loop: Header=BB167_3 Depth=1
	v_lshl_add_u64 v[36:37], v[14:15], 3, v[34:35]
                                        ; implicit-def: $vgpr38_vgpr39
	flat_load_b64 v[36:37], v[36:37]
	s_wait_loadcnt_dscnt 0x0
	v_cmp_ngt_f32_e64 s56, |v36|, |v37|
	s_wait_xcnt 0x0
	s_and_saveexec_b32 s57, s56
	s_delay_alu instid0(SALU_CYCLE_1)
	s_xor_b32 s56, exec_lo, s57
	s_cbranch_execz .LBB167_1075
; %bb.1074:                             ;   in Loop: Header=BB167_3 Depth=1
	v_div_scale_f32 v38, null, v37, v37, v36
	v_div_scale_f32 v41, vcc_lo, v36, v37, v36
	s_delay_alu instid0(VALU_DEP_2) | instskip(SKIP_1) | instid1(TRANS32_DEP_1)
	v_rcp_f32_e32 v39, v38
	v_nop
	v_fma_f32 v40, -v38, v39, 1.0
	s_delay_alu instid0(VALU_DEP_1) | instskip(NEXT) | instid1(VALU_DEP_1)
	v_fmac_f32_e32 v39, v40, v39
	v_mul_f32_e32 v40, v41, v39
	s_delay_alu instid0(VALU_DEP_1) | instskip(NEXT) | instid1(VALU_DEP_1)
	v_fma_f32 v96, -v38, v40, v41
	v_fmac_f32_e32 v40, v96, v39
	s_delay_alu instid0(VALU_DEP_1) | instskip(NEXT) | instid1(VALU_DEP_1)
	v_fma_f32 v38, -v38, v40, v41
	v_div_fmas_f32 v38, v38, v39, v40
	s_delay_alu instid0(VALU_DEP_1) | instskip(NEXT) | instid1(VALU_DEP_1)
	v_div_fixup_f32 v38, v38, v37, v36
	v_fmac_f32_e32 v37, v36, v38
	s_delay_alu instid0(VALU_DEP_1) | instskip(SKIP_1) | instid1(VALU_DEP_2)
	v_div_scale_f32 v36, null, v37, v37, 1.0
	v_div_scale_f32 v41, vcc_lo, 1.0, v37, 1.0
	v_rcp_f32_e32 v39, v36
	v_nop
	s_delay_alu instid0(TRANS32_DEP_1) | instskip(NEXT) | instid1(VALU_DEP_1)
	v_fma_f32 v40, -v36, v39, 1.0
	v_fmac_f32_e32 v39, v40, v39
	s_delay_alu instid0(VALU_DEP_1) | instskip(NEXT) | instid1(VALU_DEP_1)
	v_mul_f32_e32 v40, v41, v39
	v_fma_f32 v96, -v36, v40, v41
	s_delay_alu instid0(VALU_DEP_1) | instskip(NEXT) | instid1(VALU_DEP_1)
	v_fmac_f32_e32 v40, v96, v39
	v_fma_f32 v36, -v36, v40, v41
	s_delay_alu instid0(VALU_DEP_1) | instskip(NEXT) | instid1(VALU_DEP_1)
	v_div_fmas_f32 v36, v36, v39, v40
	v_div_fixup_f32 v36, v36, v37, 1.0
	s_delay_alu instid0(VALU_DEP_1)
	v_mul_f32_e32 v38, v38, v36
	v_xor_b32_e32 v39, 0x80000000, v36
                                        ; implicit-def: $vgpr36_vgpr37
.LBB167_1075:                           ;   in Loop: Header=BB167_3 Depth=1
	s_and_not1_saveexec_b32 s56, s56
	s_cbranch_execz .LBB167_1077
; %bb.1076:                             ;   in Loop: Header=BB167_3 Depth=1
	v_div_scale_f32 v38, null, v36, v36, v37
	v_div_scale_f32 v41, vcc_lo, v37, v36, v37
	s_delay_alu instid0(VALU_DEP_2) | instskip(SKIP_1) | instid1(TRANS32_DEP_1)
	v_rcp_f32_e32 v39, v38
	v_nop
	v_fma_f32 v40, -v38, v39, 1.0
	s_delay_alu instid0(VALU_DEP_1) | instskip(NEXT) | instid1(VALU_DEP_1)
	v_fmac_f32_e32 v39, v40, v39
	v_mul_f32_e32 v40, v41, v39
	s_delay_alu instid0(VALU_DEP_1) | instskip(NEXT) | instid1(VALU_DEP_1)
	v_fma_f32 v96, -v38, v40, v41
	v_fmac_f32_e32 v40, v96, v39
	s_delay_alu instid0(VALU_DEP_1) | instskip(NEXT) | instid1(VALU_DEP_1)
	v_fma_f32 v38, -v38, v40, v41
	v_div_fmas_f32 v38, v38, v39, v40
	s_delay_alu instid0(VALU_DEP_1) | instskip(NEXT) | instid1(VALU_DEP_1)
	v_div_fixup_f32 v39, v38, v36, v37
	v_fmac_f32_e32 v36, v37, v39
	s_delay_alu instid0(VALU_DEP_1) | instskip(NEXT) | instid1(VALU_DEP_1)
	v_div_scale_f32 v37, null, v36, v36, 1.0
	v_rcp_f32_e32 v38, v37
	v_nop
	s_delay_alu instid0(TRANS32_DEP_1) | instskip(NEXT) | instid1(VALU_DEP_1)
	v_fma_f32 v40, -v37, v38, 1.0
	v_fmac_f32_e32 v38, v40, v38
	v_div_scale_f32 v40, vcc_lo, 1.0, v36, 1.0
	s_delay_alu instid0(VALU_DEP_1) | instskip(NEXT) | instid1(VALU_DEP_1)
	v_mul_f32_e32 v41, v40, v38
	v_fma_f32 v96, -v37, v41, v40
	s_delay_alu instid0(VALU_DEP_1) | instskip(NEXT) | instid1(VALU_DEP_1)
	v_fmac_f32_e32 v41, v96, v38
	v_fma_f32 v37, -v37, v41, v40
	s_delay_alu instid0(VALU_DEP_1) | instskip(NEXT) | instid1(VALU_DEP_1)
	v_div_fmas_f32 v37, v37, v38, v41
	v_div_fixup_f32 v38, v37, v36, 1.0
	s_delay_alu instid0(VALU_DEP_1)
	v_mul_f32_e64 v39, v39, -v38
.LBB167_1077:                           ;   in Loop: Header=BB167_3 Depth=1
	s_or_b32 exec_lo, exec_lo, s56
	ds_store_b64 v75, v[38:39]
.LBB167_1078:                           ;   in Loop: Header=BB167_3 Depth=1
	s_or_b32 exec_lo, exec_lo, s66
	s_and_not1_saveexec_b32 s10, s10
	s_cbranch_execz .LBB167_20
.LBB167_1079:                           ;   in Loop: Header=BB167_3 Depth=1
	v_lshl_add_u64 v[36:37], v[14:15], 3, v[34:35]
	flat_load_b64 v[36:37], v[36:37]
	s_wait_loadcnt_dscnt 0x0
	v_pk_add_f32 v[36:37], v[36:37], 0 neg_lo:[1,1] neg_hi:[1,1]
	ds_store_b64 v75, v[36:37]
	s_or_b32 exec_lo, exec_lo, s10
	s_and_saveexec_b32 s10, s8
	s_delay_alu instid0(SALU_CYCLE_1)
	s_xor_b32 s10, exec_lo, s10
	s_cbranch_execz .LBB167_21
.LBB167_1080:                           ;   in Loop: Header=BB167_3 Depth=1
	s_mov_b32 s56, exec_lo
	v_readlane_b32 s57, v106, 21
	s_and_b32 s57, s56, s57
	s_delay_alu instid0(SALU_CYCLE_1)
	s_xor_b32 s56, s57, s56
	s_mov_b32 exec_lo, s57
	s_cbranch_execz .LBB167_1084
; %bb.1081:                             ;   in Loop: Header=BB167_3 Depth=1
	v_readlane_b32 s58, v105, 11
	s_and_saveexec_b32 s57, s58
; %bb.1082:                             ;   in Loop: Header=BB167_3 Depth=1
	ds_store_b64 v77, v[28:29]
; %bb.1083:                             ;   in Loop: Header=BB167_3 Depth=1
	s_or_b32 exec_lo, exec_lo, s57
.LBB167_1084:                           ;   in Loop: Header=BB167_3 Depth=1
	s_and_not1_saveexec_b32 s66, s56
	s_cbranch_execz .LBB167_1090
; %bb.1085:                             ;   in Loop: Header=BB167_3 Depth=1
	v_lshl_add_u64 v[36:37], v[16:17], 3, v[34:35]
                                        ; implicit-def: $vgpr38_vgpr39
	flat_load_b64 v[36:37], v[36:37]
	s_wait_loadcnt_dscnt 0x0
	v_cmp_ngt_f32_e64 s56, |v36|, |v37|
	s_wait_xcnt 0x0
	s_and_saveexec_b32 s57, s56
	s_delay_alu instid0(SALU_CYCLE_1)
	s_xor_b32 s56, exec_lo, s57
	s_cbranch_execz .LBB167_1087
; %bb.1086:                             ;   in Loop: Header=BB167_3 Depth=1
	v_div_scale_f32 v38, null, v37, v37, v36
	v_div_scale_f32 v41, vcc_lo, v36, v37, v36
	s_delay_alu instid0(VALU_DEP_2) | instskip(SKIP_1) | instid1(TRANS32_DEP_1)
	v_rcp_f32_e32 v39, v38
	v_nop
	v_fma_f32 v40, -v38, v39, 1.0
	s_delay_alu instid0(VALU_DEP_1) | instskip(NEXT) | instid1(VALU_DEP_1)
	v_fmac_f32_e32 v39, v40, v39
	v_mul_f32_e32 v40, v41, v39
	s_delay_alu instid0(VALU_DEP_1) | instskip(NEXT) | instid1(VALU_DEP_1)
	v_fma_f32 v96, -v38, v40, v41
	v_fmac_f32_e32 v40, v96, v39
	s_delay_alu instid0(VALU_DEP_1) | instskip(NEXT) | instid1(VALU_DEP_1)
	v_fma_f32 v38, -v38, v40, v41
	v_div_fmas_f32 v38, v38, v39, v40
	s_delay_alu instid0(VALU_DEP_1) | instskip(NEXT) | instid1(VALU_DEP_1)
	v_div_fixup_f32 v38, v38, v37, v36
	v_fmac_f32_e32 v37, v36, v38
	s_delay_alu instid0(VALU_DEP_1) | instskip(SKIP_1) | instid1(VALU_DEP_2)
	v_div_scale_f32 v36, null, v37, v37, 1.0
	v_div_scale_f32 v41, vcc_lo, 1.0, v37, 1.0
	v_rcp_f32_e32 v39, v36
	v_nop
	s_delay_alu instid0(TRANS32_DEP_1) | instskip(NEXT) | instid1(VALU_DEP_1)
	v_fma_f32 v40, -v36, v39, 1.0
	v_fmac_f32_e32 v39, v40, v39
	s_delay_alu instid0(VALU_DEP_1) | instskip(NEXT) | instid1(VALU_DEP_1)
	v_mul_f32_e32 v40, v41, v39
	v_fma_f32 v96, -v36, v40, v41
	s_delay_alu instid0(VALU_DEP_1) | instskip(NEXT) | instid1(VALU_DEP_1)
	v_fmac_f32_e32 v40, v96, v39
	v_fma_f32 v36, -v36, v40, v41
	s_delay_alu instid0(VALU_DEP_1) | instskip(NEXT) | instid1(VALU_DEP_1)
	v_div_fmas_f32 v36, v36, v39, v40
	v_div_fixup_f32 v36, v36, v37, 1.0
	s_delay_alu instid0(VALU_DEP_1)
	v_mul_f32_e32 v38, v38, v36
	v_xor_b32_e32 v39, 0x80000000, v36
                                        ; implicit-def: $vgpr36_vgpr37
.LBB167_1087:                           ;   in Loop: Header=BB167_3 Depth=1
	s_and_not1_saveexec_b32 s56, s56
	s_cbranch_execz .LBB167_1089
; %bb.1088:                             ;   in Loop: Header=BB167_3 Depth=1
	v_div_scale_f32 v38, null, v36, v36, v37
	v_div_scale_f32 v41, vcc_lo, v37, v36, v37
	s_delay_alu instid0(VALU_DEP_2) | instskip(SKIP_1) | instid1(TRANS32_DEP_1)
	v_rcp_f32_e32 v39, v38
	v_nop
	v_fma_f32 v40, -v38, v39, 1.0
	s_delay_alu instid0(VALU_DEP_1) | instskip(NEXT) | instid1(VALU_DEP_1)
	v_fmac_f32_e32 v39, v40, v39
	v_mul_f32_e32 v40, v41, v39
	s_delay_alu instid0(VALU_DEP_1) | instskip(NEXT) | instid1(VALU_DEP_1)
	v_fma_f32 v96, -v38, v40, v41
	v_fmac_f32_e32 v40, v96, v39
	s_delay_alu instid0(VALU_DEP_1) | instskip(NEXT) | instid1(VALU_DEP_1)
	v_fma_f32 v38, -v38, v40, v41
	v_div_fmas_f32 v38, v38, v39, v40
	s_delay_alu instid0(VALU_DEP_1) | instskip(NEXT) | instid1(VALU_DEP_1)
	v_div_fixup_f32 v39, v38, v36, v37
	v_fmac_f32_e32 v36, v37, v39
	s_delay_alu instid0(VALU_DEP_1) | instskip(NEXT) | instid1(VALU_DEP_1)
	v_div_scale_f32 v37, null, v36, v36, 1.0
	v_rcp_f32_e32 v38, v37
	v_nop
	s_delay_alu instid0(TRANS32_DEP_1) | instskip(NEXT) | instid1(VALU_DEP_1)
	v_fma_f32 v40, -v37, v38, 1.0
	v_fmac_f32_e32 v38, v40, v38
	v_div_scale_f32 v40, vcc_lo, 1.0, v36, 1.0
	s_delay_alu instid0(VALU_DEP_1) | instskip(NEXT) | instid1(VALU_DEP_1)
	v_mul_f32_e32 v41, v40, v38
	v_fma_f32 v96, -v37, v41, v40
	s_delay_alu instid0(VALU_DEP_1) | instskip(NEXT) | instid1(VALU_DEP_1)
	v_fmac_f32_e32 v41, v96, v38
	v_fma_f32 v37, -v37, v41, v40
	s_delay_alu instid0(VALU_DEP_1) | instskip(NEXT) | instid1(VALU_DEP_1)
	v_div_fmas_f32 v37, v37, v38, v41
	v_div_fixup_f32 v38, v37, v36, 1.0
	s_delay_alu instid0(VALU_DEP_1)
	v_mul_f32_e64 v39, v39, -v38
.LBB167_1089:                           ;   in Loop: Header=BB167_3 Depth=1
	s_or_b32 exec_lo, exec_lo, s56
	ds_store_b64 v77, v[38:39]
.LBB167_1090:                           ;   in Loop: Header=BB167_3 Depth=1
	s_or_b32 exec_lo, exec_lo, s66
	s_and_not1_saveexec_b32 s10, s10
	s_cbranch_execz .LBB167_22
.LBB167_1091:                           ;   in Loop: Header=BB167_3 Depth=1
	v_lshl_add_u64 v[36:37], v[16:17], 3, v[34:35]
	flat_load_b64 v[36:37], v[36:37]
	s_wait_loadcnt_dscnt 0x0
	v_pk_add_f32 v[36:37], v[36:37], 0 neg_lo:[1,1] neg_hi:[1,1]
	ds_store_b64 v77, v[36:37]
	s_or_b32 exec_lo, exec_lo, s10
	s_and_saveexec_b32 s10, s9
	s_delay_alu instid0(SALU_CYCLE_1)
	s_xor_b32 s10, exec_lo, s10
	s_cbranch_execz .LBB167_23
.LBB167_1092:                           ;   in Loop: Header=BB167_3 Depth=1
	s_mov_b32 s56, exec_lo
	v_readlane_b32 s57, v106, 23
	s_and_b32 s57, s56, s57
	s_delay_alu instid0(SALU_CYCLE_1)
	s_xor_b32 s56, s57, s56
	s_mov_b32 exec_lo, s57
	s_cbranch_execz .LBB167_1096
; %bb.1093:                             ;   in Loop: Header=BB167_3 Depth=1
	v_readlane_b32 s58, v105, 12
	s_and_saveexec_b32 s57, s58
; %bb.1094:                             ;   in Loop: Header=BB167_3 Depth=1
	ds_store_b64 v80, v[28:29]
; %bb.1095:                             ;   in Loop: Header=BB167_3 Depth=1
	s_or_b32 exec_lo, exec_lo, s57
.LBB167_1096:                           ;   in Loop: Header=BB167_3 Depth=1
	s_and_not1_saveexec_b32 s66, s56
	s_cbranch_execz .LBB167_1102
; %bb.1097:                             ;   in Loop: Header=BB167_3 Depth=1
	v_lshl_add_u64 v[36:37], v[18:19], 3, v[34:35]
                                        ; implicit-def: $vgpr38_vgpr39
	flat_load_b64 v[36:37], v[36:37]
	s_wait_loadcnt_dscnt 0x0
	v_cmp_ngt_f32_e64 s56, |v36|, |v37|
	s_wait_xcnt 0x0
	s_and_saveexec_b32 s57, s56
	s_delay_alu instid0(SALU_CYCLE_1)
	s_xor_b32 s56, exec_lo, s57
	s_cbranch_execz .LBB167_1099
; %bb.1098:                             ;   in Loop: Header=BB167_3 Depth=1
	v_div_scale_f32 v38, null, v37, v37, v36
	v_div_scale_f32 v41, vcc_lo, v36, v37, v36
	s_delay_alu instid0(VALU_DEP_2) | instskip(SKIP_1) | instid1(TRANS32_DEP_1)
	v_rcp_f32_e32 v39, v38
	v_nop
	v_fma_f32 v40, -v38, v39, 1.0
	s_delay_alu instid0(VALU_DEP_1) | instskip(NEXT) | instid1(VALU_DEP_1)
	v_fmac_f32_e32 v39, v40, v39
	v_mul_f32_e32 v40, v41, v39
	s_delay_alu instid0(VALU_DEP_1) | instskip(NEXT) | instid1(VALU_DEP_1)
	v_fma_f32 v96, -v38, v40, v41
	v_fmac_f32_e32 v40, v96, v39
	s_delay_alu instid0(VALU_DEP_1) | instskip(NEXT) | instid1(VALU_DEP_1)
	v_fma_f32 v38, -v38, v40, v41
	v_div_fmas_f32 v38, v38, v39, v40
	s_delay_alu instid0(VALU_DEP_1) | instskip(NEXT) | instid1(VALU_DEP_1)
	v_div_fixup_f32 v38, v38, v37, v36
	v_fmac_f32_e32 v37, v36, v38
	s_delay_alu instid0(VALU_DEP_1) | instskip(SKIP_1) | instid1(VALU_DEP_2)
	v_div_scale_f32 v36, null, v37, v37, 1.0
	v_div_scale_f32 v41, vcc_lo, 1.0, v37, 1.0
	v_rcp_f32_e32 v39, v36
	v_nop
	s_delay_alu instid0(TRANS32_DEP_1) | instskip(NEXT) | instid1(VALU_DEP_1)
	v_fma_f32 v40, -v36, v39, 1.0
	v_fmac_f32_e32 v39, v40, v39
	s_delay_alu instid0(VALU_DEP_1) | instskip(NEXT) | instid1(VALU_DEP_1)
	v_mul_f32_e32 v40, v41, v39
	v_fma_f32 v96, -v36, v40, v41
	s_delay_alu instid0(VALU_DEP_1) | instskip(NEXT) | instid1(VALU_DEP_1)
	v_fmac_f32_e32 v40, v96, v39
	v_fma_f32 v36, -v36, v40, v41
	s_delay_alu instid0(VALU_DEP_1) | instskip(NEXT) | instid1(VALU_DEP_1)
	v_div_fmas_f32 v36, v36, v39, v40
	v_div_fixup_f32 v36, v36, v37, 1.0
	s_delay_alu instid0(VALU_DEP_1)
	v_mul_f32_e32 v38, v38, v36
	v_xor_b32_e32 v39, 0x80000000, v36
                                        ; implicit-def: $vgpr36_vgpr37
.LBB167_1099:                           ;   in Loop: Header=BB167_3 Depth=1
	s_and_not1_saveexec_b32 s56, s56
	s_cbranch_execz .LBB167_1101
; %bb.1100:                             ;   in Loop: Header=BB167_3 Depth=1
	v_div_scale_f32 v38, null, v36, v36, v37
	v_div_scale_f32 v41, vcc_lo, v37, v36, v37
	s_delay_alu instid0(VALU_DEP_2) | instskip(SKIP_1) | instid1(TRANS32_DEP_1)
	v_rcp_f32_e32 v39, v38
	v_nop
	v_fma_f32 v40, -v38, v39, 1.0
	s_delay_alu instid0(VALU_DEP_1) | instskip(NEXT) | instid1(VALU_DEP_1)
	v_fmac_f32_e32 v39, v40, v39
	v_mul_f32_e32 v40, v41, v39
	s_delay_alu instid0(VALU_DEP_1) | instskip(NEXT) | instid1(VALU_DEP_1)
	v_fma_f32 v96, -v38, v40, v41
	v_fmac_f32_e32 v40, v96, v39
	s_delay_alu instid0(VALU_DEP_1) | instskip(NEXT) | instid1(VALU_DEP_1)
	v_fma_f32 v38, -v38, v40, v41
	v_div_fmas_f32 v38, v38, v39, v40
	s_delay_alu instid0(VALU_DEP_1) | instskip(NEXT) | instid1(VALU_DEP_1)
	v_div_fixup_f32 v39, v38, v36, v37
	v_fmac_f32_e32 v36, v37, v39
	s_delay_alu instid0(VALU_DEP_1) | instskip(NEXT) | instid1(VALU_DEP_1)
	v_div_scale_f32 v37, null, v36, v36, 1.0
	v_rcp_f32_e32 v38, v37
	v_nop
	s_delay_alu instid0(TRANS32_DEP_1) | instskip(NEXT) | instid1(VALU_DEP_1)
	v_fma_f32 v40, -v37, v38, 1.0
	v_fmac_f32_e32 v38, v40, v38
	v_div_scale_f32 v40, vcc_lo, 1.0, v36, 1.0
	s_delay_alu instid0(VALU_DEP_1) | instskip(NEXT) | instid1(VALU_DEP_1)
	v_mul_f32_e32 v41, v40, v38
	v_fma_f32 v96, -v37, v41, v40
	s_delay_alu instid0(VALU_DEP_1) | instskip(NEXT) | instid1(VALU_DEP_1)
	v_fmac_f32_e32 v41, v96, v38
	v_fma_f32 v37, -v37, v41, v40
	s_delay_alu instid0(VALU_DEP_1) | instskip(NEXT) | instid1(VALU_DEP_1)
	v_div_fmas_f32 v37, v37, v38, v41
	v_div_fixup_f32 v38, v37, v36, 1.0
	s_delay_alu instid0(VALU_DEP_1)
	v_mul_f32_e64 v39, v39, -v38
.LBB167_1101:                           ;   in Loop: Header=BB167_3 Depth=1
	s_or_b32 exec_lo, exec_lo, s56
	ds_store_b64 v80, v[38:39]
.LBB167_1102:                           ;   in Loop: Header=BB167_3 Depth=1
	s_or_b32 exec_lo, exec_lo, s66
	s_and_not1_saveexec_b32 s10, s10
	s_cbranch_execnz .LBB167_24
	s_branch .LBB167_25
.LBB167_1103:                           ;   in Loop: Header=BB167_3 Depth=1
	ds_load_b64 v[30:31], v92
	ds_load_b64 v[36:37], v82
	s_wait_dscnt 0x0
	v_dual_mul_f32 v38, v37, v31 :: v_dual_mul_f32 v31, v36, v31
	s_delay_alu instid0(VALU_DEP_1) | instskip(NEXT) | instid1(VALU_DEP_1)
	v_dual_fma_f32 v36, v36, v30, -v38 :: v_dual_fmac_f32 v31, v37, v30
	v_dual_add_f32 v30, 0, v36 :: v_dual_add_f32 v31, 0, v31
	s_or_b32 exec_lo, exec_lo, s10
	s_and_saveexec_b32 s10, s1
	s_cbranch_execz .LBB167_1034
.LBB167_1104:                           ;   in Loop: Header=BB167_3 Depth=1
	ds_load_b64 v[36:37], v92 offset:8192
	ds_load_b64 v[38:39], v82 offset:128
	s_wait_dscnt 0x0
	v_dual_mul_f32 v40, v39, v37 :: v_dual_mul_f32 v41, v38, v37
	s_delay_alu instid0(VALU_DEP_1) | instskip(NEXT) | instid1(VALU_DEP_1)
	v_dual_fma_f32 v40, v38, v36, -v40 :: v_dual_fmac_f32 v41, v39, v36
	v_pk_add_f32 v[30:31], v[30:31], v[40:41]
	s_or_b32 exec_lo, exec_lo, s10
	s_and_saveexec_b32 s10, s8
	s_cbranch_execz .LBB167_1035
.LBB167_1105:                           ;   in Loop: Header=BB167_3 Depth=1
	ds_load_b64 v[36:37], v92 offset:16384
	ds_load_b64 v[38:39], v82 offset:256
	s_wait_dscnt 0x0
	v_pk_mul_f32 v[40:41], v[38:39], v[36:37] op_sel:[1,1] op_sel_hi:[0,1]
	s_delay_alu instid0(VALU_DEP_1) | instskip(SKIP_1) | instid1(VALU_DEP_2)
	v_pk_fma_f32 v[96:97], v[38:39], v[36:37], v[40:41] op_sel_hi:[1,0,1]
	v_pk_fma_f32 v[36:37], v[38:39], v[36:37], v[40:41] neg_lo:[0,0,1] neg_hi:[0,0,1]
	v_mov_b32_e32 v37, v97
	s_delay_alu instid0(VALU_DEP_1)
	v_pk_add_f32 v[30:31], v[30:31], v[36:37]
	s_or_b32 exec_lo, exec_lo, s10
	s_and_saveexec_b32 s10, s9
	s_cbranch_execnz .LBB167_1036
	s_branch .LBB167_1037
.LBB167_1106:                           ;   in Loop: Header=BB167_3 Depth=1
	s_or_b32 exec_lo, exec_lo, s56
	s_delay_alu instid0(SALU_CYCLE_1)
	s_and_b32 vcc_lo, exec_lo, s10
	s_cbranch_vccnz .LBB167_1040
.LBB167_1107:                           ;   in Loop: Header=BB167_3 Depth=1
	v_mov_b64_e32 v[34:35], v[36:37]
	s_and_saveexec_b32 s10, s66
	s_cbranch_execnz .LBB167_1053
	s_branch .LBB167_1054
.LBB167_1108:                           ;   in Loop: Header=BB167_3 Depth=1
	s_and_not1_b32 s56, s66, exec_lo
	s_and_b32 s57, s4, exec_lo
	s_delay_alu instid0(SALU_CYCLE_1)
	s_or_b32 s66, s56, s57
	s_cbranch_execnz .LBB167_1052
.LBB167_1109:                           ;   in Loop: Header=BB167_3 Depth=1
	v_readlane_b32 s56, v106, 9
	s_and_not1_b32 s10, s66, exec_lo
	s_and_b32 s56, s56, exec_lo
	s_delay_alu instid0(SALU_CYCLE_1) | instskip(NEXT) | instid1(SALU_CYCLE_1)
	s_or_b32 s66, s10, s56
	s_and_saveexec_b32 s10, s66
	s_cbranch_execnz .LBB167_1053
	s_branch .LBB167_1054
.LBB167_1110:                           ;   in Loop: Header=BB167_3 Depth=1
	ds_load_b64 v[36:37], v51 offset:544
	ds_load_b64 v[38:39], v46 offset:8
	s_wait_dscnt 0x0
	v_pk_mul_f32 v[40:41], v[38:39], v[36:37] op_sel:[0,1]
	s_delay_alu instid0(VALU_DEP_1) | instskip(SKIP_1) | instid1(VALU_DEP_2)
	v_pk_fma_f32 v[96:97], v[38:39], v[36:37], v[40:41] op_sel:[1,0,0] op_sel_hi:[0,0,1] neg_lo:[0,0,1] neg_hi:[0,0,1]
	v_pk_fma_f32 v[36:37], v[38:39], v[36:37], v[40:41] op_sel:[1,0,0] op_sel_hi:[0,1,1]
	v_mov_b32_e32 v37, v97
	s_delay_alu instid0(VALU_DEP_1)
	v_pk_add_f32 v[34:35], v[34:35], v[36:37]
	s_or_b32 exec_lo, exec_lo, s56
	s_and_saveexec_b32 s56, s18
	s_cbranch_execz .LBB167_106
.LBB167_1111:                           ;   in Loop: Header=BB167_3 Depth=1
	ds_load_b64 v[36:37], v50 offset:1056
	ds_load_b64 v[38:39], v46 offset:16
	s_wait_dscnt 0x0
	v_pk_mul_f32 v[40:41], v[38:39], v[36:37] op_sel:[0,1]
	s_delay_alu instid0(VALU_DEP_1) | instskip(SKIP_1) | instid1(VALU_DEP_2)
	v_pk_fma_f32 v[96:97], v[38:39], v[36:37], v[40:41] op_sel:[1,0,0] op_sel_hi:[0,0,1] neg_lo:[0,0,1] neg_hi:[0,0,1]
	v_pk_fma_f32 v[36:37], v[38:39], v[36:37], v[40:41] op_sel:[1,0,0] op_sel_hi:[0,1,1]
	v_mov_b32_e32 v37, v97
	s_delay_alu instid0(VALU_DEP_1)
	v_pk_add_f32 v[34:35], v[34:35], v[36:37]
	s_or_b32 exec_lo, exec_lo, s56
	s_and_saveexec_b32 s56, s3
	s_cbranch_execnz .LBB167_107
	s_branch .LBB167_108
.LBB167_1112:                           ;   in Loop: Header=BB167_3 Depth=1
	ds_load_b64 v[36:37], v59 offset:576
	ds_load_b64 v[38:39], v54 offset:8
	s_wait_dscnt 0x0
	v_dual_mul_f32 v40, v39, v37 :: v_dual_mul_f32 v37, v38, v37
	s_delay_alu instid0(VALU_DEP_1) | instskip(NEXT) | instid1(VALU_DEP_1)
	v_dual_fma_f32 v38, v38, v36, -v40 :: v_dual_fmac_f32 v37, v39, v36
	v_dual_add_f32 v35, v35, v38 :: v_dual_add_f32 v34, v34, v37
	s_or_b32 exec_lo, exec_lo, s56
	s_and_saveexec_b32 s56, s20
	s_cbranch_execz .LBB167_148
.LBB167_1113:                           ;   in Loop: Header=BB167_3 Depth=1
	ds_load_b64 v[36:37], v59 offset:1088
	ds_load_b64 v[38:39], v54 offset:16
	s_wait_dscnt 0x0
	v_dual_mul_f32 v40, v39, v37 :: v_dual_mul_f32 v37, v38, v37
	s_delay_alu instid0(VALU_DEP_1) | instskip(NEXT) | instid1(VALU_DEP_1)
	v_dual_fma_f32 v38, v38, v36, -v40 :: v_dual_fmac_f32 v37, v39, v36
	v_dual_add_f32 v35, v35, v38 :: v_dual_add_f32 v34, v34, v37
	s_or_b32 exec_lo, exec_lo, s56
	s_and_saveexec_b32 s56, s21
	s_cbranch_execz .LBB167_149
.LBB167_1114:                           ;   in Loop: Header=BB167_3 Depth=1
	ds_load_b64 v[36:37], v59 offset:1600
	ds_load_b64 v[38:39], v54 offset:24
	s_wait_dscnt 0x0
	v_dual_mul_f32 v40, v39, v37 :: v_dual_mul_f32 v37, v38, v37
	s_delay_alu instid0(VALU_DEP_1) | instskip(NEXT) | instid1(VALU_DEP_1)
	v_dual_fma_f32 v38, v38, v36, -v40 :: v_dual_fmac_f32 v37, v39, v36
	v_dual_add_f32 v35, v35, v38 :: v_dual_add_f32 v34, v34, v37
	s_or_b32 exec_lo, exec_lo, s56
	s_and_saveexec_b32 s56, s22
	s_cbranch_execz .LBB167_150
.LBB167_1115:                           ;   in Loop: Header=BB167_3 Depth=1
	ds_load_b64 v[36:37], v58 offset:2112
	ds_load_b64 v[38:39], v54 offset:32
	s_wait_dscnt 0x0
	v_dual_mul_f32 v41, v39, v37 :: v_dual_mul_f32 v40, v38, v37
	s_delay_alu instid0(VALU_DEP_1) | instskip(NEXT) | instid1(VALU_DEP_1)
	v_dual_fma_f32 v41, v38, v36, -v41 :: v_dual_fmac_f32 v40, v39, v36
	v_pk_add_f32 v[34:35], v[34:35], v[40:41]
	s_or_b32 exec_lo, exec_lo, s56
	s_and_saveexec_b32 s56, s23
	s_cbranch_execz .LBB167_151
.LBB167_1116:                           ;   in Loop: Header=BB167_3 Depth=1
	ds_load_b64 v[36:37], v59 offset:2624
	ds_load_b64 v[38:39], v54 offset:40
	s_wait_dscnt 0x0
	v_pk_mul_f32 v[40:41], v[38:39], v[36:37] op_sel:[0,1]
	s_delay_alu instid0(VALU_DEP_1) | instskip(SKIP_1) | instid1(VALU_DEP_2)
	v_pk_fma_f32 v[96:97], v[38:39], v[36:37], v[40:41] op_sel:[1,0,0] op_sel_hi:[0,0,1] neg_lo:[0,0,1] neg_hi:[0,0,1]
	v_pk_fma_f32 v[36:37], v[38:39], v[36:37], v[40:41] op_sel:[1,0,0] op_sel_hi:[0,1,1]
	v_mov_b32_e32 v37, v97
	s_delay_alu instid0(VALU_DEP_1)
	v_pk_add_f32 v[34:35], v[34:35], v[36:37]
	s_or_b32 exec_lo, exec_lo, s56
	s_and_saveexec_b32 s56, s5
	s_cbranch_execz .LBB167_152
.LBB167_1117:                           ;   in Loop: Header=BB167_3 Depth=1
	ds_load_b64 v[36:37], v58 offset:3136
	ds_load_b64 v[38:39], v54 offset:48
	s_wait_dscnt 0x0
	v_pk_mul_f32 v[40:41], v[38:39], v[36:37] op_sel:[0,1]
	s_delay_alu instid0(VALU_DEP_1) | instskip(SKIP_1) | instid1(VALU_DEP_2)
	v_pk_fma_f32 v[96:97], v[38:39], v[36:37], v[40:41] op_sel:[1,0,0] op_sel_hi:[0,0,1] neg_lo:[0,0,1] neg_hi:[0,0,1]
	v_pk_fma_f32 v[36:37], v[38:39], v[36:37], v[40:41] op_sel:[1,0,0] op_sel_hi:[0,1,1]
	v_mov_b32_e32 v37, v97
	s_delay_alu instid0(VALU_DEP_1)
	v_pk_add_f32 v[34:35], v[34:35], v[36:37]
	s_or_b32 exec_lo, exec_lo, s56
	s_and_saveexec_b32 s56, s18
	s_cbranch_execnz .LBB167_153
	s_branch .LBB167_154
.LBB167_1118:                           ;   in Loop: Header=BB167_3 Depth=1
	ds_load_b64 v[36:37], v51 offset:4704
	ds_load_b64 v[38:39], v46 offset:4168
	s_wait_dscnt 0x0
	v_pk_mul_f32 v[40:41], v[38:39], v[36:37] op_sel:[0,1]
	s_delay_alu instid0(VALU_DEP_1) | instskip(SKIP_1) | instid1(VALU_DEP_2)
	v_pk_fma_f32 v[96:97], v[38:39], v[36:37], v[40:41] op_sel:[1,0,0] op_sel_hi:[0,0,1] neg_lo:[0,0,1] neg_hi:[0,0,1]
	v_pk_fma_f32 v[36:37], v[38:39], v[36:37], v[40:41] op_sel:[1,0,0] op_sel_hi:[0,1,1]
	v_mov_b32_e32 v37, v97
	s_delay_alu instid0(VALU_DEP_1)
	v_pk_add_f32 v[34:35], v[34:35], v[36:37]
	s_or_b32 exec_lo, exec_lo, s56
	s_and_saveexec_b32 s56, s18
	s_cbranch_execz .LBB167_210
.LBB167_1119:                           ;   in Loop: Header=BB167_3 Depth=1
	ds_load_b64 v[36:37], v50 offset:5216
	ds_load_b64 v[38:39], v46 offset:4176
	s_wait_dscnt 0x0
	v_pk_mul_f32 v[40:41], v[38:39], v[36:37] op_sel:[0,1]
	s_delay_alu instid0(VALU_DEP_1) | instskip(SKIP_1) | instid1(VALU_DEP_2)
	v_pk_fma_f32 v[96:97], v[38:39], v[36:37], v[40:41] op_sel:[1,0,0] op_sel_hi:[0,0,1] neg_lo:[0,0,1] neg_hi:[0,0,1]
	v_pk_fma_f32 v[36:37], v[38:39], v[36:37], v[40:41] op_sel:[1,0,0] op_sel_hi:[0,1,1]
	v_mov_b32_e32 v37, v97
	s_delay_alu instid0(VALU_DEP_1)
	v_pk_add_f32 v[34:35], v[34:35], v[36:37]
	s_or_b32 exec_lo, exec_lo, s56
	s_and_saveexec_b32 s56, s3
	s_cbranch_execnz .LBB167_211
	s_branch .LBB167_212
.LBB167_1120:                           ;   in Loop: Header=BB167_3 Depth=1
	ds_load_b64 v[36:37], v64 offset:5760
	ds_load_b64 v[38:39], v60 offset:88
	s_wait_dscnt 0x0
	v_dual_mul_f32 v40, v39, v37 :: v_dual_mul_f32 v37, v38, v37
	s_delay_alu instid0(VALU_DEP_1) | instskip(NEXT) | instid1(VALU_DEP_1)
	v_dual_fma_f32 v38, v38, v36, -v40 :: v_dual_fmac_f32 v37, v39, v36
	v_dual_add_f32 v35, v35, v38 :: v_dual_add_f32 v34, v34, v37
	s_or_b32 exec_lo, exec_lo, s10
	s_and_saveexec_b32 s10, s6
	s_cbranch_execz .LBB167_272
.LBB167_1121:                           ;   in Loop: Header=BB167_3 Depth=1
	ds_load_b64 v[36:37], v63 offset:6272
	ds_load_b64 v[38:39], v60 offset:96
	s_wait_dscnt 0x0
	v_dual_mul_f32 v41, v39, v37 :: v_dual_mul_f32 v40, v38, v37
	s_delay_alu instid0(VALU_DEP_1) | instskip(NEXT) | instid1(VALU_DEP_1)
	v_dual_fma_f32 v41, v38, v36, -v41 :: v_dual_fmac_f32 v40, v39, v36
	v_pk_add_f32 v[34:35], v[34:35], v[40:41]
	s_or_b32 exec_lo, exec_lo, s10
	s_and_saveexec_b32 s10, s20
	s_cbranch_execz .LBB167_273
.LBB167_1122:                           ;   in Loop: Header=BB167_3 Depth=1
	ds_load_b64 v[36:37], v64 offset:6784
	ds_load_b64 v[38:39], v60 offset:104
	s_wait_dscnt 0x0
	v_pk_mul_f32 v[40:41], v[38:39], v[36:37] op_sel:[0,1]
	s_delay_alu instid0(VALU_DEP_1) | instskip(SKIP_1) | instid1(VALU_DEP_2)
	v_pk_fma_f32 v[96:97], v[38:39], v[36:37], v[40:41] op_sel:[1,0,0] op_sel_hi:[0,0,1] neg_lo:[0,0,1] neg_hi:[0,0,1]
	v_pk_fma_f32 v[36:37], v[38:39], v[36:37], v[40:41] op_sel:[1,0,0] op_sel_hi:[0,1,1]
	v_mov_b32_e32 v37, v97
	s_delay_alu instid0(VALU_DEP_1)
	v_pk_add_f32 v[34:35], v[34:35], v[36:37]
	s_or_b32 exec_lo, exec_lo, s10
	s_and_saveexec_b32 s10, s22
	s_cbranch_execz .LBB167_274
.LBB167_1123:                           ;   in Loop: Header=BB167_3 Depth=1
	ds_load_b64 v[36:37], v63 offset:7296
	ds_load_b64 v[38:39], v60 offset:112
	s_wait_dscnt 0x0
	v_pk_mul_f32 v[40:41], v[38:39], v[36:37] op_sel:[0,1]
	s_delay_alu instid0(VALU_DEP_1) | instskip(SKIP_1) | instid1(VALU_DEP_2)
	v_pk_fma_f32 v[96:97], v[38:39], v[36:37], v[40:41] op_sel:[1,0,0] op_sel_hi:[0,0,1] neg_lo:[0,0,1] neg_hi:[0,0,1]
	v_pk_fma_f32 v[36:37], v[38:39], v[36:37], v[40:41] op_sel:[1,0,0] op_sel_hi:[0,1,1]
	v_mov_b32_e32 v37, v97
	s_delay_alu instid0(VALU_DEP_1)
	v_pk_add_f32 v[34:35], v[34:35], v[36:37]
	s_or_b32 exec_lo, exec_lo, s10
	s_and_saveexec_b32 s10, s5
	s_cbranch_execnz .LBB167_275
	s_branch .LBB167_276
.LBB167_1124:                           ;   in Loop: Header=BB167_3 Depth=1
	ds_load_b64 v[36:37], v51 offset:8864
	ds_load_b64 v[38:39], v46 offset:8328
	s_wait_dscnt 0x0
	v_pk_mul_f32 v[40:41], v[38:39], v[36:37] op_sel:[0,1]
	s_delay_alu instid0(VALU_DEP_1) | instskip(SKIP_1) | instid1(VALU_DEP_2)
	v_pk_fma_f32 v[96:97], v[38:39], v[36:37], v[40:41] op_sel:[1,0,0] op_sel_hi:[0,0,1] neg_lo:[0,0,1] neg_hi:[0,0,1]
	v_pk_fma_f32 v[36:37], v[38:39], v[36:37], v[40:41] op_sel:[1,0,0] op_sel_hi:[0,1,1]
	v_mov_b32_e32 v37, v97
	s_delay_alu instid0(VALU_DEP_1)
	v_pk_add_f32 v[34:35], v[34:35], v[36:37]
	s_or_b32 exec_lo, exec_lo, s56
	s_and_saveexec_b32 s56, s18
	s_cbranch_execz .LBB167_364
.LBB167_1125:                           ;   in Loop: Header=BB167_3 Depth=1
	ds_load_b64 v[36:37], v50 offset:9376
	ds_load_b64 v[38:39], v46 offset:8336
	s_wait_dscnt 0x0
	v_pk_mul_f32 v[40:41], v[38:39], v[36:37] op_sel:[0,1]
	s_delay_alu instid0(VALU_DEP_1) | instskip(SKIP_1) | instid1(VALU_DEP_2)
	v_pk_fma_f32 v[96:97], v[38:39], v[36:37], v[40:41] op_sel:[1,0,0] op_sel_hi:[0,0,1] neg_lo:[0,0,1] neg_hi:[0,0,1]
	v_pk_fma_f32 v[36:37], v[38:39], v[36:37], v[40:41] op_sel:[1,0,0] op_sel_hi:[0,1,1]
	v_mov_b32_e32 v37, v97
	s_delay_alu instid0(VALU_DEP_1)
	v_pk_add_f32 v[34:35], v[34:35], v[36:37]
	s_or_b32 exec_lo, exec_lo, s56
	s_and_saveexec_b32 s56, s3
	s_cbranch_execnz .LBB167_365
	s_branch .LBB167_366
.LBB167_1126:                           ;   in Loop: Header=BB167_3 Depth=1
	ds_load_b64 v[36:37], v59 offset:8896
	ds_load_b64 v[38:39], v54 offset:8328
	s_wait_dscnt 0x0
	v_dual_mul_f32 v40, v39, v37 :: v_dual_mul_f32 v37, v38, v37
	s_delay_alu instid0(VALU_DEP_1) | instskip(NEXT) | instid1(VALU_DEP_1)
	v_dual_fma_f32 v38, v38, v36, -v40 :: v_dual_fmac_f32 v37, v39, v36
	v_dual_add_f32 v35, v35, v38 :: v_dual_add_f32 v34, v34, v37
	s_or_b32 exec_lo, exec_lo, s56
	s_and_saveexec_b32 s56, s20
	s_cbranch_execz .LBB167_406
.LBB167_1127:                           ;   in Loop: Header=BB167_3 Depth=1
	ds_load_b64 v[36:37], v59 offset:9408
	ds_load_b64 v[38:39], v54 offset:8336
	s_wait_dscnt 0x0
	v_dual_mul_f32 v40, v39, v37 :: v_dual_mul_f32 v37, v38, v37
	s_delay_alu instid0(VALU_DEP_1) | instskip(NEXT) | instid1(VALU_DEP_1)
	v_dual_fma_f32 v38, v38, v36, -v40 :: v_dual_fmac_f32 v37, v39, v36
	v_dual_add_f32 v35, v35, v38 :: v_dual_add_f32 v34, v34, v37
	s_or_b32 exec_lo, exec_lo, s56
	s_and_saveexec_b32 s56, s21
	s_cbranch_execz .LBB167_407
.LBB167_1128:                           ;   in Loop: Header=BB167_3 Depth=1
	ds_load_b64 v[36:37], v59 offset:9920
	ds_load_b64 v[38:39], v54 offset:8344
	s_wait_dscnt 0x0
	v_dual_mul_f32 v40, v39, v37 :: v_dual_mul_f32 v37, v38, v37
	s_delay_alu instid0(VALU_DEP_1) | instskip(NEXT) | instid1(VALU_DEP_1)
	v_dual_fma_f32 v38, v38, v36, -v40 :: v_dual_fmac_f32 v37, v39, v36
	v_dual_add_f32 v35, v35, v38 :: v_dual_add_f32 v34, v34, v37
	s_or_b32 exec_lo, exec_lo, s56
	s_and_saveexec_b32 s56, s22
	s_cbranch_execz .LBB167_408
.LBB167_1129:                           ;   in Loop: Header=BB167_3 Depth=1
	ds_load_b64 v[36:37], v58 offset:10432
	ds_load_b64 v[38:39], v54 offset:8352
	s_wait_dscnt 0x0
	v_dual_mul_f32 v41, v39, v37 :: v_dual_mul_f32 v40, v38, v37
	s_delay_alu instid0(VALU_DEP_1) | instskip(NEXT) | instid1(VALU_DEP_1)
	v_dual_fma_f32 v41, v38, v36, -v41 :: v_dual_fmac_f32 v40, v39, v36
	v_pk_add_f32 v[34:35], v[34:35], v[40:41]
	s_or_b32 exec_lo, exec_lo, s56
	s_and_saveexec_b32 s56, s23
	s_cbranch_execz .LBB167_409
.LBB167_1130:                           ;   in Loop: Header=BB167_3 Depth=1
	ds_load_b64 v[36:37], v59 offset:10944
	ds_load_b64 v[38:39], v54 offset:8360
	s_wait_dscnt 0x0
	v_pk_mul_f32 v[40:41], v[38:39], v[36:37] op_sel:[0,1]
	s_delay_alu instid0(VALU_DEP_1) | instskip(SKIP_1) | instid1(VALU_DEP_2)
	v_pk_fma_f32 v[96:97], v[38:39], v[36:37], v[40:41] op_sel:[1,0,0] op_sel_hi:[0,0,1] neg_lo:[0,0,1] neg_hi:[0,0,1]
	v_pk_fma_f32 v[36:37], v[38:39], v[36:37], v[40:41] op_sel:[1,0,0] op_sel_hi:[0,1,1]
	v_mov_b32_e32 v37, v97
	s_delay_alu instid0(VALU_DEP_1)
	v_pk_add_f32 v[34:35], v[34:35], v[36:37]
	s_or_b32 exec_lo, exec_lo, s56
	s_and_saveexec_b32 s56, s5
	s_cbranch_execz .LBB167_410
.LBB167_1131:                           ;   in Loop: Header=BB167_3 Depth=1
	ds_load_b64 v[36:37], v58 offset:11456
	ds_load_b64 v[38:39], v54 offset:8368
	s_wait_dscnt 0x0
	v_pk_mul_f32 v[40:41], v[38:39], v[36:37] op_sel:[0,1]
	s_delay_alu instid0(VALU_DEP_1) | instskip(SKIP_1) | instid1(VALU_DEP_2)
	v_pk_fma_f32 v[96:97], v[38:39], v[36:37], v[40:41] op_sel:[1,0,0] op_sel_hi:[0,0,1] neg_lo:[0,0,1] neg_hi:[0,0,1]
	v_pk_fma_f32 v[36:37], v[38:39], v[36:37], v[40:41] op_sel:[1,0,0] op_sel_hi:[0,1,1]
	v_mov_b32_e32 v37, v97
	s_delay_alu instid0(VALU_DEP_1)
	v_pk_add_f32 v[34:35], v[34:35], v[36:37]
	s_or_b32 exec_lo, exec_lo, s56
	s_and_saveexec_b32 s56, s18
	s_cbranch_execnz .LBB167_411
	s_branch .LBB167_412
.LBB167_1132:                           ;   in Loop: Header=BB167_3 Depth=1
	ds_load_b64 v[36:37], v51 offset:13024
	ds_load_b64 v[38:39], v46 offset:12488
	s_wait_dscnt 0x0
	v_pk_mul_f32 v[40:41], v[38:39], v[36:37] op_sel:[0,1]
	s_delay_alu instid0(VALU_DEP_1) | instskip(SKIP_1) | instid1(VALU_DEP_2)
	v_pk_fma_f32 v[96:97], v[38:39], v[36:37], v[40:41] op_sel:[1,0,0] op_sel_hi:[0,0,1] neg_lo:[0,0,1] neg_hi:[0,0,1]
	v_pk_fma_f32 v[36:37], v[38:39], v[36:37], v[40:41] op_sel:[1,0,0] op_sel_hi:[0,1,1]
	v_mov_b32_e32 v37, v97
	s_delay_alu instid0(VALU_DEP_1)
	v_pk_add_f32 v[34:35], v[34:35], v[36:37]
	s_or_b32 exec_lo, exec_lo, s56
	s_and_saveexec_b32 s56, s18
	s_cbranch_execz .LBB167_468
.LBB167_1133:                           ;   in Loop: Header=BB167_3 Depth=1
	ds_load_b64 v[36:37], v50 offset:13536
	ds_load_b64 v[38:39], v46 offset:12496
	s_wait_dscnt 0x0
	v_pk_mul_f32 v[40:41], v[38:39], v[36:37] op_sel:[0,1]
	s_delay_alu instid0(VALU_DEP_1) | instskip(SKIP_1) | instid1(VALU_DEP_2)
	v_pk_fma_f32 v[96:97], v[38:39], v[36:37], v[40:41] op_sel:[1,0,0] op_sel_hi:[0,0,1] neg_lo:[0,0,1] neg_hi:[0,0,1]
	v_pk_fma_f32 v[36:37], v[38:39], v[36:37], v[40:41] op_sel:[1,0,0] op_sel_hi:[0,1,1]
	v_mov_b32_e32 v37, v97
	s_delay_alu instid0(VALU_DEP_1)
	v_pk_add_f32 v[34:35], v[34:35], v[36:37]
	s_or_b32 exec_lo, exec_lo, s56
	s_and_saveexec_b32 s56, s3
	s_cbranch_execnz .LBB167_469
	s_branch .LBB167_470
.LBB167_1134:                           ;   in Loop: Header=BB167_3 Depth=1
	ds_load_b64 v[38:39], v37 offset:15104
	ds_load_b64 v[40:41], v36 offset:232
	s_wait_dscnt 0x0
	v_pk_mul_f32 v[96:97], v[40:41], v[38:39] op_sel:[1,1] op_sel_hi:[0,1]
	s_delay_alu instid0(VALU_DEP_1) | instskip(SKIP_1) | instid1(VALU_DEP_2)
	v_pk_fma_f32 v[98:99], v[40:41], v[38:39], v[96:97] op_sel_hi:[1,0,1]
	v_pk_fma_f32 v[38:39], v[40:41], v[38:39], v[96:97] neg_lo:[0,0,1] neg_hi:[0,0,1]
	v_mov_b32_e32 v39, v99
	s_delay_alu instid0(VALU_DEP_1)
	v_pk_add_f32 v[34:35], v[34:35], v[38:39]
	s_or_b32 exec_lo, exec_lo, s10
	s_and_saveexec_b32 s10, s6
	s_cbranch_execz .LBB167_566
.LBB167_1135:                           ;   in Loop: Header=BB167_3 Depth=1
	ds_load_b64 v[38:39], v37 offset:15616
	ds_load_b64 v[40:41], v36 offset:240
	s_wait_dscnt 0x0
	v_pk_mul_f32 v[96:97], v[40:41], v[38:39] op_sel:[1,1] op_sel_hi:[0,1]
	s_delay_alu instid0(VALU_DEP_1) | instskip(SKIP_1) | instid1(VALU_DEP_2)
	v_pk_fma_f32 v[98:99], v[40:41], v[38:39], v[96:97] op_sel_hi:[1,0,1]
	v_pk_fma_f32 v[38:39], v[40:41], v[38:39], v[96:97] neg_lo:[0,0,1] neg_hi:[0,0,1]
	v_mov_b32_e32 v39, v99
	s_delay_alu instid0(VALU_DEP_1)
	v_pk_add_f32 v[34:35], v[34:35], v[38:39]
	s_or_b32 exec_lo, exec_lo, s10
	s_and_saveexec_b32 s10, s22
	s_cbranch_execnz .LBB167_567
	s_branch .LBB167_568
.LBB167_1136:                           ;   in Loop: Header=BB167_3 Depth=1
	ds_load_b64 v[36:37], v51 offset:17184
	ds_load_b64 v[38:39], v46 offset:16648
	s_wait_dscnt 0x0
	v_pk_mul_f32 v[40:41], v[38:39], v[36:37] op_sel:[0,1]
	s_delay_alu instid0(VALU_DEP_1) | instskip(SKIP_1) | instid1(VALU_DEP_2)
	v_pk_fma_f32 v[96:97], v[38:39], v[36:37], v[40:41] op_sel:[1,0,0] op_sel_hi:[0,0,1] neg_lo:[0,0,1] neg_hi:[0,0,1]
	v_pk_fma_f32 v[36:37], v[38:39], v[36:37], v[40:41] op_sel:[1,0,0] op_sel_hi:[0,1,1]
	v_mov_b32_e32 v37, v97
	s_delay_alu instid0(VALU_DEP_1)
	v_pk_add_f32 v[34:35], v[34:35], v[36:37]
	s_or_b32 exec_lo, exec_lo, s56
	s_and_saveexec_b32 s56, s18
	s_cbranch_execz .LBB167_604
.LBB167_1137:                           ;   in Loop: Header=BB167_3 Depth=1
	ds_load_b64 v[36:37], v50 offset:17696
	ds_load_b64 v[38:39], v46 offset:16656
	s_wait_dscnt 0x0
	v_pk_mul_f32 v[40:41], v[38:39], v[36:37] op_sel:[0,1]
	s_delay_alu instid0(VALU_DEP_1) | instskip(SKIP_1) | instid1(VALU_DEP_2)
	v_pk_fma_f32 v[96:97], v[38:39], v[36:37], v[40:41] op_sel:[1,0,0] op_sel_hi:[0,0,1] neg_lo:[0,0,1] neg_hi:[0,0,1]
	v_pk_fma_f32 v[36:37], v[38:39], v[36:37], v[40:41] op_sel:[1,0,0] op_sel_hi:[0,1,1]
	v_mov_b32_e32 v37, v97
	s_delay_alu instid0(VALU_DEP_1)
	v_pk_add_f32 v[34:35], v[34:35], v[36:37]
	s_or_b32 exec_lo, exec_lo, s56
	s_and_saveexec_b32 s56, s3
	s_cbranch_execnz .LBB167_605
	s_branch .LBB167_606
.LBB167_1138:                           ;   in Loop: Header=BB167_3 Depth=1
	ds_load_b64 v[36:37], v59 offset:17216
	ds_load_b64 v[38:39], v54 offset:16648
	s_wait_dscnt 0x0
	v_dual_mul_f32 v40, v39, v37 :: v_dual_mul_f32 v37, v38, v37
	s_delay_alu instid0(VALU_DEP_1) | instskip(NEXT) | instid1(VALU_DEP_1)
	v_dual_fma_f32 v38, v38, v36, -v40 :: v_dual_fmac_f32 v37, v39, v36
	v_dual_add_f32 v35, v35, v38 :: v_dual_add_f32 v34, v34, v37
	s_or_b32 exec_lo, exec_lo, s56
	s_and_saveexec_b32 s56, s20
	s_cbranch_execz .LBB167_646
.LBB167_1139:                           ;   in Loop: Header=BB167_3 Depth=1
	ds_load_b64 v[36:37], v59 offset:17728
	ds_load_b64 v[38:39], v54 offset:16656
	s_wait_dscnt 0x0
	v_dual_mul_f32 v40, v39, v37 :: v_dual_mul_f32 v37, v38, v37
	s_delay_alu instid0(VALU_DEP_1) | instskip(NEXT) | instid1(VALU_DEP_1)
	v_dual_fma_f32 v38, v38, v36, -v40 :: v_dual_fmac_f32 v37, v39, v36
	v_dual_add_f32 v35, v35, v38 :: v_dual_add_f32 v34, v34, v37
	s_or_b32 exec_lo, exec_lo, s56
	s_and_saveexec_b32 s56, s21
	s_cbranch_execz .LBB167_647
.LBB167_1140:                           ;   in Loop: Header=BB167_3 Depth=1
	ds_load_b64 v[36:37], v59 offset:18240
	ds_load_b64 v[38:39], v54 offset:16664
	s_wait_dscnt 0x0
	v_dual_mul_f32 v40, v39, v37 :: v_dual_mul_f32 v37, v38, v37
	s_delay_alu instid0(VALU_DEP_1) | instskip(NEXT) | instid1(VALU_DEP_1)
	v_dual_fma_f32 v38, v38, v36, -v40 :: v_dual_fmac_f32 v37, v39, v36
	v_dual_add_f32 v35, v35, v38 :: v_dual_add_f32 v34, v34, v37
	s_or_b32 exec_lo, exec_lo, s56
	s_and_saveexec_b32 s56, s22
	s_cbranch_execz .LBB167_648
.LBB167_1141:                           ;   in Loop: Header=BB167_3 Depth=1
	ds_load_b64 v[36:37], v58 offset:18752
	ds_load_b64 v[38:39], v54 offset:16672
	s_wait_dscnt 0x0
	v_dual_mul_f32 v41, v39, v37 :: v_dual_mul_f32 v40, v38, v37
	s_delay_alu instid0(VALU_DEP_1) | instskip(NEXT) | instid1(VALU_DEP_1)
	v_dual_fma_f32 v41, v38, v36, -v41 :: v_dual_fmac_f32 v40, v39, v36
	v_pk_add_f32 v[34:35], v[34:35], v[40:41]
	s_or_b32 exec_lo, exec_lo, s56
	s_and_saveexec_b32 s56, s23
	s_cbranch_execz .LBB167_649
.LBB167_1142:                           ;   in Loop: Header=BB167_3 Depth=1
	ds_load_b64 v[36:37], v59 offset:19264
	ds_load_b64 v[38:39], v54 offset:16680
	s_wait_dscnt 0x0
	v_pk_mul_f32 v[40:41], v[38:39], v[36:37] op_sel:[0,1]
	s_delay_alu instid0(VALU_DEP_1) | instskip(SKIP_1) | instid1(VALU_DEP_2)
	v_pk_fma_f32 v[96:97], v[38:39], v[36:37], v[40:41] op_sel:[1,0,0] op_sel_hi:[0,0,1] neg_lo:[0,0,1] neg_hi:[0,0,1]
	v_pk_fma_f32 v[36:37], v[38:39], v[36:37], v[40:41] op_sel:[1,0,0] op_sel_hi:[0,1,1]
	v_mov_b32_e32 v37, v97
	s_delay_alu instid0(VALU_DEP_1)
	v_pk_add_f32 v[34:35], v[34:35], v[36:37]
	s_or_b32 exec_lo, exec_lo, s56
	s_and_saveexec_b32 s56, s5
	s_cbranch_execz .LBB167_650
.LBB167_1143:                           ;   in Loop: Header=BB167_3 Depth=1
	ds_load_b64 v[36:37], v58 offset:19776
	ds_load_b64 v[38:39], v54 offset:16688
	s_wait_dscnt 0x0
	v_pk_mul_f32 v[40:41], v[38:39], v[36:37] op_sel:[0,1]
	s_delay_alu instid0(VALU_DEP_1) | instskip(SKIP_1) | instid1(VALU_DEP_2)
	v_pk_fma_f32 v[96:97], v[38:39], v[36:37], v[40:41] op_sel:[1,0,0] op_sel_hi:[0,0,1] neg_lo:[0,0,1] neg_hi:[0,0,1]
	v_pk_fma_f32 v[36:37], v[38:39], v[36:37], v[40:41] op_sel:[1,0,0] op_sel_hi:[0,1,1]
	v_mov_b32_e32 v37, v97
	s_delay_alu instid0(VALU_DEP_1)
	v_pk_add_f32 v[34:35], v[34:35], v[36:37]
	s_or_b32 exec_lo, exec_lo, s56
	s_and_saveexec_b32 s56, s18
	s_cbranch_execnz .LBB167_651
	s_branch .LBB167_652
.LBB167_1144:                           ;   in Loop: Header=BB167_3 Depth=1
	ds_load_b64 v[36:37], v51 offset:21344
	ds_load_b64 v[38:39], v46 offset:20808
	s_wait_dscnt 0x0
	v_pk_mul_f32 v[40:41], v[38:39], v[36:37] op_sel:[0,1]
	s_delay_alu instid0(VALU_DEP_1) | instskip(SKIP_1) | instid1(VALU_DEP_2)
	v_pk_fma_f32 v[96:97], v[38:39], v[36:37], v[40:41] op_sel:[1,0,0] op_sel_hi:[0,0,1] neg_lo:[0,0,1] neg_hi:[0,0,1]
	v_pk_fma_f32 v[36:37], v[38:39], v[36:37], v[40:41] op_sel:[1,0,0] op_sel_hi:[0,1,1]
	v_mov_b32_e32 v37, v97
	s_delay_alu instid0(VALU_DEP_1)
	v_pk_add_f32 v[34:35], v[34:35], v[36:37]
	s_or_b32 exec_lo, exec_lo, s56
	s_and_saveexec_b32 s56, s18
	s_cbranch_execz .LBB167_708
.LBB167_1145:                           ;   in Loop: Header=BB167_3 Depth=1
	ds_load_b64 v[36:37], v50 offset:21856
	ds_load_b64 v[38:39], v46 offset:20816
	s_wait_dscnt 0x0
	v_pk_mul_f32 v[40:41], v[38:39], v[36:37] op_sel:[0,1]
	s_delay_alu instid0(VALU_DEP_1) | instskip(SKIP_1) | instid1(VALU_DEP_2)
	v_pk_fma_f32 v[96:97], v[38:39], v[36:37], v[40:41] op_sel:[1,0,0] op_sel_hi:[0,0,1] neg_lo:[0,0,1] neg_hi:[0,0,1]
	v_pk_fma_f32 v[36:37], v[38:39], v[36:37], v[40:41] op_sel:[1,0,0] op_sel_hi:[0,1,1]
	v_mov_b32_e32 v37, v97
	s_delay_alu instid0(VALU_DEP_1)
	v_pk_add_f32 v[34:35], v[34:35], v[36:37]
	s_or_b32 exec_lo, exec_lo, s56
	s_and_saveexec_b32 s56, s3
	s_cbranch_execnz .LBB167_709
	s_branch .LBB167_710
.LBB167_1146:                           ;   in Loop: Header=BB167_3 Depth=1
	ds_load_b64 v[36:37], v64 offset:22400
	ds_load_b64 v[38:39], v60 offset:16728
	s_wait_dscnt 0x0
	v_dual_mul_f32 v40, v39, v37 :: v_dual_mul_f32 v37, v38, v37
	s_delay_alu instid0(VALU_DEP_1) | instskip(NEXT) | instid1(VALU_DEP_1)
	v_dual_fma_f32 v38, v38, v36, -v40 :: v_dual_fmac_f32 v37, v39, v36
	v_dual_add_f32 v35, v35, v38 :: v_dual_add_f32 v34, v34, v37
	s_or_b32 exec_lo, exec_lo, s10
	s_and_saveexec_b32 s10, s6
	s_cbranch_execz .LBB167_770
.LBB167_1147:                           ;   in Loop: Header=BB167_3 Depth=1
	ds_load_b64 v[36:37], v63 offset:22912
	ds_load_b64 v[38:39], v60 offset:16736
	s_wait_dscnt 0x0
	v_dual_mul_f32 v41, v39, v37 :: v_dual_mul_f32 v40, v38, v37
	s_delay_alu instid0(VALU_DEP_1) | instskip(NEXT) | instid1(VALU_DEP_1)
	v_dual_fma_f32 v41, v38, v36, -v41 :: v_dual_fmac_f32 v40, v39, v36
	v_pk_add_f32 v[34:35], v[34:35], v[40:41]
	s_or_b32 exec_lo, exec_lo, s10
	s_and_saveexec_b32 s10, s20
	s_cbranch_execz .LBB167_771
.LBB167_1148:                           ;   in Loop: Header=BB167_3 Depth=1
	ds_load_b64 v[36:37], v64 offset:23424
	ds_load_b64 v[38:39], v60 offset:16744
	s_wait_dscnt 0x0
	v_pk_mul_f32 v[40:41], v[38:39], v[36:37] op_sel:[0,1]
	s_delay_alu instid0(VALU_DEP_1) | instskip(SKIP_1) | instid1(VALU_DEP_2)
	v_pk_fma_f32 v[96:97], v[38:39], v[36:37], v[40:41] op_sel:[1,0,0] op_sel_hi:[0,0,1] neg_lo:[0,0,1] neg_hi:[0,0,1]
	v_pk_fma_f32 v[36:37], v[38:39], v[36:37], v[40:41] op_sel:[1,0,0] op_sel_hi:[0,1,1]
	v_mov_b32_e32 v37, v97
	s_delay_alu instid0(VALU_DEP_1)
	v_pk_add_f32 v[34:35], v[34:35], v[36:37]
	s_or_b32 exec_lo, exec_lo, s10
	s_and_saveexec_b32 s10, s22
	s_cbranch_execz .LBB167_772
.LBB167_1149:                           ;   in Loop: Header=BB167_3 Depth=1
	ds_load_b64 v[36:37], v63 offset:23936
	ds_load_b64 v[38:39], v60 offset:16752
	s_wait_dscnt 0x0
	v_pk_mul_f32 v[40:41], v[38:39], v[36:37] op_sel:[0,1]
	s_delay_alu instid0(VALU_DEP_1) | instskip(SKIP_1) | instid1(VALU_DEP_2)
	v_pk_fma_f32 v[96:97], v[38:39], v[36:37], v[40:41] op_sel:[1,0,0] op_sel_hi:[0,0,1] neg_lo:[0,0,1] neg_hi:[0,0,1]
	v_pk_fma_f32 v[36:37], v[38:39], v[36:37], v[40:41] op_sel:[1,0,0] op_sel_hi:[0,1,1]
	v_mov_b32_e32 v37, v97
	s_delay_alu instid0(VALU_DEP_1)
	v_pk_add_f32 v[34:35], v[34:35], v[36:37]
	s_or_b32 exec_lo, exec_lo, s10
	s_and_saveexec_b32 s10, s5
	s_cbranch_execnz .LBB167_773
	s_branch .LBB167_774
.LBB167_1150:                           ;   in Loop: Header=BB167_3 Depth=1
	ds_load_b64 v[36:37], v51 offset:25504
	ds_load_b64 v[38:39], v46 offset:24968
	s_wait_dscnt 0x0
	v_pk_mul_f32 v[40:41], v[38:39], v[36:37] op_sel:[0,1]
	s_delay_alu instid0(VALU_DEP_1) | instskip(SKIP_1) | instid1(VALU_DEP_2)
	v_pk_fma_f32 v[96:97], v[38:39], v[36:37], v[40:41] op_sel:[1,0,0] op_sel_hi:[0,0,1] neg_lo:[0,0,1] neg_hi:[0,0,1]
	v_pk_fma_f32 v[36:37], v[38:39], v[36:37], v[40:41] op_sel:[1,0,0] op_sel_hi:[0,1,1]
	v_mov_b32_e32 v37, v97
	s_delay_alu instid0(VALU_DEP_1)
	v_pk_add_f32 v[34:35], v[34:35], v[36:37]
	s_or_b32 exec_lo, exec_lo, s56
	s_and_saveexec_b32 s56, s18
	s_cbranch_execz .LBB167_862
.LBB167_1151:                           ;   in Loop: Header=BB167_3 Depth=1
	ds_load_b64 v[36:37], v50 offset:26016
	ds_load_b64 v[38:39], v46 offset:24976
	s_wait_dscnt 0x0
	v_pk_mul_f32 v[40:41], v[38:39], v[36:37] op_sel:[0,1]
	s_delay_alu instid0(VALU_DEP_1) | instskip(SKIP_1) | instid1(VALU_DEP_2)
	v_pk_fma_f32 v[96:97], v[38:39], v[36:37], v[40:41] op_sel:[1,0,0] op_sel_hi:[0,0,1] neg_lo:[0,0,1] neg_hi:[0,0,1]
	v_pk_fma_f32 v[36:37], v[38:39], v[36:37], v[40:41] op_sel:[1,0,0] op_sel_hi:[0,1,1]
	v_mov_b32_e32 v37, v97
	s_delay_alu instid0(VALU_DEP_1)
	v_pk_add_f32 v[34:35], v[34:35], v[36:37]
	s_or_b32 exec_lo, exec_lo, s56
	s_and_saveexec_b32 s56, s3
	s_cbranch_execnz .LBB167_863
	s_branch .LBB167_864
.LBB167_1152:                           ;   in Loop: Header=BB167_3 Depth=1
	ds_load_b64 v[36:37], v59 offset:25536
	ds_load_b64 v[38:39], v54 offset:24968
	s_wait_dscnt 0x0
	v_dual_mul_f32 v40, v39, v37 :: v_dual_mul_f32 v37, v38, v37
	s_delay_alu instid0(VALU_DEP_1) | instskip(NEXT) | instid1(VALU_DEP_1)
	v_dual_fma_f32 v38, v38, v36, -v40 :: v_dual_fmac_f32 v37, v39, v36
	v_dual_add_f32 v35, v35, v38 :: v_dual_add_f32 v34, v34, v37
	s_or_b32 exec_lo, exec_lo, s56
	s_and_saveexec_b32 s56, s20
	s_cbranch_execz .LBB167_904
.LBB167_1153:                           ;   in Loop: Header=BB167_3 Depth=1
	ds_load_b64 v[36:37], v59 offset:26048
	ds_load_b64 v[38:39], v54 offset:24976
	s_wait_dscnt 0x0
	v_dual_mul_f32 v40, v39, v37 :: v_dual_mul_f32 v37, v38, v37
	s_delay_alu instid0(VALU_DEP_1) | instskip(NEXT) | instid1(VALU_DEP_1)
	v_dual_fma_f32 v38, v38, v36, -v40 :: v_dual_fmac_f32 v37, v39, v36
	v_dual_add_f32 v35, v35, v38 :: v_dual_add_f32 v34, v34, v37
	s_or_b32 exec_lo, exec_lo, s56
	s_and_saveexec_b32 s56, s21
	s_cbranch_execz .LBB167_905
.LBB167_1154:                           ;   in Loop: Header=BB167_3 Depth=1
	ds_load_b64 v[36:37], v59 offset:26560
	ds_load_b64 v[38:39], v54 offset:24984
	s_wait_dscnt 0x0
	v_dual_mul_f32 v40, v39, v37 :: v_dual_mul_f32 v37, v38, v37
	s_delay_alu instid0(VALU_DEP_1) | instskip(NEXT) | instid1(VALU_DEP_1)
	v_dual_fma_f32 v38, v38, v36, -v40 :: v_dual_fmac_f32 v37, v39, v36
	v_dual_add_f32 v35, v35, v38 :: v_dual_add_f32 v34, v34, v37
	s_or_b32 exec_lo, exec_lo, s56
	s_and_saveexec_b32 s56, s22
	s_cbranch_execz .LBB167_906
.LBB167_1155:                           ;   in Loop: Header=BB167_3 Depth=1
	ds_load_b64 v[36:37], v58 offset:27072
	ds_load_b64 v[38:39], v54 offset:24992
	s_wait_dscnt 0x0
	v_dual_mul_f32 v41, v39, v37 :: v_dual_mul_f32 v40, v38, v37
	s_delay_alu instid0(VALU_DEP_1) | instskip(NEXT) | instid1(VALU_DEP_1)
	v_dual_fma_f32 v41, v38, v36, -v41 :: v_dual_fmac_f32 v40, v39, v36
	v_pk_add_f32 v[34:35], v[34:35], v[40:41]
	s_or_b32 exec_lo, exec_lo, s56
	s_and_saveexec_b32 s56, s23
	s_cbranch_execz .LBB167_907
.LBB167_1156:                           ;   in Loop: Header=BB167_3 Depth=1
	ds_load_b64 v[36:37], v59 offset:27584
	ds_load_b64 v[38:39], v54 offset:25000
	s_wait_dscnt 0x0
	v_pk_mul_f32 v[40:41], v[38:39], v[36:37] op_sel:[0,1]
	s_delay_alu instid0(VALU_DEP_1) | instskip(SKIP_1) | instid1(VALU_DEP_2)
	v_pk_fma_f32 v[96:97], v[38:39], v[36:37], v[40:41] op_sel:[1,0,0] op_sel_hi:[0,0,1] neg_lo:[0,0,1] neg_hi:[0,0,1]
	v_pk_fma_f32 v[36:37], v[38:39], v[36:37], v[40:41] op_sel:[1,0,0] op_sel_hi:[0,1,1]
	v_mov_b32_e32 v37, v97
	s_delay_alu instid0(VALU_DEP_1)
	v_pk_add_f32 v[34:35], v[34:35], v[36:37]
	s_or_b32 exec_lo, exec_lo, s56
	s_and_saveexec_b32 s56, s5
	s_cbranch_execz .LBB167_908
.LBB167_1157:                           ;   in Loop: Header=BB167_3 Depth=1
	ds_load_b64 v[36:37], v58 offset:28096
	ds_load_b64 v[38:39], v54 offset:25008
	s_wait_dscnt 0x0
	v_pk_mul_f32 v[40:41], v[38:39], v[36:37] op_sel:[0,1]
	s_delay_alu instid0(VALU_DEP_1) | instskip(SKIP_1) | instid1(VALU_DEP_2)
	v_pk_fma_f32 v[96:97], v[38:39], v[36:37], v[40:41] op_sel:[1,0,0] op_sel_hi:[0,0,1] neg_lo:[0,0,1] neg_hi:[0,0,1]
	v_pk_fma_f32 v[36:37], v[38:39], v[36:37], v[40:41] op_sel:[1,0,0] op_sel_hi:[0,1,1]
	v_mov_b32_e32 v37, v97
	s_delay_alu instid0(VALU_DEP_1)
	v_pk_add_f32 v[34:35], v[34:35], v[36:37]
	s_or_b32 exec_lo, exec_lo, s56
	s_and_saveexec_b32 s56, s18
	s_cbranch_execnz .LBB167_909
	s_branch .LBB167_910
.LBB167_1158:                           ;   in Loop: Header=BB167_3 Depth=1
	ds_load_b64 v[36:37], v51 offset:29664
	ds_load_b64 v[38:39], v46 offset:29128
	s_wait_dscnt 0x0
	v_pk_mul_f32 v[40:41], v[38:39], v[36:37] op_sel:[0,1]
	s_delay_alu instid0(VALU_DEP_1) | instskip(SKIP_1) | instid1(VALU_DEP_2)
	v_pk_fma_f32 v[96:97], v[38:39], v[36:37], v[40:41] op_sel:[1,0,0] op_sel_hi:[0,0,1] neg_lo:[0,0,1] neg_hi:[0,0,1]
	v_pk_fma_f32 v[36:37], v[38:39], v[36:37], v[40:41] op_sel:[1,0,0] op_sel_hi:[0,1,1]
	v_mov_b32_e32 v37, v97
	s_delay_alu instid0(VALU_DEP_1)
	v_pk_add_f32 v[34:35], v[34:35], v[36:37]
	s_or_b32 exec_lo, exec_lo, s56
	s_and_saveexec_b32 s56, s18
	s_cbranch_execz .LBB167_966
.LBB167_1159:                           ;   in Loop: Header=BB167_3 Depth=1
	ds_load_b64 v[36:37], v50 offset:30176
	ds_load_b64 v[38:39], v46 offset:29136
	s_wait_dscnt 0x0
	v_pk_mul_f32 v[40:41], v[38:39], v[36:37] op_sel:[0,1]
	s_delay_alu instid0(VALU_DEP_1) | instskip(SKIP_1) | instid1(VALU_DEP_2)
	v_pk_fma_f32 v[96:97], v[38:39], v[36:37], v[40:41] op_sel:[1,0,0] op_sel_hi:[0,0,1] neg_lo:[0,0,1] neg_hi:[0,0,1]
	v_pk_fma_f32 v[36:37], v[38:39], v[36:37], v[40:41] op_sel:[1,0,0] op_sel_hi:[0,1,1]
	v_mov_b32_e32 v37, v97
	s_delay_alu instid0(VALU_DEP_1)
	v_pk_add_f32 v[34:35], v[34:35], v[36:37]
	s_or_b32 exec_lo, exec_lo, s56
	s_and_saveexec_b32 s56, s3
	s_cbranch_execnz .LBB167_967
	s_branch .LBB167_968
.LBB167_1160:
	s_endpgm
	.section	.rodata,"a",@progbits
	.p2align	6, 0x0
	.amdhsa_kernel _ZL19rocblas_trsv_deviceILi64ELi16ELb1ELb1ELb0ELb0E19rocblas_complex_numIfES1_PKPKS1_PKPS1_EviT7_lllT6_T8_lllPii
		.amdhsa_group_segment_fixed_size 41480
		.amdhsa_private_segment_fixed_size 48
		.amdhsa_kernarg_size 352
		.amdhsa_user_sgpr_count 2
		.amdhsa_user_sgpr_dispatch_ptr 0
		.amdhsa_user_sgpr_queue_ptr 0
		.amdhsa_user_sgpr_kernarg_segment_ptr 1
		.amdhsa_user_sgpr_dispatch_id 0
		.amdhsa_user_sgpr_kernarg_preload_length 0
		.amdhsa_user_sgpr_kernarg_preload_offset 0
		.amdhsa_user_sgpr_private_segment_size 0
		.amdhsa_wavefront_size32 1
		.amdhsa_uses_dynamic_stack 0
		.amdhsa_enable_private_segment 1
		.amdhsa_system_sgpr_workgroup_id_x 1
		.amdhsa_system_sgpr_workgroup_id_y 0
		.amdhsa_system_sgpr_workgroup_id_z 1
		.amdhsa_system_sgpr_workgroup_info 0
		.amdhsa_system_vgpr_workitem_id 1
		.amdhsa_next_free_vgpr 107
		.amdhsa_next_free_sgpr 105
		.amdhsa_named_barrier_count 0
		.amdhsa_reserve_vcc 1
		.amdhsa_float_round_mode_32 0
		.amdhsa_float_round_mode_16_64 0
		.amdhsa_float_denorm_mode_32 3
		.amdhsa_float_denorm_mode_16_64 3
		.amdhsa_fp16_overflow 0
		.amdhsa_memory_ordered 1
		.amdhsa_forward_progress 1
		.amdhsa_inst_pref_size 255
		.amdhsa_round_robin_scheduling 0
		.amdhsa_exception_fp_ieee_invalid_op 0
		.amdhsa_exception_fp_denorm_src 0
		.amdhsa_exception_fp_ieee_div_zero 0
		.amdhsa_exception_fp_ieee_overflow 0
		.amdhsa_exception_fp_ieee_underflow 0
		.amdhsa_exception_fp_ieee_inexact 0
		.amdhsa_exception_int_div_zero 0
	.end_amdhsa_kernel
	.section	.text._ZL19rocblas_trsv_deviceILi64ELi16ELb1ELb1ELb0ELb0E19rocblas_complex_numIfES1_PKPKS1_PKPS1_EviT7_lllT6_T8_lllPii,"axG",@progbits,_ZL19rocblas_trsv_deviceILi64ELi16ELb1ELb1ELb0ELb0E19rocblas_complex_numIfES1_PKPKS1_PKPS1_EviT7_lllT6_T8_lllPii,comdat
.Lfunc_end167:
	.size	_ZL19rocblas_trsv_deviceILi64ELi16ELb1ELb1ELb0ELb0E19rocblas_complex_numIfES1_PKPKS1_PKPS1_EviT7_lllT6_T8_lllPii, .Lfunc_end167-_ZL19rocblas_trsv_deviceILi64ELi16ELb1ELb1ELb0ELb0E19rocblas_complex_numIfES1_PKPKS1_PKPS1_EviT7_lllT6_T8_lllPii
                                        ; -- End function
	.set _ZL19rocblas_trsv_deviceILi64ELi16ELb1ELb1ELb0ELb0E19rocblas_complex_numIfES1_PKPKS1_PKPS1_EviT7_lllT6_T8_lllPii.num_vgpr, 107
	.set _ZL19rocblas_trsv_deviceILi64ELi16ELb1ELb1ELb0ELb0E19rocblas_complex_numIfES1_PKPKS1_PKPS1_EviT7_lllT6_T8_lllPii.num_agpr, 0
	.set _ZL19rocblas_trsv_deviceILi64ELi16ELb1ELb1ELb0ELb0E19rocblas_complex_numIfES1_PKPKS1_PKPS1_EviT7_lllT6_T8_lllPii.numbered_sgpr, 105
	.set _ZL19rocblas_trsv_deviceILi64ELi16ELb1ELb1ELb0ELb0E19rocblas_complex_numIfES1_PKPKS1_PKPS1_EviT7_lllT6_T8_lllPii.num_named_barrier, 0
	.set _ZL19rocblas_trsv_deviceILi64ELi16ELb1ELb1ELb0ELb0E19rocblas_complex_numIfES1_PKPKS1_PKPS1_EviT7_lllT6_T8_lllPii.private_seg_size, 48
	.set _ZL19rocblas_trsv_deviceILi64ELi16ELb1ELb1ELb0ELb0E19rocblas_complex_numIfES1_PKPKS1_PKPS1_EviT7_lllT6_T8_lllPii.uses_vcc, 1
	.set _ZL19rocblas_trsv_deviceILi64ELi16ELb1ELb1ELb0ELb0E19rocblas_complex_numIfES1_PKPKS1_PKPS1_EviT7_lllT6_T8_lllPii.uses_flat_scratch, 0
	.set _ZL19rocblas_trsv_deviceILi64ELi16ELb1ELb1ELb0ELb0E19rocblas_complex_numIfES1_PKPKS1_PKPS1_EviT7_lllT6_T8_lllPii.has_dyn_sized_stack, 0
	.set _ZL19rocblas_trsv_deviceILi64ELi16ELb1ELb1ELb0ELb0E19rocblas_complex_numIfES1_PKPKS1_PKPS1_EviT7_lllT6_T8_lllPii.has_recursion, 0
	.set _ZL19rocblas_trsv_deviceILi64ELi16ELb1ELb1ELb0ELb0E19rocblas_complex_numIfES1_PKPKS1_PKPS1_EviT7_lllT6_T8_lllPii.has_indirect_call, 0
	.section	.AMDGPU.csdata,"",@progbits
; Kernel info:
; codeLenInByte = 55092
; TotalNumSgprs: 107
; NumVgprs: 107
; ScratchSize: 48
; MemoryBound: 0
; FloatMode: 240
; IeeeMode: 1
; LDSByteSize: 41480 bytes/workgroup (compile time only)
; SGPRBlocks: 0
; VGPRBlocks: 6
; NumSGPRsForWavesPerEU: 107
; NumVGPRsForWavesPerEU: 107
; NamedBarCnt: 0
; Occupancy: 9
; WaveLimiterHint : 1
; COMPUTE_PGM_RSRC2:SCRATCH_EN: 1
; COMPUTE_PGM_RSRC2:USER_SGPR: 2
; COMPUTE_PGM_RSRC2:TRAP_HANDLER: 0
; COMPUTE_PGM_RSRC2:TGID_X_EN: 1
; COMPUTE_PGM_RSRC2:TGID_Y_EN: 0
; COMPUTE_PGM_RSRC2:TGID_Z_EN: 1
; COMPUTE_PGM_RSRC2:TIDIG_COMP_CNT: 1
	.section	.text._ZL19rocblas_trsv_deviceILi64ELi16ELb1ELb1ELb1ELb0E19rocblas_complex_numIfES1_PKPKS1_PKPS1_EviT7_lllT6_T8_lllPii,"axG",@progbits,_ZL19rocblas_trsv_deviceILi64ELi16ELb1ELb1ELb1ELb0E19rocblas_complex_numIfES1_PKPKS1_PKPS1_EviT7_lllT6_T8_lllPii,comdat
	.globl	_ZL19rocblas_trsv_deviceILi64ELi16ELb1ELb1ELb1ELb0E19rocblas_complex_numIfES1_PKPKS1_PKPS1_EviT7_lllT6_T8_lllPii ; -- Begin function _ZL19rocblas_trsv_deviceILi64ELi16ELb1ELb1ELb1ELb0E19rocblas_complex_numIfES1_PKPKS1_PKPS1_EviT7_lllT6_T8_lllPii
	.p2align	8
	.type	_ZL19rocblas_trsv_deviceILi64ELi16ELb1ELb1ELb1ELb0E19rocblas_complex_numIfES1_PKPKS1_PKPS1_EviT7_lllT6_T8_lllPii,@function
_ZL19rocblas_trsv_deviceILi64ELi16ELb1ELb1ELb1ELb0E19rocblas_complex_numIfES1_PKPKS1_PKPS1_EviT7_lllT6_T8_lllPii: ; @_ZL19rocblas_trsv_deviceILi64ELi16ELb1ELb1ELb1ELb0E19rocblas_complex_numIfES1_PKPKS1_PKPS1_EviT7_lllT6_T8_lllPii
; %bb.0:
	s_load_b32 s65, s[0:1], 0x58
	s_bfe_u32 s2, ttmp6, 0x40014
	s_lshr_b32 s3, ttmp7, 16
	s_add_co_i32 s2, s2, 1
	s_bfe_u32 s5, ttmp6, 0x40008
	s_mul_i32 s4, s3, s2
	s_getreg_b32 s2, hwreg(HW_REG_IB_STS2, 6, 4)
	s_add_co_i32 s5, s5, s4
	s_cmp_eq_u32 s2, 0
	s_mov_b32 s67, 0
	s_cselect_b32 s66, s3, s5
	s_wait_kmcnt 0x0
	s_cmp_ge_u32 s66, s65
	s_cbranch_scc1 .LBB168_1174
; %bb.1:
	s_clause 0x2
	s_load_b32 s3, s[0:1], 0x6c
	s_load_b32 s89, s[0:1], 0x60
	;; [unrolled: 1-line block ×3, first 2 shown]
	s_bfe_u32 s5, ttmp6, 0x4000c
	s_and_b32 s4, ttmp6, 15
	s_add_co_i32 s5, s5, 1
	s_clause 0x2
	s_load_b64 s[16:17], s[0:1], 0x18
	s_load_b64 s[22:23], s[0:1], 0x28
	s_load_b64 s[80:81], s[0:1], 0x40
	s_mul_i32 s5, ttmp9, s5
	v_and_b32_e32 v2, 0x3ff, v0
	s_add_co_i32 s4, s4, s5
	s_cmp_eq_u32 s2, 0
	v_bfe_u32 v43, v0, 10, 10
	s_cselect_b32 s88, ttmp9, s4
	v_dual_mov_b32 v5, 0 :: v_dual_lshlrev_b32 v12, 6, v2
                                        ; implicit-def: $vgpr108 : SGPR spill to VGPR lane
	v_cmp_gt_u32_e64 s6, 2, v2
	s_delay_alu instid0(VALU_DEP_3) | instskip(SKIP_1) | instid1(VALU_DEP_4)
	v_add_nc_u32_e32 v20, 16, v43
	v_lshl_add_u32 v23, v43, 6, v2
	v_mov_b32_e32 v3, v5
	v_mul_i32_i24_e32 v53, 0xfffffe08, v2
	s_wait_kmcnt 0x0
	s_and_b32 s2, s3, 0xffff
	s_add_co_i32 s89, s89, -1
	s_add_co_i32 s3, s76, -1
	s_ashr_i32 s77, s76, 31
	s_ashr_i32 s4, s3, 31
	s_lshr_b32 s5, s77, 26
	s_lshr_b32 s4, s4, 26
	s_add_co_i32 s5, s76, s5
	s_add_co_i32 s3, s3, s4
	s_and_not1_b32 s5, s5, 63
	s_sub_co_i32 s91, s89, s88
	s_ashr_i32 s3, s3, 6
	s_sub_co_i32 s20, s76, s5
	s_cmp_eq_u32 s3, s91
	v_lshl_add_u32 v14, v20, 6, v2
	s_cselect_b32 s3, -1, 0
	s_cmp_lg_u32 s20, 0
	v_mul_u32_u24_e32 v16, 0x1f8, v2
	s_cselect_b32 s4, -1, 0
	v_dual_add_nc_u32 v24, 32, v43 :: v_dual_add_nc_u32 v26, 48, v43
	s_and_b32 s21, s4, s3
	s_add_nc_u64 s[4:5], s[16:17], 1
	s_xor_b32 s90, s21, -1
	s_cmp_lg_u32 s88, 0
	v_lshl_add_u32 v27, v24, 6, v2
	s_cselect_b32 s3, -1, 0
	s_lshl_b32 s18, s91, 6
	s_cmp_lt_i32 s88, 5
	v_dual_add_nc_u32 v13, s18, v43 :: v_dual_add_nc_u32 v10, s18, v2
	v_add_nc_u32_e32 v1, v43, v12
	v_mad_nc_u64_u32 v[18:19], s4, s18, v[2:3]
	s_delay_alu instid0(VALU_DEP_3) | instskip(NEXT) | instid1(VALU_DEP_4)
	v_dual_add_nc_u32 v3, v20, v12 :: v_dual_add_nc_u32 v6, 64, v13
	v_ashrrev_i32_e32 v11, 31, v10
	s_cselect_b32 vcc_lo, -1, 0
	s_ashr_i32 s19, s18, 31
	s_delay_alu instid0(VALU_DEP_2) | instskip(SKIP_1) | instid1(SALU_CYCLE_1)
	v_dual_cndmask_b32 v21, v23, v1, vcc_lo :: v_dual_ashrrev_i32 v7, 31, v6
	s_or_b32 vcc_lo, vcc_lo, s21
	v_dual_cndmask_b32 v22, v14, v3, vcc_lo :: v_dual_bitop2_b32 v1, 1, v0 bitop3:0x40
	v_writelane_b32 v108, s3, 0
	s_mul_i32 s3, s4, s19
	s_mul_i32 s4, s5, s18
	s_delay_alu instid0(VALU_DEP_2)
	v_cmp_eq_u32_e64 s5, 1, v1
	v_dual_lshrrev_b32 v3, 10, v0 :: v_dual_lshrrev_b32 v14, 1, v23
	v_add3_u32 v19, s3, s4, v19
	v_dual_lshlrev_b32 v15, 3, v1 :: v_dual_lshlrev_b32 v46, 3, v2
	v_cmp_gt_u32_e64 s3, 4, v23
	s_xor_b32 s4, s5, -1
	v_bitop3_b32 v25, v0, v3, 0x3ff bitop3:0xa8
	v_lshl_add_u32 v3, v14, 3, 0x8000
	v_lshl_or_b32 v44, v14, 9, v15
	v_mul_u32_u24_e32 v45, 0x208, v14
	s_and_b32 s93, s4, s3
	v_dual_lshrrev_b32 v1, 2, v23 :: v_dual_bitop2_b32 v14, 3, v0 bitop3:0x40
	v_cmp_eq_u32_e64 s4, 0, v43
	s_and_b32 s94, s5, s3
	v_cmp_gt_u32_e64 s5, 16, v23
	v_dual_lshlrev_b32 v15, 3, v1 :: v_dual_lshlrev_b32 v48, 3, v14
	s_and_b32 s95, s4, s6
	v_cmp_eq_u32_e64 s6, 0, v14
	v_mul_u32_u24_e32 v47, 0x208, v1
	v_cmp_ne_u32_e64 s7, 0, v14
	v_cmp_lt_u32_e64 s9, 1, v14
	v_cmp_eq_u32_e64 s10, 3, v14
	s_and_b32 s96, s6, s5
	v_cmp_eq_u32_e64 s6, 1, v14
	v_sub_nc_u32_e32 v17, v47, v15
	s_and_b32 s97, s7, s5
	v_cmp_eq_u32_e64 s7, 2, v14
	v_and_b32_e32 v14, 7, v0
	s_and_b32 s98, s6, s5
	v_cmp_gt_u32_e64 s6, 4, v2
	s_and_b32 s99, s9, s5
	s_and_b32 s100, s7, s5
	v_cmp_eq_u32_e64 s7, 0, v14
	v_cmp_ne_u32_e64 s9, 0, v14
	s_and_b32 s102, s4, s6
	v_cmp_gt_u32_e64 s6, 64, v23
	v_lshl_or_b32 v51, v1, 9, v48
	v_dual_add_nc_u32 v52, v17, v48 :: v_dual_lshrrev_b32 v1, 3, v23
	s_and_b32 s101, s10, s5
	s_and_b32 s103, s7, s6
	;; [unrolled: 1-line block ×3, first 2 shown]
	v_cmp_eq_u32_e64 s7, 1, v14
	v_cmp_lt_u32_e64 s9, 1, v14
	v_cmp_eq_u32_e64 s10, 2, v14
	v_cmp_lt_u32_e64 s11, 2, v14
	v_cmp_eq_u32_e64 s12, 3, v14
	s_and_b32 vcc_hi, s7, s6
	s_and_b32 s15, s9, s6
	v_cmp_lt_u32_e64 s7, 3, v14
	v_cmp_eq_u32_e64 s9, 4, v14
	v_mul_u32_u24_e32 v57, 0x208, v1
	v_lshlrev_b32_e32 v59, 3, v14
	s_and_b32 s39, s10, s6
	s_and_b32 s40, s11, s6
	;; [unrolled: 1-line block ×3, first 2 shown]
	v_cmp_lt_u32_e64 s10, 4, v14
	v_cmp_eq_u32_e64 s11, 5, v14
	v_cmp_lt_u32_e64 s12, 5, v14
	s_and_b32 s42, s7, s6
	s_and_b32 s43, s9, s6
	v_cmp_eq_u32_e64 s7, 6, v14
	v_cmp_eq_u32_e64 s9, 7, v14
	v_and_b32_e32 v14, 15, v0
	s_and_b32 s44, s10, s6
	v_cmp_gt_u32_e64 s10, 8, v2
	s_and_b32 s47, s7, s6
	s_and_b32 s48, s9, s6
	v_cmp_gt_u32_e64 s7, 0x100, v23
	v_cmp_eq_u32_e64 s9, 0, v14
	s_and_b32 s49, s4, s10
	v_cmp_ne_u32_e64 s10, 0, v14
	s_and_b32 s45, s11, s6
	v_cmp_eq_u32_e64 s11, 1, v14
	s_and_b32 s9, s9, s7
	s_and_b32 s46, s12, s6
	v_writelane_b32 v108, s9, 1
	s_and_b32 s10, s10, s7
	v_cmp_lt_u32_e64 s9, 1, v14
	v_cmp_eq_u32_e64 s12, 2, v14
	v_lshlrev_b32_e32 v65, 3, v14
	v_writelane_b32 v108, s10, 2
	s_and_b32 s10, s11, s7
	s_and_b32 s9, s9, s7
	v_cmp_lt_u32_e64 s11, 3, v14
	v_cmp_le_i32_e64 s14, s20, v2
	v_writelane_b32 v108, s10, 3
	v_cmp_lt_u32_e64 s10, 2, v14
	v_lshl_or_b32 v61, v1, 9, v59
	s_and_b32 s57, s11, s7
	v_cmp_eq_u32_e64 s11, 6, v14
	v_writelane_b32 v108, s9, 4
	s_and_b32 s9, s12, s7
	s_and_b32 s10, s10, s7
	v_cmp_lt_u32_e64 s12, 4, v14
	s_and_b32 s62, s11, s7
	v_writelane_b32 v108, s9, 5
	v_cmp_eq_u32_e64 s9, 3, v14
	v_cmp_lt_u32_e64 s11, 8, v14
	s_and_b32 s59, s12, s7
	v_cmp_eq_u32_e64 s12, 7, v14
	v_writelane_b32 v108, s10, 6
	v_cmp_eq_u32_e64 s10, 4, v14
	s_and_b32 s9, s9, s7
	s_and_b32 s26, s11, s7
	;; [unrolled: 1-line block ×3, first 2 shown]
	v_writelane_b32 v108, s9, 7
	v_cmp_eq_u32_e64 s9, 5, v14
	s_and_b32 s58, s10, s7
	v_cmp_lt_u32_e64 s10, 5, v14
	v_cmp_lt_u32_e64 s12, 9, v14
	v_cmp_eq_u32_e64 s11, 11, v14
	s_and_b32 s60, s9, s7
	v_cmp_lt_u32_e64 s9, 6, v14
	s_and_b32 s61, s10, s7
	v_cmp_lt_u32_e64 s10, 7, v14
	s_and_b32 s30, s12, s7
	v_cmp_eq_u32_e64 s12, 12, v14
	s_and_b32 s63, s9, s7
	v_cmp_eq_u32_e64 s9, 8, v14
	;; [unrolled: 2-line block ×3, first 2 shown]
	s_and_b32 s84, s11, s7
	s_and_b32 s78, s12, s7
	;; [unrolled: 1-line block ×3, first 2 shown]
	v_cmp_eq_u32_e64 s9, 10, v14
	s_and_b32 s28, s10, s7
	v_cmp_lt_u32_e64 s10, 10, v14
	v_cmp_lt_u32_e64 s11, 13, v14
	v_cmp_eq_u32_e64 s12, 15, v14
	s_and_b32 s33, s9, s7
	v_cmp_lt_u32_e64 s9, 11, v14
	s_and_b32 s35, s10, s7
	v_cmp_lt_u32_e64 s10, 12, v14
	v_lshrrev_b32_e32 v1, 4, v23
	s_and_b32 s29, s14, s21
	s_and_b32 s85, s9, s7
	v_cmp_eq_u32_e64 s9, 13, v14
	s_and_b32 s79, s10, s7
	v_cmp_eq_u32_e64 s10, 14, v14
	v_mul_lo_u32 v14, v53, 6
	v_cmp_gt_i32_e64 s8, s20, v2
	s_and_b32 s25, s9, s7
	v_cmp_gt_u32_e64 s9, 16, v2
	s_xor_b32 s21, s29, -1
	s_xor_b32 s92, vcc_lo, -1
	v_mul_u32_u24_e32 v64, 0x208, v1
	s_and_b32 s11, s11, s7
	s_and_b32 s27, s4, s9
	v_cmp_gt_u32_e64 s9, 32, v2
	s_and_b32 s10, s10, s7
	v_mad_u32 v16, v16, 7, v14
	v_dual_add_nc_u32 v14, v24, v12 :: v_dual_add_nc_u32 v12, v26, v12
	v_add_nc_u32_e32 v50, 0x8000, v15
	v_and_b32_e32 v15, -8, v23
	s_and_b32 s9, s4, s9
	s_and_b32 s12, s12, s7
	v_writelane_b32 v108, s9, 8
	s_and_b32 s31, s4, s21
	v_sub_nc_u32_e32 v17, v57, v15
	v_add_nc_u32_e32 v60, 0x8000, v15
	v_lshlrev_b32_e32 v15, 3, v1
	s_xor_b32 s36, s23, 0x80000000
	s_cmp_gt_i32 s88, 0
	v_add_nc_u32_e32 v62, v17, v59
	s_clause 0x2
	s_load_b64 s[82:83], s[0:1], 0x50
	s_load_b128 s[68:71], s[0:1], 0x8
	s_load_b128 s[72:75], s[0:1], 0x30
	s_cselect_b32 s34, -1, 0
	s_wait_xcnt 0x0
	s_and_b32 s1, s4, s8
	v_mad_u32_u24 v4, v43, s2, v2
	v_cmp_gt_i32_e64 s2, s76, v10
	v_sub_nc_u32_e32 v17, v64, v15
	v_add_nc_u32_e32 v66, 0x8000, v15
	v_writelane_b32 v108, s1, 9
	v_cmp_gt_i32_e64 s1, s76, v6
	v_lshl_add_u32 v28, v26, 6, v2
	v_add_nc_u32_e32 v15, 0x50, v13
	v_lshl_or_b32 v67, v1, 9, v65
	v_dual_lshrrev_b32 v1, 5, v23 :: v_dual_add_nc_u32 v68, v17, v65
	v_and_b32_e32 v69, 31, v0
	v_dual_cndmask_b32 v28, v28, v12 :: v_dual_add_nc_u32 v17, 0x60, v13
	v_cmp_gt_i32_e64 s8, s76, v15
	s_and_b32 s1, s1, s2
	v_add_nc_u32_e32 v13, 0x70, v13
	v_writelane_b32 v108, s1, 10
	v_cmp_gt_i32_e64 s9, s76, v17
	s_and_b32 s1, s8, s2
	v_cndmask_b32_e32 v27, v27, v14, vcc_lo
	v_cmp_gt_i32_e32 vcc_lo, s76, v13
	v_writelane_b32 v108, s1, 11
	s_and_b32 s1, s9, s2
	v_cmp_le_u32_e64 s0, v2, v43
	v_mul_u32_u24_e32 v17, 0x1f0, v2
	v_mul_u64_e32 v[8:9], s[16:17], v[10:11]
	v_writelane_b32 v108, s1, 12
	s_and_b32 s1, vcc_lo, s2
	v_cmp_le_i32_e32 vcc_lo, s20, v43
	v_mad_nc_u64_u32 v[12:13], s16, v43, v[18:19]
	v_mad_nc_u64_u32 v[14:15], s16, v20, v[18:19]
	v_writelane_b32 v108, s1, 13
	v_cmp_le_i32_e64 s1, s20, v20
	s_or_b32 s8, vcc_lo, s14
	v_cmp_le_i32_e32 vcc_lo, s20, v24
	s_or_b32 s8, s8, s0
	v_dual_sub_nc_u32 v29, v16, v17 :: v_dual_lshlrev_b32 v78, 3, v22
	v_writelane_b32 v108, s8, 14
	s_or_b32 s9, s1, s14
	v_cmp_le_i32_e64 s8, s20, v26
	v_cmp_le_u32_e64 s1, v2, v20
	v_mad_nc_u64_u32 v[16:17], s16, v24, v[18:19]
	v_mad_nc_u64_u32 v[18:19], s16, v26, v[18:19]
	v_mad_u32 v13, s17, v43, v13
	s_or_b32 s16, s8, s14
	s_or_b32 s9, s9, s1
	v_cmp_le_u32_e64 s8, v2, v24
	v_writelane_b32 v108, s9, 15
	s_or_b32 s9, vcc_lo, s14
	v_mad_u32 v15, s17, v20, v15
	v_dual_lshlrev_b32 v70, 3, v1 :: v_dual_lshlrev_b32 v71, 9, v1
	s_or_b32 s9, s9, s8
	v_mad_u32 v17, s17, v24, v17
	v_writelane_b32 v108, s9, 16
	v_cmp_le_u32_e64 s9, v2, v26
	v_mad_u32 v19, s17, v26, v19
	v_cmp_ne_u32_e64 s17, v2, v20
	v_mul_u64_e32 v[0:1], s[80:81], v[10:11]
	v_add_nc_u64_e32 v[10:11], s[18:19], v[4:5]
	s_or_b32 s16, s16, s9
	v_cmp_ne_u32_e64 s18, v2, v24
	v_writelane_b32 v108, s16, 17
	v_cmp_ne_u32_e64 s16, v2, v43
	v_cmp_ne_u32_e64 s19, v2, v26
	s_mov_b32 s37, s23
	v_mad_u32_u24 v49, 0x1f8, v2, v46
	s_mov_b32 s23, s22
	v_writelane_b32 v108, s16, 18
	s_or_b32 s16, s14, s16
                                        ; implicit-def: $vgpr107 : SGPR spill to VGPR lane
	v_dual_lshlrev_b32 v75, 3, v21 :: v_dual_lshlrev_b32 v79, 3, v27
	v_mad_i32_i24 v54, 0xfffffe08, v2, v49
	v_writelane_b32 v108, s16, 19
	s_or_b32 s16, s14, s17
	v_dual_lshlrev_b32 v81, 3, v28 :: v_dual_lshlrev_b32 v21, 3, v43
	s_delay_alu instid0(VALU_DEP_3) | instskip(SKIP_3) | instid1(VALU_DEP_4)
	v_mad_u32_u24 v55, 0x1f8, v2, v54
	v_writelane_b32 v108, s17, 20
	v_or_b32_e32 v27, v20, v2
	v_dual_lshlrev_b32 v86, 3, v69 :: v_dual_bitop2_b32 v30, v24, v2 bitop3:0x54
	v_mad_i32_i24 v56, 0xfffffe08, v2, v55
	v_writelane_b32 v108, s16, 21
	s_or_b32 s16, s14, s18
	s_or_b32 s14, s14, s19
	v_cmp_gt_u32_e64 s51, 64, v27
	v_mad_u32_u24 v58, 0x1f8, v2, v56
	v_writelane_b32 v108, s18, 22
	v_dual_lshlrev_b32 v20, 9, v69 :: v_dual_bitop2_b32 v31, v26, v2 bitop3:0x54
	v_mul_u64_e32 v[10:11], s[80:81], v[10:11]
	s_delay_alu instid0(VALU_DEP_4)
	v_mad_i32_i24 v63, 0xfffffe08, v2, v58
	v_writelane_b32 v108, s16, 23
	v_cmp_gt_u32_e64 s16, 64, v25
                                        ; implicit-def: $vgpr106 : SGPR spill to VGPR lane
	v_or_b32_e32 v83, 0xa000, v21
	v_cmp_lt_u32_e32 vcc_lo, 0x3ff, v23
	v_mad_u32_u24 v72, 0x1f8, v2, v63
	v_writelane_b32 v108, s19, 24
	v_dual_add_nc_u32 v87, v86, v20 :: v_dual_bitop2_b32 v89, v71, v86 bitop3:0x54
	v_add_nc_u32_e32 v85, 0x7c00, v29
	s_delay_alu instid0(VALU_DEP_4)
	v_mad_i32_i24 v73, 0xfffffe08, v2, v72
	v_writelane_b32 v108, s14, 25
	v_add_nc_u32_e32 v88, 0x8000, v70
	v_lshl_add_u32 v90, v4, 3, 0xa000
	v_lshl_add_u32 v91, v23, 3, 0x8000
	v_mad_u32_u24 v74, 0x1f8, v2, v73
	v_writelane_b32 v108, s36, 26
	v_add_nc_u32_e32 v92, 0x8000, v46
	v_add_nc_u32_e32 v94, v83, v46
	v_or_b32_e32 v95, 0x4100, v86
	v_mad_i32_i24 v76, 0xfffffe08, v2, v74
	v_writelane_b32 v108, s37, 27
	v_cmp_gt_u32_e64 s36, 0xf0, v23
	v_subrev_nc_u32_e32 v96, 63, v2
	v_cmp_eq_u32_e64 s14, 0, v25
	v_mad_u32_u24 v77, 0x1f8, v2, v76
	v_writelane_b32 v108, s22, 28
	v_lshl_add_u32 v93, v43, 9, v76
	v_cmp_gt_u32_e64 s17, 12, v23
	v_cmp_gt_u32_e64 s18, 8, v23
	v_mad_i32_i24 v80, 0xfffffe08, v2, v77
	v_writelane_b32 v108, s23, 29
	v_cmp_gt_u32_e64 s19, 56, v23
	v_cmp_gt_u32_e64 s20, 48, v23
	;; [unrolled: 1-line block ×3, first 2 shown]
	v_mad_u32_u24 v82, 0x1f8, v2, v80
	v_writelane_b32 v108, s16, 30
	v_cmp_gt_u32_e64 s16, 2, v23
	v_cmp_gt_u32_e64 s22, 32, v23
	;; [unrolled: 1-line block ×3, first 2 shown]
	v_add_nc_u32_e32 v84, v82, v21
	v_writelane_b32 v108, s36, 31
	v_cmp_gt_u32_e64 s36, 0xe0, v23
	v_mov_b64_e32 v[20:21], 0
	v_cmp_eq_u32_e64 s37, 0, v4
	v_cmp_gt_u32_e64 s38, 64, v4
	s_add_co_i32 s91, s91, 1
	v_writelane_b32 v107, s36, 0
	v_cmp_gt_u32_e64 s36, 0xd0, v23
	s_xor_b32 s50, vcc_lo, -1
	s_wait_kmcnt 0x0
	s_lshl_b64 s[70:71], s[70:71], 3
	s_lshl_b64 s[74:75], s[74:75], 3
                                        ; implicit-def: $vgpr22
                                        ; implicit-def: $vgpr24
                                        ; implicit-def: $vgpr26
                                        ; implicit-def: $vgpr28
	v_writelane_b32 v107, s36, 1
	v_cmp_gt_u32_e64 s36, 0xc0, v23
	s_delay_alu instid0(VALU_DEP_1) | instskip(SKIP_1) | instid1(VALU_DEP_1)
	v_writelane_b32 v107, s36, 2
	v_cmp_gt_u32_e64 s36, 0xb0, v23
	v_writelane_b32 v107, s36, 3
	v_cmp_gt_u32_e64 s36, 0xa0, v23
	s_delay_alu instid0(VALU_DEP_1) | instskip(SKIP_1) | instid1(VALU_DEP_1)
	v_writelane_b32 v107, s36, 4
	v_cmp_gt_u32_e64 s36, 0x90, v23
	;; [unrolled: 5-line block ×4, first 2 shown]
	v_writelane_b32 v107, s36, 9
	v_cmp_gt_u32_e64 s36, 0x400, v23
	v_writelane_b32 v107, s51, 10
	v_cmp_gt_u32_e64 s51, 64, v30
	s_delay_alu instid0(VALU_DEP_1) | instskip(SKIP_1) | instid1(VALU_DEP_1)
	v_writelane_b32 v107, s51, 11
	v_cmp_gt_u32_e64 s51, 64, v31
	v_writelane_b32 v107, s51, 12
	v_cmp_gt_u32_e64 s51, 0x3e0, v23
	s_delay_alu instid0(VALU_DEP_1) | instskip(SKIP_1) | instid1(VALU_DEP_1)
	;; [unrolled: 5-line block ×12, first 2 shown]
	v_writelane_b32 v106, s51, 1
	v_cmp_gt_u32_e64 s51, 0x140, v23
	v_writelane_b32 v106, s51, 2
	v_cmp_gt_u32_e64 s51, 0x120, v23
	s_delay_alu instid0(VALU_DEP_1)
	v_writelane_b32 v106, s51, 3
	s_branch .LBB168_3
.LBB168_2:                              ;   in Loop: Header=BB168_3 Depth=1
	s_wait_xcnt 0x0
	s_or_b32 exec_lo, exec_lo, s51
	s_add_co_i32 s66, s66, 0x10000
	global_wb scope:SCOPE_DEV
	s_wait_storecnt 0x0
	global_inv scope:SCOPE_DEV
	s_cmp_lt_u32 s66, s65
	s_cbranch_scc0 .LBB168_1174
.LBB168_3:                              ; =>This Loop Header: Depth=1
                                        ;     Child Loop BB168_569 Depth 2
                                        ;     Child Loop BB168_1010 Depth 2
                                        ;       Child Loop BB168_1012 Depth 3
                                        ;     Child Loop BB168_1056 Depth 2
	v_mov_b32_e32 v32, s66
	v_readlane_b32 s51, v108, 0
	s_clause 0x1
	global_load_b64 v[30:31], v32, s[68:69] scale_offset
	global_load_b64 v[32:33], v32, s[72:73] scale_offset
	s_and_not1_b32 vcc_lo, exec_lo, s51
	s_wait_loadcnt 0x1
	v_add_nc_u64_e32 v[34:35], s[70:71], v[30:31]
	s_delay_alu instid0(VALU_DEP_1)
	v_lshl_add_u64 v[30:31], v[8:9], 3, v[34:35]
	s_cbranch_vccnz .LBB168_13
; %bb.4:                                ;   in Loop: Header=BB168_3 Depth=1
	s_delay_alu instid0(VALU_DEP_1)
	v_lshl_add_u64 v[36:37], v[6:7], 3, v[30:31]
	v_dual_mov_b32 v24, 0 :: v_dual_mov_b32 v22, 0
	v_mov_b32_e32 v23, 0
	s_wait_loadcnt 0x0
	s_barrier_signal -1
	s_barrier_wait -1
	s_wait_xcnt 0x0
	s_mov_b32 s51, exec_lo
	v_readlane_b32 s52, v108, 10
	s_and_b32 s52, s51, s52
	s_delay_alu instid0(SALU_CYCLE_1)
	s_mov_b32 exec_lo, s52
	s_cbranch_execz .LBB168_6
; %bb.5:                                ;   in Loop: Header=BB168_3 Depth=1
	flat_load_b64 v[22:23], v[36:37]
.LBB168_6:                              ;   in Loop: Header=BB168_3 Depth=1
	s_wait_xcnt 0x0
	s_or_b32 exec_lo, exec_lo, s51
	v_mov_b32_e32 v25, 0
	s_wait_loadcnt_dscnt 0x0
	s_barrier_signal -1
	s_barrier_wait -1
	s_mov_b32 s51, exec_lo
	v_readlane_b32 s52, v108, 11
	s_and_b32 s52, s51, s52
	s_delay_alu instid0(SALU_CYCLE_1)
	s_mov_b32 exec_lo, s52
	s_cbranch_execz .LBB168_8
; %bb.7:                                ;   in Loop: Header=BB168_3 Depth=1
	flat_load_b64 v[24:25], v[36:37] offset:128
.LBB168_8:                              ;   in Loop: Header=BB168_3 Depth=1
	s_wait_xcnt 0x0
	s_or_b32 exec_lo, exec_lo, s51
	v_dual_mov_b32 v29, 0 :: v_dual_mov_b32 v26, 0
	v_mov_b32_e32 v27, 0
	s_wait_loadcnt_dscnt 0x0
	s_barrier_signal -1
	s_barrier_wait -1
	s_mov_b32 s51, exec_lo
	v_readlane_b32 s52, v108, 12
	s_and_b32 s52, s51, s52
	s_delay_alu instid0(SALU_CYCLE_1)
	s_mov_b32 exec_lo, s52
	s_cbranch_execz .LBB168_10
; %bb.9:                                ;   in Loop: Header=BB168_3 Depth=1
	flat_load_b64 v[26:27], v[36:37] offset:256
.LBB168_10:                             ;   in Loop: Header=BB168_3 Depth=1
	s_wait_xcnt 0x0
	s_or_b32 exec_lo, exec_lo, s51
	v_mov_b32_e32 v28, 0
	s_wait_loadcnt_dscnt 0x0
	s_barrier_signal -1
	s_barrier_wait -1
	s_mov_b32 s51, exec_lo
	v_readlane_b32 s52, v108, 13
	s_and_b32 s52, s51, s52
	s_delay_alu instid0(SALU_CYCLE_1)
	s_mov_b32 exec_lo, s52
	s_cbranch_execz .LBB168_12
; %bb.11:                               ;   in Loop: Header=BB168_3 Depth=1
	flat_load_b64 v[28:29], v[36:37] offset:384
.LBB168_12:                             ;   in Loop: Header=BB168_3 Depth=1
	s_wait_xcnt 0x0
	s_or_b32 exec_lo, exec_lo, s51
.LBB168_13:                             ;   in Loop: Header=BB168_3 Depth=1
	s_delay_alu instid0(SALU_CYCLE_1)
	s_and_not1_b32 vcc_lo, exec_lo, s90
	s_mov_b32 s51, -1
	s_cbranch_vccnz .LBB168_24
; %bb.14:                               ;   in Loop: Header=BB168_3 Depth=1
	s_wait_xcnt 0x0
	s_and_saveexec_b32 s51, s0
	s_delay_alu instid0(SALU_CYCLE_1)
	s_xor_b32 s51, exec_lo, s51
	s_cbranch_execnz .LBB168_1070
; %bb.15:                               ;   in Loop: Header=BB168_3 Depth=1
	s_and_not1_saveexec_b32 s51, s51
	s_cbranch_execnz .LBB168_1081
.LBB168_16:                             ;   in Loop: Header=BB168_3 Depth=1
	s_or_b32 exec_lo, exec_lo, s51
	s_and_saveexec_b32 s51, s1
	s_delay_alu instid0(SALU_CYCLE_1)
	s_xor_b32 s51, exec_lo, s51
	s_cbranch_execnz .LBB168_1082
.LBB168_17:                             ;   in Loop: Header=BB168_3 Depth=1
	s_and_not1_saveexec_b32 s51, s51
	s_cbranch_execnz .LBB168_1093
.LBB168_18:                             ;   in Loop: Header=BB168_3 Depth=1
	s_or_b32 exec_lo, exec_lo, s51
	s_and_saveexec_b32 s51, s8
	s_delay_alu instid0(SALU_CYCLE_1)
	s_xor_b32 s51, exec_lo, s51
	s_cbranch_execnz .LBB168_1094
.LBB168_19:                             ;   in Loop: Header=BB168_3 Depth=1
	s_and_not1_saveexec_b32 s51, s51
	s_cbranch_execnz .LBB168_1105
.LBB168_20:                             ;   in Loop: Header=BB168_3 Depth=1
	s_or_b32 exec_lo, exec_lo, s51
	s_and_saveexec_b32 s51, s9
	s_delay_alu instid0(SALU_CYCLE_1)
	s_xor_b32 s51, exec_lo, s51
	s_cbranch_execnz .LBB168_1106
.LBB168_21:                             ;   in Loop: Header=BB168_3 Depth=1
	s_and_not1_saveexec_b32 s51, s51
	s_cbranch_execz .LBB168_23
.LBB168_22:                             ;   in Loop: Header=BB168_3 Depth=1
	v_lshl_add_u64 v[36:37], v[18:19], 3, v[34:35]
	flat_load_b64 v[36:37], v[36:37]
	s_wait_loadcnt_dscnt 0x0
	v_xor_b32_e32 v36, 0x80000000, v36
	ds_store_b64 v81, v[36:37]
.LBB168_23:                             ;   in Loop: Header=BB168_3 Depth=1
	s_or_b32 exec_lo, exec_lo, s51
	s_mov_b32 s51, 0
.LBB168_24:                             ;   in Loop: Header=BB168_3 Depth=1
	s_delay_alu instid0(SALU_CYCLE_1)
	s_and_b32 vcc_lo, exec_lo, s51
	s_cbranch_vccz .LBB168_82
; %bb.25:                               ;   in Loop: Header=BB168_3 Depth=1
	s_wait_xcnt 0x0
	s_mov_b32 s51, exec_lo
	v_readlane_b32 s52, v108, 14
	s_and_b32 s52, s51, s52
	s_delay_alu instid0(SALU_CYCLE_1)
	s_xor_b32 s51, s52, s51
	s_mov_b32 exec_lo, s52
	s_cbranch_execz .LBB168_37
; %bb.26:                               ;   in Loop: Header=BB168_3 Depth=1
	s_mov_b32 s52, exec_lo
	v_readlane_b32 s53, v108, 19
	s_and_b32 s53, s52, s53
	s_delay_alu instid0(SALU_CYCLE_1)
	s_xor_b32 s52, s53, s52
	s_mov_b32 exec_lo, s53
	s_cbranch_execz .LBB168_30
; %bb.27:                               ;   in Loop: Header=BB168_3 Depth=1
	s_mov_b32 s53, exec_lo
	v_readlane_b32 s54, v108, 30
	s_and_b32 s54, s53, s54
	s_delay_alu instid0(SALU_CYCLE_1)
	s_mov_b32 exec_lo, s54
; %bb.28:                               ;   in Loop: Header=BB168_3 Depth=1
	ds_store_b64 v84, v[20:21]
; %bb.29:                               ;   in Loop: Header=BB168_3 Depth=1
	s_or_b32 exec_lo, exec_lo, s53
.LBB168_30:                             ;   in Loop: Header=BB168_3 Depth=1
	s_and_not1_saveexec_b32 s86, s52
	s_cbranch_execz .LBB168_36
; %bb.31:                               ;   in Loop: Header=BB168_3 Depth=1
	v_lshl_add_u64 v[36:37], v[12:13], 3, v[34:35]
                                        ; implicit-def: $vgpr38_vgpr39
	flat_load_b64 v[36:37], v[36:37]
	s_wait_loadcnt_dscnt 0x0
	v_cmp_ngt_f32_e64 s52, |v36|, |v37|
	s_and_saveexec_b32 s53, s52
	s_delay_alu instid0(SALU_CYCLE_1)
	s_xor_b32 s52, exec_lo, s53
	s_cbranch_execz .LBB168_33
; %bb.32:                               ;   in Loop: Header=BB168_3 Depth=1
	v_div_scale_f32 v38, null, -v37, -v37, v36
	v_div_scale_f32 v41, vcc_lo, v36, -v37, v36
	s_delay_alu instid0(VALU_DEP_2) | instskip(SKIP_1) | instid1(TRANS32_DEP_1)
	v_rcp_f32_e32 v39, v38
	v_nop
	v_fma_f32 v40, -v38, v39, 1.0
	s_delay_alu instid0(VALU_DEP_1) | instskip(NEXT) | instid1(VALU_DEP_1)
	v_fmac_f32_e32 v39, v40, v39
	v_mul_f32_e32 v40, v41, v39
	s_delay_alu instid0(VALU_DEP_1) | instskip(NEXT) | instid1(VALU_DEP_1)
	v_fma_f32 v42, -v38, v40, v41
	v_fmac_f32_e32 v40, v42, v39
	s_delay_alu instid0(VALU_DEP_1) | instskip(NEXT) | instid1(VALU_DEP_1)
	v_fma_f32 v38, -v38, v40, v41
	v_div_fmas_f32 v38, v38, v39, v40
	s_delay_alu instid0(VALU_DEP_1) | instskip(NEXT) | instid1(VALU_DEP_1)
	v_div_fixup_f32 v38, v38, -v37, v36
	v_fma_f32 v36, v36, v38, -v37
	s_delay_alu instid0(VALU_DEP_1) | instskip(SKIP_1) | instid1(VALU_DEP_2)
	v_div_scale_f32 v37, null, v36, v36, 1.0
	v_div_scale_f32 v41, vcc_lo, 1.0, v36, 1.0
	v_rcp_f32_e32 v39, v37
	v_nop
	s_delay_alu instid0(TRANS32_DEP_1) | instskip(NEXT) | instid1(VALU_DEP_1)
	v_fma_f32 v40, -v37, v39, 1.0
	v_fmac_f32_e32 v39, v40, v39
	s_delay_alu instid0(VALU_DEP_1) | instskip(NEXT) | instid1(VALU_DEP_1)
	v_mul_f32_e32 v40, v41, v39
	v_fma_f32 v42, -v37, v40, v41
	s_delay_alu instid0(VALU_DEP_1) | instskip(NEXT) | instid1(VALU_DEP_1)
	v_fmac_f32_e32 v40, v42, v39
	v_fma_f32 v37, -v37, v40, v41
	s_delay_alu instid0(VALU_DEP_1) | instskip(NEXT) | instid1(VALU_DEP_1)
	v_div_fmas_f32 v37, v37, v39, v40
	v_div_fixup_f32 v36, v37, v36, 1.0
	s_delay_alu instid0(VALU_DEP_1)
	v_mul_f32_e32 v38, v38, v36
	v_xor_b32_e32 v39, 0x80000000, v36
                                        ; implicit-def: $vgpr36_vgpr37
.LBB168_33:                             ;   in Loop: Header=BB168_3 Depth=1
	s_and_not1_saveexec_b32 s52, s52
	s_cbranch_execz .LBB168_35
; %bb.34:                               ;   in Loop: Header=BB168_3 Depth=1
	v_div_scale_f32 v38, null, v36, v36, -v37
	v_div_scale_f32 v41, vcc_lo, -v37, v36, -v37
	s_delay_alu instid0(VALU_DEP_2) | instskip(SKIP_1) | instid1(TRANS32_DEP_1)
	v_rcp_f32_e32 v39, v38
	v_nop
	v_fma_f32 v40, -v38, v39, 1.0
	s_delay_alu instid0(VALU_DEP_1) | instskip(NEXT) | instid1(VALU_DEP_1)
	v_fmac_f32_e32 v39, v40, v39
	v_mul_f32_e32 v40, v41, v39
	s_delay_alu instid0(VALU_DEP_1) | instskip(NEXT) | instid1(VALU_DEP_1)
	v_fma_f32 v42, -v38, v40, v41
	v_fmac_f32_e32 v40, v42, v39
	s_delay_alu instid0(VALU_DEP_1) | instskip(NEXT) | instid1(VALU_DEP_1)
	v_fma_f32 v38, -v38, v40, v41
	v_div_fmas_f32 v38, v38, v39, v40
	s_delay_alu instid0(VALU_DEP_1) | instskip(NEXT) | instid1(VALU_DEP_1)
	v_div_fixup_f32 v39, v38, v36, -v37
	v_fma_f32 v36, -v37, v39, v36
	s_delay_alu instid0(VALU_DEP_1) | instskip(NEXT) | instid1(VALU_DEP_1)
	v_div_scale_f32 v37, null, v36, v36, 1.0
	v_rcp_f32_e32 v38, v37
	v_nop
	s_delay_alu instid0(TRANS32_DEP_1) | instskip(NEXT) | instid1(VALU_DEP_1)
	v_fma_f32 v40, -v37, v38, 1.0
	v_fmac_f32_e32 v38, v40, v38
	v_div_scale_f32 v40, vcc_lo, 1.0, v36, 1.0
	s_delay_alu instid0(VALU_DEP_1) | instskip(NEXT) | instid1(VALU_DEP_1)
	v_mul_f32_e32 v41, v40, v38
	v_fma_f32 v42, -v37, v41, v40
	s_delay_alu instid0(VALU_DEP_1) | instskip(NEXT) | instid1(VALU_DEP_1)
	v_fmac_f32_e32 v41, v42, v38
	v_fma_f32 v37, -v37, v41, v40
	s_delay_alu instid0(VALU_DEP_1) | instskip(NEXT) | instid1(VALU_DEP_1)
	v_div_fmas_f32 v37, v37, v38, v41
	v_div_fixup_f32 v38, v37, v36, 1.0
	s_delay_alu instid0(VALU_DEP_1)
	v_mul_f32_e64 v39, v39, -v38
.LBB168_35:                             ;   in Loop: Header=BB168_3 Depth=1
	s_or_b32 exec_lo, exec_lo, s52
	ds_store_b64 v84, v[38:39]
.LBB168_36:                             ;   in Loop: Header=BB168_3 Depth=1
	s_or_b32 exec_lo, exec_lo, s86
.LBB168_37:                             ;   in Loop: Header=BB168_3 Depth=1
	s_and_not1_saveexec_b32 s51, s51
	s_cbranch_execz .LBB168_39
; %bb.38:                               ;   in Loop: Header=BB168_3 Depth=1
	v_lshl_add_u64 v[36:37], v[12:13], 3, v[34:35]
	flat_load_b64 v[36:37], v[36:37]
	s_wait_loadcnt_dscnt 0x0
	v_xor_b32_e32 v36, 0x80000000, v36
	ds_store_b64 v84, v[36:37]
.LBB168_39:                             ;   in Loop: Header=BB168_3 Depth=1
	s_or_b32 exec_lo, exec_lo, s51
	s_delay_alu instid0(SALU_CYCLE_1) | instskip(SKIP_2) | instid1(SALU_CYCLE_1)
	s_mov_b32 s51, exec_lo
	v_readlane_b32 s52, v108, 15
	s_and_b32 s52, s51, s52
	s_xor_b32 s51, s52, s51
	s_mov_b32 exec_lo, s52
	s_cbranch_execz .LBB168_51
; %bb.40:                               ;   in Loop: Header=BB168_3 Depth=1
	s_mov_b32 s52, exec_lo
	v_readlane_b32 s53, v108, 21
	s_and_b32 s53, s52, s53
	s_delay_alu instid0(SALU_CYCLE_1)
	s_xor_b32 s52, s53, s52
	s_mov_b32 exec_lo, s53
	s_cbranch_execz .LBB168_44
; %bb.41:                               ;   in Loop: Header=BB168_3 Depth=1
	s_mov_b32 s53, exec_lo
	v_readlane_b32 s54, v107, 10
	s_and_b32 s54, s53, s54
	s_delay_alu instid0(SALU_CYCLE_1)
	s_mov_b32 exec_lo, s54
; %bb.42:                               ;   in Loop: Header=BB168_3 Depth=1
	ds_store_b64 v78, v[20:21]
; %bb.43:                               ;   in Loop: Header=BB168_3 Depth=1
	s_or_b32 exec_lo, exec_lo, s53
.LBB168_44:                             ;   in Loop: Header=BB168_3 Depth=1
	s_and_not1_saveexec_b32 s86, s52
	s_cbranch_execz .LBB168_50
; %bb.45:                               ;   in Loop: Header=BB168_3 Depth=1
	v_lshl_add_u64 v[36:37], v[14:15], 3, v[34:35]
                                        ; implicit-def: $vgpr38_vgpr39
	flat_load_b64 v[36:37], v[36:37]
	s_wait_loadcnt_dscnt 0x0
	v_cmp_ngt_f32_e64 s52, |v36|, |v37|
	s_and_saveexec_b32 s53, s52
	s_delay_alu instid0(SALU_CYCLE_1)
	s_xor_b32 s52, exec_lo, s53
	s_cbranch_execz .LBB168_47
; %bb.46:                               ;   in Loop: Header=BB168_3 Depth=1
	v_div_scale_f32 v38, null, -v37, -v37, v36
	v_div_scale_f32 v41, vcc_lo, v36, -v37, v36
	s_delay_alu instid0(VALU_DEP_2) | instskip(SKIP_1) | instid1(TRANS32_DEP_1)
	v_rcp_f32_e32 v39, v38
	v_nop
	v_fma_f32 v40, -v38, v39, 1.0
	s_delay_alu instid0(VALU_DEP_1) | instskip(NEXT) | instid1(VALU_DEP_1)
	v_fmac_f32_e32 v39, v40, v39
	v_mul_f32_e32 v40, v41, v39
	s_delay_alu instid0(VALU_DEP_1) | instskip(NEXT) | instid1(VALU_DEP_1)
	v_fma_f32 v42, -v38, v40, v41
	v_fmac_f32_e32 v40, v42, v39
	s_delay_alu instid0(VALU_DEP_1) | instskip(NEXT) | instid1(VALU_DEP_1)
	v_fma_f32 v38, -v38, v40, v41
	v_div_fmas_f32 v38, v38, v39, v40
	s_delay_alu instid0(VALU_DEP_1) | instskip(NEXT) | instid1(VALU_DEP_1)
	v_div_fixup_f32 v38, v38, -v37, v36
	v_fma_f32 v36, v36, v38, -v37
	s_delay_alu instid0(VALU_DEP_1) | instskip(SKIP_1) | instid1(VALU_DEP_2)
	v_div_scale_f32 v37, null, v36, v36, 1.0
	v_div_scale_f32 v41, vcc_lo, 1.0, v36, 1.0
	v_rcp_f32_e32 v39, v37
	v_nop
	s_delay_alu instid0(TRANS32_DEP_1) | instskip(NEXT) | instid1(VALU_DEP_1)
	v_fma_f32 v40, -v37, v39, 1.0
	v_fmac_f32_e32 v39, v40, v39
	s_delay_alu instid0(VALU_DEP_1) | instskip(NEXT) | instid1(VALU_DEP_1)
	v_mul_f32_e32 v40, v41, v39
	v_fma_f32 v42, -v37, v40, v41
	s_delay_alu instid0(VALU_DEP_1) | instskip(NEXT) | instid1(VALU_DEP_1)
	v_fmac_f32_e32 v40, v42, v39
	v_fma_f32 v37, -v37, v40, v41
	s_delay_alu instid0(VALU_DEP_1) | instskip(NEXT) | instid1(VALU_DEP_1)
	v_div_fmas_f32 v37, v37, v39, v40
	v_div_fixup_f32 v36, v37, v36, 1.0
	s_delay_alu instid0(VALU_DEP_1)
	v_mul_f32_e32 v38, v38, v36
	v_xor_b32_e32 v39, 0x80000000, v36
                                        ; implicit-def: $vgpr36_vgpr37
.LBB168_47:                             ;   in Loop: Header=BB168_3 Depth=1
	s_and_not1_saveexec_b32 s52, s52
	s_cbranch_execz .LBB168_49
; %bb.48:                               ;   in Loop: Header=BB168_3 Depth=1
	v_div_scale_f32 v38, null, v36, v36, -v37
	v_div_scale_f32 v41, vcc_lo, -v37, v36, -v37
	s_delay_alu instid0(VALU_DEP_2) | instskip(SKIP_1) | instid1(TRANS32_DEP_1)
	v_rcp_f32_e32 v39, v38
	v_nop
	v_fma_f32 v40, -v38, v39, 1.0
	s_delay_alu instid0(VALU_DEP_1) | instskip(NEXT) | instid1(VALU_DEP_1)
	v_fmac_f32_e32 v39, v40, v39
	v_mul_f32_e32 v40, v41, v39
	s_delay_alu instid0(VALU_DEP_1) | instskip(NEXT) | instid1(VALU_DEP_1)
	v_fma_f32 v42, -v38, v40, v41
	v_fmac_f32_e32 v40, v42, v39
	s_delay_alu instid0(VALU_DEP_1) | instskip(NEXT) | instid1(VALU_DEP_1)
	v_fma_f32 v38, -v38, v40, v41
	v_div_fmas_f32 v38, v38, v39, v40
	s_delay_alu instid0(VALU_DEP_1) | instskip(NEXT) | instid1(VALU_DEP_1)
	v_div_fixup_f32 v39, v38, v36, -v37
	v_fma_f32 v36, -v37, v39, v36
	s_delay_alu instid0(VALU_DEP_1) | instskip(NEXT) | instid1(VALU_DEP_1)
	v_div_scale_f32 v37, null, v36, v36, 1.0
	v_rcp_f32_e32 v38, v37
	v_nop
	s_delay_alu instid0(TRANS32_DEP_1) | instskip(NEXT) | instid1(VALU_DEP_1)
	v_fma_f32 v40, -v37, v38, 1.0
	v_fmac_f32_e32 v38, v40, v38
	v_div_scale_f32 v40, vcc_lo, 1.0, v36, 1.0
	s_delay_alu instid0(VALU_DEP_1) | instskip(NEXT) | instid1(VALU_DEP_1)
	v_mul_f32_e32 v41, v40, v38
	v_fma_f32 v42, -v37, v41, v40
	s_delay_alu instid0(VALU_DEP_1) | instskip(NEXT) | instid1(VALU_DEP_1)
	v_fmac_f32_e32 v41, v42, v38
	v_fma_f32 v37, -v37, v41, v40
	s_delay_alu instid0(VALU_DEP_1) | instskip(NEXT) | instid1(VALU_DEP_1)
	v_div_fmas_f32 v37, v37, v38, v41
	v_div_fixup_f32 v38, v37, v36, 1.0
	s_delay_alu instid0(VALU_DEP_1)
	v_mul_f32_e64 v39, v39, -v38
.LBB168_49:                             ;   in Loop: Header=BB168_3 Depth=1
	s_or_b32 exec_lo, exec_lo, s52
	ds_store_b64 v78, v[38:39]
.LBB168_50:                             ;   in Loop: Header=BB168_3 Depth=1
	s_or_b32 exec_lo, exec_lo, s86
.LBB168_51:                             ;   in Loop: Header=BB168_3 Depth=1
	s_and_not1_saveexec_b32 s51, s51
	s_cbranch_execz .LBB168_53
; %bb.52:                               ;   in Loop: Header=BB168_3 Depth=1
	v_lshl_add_u64 v[36:37], v[14:15], 3, v[34:35]
	flat_load_b64 v[36:37], v[36:37]
	s_wait_loadcnt_dscnt 0x0
	v_xor_b32_e32 v36, 0x80000000, v36
	ds_store_b64 v78, v[36:37]
.LBB168_53:                             ;   in Loop: Header=BB168_3 Depth=1
	s_or_b32 exec_lo, exec_lo, s51
	s_delay_alu instid0(SALU_CYCLE_1) | instskip(SKIP_2) | instid1(SALU_CYCLE_1)
	s_mov_b32 s51, exec_lo
	v_readlane_b32 s52, v108, 16
	s_and_b32 s52, s51, s52
	s_xor_b32 s51, s52, s51
	s_mov_b32 exec_lo, s52
	s_cbranch_execz .LBB168_65
; %bb.54:                               ;   in Loop: Header=BB168_3 Depth=1
	s_mov_b32 s52, exec_lo
	v_readlane_b32 s53, v108, 23
	s_and_b32 s53, s52, s53
	s_delay_alu instid0(SALU_CYCLE_1)
	s_xor_b32 s52, s53, s52
	s_mov_b32 exec_lo, s53
	s_cbranch_execz .LBB168_58
; %bb.55:                               ;   in Loop: Header=BB168_3 Depth=1
	s_mov_b32 s53, exec_lo
	v_readlane_b32 s54, v107, 11
	s_and_b32 s54, s53, s54
	s_delay_alu instid0(SALU_CYCLE_1)
	s_mov_b32 exec_lo, s54
; %bb.56:                               ;   in Loop: Header=BB168_3 Depth=1
	ds_store_b64 v79, v[20:21]
; %bb.57:                               ;   in Loop: Header=BB168_3 Depth=1
	s_or_b32 exec_lo, exec_lo, s53
.LBB168_58:                             ;   in Loop: Header=BB168_3 Depth=1
	s_and_not1_saveexec_b32 s86, s52
	s_cbranch_execz .LBB168_64
; %bb.59:                               ;   in Loop: Header=BB168_3 Depth=1
	v_lshl_add_u64 v[36:37], v[16:17], 3, v[34:35]
                                        ; implicit-def: $vgpr38_vgpr39
	flat_load_b64 v[36:37], v[36:37]
	s_wait_loadcnt_dscnt 0x0
	v_cmp_ngt_f32_e64 s52, |v36|, |v37|
	s_and_saveexec_b32 s53, s52
	s_delay_alu instid0(SALU_CYCLE_1)
	s_xor_b32 s52, exec_lo, s53
	s_cbranch_execz .LBB168_61
; %bb.60:                               ;   in Loop: Header=BB168_3 Depth=1
	v_div_scale_f32 v38, null, -v37, -v37, v36
	v_div_scale_f32 v41, vcc_lo, v36, -v37, v36
	s_delay_alu instid0(VALU_DEP_2) | instskip(SKIP_1) | instid1(TRANS32_DEP_1)
	v_rcp_f32_e32 v39, v38
	v_nop
	v_fma_f32 v40, -v38, v39, 1.0
	s_delay_alu instid0(VALU_DEP_1) | instskip(NEXT) | instid1(VALU_DEP_1)
	v_fmac_f32_e32 v39, v40, v39
	v_mul_f32_e32 v40, v41, v39
	s_delay_alu instid0(VALU_DEP_1) | instskip(NEXT) | instid1(VALU_DEP_1)
	v_fma_f32 v42, -v38, v40, v41
	v_fmac_f32_e32 v40, v42, v39
	s_delay_alu instid0(VALU_DEP_1) | instskip(NEXT) | instid1(VALU_DEP_1)
	v_fma_f32 v38, -v38, v40, v41
	v_div_fmas_f32 v38, v38, v39, v40
	s_delay_alu instid0(VALU_DEP_1) | instskip(NEXT) | instid1(VALU_DEP_1)
	v_div_fixup_f32 v38, v38, -v37, v36
	v_fma_f32 v36, v36, v38, -v37
	s_delay_alu instid0(VALU_DEP_1) | instskip(SKIP_1) | instid1(VALU_DEP_2)
	v_div_scale_f32 v37, null, v36, v36, 1.0
	v_div_scale_f32 v41, vcc_lo, 1.0, v36, 1.0
	v_rcp_f32_e32 v39, v37
	v_nop
	s_delay_alu instid0(TRANS32_DEP_1) | instskip(NEXT) | instid1(VALU_DEP_1)
	v_fma_f32 v40, -v37, v39, 1.0
	v_fmac_f32_e32 v39, v40, v39
	s_delay_alu instid0(VALU_DEP_1) | instskip(NEXT) | instid1(VALU_DEP_1)
	v_mul_f32_e32 v40, v41, v39
	v_fma_f32 v42, -v37, v40, v41
	s_delay_alu instid0(VALU_DEP_1) | instskip(NEXT) | instid1(VALU_DEP_1)
	v_fmac_f32_e32 v40, v42, v39
	v_fma_f32 v37, -v37, v40, v41
	s_delay_alu instid0(VALU_DEP_1) | instskip(NEXT) | instid1(VALU_DEP_1)
	v_div_fmas_f32 v37, v37, v39, v40
	v_div_fixup_f32 v36, v37, v36, 1.0
	s_delay_alu instid0(VALU_DEP_1)
	v_mul_f32_e32 v38, v38, v36
	v_xor_b32_e32 v39, 0x80000000, v36
                                        ; implicit-def: $vgpr36_vgpr37
.LBB168_61:                             ;   in Loop: Header=BB168_3 Depth=1
	s_and_not1_saveexec_b32 s52, s52
	s_cbranch_execz .LBB168_63
; %bb.62:                               ;   in Loop: Header=BB168_3 Depth=1
	v_div_scale_f32 v38, null, v36, v36, -v37
	v_div_scale_f32 v41, vcc_lo, -v37, v36, -v37
	s_delay_alu instid0(VALU_DEP_2) | instskip(SKIP_1) | instid1(TRANS32_DEP_1)
	v_rcp_f32_e32 v39, v38
	v_nop
	v_fma_f32 v40, -v38, v39, 1.0
	s_delay_alu instid0(VALU_DEP_1) | instskip(NEXT) | instid1(VALU_DEP_1)
	v_fmac_f32_e32 v39, v40, v39
	v_mul_f32_e32 v40, v41, v39
	s_delay_alu instid0(VALU_DEP_1) | instskip(NEXT) | instid1(VALU_DEP_1)
	v_fma_f32 v42, -v38, v40, v41
	v_fmac_f32_e32 v40, v42, v39
	s_delay_alu instid0(VALU_DEP_1) | instskip(NEXT) | instid1(VALU_DEP_1)
	v_fma_f32 v38, -v38, v40, v41
	v_div_fmas_f32 v38, v38, v39, v40
	s_delay_alu instid0(VALU_DEP_1) | instskip(NEXT) | instid1(VALU_DEP_1)
	v_div_fixup_f32 v39, v38, v36, -v37
	v_fma_f32 v36, -v37, v39, v36
	s_delay_alu instid0(VALU_DEP_1) | instskip(NEXT) | instid1(VALU_DEP_1)
	v_div_scale_f32 v37, null, v36, v36, 1.0
	v_rcp_f32_e32 v38, v37
	v_nop
	s_delay_alu instid0(TRANS32_DEP_1) | instskip(NEXT) | instid1(VALU_DEP_1)
	v_fma_f32 v40, -v37, v38, 1.0
	v_fmac_f32_e32 v38, v40, v38
	v_div_scale_f32 v40, vcc_lo, 1.0, v36, 1.0
	s_delay_alu instid0(VALU_DEP_1) | instskip(NEXT) | instid1(VALU_DEP_1)
	v_mul_f32_e32 v41, v40, v38
	v_fma_f32 v42, -v37, v41, v40
	s_delay_alu instid0(VALU_DEP_1) | instskip(NEXT) | instid1(VALU_DEP_1)
	v_fmac_f32_e32 v41, v42, v38
	v_fma_f32 v37, -v37, v41, v40
	s_delay_alu instid0(VALU_DEP_1) | instskip(NEXT) | instid1(VALU_DEP_1)
	v_div_fmas_f32 v37, v37, v38, v41
	v_div_fixup_f32 v38, v37, v36, 1.0
	s_delay_alu instid0(VALU_DEP_1)
	v_mul_f32_e64 v39, v39, -v38
.LBB168_63:                             ;   in Loop: Header=BB168_3 Depth=1
	s_or_b32 exec_lo, exec_lo, s52
	ds_store_b64 v79, v[38:39]
.LBB168_64:                             ;   in Loop: Header=BB168_3 Depth=1
	s_or_b32 exec_lo, exec_lo, s86
.LBB168_65:                             ;   in Loop: Header=BB168_3 Depth=1
	s_and_not1_saveexec_b32 s51, s51
	s_cbranch_execz .LBB168_67
; %bb.66:                               ;   in Loop: Header=BB168_3 Depth=1
	v_lshl_add_u64 v[36:37], v[16:17], 3, v[34:35]
	flat_load_b64 v[36:37], v[36:37]
	s_wait_loadcnt_dscnt 0x0
	v_xor_b32_e32 v36, 0x80000000, v36
	ds_store_b64 v79, v[36:37]
.LBB168_67:                             ;   in Loop: Header=BB168_3 Depth=1
	s_or_b32 exec_lo, exec_lo, s51
	s_delay_alu instid0(SALU_CYCLE_1) | instskip(SKIP_2) | instid1(SALU_CYCLE_1)
	s_mov_b32 s51, exec_lo
	v_readlane_b32 s52, v108, 17
	s_and_b32 s52, s51, s52
	s_xor_b32 s51, s52, s51
	s_mov_b32 exec_lo, s52
	s_cbranch_execz .LBB168_79
; %bb.68:                               ;   in Loop: Header=BB168_3 Depth=1
	s_mov_b32 s52, exec_lo
	v_readlane_b32 s53, v108, 25
	s_and_b32 s53, s52, s53
	s_delay_alu instid0(SALU_CYCLE_1)
	s_xor_b32 s52, s53, s52
	s_mov_b32 exec_lo, s53
	s_cbranch_execz .LBB168_72
; %bb.69:                               ;   in Loop: Header=BB168_3 Depth=1
	s_mov_b32 s53, exec_lo
	v_readlane_b32 s54, v107, 12
	s_and_b32 s54, s53, s54
	s_delay_alu instid0(SALU_CYCLE_1)
	s_mov_b32 exec_lo, s54
; %bb.70:                               ;   in Loop: Header=BB168_3 Depth=1
	ds_store_b64 v81, v[20:21]
; %bb.71:                               ;   in Loop: Header=BB168_3 Depth=1
	s_or_b32 exec_lo, exec_lo, s53
                                        ; implicit-def: $vgpr34_vgpr35
.LBB168_72:                             ;   in Loop: Header=BB168_3 Depth=1
	s_and_not1_saveexec_b32 s86, s52
	s_cbranch_execz .LBB168_78
; %bb.73:                               ;   in Loop: Header=BB168_3 Depth=1
	v_lshl_add_u64 v[34:35], v[18:19], 3, v[34:35]
                                        ; implicit-def: $vgpr36_vgpr37
	flat_load_b64 v[34:35], v[34:35]
	s_wait_loadcnt_dscnt 0x0
	v_cmp_ngt_f32_e64 s52, |v34|, |v35|
	s_and_saveexec_b32 s53, s52
	s_delay_alu instid0(SALU_CYCLE_1)
	s_xor_b32 s52, exec_lo, s53
	s_cbranch_execz .LBB168_75
; %bb.74:                               ;   in Loop: Header=BB168_3 Depth=1
	v_div_scale_f32 v36, null, -v35, -v35, v34
	v_div_scale_f32 v39, vcc_lo, v34, -v35, v34
	s_delay_alu instid0(VALU_DEP_2) | instskip(SKIP_1) | instid1(TRANS32_DEP_1)
	v_rcp_f32_e32 v37, v36
	v_nop
	v_fma_f32 v38, -v36, v37, 1.0
	s_delay_alu instid0(VALU_DEP_1) | instskip(NEXT) | instid1(VALU_DEP_1)
	v_fmac_f32_e32 v37, v38, v37
	v_mul_f32_e32 v38, v39, v37
	s_delay_alu instid0(VALU_DEP_1) | instskip(NEXT) | instid1(VALU_DEP_1)
	v_fma_f32 v40, -v36, v38, v39
	v_fmac_f32_e32 v38, v40, v37
	s_delay_alu instid0(VALU_DEP_1) | instskip(NEXT) | instid1(VALU_DEP_1)
	v_fma_f32 v36, -v36, v38, v39
	v_div_fmas_f32 v36, v36, v37, v38
	s_delay_alu instid0(VALU_DEP_1) | instskip(NEXT) | instid1(VALU_DEP_1)
	v_div_fixup_f32 v36, v36, -v35, v34
	v_fma_f32 v34, v34, v36, -v35
	s_delay_alu instid0(VALU_DEP_1) | instskip(SKIP_1) | instid1(VALU_DEP_2)
	v_div_scale_f32 v35, null, v34, v34, 1.0
	v_div_scale_f32 v39, vcc_lo, 1.0, v34, 1.0
	v_rcp_f32_e32 v37, v35
	v_nop
	s_delay_alu instid0(TRANS32_DEP_1) | instskip(NEXT) | instid1(VALU_DEP_1)
	v_fma_f32 v38, -v35, v37, 1.0
	v_fmac_f32_e32 v37, v38, v37
	s_delay_alu instid0(VALU_DEP_1) | instskip(NEXT) | instid1(VALU_DEP_1)
	v_mul_f32_e32 v38, v39, v37
	v_fma_f32 v40, -v35, v38, v39
	s_delay_alu instid0(VALU_DEP_1) | instskip(NEXT) | instid1(VALU_DEP_1)
	v_fmac_f32_e32 v38, v40, v37
	v_fma_f32 v35, -v35, v38, v39
	s_delay_alu instid0(VALU_DEP_1) | instskip(NEXT) | instid1(VALU_DEP_1)
	v_div_fmas_f32 v35, v35, v37, v38
	v_div_fixup_f32 v34, v35, v34, 1.0
	s_delay_alu instid0(VALU_DEP_1)
	v_mul_f32_e32 v36, v36, v34
	v_xor_b32_e32 v37, 0x80000000, v34
                                        ; implicit-def: $vgpr34_vgpr35
.LBB168_75:                             ;   in Loop: Header=BB168_3 Depth=1
	s_and_not1_saveexec_b32 s52, s52
	s_cbranch_execz .LBB168_77
; %bb.76:                               ;   in Loop: Header=BB168_3 Depth=1
	v_div_scale_f32 v36, null, v34, v34, -v35
	v_div_scale_f32 v39, vcc_lo, -v35, v34, -v35
	s_delay_alu instid0(VALU_DEP_2) | instskip(SKIP_1) | instid1(TRANS32_DEP_1)
	v_rcp_f32_e32 v37, v36
	v_nop
	v_fma_f32 v38, -v36, v37, 1.0
	s_delay_alu instid0(VALU_DEP_1) | instskip(NEXT) | instid1(VALU_DEP_1)
	v_fmac_f32_e32 v37, v38, v37
	v_mul_f32_e32 v38, v39, v37
	s_delay_alu instid0(VALU_DEP_1) | instskip(NEXT) | instid1(VALU_DEP_1)
	v_fma_f32 v40, -v36, v38, v39
	v_fmac_f32_e32 v38, v40, v37
	s_delay_alu instid0(VALU_DEP_1) | instskip(NEXT) | instid1(VALU_DEP_1)
	v_fma_f32 v36, -v36, v38, v39
	v_div_fmas_f32 v36, v36, v37, v38
	s_delay_alu instid0(VALU_DEP_1) | instskip(NEXT) | instid1(VALU_DEP_1)
	v_div_fixup_f32 v37, v36, v34, -v35
	v_fma_f32 v34, -v35, v37, v34
	s_delay_alu instid0(VALU_DEP_1) | instskip(NEXT) | instid1(VALU_DEP_1)
	v_div_scale_f32 v35, null, v34, v34, 1.0
	v_rcp_f32_e32 v36, v35
	v_nop
	s_delay_alu instid0(TRANS32_DEP_1) | instskip(NEXT) | instid1(VALU_DEP_1)
	v_fma_f32 v38, -v35, v36, 1.0
	v_fmac_f32_e32 v36, v38, v36
	v_div_scale_f32 v38, vcc_lo, 1.0, v34, 1.0
	s_delay_alu instid0(VALU_DEP_1) | instskip(NEXT) | instid1(VALU_DEP_1)
	v_mul_f32_e32 v39, v38, v36
	v_fma_f32 v40, -v35, v39, v38
	s_delay_alu instid0(VALU_DEP_1) | instskip(NEXT) | instid1(VALU_DEP_1)
	v_fmac_f32_e32 v39, v40, v36
	v_fma_f32 v35, -v35, v39, v38
	s_delay_alu instid0(VALU_DEP_1) | instskip(NEXT) | instid1(VALU_DEP_1)
	v_div_fmas_f32 v35, v35, v36, v39
	v_div_fixup_f32 v36, v35, v34, 1.0
	s_delay_alu instid0(VALU_DEP_1)
	v_mul_f32_e64 v37, v37, -v36
.LBB168_77:                             ;   in Loop: Header=BB168_3 Depth=1
	s_or_b32 exec_lo, exec_lo, s52
	ds_store_b64 v81, v[36:37]
.LBB168_78:                             ;   in Loop: Header=BB168_3 Depth=1
	s_or_b32 exec_lo, exec_lo, s86
                                        ; implicit-def: $vgpr34_vgpr35
.LBB168_79:                             ;   in Loop: Header=BB168_3 Depth=1
	s_and_not1_saveexec_b32 s51, s51
	s_cbranch_execz .LBB168_81
; %bb.80:                               ;   in Loop: Header=BB168_3 Depth=1
	v_lshl_add_u64 v[34:35], v[18:19], 3, v[34:35]
	flat_load_b64 v[34:35], v[34:35]
	s_wait_loadcnt_dscnt 0x0
	v_xor_b32_e32 v34, 0x80000000, v34
	ds_store_b64 v81, v[34:35]
.LBB168_81:                             ;   in Loop: Header=BB168_3 Depth=1
	s_or_b32 exec_lo, exec_lo, s51
.LBB168_82:                             ;   in Loop: Header=BB168_3 Depth=1
	s_delay_alu instid0(SALU_CYCLE_1)
	s_and_not1_b32 vcc_lo, exec_lo, s92
	s_wait_loadcnt_dscnt 0x0
	s_barrier_signal -1
	s_barrier_wait -1
	s_cbranch_vccnz .LBB168_1004
; %bb.83:                               ;   in Loop: Header=BB168_3 Depth=1
	s_and_saveexec_b32 s51, s14
	s_cbranch_execz .LBB168_85
; %bb.84:                               ;   in Loop: Header=BB168_3 Depth=1
	ds_load_b128 v[34:37], v5
	ds_load_b64 v[38:39], v5 offset:520
	s_wait_dscnt 0x1
	v_dual_mov_b32 v98, v37 :: v_dual_mov_b32 v99, v36
	s_wait_dscnt 0x0
	v_dual_mul_f32 v41, v39, v35 :: v_dual_mul_f32 v40, v38, v35
	s_delay_alu instid0(VALU_DEP_1) | instskip(NEXT) | instid1(VALU_DEP_1)
	v_xor_b32_e32 v42, 0x80000000, v41
	v_dual_fmac_f32 v40, v39, v34 :: v_dual_fmac_f32 v42, v38, v34
	s_delay_alu instid0(VALU_DEP_1) | instskip(NEXT) | instid1(VALU_DEP_1)
	v_pk_mul_f32 v[34:35], v[40:41], v[98:99] op_sel_hi:[0,1]
	v_pk_fma_f32 v[38:39], v[42:43], v[36:37], v[34:35] op_sel_hi:[0,1,1]
	v_pk_fma_f32 v[34:35], v[42:43], v[36:37], v[34:35] neg_lo:[0,0,1] neg_hi:[0,0,1]
	s_delay_alu instid0(VALU_DEP_2)
	v_mov_b32_e32 v35, v39
	ds_store_2addr_b64 v5, v[34:35], v[34:35] offset0:1 offset1:64
.LBB168_85:                             ;   in Loop: Header=BB168_3 Depth=1
	s_or_b32 exec_lo, exec_lo, s51
	v_mov_b32_e32 v35, 0
	s_wait_dscnt 0x0
	s_barrier_signal -1
	s_barrier_wait -1
	s_delay_alu instid0(VALU_DEP_1)
	v_mov_b32_e32 v34, v35
	s_and_saveexec_b32 s51, s3
	s_cbranch_execz .LBB168_89
; %bb.86:                               ;   in Loop: Header=BB168_3 Depth=1
	ds_load_b64 v[34:35], v44 offset:16
	ds_load_b64 v[36:37], v45
	s_wait_dscnt 0x0
	v_dual_mul_f32 v38, v37, v35 :: v_dual_mul_f32 v39, v36, v35
	s_delay_alu instid0(VALU_DEP_1) | instskip(NEXT) | instid1(VALU_DEP_1)
	v_dual_fma_f32 v38, v36, v34, -v38 :: v_dual_fmac_f32 v39, v37, v34
	v_pk_add_f32 v[34:35], v[38:39], 0 op_sel_hi:[1,0]
	s_and_saveexec_b32 s52, s16
	s_cbranch_execz .LBB168_88
; %bb.87:                               ;   in Loop: Header=BB168_3 Depth=1
	ds_load_b64 v[36:37], v46 offset:528
	ds_load_b64 v[38:39], v5 offset:8
	s_wait_dscnt 0x0
	v_pk_mul_f32 v[40:41], v[38:39], v[36:37] op_sel:[1,1] op_sel_hi:[0,1]
	s_delay_alu instid0(VALU_DEP_1) | instskip(SKIP_1) | instid1(VALU_DEP_2)
	v_pk_fma_f32 v[98:99], v[38:39], v[36:37], v[40:41] op_sel_hi:[1,0,1]
	v_pk_fma_f32 v[36:37], v[38:39], v[36:37], v[40:41] neg_lo:[0,0,1] neg_hi:[0,0,1]
	v_mov_b32_e32 v37, v99
	s_delay_alu instid0(VALU_DEP_1)
	v_pk_add_f32 v[34:35], v[34:35], v[36:37]
.LBB168_88:                             ;   in Loop: Header=BB168_3 Depth=1
	s_or_b32 exec_lo, exec_lo, s52
	s_delay_alu instid0(VALU_DEP_1)
	v_pk_add_f32 v[34:35], v[34:35], 0 neg_lo:[1,1] neg_hi:[1,1]
.LBB168_89:                             ;   in Loop: Header=BB168_3 Depth=1
	s_or_b32 exec_lo, exec_lo, s51
	s_and_saveexec_b32 s51, s93
	s_cbranch_execz .LBB168_91
; %bb.90:                               ;   in Loop: Header=BB168_3 Depth=1
	ds_load_b64 v[36:37], v5 offset:1040
	s_wait_dscnt 0x0
	v_pk_mul_f32 v[38:39], v[34:35], v[36:37] op_sel:[1,1] op_sel_hi:[1,0]
	s_delay_alu instid0(VALU_DEP_1) | instskip(SKIP_1) | instid1(VALU_DEP_2)
	v_pk_fma_f32 v[40:41], v[34:35], v[36:37], v[38:39] op_sel_hi:[0,1,1]
	v_pk_fma_f32 v[36:37], v[34:35], v[36:37], v[38:39] neg_lo:[0,0,1] neg_hi:[0,0,1]
	v_mov_b32_e32 v37, v41
	s_delay_alu instid0(VALU_DEP_1)
	v_mov_b64_e32 v[34:35], v[36:37]
	ds_store_b64 v3, v[36:37]
.LBB168_91:                             ;   in Loop: Header=BB168_3 Depth=1
	s_or_b32 exec_lo, exec_lo, s51
	s_wait_dscnt 0x0
	s_barrier_signal -1
	s_barrier_wait -1
	s_and_saveexec_b32 s51, s94
	s_cbranch_execz .LBB168_93
; %bb.92:                               ;   in Loop: Header=BB168_3 Depth=1
	ds_load_b64 v[36:37], v5 offset:1048
	ds_load_b64 v[38:39], v3
	s_wait_dscnt 0x0
	v_pk_mul_f32 v[40:41], v[38:39], v[36:37] op_sel:[1,1] op_sel_hi:[0,1]
	s_delay_alu instid0(VALU_DEP_1) | instskip(SKIP_1) | instid1(VALU_DEP_2)
	v_pk_fma_f32 v[98:99], v[38:39], v[36:37], v[40:41] op_sel_hi:[1,0,1]
	v_pk_fma_f32 v[36:37], v[38:39], v[36:37], v[40:41] neg_lo:[0,0,1] neg_hi:[0,0,1]
	v_mov_b32_e32 v37, v99
	s_delay_alu instid0(VALU_DEP_1)
	v_pk_add_f32 v[34:35], v[34:35], v[36:37]
.LBB168_93:                             ;   in Loop: Header=BB168_3 Depth=1
	s_or_b32 exec_lo, exec_lo, s51
	s_barrier_signal -1
	s_barrier_wait -1
	s_and_saveexec_b32 s51, s94
	s_cbranch_execz .LBB168_95
; %bb.94:                               ;   in Loop: Header=BB168_3 Depth=1
	ds_load_b64 v[36:37], v5 offset:1560
	s_wait_dscnt 0x0
	v_pk_mul_f32 v[38:39], v[34:35], v[36:37] op_sel:[1,1] op_sel_hi:[1,0]
	s_delay_alu instid0(VALU_DEP_1) | instskip(SKIP_1) | instid1(VALU_DEP_2)
	v_pk_fma_f32 v[40:41], v[34:35], v[36:37], v[38:39] op_sel_hi:[0,1,1]
	v_pk_fma_f32 v[36:37], v[34:35], v[36:37], v[38:39] neg_lo:[0,0,1] neg_hi:[0,0,1]
	v_mov_b32_e32 v37, v41
	s_delay_alu instid0(VALU_DEP_1)
	v_mov_b64_e32 v[34:35], v[36:37]
	ds_store_b64 v3, v[36:37]
.LBB168_95:                             ;   in Loop: Header=BB168_3 Depth=1
	s_or_b32 exec_lo, exec_lo, s51
	s_wait_dscnt 0x0
	s_barrier_signal -1
	s_barrier_wait -1
	s_barrier_signal -1
	s_barrier_wait -1
	s_and_saveexec_b32 s51, s3
; %bb.96:                               ;   in Loop: Header=BB168_3 Depth=1
	v_pk_add_f32 v[34:35], v[34:35], 0 neg_lo:[1,1] neg_hi:[1,1]
	ds_store_b64 v44, v[34:35] offset:16
; %bb.97:                               ;   in Loop: Header=BB168_3 Depth=1
	s_or_b32 exec_lo, exec_lo, s51
	s_wait_dscnt 0x0
	s_barrier_signal -1
	s_barrier_wait -1
	s_barrier_signal -1
	s_barrier_wait -1
	s_and_saveexec_b32 s51, s95
	s_cbranch_execz .LBB168_99
; %bb.98:                               ;   in Loop: Header=BB168_3 Depth=1
	ds_load_b64 v[34:35], v49 offset:16
	s_wait_dscnt 0x0
	ds_store_b64 v46, v[34:35] offset:1024
	ds_load_b64 v[34:35], v49 offset:24
	s_wait_dscnt 0x0
	ds_store_b64 v46, v[34:35] offset:1536
.LBB168_99:                             ;   in Loop: Header=BB168_3 Depth=1
	s_or_b32 exec_lo, exec_lo, s51
	s_wait_dscnt 0x0
	s_barrier_signal -1
	s_barrier_wait -1
	s_and_saveexec_b32 s51, s14
	s_cbranch_execz .LBB168_101
; %bb.100:                              ;   in Loop: Header=BB168_3 Depth=1
	ds_load_b128 v[34:37], v5 offset:1040
	ds_load_b64 v[38:39], v5 offset:1560
	s_wait_dscnt 0x1
	v_dual_mov_b32 v98, v37 :: v_dual_mov_b32 v99, v36
	s_wait_dscnt 0x0
	v_dual_mul_f32 v41, v39, v35 :: v_dual_mul_f32 v40, v38, v35
	s_delay_alu instid0(VALU_DEP_1) | instskip(NEXT) | instid1(VALU_DEP_1)
	v_xor_b32_e32 v42, 0x80000000, v41
	v_dual_fmac_f32 v40, v39, v34 :: v_dual_fmac_f32 v42, v38, v34
	s_delay_alu instid0(VALU_DEP_1) | instskip(NEXT) | instid1(VALU_DEP_1)
	v_pk_mul_f32 v[34:35], v[40:41], v[98:99] op_sel_hi:[0,1]
	v_pk_fma_f32 v[38:39], v[42:43], v[36:37], v[34:35] op_sel_hi:[0,1,1]
	v_pk_fma_f32 v[34:35], v[42:43], v[36:37], v[34:35] neg_lo:[0,0,1] neg_hi:[0,0,1]
	s_delay_alu instid0(VALU_DEP_2)
	v_mov_b32_e32 v35, v39
	ds_store_2addr_b64 v5, v[34:35], v[34:35] offset0:131 offset1:194
.LBB168_101:                            ;   in Loop: Header=BB168_3 Depth=1
	s_or_b32 exec_lo, exec_lo, s51
	v_mov_b32_e32 v34, 0
	s_wait_dscnt 0x0
	s_barrier_signal -1
	s_barrier_wait -1
	s_delay_alu instid0(VALU_DEP_1)
	v_mov_b32_e32 v35, v34
	s_and_saveexec_b32 s51, s5
	s_cbranch_execz .LBB168_107
; %bb.102:                              ;   in Loop: Header=BB168_3 Depth=1
	ds_load_b64 v[34:35], v51 offset:32
	ds_load_b64 v[36:37], v47
	s_wait_dscnt 0x0
	v_pk_mul_f32 v[38:39], v[36:37], v[34:35] op_sel:[0,1]
	s_delay_alu instid0(VALU_DEP_1) | instskip(SKIP_1) | instid1(VALU_DEP_2)
	v_pk_fma_f32 v[40:41], v[36:37], v[34:35], v[38:39] op_sel:[1,0,0] op_sel_hi:[0,0,1] neg_lo:[0,0,1] neg_hi:[0,0,1]
	v_pk_fma_f32 v[34:35], v[36:37], v[34:35], v[38:39] op_sel:[1,0,0] op_sel_hi:[0,1,1]
	v_mov_b32_e32 v35, v41
	s_delay_alu instid0(VALU_DEP_1)
	v_pk_add_f32 v[34:35], v[34:35], 0 op_sel_hi:[1,0]
	s_and_saveexec_b32 s52, s17
	s_cbranch_execnz .LBB168_1124
; %bb.103:                              ;   in Loop: Header=BB168_3 Depth=1
	s_or_b32 exec_lo, exec_lo, s52
	s_and_saveexec_b32 s52, s18
	s_cbranch_execnz .LBB168_1125
.LBB168_104:                            ;   in Loop: Header=BB168_3 Depth=1
	s_or_b32 exec_lo, exec_lo, s52
	s_and_saveexec_b32 s52, s3
	s_cbranch_execz .LBB168_106
.LBB168_105:                            ;   in Loop: Header=BB168_3 Depth=1
	ds_load_b64 v[36:37], v54 offset:1568
	ds_load_b64 v[38:39], v5 offset:24
	s_wait_dscnt 0x0
	v_pk_mul_f32 v[40:41], v[38:39], v[36:37] op_sel:[0,1]
	s_delay_alu instid0(VALU_DEP_1) | instskip(SKIP_1) | instid1(VALU_DEP_2)
	v_pk_fma_f32 v[98:99], v[38:39], v[36:37], v[40:41] op_sel:[1,0,0] op_sel_hi:[0,0,1] neg_lo:[0,0,1] neg_hi:[0,0,1]
	v_pk_fma_f32 v[36:37], v[38:39], v[36:37], v[40:41] op_sel:[1,0,0] op_sel_hi:[0,1,1]
	v_mov_b32_e32 v37, v99
	s_delay_alu instid0(VALU_DEP_1)
	v_pk_add_f32 v[34:35], v[34:35], v[36:37]
.LBB168_106:                            ;   in Loop: Header=BB168_3 Depth=1
	s_or_b32 exec_lo, exec_lo, s52
	s_delay_alu instid0(VALU_DEP_1) | instskip(NEXT) | instid1(VALU_DEP_1)
	v_pk_add_f32 v[36:37], v[34:35], 0 neg_lo:[1,1] neg_hi:[1,1]
	v_dual_mov_b32 v34, v37 :: v_dual_mov_b32 v35, v36
.LBB168_107:                            ;   in Loop: Header=BB168_3 Depth=1
	s_or_b32 exec_lo, exec_lo, s51
	s_and_saveexec_b32 s51, s96
	s_cbranch_execz .LBB168_109
; %bb.108:                              ;   in Loop: Header=BB168_3 Depth=1
	ds_load_b64 v[36:37], v5 offset:2080
	v_dual_mov_b32 v38, v35 :: v_dual_mov_b32 v39, v34
	s_wait_dscnt 0x0
	s_delay_alu instid0(VALU_DEP_1) | instskip(NEXT) | instid1(VALU_DEP_1)
	v_dual_mul_f32 v40, v38, v36 :: v_dual_mul_f32 v42, v35, v37
	v_pk_fma_f32 v[38:39], v[38:39], v[36:37], v[40:41] op_sel_hi:[1,1,0]
	s_delay_alu instid0(VALU_DEP_2) | instskip(NEXT) | instid1(VALU_DEP_2)
	v_pk_fma_f32 v[34:35], v[34:35], v[36:37], v[42:43] op_sel_hi:[1,1,0] neg_lo:[0,0,1] neg_hi:[0,0,1]
	v_mov_b32_e32 v35, v39
	ds_store_b64 v50, v[34:35]
.LBB168_109:                            ;   in Loop: Header=BB168_3 Depth=1
	s_or_b32 exec_lo, exec_lo, s51
	s_wait_dscnt 0x0
	s_barrier_signal -1
	s_barrier_wait -1
	s_and_saveexec_b32 s51, s97
	s_cbranch_execz .LBB168_111
; %bb.110:                              ;   in Loop: Header=BB168_3 Depth=1
	ds_load_b64 v[36:37], v48 offset:2080
	ds_load_b64 v[38:39], v50
	s_wait_dscnt 0x0
	v_dual_mul_f32 v40, v39, v37 :: v_dual_mul_f32 v41, v38, v37
	s_delay_alu instid0(VALU_DEP_1) | instskip(NEXT) | instid1(VALU_DEP_1)
	v_dual_fma_f32 v40, v38, v36, -v40 :: v_dual_fmac_f32 v41, v39, v36
	v_pk_add_f32 v[34:35], v[34:35], v[40:41]
.LBB168_111:                            ;   in Loop: Header=BB168_3 Depth=1
	s_or_b32 exec_lo, exec_lo, s51
	s_barrier_signal -1
	s_barrier_wait -1
	s_and_saveexec_b32 s51, s98
	s_cbranch_execz .LBB168_113
; %bb.112:                              ;   in Loop: Header=BB168_3 Depth=1
	ds_load_b64 v[36:37], v5 offset:2600
	s_wait_dscnt 0x0
	v_pk_mul_f32 v[38:39], v[34:35], v[36:37] op_sel:[1,1] op_sel_hi:[1,0]
	s_delay_alu instid0(VALU_DEP_1) | instskip(SKIP_1) | instid1(VALU_DEP_2)
	v_pk_fma_f32 v[40:41], v[34:35], v[36:37], v[38:39] op_sel_hi:[0,1,1]
	v_pk_fma_f32 v[36:37], v[34:35], v[36:37], v[38:39] neg_lo:[0,0,1] neg_hi:[0,0,1]
	v_mov_b32_e32 v37, v41
	s_delay_alu instid0(VALU_DEP_1)
	v_mov_b64_e32 v[34:35], v[36:37]
	ds_store_b64 v50, v[36:37]
.LBB168_113:                            ;   in Loop: Header=BB168_3 Depth=1
	s_or_b32 exec_lo, exec_lo, s51
	s_wait_dscnt 0x0
	s_barrier_signal -1
	s_barrier_wait -1
	s_and_saveexec_b32 s51, s99
	s_cbranch_execz .LBB168_115
; %bb.114:                              ;   in Loop: Header=BB168_3 Depth=1
	ds_load_b64 v[36:37], v48 offset:2592
	ds_load_b64 v[38:39], v50
	s_wait_dscnt 0x0
	v_pk_mul_f32 v[40:41], v[38:39], v[36:37] op_sel:[1,1] op_sel_hi:[0,1]
	s_delay_alu instid0(VALU_DEP_1) | instskip(SKIP_1) | instid1(VALU_DEP_2)
	v_pk_fma_f32 v[98:99], v[38:39], v[36:37], v[40:41] op_sel_hi:[1,0,1]
	v_pk_fma_f32 v[36:37], v[38:39], v[36:37], v[40:41] neg_lo:[0,0,1] neg_hi:[0,0,1]
	v_mov_b32_e32 v37, v99
	s_delay_alu instid0(VALU_DEP_1)
	v_pk_add_f32 v[34:35], v[34:35], v[36:37]
.LBB168_115:                            ;   in Loop: Header=BB168_3 Depth=1
	s_or_b32 exec_lo, exec_lo, s51
	s_barrier_signal -1
	s_barrier_wait -1
	s_and_saveexec_b32 s51, s100
	s_cbranch_execz .LBB168_117
; %bb.116:                              ;   in Loop: Header=BB168_3 Depth=1
	ds_load_b64 v[36:37], v5 offset:3120
	s_wait_dscnt 0x0
	v_pk_mul_f32 v[38:39], v[34:35], v[36:37] op_sel:[1,1] op_sel_hi:[1,0]
	s_delay_alu instid0(VALU_DEP_1) | instskip(SKIP_1) | instid1(VALU_DEP_2)
	v_pk_fma_f32 v[40:41], v[34:35], v[36:37], v[38:39] op_sel_hi:[0,1,1]
	v_pk_fma_f32 v[36:37], v[34:35], v[36:37], v[38:39] neg_lo:[0,0,1] neg_hi:[0,0,1]
	v_mov_b32_e32 v37, v41
	s_delay_alu instid0(VALU_DEP_1)
	v_mov_b64_e32 v[34:35], v[36:37]
	ds_store_b64 v50, v[36:37]
.LBB168_117:                            ;   in Loop: Header=BB168_3 Depth=1
	s_or_b32 exec_lo, exec_lo, s51
	s_wait_dscnt 0x0
	s_barrier_signal -1
	s_barrier_wait -1
	s_and_saveexec_b32 s51, s101
	s_cbranch_execz .LBB168_119
; %bb.118:                              ;   in Loop: Header=BB168_3 Depth=1
	ds_load_b64 v[36:37], v5 offset:3128
	ds_load_b64 v[38:39], v50
	s_wait_dscnt 0x0
	v_pk_mul_f32 v[40:41], v[38:39], v[36:37] op_sel:[1,1] op_sel_hi:[0,1]
	s_delay_alu instid0(VALU_DEP_1) | instskip(SKIP_1) | instid1(VALU_DEP_2)
	v_pk_fma_f32 v[98:99], v[38:39], v[36:37], v[40:41] op_sel_hi:[1,0,1]
	v_pk_fma_f32 v[36:37], v[38:39], v[36:37], v[40:41] neg_lo:[0,0,1] neg_hi:[0,0,1]
	v_mov_b32_e32 v37, v99
	s_delay_alu instid0(VALU_DEP_1)
	v_pk_add_f32 v[34:35], v[34:35], v[36:37]
.LBB168_119:                            ;   in Loop: Header=BB168_3 Depth=1
	s_or_b32 exec_lo, exec_lo, s51
	s_barrier_signal -1
	s_barrier_wait -1
	s_and_saveexec_b32 s51, s101
	s_cbranch_execz .LBB168_121
; %bb.120:                              ;   in Loop: Header=BB168_3 Depth=1
	ds_load_b64 v[36:37], v5 offset:3640
	s_wait_dscnt 0x0
	v_pk_mul_f32 v[38:39], v[34:35], v[36:37] op_sel:[1,1] op_sel_hi:[1,0]
	s_delay_alu instid0(VALU_DEP_1) | instskip(SKIP_1) | instid1(VALU_DEP_2)
	v_pk_fma_f32 v[40:41], v[34:35], v[36:37], v[38:39] op_sel_hi:[0,1,1]
	v_pk_fma_f32 v[36:37], v[34:35], v[36:37], v[38:39] neg_lo:[0,0,1] neg_hi:[0,0,1]
	v_mov_b32_e32 v37, v41
	s_delay_alu instid0(VALU_DEP_1)
	v_mov_b64_e32 v[34:35], v[36:37]
	ds_store_b64 v50, v[36:37]
.LBB168_121:                            ;   in Loop: Header=BB168_3 Depth=1
	s_or_b32 exec_lo, exec_lo, s51
	s_wait_dscnt 0x0
	s_barrier_signal -1
	s_barrier_wait -1
	s_barrier_signal -1
	s_barrier_wait -1
	s_and_saveexec_b32 s51, s5
; %bb.122:                              ;   in Loop: Header=BB168_3 Depth=1
	v_pk_add_f32 v[34:35], v[34:35], 0 neg_lo:[1,1] neg_hi:[1,1]
	ds_store_b64 v51, v[34:35] offset:32
; %bb.123:                              ;   in Loop: Header=BB168_3 Depth=1
	s_or_b32 exec_lo, exec_lo, s51
	s_wait_dscnt 0x0
	s_barrier_signal -1
	s_barrier_wait -1
	s_barrier_signal -1
	s_barrier_wait -1
	s_and_saveexec_b32 s51, s102
	s_cbranch_execz .LBB168_125
; %bb.124:                              ;   in Loop: Header=BB168_3 Depth=1
	ds_load_b64 v[34:35], v55 offset:32
	s_wait_dscnt 0x0
	ds_store_b64 v56, v[34:35] offset:2048
	ds_load_b64 v[34:35], v55 offset:40
	s_wait_dscnt 0x0
	ds_store_b64 v56, v[34:35] offset:2560
	;; [unrolled: 3-line block ×4, first 2 shown]
.LBB168_125:                            ;   in Loop: Header=BB168_3 Depth=1
	s_or_b32 exec_lo, exec_lo, s51
	s_wait_dscnt 0x0
	s_barrier_signal -1
	s_barrier_wait -1
	s_and_saveexec_b32 s51, s14
	s_cbranch_execz .LBB168_127
; %bb.126:                              ;   in Loop: Header=BB168_3 Depth=1
	ds_load_b128 v[34:37], v5 offset:2080
	ds_load_b64 v[38:39], v5 offset:2600
	s_wait_dscnt 0x1
	v_dual_mov_b32 v98, v37 :: v_dual_mov_b32 v99, v36
	s_wait_dscnt 0x0
	v_dual_mul_f32 v41, v39, v35 :: v_dual_mul_f32 v40, v38, v35
	s_delay_alu instid0(VALU_DEP_1) | instskip(NEXT) | instid1(VALU_DEP_1)
	v_xor_b32_e32 v42, 0x80000000, v41
	v_dual_fmac_f32 v40, v39, v34 :: v_dual_fmac_f32 v42, v38, v34
	s_delay_alu instid0(VALU_DEP_1) | instskip(NEXT) | instid1(VALU_DEP_1)
	v_pk_mul_f32 v[34:35], v[40:41], v[98:99] op_sel_hi:[0,1]
	v_pk_fma_f32 v[38:39], v[42:43], v[36:37], v[34:35] op_sel_hi:[0,1,1]
	v_pk_fma_f32 v[34:35], v[42:43], v[36:37], v[34:35] neg_lo:[0,0,1] neg_hi:[0,0,1]
	v_add_nc_u32_e64 v36, 0x800, 0
	s_delay_alu instid0(VALU_DEP_3)
	v_mov_b32_e32 v35, v39
	ds_store_2addr_b64 v36, v[34:35], v[34:35] offset0:5 offset1:68
.LBB168_127:                            ;   in Loop: Header=BB168_3 Depth=1
	s_or_b32 exec_lo, exec_lo, s51
	v_mov_b32_e32 v35, 0
	s_wait_dscnt 0x0
	s_barrier_signal -1
	s_barrier_wait -1
	s_delay_alu instid0(VALU_DEP_1)
	v_mov_b32_e32 v34, v35
	s_and_saveexec_b32 s51, s3
	s_cbranch_execz .LBB168_131
; %bb.128:                              ;   in Loop: Header=BB168_3 Depth=1
	ds_load_b64 v[34:35], v44 offset:2096
	ds_load_b64 v[36:37], v45 offset:2080
	s_wait_dscnt 0x0
	v_dual_mul_f32 v38, v37, v35 :: v_dual_mul_f32 v39, v36, v35
	s_delay_alu instid0(VALU_DEP_1) | instskip(NEXT) | instid1(VALU_DEP_1)
	v_dual_fma_f32 v38, v36, v34, -v38 :: v_dual_fmac_f32 v39, v37, v34
	v_pk_add_f32 v[34:35], v[38:39], 0 op_sel_hi:[1,0]
	s_and_saveexec_b32 s52, s16
	s_cbranch_execz .LBB168_130
; %bb.129:                              ;   in Loop: Header=BB168_3 Depth=1
	ds_load_b64 v[36:37], v56 offset:2608
	ds_load_b64 v[38:39], v5 offset:2088
	s_wait_dscnt 0x0
	v_pk_mul_f32 v[40:41], v[38:39], v[36:37] op_sel:[1,1] op_sel_hi:[0,1]
	s_delay_alu instid0(VALU_DEP_1) | instskip(SKIP_1) | instid1(VALU_DEP_2)
	v_pk_fma_f32 v[98:99], v[38:39], v[36:37], v[40:41] op_sel_hi:[1,0,1]
	v_pk_fma_f32 v[36:37], v[38:39], v[36:37], v[40:41] neg_lo:[0,0,1] neg_hi:[0,0,1]
	v_mov_b32_e32 v37, v99
	s_delay_alu instid0(VALU_DEP_1)
	v_pk_add_f32 v[34:35], v[34:35], v[36:37]
.LBB168_130:                            ;   in Loop: Header=BB168_3 Depth=1
	s_or_b32 exec_lo, exec_lo, s52
	s_delay_alu instid0(VALU_DEP_1)
	v_pk_add_f32 v[34:35], v[34:35], 0 neg_lo:[1,1] neg_hi:[1,1]
.LBB168_131:                            ;   in Loop: Header=BB168_3 Depth=1
	s_or_b32 exec_lo, exec_lo, s51
	s_and_saveexec_b32 s51, s93
	s_cbranch_execz .LBB168_133
; %bb.132:                              ;   in Loop: Header=BB168_3 Depth=1
	ds_load_b64 v[36:37], v5 offset:3120
	s_wait_dscnt 0x0
	v_pk_mul_f32 v[38:39], v[34:35], v[36:37] op_sel:[1,1] op_sel_hi:[1,0]
	s_delay_alu instid0(VALU_DEP_1) | instskip(SKIP_1) | instid1(VALU_DEP_2)
	v_pk_fma_f32 v[40:41], v[34:35], v[36:37], v[38:39] op_sel_hi:[0,1,1]
	v_pk_fma_f32 v[36:37], v[34:35], v[36:37], v[38:39] neg_lo:[0,0,1] neg_hi:[0,0,1]
	v_mov_b32_e32 v37, v41
	s_delay_alu instid0(VALU_DEP_1)
	v_mov_b64_e32 v[34:35], v[36:37]
	ds_store_b64 v3, v[36:37]
.LBB168_133:                            ;   in Loop: Header=BB168_3 Depth=1
	s_or_b32 exec_lo, exec_lo, s51
	s_wait_dscnt 0x0
	s_barrier_signal -1
	s_barrier_wait -1
	s_and_saveexec_b32 s51, s94
	s_cbranch_execz .LBB168_135
; %bb.134:                              ;   in Loop: Header=BB168_3 Depth=1
	ds_load_b64 v[36:37], v5 offset:3128
	ds_load_b64 v[38:39], v3
	s_wait_dscnt 0x0
	v_pk_mul_f32 v[40:41], v[38:39], v[36:37] op_sel:[1,1] op_sel_hi:[0,1]
	s_delay_alu instid0(VALU_DEP_1) | instskip(SKIP_1) | instid1(VALU_DEP_2)
	v_pk_fma_f32 v[98:99], v[38:39], v[36:37], v[40:41] op_sel_hi:[1,0,1]
	v_pk_fma_f32 v[36:37], v[38:39], v[36:37], v[40:41] neg_lo:[0,0,1] neg_hi:[0,0,1]
	v_mov_b32_e32 v37, v99
	s_delay_alu instid0(VALU_DEP_1)
	v_pk_add_f32 v[34:35], v[34:35], v[36:37]
.LBB168_135:                            ;   in Loop: Header=BB168_3 Depth=1
	s_or_b32 exec_lo, exec_lo, s51
	s_barrier_signal -1
	s_barrier_wait -1
	s_and_saveexec_b32 s51, s94
	s_cbranch_execz .LBB168_137
; %bb.136:                              ;   in Loop: Header=BB168_3 Depth=1
	ds_load_b64 v[36:37], v5 offset:3640
	s_wait_dscnt 0x0
	v_pk_mul_f32 v[38:39], v[34:35], v[36:37] op_sel:[1,1] op_sel_hi:[1,0]
	s_delay_alu instid0(VALU_DEP_1) | instskip(SKIP_1) | instid1(VALU_DEP_2)
	v_pk_fma_f32 v[40:41], v[34:35], v[36:37], v[38:39] op_sel_hi:[0,1,1]
	v_pk_fma_f32 v[36:37], v[34:35], v[36:37], v[38:39] neg_lo:[0,0,1] neg_hi:[0,0,1]
	v_mov_b32_e32 v37, v41
	s_delay_alu instid0(VALU_DEP_1)
	v_mov_b64_e32 v[34:35], v[36:37]
	ds_store_b64 v3, v[36:37]
.LBB168_137:                            ;   in Loop: Header=BB168_3 Depth=1
	s_or_b32 exec_lo, exec_lo, s51
	s_wait_dscnt 0x0
	s_barrier_signal -1
	s_barrier_wait -1
	s_barrier_signal -1
	s_barrier_wait -1
	s_and_saveexec_b32 s51, s3
; %bb.138:                              ;   in Loop: Header=BB168_3 Depth=1
	v_pk_add_f32 v[34:35], v[34:35], 0 neg_lo:[1,1] neg_hi:[1,1]
	ds_store_b64 v44, v[34:35] offset:2096
; %bb.139:                              ;   in Loop: Header=BB168_3 Depth=1
	s_or_b32 exec_lo, exec_lo, s51
	s_wait_dscnt 0x0
	s_barrier_signal -1
	s_barrier_wait -1
	s_barrier_signal -1
	s_barrier_wait -1
	s_and_saveexec_b32 s51, s95
	s_cbranch_execz .LBB168_141
; %bb.140:                              ;   in Loop: Header=BB168_3 Depth=1
	ds_load_b64 v[34:35], v58 offset:2096
	s_wait_dscnt 0x0
	ds_store_b64 v56, v[34:35] offset:3104
	ds_load_b64 v[34:35], v58 offset:2104
	s_wait_dscnt 0x0
	ds_store_b64 v56, v[34:35] offset:3616
.LBB168_141:                            ;   in Loop: Header=BB168_3 Depth=1
	s_or_b32 exec_lo, exec_lo, s51
	s_wait_dscnt 0x0
	s_barrier_signal -1
	s_barrier_wait -1
	s_and_saveexec_b32 s51, s14
	s_cbranch_execz .LBB168_143
; %bb.142:                              ;   in Loop: Header=BB168_3 Depth=1
	ds_load_b128 v[34:37], v5 offset:3120
	ds_load_b64 v[38:39], v5 offset:3640
	s_wait_dscnt 0x1
	v_dual_mov_b32 v98, v37 :: v_dual_mov_b32 v99, v36
	s_wait_dscnt 0x0
	v_dual_mul_f32 v41, v39, v35 :: v_dual_mul_f32 v40, v38, v35
	s_delay_alu instid0(VALU_DEP_1) | instskip(NEXT) | instid1(VALU_DEP_1)
	v_xor_b32_e32 v42, 0x80000000, v41
	v_dual_fmac_f32 v40, v39, v34 :: v_dual_fmac_f32 v42, v38, v34
	s_delay_alu instid0(VALU_DEP_1) | instskip(NEXT) | instid1(VALU_DEP_1)
	v_pk_mul_f32 v[34:35], v[40:41], v[98:99] op_sel_hi:[0,1]
	v_pk_fma_f32 v[38:39], v[42:43], v[36:37], v[34:35] op_sel_hi:[0,1,1]
	v_pk_fma_f32 v[34:35], v[42:43], v[36:37], v[34:35] neg_lo:[0,0,1] neg_hi:[0,0,1]
	v_add_nc_u32_e64 v36, 0x800, 0
	s_delay_alu instid0(VALU_DEP_3)
	v_mov_b32_e32 v35, v39
	ds_store_2addr_b64 v36, v[34:35], v[34:35] offset0:135 offset1:198
.LBB168_143:                            ;   in Loop: Header=BB168_3 Depth=1
	s_or_b32 exec_lo, exec_lo, s51
	v_mov_b32_e32 v34, 0
	s_wait_dscnt 0x0
	s_barrier_signal -1
	s_barrier_wait -1
	s_delay_alu instid0(VALU_DEP_1)
	v_mov_b32_e32 v35, v34
	s_and_saveexec_b32 s51, s6
	s_cbranch_execz .LBB168_153
; %bb.144:                              ;   in Loop: Header=BB168_3 Depth=1
	ds_load_b64 v[34:35], v61 offset:64
	ds_load_b64 v[36:37], v57
	s_wait_dscnt 0x0
	v_dual_mul_f32 v38, v37, v35 :: v_dual_mul_f32 v39, v36, v35
	s_delay_alu instid0(VALU_DEP_1) | instskip(NEXT) | instid1(VALU_DEP_1)
	v_dual_fma_f32 v35, v36, v34, -v38 :: v_dual_fmac_f32 v39, v37, v34
	v_add_f32_e32 v35, 0, v35
	s_delay_alu instid0(VALU_DEP_2)
	v_add_f32_e32 v34, 0, v39
	s_and_saveexec_b32 s52, s19
	s_cbranch_execnz .LBB168_1126
; %bb.145:                              ;   in Loop: Header=BB168_3 Depth=1
	s_or_b32 exec_lo, exec_lo, s52
	s_and_saveexec_b32 s52, s20
	s_cbranch_execnz .LBB168_1127
.LBB168_146:                            ;   in Loop: Header=BB168_3 Depth=1
	s_or_b32 exec_lo, exec_lo, s52
	s_and_saveexec_b32 s52, s21
	s_cbranch_execnz .LBB168_1128
.LBB168_147:                            ;   in Loop: Header=BB168_3 Depth=1
	s_or_b32 exec_lo, exec_lo, s52
	s_and_saveexec_b32 s52, s22
	s_cbranch_execnz .LBB168_1129
.LBB168_148:                            ;   in Loop: Header=BB168_3 Depth=1
	s_or_b32 exec_lo, exec_lo, s52
	s_and_saveexec_b32 s52, s23
	s_cbranch_execnz .LBB168_1130
.LBB168_149:                            ;   in Loop: Header=BB168_3 Depth=1
	s_or_b32 exec_lo, exec_lo, s52
	s_and_saveexec_b32 s52, s5
	s_cbranch_execnz .LBB168_1131
.LBB168_150:                            ;   in Loop: Header=BB168_3 Depth=1
	s_or_b32 exec_lo, exec_lo, s52
	s_and_saveexec_b32 s52, s18
	s_cbranch_execz .LBB168_152
.LBB168_151:                            ;   in Loop: Header=BB168_3 Depth=1
	ds_load_b64 v[36:37], v63 offset:3648
	ds_load_b64 v[38:39], v5 offset:56
	s_wait_dscnt 0x0
	v_pk_mul_f32 v[40:41], v[38:39], v[36:37] op_sel:[0,1]
	s_delay_alu instid0(VALU_DEP_1) | instskip(SKIP_1) | instid1(VALU_DEP_2)
	v_pk_fma_f32 v[98:99], v[38:39], v[36:37], v[40:41] op_sel:[1,0,0] op_sel_hi:[0,0,1] neg_lo:[0,0,1] neg_hi:[0,0,1]
	v_pk_fma_f32 v[36:37], v[38:39], v[36:37], v[40:41] op_sel:[1,0,0] op_sel_hi:[0,1,1]
	v_mov_b32_e32 v37, v99
	s_delay_alu instid0(VALU_DEP_1)
	v_pk_add_f32 v[34:35], v[34:35], v[36:37]
.LBB168_152:                            ;   in Loop: Header=BB168_3 Depth=1
	s_or_b32 exec_lo, exec_lo, s52
	s_delay_alu instid0(VALU_DEP_1) | instskip(NEXT) | instid1(VALU_DEP_1)
	v_pk_add_f32 v[36:37], v[34:35], 0 neg_lo:[1,1] neg_hi:[1,1]
	v_dual_mov_b32 v34, v37 :: v_dual_mov_b32 v35, v36
.LBB168_153:                            ;   in Loop: Header=BB168_3 Depth=1
	s_or_b32 exec_lo, exec_lo, s51
	s_and_saveexec_b32 s51, s103
	s_cbranch_execz .LBB168_155
; %bb.154:                              ;   in Loop: Header=BB168_3 Depth=1
	ds_load_b64 v[36:37], v5 offset:4160
	v_dual_mov_b32 v38, v35 :: v_dual_mov_b32 v39, v34
	s_wait_dscnt 0x0
	s_delay_alu instid0(VALU_DEP_1) | instskip(NEXT) | instid1(VALU_DEP_1)
	v_dual_mul_f32 v40, v38, v36 :: v_dual_mul_f32 v42, v35, v37
	v_pk_fma_f32 v[38:39], v[38:39], v[36:37], v[40:41] op_sel_hi:[1,1,0]
	s_delay_alu instid0(VALU_DEP_2) | instskip(NEXT) | instid1(VALU_DEP_2)
	v_pk_fma_f32 v[34:35], v[34:35], v[36:37], v[42:43] op_sel_hi:[1,1,0] neg_lo:[0,0,1] neg_hi:[0,0,1]
	v_mov_b32_e32 v35, v39
	ds_store_b64 v60, v[34:35]
.LBB168_155:                            ;   in Loop: Header=BB168_3 Depth=1
	s_or_b32 exec_lo, exec_lo, s51
	s_wait_dscnt 0x0
	s_barrier_signal -1
	s_barrier_wait -1
	s_and_saveexec_b32 s51, s104
	s_cbranch_execz .LBB168_157
; %bb.156:                              ;   in Loop: Header=BB168_3 Depth=1
	ds_load_b64 v[36:37], v59 offset:4160
	ds_load_b64 v[38:39], v60
	s_wait_dscnt 0x0
	v_dual_mul_f32 v40, v39, v37 :: v_dual_mul_f32 v41, v38, v37
	s_delay_alu instid0(VALU_DEP_1) | instskip(NEXT) | instid1(VALU_DEP_1)
	v_dual_fma_f32 v40, v38, v36, -v40 :: v_dual_fmac_f32 v41, v39, v36
	v_pk_add_f32 v[34:35], v[34:35], v[40:41]
.LBB168_157:                            ;   in Loop: Header=BB168_3 Depth=1
	s_or_b32 exec_lo, exec_lo, s51
	s_barrier_signal -1
	s_barrier_wait -1
	s_and_saveexec_b32 s51, vcc_hi
	s_cbranch_execz .LBB168_159
; %bb.158:                              ;   in Loop: Header=BB168_3 Depth=1
	ds_load_b64 v[36:37], v5 offset:4680
	s_wait_dscnt 0x0
	v_pk_mul_f32 v[38:39], v[34:35], v[36:37] op_sel:[1,1] op_sel_hi:[1,0]
	s_delay_alu instid0(VALU_DEP_1) | instskip(SKIP_1) | instid1(VALU_DEP_2)
	v_pk_fma_f32 v[40:41], v[34:35], v[36:37], v[38:39] op_sel_hi:[0,1,1]
	v_pk_fma_f32 v[34:35], v[34:35], v[36:37], v[38:39] op_sel_hi:[0,1,1] neg_lo:[0,0,1] neg_hi:[0,0,1]
	v_mov_b32_e32 v35, v41
	ds_store_b64 v60, v[34:35]
.LBB168_159:                            ;   in Loop: Header=BB168_3 Depth=1
	s_or_b32 exec_lo, exec_lo, s51
	s_wait_dscnt 0x0
	s_barrier_signal -1
	s_barrier_wait -1
	s_and_saveexec_b32 s51, s15
	s_cbranch_execz .LBB168_161
; %bb.160:                              ;   in Loop: Header=BB168_3 Depth=1
	ds_load_b64 v[36:37], v59 offset:4672
	ds_load_b64 v[38:39], v60
	s_wait_dscnt 0x0
	v_pk_mul_f32 v[40:41], v[38:39], v[36:37] op_sel:[1,1] op_sel_hi:[0,1]
	s_delay_alu instid0(VALU_DEP_1) | instskip(SKIP_1) | instid1(VALU_DEP_2)
	v_pk_fma_f32 v[98:99], v[38:39], v[36:37], v[40:41] op_sel_hi:[1,0,1]
	v_pk_fma_f32 v[36:37], v[38:39], v[36:37], v[40:41] op_sel_hi:[1,0,1] neg_lo:[0,0,1] neg_hi:[0,0,1]
	v_mov_b32_e32 v37, v99
	s_delay_alu instid0(VALU_DEP_1)
	v_pk_add_f32 v[34:35], v[34:35], v[36:37]
.LBB168_161:                            ;   in Loop: Header=BB168_3 Depth=1
	s_or_b32 exec_lo, exec_lo, s51
	s_barrier_signal -1
	s_barrier_wait -1
	s_and_saveexec_b32 s51, s39
	s_cbranch_execz .LBB168_163
; %bb.162:                              ;   in Loop: Header=BB168_3 Depth=1
	ds_load_b64 v[36:37], v5 offset:5200
	s_wait_dscnt 0x0
	v_pk_mul_f32 v[38:39], v[34:35], v[36:37] op_sel:[1,1] op_sel_hi:[1,0]
	s_delay_alu instid0(VALU_DEP_1) | instskip(SKIP_1) | instid1(VALU_DEP_2)
	v_pk_fma_f32 v[40:41], v[34:35], v[36:37], v[38:39] op_sel_hi:[0,1,1]
	v_pk_fma_f32 v[34:35], v[34:35], v[36:37], v[38:39] op_sel_hi:[0,1,1] neg_lo:[0,0,1] neg_hi:[0,0,1]
	v_mov_b32_e32 v35, v41
	ds_store_b64 v60, v[34:35]
.LBB168_163:                            ;   in Loop: Header=BB168_3 Depth=1
	s_or_b32 exec_lo, exec_lo, s51
	s_wait_dscnt 0x0
	s_barrier_signal -1
	s_barrier_wait -1
	s_and_saveexec_b32 s51, s40
	s_cbranch_execz .LBB168_165
; %bb.164:                              ;   in Loop: Header=BB168_3 Depth=1
	ds_load_b64 v[36:37], v59 offset:5184
	ds_load_b64 v[38:39], v60
	s_wait_dscnt 0x0
	v_pk_mul_f32 v[40:41], v[38:39], v[36:37] op_sel:[1,1] op_sel_hi:[0,1]
	s_delay_alu instid0(VALU_DEP_1) | instskip(SKIP_1) | instid1(VALU_DEP_2)
	v_pk_fma_f32 v[98:99], v[38:39], v[36:37], v[40:41] op_sel_hi:[1,0,1]
	v_pk_fma_f32 v[36:37], v[38:39], v[36:37], v[40:41] op_sel_hi:[1,0,1] neg_lo:[0,0,1] neg_hi:[0,0,1]
	v_mov_b32_e32 v37, v99
	s_delay_alu instid0(VALU_DEP_1)
	v_pk_add_f32 v[34:35], v[34:35], v[36:37]
.LBB168_165:                            ;   in Loop: Header=BB168_3 Depth=1
	s_or_b32 exec_lo, exec_lo, s51
	s_barrier_signal -1
	s_barrier_wait -1
	s_and_saveexec_b32 s51, s41
	;; [unrolled: 33-line block ×3, first 2 shown]
	s_cbranch_execz .LBB168_171
; %bb.170:                              ;   in Loop: Header=BB168_3 Depth=1
	ds_load_b64 v[36:37], v5 offset:6240
	s_wait_dscnt 0x0
	v_dual_mul_f32 v38, v34, v37 :: v_dual_mul_f32 v40, v35, v37
	s_delay_alu instid0(VALU_DEP_1) | instskip(NEXT) | instid1(VALU_DEP_2)
	v_pk_fma_f32 v[38:39], v[34:35], v[36:37], v[38:39] op_sel:[0,1,0] op_sel_hi:[1,0,0]
	v_pk_fma_f32 v[36:37], v[34:35], v[36:37], v[40:41] op_sel_hi:[1,1,0] neg_lo:[0,0,1] neg_hi:[0,0,1]
	s_delay_alu instid0(VALU_DEP_2) | instskip(NEXT) | instid1(VALU_DEP_1)
	v_mov_b32_e32 v37, v39
	v_mov_b64_e32 v[34:35], v[36:37]
	ds_store_b64 v60, v[36:37]
.LBB168_171:                            ;   in Loop: Header=BB168_3 Depth=1
	s_or_b32 exec_lo, exec_lo, s51
	s_wait_dscnt 0x0
	s_barrier_signal -1
	s_barrier_wait -1
	s_and_saveexec_b32 s51, s44
	s_cbranch_execz .LBB168_173
; %bb.172:                              ;   in Loop: Header=BB168_3 Depth=1
	ds_load_b64 v[36:37], v59 offset:6208
	ds_load_b64 v[38:39], v60
	s_wait_dscnt 0x0
	v_dual_mul_f32 v40, v39, v37 :: v_dual_mul_f32 v41, v38, v37
	s_delay_alu instid0(VALU_DEP_1) | instskip(NEXT) | instid1(VALU_DEP_1)
	v_dual_fma_f32 v40, v38, v36, -v40 :: v_dual_fmac_f32 v41, v39, v36
	v_pk_add_f32 v[34:35], v[34:35], v[40:41]
.LBB168_173:                            ;   in Loop: Header=BB168_3 Depth=1
	s_or_b32 exec_lo, exec_lo, s51
	s_barrier_signal -1
	s_barrier_wait -1
	s_and_saveexec_b32 s51, s45
	s_cbranch_execz .LBB168_175
; %bb.174:                              ;   in Loop: Header=BB168_3 Depth=1
	ds_load_b64 v[36:37], v5 offset:6760
	s_wait_dscnt 0x0
	v_pk_mul_f32 v[38:39], v[34:35], v[36:37] op_sel:[1,1] op_sel_hi:[1,0]
	s_delay_alu instid0(VALU_DEP_1) | instskip(SKIP_1) | instid1(VALU_DEP_2)
	v_pk_fma_f32 v[40:41], v[34:35], v[36:37], v[38:39] op_sel_hi:[0,1,1]
	v_pk_fma_f32 v[36:37], v[34:35], v[36:37], v[38:39] neg_lo:[0,0,1] neg_hi:[0,0,1]
	v_mov_b32_e32 v37, v41
	s_delay_alu instid0(VALU_DEP_1)
	v_mov_b64_e32 v[34:35], v[36:37]
	ds_store_b64 v60, v[36:37]
.LBB168_175:                            ;   in Loop: Header=BB168_3 Depth=1
	s_or_b32 exec_lo, exec_lo, s51
	s_wait_dscnt 0x0
	s_barrier_signal -1
	s_barrier_wait -1
	s_and_saveexec_b32 s51, s46
	s_cbranch_execz .LBB168_177
; %bb.176:                              ;   in Loop: Header=BB168_3 Depth=1
	ds_load_b64 v[36:37], v59 offset:6720
	ds_load_b64 v[38:39], v60
	s_wait_dscnt 0x0
	v_pk_mul_f32 v[40:41], v[38:39], v[36:37] op_sel:[1,1] op_sel_hi:[0,1]
	s_delay_alu instid0(VALU_DEP_1) | instskip(SKIP_1) | instid1(VALU_DEP_2)
	v_pk_fma_f32 v[98:99], v[38:39], v[36:37], v[40:41] op_sel_hi:[1,0,1]
	v_pk_fma_f32 v[36:37], v[38:39], v[36:37], v[40:41] neg_lo:[0,0,1] neg_hi:[0,0,1]
	v_mov_b32_e32 v37, v99
	s_delay_alu instid0(VALU_DEP_1)
	v_pk_add_f32 v[34:35], v[34:35], v[36:37]
.LBB168_177:                            ;   in Loop: Header=BB168_3 Depth=1
	s_or_b32 exec_lo, exec_lo, s51
	s_barrier_signal -1
	s_barrier_wait -1
	s_and_saveexec_b32 s51, s47
	s_cbranch_execz .LBB168_179
; %bb.178:                              ;   in Loop: Header=BB168_3 Depth=1
	ds_load_b64 v[36:37], v5 offset:7280
	s_wait_dscnt 0x0
	v_pk_mul_f32 v[38:39], v[34:35], v[36:37] op_sel:[1,1] op_sel_hi:[1,0]
	s_delay_alu instid0(VALU_DEP_1) | instskip(SKIP_1) | instid1(VALU_DEP_2)
	v_pk_fma_f32 v[40:41], v[34:35], v[36:37], v[38:39] op_sel_hi:[0,1,1]
	v_pk_fma_f32 v[36:37], v[34:35], v[36:37], v[38:39] neg_lo:[0,0,1] neg_hi:[0,0,1]
	v_mov_b32_e32 v37, v41
	s_delay_alu instid0(VALU_DEP_1)
	v_mov_b64_e32 v[34:35], v[36:37]
	ds_store_b64 v60, v[36:37]
.LBB168_179:                            ;   in Loop: Header=BB168_3 Depth=1
	s_or_b32 exec_lo, exec_lo, s51
	s_wait_dscnt 0x0
	s_barrier_signal -1
	s_barrier_wait -1
	s_and_saveexec_b32 s51, s48
	s_cbranch_execz .LBB168_181
; %bb.180:                              ;   in Loop: Header=BB168_3 Depth=1
	ds_load_b64 v[36:37], v5 offset:7288
	ds_load_b64 v[38:39], v60
	s_wait_dscnt 0x0
	v_pk_mul_f32 v[40:41], v[38:39], v[36:37] op_sel:[1,1] op_sel_hi:[0,1]
	s_delay_alu instid0(VALU_DEP_1) | instskip(SKIP_1) | instid1(VALU_DEP_2)
	v_pk_fma_f32 v[98:99], v[38:39], v[36:37], v[40:41] op_sel_hi:[1,0,1]
	v_pk_fma_f32 v[36:37], v[38:39], v[36:37], v[40:41] neg_lo:[0,0,1] neg_hi:[0,0,1]
	v_mov_b32_e32 v37, v99
	s_delay_alu instid0(VALU_DEP_1)
	v_pk_add_f32 v[34:35], v[34:35], v[36:37]
.LBB168_181:                            ;   in Loop: Header=BB168_3 Depth=1
	s_or_b32 exec_lo, exec_lo, s51
	s_barrier_signal -1
	s_barrier_wait -1
	s_and_saveexec_b32 s51, s48
	s_cbranch_execz .LBB168_183
; %bb.182:                              ;   in Loop: Header=BB168_3 Depth=1
	ds_load_b64 v[36:37], v5 offset:7800
	s_wait_dscnt 0x0
	v_pk_mul_f32 v[38:39], v[34:35], v[36:37] op_sel:[1,1] op_sel_hi:[1,0]
	s_delay_alu instid0(VALU_DEP_1) | instskip(SKIP_1) | instid1(VALU_DEP_2)
	v_pk_fma_f32 v[40:41], v[34:35], v[36:37], v[38:39] op_sel_hi:[0,1,1]
	v_pk_fma_f32 v[36:37], v[34:35], v[36:37], v[38:39] neg_lo:[0,0,1] neg_hi:[0,0,1]
	v_mov_b32_e32 v37, v41
	s_delay_alu instid0(VALU_DEP_1)
	v_mov_b64_e32 v[34:35], v[36:37]
	ds_store_b64 v60, v[36:37]
.LBB168_183:                            ;   in Loop: Header=BB168_3 Depth=1
	s_or_b32 exec_lo, exec_lo, s51
	s_wait_dscnt 0x0
	s_barrier_signal -1
	s_barrier_wait -1
	s_barrier_signal -1
	s_barrier_wait -1
	s_and_saveexec_b32 s51, s6
; %bb.184:                              ;   in Loop: Header=BB168_3 Depth=1
	v_pk_add_f32 v[34:35], v[34:35], 0 neg_lo:[1,1] neg_hi:[1,1]
	ds_store_b64 v61, v[34:35] offset:64
; %bb.185:                              ;   in Loop: Header=BB168_3 Depth=1
	s_or_b32 exec_lo, exec_lo, s51
	s_wait_dscnt 0x0
	s_barrier_signal -1
	s_barrier_wait -1
	s_barrier_signal -1
	s_barrier_wait -1
	s_and_saveexec_b32 s51, s49
	s_cbranch_execz .LBB168_187
; %bb.186:                              ;   in Loop: Header=BB168_3 Depth=1
	ds_load_b64 v[34:35], v72 offset:64
	s_wait_dscnt 0x0
	ds_store_b64 v73, v[34:35] offset:4096
	ds_load_b64 v[34:35], v72 offset:72
	s_wait_dscnt 0x0
	ds_store_b64 v73, v[34:35] offset:4608
	;; [unrolled: 3-line block ×8, first 2 shown]
.LBB168_187:                            ;   in Loop: Header=BB168_3 Depth=1
	s_or_b32 exec_lo, exec_lo, s51
	s_wait_dscnt 0x0
	s_barrier_signal -1
	s_barrier_wait -1
	s_and_saveexec_b32 s51, s14
	s_cbranch_execz .LBB168_189
; %bb.188:                              ;   in Loop: Header=BB168_3 Depth=1
	ds_load_b128 v[34:37], v5 offset:4160
	ds_load_b64 v[38:39], v5 offset:4680
	s_wait_dscnt 0x1
	v_dual_mov_b32 v98, v37 :: v_dual_mov_b32 v99, v36
	s_wait_dscnt 0x0
	v_dual_mul_f32 v41, v39, v35 :: v_dual_mul_f32 v40, v38, v35
	s_delay_alu instid0(VALU_DEP_1) | instskip(NEXT) | instid1(VALU_DEP_1)
	v_xor_b32_e32 v42, 0x80000000, v41
	v_dual_fmac_f32 v40, v39, v34 :: v_dual_fmac_f32 v42, v38, v34
	s_delay_alu instid0(VALU_DEP_1) | instskip(NEXT) | instid1(VALU_DEP_1)
	v_pk_mul_f32 v[34:35], v[40:41], v[98:99] op_sel_hi:[0,1]
	v_pk_fma_f32 v[38:39], v[42:43], v[36:37], v[34:35] op_sel_hi:[0,1,1]
	v_pk_fma_f32 v[34:35], v[42:43], v[36:37], v[34:35] neg_lo:[0,0,1] neg_hi:[0,0,1]
	v_add_nc_u32_e64 v36, 0x1000, 0
	s_delay_alu instid0(VALU_DEP_3)
	v_mov_b32_e32 v35, v39
	ds_store_2addr_b64 v36, v[34:35], v[34:35] offset0:9 offset1:72
.LBB168_189:                            ;   in Loop: Header=BB168_3 Depth=1
	s_or_b32 exec_lo, exec_lo, s51
	v_mov_b32_e32 v35, 0
	s_wait_dscnt 0x0
	s_barrier_signal -1
	s_barrier_wait -1
	s_delay_alu instid0(VALU_DEP_1)
	v_mov_b32_e32 v34, v35
	s_and_saveexec_b32 s51, s3
	s_cbranch_execz .LBB168_193
; %bb.190:                              ;   in Loop: Header=BB168_3 Depth=1
	ds_load_b64 v[34:35], v44 offset:4176
	ds_load_b64 v[36:37], v45 offset:4160
	s_wait_dscnt 0x0
	v_dual_mul_f32 v38, v37, v35 :: v_dual_mul_f32 v39, v36, v35
	s_delay_alu instid0(VALU_DEP_1) | instskip(NEXT) | instid1(VALU_DEP_1)
	v_dual_fma_f32 v38, v36, v34, -v38 :: v_dual_fmac_f32 v39, v37, v34
	v_pk_add_f32 v[34:35], v[38:39], 0 op_sel_hi:[1,0]
	s_and_saveexec_b32 s52, s16
	s_cbranch_execz .LBB168_192
; %bb.191:                              ;   in Loop: Header=BB168_3 Depth=1
	ds_load_b64 v[36:37], v73 offset:4688
	ds_load_b64 v[38:39], v5 offset:4168
	s_wait_dscnt 0x0
	v_pk_mul_f32 v[40:41], v[38:39], v[36:37] op_sel:[1,1] op_sel_hi:[0,1]
	s_delay_alu instid0(VALU_DEP_1) | instskip(SKIP_1) | instid1(VALU_DEP_2)
	v_pk_fma_f32 v[98:99], v[38:39], v[36:37], v[40:41] op_sel_hi:[1,0,1]
	v_pk_fma_f32 v[36:37], v[38:39], v[36:37], v[40:41] neg_lo:[0,0,1] neg_hi:[0,0,1]
	v_mov_b32_e32 v37, v99
	s_delay_alu instid0(VALU_DEP_1)
	v_pk_add_f32 v[34:35], v[34:35], v[36:37]
.LBB168_192:                            ;   in Loop: Header=BB168_3 Depth=1
	s_or_b32 exec_lo, exec_lo, s52
	s_delay_alu instid0(VALU_DEP_1)
	v_pk_add_f32 v[34:35], v[34:35], 0 neg_lo:[1,1] neg_hi:[1,1]
.LBB168_193:                            ;   in Loop: Header=BB168_3 Depth=1
	s_or_b32 exec_lo, exec_lo, s51
	s_and_saveexec_b32 s51, s93
	s_cbranch_execz .LBB168_195
; %bb.194:                              ;   in Loop: Header=BB168_3 Depth=1
	ds_load_b64 v[36:37], v5 offset:5200
	s_wait_dscnt 0x0
	v_pk_mul_f32 v[38:39], v[34:35], v[36:37] op_sel:[1,1] op_sel_hi:[1,0]
	s_delay_alu instid0(VALU_DEP_1) | instskip(SKIP_1) | instid1(VALU_DEP_2)
	v_pk_fma_f32 v[40:41], v[34:35], v[36:37], v[38:39] op_sel_hi:[0,1,1]
	v_pk_fma_f32 v[36:37], v[34:35], v[36:37], v[38:39] neg_lo:[0,0,1] neg_hi:[0,0,1]
	v_mov_b32_e32 v37, v41
	s_delay_alu instid0(VALU_DEP_1)
	v_mov_b64_e32 v[34:35], v[36:37]
	ds_store_b64 v3, v[36:37]
.LBB168_195:                            ;   in Loop: Header=BB168_3 Depth=1
	s_or_b32 exec_lo, exec_lo, s51
	s_wait_dscnt 0x0
	s_barrier_signal -1
	s_barrier_wait -1
	s_and_saveexec_b32 s51, s94
	s_cbranch_execz .LBB168_197
; %bb.196:                              ;   in Loop: Header=BB168_3 Depth=1
	ds_load_b64 v[36:37], v5 offset:5208
	ds_load_b64 v[38:39], v3
	s_wait_dscnt 0x0
	v_pk_mul_f32 v[40:41], v[38:39], v[36:37] op_sel:[1,1] op_sel_hi:[0,1]
	s_delay_alu instid0(VALU_DEP_1) | instskip(SKIP_1) | instid1(VALU_DEP_2)
	v_pk_fma_f32 v[98:99], v[38:39], v[36:37], v[40:41] op_sel_hi:[1,0,1]
	v_pk_fma_f32 v[36:37], v[38:39], v[36:37], v[40:41] neg_lo:[0,0,1] neg_hi:[0,0,1]
	v_mov_b32_e32 v37, v99
	s_delay_alu instid0(VALU_DEP_1)
	v_pk_add_f32 v[34:35], v[34:35], v[36:37]
.LBB168_197:                            ;   in Loop: Header=BB168_3 Depth=1
	s_or_b32 exec_lo, exec_lo, s51
	s_barrier_signal -1
	s_barrier_wait -1
	s_and_saveexec_b32 s51, s94
	s_cbranch_execz .LBB168_199
; %bb.198:                              ;   in Loop: Header=BB168_3 Depth=1
	ds_load_b64 v[36:37], v5 offset:5720
	s_wait_dscnt 0x0
	v_pk_mul_f32 v[38:39], v[34:35], v[36:37] op_sel:[1,1] op_sel_hi:[1,0]
	s_delay_alu instid0(VALU_DEP_1) | instskip(SKIP_1) | instid1(VALU_DEP_2)
	v_pk_fma_f32 v[40:41], v[34:35], v[36:37], v[38:39] op_sel_hi:[0,1,1]
	v_pk_fma_f32 v[36:37], v[34:35], v[36:37], v[38:39] neg_lo:[0,0,1] neg_hi:[0,0,1]
	v_mov_b32_e32 v37, v41
	s_delay_alu instid0(VALU_DEP_1)
	v_mov_b64_e32 v[34:35], v[36:37]
	ds_store_b64 v3, v[36:37]
.LBB168_199:                            ;   in Loop: Header=BB168_3 Depth=1
	s_or_b32 exec_lo, exec_lo, s51
	s_wait_dscnt 0x0
	s_barrier_signal -1
	s_barrier_wait -1
	s_barrier_signal -1
	s_barrier_wait -1
	s_and_saveexec_b32 s51, s3
; %bb.200:                              ;   in Loop: Header=BB168_3 Depth=1
	v_pk_add_f32 v[34:35], v[34:35], 0 neg_lo:[1,1] neg_hi:[1,1]
	ds_store_b64 v44, v[34:35] offset:4176
; %bb.201:                              ;   in Loop: Header=BB168_3 Depth=1
	s_or_b32 exec_lo, exec_lo, s51
	s_wait_dscnt 0x0
	s_barrier_signal -1
	s_barrier_wait -1
	s_barrier_signal -1
	s_barrier_wait -1
	s_and_saveexec_b32 s51, s95
	s_cbranch_execz .LBB168_203
; %bb.202:                              ;   in Loop: Header=BB168_3 Depth=1
	ds_load_b64 v[34:35], v74 offset:4176
	s_wait_dscnt 0x0
	ds_store_b64 v73, v[34:35] offset:5184
	ds_load_b64 v[34:35], v74 offset:4184
	s_wait_dscnt 0x0
	ds_store_b64 v73, v[34:35] offset:5696
.LBB168_203:                            ;   in Loop: Header=BB168_3 Depth=1
	s_or_b32 exec_lo, exec_lo, s51
	s_wait_dscnt 0x0
	s_barrier_signal -1
	s_barrier_wait -1
	s_and_saveexec_b32 s51, s14
	s_cbranch_execz .LBB168_205
; %bb.204:                              ;   in Loop: Header=BB168_3 Depth=1
	ds_load_b128 v[34:37], v5 offset:5200
	ds_load_b64 v[38:39], v5 offset:5720
	s_wait_dscnt 0x1
	v_dual_mov_b32 v98, v37 :: v_dual_mov_b32 v99, v36
	s_wait_dscnt 0x0
	v_dual_mul_f32 v41, v39, v35 :: v_dual_mul_f32 v40, v38, v35
	s_delay_alu instid0(VALU_DEP_1) | instskip(NEXT) | instid1(VALU_DEP_1)
	v_xor_b32_e32 v42, 0x80000000, v41
	v_dual_fmac_f32 v40, v39, v34 :: v_dual_fmac_f32 v42, v38, v34
	s_delay_alu instid0(VALU_DEP_1) | instskip(NEXT) | instid1(VALU_DEP_1)
	v_pk_mul_f32 v[34:35], v[40:41], v[98:99] op_sel_hi:[0,1]
	v_pk_fma_f32 v[38:39], v[42:43], v[36:37], v[34:35] op_sel_hi:[0,1,1]
	v_pk_fma_f32 v[34:35], v[42:43], v[36:37], v[34:35] neg_lo:[0,0,1] neg_hi:[0,0,1]
	v_add_nc_u32_e64 v36, 0x1000, 0
	s_delay_alu instid0(VALU_DEP_3)
	v_mov_b32_e32 v35, v39
	ds_store_2addr_b64 v36, v[34:35], v[34:35] offset0:139 offset1:202
.LBB168_205:                            ;   in Loop: Header=BB168_3 Depth=1
	s_or_b32 exec_lo, exec_lo, s51
	v_mov_b32_e32 v34, 0
	s_wait_dscnt 0x0
	s_barrier_signal -1
	s_barrier_wait -1
	s_delay_alu instid0(VALU_DEP_1)
	v_mov_b32_e32 v35, v34
	s_and_saveexec_b32 s51, s5
	s_cbranch_execz .LBB168_211
; %bb.206:                              ;   in Loop: Header=BB168_3 Depth=1
	ds_load_b64 v[34:35], v51 offset:4192
	ds_load_b64 v[36:37], v47 offset:4160
	s_wait_dscnt 0x0
	v_pk_mul_f32 v[38:39], v[36:37], v[34:35] op_sel:[0,1]
	s_delay_alu instid0(VALU_DEP_1) | instskip(SKIP_1) | instid1(VALU_DEP_2)
	v_pk_fma_f32 v[40:41], v[36:37], v[34:35], v[38:39] op_sel:[1,0,0] op_sel_hi:[0,0,1] neg_lo:[0,0,1] neg_hi:[0,0,1]
	v_pk_fma_f32 v[34:35], v[36:37], v[34:35], v[38:39] op_sel:[1,0,0] op_sel_hi:[0,1,1]
	v_mov_b32_e32 v35, v41
	s_delay_alu instid0(VALU_DEP_1)
	v_pk_add_f32 v[34:35], v[34:35], 0 op_sel_hi:[1,0]
	s_and_saveexec_b32 s52, s17
	s_cbranch_execnz .LBB168_1132
; %bb.207:                              ;   in Loop: Header=BB168_3 Depth=1
	s_or_b32 exec_lo, exec_lo, s52
	s_and_saveexec_b32 s52, s18
	s_cbranch_execnz .LBB168_1133
.LBB168_208:                            ;   in Loop: Header=BB168_3 Depth=1
	s_or_b32 exec_lo, exec_lo, s52
	s_and_saveexec_b32 s52, s3
	s_cbranch_execz .LBB168_210
.LBB168_209:                            ;   in Loop: Header=BB168_3 Depth=1
	ds_load_b64 v[36:37], v76 offset:5728
	ds_load_b64 v[38:39], v5 offset:4184
	s_wait_dscnt 0x0
	v_pk_mul_f32 v[40:41], v[38:39], v[36:37] op_sel:[0,1]
	s_delay_alu instid0(VALU_DEP_1) | instskip(SKIP_1) | instid1(VALU_DEP_2)
	v_pk_fma_f32 v[98:99], v[38:39], v[36:37], v[40:41] op_sel:[1,0,0] op_sel_hi:[0,0,1] neg_lo:[0,0,1] neg_hi:[0,0,1]
	v_pk_fma_f32 v[36:37], v[38:39], v[36:37], v[40:41] op_sel:[1,0,0] op_sel_hi:[0,1,1]
	v_mov_b32_e32 v37, v99
	s_delay_alu instid0(VALU_DEP_1)
	v_pk_add_f32 v[34:35], v[34:35], v[36:37]
.LBB168_210:                            ;   in Loop: Header=BB168_3 Depth=1
	s_or_b32 exec_lo, exec_lo, s52
	s_delay_alu instid0(VALU_DEP_1) | instskip(NEXT) | instid1(VALU_DEP_1)
	v_pk_add_f32 v[36:37], v[34:35], 0 neg_lo:[1,1] neg_hi:[1,1]
	v_dual_mov_b32 v34, v37 :: v_dual_mov_b32 v35, v36
.LBB168_211:                            ;   in Loop: Header=BB168_3 Depth=1
	s_or_b32 exec_lo, exec_lo, s51
	s_and_saveexec_b32 s51, s96
	s_cbranch_execz .LBB168_213
; %bb.212:                              ;   in Loop: Header=BB168_3 Depth=1
	ds_load_b64 v[36:37], v5 offset:6240
	v_dual_mov_b32 v38, v35 :: v_dual_mov_b32 v39, v34
	s_wait_dscnt 0x0
	s_delay_alu instid0(VALU_DEP_1) | instskip(NEXT) | instid1(VALU_DEP_1)
	v_dual_mul_f32 v40, v38, v36 :: v_dual_mul_f32 v42, v35, v37
	v_pk_fma_f32 v[38:39], v[38:39], v[36:37], v[40:41] op_sel_hi:[1,1,0]
	s_delay_alu instid0(VALU_DEP_2) | instskip(NEXT) | instid1(VALU_DEP_2)
	v_pk_fma_f32 v[34:35], v[34:35], v[36:37], v[42:43] op_sel_hi:[1,1,0] neg_lo:[0,0,1] neg_hi:[0,0,1]
	v_mov_b32_e32 v35, v39
	ds_store_b64 v50, v[34:35]
.LBB168_213:                            ;   in Loop: Header=BB168_3 Depth=1
	s_or_b32 exec_lo, exec_lo, s51
	s_wait_dscnt 0x0
	s_barrier_signal -1
	s_barrier_wait -1
	s_and_saveexec_b32 s51, s97
	s_cbranch_execz .LBB168_215
; %bb.214:                              ;   in Loop: Header=BB168_3 Depth=1
	ds_load_b64 v[36:37], v48 offset:6240
	ds_load_b64 v[38:39], v50
	s_wait_dscnt 0x0
	v_dual_mul_f32 v40, v39, v37 :: v_dual_mul_f32 v41, v38, v37
	s_delay_alu instid0(VALU_DEP_1) | instskip(NEXT) | instid1(VALU_DEP_1)
	v_dual_fma_f32 v40, v38, v36, -v40 :: v_dual_fmac_f32 v41, v39, v36
	v_pk_add_f32 v[34:35], v[34:35], v[40:41]
.LBB168_215:                            ;   in Loop: Header=BB168_3 Depth=1
	s_or_b32 exec_lo, exec_lo, s51
	s_barrier_signal -1
	s_barrier_wait -1
	s_and_saveexec_b32 s51, s98
	s_cbranch_execz .LBB168_217
; %bb.216:                              ;   in Loop: Header=BB168_3 Depth=1
	ds_load_b64 v[36:37], v5 offset:6760
	s_wait_dscnt 0x0
	v_pk_mul_f32 v[38:39], v[34:35], v[36:37] op_sel:[1,1] op_sel_hi:[1,0]
	s_delay_alu instid0(VALU_DEP_1) | instskip(SKIP_1) | instid1(VALU_DEP_2)
	v_pk_fma_f32 v[40:41], v[34:35], v[36:37], v[38:39] op_sel_hi:[0,1,1]
	v_pk_fma_f32 v[36:37], v[34:35], v[36:37], v[38:39] neg_lo:[0,0,1] neg_hi:[0,0,1]
	v_mov_b32_e32 v37, v41
	s_delay_alu instid0(VALU_DEP_1)
	v_mov_b64_e32 v[34:35], v[36:37]
	ds_store_b64 v50, v[36:37]
.LBB168_217:                            ;   in Loop: Header=BB168_3 Depth=1
	s_or_b32 exec_lo, exec_lo, s51
	s_wait_dscnt 0x0
	s_barrier_signal -1
	s_barrier_wait -1
	s_and_saveexec_b32 s51, s99
	s_cbranch_execz .LBB168_219
; %bb.218:                              ;   in Loop: Header=BB168_3 Depth=1
	ds_load_b64 v[36:37], v48 offset:6752
	ds_load_b64 v[38:39], v50
	s_wait_dscnt 0x0
	v_pk_mul_f32 v[40:41], v[38:39], v[36:37] op_sel:[1,1] op_sel_hi:[0,1]
	s_delay_alu instid0(VALU_DEP_1) | instskip(SKIP_1) | instid1(VALU_DEP_2)
	v_pk_fma_f32 v[98:99], v[38:39], v[36:37], v[40:41] op_sel_hi:[1,0,1]
	v_pk_fma_f32 v[36:37], v[38:39], v[36:37], v[40:41] neg_lo:[0,0,1] neg_hi:[0,0,1]
	v_mov_b32_e32 v37, v99
	s_delay_alu instid0(VALU_DEP_1)
	v_pk_add_f32 v[34:35], v[34:35], v[36:37]
.LBB168_219:                            ;   in Loop: Header=BB168_3 Depth=1
	s_or_b32 exec_lo, exec_lo, s51
	s_barrier_signal -1
	s_barrier_wait -1
	s_and_saveexec_b32 s51, s100
	s_cbranch_execz .LBB168_221
; %bb.220:                              ;   in Loop: Header=BB168_3 Depth=1
	ds_load_b64 v[36:37], v5 offset:7280
	s_wait_dscnt 0x0
	v_pk_mul_f32 v[38:39], v[34:35], v[36:37] op_sel:[1,1] op_sel_hi:[1,0]
	s_delay_alu instid0(VALU_DEP_1) | instskip(SKIP_1) | instid1(VALU_DEP_2)
	v_pk_fma_f32 v[40:41], v[34:35], v[36:37], v[38:39] op_sel_hi:[0,1,1]
	v_pk_fma_f32 v[36:37], v[34:35], v[36:37], v[38:39] neg_lo:[0,0,1] neg_hi:[0,0,1]
	v_mov_b32_e32 v37, v41
	s_delay_alu instid0(VALU_DEP_1)
	v_mov_b64_e32 v[34:35], v[36:37]
	ds_store_b64 v50, v[36:37]
.LBB168_221:                            ;   in Loop: Header=BB168_3 Depth=1
	s_or_b32 exec_lo, exec_lo, s51
	s_wait_dscnt 0x0
	s_barrier_signal -1
	s_barrier_wait -1
	s_and_saveexec_b32 s51, s101
	s_cbranch_execz .LBB168_223
; %bb.222:                              ;   in Loop: Header=BB168_3 Depth=1
	ds_load_b64 v[36:37], v5 offset:7288
	ds_load_b64 v[38:39], v50
	s_wait_dscnt 0x0
	v_pk_mul_f32 v[40:41], v[38:39], v[36:37] op_sel:[1,1] op_sel_hi:[0,1]
	s_delay_alu instid0(VALU_DEP_1) | instskip(SKIP_1) | instid1(VALU_DEP_2)
	v_pk_fma_f32 v[98:99], v[38:39], v[36:37], v[40:41] op_sel_hi:[1,0,1]
	v_pk_fma_f32 v[36:37], v[38:39], v[36:37], v[40:41] neg_lo:[0,0,1] neg_hi:[0,0,1]
	v_mov_b32_e32 v37, v99
	s_delay_alu instid0(VALU_DEP_1)
	v_pk_add_f32 v[34:35], v[34:35], v[36:37]
.LBB168_223:                            ;   in Loop: Header=BB168_3 Depth=1
	s_or_b32 exec_lo, exec_lo, s51
	s_barrier_signal -1
	s_barrier_wait -1
	s_and_saveexec_b32 s51, s101
	s_cbranch_execz .LBB168_225
; %bb.224:                              ;   in Loop: Header=BB168_3 Depth=1
	ds_load_b64 v[36:37], v5 offset:7800
	s_wait_dscnt 0x0
	v_pk_mul_f32 v[38:39], v[34:35], v[36:37] op_sel:[1,1] op_sel_hi:[1,0]
	s_delay_alu instid0(VALU_DEP_1) | instskip(SKIP_1) | instid1(VALU_DEP_2)
	v_pk_fma_f32 v[40:41], v[34:35], v[36:37], v[38:39] op_sel_hi:[0,1,1]
	v_pk_fma_f32 v[36:37], v[34:35], v[36:37], v[38:39] neg_lo:[0,0,1] neg_hi:[0,0,1]
	v_mov_b32_e32 v37, v41
	s_delay_alu instid0(VALU_DEP_1)
	v_mov_b64_e32 v[34:35], v[36:37]
	ds_store_b64 v50, v[36:37]
.LBB168_225:                            ;   in Loop: Header=BB168_3 Depth=1
	s_or_b32 exec_lo, exec_lo, s51
	s_wait_dscnt 0x0
	s_barrier_signal -1
	s_barrier_wait -1
	s_barrier_signal -1
	s_barrier_wait -1
	s_and_saveexec_b32 s51, s5
; %bb.226:                              ;   in Loop: Header=BB168_3 Depth=1
	v_pk_add_f32 v[34:35], v[34:35], 0 neg_lo:[1,1] neg_hi:[1,1]
	ds_store_b64 v51, v[34:35] offset:4192
; %bb.227:                              ;   in Loop: Header=BB168_3 Depth=1
	s_or_b32 exec_lo, exec_lo, s51
	s_wait_dscnt 0x0
	s_barrier_signal -1
	s_barrier_wait -1
	s_barrier_signal -1
	s_barrier_wait -1
	s_and_saveexec_b32 s51, s102
	s_cbranch_execz .LBB168_229
; %bb.228:                              ;   in Loop: Header=BB168_3 Depth=1
	ds_load_b64 v[34:35], v77 offset:4192
	s_wait_dscnt 0x0
	ds_store_b64 v80, v[34:35] offset:6208
	ds_load_b64 v[34:35], v77 offset:4200
	s_wait_dscnt 0x0
	ds_store_b64 v80, v[34:35] offset:6720
	;; [unrolled: 3-line block ×4, first 2 shown]
.LBB168_229:                            ;   in Loop: Header=BB168_3 Depth=1
	s_or_b32 exec_lo, exec_lo, s51
	s_wait_dscnt 0x0
	s_barrier_signal -1
	s_barrier_wait -1
	s_and_saveexec_b32 s51, s14
	s_cbranch_execz .LBB168_231
; %bb.230:                              ;   in Loop: Header=BB168_3 Depth=1
	ds_load_b128 v[34:37], v5 offset:6240
	ds_load_b64 v[38:39], v5 offset:6760
	s_wait_dscnt 0x1
	v_dual_mov_b32 v98, v37 :: v_dual_mov_b32 v99, v36
	s_wait_dscnt 0x0
	v_dual_mul_f32 v41, v39, v35 :: v_dual_mul_f32 v40, v38, v35
	s_delay_alu instid0(VALU_DEP_1) | instskip(NEXT) | instid1(VALU_DEP_1)
	v_xor_b32_e32 v42, 0x80000000, v41
	v_dual_fmac_f32 v40, v39, v34 :: v_dual_fmac_f32 v42, v38, v34
	s_delay_alu instid0(VALU_DEP_1) | instskip(NEXT) | instid1(VALU_DEP_1)
	v_pk_mul_f32 v[34:35], v[40:41], v[98:99] op_sel_hi:[0,1]
	v_pk_fma_f32 v[38:39], v[42:43], v[36:37], v[34:35] op_sel_hi:[0,1,1]
	v_pk_fma_f32 v[34:35], v[42:43], v[36:37], v[34:35] neg_lo:[0,0,1] neg_hi:[0,0,1]
	v_add_nc_u32_e64 v36, 0x1800, 0
	s_delay_alu instid0(VALU_DEP_3)
	v_mov_b32_e32 v35, v39
	ds_store_2addr_b64 v36, v[34:35], v[34:35] offset0:13 offset1:76
.LBB168_231:                            ;   in Loop: Header=BB168_3 Depth=1
	s_or_b32 exec_lo, exec_lo, s51
	v_mov_b32_e32 v35, 0
	s_wait_dscnt 0x0
	s_barrier_signal -1
	s_barrier_wait -1
	s_delay_alu instid0(VALU_DEP_1)
	v_mov_b32_e32 v34, v35
	s_and_saveexec_b32 s51, s3
	s_cbranch_execz .LBB168_235
; %bb.232:                              ;   in Loop: Header=BB168_3 Depth=1
	ds_load_b64 v[34:35], v44 offset:6256
	ds_load_b64 v[36:37], v45 offset:6240
	s_wait_dscnt 0x0
	v_dual_mul_f32 v38, v37, v35 :: v_dual_mul_f32 v39, v36, v35
	s_delay_alu instid0(VALU_DEP_1) | instskip(NEXT) | instid1(VALU_DEP_1)
	v_dual_fma_f32 v38, v36, v34, -v38 :: v_dual_fmac_f32 v39, v37, v34
	v_pk_add_f32 v[34:35], v[38:39], 0 op_sel_hi:[1,0]
	s_and_saveexec_b32 s52, s16
	s_cbranch_execz .LBB168_234
; %bb.233:                              ;   in Loop: Header=BB168_3 Depth=1
	ds_load_b64 v[36:37], v80 offset:6768
	ds_load_b64 v[38:39], v5 offset:6248
	s_wait_dscnt 0x0
	v_pk_mul_f32 v[40:41], v[38:39], v[36:37] op_sel:[1,1] op_sel_hi:[0,1]
	s_delay_alu instid0(VALU_DEP_1) | instskip(SKIP_1) | instid1(VALU_DEP_2)
	v_pk_fma_f32 v[98:99], v[38:39], v[36:37], v[40:41] op_sel_hi:[1,0,1]
	v_pk_fma_f32 v[36:37], v[38:39], v[36:37], v[40:41] neg_lo:[0,0,1] neg_hi:[0,0,1]
	v_mov_b32_e32 v37, v99
	s_delay_alu instid0(VALU_DEP_1)
	v_pk_add_f32 v[34:35], v[34:35], v[36:37]
.LBB168_234:                            ;   in Loop: Header=BB168_3 Depth=1
	s_or_b32 exec_lo, exec_lo, s52
	s_delay_alu instid0(VALU_DEP_1)
	v_pk_add_f32 v[34:35], v[34:35], 0 neg_lo:[1,1] neg_hi:[1,1]
.LBB168_235:                            ;   in Loop: Header=BB168_3 Depth=1
	s_or_b32 exec_lo, exec_lo, s51
	s_and_saveexec_b32 s51, s93
	s_cbranch_execz .LBB168_237
; %bb.236:                              ;   in Loop: Header=BB168_3 Depth=1
	ds_load_b64 v[36:37], v5 offset:7280
	s_wait_dscnt 0x0
	v_pk_mul_f32 v[38:39], v[34:35], v[36:37] op_sel:[1,1] op_sel_hi:[1,0]
	s_delay_alu instid0(VALU_DEP_1) | instskip(SKIP_1) | instid1(VALU_DEP_2)
	v_pk_fma_f32 v[40:41], v[34:35], v[36:37], v[38:39] op_sel_hi:[0,1,1]
	v_pk_fma_f32 v[36:37], v[34:35], v[36:37], v[38:39] neg_lo:[0,0,1] neg_hi:[0,0,1]
	v_mov_b32_e32 v37, v41
	s_delay_alu instid0(VALU_DEP_1)
	v_mov_b64_e32 v[34:35], v[36:37]
	ds_store_b64 v3, v[36:37]
.LBB168_237:                            ;   in Loop: Header=BB168_3 Depth=1
	s_or_b32 exec_lo, exec_lo, s51
	s_wait_dscnt 0x0
	s_barrier_signal -1
	s_barrier_wait -1
	s_and_saveexec_b32 s51, s94
	s_cbranch_execz .LBB168_239
; %bb.238:                              ;   in Loop: Header=BB168_3 Depth=1
	ds_load_b64 v[36:37], v5 offset:7288
	ds_load_b64 v[38:39], v3
	s_wait_dscnt 0x0
	v_pk_mul_f32 v[40:41], v[38:39], v[36:37] op_sel:[1,1] op_sel_hi:[0,1]
	s_delay_alu instid0(VALU_DEP_1) | instskip(SKIP_1) | instid1(VALU_DEP_2)
	v_pk_fma_f32 v[98:99], v[38:39], v[36:37], v[40:41] op_sel_hi:[1,0,1]
	v_pk_fma_f32 v[36:37], v[38:39], v[36:37], v[40:41] neg_lo:[0,0,1] neg_hi:[0,0,1]
	v_mov_b32_e32 v37, v99
	s_delay_alu instid0(VALU_DEP_1)
	v_pk_add_f32 v[34:35], v[34:35], v[36:37]
.LBB168_239:                            ;   in Loop: Header=BB168_3 Depth=1
	s_or_b32 exec_lo, exec_lo, s51
	s_barrier_signal -1
	s_barrier_wait -1
	s_and_saveexec_b32 s51, s94
	s_cbranch_execz .LBB168_241
; %bb.240:                              ;   in Loop: Header=BB168_3 Depth=1
	ds_load_b64 v[36:37], v5 offset:7800
	s_wait_dscnt 0x0
	v_pk_mul_f32 v[38:39], v[34:35], v[36:37] op_sel:[1,1] op_sel_hi:[1,0]
	s_delay_alu instid0(VALU_DEP_1) | instskip(SKIP_1) | instid1(VALU_DEP_2)
	v_pk_fma_f32 v[40:41], v[34:35], v[36:37], v[38:39] op_sel_hi:[0,1,1]
	v_pk_fma_f32 v[36:37], v[34:35], v[36:37], v[38:39] neg_lo:[0,0,1] neg_hi:[0,0,1]
	v_mov_b32_e32 v37, v41
	s_delay_alu instid0(VALU_DEP_1)
	v_mov_b64_e32 v[34:35], v[36:37]
	ds_store_b64 v3, v[36:37]
.LBB168_241:                            ;   in Loop: Header=BB168_3 Depth=1
	s_or_b32 exec_lo, exec_lo, s51
	s_wait_dscnt 0x0
	s_barrier_signal -1
	s_barrier_wait -1
	s_barrier_signal -1
	s_barrier_wait -1
	s_and_saveexec_b32 s51, s3
; %bb.242:                              ;   in Loop: Header=BB168_3 Depth=1
	v_pk_add_f32 v[34:35], v[34:35], 0 neg_lo:[1,1] neg_hi:[1,1]
	ds_store_b64 v44, v[34:35] offset:6256
; %bb.243:                              ;   in Loop: Header=BB168_3 Depth=1
	s_or_b32 exec_lo, exec_lo, s51
	s_wait_dscnt 0x0
	s_barrier_signal -1
	s_barrier_wait -1
	s_barrier_signal -1
	s_barrier_wait -1
	s_and_saveexec_b32 s51, s95
	s_cbranch_execz .LBB168_245
; %bb.244:                              ;   in Loop: Header=BB168_3 Depth=1
	ds_load_b64 v[34:35], v82 offset:6256
	s_wait_dscnt 0x0
	ds_store_b64 v80, v[34:35] offset:7264
	ds_load_b64 v[34:35], v82 offset:6264
	s_wait_dscnt 0x0
	ds_store_b64 v80, v[34:35] offset:7776
.LBB168_245:                            ;   in Loop: Header=BB168_3 Depth=1
	s_or_b32 exec_lo, exec_lo, s51
	s_wait_dscnt 0x0
	s_barrier_signal -1
	s_barrier_wait -1
	s_and_saveexec_b32 s51, s14
	s_cbranch_execz .LBB168_247
; %bb.246:                              ;   in Loop: Header=BB168_3 Depth=1
	ds_load_b128 v[34:37], v5 offset:7280
	ds_load_b64 v[38:39], v5 offset:7800
	s_wait_dscnt 0x1
	v_dual_mov_b32 v98, v37 :: v_dual_mov_b32 v99, v36
	s_wait_dscnt 0x0
	v_dual_mul_f32 v41, v39, v35 :: v_dual_mul_f32 v40, v38, v35
	s_delay_alu instid0(VALU_DEP_1) | instskip(NEXT) | instid1(VALU_DEP_1)
	v_xor_b32_e32 v42, 0x80000000, v41
	v_dual_fmac_f32 v40, v39, v34 :: v_dual_fmac_f32 v42, v38, v34
	s_delay_alu instid0(VALU_DEP_1) | instskip(NEXT) | instid1(VALU_DEP_1)
	v_pk_mul_f32 v[34:35], v[40:41], v[98:99] op_sel_hi:[0,1]
	v_pk_fma_f32 v[38:39], v[42:43], v[36:37], v[34:35] op_sel_hi:[0,1,1]
	v_pk_fma_f32 v[34:35], v[42:43], v[36:37], v[34:35] neg_lo:[0,0,1] neg_hi:[0,0,1]
	v_add_nc_u32_e64 v36, 0x1800, 0
	s_delay_alu instid0(VALU_DEP_3)
	v_mov_b32_e32 v35, v39
	ds_store_2addr_b64 v36, v[34:35], v[34:35] offset0:143 offset1:206
.LBB168_247:                            ;   in Loop: Header=BB168_3 Depth=1
	s_or_b32 exec_lo, exec_lo, s51
	v_mov_b32_e32 v34, 0
	s_wait_dscnt 0x0
	s_barrier_signal -1
	s_barrier_wait -1
	s_delay_alu instid0(VALU_DEP_1)
	v_mov_b32_e32 v35, v34
	s_and_saveexec_b32 s86, s7
	s_cbranch_execz .LBB168_275
; %bb.248:                              ;   in Loop: Header=BB168_3 Depth=1
	ds_load_b64 v[34:35], v67 offset:128
	ds_load_b64 v[36:37], v64
	s_wait_dscnt 0x0
	v_dual_mul_f32 v38, v37, v35 :: v_dual_mul_f32 v39, v36, v35
	s_delay_alu instid0(VALU_DEP_1) | instskip(NEXT) | instid1(VALU_DEP_1)
	v_dual_fma_f32 v35, v36, v34, -v38 :: v_dual_fmac_f32 v39, v37, v34
	v_add_f32_e32 v35, 0, v35
	s_delay_alu instid0(VALU_DEP_2) | instskip(SKIP_3) | instid1(SALU_CYCLE_1)
	v_add_f32_e32 v34, 0, v39
	s_mov_b32 s51, exec_lo
	v_readlane_b32 s52, v108, 31
	s_and_b32 s52, s51, s52
	s_mov_b32 exec_lo, s52
	s_cbranch_execz .LBB168_250
; %bb.249:                              ;   in Loop: Header=BB168_3 Depth=1
	ds_load_b64 v[36:37], v68 offset:640
	ds_load_b64 v[38:39], v64 offset:8
	s_wait_dscnt 0x0
	v_dual_mul_f32 v40, v39, v37 :: v_dual_mul_f32 v37, v38, v37
	s_delay_alu instid0(VALU_DEP_1) | instskip(NEXT) | instid1(VALU_DEP_1)
	v_dual_fma_f32 v38, v38, v36, -v40 :: v_dual_fmac_f32 v37, v39, v36
	v_dual_add_f32 v35, v35, v38 :: v_dual_add_f32 v34, v34, v37
.LBB168_250:                            ;   in Loop: Header=BB168_3 Depth=1
	s_or_b32 exec_lo, exec_lo, s51
	s_delay_alu instid0(SALU_CYCLE_1) | instskip(SKIP_2) | instid1(SALU_CYCLE_1)
	s_mov_b32 s51, exec_lo
	v_readlane_b32 s52, v107, 0
	s_and_b32 s52, s51, s52
	s_mov_b32 exec_lo, s52
	s_cbranch_execz .LBB168_252
; %bb.251:                              ;   in Loop: Header=BB168_3 Depth=1
	ds_load_b64 v[36:37], v68 offset:1152
	ds_load_b64 v[38:39], v64 offset:16
	s_wait_dscnt 0x0
	v_dual_mul_f32 v40, v39, v37 :: v_dual_mul_f32 v37, v38, v37
	s_delay_alu instid0(VALU_DEP_1) | instskip(NEXT) | instid1(VALU_DEP_1)
	v_dual_fma_f32 v38, v38, v36, -v40 :: v_dual_fmac_f32 v37, v39, v36
	v_dual_add_f32 v35, v35, v38 :: v_dual_add_f32 v34, v34, v37
.LBB168_252:                            ;   in Loop: Header=BB168_3 Depth=1
	s_or_b32 exec_lo, exec_lo, s51
	s_delay_alu instid0(SALU_CYCLE_1) | instskip(SKIP_2) | instid1(SALU_CYCLE_1)
	s_mov_b32 s51, exec_lo
	v_readlane_b32 s52, v107, 1
	s_and_b32 s52, s51, s52
	s_mov_b32 exec_lo, s52
	s_cbranch_execz .LBB168_254
; %bb.253:                              ;   in Loop: Header=BB168_3 Depth=1
	ds_load_b64 v[36:37], v68 offset:1664
	ds_load_b64 v[38:39], v64 offset:24
	s_wait_dscnt 0x0
	v_dual_mul_f32 v40, v39, v37 :: v_dual_mul_f32 v37, v38, v37
	s_delay_alu instid0(VALU_DEP_1) | instskip(NEXT) | instid1(VALU_DEP_1)
	v_dual_fma_f32 v38, v38, v36, -v40 :: v_dual_fmac_f32 v37, v39, v36
	v_dual_add_f32 v35, v35, v38 :: v_dual_add_f32 v34, v34, v37
.LBB168_254:                            ;   in Loop: Header=BB168_3 Depth=1
	s_or_b32 exec_lo, exec_lo, s51
	s_delay_alu instid0(SALU_CYCLE_1) | instskip(SKIP_2) | instid1(SALU_CYCLE_1)
	s_mov_b32 s51, exec_lo
	v_readlane_b32 s52, v107, 2
	s_and_b32 s52, s51, s52
	s_mov_b32 exec_lo, s52
	s_cbranch_execz .LBB168_256
; %bb.255:                              ;   in Loop: Header=BB168_3 Depth=1
	ds_load_b64 v[36:37], v68 offset:2176
	ds_load_b64 v[38:39], v64 offset:32
	s_wait_dscnt 0x0
	v_dual_mul_f32 v40, v39, v37 :: v_dual_mul_f32 v37, v38, v37
	s_delay_alu instid0(VALU_DEP_1) | instskip(NEXT) | instid1(VALU_DEP_1)
	v_dual_fma_f32 v38, v38, v36, -v40 :: v_dual_fmac_f32 v37, v39, v36
	v_dual_add_f32 v35, v35, v38 :: v_dual_add_f32 v34, v34, v37
.LBB168_256:                            ;   in Loop: Header=BB168_3 Depth=1
	s_or_b32 exec_lo, exec_lo, s51
	s_delay_alu instid0(SALU_CYCLE_1) | instskip(SKIP_2) | instid1(SALU_CYCLE_1)
	s_mov_b32 s51, exec_lo
	v_readlane_b32 s52, v107, 3
	s_and_b32 s52, s51, s52
	s_mov_b32 exec_lo, s52
	s_cbranch_execz .LBB168_258
; %bb.257:                              ;   in Loop: Header=BB168_3 Depth=1
	ds_load_b64 v[36:37], v68 offset:2688
	ds_load_b64 v[38:39], v64 offset:40
	s_wait_dscnt 0x0
	v_dual_mul_f32 v40, v39, v37 :: v_dual_mul_f32 v37, v38, v37
	s_delay_alu instid0(VALU_DEP_1) | instskip(NEXT) | instid1(VALU_DEP_1)
	v_dual_fma_f32 v38, v38, v36, -v40 :: v_dual_fmac_f32 v37, v39, v36
	v_dual_add_f32 v35, v35, v38 :: v_dual_add_f32 v34, v34, v37
.LBB168_258:                            ;   in Loop: Header=BB168_3 Depth=1
	s_or_b32 exec_lo, exec_lo, s51
	s_delay_alu instid0(SALU_CYCLE_1) | instskip(SKIP_2) | instid1(SALU_CYCLE_1)
	s_mov_b32 s51, exec_lo
	v_readlane_b32 s52, v107, 4
	s_and_b32 s52, s51, s52
	s_mov_b32 exec_lo, s52
	s_cbranch_execz .LBB168_260
; %bb.259:                              ;   in Loop: Header=BB168_3 Depth=1
	ds_load_b64 v[36:37], v68 offset:3200
	ds_load_b64 v[38:39], v64 offset:48
	s_wait_dscnt 0x0
	v_dual_mul_f32 v40, v39, v37 :: v_dual_mul_f32 v37, v38, v37
	s_delay_alu instid0(VALU_DEP_1) | instskip(NEXT) | instid1(VALU_DEP_1)
	v_dual_fma_f32 v38, v38, v36, -v40 :: v_dual_fmac_f32 v37, v39, v36
	v_dual_add_f32 v35, v35, v38 :: v_dual_add_f32 v34, v34, v37
.LBB168_260:                            ;   in Loop: Header=BB168_3 Depth=1
	s_or_b32 exec_lo, exec_lo, s51
	s_delay_alu instid0(SALU_CYCLE_1) | instskip(SKIP_2) | instid1(SALU_CYCLE_1)
	s_mov_b32 s51, exec_lo
	v_readlane_b32 s52, v107, 5
	s_and_b32 s52, s51, s52
	s_mov_b32 exec_lo, s52
	s_cbranch_execz .LBB168_262
; %bb.261:                              ;   in Loop: Header=BB168_3 Depth=1
	ds_load_b64 v[36:37], v68 offset:3712
	ds_load_b64 v[38:39], v64 offset:56
	s_wait_dscnt 0x0
	v_dual_mul_f32 v40, v39, v37 :: v_dual_mul_f32 v37, v38, v37
	s_delay_alu instid0(VALU_DEP_1) | instskip(NEXT) | instid1(VALU_DEP_1)
	v_dual_fma_f32 v38, v38, v36, -v40 :: v_dual_fmac_f32 v37, v39, v36
	v_dual_add_f32 v35, v35, v38 :: v_dual_add_f32 v34, v34, v37
.LBB168_262:                            ;   in Loop: Header=BB168_3 Depth=1
	s_or_b32 exec_lo, exec_lo, s51
	s_delay_alu instid0(SALU_CYCLE_1) | instskip(SKIP_2) | instid1(SALU_CYCLE_1)
	s_mov_b32 s51, exec_lo
	v_readlane_b32 s52, v107, 6
	s_and_b32 s52, s51, s52
	s_mov_b32 exec_lo, s52
	s_cbranch_execz .LBB168_264
; %bb.263:                              ;   in Loop: Header=BB168_3 Depth=1
	ds_load_b64 v[36:37], v67 offset:4224
	ds_load_b64 v[38:39], v64 offset:64
	s_wait_dscnt 0x0
	v_dual_mul_f32 v40, v39, v37 :: v_dual_mul_f32 v37, v38, v37
	s_delay_alu instid0(VALU_DEP_1) | instskip(NEXT) | instid1(VALU_DEP_1)
	v_dual_fma_f32 v38, v38, v36, -v40 :: v_dual_fmac_f32 v37, v39, v36
	v_dual_add_f32 v35, v35, v38 :: v_dual_add_f32 v34, v34, v37
.LBB168_264:                            ;   in Loop: Header=BB168_3 Depth=1
	s_or_b32 exec_lo, exec_lo, s51
	s_delay_alu instid0(SALU_CYCLE_1) | instskip(SKIP_2) | instid1(SALU_CYCLE_1)
	s_mov_b32 s51, exec_lo
	v_readlane_b32 s52, v107, 7
	s_and_b32 s52, s51, s52
	s_mov_b32 exec_lo, s52
	s_cbranch_execz .LBB168_266
; %bb.265:                              ;   in Loop: Header=BB168_3 Depth=1
	ds_load_b64 v[36:37], v68 offset:4736
	ds_load_b64 v[38:39], v64 offset:72
	s_wait_dscnt 0x0
	v_dual_mul_f32 v40, v39, v37 :: v_dual_mul_f32 v37, v38, v37
	s_delay_alu instid0(VALU_DEP_1) | instskip(NEXT) | instid1(VALU_DEP_1)
	v_dual_fma_f32 v38, v38, v36, -v40 :: v_dual_fmac_f32 v37, v39, v36
	v_dual_add_f32 v35, v35, v38 :: v_dual_add_f32 v34, v34, v37
.LBB168_266:                            ;   in Loop: Header=BB168_3 Depth=1
	s_or_b32 exec_lo, exec_lo, s51
	s_delay_alu instid0(SALU_CYCLE_1) | instskip(SKIP_2) | instid1(SALU_CYCLE_1)
	s_mov_b32 s51, exec_lo
	v_readlane_b32 s52, v107, 8
	s_and_b32 s52, s51, s52
	s_mov_b32 exec_lo, s52
	s_cbranch_execz .LBB168_268
; %bb.267:                              ;   in Loop: Header=BB168_3 Depth=1
	ds_load_b64 v[36:37], v68 offset:5248
	ds_load_b64 v[38:39], v64 offset:80
	s_wait_dscnt 0x0
	v_dual_mul_f32 v40, v39, v37 :: v_dual_mul_f32 v37, v38, v37
	s_delay_alu instid0(VALU_DEP_1) | instskip(NEXT) | instid1(VALU_DEP_1)
	v_dual_fma_f32 v38, v38, v36, -v40 :: v_dual_fmac_f32 v37, v39, v36
	v_dual_add_f32 v35, v35, v38 :: v_dual_add_f32 v34, v34, v37
.LBB168_268:                            ;   in Loop: Header=BB168_3 Depth=1
	s_or_b32 exec_lo, exec_lo, s51
	s_delay_alu instid0(SALU_CYCLE_1) | instskip(SKIP_2) | instid1(SALU_CYCLE_1)
	s_mov_b32 s51, exec_lo
	v_readlane_b32 s52, v107, 9
	s_and_b32 s52, s51, s52
	s_mov_b32 exec_lo, s52
	s_cbranch_execnz .LBB168_1134
; %bb.269:                              ;   in Loop: Header=BB168_3 Depth=1
	s_or_b32 exec_lo, exec_lo, s51
	s_and_saveexec_b32 s51, s6
	s_cbranch_execnz .LBB168_1135
.LBB168_270:                            ;   in Loop: Header=BB168_3 Depth=1
	s_or_b32 exec_lo, exec_lo, s51
	s_and_saveexec_b32 s51, s20
	s_cbranch_execnz .LBB168_1136
.LBB168_271:                            ;   in Loop: Header=BB168_3 Depth=1
	s_or_b32 exec_lo, exec_lo, s51
	s_and_saveexec_b32 s51, s22
	s_cbranch_execnz .LBB168_1137
.LBB168_272:                            ;   in Loop: Header=BB168_3 Depth=1
	s_or_b32 exec_lo, exec_lo, s51
	s_and_saveexec_b32 s51, s5
	s_cbranch_execz .LBB168_274
.LBB168_273:                            ;   in Loop: Header=BB168_3 Depth=1
	ds_load_b64 v[36:37], v46 offset:7808
	ds_load_b64 v[38:39], v5 offset:120
	s_wait_dscnt 0x0
	v_pk_mul_f32 v[40:41], v[38:39], v[36:37] op_sel:[0,1]
	s_delay_alu instid0(VALU_DEP_1) | instskip(SKIP_1) | instid1(VALU_DEP_2)
	v_pk_fma_f32 v[98:99], v[38:39], v[36:37], v[40:41] op_sel:[1,0,0] op_sel_hi:[0,0,1] neg_lo:[0,0,1] neg_hi:[0,0,1]
	v_pk_fma_f32 v[36:37], v[38:39], v[36:37], v[40:41] op_sel:[1,0,0] op_sel_hi:[0,1,1]
	v_mov_b32_e32 v37, v99
	s_delay_alu instid0(VALU_DEP_1)
	v_pk_add_f32 v[34:35], v[34:35], v[36:37]
.LBB168_274:                            ;   in Loop: Header=BB168_3 Depth=1
	s_or_b32 exec_lo, exec_lo, s51
	s_delay_alu instid0(VALU_DEP_1) | instskip(NEXT) | instid1(VALU_DEP_1)
	v_pk_add_f32 v[36:37], v[34:35], 0 neg_lo:[1,1] neg_hi:[1,1]
	v_dual_mov_b32 v34, v37 :: v_dual_mov_b32 v35, v36
.LBB168_275:                            ;   in Loop: Header=BB168_3 Depth=1
	s_or_b32 exec_lo, exec_lo, s86
	s_delay_alu instid0(SALU_CYCLE_1) | instskip(SKIP_2) | instid1(SALU_CYCLE_1)
	s_mov_b32 s51, exec_lo
	v_readlane_b32 s52, v108, 1
	s_and_b32 s52, s51, s52
	s_mov_b32 exec_lo, s52
	s_cbranch_execz .LBB168_277
; %bb.276:                              ;   in Loop: Header=BB168_3 Depth=1
	ds_load_b64 v[36:37], v5 offset:8320
	v_dual_mov_b32 v38, v35 :: v_dual_mov_b32 v39, v34
	s_wait_dscnt 0x0
	s_delay_alu instid0(VALU_DEP_1) | instskip(NEXT) | instid1(VALU_DEP_1)
	v_dual_mul_f32 v40, v38, v36 :: v_dual_mul_f32 v42, v35, v37
	v_pk_fma_f32 v[38:39], v[38:39], v[36:37], v[40:41] op_sel_hi:[1,1,0]
	s_delay_alu instid0(VALU_DEP_2) | instskip(NEXT) | instid1(VALU_DEP_2)
	v_pk_fma_f32 v[34:35], v[34:35], v[36:37], v[42:43] op_sel_hi:[1,1,0] neg_lo:[0,0,1] neg_hi:[0,0,1]
	v_mov_b32_e32 v35, v39
	ds_store_b64 v66, v[34:35]
.LBB168_277:                            ;   in Loop: Header=BB168_3 Depth=1
	s_or_b32 exec_lo, exec_lo, s51
	s_wait_dscnt 0x0
	s_barrier_signal -1
	s_barrier_wait -1
	s_mov_b32 s51, exec_lo
	v_readlane_b32 s52, v108, 2
	s_and_b32 s52, s51, s52
	s_delay_alu instid0(SALU_CYCLE_1)
	s_mov_b32 exec_lo, s52
	s_cbranch_execz .LBB168_279
; %bb.278:                              ;   in Loop: Header=BB168_3 Depth=1
	ds_load_b64 v[36:37], v65 offset:8320
	ds_load_b64 v[38:39], v66
	s_wait_dscnt 0x0
	v_dual_mul_f32 v40, v39, v37 :: v_dual_mul_f32 v41, v38, v37
	s_delay_alu instid0(VALU_DEP_1) | instskip(NEXT) | instid1(VALU_DEP_1)
	v_dual_fma_f32 v40, v38, v36, -v40 :: v_dual_fmac_f32 v41, v39, v36
	v_pk_add_f32 v[34:35], v[34:35], v[40:41]
.LBB168_279:                            ;   in Loop: Header=BB168_3 Depth=1
	s_or_b32 exec_lo, exec_lo, s51
	s_barrier_signal -1
	s_barrier_wait -1
	s_mov_b32 s51, exec_lo
	v_readlane_b32 s52, v108, 3
	s_and_b32 s52, s51, s52
	s_delay_alu instid0(SALU_CYCLE_1)
	s_mov_b32 exec_lo, s52
	s_cbranch_execz .LBB168_281
; %bb.280:                              ;   in Loop: Header=BB168_3 Depth=1
	ds_load_b64 v[36:37], v5 offset:8840
	s_wait_dscnt 0x0
	v_pk_mul_f32 v[38:39], v[34:35], v[36:37] op_sel:[1,1] op_sel_hi:[1,0]
	s_delay_alu instid0(VALU_DEP_1) | instskip(SKIP_1) | instid1(VALU_DEP_2)
	v_pk_fma_f32 v[40:41], v[34:35], v[36:37], v[38:39] op_sel_hi:[0,1,1]
	v_pk_fma_f32 v[34:35], v[34:35], v[36:37], v[38:39] op_sel_hi:[0,1,1] neg_lo:[0,0,1] neg_hi:[0,0,1]
	v_mov_b32_e32 v35, v41
	ds_store_b64 v66, v[34:35]
.LBB168_281:                            ;   in Loop: Header=BB168_3 Depth=1
	s_or_b32 exec_lo, exec_lo, s51
	s_wait_dscnt 0x0
	s_barrier_signal -1
	s_barrier_wait -1
	s_mov_b32 s51, exec_lo
	v_readlane_b32 s52, v108, 4
	s_and_b32 s52, s51, s52
	s_delay_alu instid0(SALU_CYCLE_1)
	s_mov_b32 exec_lo, s52
	s_cbranch_execz .LBB168_283
; %bb.282:                              ;   in Loop: Header=BB168_3 Depth=1
	ds_load_b64 v[36:37], v65 offset:8832
	ds_load_b64 v[38:39], v66
	s_wait_dscnt 0x0
	v_pk_mul_f32 v[40:41], v[38:39], v[36:37] op_sel:[1,1] op_sel_hi:[0,1]
	s_delay_alu instid0(VALU_DEP_1) | instskip(SKIP_1) | instid1(VALU_DEP_2)
	v_pk_fma_f32 v[98:99], v[38:39], v[36:37], v[40:41] op_sel_hi:[1,0,1]
	v_pk_fma_f32 v[36:37], v[38:39], v[36:37], v[40:41] op_sel_hi:[1,0,1] neg_lo:[0,0,1] neg_hi:[0,0,1]
	v_mov_b32_e32 v37, v99
	s_delay_alu instid0(VALU_DEP_1)
	v_pk_add_f32 v[34:35], v[34:35], v[36:37]
.LBB168_283:                            ;   in Loop: Header=BB168_3 Depth=1
	s_or_b32 exec_lo, exec_lo, s51
	s_barrier_signal -1
	s_barrier_wait -1
	s_mov_b32 s51, exec_lo
	v_readlane_b32 s52, v108, 5
	s_and_b32 s52, s51, s52
	s_delay_alu instid0(SALU_CYCLE_1)
	s_mov_b32 exec_lo, s52
	s_cbranch_execz .LBB168_285
; %bb.284:                              ;   in Loop: Header=BB168_3 Depth=1
	ds_load_b64 v[36:37], v5 offset:9360
	s_wait_dscnt 0x0
	v_pk_mul_f32 v[38:39], v[34:35], v[36:37] op_sel:[1,1] op_sel_hi:[1,0]
	s_delay_alu instid0(VALU_DEP_1) | instskip(SKIP_1) | instid1(VALU_DEP_2)
	v_pk_fma_f32 v[40:41], v[34:35], v[36:37], v[38:39] op_sel_hi:[0,1,1]
	v_pk_fma_f32 v[34:35], v[34:35], v[36:37], v[38:39] op_sel_hi:[0,1,1] neg_lo:[0,0,1] neg_hi:[0,0,1]
	v_mov_b32_e32 v35, v41
	ds_store_b64 v66, v[34:35]
.LBB168_285:                            ;   in Loop: Header=BB168_3 Depth=1
	s_or_b32 exec_lo, exec_lo, s51
	s_wait_dscnt 0x0
	s_barrier_signal -1
	s_barrier_wait -1
	s_mov_b32 s51, exec_lo
	v_readlane_b32 s52, v108, 6
	s_and_b32 s52, s51, s52
	s_delay_alu instid0(SALU_CYCLE_1)
	s_mov_b32 exec_lo, s52
	s_cbranch_execz .LBB168_287
; %bb.286:                              ;   in Loop: Header=BB168_3 Depth=1
	ds_load_b64 v[36:37], v65 offset:9344
	ds_load_b64 v[38:39], v66
	s_wait_dscnt 0x0
	v_pk_mul_f32 v[40:41], v[38:39], v[36:37] op_sel:[1,1] op_sel_hi:[0,1]
	s_delay_alu instid0(VALU_DEP_1) | instskip(SKIP_1) | instid1(VALU_DEP_2)
	v_pk_fma_f32 v[98:99], v[38:39], v[36:37], v[40:41] op_sel_hi:[1,0,1]
	v_pk_fma_f32 v[36:37], v[38:39], v[36:37], v[40:41] op_sel_hi:[1,0,1] neg_lo:[0,0,1] neg_hi:[0,0,1]
	v_mov_b32_e32 v37, v99
	s_delay_alu instid0(VALU_DEP_1)
	v_pk_add_f32 v[34:35], v[34:35], v[36:37]
.LBB168_287:                            ;   in Loop: Header=BB168_3 Depth=1
	s_or_b32 exec_lo, exec_lo, s51
	s_barrier_signal -1
	s_barrier_wait -1
	s_mov_b32 s51, exec_lo
	v_readlane_b32 s52, v108, 7
	s_and_b32 s52, s51, s52
	s_delay_alu instid0(SALU_CYCLE_1)
	s_mov_b32 exec_lo, s52
	s_cbranch_execz .LBB168_289
; %bb.288:                              ;   in Loop: Header=BB168_3 Depth=1
	ds_load_b64 v[36:37], v5 offset:9880
	s_wait_dscnt 0x0
	v_pk_mul_f32 v[38:39], v[34:35], v[36:37] op_sel:[1,1] op_sel_hi:[1,0]
	s_delay_alu instid0(VALU_DEP_1) | instskip(SKIP_1) | instid1(VALU_DEP_2)
	v_pk_fma_f32 v[40:41], v[34:35], v[36:37], v[38:39] op_sel_hi:[0,1,1]
	v_pk_fma_f32 v[34:35], v[34:35], v[36:37], v[38:39] op_sel_hi:[0,1,1] neg_lo:[0,0,1] neg_hi:[0,0,1]
	v_mov_b32_e32 v35, v41
	ds_store_b64 v66, v[34:35]
.LBB168_289:                            ;   in Loop: Header=BB168_3 Depth=1
	s_or_b32 exec_lo, exec_lo, s51
	s_wait_dscnt 0x0
	s_barrier_signal -1
	s_barrier_wait -1
	s_and_saveexec_b32 s51, s57
	s_cbranch_execz .LBB168_291
; %bb.290:                              ;   in Loop: Header=BB168_3 Depth=1
	ds_load_b64 v[36:37], v65 offset:9856
	ds_load_b64 v[38:39], v66
	s_wait_dscnt 0x0
	v_pk_mul_f32 v[40:41], v[38:39], v[36:37] op_sel:[1,1] op_sel_hi:[0,1]
	s_delay_alu instid0(VALU_DEP_1) | instskip(SKIP_1) | instid1(VALU_DEP_2)
	v_pk_fma_f32 v[98:99], v[38:39], v[36:37], v[40:41] op_sel_hi:[1,0,1]
	v_pk_fma_f32 v[36:37], v[38:39], v[36:37], v[40:41] op_sel_hi:[1,0,1] neg_lo:[0,0,1] neg_hi:[0,0,1]
	v_mov_b32_e32 v37, v99
	s_delay_alu instid0(VALU_DEP_1)
	v_pk_add_f32 v[34:35], v[34:35], v[36:37]
.LBB168_291:                            ;   in Loop: Header=BB168_3 Depth=1
	s_or_b32 exec_lo, exec_lo, s51
	s_barrier_signal -1
	s_barrier_wait -1
	s_and_saveexec_b32 s51, s58
	s_cbranch_execz .LBB168_293
; %bb.292:                              ;   in Loop: Header=BB168_3 Depth=1
	ds_load_b64 v[36:37], v5 offset:10400
	s_wait_dscnt 0x0
	v_dual_mul_f32 v38, v34, v37 :: v_dual_mul_f32 v40, v35, v37
	s_delay_alu instid0(VALU_DEP_1) | instskip(NEXT) | instid1(VALU_DEP_2)
	v_pk_fma_f32 v[38:39], v[34:35], v[36:37], v[38:39] op_sel:[0,1,0] op_sel_hi:[1,0,0]
	v_pk_fma_f32 v[36:37], v[34:35], v[36:37], v[40:41] op_sel_hi:[1,1,0] neg_lo:[0,0,1] neg_hi:[0,0,1]
	s_delay_alu instid0(VALU_DEP_2) | instskip(NEXT) | instid1(VALU_DEP_1)
	v_mov_b32_e32 v37, v39
	v_mov_b64_e32 v[34:35], v[36:37]
	ds_store_b64 v66, v[36:37]
.LBB168_293:                            ;   in Loop: Header=BB168_3 Depth=1
	s_or_b32 exec_lo, exec_lo, s51
	s_wait_dscnt 0x0
	s_barrier_signal -1
	s_barrier_wait -1
	s_and_saveexec_b32 s51, s59
	s_cbranch_execz .LBB168_295
; %bb.294:                              ;   in Loop: Header=BB168_3 Depth=1
	ds_load_b64 v[36:37], v65 offset:10368
	ds_load_b64 v[38:39], v66
	s_wait_dscnt 0x0
	v_dual_mul_f32 v40, v39, v37 :: v_dual_mul_f32 v41, v38, v37
	s_delay_alu instid0(VALU_DEP_1) | instskip(NEXT) | instid1(VALU_DEP_1)
	v_dual_fma_f32 v40, v38, v36, -v40 :: v_dual_fmac_f32 v41, v39, v36
	v_pk_add_f32 v[34:35], v[34:35], v[40:41]
.LBB168_295:                            ;   in Loop: Header=BB168_3 Depth=1
	s_or_b32 exec_lo, exec_lo, s51
	s_barrier_signal -1
	s_barrier_wait -1
	s_and_saveexec_b32 s51, s60
	s_cbranch_execz .LBB168_297
; %bb.296:                              ;   in Loop: Header=BB168_3 Depth=1
	ds_load_b64 v[36:37], v5 offset:10920
	s_wait_dscnt 0x0
	v_pk_mul_f32 v[38:39], v[34:35], v[36:37] op_sel:[1,1] op_sel_hi:[1,0]
	s_delay_alu instid0(VALU_DEP_1) | instskip(SKIP_1) | instid1(VALU_DEP_2)
	v_pk_fma_f32 v[40:41], v[34:35], v[36:37], v[38:39] op_sel_hi:[0,1,1]
	v_pk_fma_f32 v[34:35], v[34:35], v[36:37], v[38:39] op_sel_hi:[0,1,1] neg_lo:[0,0,1] neg_hi:[0,0,1]
	v_mov_b32_e32 v35, v41
	ds_store_b64 v66, v[34:35]
.LBB168_297:                            ;   in Loop: Header=BB168_3 Depth=1
	s_or_b32 exec_lo, exec_lo, s51
	s_wait_dscnt 0x0
	s_barrier_signal -1
	s_barrier_wait -1
	s_and_saveexec_b32 s51, s61
	s_cbranch_execz .LBB168_299
; %bb.298:                              ;   in Loop: Header=BB168_3 Depth=1
	ds_load_b64 v[36:37], v65 offset:10880
	ds_load_b64 v[38:39], v66
	s_wait_dscnt 0x0
	v_pk_mul_f32 v[40:41], v[38:39], v[36:37] op_sel:[1,1] op_sel_hi:[0,1]
	s_delay_alu instid0(VALU_DEP_1) | instskip(SKIP_1) | instid1(VALU_DEP_2)
	v_pk_fma_f32 v[98:99], v[38:39], v[36:37], v[40:41] op_sel_hi:[1,0,1]
	v_pk_fma_f32 v[36:37], v[38:39], v[36:37], v[40:41] op_sel_hi:[1,0,1] neg_lo:[0,0,1] neg_hi:[0,0,1]
	v_mov_b32_e32 v37, v99
	s_delay_alu instid0(VALU_DEP_1)
	v_pk_add_f32 v[34:35], v[34:35], v[36:37]
.LBB168_299:                            ;   in Loop: Header=BB168_3 Depth=1
	s_or_b32 exec_lo, exec_lo, s51
	s_barrier_signal -1
	s_barrier_wait -1
	s_and_saveexec_b32 s51, s62
	s_cbranch_execz .LBB168_301
; %bb.300:                              ;   in Loop: Header=BB168_3 Depth=1
	ds_load_b64 v[36:37], v5 offset:11440
	s_wait_dscnt 0x0
	v_pk_mul_f32 v[38:39], v[34:35], v[36:37] op_sel:[1,1] op_sel_hi:[1,0]
	s_delay_alu instid0(VALU_DEP_1) | instskip(SKIP_1) | instid1(VALU_DEP_2)
	v_pk_fma_f32 v[40:41], v[34:35], v[36:37], v[38:39] op_sel_hi:[0,1,1]
	v_pk_fma_f32 v[34:35], v[34:35], v[36:37], v[38:39] op_sel_hi:[0,1,1] neg_lo:[0,0,1] neg_hi:[0,0,1]
	v_mov_b32_e32 v35, v41
	ds_store_b64 v66, v[34:35]
.LBB168_301:                            ;   in Loop: Header=BB168_3 Depth=1
	s_or_b32 exec_lo, exec_lo, s51
	s_wait_dscnt 0x0
	s_barrier_signal -1
	s_barrier_wait -1
	s_and_saveexec_b32 s51, s63
	s_cbranch_execz .LBB168_303
; %bb.302:                              ;   in Loop: Header=BB168_3 Depth=1
	ds_load_b64 v[36:37], v65 offset:11392
	ds_load_b64 v[38:39], v66
	s_wait_dscnt 0x0
	v_pk_mul_f32 v[40:41], v[38:39], v[36:37] op_sel:[1,1] op_sel_hi:[0,1]
	s_delay_alu instid0(VALU_DEP_1) | instskip(SKIP_1) | instid1(VALU_DEP_2)
	v_pk_fma_f32 v[98:99], v[38:39], v[36:37], v[40:41] op_sel_hi:[1,0,1]
	v_pk_fma_f32 v[36:37], v[38:39], v[36:37], v[40:41] op_sel_hi:[1,0,1] neg_lo:[0,0,1] neg_hi:[0,0,1]
	v_mov_b32_e32 v37, v99
	s_delay_alu instid0(VALU_DEP_1)
	v_pk_add_f32 v[34:35], v[34:35], v[36:37]
.LBB168_303:                            ;   in Loop: Header=BB168_3 Depth=1
	;; [unrolled: 33-line block ×3, first 2 shown]
	s_or_b32 exec_lo, exec_lo, s51
	s_barrier_signal -1
	s_barrier_wait -1
	s_and_saveexec_b32 s51, s24
	s_cbranch_execz .LBB168_309
; %bb.308:                              ;   in Loop: Header=BB168_3 Depth=1
	ds_load_b64 v[36:37], v5 offset:12480
	s_wait_dscnt 0x0
	v_dual_mul_f32 v38, v34, v37 :: v_dual_mul_f32 v40, v35, v37
	s_delay_alu instid0(VALU_DEP_1) | instskip(NEXT) | instid1(VALU_DEP_2)
	v_pk_fma_f32 v[38:39], v[34:35], v[36:37], v[38:39] op_sel:[0,1,0] op_sel_hi:[1,0,0]
	v_pk_fma_f32 v[36:37], v[34:35], v[36:37], v[40:41] op_sel_hi:[1,1,0] neg_lo:[0,0,1] neg_hi:[0,0,1]
	s_delay_alu instid0(VALU_DEP_2) | instskip(NEXT) | instid1(VALU_DEP_1)
	v_mov_b32_e32 v37, v39
	v_mov_b64_e32 v[34:35], v[36:37]
	ds_store_b64 v66, v[36:37]
.LBB168_309:                            ;   in Loop: Header=BB168_3 Depth=1
	s_or_b32 exec_lo, exec_lo, s51
	s_wait_dscnt 0x0
	s_barrier_signal -1
	s_barrier_wait -1
	s_and_saveexec_b32 s51, s26
	s_cbranch_execz .LBB168_311
; %bb.310:                              ;   in Loop: Header=BB168_3 Depth=1
	ds_load_b64 v[36:37], v65 offset:12416
	ds_load_b64 v[38:39], v66
	s_wait_dscnt 0x0
	v_dual_mul_f32 v40, v39, v37 :: v_dual_mul_f32 v41, v38, v37
	s_delay_alu instid0(VALU_DEP_1) | instskip(NEXT) | instid1(VALU_DEP_1)
	v_dual_fma_f32 v40, v38, v36, -v40 :: v_dual_fmac_f32 v41, v39, v36
	v_pk_add_f32 v[34:35], v[34:35], v[40:41]
.LBB168_311:                            ;   in Loop: Header=BB168_3 Depth=1
	s_or_b32 exec_lo, exec_lo, s51
	s_barrier_signal -1
	s_barrier_wait -1
	s_and_saveexec_b32 s51, s28
	s_cbranch_execz .LBB168_313
; %bb.312:                              ;   in Loop: Header=BB168_3 Depth=1
	ds_load_b64 v[36:37], v5 offset:13000
	s_wait_dscnt 0x0
	v_pk_mul_f32 v[38:39], v[34:35], v[36:37] op_sel:[1,1] op_sel_hi:[1,0]
	s_delay_alu instid0(VALU_DEP_1) | instskip(SKIP_1) | instid1(VALU_DEP_2)
	v_pk_fma_f32 v[40:41], v[34:35], v[36:37], v[38:39] op_sel_hi:[0,1,1]
	v_pk_fma_f32 v[34:35], v[34:35], v[36:37], v[38:39] op_sel_hi:[0,1,1] neg_lo:[0,0,1] neg_hi:[0,0,1]
	v_mov_b32_e32 v35, v41
	ds_store_b64 v66, v[34:35]
.LBB168_313:                            ;   in Loop: Header=BB168_3 Depth=1
	s_or_b32 exec_lo, exec_lo, s51
	s_wait_dscnt 0x0
	s_barrier_signal -1
	s_barrier_wait -1
	s_and_saveexec_b32 s51, s30
	s_cbranch_execz .LBB168_315
; %bb.314:                              ;   in Loop: Header=BB168_3 Depth=1
	ds_load_b64 v[36:37], v65 offset:12928
	ds_load_b64 v[38:39], v66
	s_wait_dscnt 0x0
	v_pk_mul_f32 v[40:41], v[38:39], v[36:37] op_sel:[1,1] op_sel_hi:[0,1]
	s_delay_alu instid0(VALU_DEP_1) | instskip(SKIP_1) | instid1(VALU_DEP_2)
	v_pk_fma_f32 v[98:99], v[38:39], v[36:37], v[40:41] op_sel_hi:[1,0,1]
	v_pk_fma_f32 v[36:37], v[38:39], v[36:37], v[40:41] op_sel_hi:[1,0,1] neg_lo:[0,0,1] neg_hi:[0,0,1]
	v_mov_b32_e32 v37, v99
	s_delay_alu instid0(VALU_DEP_1)
	v_pk_add_f32 v[34:35], v[34:35], v[36:37]
.LBB168_315:                            ;   in Loop: Header=BB168_3 Depth=1
	s_or_b32 exec_lo, exec_lo, s51
	s_barrier_signal -1
	s_barrier_wait -1
	s_and_saveexec_b32 s51, s33
	s_cbranch_execz .LBB168_317
; %bb.316:                              ;   in Loop: Header=BB168_3 Depth=1
	ds_load_b64 v[36:37], v5 offset:13520
	s_wait_dscnt 0x0
	v_pk_mul_f32 v[38:39], v[34:35], v[36:37] op_sel:[1,1] op_sel_hi:[1,0]
	s_delay_alu instid0(VALU_DEP_1) | instskip(SKIP_1) | instid1(VALU_DEP_2)
	v_pk_fma_f32 v[40:41], v[34:35], v[36:37], v[38:39] op_sel_hi:[0,1,1]
	v_pk_fma_f32 v[34:35], v[34:35], v[36:37], v[38:39] op_sel_hi:[0,1,1] neg_lo:[0,0,1] neg_hi:[0,0,1]
	v_mov_b32_e32 v35, v41
	ds_store_b64 v66, v[34:35]
.LBB168_317:                            ;   in Loop: Header=BB168_3 Depth=1
	s_or_b32 exec_lo, exec_lo, s51
	s_wait_dscnt 0x0
	s_barrier_signal -1
	s_barrier_wait -1
	s_and_saveexec_b32 s51, s35
	s_cbranch_execz .LBB168_319
; %bb.318:                              ;   in Loop: Header=BB168_3 Depth=1
	ds_load_b64 v[36:37], v65 offset:13440
	ds_load_b64 v[38:39], v66
	s_wait_dscnt 0x0
	v_pk_mul_f32 v[40:41], v[38:39], v[36:37] op_sel:[1,1] op_sel_hi:[0,1]
	s_delay_alu instid0(VALU_DEP_1) | instskip(SKIP_1) | instid1(VALU_DEP_2)
	v_pk_fma_f32 v[98:99], v[38:39], v[36:37], v[40:41] op_sel_hi:[1,0,1]
	v_pk_fma_f32 v[36:37], v[38:39], v[36:37], v[40:41] op_sel_hi:[1,0,1] neg_lo:[0,0,1] neg_hi:[0,0,1]
	v_mov_b32_e32 v37, v99
	s_delay_alu instid0(VALU_DEP_1)
	v_pk_add_f32 v[34:35], v[34:35], v[36:37]
.LBB168_319:                            ;   in Loop: Header=BB168_3 Depth=1
	s_or_b32 exec_lo, exec_lo, s51
	s_barrier_signal -1
	s_barrier_wait -1
	s_and_saveexec_b32 s51, s84
	s_cbranch_execz .LBB168_321
; %bb.320:                              ;   in Loop: Header=BB168_3 Depth=1
	ds_load_b64 v[36:37], v5 offset:14040
	s_wait_dscnt 0x0
	v_pk_mul_f32 v[38:39], v[34:35], v[36:37] op_sel:[1,1] op_sel_hi:[1,0]
	s_delay_alu instid0(VALU_DEP_1) | instskip(SKIP_1) | instid1(VALU_DEP_2)
	v_pk_fma_f32 v[40:41], v[34:35], v[36:37], v[38:39] op_sel_hi:[0,1,1]
	v_pk_fma_f32 v[34:35], v[34:35], v[36:37], v[38:39] op_sel_hi:[0,1,1] neg_lo:[0,0,1] neg_hi:[0,0,1]
	v_mov_b32_e32 v35, v41
	ds_store_b64 v66, v[34:35]
.LBB168_321:                            ;   in Loop: Header=BB168_3 Depth=1
	s_or_b32 exec_lo, exec_lo, s51
	s_wait_dscnt 0x0
	s_barrier_signal -1
	s_barrier_wait -1
	s_and_saveexec_b32 s51, s85
	s_cbranch_execz .LBB168_323
; %bb.322:                              ;   in Loop: Header=BB168_3 Depth=1
	ds_load_b64 v[36:37], v65 offset:13952
	ds_load_b64 v[38:39], v66
	s_wait_dscnt 0x0
	v_pk_mul_f32 v[40:41], v[38:39], v[36:37] op_sel:[1,1] op_sel_hi:[0,1]
	s_delay_alu instid0(VALU_DEP_1) | instskip(SKIP_1) | instid1(VALU_DEP_2)
	v_pk_fma_f32 v[98:99], v[38:39], v[36:37], v[40:41] op_sel_hi:[1,0,1]
	v_pk_fma_f32 v[36:37], v[38:39], v[36:37], v[40:41] op_sel_hi:[1,0,1] neg_lo:[0,0,1] neg_hi:[0,0,1]
	v_mov_b32_e32 v37, v99
	s_delay_alu instid0(VALU_DEP_1)
	v_pk_add_f32 v[34:35], v[34:35], v[36:37]
.LBB168_323:                            ;   in Loop: Header=BB168_3 Depth=1
	s_or_b32 exec_lo, exec_lo, s51
	s_barrier_signal -1
	s_barrier_wait -1
	s_and_saveexec_b32 s51, s78
	s_cbranch_execz .LBB168_325
; %bb.324:                              ;   in Loop: Header=BB168_3 Depth=1
	ds_load_b64 v[36:37], v5 offset:14560
	s_wait_dscnt 0x0
	v_dual_mul_f32 v38, v34, v37 :: v_dual_mul_f32 v40, v35, v37
	s_delay_alu instid0(VALU_DEP_1) | instskip(NEXT) | instid1(VALU_DEP_2)
	v_pk_fma_f32 v[38:39], v[34:35], v[36:37], v[38:39] op_sel:[0,1,0] op_sel_hi:[1,0,0]
	v_pk_fma_f32 v[36:37], v[34:35], v[36:37], v[40:41] op_sel_hi:[1,1,0] neg_lo:[0,0,1] neg_hi:[0,0,1]
	s_delay_alu instid0(VALU_DEP_2) | instskip(NEXT) | instid1(VALU_DEP_1)
	v_mov_b32_e32 v37, v39
	v_mov_b64_e32 v[34:35], v[36:37]
	ds_store_b64 v66, v[36:37]
.LBB168_325:                            ;   in Loop: Header=BB168_3 Depth=1
	s_or_b32 exec_lo, exec_lo, s51
	s_wait_dscnt 0x0
	s_barrier_signal -1
	s_barrier_wait -1
	s_and_saveexec_b32 s51, s79
	s_cbranch_execz .LBB168_327
; %bb.326:                              ;   in Loop: Header=BB168_3 Depth=1
	ds_load_b64 v[36:37], v65 offset:14464
	ds_load_b64 v[38:39], v66
	s_wait_dscnt 0x0
	v_dual_mul_f32 v40, v39, v37 :: v_dual_mul_f32 v41, v38, v37
	s_delay_alu instid0(VALU_DEP_1) | instskip(NEXT) | instid1(VALU_DEP_1)
	v_dual_fma_f32 v40, v38, v36, -v40 :: v_dual_fmac_f32 v41, v39, v36
	v_pk_add_f32 v[34:35], v[34:35], v[40:41]
.LBB168_327:                            ;   in Loop: Header=BB168_3 Depth=1
	s_or_b32 exec_lo, exec_lo, s51
	s_barrier_signal -1
	s_barrier_wait -1
	s_and_saveexec_b32 s51, s25
	s_cbranch_execz .LBB168_329
; %bb.328:                              ;   in Loop: Header=BB168_3 Depth=1
	ds_load_b64 v[36:37], v5 offset:15080
	s_wait_dscnt 0x0
	v_pk_mul_f32 v[38:39], v[34:35], v[36:37] op_sel:[1,1] op_sel_hi:[1,0]
	s_delay_alu instid0(VALU_DEP_1) | instskip(SKIP_1) | instid1(VALU_DEP_2)
	v_pk_fma_f32 v[40:41], v[34:35], v[36:37], v[38:39] op_sel_hi:[0,1,1]
	v_pk_fma_f32 v[36:37], v[34:35], v[36:37], v[38:39] neg_lo:[0,0,1] neg_hi:[0,0,1]
	v_mov_b32_e32 v37, v41
	s_delay_alu instid0(VALU_DEP_1)
	v_mov_b64_e32 v[34:35], v[36:37]
	ds_store_b64 v66, v[36:37]
.LBB168_329:                            ;   in Loop: Header=BB168_3 Depth=1
	s_or_b32 exec_lo, exec_lo, s51
	s_wait_dscnt 0x0
	s_barrier_signal -1
	s_barrier_wait -1
	s_and_saveexec_b32 s51, s11
	s_cbranch_execz .LBB168_331
; %bb.330:                              ;   in Loop: Header=BB168_3 Depth=1
	ds_load_b64 v[36:37], v65 offset:14976
	ds_load_b64 v[38:39], v66
	s_wait_dscnt 0x0
	v_pk_mul_f32 v[40:41], v[38:39], v[36:37] op_sel:[1,1] op_sel_hi:[0,1]
	s_delay_alu instid0(VALU_DEP_1) | instskip(SKIP_1) | instid1(VALU_DEP_2)
	v_pk_fma_f32 v[98:99], v[38:39], v[36:37], v[40:41] op_sel_hi:[1,0,1]
	v_pk_fma_f32 v[36:37], v[38:39], v[36:37], v[40:41] neg_lo:[0,0,1] neg_hi:[0,0,1]
	v_mov_b32_e32 v37, v99
	s_delay_alu instid0(VALU_DEP_1)
	v_pk_add_f32 v[34:35], v[34:35], v[36:37]
.LBB168_331:                            ;   in Loop: Header=BB168_3 Depth=1
	s_or_b32 exec_lo, exec_lo, s51
	s_barrier_signal -1
	s_barrier_wait -1
	s_and_saveexec_b32 s51, s10
	s_cbranch_execz .LBB168_333
; %bb.332:                              ;   in Loop: Header=BB168_3 Depth=1
	ds_load_b64 v[36:37], v5 offset:15600
	s_wait_dscnt 0x0
	v_pk_mul_f32 v[38:39], v[34:35], v[36:37] op_sel:[1,1] op_sel_hi:[1,0]
	s_delay_alu instid0(VALU_DEP_1) | instskip(SKIP_1) | instid1(VALU_DEP_2)
	v_pk_fma_f32 v[40:41], v[34:35], v[36:37], v[38:39] op_sel_hi:[0,1,1]
	v_pk_fma_f32 v[36:37], v[34:35], v[36:37], v[38:39] neg_lo:[0,0,1] neg_hi:[0,0,1]
	v_mov_b32_e32 v37, v41
	s_delay_alu instid0(VALU_DEP_1)
	v_mov_b64_e32 v[34:35], v[36:37]
	ds_store_b64 v66, v[36:37]
.LBB168_333:                            ;   in Loop: Header=BB168_3 Depth=1
	s_or_b32 exec_lo, exec_lo, s51
	s_wait_dscnt 0x0
	s_barrier_signal -1
	s_barrier_wait -1
	s_and_saveexec_b32 s51, s12
	s_cbranch_execz .LBB168_335
; %bb.334:                              ;   in Loop: Header=BB168_3 Depth=1
	ds_load_b64 v[36:37], v5 offset:15608
	ds_load_b64 v[38:39], v66
	s_wait_dscnt 0x0
	v_pk_mul_f32 v[40:41], v[38:39], v[36:37] op_sel:[1,1] op_sel_hi:[0,1]
	s_delay_alu instid0(VALU_DEP_1) | instskip(SKIP_1) | instid1(VALU_DEP_2)
	v_pk_fma_f32 v[98:99], v[38:39], v[36:37], v[40:41] op_sel_hi:[1,0,1]
	v_pk_fma_f32 v[36:37], v[38:39], v[36:37], v[40:41] neg_lo:[0,0,1] neg_hi:[0,0,1]
	v_mov_b32_e32 v37, v99
	s_delay_alu instid0(VALU_DEP_1)
	v_pk_add_f32 v[34:35], v[34:35], v[36:37]
.LBB168_335:                            ;   in Loop: Header=BB168_3 Depth=1
	s_or_b32 exec_lo, exec_lo, s51
	s_barrier_signal -1
	s_barrier_wait -1
	s_and_saveexec_b32 s51, s12
	s_cbranch_execz .LBB168_337
; %bb.336:                              ;   in Loop: Header=BB168_3 Depth=1
	ds_load_b64 v[36:37], v5 offset:16120
	s_wait_dscnt 0x0
	v_pk_mul_f32 v[38:39], v[34:35], v[36:37] op_sel:[1,1] op_sel_hi:[1,0]
	s_delay_alu instid0(VALU_DEP_1) | instskip(SKIP_1) | instid1(VALU_DEP_2)
	v_pk_fma_f32 v[40:41], v[34:35], v[36:37], v[38:39] op_sel_hi:[0,1,1]
	v_pk_fma_f32 v[36:37], v[34:35], v[36:37], v[38:39] neg_lo:[0,0,1] neg_hi:[0,0,1]
	v_mov_b32_e32 v37, v41
	s_delay_alu instid0(VALU_DEP_1)
	v_mov_b64_e32 v[34:35], v[36:37]
	ds_store_b64 v66, v[36:37]
.LBB168_337:                            ;   in Loop: Header=BB168_3 Depth=1
	s_or_b32 exec_lo, exec_lo, s51
	s_wait_dscnt 0x0
	s_barrier_signal -1
	s_barrier_wait -1
	s_barrier_signal -1
	s_barrier_wait -1
	s_and_saveexec_b32 s51, s7
; %bb.338:                              ;   in Loop: Header=BB168_3 Depth=1
	v_pk_add_f32 v[34:35], v[34:35], 0 neg_lo:[1,1] neg_hi:[1,1]
	ds_store_b64 v67, v[34:35] offset:128
; %bb.339:                              ;   in Loop: Header=BB168_3 Depth=1
	s_or_b32 exec_lo, exec_lo, s51
	s_wait_dscnt 0x0
	s_barrier_signal -1
	s_barrier_wait -1
	s_barrier_signal -1
	s_barrier_wait -1
	s_and_saveexec_b32 s51, s27
	s_cbranch_execz .LBB168_341
; %bb.340:                              ;   in Loop: Header=BB168_3 Depth=1
	ds_load_b64 v[34:35], v49 offset:128
	s_wait_dscnt 0x0
	ds_store_b64 v54, v[34:35] offset:8192
	ds_load_b64 v[34:35], v49 offset:136
	s_wait_dscnt 0x0
	ds_store_b64 v54, v[34:35] offset:8704
	;; [unrolled: 3-line block ×16, first 2 shown]
.LBB168_341:                            ;   in Loop: Header=BB168_3 Depth=1
	s_or_b32 exec_lo, exec_lo, s51
	s_wait_dscnt 0x0
	s_barrier_signal -1
	s_barrier_wait -1
	s_and_saveexec_b32 s51, s14
	s_cbranch_execz .LBB168_343
; %bb.342:                              ;   in Loop: Header=BB168_3 Depth=1
	ds_load_b128 v[34:37], v5 offset:8320
	ds_load_b64 v[38:39], v5 offset:8840
	s_wait_dscnt 0x1
	v_dual_mov_b32 v98, v37 :: v_dual_mov_b32 v99, v36
	s_wait_dscnt 0x0
	v_dual_mul_f32 v41, v39, v35 :: v_dual_mul_f32 v40, v38, v35
	s_delay_alu instid0(VALU_DEP_1) | instskip(NEXT) | instid1(VALU_DEP_1)
	v_xor_b32_e32 v42, 0x80000000, v41
	v_dual_fmac_f32 v40, v39, v34 :: v_dual_fmac_f32 v42, v38, v34
	s_delay_alu instid0(VALU_DEP_1) | instskip(NEXT) | instid1(VALU_DEP_1)
	v_pk_mul_f32 v[34:35], v[40:41], v[98:99] op_sel_hi:[0,1]
	v_pk_fma_f32 v[38:39], v[42:43], v[36:37], v[34:35] op_sel_hi:[0,1,1]
	v_pk_fma_f32 v[34:35], v[42:43], v[36:37], v[34:35] neg_lo:[0,0,1] neg_hi:[0,0,1]
	v_add_nc_u32_e64 v36, 0x2000, 0
	s_delay_alu instid0(VALU_DEP_3)
	v_mov_b32_e32 v35, v39
	ds_store_2addr_b64 v36, v[34:35], v[34:35] offset0:17 offset1:80
.LBB168_343:                            ;   in Loop: Header=BB168_3 Depth=1
	s_or_b32 exec_lo, exec_lo, s51
	v_mov_b32_e32 v35, 0
	s_wait_dscnt 0x0
	s_barrier_signal -1
	s_barrier_wait -1
	s_delay_alu instid0(VALU_DEP_1)
	v_mov_b32_e32 v34, v35
	s_and_saveexec_b32 s51, s3
	s_cbranch_execz .LBB168_347
; %bb.344:                              ;   in Loop: Header=BB168_3 Depth=1
	ds_load_b64 v[34:35], v44 offset:8336
	ds_load_b64 v[36:37], v45 offset:8320
	s_wait_dscnt 0x0
	v_dual_mul_f32 v38, v37, v35 :: v_dual_mul_f32 v39, v36, v35
	s_delay_alu instid0(VALU_DEP_1) | instskip(NEXT) | instid1(VALU_DEP_1)
	v_dual_fma_f32 v38, v36, v34, -v38 :: v_dual_fmac_f32 v39, v37, v34
	v_pk_add_f32 v[34:35], v[38:39], 0 op_sel_hi:[1,0]
	s_and_saveexec_b32 s52, s16
	s_cbranch_execz .LBB168_346
; %bb.345:                              ;   in Loop: Header=BB168_3 Depth=1
	ds_load_b64 v[36:37], v46 offset:8848
	ds_load_b64 v[38:39], v5 offset:8328
	s_wait_dscnt 0x0
	v_pk_mul_f32 v[40:41], v[38:39], v[36:37] op_sel:[1,1] op_sel_hi:[0,1]
	s_delay_alu instid0(VALU_DEP_1) | instskip(SKIP_1) | instid1(VALU_DEP_2)
	v_pk_fma_f32 v[98:99], v[38:39], v[36:37], v[40:41] op_sel_hi:[1,0,1]
	v_pk_fma_f32 v[36:37], v[38:39], v[36:37], v[40:41] neg_lo:[0,0,1] neg_hi:[0,0,1]
	v_mov_b32_e32 v37, v99
	s_delay_alu instid0(VALU_DEP_1)
	v_pk_add_f32 v[34:35], v[34:35], v[36:37]
.LBB168_346:                            ;   in Loop: Header=BB168_3 Depth=1
	s_or_b32 exec_lo, exec_lo, s52
	s_delay_alu instid0(VALU_DEP_1)
	v_pk_add_f32 v[34:35], v[34:35], 0 neg_lo:[1,1] neg_hi:[1,1]
.LBB168_347:                            ;   in Loop: Header=BB168_3 Depth=1
	s_or_b32 exec_lo, exec_lo, s51
	s_and_saveexec_b32 s51, s93
	s_cbranch_execz .LBB168_349
; %bb.348:                              ;   in Loop: Header=BB168_3 Depth=1
	ds_load_b64 v[36:37], v5 offset:9360
	s_wait_dscnt 0x0
	v_pk_mul_f32 v[38:39], v[34:35], v[36:37] op_sel:[1,1] op_sel_hi:[1,0]
	s_delay_alu instid0(VALU_DEP_1) | instskip(SKIP_1) | instid1(VALU_DEP_2)
	v_pk_fma_f32 v[40:41], v[34:35], v[36:37], v[38:39] op_sel_hi:[0,1,1]
	v_pk_fma_f32 v[36:37], v[34:35], v[36:37], v[38:39] neg_lo:[0,0,1] neg_hi:[0,0,1]
	v_mov_b32_e32 v37, v41
	s_delay_alu instid0(VALU_DEP_1)
	v_mov_b64_e32 v[34:35], v[36:37]
	ds_store_b64 v3, v[36:37]
.LBB168_349:                            ;   in Loop: Header=BB168_3 Depth=1
	s_or_b32 exec_lo, exec_lo, s51
	s_wait_dscnt 0x0
	s_barrier_signal -1
	s_barrier_wait -1
	s_and_saveexec_b32 s51, s94
	s_cbranch_execz .LBB168_351
; %bb.350:                              ;   in Loop: Header=BB168_3 Depth=1
	ds_load_b64 v[36:37], v5 offset:9368
	ds_load_b64 v[38:39], v3
	s_wait_dscnt 0x0
	v_pk_mul_f32 v[40:41], v[38:39], v[36:37] op_sel:[1,1] op_sel_hi:[0,1]
	s_delay_alu instid0(VALU_DEP_1) | instskip(SKIP_1) | instid1(VALU_DEP_2)
	v_pk_fma_f32 v[98:99], v[38:39], v[36:37], v[40:41] op_sel_hi:[1,0,1]
	v_pk_fma_f32 v[36:37], v[38:39], v[36:37], v[40:41] neg_lo:[0,0,1] neg_hi:[0,0,1]
	v_mov_b32_e32 v37, v99
	s_delay_alu instid0(VALU_DEP_1)
	v_pk_add_f32 v[34:35], v[34:35], v[36:37]
.LBB168_351:                            ;   in Loop: Header=BB168_3 Depth=1
	s_or_b32 exec_lo, exec_lo, s51
	s_barrier_signal -1
	s_barrier_wait -1
	s_and_saveexec_b32 s51, s94
	s_cbranch_execz .LBB168_353
; %bb.352:                              ;   in Loop: Header=BB168_3 Depth=1
	ds_load_b64 v[36:37], v5 offset:9880
	s_wait_dscnt 0x0
	v_pk_mul_f32 v[38:39], v[34:35], v[36:37] op_sel:[1,1] op_sel_hi:[1,0]
	s_delay_alu instid0(VALU_DEP_1) | instskip(SKIP_1) | instid1(VALU_DEP_2)
	v_pk_fma_f32 v[40:41], v[34:35], v[36:37], v[38:39] op_sel_hi:[0,1,1]
	v_pk_fma_f32 v[36:37], v[34:35], v[36:37], v[38:39] neg_lo:[0,0,1] neg_hi:[0,0,1]
	v_mov_b32_e32 v37, v41
	s_delay_alu instid0(VALU_DEP_1)
	v_mov_b64_e32 v[34:35], v[36:37]
	ds_store_b64 v3, v[36:37]
.LBB168_353:                            ;   in Loop: Header=BB168_3 Depth=1
	s_or_b32 exec_lo, exec_lo, s51
	s_wait_dscnt 0x0
	s_barrier_signal -1
	s_barrier_wait -1
	s_barrier_signal -1
	s_barrier_wait -1
	s_and_saveexec_b32 s51, s3
; %bb.354:                              ;   in Loop: Header=BB168_3 Depth=1
	v_pk_add_f32 v[34:35], v[34:35], 0 neg_lo:[1,1] neg_hi:[1,1]
	ds_store_b64 v44, v[34:35] offset:8336
; %bb.355:                              ;   in Loop: Header=BB168_3 Depth=1
	s_or_b32 exec_lo, exec_lo, s51
	s_wait_dscnt 0x0
	s_barrier_signal -1
	s_barrier_wait -1
	s_barrier_signal -1
	s_barrier_wait -1
	s_and_saveexec_b32 s51, s95
	s_cbranch_execz .LBB168_357
; %bb.356:                              ;   in Loop: Header=BB168_3 Depth=1
	ds_load_b64 v[34:35], v49 offset:8336
	s_wait_dscnt 0x0
	ds_store_b64 v46, v[34:35] offset:9344
	ds_load_b64 v[34:35], v49 offset:8344
	s_wait_dscnt 0x0
	ds_store_b64 v46, v[34:35] offset:9856
.LBB168_357:                            ;   in Loop: Header=BB168_3 Depth=1
	s_or_b32 exec_lo, exec_lo, s51
	s_wait_dscnt 0x0
	s_barrier_signal -1
	s_barrier_wait -1
	s_and_saveexec_b32 s51, s14
	s_cbranch_execz .LBB168_359
; %bb.358:                              ;   in Loop: Header=BB168_3 Depth=1
	ds_load_b128 v[34:37], v5 offset:9360
	ds_load_b64 v[38:39], v5 offset:9880
	s_wait_dscnt 0x1
	v_dual_mov_b32 v98, v37 :: v_dual_mov_b32 v99, v36
	s_wait_dscnt 0x0
	v_dual_mul_f32 v41, v39, v35 :: v_dual_mul_f32 v40, v38, v35
	s_delay_alu instid0(VALU_DEP_1) | instskip(NEXT) | instid1(VALU_DEP_1)
	v_xor_b32_e32 v42, 0x80000000, v41
	v_dual_fmac_f32 v40, v39, v34 :: v_dual_fmac_f32 v42, v38, v34
	s_delay_alu instid0(VALU_DEP_1) | instskip(NEXT) | instid1(VALU_DEP_1)
	v_pk_mul_f32 v[34:35], v[40:41], v[98:99] op_sel_hi:[0,1]
	v_pk_fma_f32 v[38:39], v[42:43], v[36:37], v[34:35] op_sel_hi:[0,1,1]
	v_pk_fma_f32 v[34:35], v[42:43], v[36:37], v[34:35] neg_lo:[0,0,1] neg_hi:[0,0,1]
	v_add_nc_u32_e64 v36, 0x2000, 0
	s_delay_alu instid0(VALU_DEP_3)
	v_mov_b32_e32 v35, v39
	ds_store_2addr_b64 v36, v[34:35], v[34:35] offset0:147 offset1:210
.LBB168_359:                            ;   in Loop: Header=BB168_3 Depth=1
	s_or_b32 exec_lo, exec_lo, s51
	v_mov_b32_e32 v34, 0
	s_wait_dscnt 0x0
	s_barrier_signal -1
	s_barrier_wait -1
	s_delay_alu instid0(VALU_DEP_1)
	v_mov_b32_e32 v35, v34
	s_and_saveexec_b32 s51, s5
	s_cbranch_execz .LBB168_365
; %bb.360:                              ;   in Loop: Header=BB168_3 Depth=1
	ds_load_b64 v[34:35], v51 offset:8352
	ds_load_b64 v[36:37], v47 offset:8320
	s_wait_dscnt 0x0
	v_pk_mul_f32 v[38:39], v[36:37], v[34:35] op_sel:[0,1]
	s_delay_alu instid0(VALU_DEP_1) | instskip(SKIP_1) | instid1(VALU_DEP_2)
	v_pk_fma_f32 v[40:41], v[36:37], v[34:35], v[38:39] op_sel:[1,0,0] op_sel_hi:[0,0,1] neg_lo:[0,0,1] neg_hi:[0,0,1]
	v_pk_fma_f32 v[34:35], v[36:37], v[34:35], v[38:39] op_sel:[1,0,0] op_sel_hi:[0,1,1]
	v_mov_b32_e32 v35, v41
	s_delay_alu instid0(VALU_DEP_1)
	v_pk_add_f32 v[34:35], v[34:35], 0 op_sel_hi:[1,0]
	s_and_saveexec_b32 s52, s17
	s_cbranch_execnz .LBB168_1138
; %bb.361:                              ;   in Loop: Header=BB168_3 Depth=1
	s_or_b32 exec_lo, exec_lo, s52
	s_and_saveexec_b32 s52, s18
	s_cbranch_execnz .LBB168_1139
.LBB168_362:                            ;   in Loop: Header=BB168_3 Depth=1
	s_or_b32 exec_lo, exec_lo, s52
	s_and_saveexec_b32 s52, s3
	s_cbranch_execz .LBB168_364
.LBB168_363:                            ;   in Loop: Header=BB168_3 Depth=1
	ds_load_b64 v[36:37], v54 offset:9888
	ds_load_b64 v[38:39], v5 offset:8344
	s_wait_dscnt 0x0
	v_pk_mul_f32 v[40:41], v[38:39], v[36:37] op_sel:[0,1]
	s_delay_alu instid0(VALU_DEP_1) | instskip(SKIP_1) | instid1(VALU_DEP_2)
	v_pk_fma_f32 v[98:99], v[38:39], v[36:37], v[40:41] op_sel:[1,0,0] op_sel_hi:[0,0,1] neg_lo:[0,0,1] neg_hi:[0,0,1]
	v_pk_fma_f32 v[36:37], v[38:39], v[36:37], v[40:41] op_sel:[1,0,0] op_sel_hi:[0,1,1]
	v_mov_b32_e32 v37, v99
	s_delay_alu instid0(VALU_DEP_1)
	v_pk_add_f32 v[34:35], v[34:35], v[36:37]
.LBB168_364:                            ;   in Loop: Header=BB168_3 Depth=1
	s_or_b32 exec_lo, exec_lo, s52
	s_delay_alu instid0(VALU_DEP_1) | instskip(NEXT) | instid1(VALU_DEP_1)
	v_pk_add_f32 v[36:37], v[34:35], 0 neg_lo:[1,1] neg_hi:[1,1]
	v_dual_mov_b32 v34, v37 :: v_dual_mov_b32 v35, v36
.LBB168_365:                            ;   in Loop: Header=BB168_3 Depth=1
	s_or_b32 exec_lo, exec_lo, s51
	s_and_saveexec_b32 s51, s96
	s_cbranch_execz .LBB168_367
; %bb.366:                              ;   in Loop: Header=BB168_3 Depth=1
	ds_load_b64 v[36:37], v5 offset:10400
	v_dual_mov_b32 v38, v35 :: v_dual_mov_b32 v39, v34
	s_wait_dscnt 0x0
	s_delay_alu instid0(VALU_DEP_1) | instskip(NEXT) | instid1(VALU_DEP_1)
	v_dual_mul_f32 v40, v38, v36 :: v_dual_mul_f32 v42, v35, v37
	v_pk_fma_f32 v[38:39], v[38:39], v[36:37], v[40:41] op_sel_hi:[1,1,0]
	s_delay_alu instid0(VALU_DEP_2) | instskip(NEXT) | instid1(VALU_DEP_2)
	v_pk_fma_f32 v[34:35], v[34:35], v[36:37], v[42:43] op_sel_hi:[1,1,0] neg_lo:[0,0,1] neg_hi:[0,0,1]
	v_mov_b32_e32 v35, v39
	ds_store_b64 v50, v[34:35]
.LBB168_367:                            ;   in Loop: Header=BB168_3 Depth=1
	s_or_b32 exec_lo, exec_lo, s51
	s_wait_dscnt 0x0
	s_barrier_signal -1
	s_barrier_wait -1
	s_and_saveexec_b32 s51, s97
	s_cbranch_execz .LBB168_369
; %bb.368:                              ;   in Loop: Header=BB168_3 Depth=1
	ds_load_b64 v[36:37], v48 offset:10400
	ds_load_b64 v[38:39], v50
	s_wait_dscnt 0x0
	v_dual_mul_f32 v40, v39, v37 :: v_dual_mul_f32 v41, v38, v37
	s_delay_alu instid0(VALU_DEP_1) | instskip(NEXT) | instid1(VALU_DEP_1)
	v_dual_fma_f32 v40, v38, v36, -v40 :: v_dual_fmac_f32 v41, v39, v36
	v_pk_add_f32 v[34:35], v[34:35], v[40:41]
.LBB168_369:                            ;   in Loop: Header=BB168_3 Depth=1
	s_or_b32 exec_lo, exec_lo, s51
	s_barrier_signal -1
	s_barrier_wait -1
	s_and_saveexec_b32 s51, s98
	s_cbranch_execz .LBB168_371
; %bb.370:                              ;   in Loop: Header=BB168_3 Depth=1
	ds_load_b64 v[36:37], v5 offset:10920
	s_wait_dscnt 0x0
	v_pk_mul_f32 v[38:39], v[34:35], v[36:37] op_sel:[1,1] op_sel_hi:[1,0]
	s_delay_alu instid0(VALU_DEP_1) | instskip(SKIP_1) | instid1(VALU_DEP_2)
	v_pk_fma_f32 v[40:41], v[34:35], v[36:37], v[38:39] op_sel_hi:[0,1,1]
	v_pk_fma_f32 v[36:37], v[34:35], v[36:37], v[38:39] neg_lo:[0,0,1] neg_hi:[0,0,1]
	v_mov_b32_e32 v37, v41
	s_delay_alu instid0(VALU_DEP_1)
	v_mov_b64_e32 v[34:35], v[36:37]
	ds_store_b64 v50, v[36:37]
.LBB168_371:                            ;   in Loop: Header=BB168_3 Depth=1
	s_or_b32 exec_lo, exec_lo, s51
	s_wait_dscnt 0x0
	s_barrier_signal -1
	s_barrier_wait -1
	s_and_saveexec_b32 s51, s99
	s_cbranch_execz .LBB168_373
; %bb.372:                              ;   in Loop: Header=BB168_3 Depth=1
	ds_load_b64 v[36:37], v48 offset:10912
	ds_load_b64 v[38:39], v50
	s_wait_dscnt 0x0
	v_pk_mul_f32 v[40:41], v[38:39], v[36:37] op_sel:[1,1] op_sel_hi:[0,1]
	s_delay_alu instid0(VALU_DEP_1) | instskip(SKIP_1) | instid1(VALU_DEP_2)
	v_pk_fma_f32 v[98:99], v[38:39], v[36:37], v[40:41] op_sel_hi:[1,0,1]
	v_pk_fma_f32 v[36:37], v[38:39], v[36:37], v[40:41] neg_lo:[0,0,1] neg_hi:[0,0,1]
	v_mov_b32_e32 v37, v99
	s_delay_alu instid0(VALU_DEP_1)
	v_pk_add_f32 v[34:35], v[34:35], v[36:37]
.LBB168_373:                            ;   in Loop: Header=BB168_3 Depth=1
	s_or_b32 exec_lo, exec_lo, s51
	s_barrier_signal -1
	s_barrier_wait -1
	s_and_saveexec_b32 s51, s100
	s_cbranch_execz .LBB168_375
; %bb.374:                              ;   in Loop: Header=BB168_3 Depth=1
	ds_load_b64 v[36:37], v5 offset:11440
	s_wait_dscnt 0x0
	v_pk_mul_f32 v[38:39], v[34:35], v[36:37] op_sel:[1,1] op_sel_hi:[1,0]
	s_delay_alu instid0(VALU_DEP_1) | instskip(SKIP_1) | instid1(VALU_DEP_2)
	v_pk_fma_f32 v[40:41], v[34:35], v[36:37], v[38:39] op_sel_hi:[0,1,1]
	v_pk_fma_f32 v[36:37], v[34:35], v[36:37], v[38:39] neg_lo:[0,0,1] neg_hi:[0,0,1]
	v_mov_b32_e32 v37, v41
	s_delay_alu instid0(VALU_DEP_1)
	v_mov_b64_e32 v[34:35], v[36:37]
	ds_store_b64 v50, v[36:37]
.LBB168_375:                            ;   in Loop: Header=BB168_3 Depth=1
	s_or_b32 exec_lo, exec_lo, s51
	s_wait_dscnt 0x0
	s_barrier_signal -1
	s_barrier_wait -1
	s_and_saveexec_b32 s51, s101
	s_cbranch_execz .LBB168_377
; %bb.376:                              ;   in Loop: Header=BB168_3 Depth=1
	ds_load_b64 v[36:37], v5 offset:11448
	ds_load_b64 v[38:39], v50
	s_wait_dscnt 0x0
	v_pk_mul_f32 v[40:41], v[38:39], v[36:37] op_sel:[1,1] op_sel_hi:[0,1]
	s_delay_alu instid0(VALU_DEP_1) | instskip(SKIP_1) | instid1(VALU_DEP_2)
	v_pk_fma_f32 v[98:99], v[38:39], v[36:37], v[40:41] op_sel_hi:[1,0,1]
	v_pk_fma_f32 v[36:37], v[38:39], v[36:37], v[40:41] neg_lo:[0,0,1] neg_hi:[0,0,1]
	v_mov_b32_e32 v37, v99
	s_delay_alu instid0(VALU_DEP_1)
	v_pk_add_f32 v[34:35], v[34:35], v[36:37]
.LBB168_377:                            ;   in Loop: Header=BB168_3 Depth=1
	s_or_b32 exec_lo, exec_lo, s51
	s_barrier_signal -1
	s_barrier_wait -1
	s_and_saveexec_b32 s51, s101
	s_cbranch_execz .LBB168_379
; %bb.378:                              ;   in Loop: Header=BB168_3 Depth=1
	ds_load_b64 v[36:37], v5 offset:11960
	s_wait_dscnt 0x0
	v_pk_mul_f32 v[38:39], v[34:35], v[36:37] op_sel:[1,1] op_sel_hi:[1,0]
	s_delay_alu instid0(VALU_DEP_1) | instskip(SKIP_1) | instid1(VALU_DEP_2)
	v_pk_fma_f32 v[40:41], v[34:35], v[36:37], v[38:39] op_sel_hi:[0,1,1]
	v_pk_fma_f32 v[36:37], v[34:35], v[36:37], v[38:39] neg_lo:[0,0,1] neg_hi:[0,0,1]
	v_mov_b32_e32 v37, v41
	s_delay_alu instid0(VALU_DEP_1)
	v_mov_b64_e32 v[34:35], v[36:37]
	ds_store_b64 v50, v[36:37]
.LBB168_379:                            ;   in Loop: Header=BB168_3 Depth=1
	s_or_b32 exec_lo, exec_lo, s51
	s_wait_dscnt 0x0
	s_barrier_signal -1
	s_barrier_wait -1
	s_barrier_signal -1
	s_barrier_wait -1
	s_and_saveexec_b32 s51, s5
; %bb.380:                              ;   in Loop: Header=BB168_3 Depth=1
	v_pk_add_f32 v[34:35], v[34:35], 0 neg_lo:[1,1] neg_hi:[1,1]
	ds_store_b64 v51, v[34:35] offset:8352
; %bb.381:                              ;   in Loop: Header=BB168_3 Depth=1
	s_or_b32 exec_lo, exec_lo, s51
	s_wait_dscnt 0x0
	s_barrier_signal -1
	s_barrier_wait -1
	s_barrier_signal -1
	s_barrier_wait -1
	s_and_saveexec_b32 s51, s102
	s_cbranch_execz .LBB168_383
; %bb.382:                              ;   in Loop: Header=BB168_3 Depth=1
	ds_load_b64 v[34:35], v55 offset:8352
	s_wait_dscnt 0x0
	ds_store_b64 v56, v[34:35] offset:10368
	ds_load_b64 v[34:35], v55 offset:8360
	s_wait_dscnt 0x0
	ds_store_b64 v56, v[34:35] offset:10880
	;; [unrolled: 3-line block ×4, first 2 shown]
.LBB168_383:                            ;   in Loop: Header=BB168_3 Depth=1
	s_or_b32 exec_lo, exec_lo, s51
	s_wait_dscnt 0x0
	s_barrier_signal -1
	s_barrier_wait -1
	s_and_saveexec_b32 s51, s14
	s_cbranch_execz .LBB168_385
; %bb.384:                              ;   in Loop: Header=BB168_3 Depth=1
	ds_load_b128 v[34:37], v5 offset:10400
	ds_load_b64 v[38:39], v5 offset:10920
	s_wait_dscnt 0x1
	v_dual_mov_b32 v98, v37 :: v_dual_mov_b32 v99, v36
	s_wait_dscnt 0x0
	v_dual_mul_f32 v41, v39, v35 :: v_dual_mul_f32 v40, v38, v35
	s_delay_alu instid0(VALU_DEP_1) | instskip(NEXT) | instid1(VALU_DEP_1)
	v_xor_b32_e32 v42, 0x80000000, v41
	v_dual_fmac_f32 v40, v39, v34 :: v_dual_fmac_f32 v42, v38, v34
	s_delay_alu instid0(VALU_DEP_1) | instskip(NEXT) | instid1(VALU_DEP_1)
	v_pk_mul_f32 v[34:35], v[40:41], v[98:99] op_sel_hi:[0,1]
	v_pk_fma_f32 v[38:39], v[42:43], v[36:37], v[34:35] op_sel_hi:[0,1,1]
	v_pk_fma_f32 v[34:35], v[42:43], v[36:37], v[34:35] neg_lo:[0,0,1] neg_hi:[0,0,1]
	v_add_nc_u32_e64 v36, 0x2800, 0
	s_delay_alu instid0(VALU_DEP_3)
	v_mov_b32_e32 v35, v39
	ds_store_2addr_b64 v36, v[34:35], v[34:35] offset0:21 offset1:84
.LBB168_385:                            ;   in Loop: Header=BB168_3 Depth=1
	s_or_b32 exec_lo, exec_lo, s51
	v_mov_b32_e32 v35, 0
	s_wait_dscnt 0x0
	s_barrier_signal -1
	s_barrier_wait -1
	s_delay_alu instid0(VALU_DEP_1)
	v_mov_b32_e32 v34, v35
	s_and_saveexec_b32 s51, s3
	s_cbranch_execz .LBB168_389
; %bb.386:                              ;   in Loop: Header=BB168_3 Depth=1
	ds_load_b64 v[34:35], v44 offset:10416
	ds_load_b64 v[36:37], v45 offset:10400
	s_wait_dscnt 0x0
	v_dual_mul_f32 v38, v37, v35 :: v_dual_mul_f32 v39, v36, v35
	s_delay_alu instid0(VALU_DEP_1) | instskip(NEXT) | instid1(VALU_DEP_1)
	v_dual_fma_f32 v38, v36, v34, -v38 :: v_dual_fmac_f32 v39, v37, v34
	v_pk_add_f32 v[34:35], v[38:39], 0 op_sel_hi:[1,0]
	s_and_saveexec_b32 s52, s16
	s_cbranch_execz .LBB168_388
; %bb.387:                              ;   in Loop: Header=BB168_3 Depth=1
	ds_load_b64 v[36:37], v56 offset:10928
	ds_load_b64 v[38:39], v5 offset:10408
	s_wait_dscnt 0x0
	v_pk_mul_f32 v[40:41], v[38:39], v[36:37] op_sel:[1,1] op_sel_hi:[0,1]
	s_delay_alu instid0(VALU_DEP_1) | instskip(SKIP_1) | instid1(VALU_DEP_2)
	v_pk_fma_f32 v[98:99], v[38:39], v[36:37], v[40:41] op_sel_hi:[1,0,1]
	v_pk_fma_f32 v[36:37], v[38:39], v[36:37], v[40:41] neg_lo:[0,0,1] neg_hi:[0,0,1]
	v_mov_b32_e32 v37, v99
	s_delay_alu instid0(VALU_DEP_1)
	v_pk_add_f32 v[34:35], v[34:35], v[36:37]
.LBB168_388:                            ;   in Loop: Header=BB168_3 Depth=1
	s_or_b32 exec_lo, exec_lo, s52
	s_delay_alu instid0(VALU_DEP_1)
	v_pk_add_f32 v[34:35], v[34:35], 0 neg_lo:[1,1] neg_hi:[1,1]
.LBB168_389:                            ;   in Loop: Header=BB168_3 Depth=1
	s_or_b32 exec_lo, exec_lo, s51
	s_and_saveexec_b32 s51, s93
	s_cbranch_execz .LBB168_391
; %bb.390:                              ;   in Loop: Header=BB168_3 Depth=1
	ds_load_b64 v[36:37], v5 offset:11440
	s_wait_dscnt 0x0
	v_pk_mul_f32 v[38:39], v[34:35], v[36:37] op_sel:[1,1] op_sel_hi:[1,0]
	s_delay_alu instid0(VALU_DEP_1) | instskip(SKIP_1) | instid1(VALU_DEP_2)
	v_pk_fma_f32 v[40:41], v[34:35], v[36:37], v[38:39] op_sel_hi:[0,1,1]
	v_pk_fma_f32 v[36:37], v[34:35], v[36:37], v[38:39] neg_lo:[0,0,1] neg_hi:[0,0,1]
	v_mov_b32_e32 v37, v41
	s_delay_alu instid0(VALU_DEP_1)
	v_mov_b64_e32 v[34:35], v[36:37]
	ds_store_b64 v3, v[36:37]
.LBB168_391:                            ;   in Loop: Header=BB168_3 Depth=1
	s_or_b32 exec_lo, exec_lo, s51
	s_wait_dscnt 0x0
	s_barrier_signal -1
	s_barrier_wait -1
	s_and_saveexec_b32 s51, s94
	s_cbranch_execz .LBB168_393
; %bb.392:                              ;   in Loop: Header=BB168_3 Depth=1
	ds_load_b64 v[36:37], v5 offset:11448
	ds_load_b64 v[38:39], v3
	s_wait_dscnt 0x0
	v_pk_mul_f32 v[40:41], v[38:39], v[36:37] op_sel:[1,1] op_sel_hi:[0,1]
	s_delay_alu instid0(VALU_DEP_1) | instskip(SKIP_1) | instid1(VALU_DEP_2)
	v_pk_fma_f32 v[98:99], v[38:39], v[36:37], v[40:41] op_sel_hi:[1,0,1]
	v_pk_fma_f32 v[36:37], v[38:39], v[36:37], v[40:41] neg_lo:[0,0,1] neg_hi:[0,0,1]
	v_mov_b32_e32 v37, v99
	s_delay_alu instid0(VALU_DEP_1)
	v_pk_add_f32 v[34:35], v[34:35], v[36:37]
.LBB168_393:                            ;   in Loop: Header=BB168_3 Depth=1
	s_or_b32 exec_lo, exec_lo, s51
	s_barrier_signal -1
	s_barrier_wait -1
	s_and_saveexec_b32 s51, s94
	s_cbranch_execz .LBB168_395
; %bb.394:                              ;   in Loop: Header=BB168_3 Depth=1
	ds_load_b64 v[36:37], v5 offset:11960
	s_wait_dscnt 0x0
	v_pk_mul_f32 v[38:39], v[34:35], v[36:37] op_sel:[1,1] op_sel_hi:[1,0]
	s_delay_alu instid0(VALU_DEP_1) | instskip(SKIP_1) | instid1(VALU_DEP_2)
	v_pk_fma_f32 v[40:41], v[34:35], v[36:37], v[38:39] op_sel_hi:[0,1,1]
	v_pk_fma_f32 v[36:37], v[34:35], v[36:37], v[38:39] neg_lo:[0,0,1] neg_hi:[0,0,1]
	v_mov_b32_e32 v37, v41
	s_delay_alu instid0(VALU_DEP_1)
	v_mov_b64_e32 v[34:35], v[36:37]
	ds_store_b64 v3, v[36:37]
.LBB168_395:                            ;   in Loop: Header=BB168_3 Depth=1
	s_or_b32 exec_lo, exec_lo, s51
	s_wait_dscnt 0x0
	s_barrier_signal -1
	s_barrier_wait -1
	s_barrier_signal -1
	s_barrier_wait -1
	s_and_saveexec_b32 s51, s3
; %bb.396:                              ;   in Loop: Header=BB168_3 Depth=1
	v_pk_add_f32 v[34:35], v[34:35], 0 neg_lo:[1,1] neg_hi:[1,1]
	ds_store_b64 v44, v[34:35] offset:10416
; %bb.397:                              ;   in Loop: Header=BB168_3 Depth=1
	s_or_b32 exec_lo, exec_lo, s51
	s_wait_dscnt 0x0
	s_barrier_signal -1
	s_barrier_wait -1
	s_barrier_signal -1
	s_barrier_wait -1
	s_and_saveexec_b32 s51, s95
	s_cbranch_execz .LBB168_399
; %bb.398:                              ;   in Loop: Header=BB168_3 Depth=1
	ds_load_b64 v[34:35], v58 offset:10416
	s_wait_dscnt 0x0
	ds_store_b64 v56, v[34:35] offset:11424
	ds_load_b64 v[34:35], v58 offset:10424
	s_wait_dscnt 0x0
	ds_store_b64 v56, v[34:35] offset:11936
.LBB168_399:                            ;   in Loop: Header=BB168_3 Depth=1
	s_or_b32 exec_lo, exec_lo, s51
	s_wait_dscnt 0x0
	s_barrier_signal -1
	s_barrier_wait -1
	s_and_saveexec_b32 s51, s14
	s_cbranch_execz .LBB168_401
; %bb.400:                              ;   in Loop: Header=BB168_3 Depth=1
	ds_load_b128 v[34:37], v5 offset:11440
	ds_load_b64 v[38:39], v5 offset:11960
	s_wait_dscnt 0x1
	v_dual_mov_b32 v98, v37 :: v_dual_mov_b32 v99, v36
	s_wait_dscnt 0x0
	v_dual_mul_f32 v41, v39, v35 :: v_dual_mul_f32 v40, v38, v35
	s_delay_alu instid0(VALU_DEP_1) | instskip(NEXT) | instid1(VALU_DEP_1)
	v_xor_b32_e32 v42, 0x80000000, v41
	v_dual_fmac_f32 v40, v39, v34 :: v_dual_fmac_f32 v42, v38, v34
	s_delay_alu instid0(VALU_DEP_1) | instskip(NEXT) | instid1(VALU_DEP_1)
	v_pk_mul_f32 v[34:35], v[40:41], v[98:99] op_sel_hi:[0,1]
	v_pk_fma_f32 v[38:39], v[42:43], v[36:37], v[34:35] op_sel_hi:[0,1,1]
	v_pk_fma_f32 v[34:35], v[42:43], v[36:37], v[34:35] neg_lo:[0,0,1] neg_hi:[0,0,1]
	v_add_nc_u32_e64 v36, 0x2800, 0
	s_delay_alu instid0(VALU_DEP_3)
	v_mov_b32_e32 v35, v39
	ds_store_2addr_b64 v36, v[34:35], v[34:35] offset0:151 offset1:214
.LBB168_401:                            ;   in Loop: Header=BB168_3 Depth=1
	s_or_b32 exec_lo, exec_lo, s51
	v_mov_b32_e32 v34, 0
	s_wait_dscnt 0x0
	s_barrier_signal -1
	s_barrier_wait -1
	s_delay_alu instid0(VALU_DEP_1)
	v_mov_b32_e32 v35, v34
	s_and_saveexec_b32 s51, s6
	s_cbranch_execz .LBB168_411
; %bb.402:                              ;   in Loop: Header=BB168_3 Depth=1
	ds_load_b64 v[34:35], v61 offset:8384
	ds_load_b64 v[36:37], v57 offset:8320
	s_wait_dscnt 0x0
	v_dual_mul_f32 v38, v37, v35 :: v_dual_mul_f32 v39, v36, v35
	s_delay_alu instid0(VALU_DEP_1) | instskip(NEXT) | instid1(VALU_DEP_1)
	v_dual_fma_f32 v35, v36, v34, -v38 :: v_dual_fmac_f32 v39, v37, v34
	v_add_f32_e32 v35, 0, v35
	s_delay_alu instid0(VALU_DEP_2)
	v_add_f32_e32 v34, 0, v39
	s_and_saveexec_b32 s52, s19
	s_cbranch_execnz .LBB168_1140
; %bb.403:                              ;   in Loop: Header=BB168_3 Depth=1
	s_or_b32 exec_lo, exec_lo, s52
	s_and_saveexec_b32 s52, s20
	s_cbranch_execnz .LBB168_1141
.LBB168_404:                            ;   in Loop: Header=BB168_3 Depth=1
	s_or_b32 exec_lo, exec_lo, s52
	s_and_saveexec_b32 s52, s21
	s_cbranch_execnz .LBB168_1142
.LBB168_405:                            ;   in Loop: Header=BB168_3 Depth=1
	s_or_b32 exec_lo, exec_lo, s52
	s_and_saveexec_b32 s52, s22
	s_cbranch_execnz .LBB168_1143
.LBB168_406:                            ;   in Loop: Header=BB168_3 Depth=1
	s_or_b32 exec_lo, exec_lo, s52
	s_and_saveexec_b32 s52, s23
	s_cbranch_execnz .LBB168_1144
.LBB168_407:                            ;   in Loop: Header=BB168_3 Depth=1
	s_or_b32 exec_lo, exec_lo, s52
	s_and_saveexec_b32 s52, s5
	s_cbranch_execnz .LBB168_1145
.LBB168_408:                            ;   in Loop: Header=BB168_3 Depth=1
	s_or_b32 exec_lo, exec_lo, s52
	s_and_saveexec_b32 s52, s18
	s_cbranch_execz .LBB168_410
.LBB168_409:                            ;   in Loop: Header=BB168_3 Depth=1
	ds_load_b64 v[36:37], v63 offset:11968
	ds_load_b64 v[38:39], v5 offset:8376
	s_wait_dscnt 0x0
	v_pk_mul_f32 v[40:41], v[38:39], v[36:37] op_sel:[0,1]
	s_delay_alu instid0(VALU_DEP_1) | instskip(SKIP_1) | instid1(VALU_DEP_2)
	v_pk_fma_f32 v[98:99], v[38:39], v[36:37], v[40:41] op_sel:[1,0,0] op_sel_hi:[0,0,1] neg_lo:[0,0,1] neg_hi:[0,0,1]
	v_pk_fma_f32 v[36:37], v[38:39], v[36:37], v[40:41] op_sel:[1,0,0] op_sel_hi:[0,1,1]
	v_mov_b32_e32 v37, v99
	s_delay_alu instid0(VALU_DEP_1)
	v_pk_add_f32 v[34:35], v[34:35], v[36:37]
.LBB168_410:                            ;   in Loop: Header=BB168_3 Depth=1
	s_or_b32 exec_lo, exec_lo, s52
	s_delay_alu instid0(VALU_DEP_1) | instskip(NEXT) | instid1(VALU_DEP_1)
	v_pk_add_f32 v[36:37], v[34:35], 0 neg_lo:[1,1] neg_hi:[1,1]
	v_dual_mov_b32 v34, v37 :: v_dual_mov_b32 v35, v36
.LBB168_411:                            ;   in Loop: Header=BB168_3 Depth=1
	s_or_b32 exec_lo, exec_lo, s51
	s_and_saveexec_b32 s51, s103
	s_cbranch_execz .LBB168_413
; %bb.412:                              ;   in Loop: Header=BB168_3 Depth=1
	ds_load_b64 v[36:37], v5 offset:12480
	v_dual_mov_b32 v38, v35 :: v_dual_mov_b32 v39, v34
	s_wait_dscnt 0x0
	s_delay_alu instid0(VALU_DEP_1) | instskip(NEXT) | instid1(VALU_DEP_1)
	v_dual_mul_f32 v40, v38, v36 :: v_dual_mul_f32 v42, v35, v37
	v_pk_fma_f32 v[38:39], v[38:39], v[36:37], v[40:41] op_sel_hi:[1,1,0]
	s_delay_alu instid0(VALU_DEP_2) | instskip(NEXT) | instid1(VALU_DEP_2)
	v_pk_fma_f32 v[34:35], v[34:35], v[36:37], v[42:43] op_sel_hi:[1,1,0] neg_lo:[0,0,1] neg_hi:[0,0,1]
	v_mov_b32_e32 v35, v39
	ds_store_b64 v60, v[34:35]
.LBB168_413:                            ;   in Loop: Header=BB168_3 Depth=1
	s_or_b32 exec_lo, exec_lo, s51
	s_wait_dscnt 0x0
	s_barrier_signal -1
	s_barrier_wait -1
	s_and_saveexec_b32 s51, s104
	s_cbranch_execz .LBB168_415
; %bb.414:                              ;   in Loop: Header=BB168_3 Depth=1
	ds_load_b64 v[36:37], v59 offset:12480
	ds_load_b64 v[38:39], v60
	s_wait_dscnt 0x0
	v_dual_mul_f32 v40, v39, v37 :: v_dual_mul_f32 v41, v38, v37
	s_delay_alu instid0(VALU_DEP_1) | instskip(NEXT) | instid1(VALU_DEP_1)
	v_dual_fma_f32 v40, v38, v36, -v40 :: v_dual_fmac_f32 v41, v39, v36
	v_pk_add_f32 v[34:35], v[34:35], v[40:41]
.LBB168_415:                            ;   in Loop: Header=BB168_3 Depth=1
	s_or_b32 exec_lo, exec_lo, s51
	s_barrier_signal -1
	s_barrier_wait -1
	s_and_saveexec_b32 s51, vcc_hi
	s_cbranch_execz .LBB168_417
; %bb.416:                              ;   in Loop: Header=BB168_3 Depth=1
	ds_load_b64 v[36:37], v5 offset:13000
	s_wait_dscnt 0x0
	v_pk_mul_f32 v[38:39], v[34:35], v[36:37] op_sel:[1,1] op_sel_hi:[1,0]
	s_delay_alu instid0(VALU_DEP_1) | instskip(SKIP_1) | instid1(VALU_DEP_2)
	v_pk_fma_f32 v[40:41], v[34:35], v[36:37], v[38:39] op_sel_hi:[0,1,1]
	v_pk_fma_f32 v[34:35], v[34:35], v[36:37], v[38:39] op_sel_hi:[0,1,1] neg_lo:[0,0,1] neg_hi:[0,0,1]
	v_mov_b32_e32 v35, v41
	ds_store_b64 v60, v[34:35]
.LBB168_417:                            ;   in Loop: Header=BB168_3 Depth=1
	s_or_b32 exec_lo, exec_lo, s51
	s_wait_dscnt 0x0
	s_barrier_signal -1
	s_barrier_wait -1
	s_and_saveexec_b32 s51, s15
	s_cbranch_execz .LBB168_419
; %bb.418:                              ;   in Loop: Header=BB168_3 Depth=1
	ds_load_b64 v[36:37], v59 offset:12992
	ds_load_b64 v[38:39], v60
	s_wait_dscnt 0x0
	v_pk_mul_f32 v[40:41], v[38:39], v[36:37] op_sel:[1,1] op_sel_hi:[0,1]
	s_delay_alu instid0(VALU_DEP_1) | instskip(SKIP_1) | instid1(VALU_DEP_2)
	v_pk_fma_f32 v[98:99], v[38:39], v[36:37], v[40:41] op_sel_hi:[1,0,1]
	v_pk_fma_f32 v[36:37], v[38:39], v[36:37], v[40:41] op_sel_hi:[1,0,1] neg_lo:[0,0,1] neg_hi:[0,0,1]
	v_mov_b32_e32 v37, v99
	s_delay_alu instid0(VALU_DEP_1)
	v_pk_add_f32 v[34:35], v[34:35], v[36:37]
.LBB168_419:                            ;   in Loop: Header=BB168_3 Depth=1
	s_or_b32 exec_lo, exec_lo, s51
	s_barrier_signal -1
	s_barrier_wait -1
	s_and_saveexec_b32 s51, s39
	s_cbranch_execz .LBB168_421
; %bb.420:                              ;   in Loop: Header=BB168_3 Depth=1
	ds_load_b64 v[36:37], v5 offset:13520
	s_wait_dscnt 0x0
	v_pk_mul_f32 v[38:39], v[34:35], v[36:37] op_sel:[1,1] op_sel_hi:[1,0]
	s_delay_alu instid0(VALU_DEP_1) | instskip(SKIP_1) | instid1(VALU_DEP_2)
	v_pk_fma_f32 v[40:41], v[34:35], v[36:37], v[38:39] op_sel_hi:[0,1,1]
	v_pk_fma_f32 v[34:35], v[34:35], v[36:37], v[38:39] op_sel_hi:[0,1,1] neg_lo:[0,0,1] neg_hi:[0,0,1]
	v_mov_b32_e32 v35, v41
	ds_store_b64 v60, v[34:35]
.LBB168_421:                            ;   in Loop: Header=BB168_3 Depth=1
	s_or_b32 exec_lo, exec_lo, s51
	s_wait_dscnt 0x0
	s_barrier_signal -1
	s_barrier_wait -1
	s_and_saveexec_b32 s51, s40
	s_cbranch_execz .LBB168_423
; %bb.422:                              ;   in Loop: Header=BB168_3 Depth=1
	ds_load_b64 v[36:37], v59 offset:13504
	ds_load_b64 v[38:39], v60
	s_wait_dscnt 0x0
	v_pk_mul_f32 v[40:41], v[38:39], v[36:37] op_sel:[1,1] op_sel_hi:[0,1]
	s_delay_alu instid0(VALU_DEP_1) | instskip(SKIP_1) | instid1(VALU_DEP_2)
	v_pk_fma_f32 v[98:99], v[38:39], v[36:37], v[40:41] op_sel_hi:[1,0,1]
	v_pk_fma_f32 v[36:37], v[38:39], v[36:37], v[40:41] op_sel_hi:[1,0,1] neg_lo:[0,0,1] neg_hi:[0,0,1]
	v_mov_b32_e32 v37, v99
	s_delay_alu instid0(VALU_DEP_1)
	v_pk_add_f32 v[34:35], v[34:35], v[36:37]
.LBB168_423:                            ;   in Loop: Header=BB168_3 Depth=1
	s_or_b32 exec_lo, exec_lo, s51
	s_barrier_signal -1
	s_barrier_wait -1
	s_and_saveexec_b32 s51, s41
	s_cbranch_execz .LBB168_425
; %bb.424:                              ;   in Loop: Header=BB168_3 Depth=1
	ds_load_b64 v[36:37], v5 offset:14040
	s_wait_dscnt 0x0
	v_pk_mul_f32 v[38:39], v[34:35], v[36:37] op_sel:[1,1] op_sel_hi:[1,0]
	s_delay_alu instid0(VALU_DEP_1) | instskip(SKIP_1) | instid1(VALU_DEP_2)
	v_pk_fma_f32 v[40:41], v[34:35], v[36:37], v[38:39] op_sel_hi:[0,1,1]
	v_pk_fma_f32 v[34:35], v[34:35], v[36:37], v[38:39] op_sel_hi:[0,1,1] neg_lo:[0,0,1] neg_hi:[0,0,1]
	v_mov_b32_e32 v35, v41
	ds_store_b64 v60, v[34:35]
.LBB168_425:                            ;   in Loop: Header=BB168_3 Depth=1
	s_or_b32 exec_lo, exec_lo, s51
	s_wait_dscnt 0x0
	s_barrier_signal -1
	s_barrier_wait -1
	s_and_saveexec_b32 s51, s42
	s_cbranch_execz .LBB168_427
; %bb.426:                              ;   in Loop: Header=BB168_3 Depth=1
	ds_load_b64 v[36:37], v59 offset:14016
	ds_load_b64 v[38:39], v60
	s_wait_dscnt 0x0
	v_pk_mul_f32 v[40:41], v[38:39], v[36:37] op_sel:[1,1] op_sel_hi:[0,1]
	s_delay_alu instid0(VALU_DEP_1) | instskip(SKIP_1) | instid1(VALU_DEP_2)
	v_pk_fma_f32 v[98:99], v[38:39], v[36:37], v[40:41] op_sel_hi:[1,0,1]
	v_pk_fma_f32 v[36:37], v[38:39], v[36:37], v[40:41] op_sel_hi:[1,0,1] neg_lo:[0,0,1] neg_hi:[0,0,1]
	v_mov_b32_e32 v37, v99
	s_delay_alu instid0(VALU_DEP_1)
	v_pk_add_f32 v[34:35], v[34:35], v[36:37]
.LBB168_427:                            ;   in Loop: Header=BB168_3 Depth=1
	s_or_b32 exec_lo, exec_lo, s51
	s_barrier_signal -1
	s_barrier_wait -1
	s_and_saveexec_b32 s51, s43
	s_cbranch_execz .LBB168_429
; %bb.428:                              ;   in Loop: Header=BB168_3 Depth=1
	ds_load_b64 v[36:37], v5 offset:14560
	s_wait_dscnt 0x0
	v_dual_mul_f32 v38, v34, v37 :: v_dual_mul_f32 v40, v35, v37
	s_delay_alu instid0(VALU_DEP_1) | instskip(NEXT) | instid1(VALU_DEP_2)
	v_pk_fma_f32 v[38:39], v[34:35], v[36:37], v[38:39] op_sel:[0,1,0] op_sel_hi:[1,0,0]
	v_pk_fma_f32 v[36:37], v[34:35], v[36:37], v[40:41] op_sel_hi:[1,1,0] neg_lo:[0,0,1] neg_hi:[0,0,1]
	s_delay_alu instid0(VALU_DEP_2) | instskip(NEXT) | instid1(VALU_DEP_1)
	v_mov_b32_e32 v37, v39
	v_mov_b64_e32 v[34:35], v[36:37]
	ds_store_b64 v60, v[36:37]
.LBB168_429:                            ;   in Loop: Header=BB168_3 Depth=1
	s_or_b32 exec_lo, exec_lo, s51
	s_wait_dscnt 0x0
	s_barrier_signal -1
	s_barrier_wait -1
	s_and_saveexec_b32 s51, s44
	s_cbranch_execz .LBB168_431
; %bb.430:                              ;   in Loop: Header=BB168_3 Depth=1
	ds_load_b64 v[36:37], v59 offset:14528
	ds_load_b64 v[38:39], v60
	s_wait_dscnt 0x0
	v_dual_mul_f32 v40, v39, v37 :: v_dual_mul_f32 v41, v38, v37
	s_delay_alu instid0(VALU_DEP_1) | instskip(NEXT) | instid1(VALU_DEP_1)
	v_dual_fma_f32 v40, v38, v36, -v40 :: v_dual_fmac_f32 v41, v39, v36
	v_pk_add_f32 v[34:35], v[34:35], v[40:41]
.LBB168_431:                            ;   in Loop: Header=BB168_3 Depth=1
	s_or_b32 exec_lo, exec_lo, s51
	s_barrier_signal -1
	s_barrier_wait -1
	s_and_saveexec_b32 s51, s45
	s_cbranch_execz .LBB168_433
; %bb.432:                              ;   in Loop: Header=BB168_3 Depth=1
	ds_load_b64 v[36:37], v5 offset:15080
	s_wait_dscnt 0x0
	v_pk_mul_f32 v[38:39], v[34:35], v[36:37] op_sel:[1,1] op_sel_hi:[1,0]
	s_delay_alu instid0(VALU_DEP_1) | instskip(SKIP_1) | instid1(VALU_DEP_2)
	v_pk_fma_f32 v[40:41], v[34:35], v[36:37], v[38:39] op_sel_hi:[0,1,1]
	v_pk_fma_f32 v[36:37], v[34:35], v[36:37], v[38:39] neg_lo:[0,0,1] neg_hi:[0,0,1]
	v_mov_b32_e32 v37, v41
	s_delay_alu instid0(VALU_DEP_1)
	v_mov_b64_e32 v[34:35], v[36:37]
	ds_store_b64 v60, v[36:37]
.LBB168_433:                            ;   in Loop: Header=BB168_3 Depth=1
	s_or_b32 exec_lo, exec_lo, s51
	s_wait_dscnt 0x0
	s_barrier_signal -1
	s_barrier_wait -1
	s_and_saveexec_b32 s51, s46
	s_cbranch_execz .LBB168_435
; %bb.434:                              ;   in Loop: Header=BB168_3 Depth=1
	ds_load_b64 v[36:37], v59 offset:15040
	ds_load_b64 v[38:39], v60
	s_wait_dscnt 0x0
	v_pk_mul_f32 v[40:41], v[38:39], v[36:37] op_sel:[1,1] op_sel_hi:[0,1]
	s_delay_alu instid0(VALU_DEP_1) | instskip(SKIP_1) | instid1(VALU_DEP_2)
	v_pk_fma_f32 v[98:99], v[38:39], v[36:37], v[40:41] op_sel_hi:[1,0,1]
	v_pk_fma_f32 v[36:37], v[38:39], v[36:37], v[40:41] neg_lo:[0,0,1] neg_hi:[0,0,1]
	v_mov_b32_e32 v37, v99
	s_delay_alu instid0(VALU_DEP_1)
	v_pk_add_f32 v[34:35], v[34:35], v[36:37]
.LBB168_435:                            ;   in Loop: Header=BB168_3 Depth=1
	s_or_b32 exec_lo, exec_lo, s51
	s_barrier_signal -1
	s_barrier_wait -1
	s_and_saveexec_b32 s51, s47
	s_cbranch_execz .LBB168_437
; %bb.436:                              ;   in Loop: Header=BB168_3 Depth=1
	ds_load_b64 v[36:37], v5 offset:15600
	s_wait_dscnt 0x0
	v_pk_mul_f32 v[38:39], v[34:35], v[36:37] op_sel:[1,1] op_sel_hi:[1,0]
	s_delay_alu instid0(VALU_DEP_1) | instskip(SKIP_1) | instid1(VALU_DEP_2)
	v_pk_fma_f32 v[40:41], v[34:35], v[36:37], v[38:39] op_sel_hi:[0,1,1]
	v_pk_fma_f32 v[36:37], v[34:35], v[36:37], v[38:39] neg_lo:[0,0,1] neg_hi:[0,0,1]
	v_mov_b32_e32 v37, v41
	s_delay_alu instid0(VALU_DEP_1)
	v_mov_b64_e32 v[34:35], v[36:37]
	ds_store_b64 v60, v[36:37]
.LBB168_437:                            ;   in Loop: Header=BB168_3 Depth=1
	s_or_b32 exec_lo, exec_lo, s51
	s_wait_dscnt 0x0
	s_barrier_signal -1
	s_barrier_wait -1
	s_and_saveexec_b32 s51, s48
	s_cbranch_execz .LBB168_439
; %bb.438:                              ;   in Loop: Header=BB168_3 Depth=1
	ds_load_b64 v[36:37], v5 offset:15608
	ds_load_b64 v[38:39], v60
	s_wait_dscnt 0x0
	v_pk_mul_f32 v[40:41], v[38:39], v[36:37] op_sel:[1,1] op_sel_hi:[0,1]
	s_delay_alu instid0(VALU_DEP_1) | instskip(SKIP_1) | instid1(VALU_DEP_2)
	v_pk_fma_f32 v[98:99], v[38:39], v[36:37], v[40:41] op_sel_hi:[1,0,1]
	v_pk_fma_f32 v[36:37], v[38:39], v[36:37], v[40:41] neg_lo:[0,0,1] neg_hi:[0,0,1]
	v_mov_b32_e32 v37, v99
	s_delay_alu instid0(VALU_DEP_1)
	v_pk_add_f32 v[34:35], v[34:35], v[36:37]
.LBB168_439:                            ;   in Loop: Header=BB168_3 Depth=1
	s_or_b32 exec_lo, exec_lo, s51
	s_barrier_signal -1
	s_barrier_wait -1
	s_and_saveexec_b32 s51, s48
	s_cbranch_execz .LBB168_441
; %bb.440:                              ;   in Loop: Header=BB168_3 Depth=1
	ds_load_b64 v[36:37], v5 offset:16120
	s_wait_dscnt 0x0
	v_pk_mul_f32 v[38:39], v[34:35], v[36:37] op_sel:[1,1] op_sel_hi:[1,0]
	s_delay_alu instid0(VALU_DEP_1) | instskip(SKIP_1) | instid1(VALU_DEP_2)
	v_pk_fma_f32 v[40:41], v[34:35], v[36:37], v[38:39] op_sel_hi:[0,1,1]
	v_pk_fma_f32 v[36:37], v[34:35], v[36:37], v[38:39] neg_lo:[0,0,1] neg_hi:[0,0,1]
	v_mov_b32_e32 v37, v41
	s_delay_alu instid0(VALU_DEP_1)
	v_mov_b64_e32 v[34:35], v[36:37]
	ds_store_b64 v60, v[36:37]
.LBB168_441:                            ;   in Loop: Header=BB168_3 Depth=1
	s_or_b32 exec_lo, exec_lo, s51
	s_wait_dscnt 0x0
	s_barrier_signal -1
	s_barrier_wait -1
	s_barrier_signal -1
	s_barrier_wait -1
	s_and_saveexec_b32 s51, s6
; %bb.442:                              ;   in Loop: Header=BB168_3 Depth=1
	v_pk_add_f32 v[34:35], v[34:35], 0 neg_lo:[1,1] neg_hi:[1,1]
	ds_store_b64 v61, v[34:35] offset:8384
; %bb.443:                              ;   in Loop: Header=BB168_3 Depth=1
	s_or_b32 exec_lo, exec_lo, s51
	s_wait_dscnt 0x0
	s_barrier_signal -1
	s_barrier_wait -1
	s_barrier_signal -1
	s_barrier_wait -1
	s_and_saveexec_b32 s51, s49
	s_cbranch_execz .LBB168_445
; %bb.444:                              ;   in Loop: Header=BB168_3 Depth=1
	ds_load_b64 v[34:35], v72 offset:8384
	s_wait_dscnt 0x0
	ds_store_b64 v73, v[34:35] offset:12416
	ds_load_b64 v[34:35], v72 offset:8392
	s_wait_dscnt 0x0
	ds_store_b64 v73, v[34:35] offset:12928
	;; [unrolled: 3-line block ×8, first 2 shown]
.LBB168_445:                            ;   in Loop: Header=BB168_3 Depth=1
	s_or_b32 exec_lo, exec_lo, s51
	s_wait_dscnt 0x0
	s_barrier_signal -1
	s_barrier_wait -1
	s_and_saveexec_b32 s51, s14
	s_cbranch_execz .LBB168_447
; %bb.446:                              ;   in Loop: Header=BB168_3 Depth=1
	ds_load_b128 v[34:37], v5 offset:12480
	ds_load_b64 v[38:39], v5 offset:13000
	s_wait_dscnt 0x1
	v_dual_mov_b32 v98, v37 :: v_dual_mov_b32 v99, v36
	s_wait_dscnt 0x0
	v_dual_mul_f32 v41, v39, v35 :: v_dual_mul_f32 v40, v38, v35
	s_delay_alu instid0(VALU_DEP_1) | instskip(NEXT) | instid1(VALU_DEP_1)
	v_xor_b32_e32 v42, 0x80000000, v41
	v_dual_fmac_f32 v40, v39, v34 :: v_dual_fmac_f32 v42, v38, v34
	s_delay_alu instid0(VALU_DEP_1) | instskip(NEXT) | instid1(VALU_DEP_1)
	v_pk_mul_f32 v[34:35], v[40:41], v[98:99] op_sel_hi:[0,1]
	v_pk_fma_f32 v[38:39], v[42:43], v[36:37], v[34:35] op_sel_hi:[0,1,1]
	v_pk_fma_f32 v[34:35], v[42:43], v[36:37], v[34:35] neg_lo:[0,0,1] neg_hi:[0,0,1]
	v_add_nc_u32_e64 v36, 0x3000, 0
	s_delay_alu instid0(VALU_DEP_3)
	v_mov_b32_e32 v35, v39
	ds_store_2addr_b64 v36, v[34:35], v[34:35] offset0:25 offset1:88
.LBB168_447:                            ;   in Loop: Header=BB168_3 Depth=1
	s_or_b32 exec_lo, exec_lo, s51
	v_mov_b32_e32 v35, 0
	s_wait_dscnt 0x0
	s_barrier_signal -1
	s_barrier_wait -1
	s_delay_alu instid0(VALU_DEP_1)
	v_mov_b32_e32 v34, v35
	s_and_saveexec_b32 s51, s3
	s_cbranch_execz .LBB168_451
; %bb.448:                              ;   in Loop: Header=BB168_3 Depth=1
	ds_load_b64 v[34:35], v44 offset:12496
	ds_load_b64 v[36:37], v45 offset:12480
	s_wait_dscnt 0x0
	v_dual_mul_f32 v38, v37, v35 :: v_dual_mul_f32 v39, v36, v35
	s_delay_alu instid0(VALU_DEP_1) | instskip(NEXT) | instid1(VALU_DEP_1)
	v_dual_fma_f32 v38, v36, v34, -v38 :: v_dual_fmac_f32 v39, v37, v34
	v_pk_add_f32 v[34:35], v[38:39], 0 op_sel_hi:[1,0]
	s_and_saveexec_b32 s52, s16
	s_cbranch_execz .LBB168_450
; %bb.449:                              ;   in Loop: Header=BB168_3 Depth=1
	ds_load_b64 v[36:37], v73 offset:13008
	ds_load_b64 v[38:39], v5 offset:12488
	s_wait_dscnt 0x0
	v_pk_mul_f32 v[40:41], v[38:39], v[36:37] op_sel:[1,1] op_sel_hi:[0,1]
	s_delay_alu instid0(VALU_DEP_1) | instskip(SKIP_1) | instid1(VALU_DEP_2)
	v_pk_fma_f32 v[98:99], v[38:39], v[36:37], v[40:41] op_sel_hi:[1,0,1]
	v_pk_fma_f32 v[36:37], v[38:39], v[36:37], v[40:41] neg_lo:[0,0,1] neg_hi:[0,0,1]
	v_mov_b32_e32 v37, v99
	s_delay_alu instid0(VALU_DEP_1)
	v_pk_add_f32 v[34:35], v[34:35], v[36:37]
.LBB168_450:                            ;   in Loop: Header=BB168_3 Depth=1
	s_or_b32 exec_lo, exec_lo, s52
	s_delay_alu instid0(VALU_DEP_1)
	v_pk_add_f32 v[34:35], v[34:35], 0 neg_lo:[1,1] neg_hi:[1,1]
.LBB168_451:                            ;   in Loop: Header=BB168_3 Depth=1
	s_or_b32 exec_lo, exec_lo, s51
	s_and_saveexec_b32 s51, s93
	s_cbranch_execz .LBB168_453
; %bb.452:                              ;   in Loop: Header=BB168_3 Depth=1
	ds_load_b64 v[36:37], v5 offset:13520
	s_wait_dscnt 0x0
	v_pk_mul_f32 v[38:39], v[34:35], v[36:37] op_sel:[1,1] op_sel_hi:[1,0]
	s_delay_alu instid0(VALU_DEP_1) | instskip(SKIP_1) | instid1(VALU_DEP_2)
	v_pk_fma_f32 v[40:41], v[34:35], v[36:37], v[38:39] op_sel_hi:[0,1,1]
	v_pk_fma_f32 v[36:37], v[34:35], v[36:37], v[38:39] neg_lo:[0,0,1] neg_hi:[0,0,1]
	v_mov_b32_e32 v37, v41
	s_delay_alu instid0(VALU_DEP_1)
	v_mov_b64_e32 v[34:35], v[36:37]
	ds_store_b64 v3, v[36:37]
.LBB168_453:                            ;   in Loop: Header=BB168_3 Depth=1
	s_or_b32 exec_lo, exec_lo, s51
	s_wait_dscnt 0x0
	s_barrier_signal -1
	s_barrier_wait -1
	s_and_saveexec_b32 s51, s94
	s_cbranch_execz .LBB168_455
; %bb.454:                              ;   in Loop: Header=BB168_3 Depth=1
	ds_load_b64 v[36:37], v5 offset:13528
	ds_load_b64 v[38:39], v3
	s_wait_dscnt 0x0
	v_pk_mul_f32 v[40:41], v[38:39], v[36:37] op_sel:[1,1] op_sel_hi:[0,1]
	s_delay_alu instid0(VALU_DEP_1) | instskip(SKIP_1) | instid1(VALU_DEP_2)
	v_pk_fma_f32 v[98:99], v[38:39], v[36:37], v[40:41] op_sel_hi:[1,0,1]
	v_pk_fma_f32 v[36:37], v[38:39], v[36:37], v[40:41] neg_lo:[0,0,1] neg_hi:[0,0,1]
	v_mov_b32_e32 v37, v99
	s_delay_alu instid0(VALU_DEP_1)
	v_pk_add_f32 v[34:35], v[34:35], v[36:37]
.LBB168_455:                            ;   in Loop: Header=BB168_3 Depth=1
	s_or_b32 exec_lo, exec_lo, s51
	s_barrier_signal -1
	s_barrier_wait -1
	s_and_saveexec_b32 s51, s94
	s_cbranch_execz .LBB168_457
; %bb.456:                              ;   in Loop: Header=BB168_3 Depth=1
	ds_load_b64 v[36:37], v5 offset:14040
	s_wait_dscnt 0x0
	v_pk_mul_f32 v[38:39], v[34:35], v[36:37] op_sel:[1,1] op_sel_hi:[1,0]
	s_delay_alu instid0(VALU_DEP_1) | instskip(SKIP_1) | instid1(VALU_DEP_2)
	v_pk_fma_f32 v[40:41], v[34:35], v[36:37], v[38:39] op_sel_hi:[0,1,1]
	v_pk_fma_f32 v[36:37], v[34:35], v[36:37], v[38:39] neg_lo:[0,0,1] neg_hi:[0,0,1]
	v_mov_b32_e32 v37, v41
	s_delay_alu instid0(VALU_DEP_1)
	v_mov_b64_e32 v[34:35], v[36:37]
	ds_store_b64 v3, v[36:37]
.LBB168_457:                            ;   in Loop: Header=BB168_3 Depth=1
	s_or_b32 exec_lo, exec_lo, s51
	s_wait_dscnt 0x0
	s_barrier_signal -1
	s_barrier_wait -1
	s_barrier_signal -1
	s_barrier_wait -1
	s_and_saveexec_b32 s51, s3
; %bb.458:                              ;   in Loop: Header=BB168_3 Depth=1
	v_pk_add_f32 v[34:35], v[34:35], 0 neg_lo:[1,1] neg_hi:[1,1]
	ds_store_b64 v44, v[34:35] offset:12496
; %bb.459:                              ;   in Loop: Header=BB168_3 Depth=1
	s_or_b32 exec_lo, exec_lo, s51
	s_wait_dscnt 0x0
	s_barrier_signal -1
	s_barrier_wait -1
	s_barrier_signal -1
	s_barrier_wait -1
	s_and_saveexec_b32 s51, s95
	s_cbranch_execz .LBB168_461
; %bb.460:                              ;   in Loop: Header=BB168_3 Depth=1
	ds_load_b64 v[34:35], v74 offset:12496
	s_wait_dscnt 0x0
	ds_store_b64 v73, v[34:35] offset:13504
	ds_load_b64 v[34:35], v74 offset:12504
	s_wait_dscnt 0x0
	ds_store_b64 v73, v[34:35] offset:14016
.LBB168_461:                            ;   in Loop: Header=BB168_3 Depth=1
	s_or_b32 exec_lo, exec_lo, s51
	s_wait_dscnt 0x0
	s_barrier_signal -1
	s_barrier_wait -1
	s_and_saveexec_b32 s51, s14
	s_cbranch_execz .LBB168_463
; %bb.462:                              ;   in Loop: Header=BB168_3 Depth=1
	ds_load_b128 v[34:37], v5 offset:13520
	ds_load_b64 v[38:39], v5 offset:14040
	s_wait_dscnt 0x1
	v_dual_mov_b32 v98, v37 :: v_dual_mov_b32 v99, v36
	s_wait_dscnt 0x0
	v_dual_mul_f32 v41, v39, v35 :: v_dual_mul_f32 v40, v38, v35
	s_delay_alu instid0(VALU_DEP_1) | instskip(NEXT) | instid1(VALU_DEP_1)
	v_xor_b32_e32 v42, 0x80000000, v41
	v_dual_fmac_f32 v40, v39, v34 :: v_dual_fmac_f32 v42, v38, v34
	s_delay_alu instid0(VALU_DEP_1) | instskip(NEXT) | instid1(VALU_DEP_1)
	v_pk_mul_f32 v[34:35], v[40:41], v[98:99] op_sel_hi:[0,1]
	v_pk_fma_f32 v[38:39], v[42:43], v[36:37], v[34:35] op_sel_hi:[0,1,1]
	v_pk_fma_f32 v[34:35], v[42:43], v[36:37], v[34:35] neg_lo:[0,0,1] neg_hi:[0,0,1]
	v_add_nc_u32_e64 v36, 0x3000, 0
	s_delay_alu instid0(VALU_DEP_3)
	v_mov_b32_e32 v35, v39
	ds_store_2addr_b64 v36, v[34:35], v[34:35] offset0:155 offset1:218
.LBB168_463:                            ;   in Loop: Header=BB168_3 Depth=1
	s_or_b32 exec_lo, exec_lo, s51
	v_mov_b32_e32 v34, 0
	s_wait_dscnt 0x0
	s_barrier_signal -1
	s_barrier_wait -1
	s_delay_alu instid0(VALU_DEP_1)
	v_mov_b32_e32 v35, v34
	s_and_saveexec_b32 s51, s5
	s_cbranch_execz .LBB168_469
; %bb.464:                              ;   in Loop: Header=BB168_3 Depth=1
	ds_load_b64 v[34:35], v51 offset:12512
	ds_load_b64 v[36:37], v47 offset:12480
	s_wait_dscnt 0x0
	v_pk_mul_f32 v[38:39], v[36:37], v[34:35] op_sel:[0,1]
	s_delay_alu instid0(VALU_DEP_1) | instskip(SKIP_1) | instid1(VALU_DEP_2)
	v_pk_fma_f32 v[40:41], v[36:37], v[34:35], v[38:39] op_sel:[1,0,0] op_sel_hi:[0,0,1] neg_lo:[0,0,1] neg_hi:[0,0,1]
	v_pk_fma_f32 v[34:35], v[36:37], v[34:35], v[38:39] op_sel:[1,0,0] op_sel_hi:[0,1,1]
	v_mov_b32_e32 v35, v41
	s_delay_alu instid0(VALU_DEP_1)
	v_pk_add_f32 v[34:35], v[34:35], 0 op_sel_hi:[1,0]
	s_and_saveexec_b32 s52, s17
	s_cbranch_execnz .LBB168_1146
; %bb.465:                              ;   in Loop: Header=BB168_3 Depth=1
	s_or_b32 exec_lo, exec_lo, s52
	s_and_saveexec_b32 s52, s18
	s_cbranch_execnz .LBB168_1147
.LBB168_466:                            ;   in Loop: Header=BB168_3 Depth=1
	s_or_b32 exec_lo, exec_lo, s52
	s_and_saveexec_b32 s52, s3
	s_cbranch_execz .LBB168_468
.LBB168_467:                            ;   in Loop: Header=BB168_3 Depth=1
	ds_load_b64 v[36:37], v76 offset:14048
	ds_load_b64 v[38:39], v5 offset:12504
	s_wait_dscnt 0x0
	v_pk_mul_f32 v[40:41], v[38:39], v[36:37] op_sel:[0,1]
	s_delay_alu instid0(VALU_DEP_1) | instskip(SKIP_1) | instid1(VALU_DEP_2)
	v_pk_fma_f32 v[98:99], v[38:39], v[36:37], v[40:41] op_sel:[1,0,0] op_sel_hi:[0,0,1] neg_lo:[0,0,1] neg_hi:[0,0,1]
	v_pk_fma_f32 v[36:37], v[38:39], v[36:37], v[40:41] op_sel:[1,0,0] op_sel_hi:[0,1,1]
	v_mov_b32_e32 v37, v99
	s_delay_alu instid0(VALU_DEP_1)
	v_pk_add_f32 v[34:35], v[34:35], v[36:37]
.LBB168_468:                            ;   in Loop: Header=BB168_3 Depth=1
	s_or_b32 exec_lo, exec_lo, s52
	s_delay_alu instid0(VALU_DEP_1) | instskip(NEXT) | instid1(VALU_DEP_1)
	v_pk_add_f32 v[36:37], v[34:35], 0 neg_lo:[1,1] neg_hi:[1,1]
	v_dual_mov_b32 v34, v37 :: v_dual_mov_b32 v35, v36
.LBB168_469:                            ;   in Loop: Header=BB168_3 Depth=1
	s_or_b32 exec_lo, exec_lo, s51
	s_and_saveexec_b32 s51, s96
	s_cbranch_execz .LBB168_471
; %bb.470:                              ;   in Loop: Header=BB168_3 Depth=1
	ds_load_b64 v[36:37], v5 offset:14560
	v_dual_mov_b32 v38, v35 :: v_dual_mov_b32 v39, v34
	s_wait_dscnt 0x0
	s_delay_alu instid0(VALU_DEP_1) | instskip(NEXT) | instid1(VALU_DEP_1)
	v_dual_mul_f32 v40, v38, v36 :: v_dual_mul_f32 v42, v35, v37
	v_pk_fma_f32 v[38:39], v[38:39], v[36:37], v[40:41] op_sel_hi:[1,1,0]
	s_delay_alu instid0(VALU_DEP_2) | instskip(NEXT) | instid1(VALU_DEP_2)
	v_pk_fma_f32 v[34:35], v[34:35], v[36:37], v[42:43] op_sel_hi:[1,1,0] neg_lo:[0,0,1] neg_hi:[0,0,1]
	v_mov_b32_e32 v35, v39
	ds_store_b64 v50, v[34:35]
.LBB168_471:                            ;   in Loop: Header=BB168_3 Depth=1
	s_or_b32 exec_lo, exec_lo, s51
	s_wait_dscnt 0x0
	s_barrier_signal -1
	s_barrier_wait -1
	s_and_saveexec_b32 s51, s97
	s_cbranch_execz .LBB168_473
; %bb.472:                              ;   in Loop: Header=BB168_3 Depth=1
	ds_load_b64 v[36:37], v48 offset:14560
	ds_load_b64 v[38:39], v50
	s_wait_dscnt 0x0
	v_dual_mul_f32 v40, v39, v37 :: v_dual_mul_f32 v41, v38, v37
	s_delay_alu instid0(VALU_DEP_1) | instskip(NEXT) | instid1(VALU_DEP_1)
	v_dual_fma_f32 v40, v38, v36, -v40 :: v_dual_fmac_f32 v41, v39, v36
	v_pk_add_f32 v[34:35], v[34:35], v[40:41]
.LBB168_473:                            ;   in Loop: Header=BB168_3 Depth=1
	s_or_b32 exec_lo, exec_lo, s51
	s_barrier_signal -1
	s_barrier_wait -1
	s_and_saveexec_b32 s51, s98
	s_cbranch_execz .LBB168_475
; %bb.474:                              ;   in Loop: Header=BB168_3 Depth=1
	ds_load_b64 v[36:37], v5 offset:15080
	s_wait_dscnt 0x0
	v_pk_mul_f32 v[38:39], v[34:35], v[36:37] op_sel:[1,1] op_sel_hi:[1,0]
	s_delay_alu instid0(VALU_DEP_1) | instskip(SKIP_1) | instid1(VALU_DEP_2)
	v_pk_fma_f32 v[40:41], v[34:35], v[36:37], v[38:39] op_sel_hi:[0,1,1]
	v_pk_fma_f32 v[36:37], v[34:35], v[36:37], v[38:39] neg_lo:[0,0,1] neg_hi:[0,0,1]
	v_mov_b32_e32 v37, v41
	s_delay_alu instid0(VALU_DEP_1)
	v_mov_b64_e32 v[34:35], v[36:37]
	ds_store_b64 v50, v[36:37]
.LBB168_475:                            ;   in Loop: Header=BB168_3 Depth=1
	s_or_b32 exec_lo, exec_lo, s51
	s_wait_dscnt 0x0
	s_barrier_signal -1
	s_barrier_wait -1
	s_and_saveexec_b32 s51, s99
	s_cbranch_execz .LBB168_477
; %bb.476:                              ;   in Loop: Header=BB168_3 Depth=1
	ds_load_b64 v[36:37], v48 offset:15072
	ds_load_b64 v[38:39], v50
	s_wait_dscnt 0x0
	v_pk_mul_f32 v[40:41], v[38:39], v[36:37] op_sel:[1,1] op_sel_hi:[0,1]
	s_delay_alu instid0(VALU_DEP_1) | instskip(SKIP_1) | instid1(VALU_DEP_2)
	v_pk_fma_f32 v[98:99], v[38:39], v[36:37], v[40:41] op_sel_hi:[1,0,1]
	v_pk_fma_f32 v[36:37], v[38:39], v[36:37], v[40:41] neg_lo:[0,0,1] neg_hi:[0,0,1]
	v_mov_b32_e32 v37, v99
	s_delay_alu instid0(VALU_DEP_1)
	v_pk_add_f32 v[34:35], v[34:35], v[36:37]
.LBB168_477:                            ;   in Loop: Header=BB168_3 Depth=1
	s_or_b32 exec_lo, exec_lo, s51
	s_barrier_signal -1
	s_barrier_wait -1
	s_and_saveexec_b32 s51, s100
	s_cbranch_execz .LBB168_479
; %bb.478:                              ;   in Loop: Header=BB168_3 Depth=1
	ds_load_b64 v[36:37], v5 offset:15600
	s_wait_dscnt 0x0
	v_pk_mul_f32 v[38:39], v[34:35], v[36:37] op_sel:[1,1] op_sel_hi:[1,0]
	s_delay_alu instid0(VALU_DEP_1) | instskip(SKIP_1) | instid1(VALU_DEP_2)
	v_pk_fma_f32 v[40:41], v[34:35], v[36:37], v[38:39] op_sel_hi:[0,1,1]
	v_pk_fma_f32 v[36:37], v[34:35], v[36:37], v[38:39] neg_lo:[0,0,1] neg_hi:[0,0,1]
	v_mov_b32_e32 v37, v41
	s_delay_alu instid0(VALU_DEP_1)
	v_mov_b64_e32 v[34:35], v[36:37]
	ds_store_b64 v50, v[36:37]
.LBB168_479:                            ;   in Loop: Header=BB168_3 Depth=1
	s_or_b32 exec_lo, exec_lo, s51
	s_wait_dscnt 0x0
	s_barrier_signal -1
	s_barrier_wait -1
	s_and_saveexec_b32 s51, s101
	s_cbranch_execz .LBB168_481
; %bb.480:                              ;   in Loop: Header=BB168_3 Depth=1
	ds_load_b64 v[36:37], v5 offset:15608
	ds_load_b64 v[38:39], v50
	s_wait_dscnt 0x0
	v_pk_mul_f32 v[40:41], v[38:39], v[36:37] op_sel:[1,1] op_sel_hi:[0,1]
	s_delay_alu instid0(VALU_DEP_1) | instskip(SKIP_1) | instid1(VALU_DEP_2)
	v_pk_fma_f32 v[98:99], v[38:39], v[36:37], v[40:41] op_sel_hi:[1,0,1]
	v_pk_fma_f32 v[36:37], v[38:39], v[36:37], v[40:41] neg_lo:[0,0,1] neg_hi:[0,0,1]
	v_mov_b32_e32 v37, v99
	s_delay_alu instid0(VALU_DEP_1)
	v_pk_add_f32 v[34:35], v[34:35], v[36:37]
.LBB168_481:                            ;   in Loop: Header=BB168_3 Depth=1
	s_or_b32 exec_lo, exec_lo, s51
	s_barrier_signal -1
	s_barrier_wait -1
	s_and_saveexec_b32 s51, s101
	s_cbranch_execz .LBB168_483
; %bb.482:                              ;   in Loop: Header=BB168_3 Depth=1
	ds_load_b64 v[36:37], v5 offset:16120
	s_wait_dscnt 0x0
	v_pk_mul_f32 v[38:39], v[34:35], v[36:37] op_sel:[1,1] op_sel_hi:[1,0]
	s_delay_alu instid0(VALU_DEP_1) | instskip(SKIP_1) | instid1(VALU_DEP_2)
	v_pk_fma_f32 v[40:41], v[34:35], v[36:37], v[38:39] op_sel_hi:[0,1,1]
	v_pk_fma_f32 v[36:37], v[34:35], v[36:37], v[38:39] neg_lo:[0,0,1] neg_hi:[0,0,1]
	v_mov_b32_e32 v37, v41
	s_delay_alu instid0(VALU_DEP_1)
	v_mov_b64_e32 v[34:35], v[36:37]
	ds_store_b64 v50, v[36:37]
.LBB168_483:                            ;   in Loop: Header=BB168_3 Depth=1
	s_or_b32 exec_lo, exec_lo, s51
	s_wait_dscnt 0x0
	s_barrier_signal -1
	s_barrier_wait -1
	s_barrier_signal -1
	s_barrier_wait -1
	s_and_saveexec_b32 s51, s5
; %bb.484:                              ;   in Loop: Header=BB168_3 Depth=1
	v_pk_add_f32 v[34:35], v[34:35], 0 neg_lo:[1,1] neg_hi:[1,1]
	ds_store_b64 v51, v[34:35] offset:12512
; %bb.485:                              ;   in Loop: Header=BB168_3 Depth=1
	s_or_b32 exec_lo, exec_lo, s51
	s_wait_dscnt 0x0
	s_barrier_signal -1
	s_barrier_wait -1
	s_barrier_signal -1
	s_barrier_wait -1
	s_and_saveexec_b32 s51, s102
	s_cbranch_execz .LBB168_487
; %bb.486:                              ;   in Loop: Header=BB168_3 Depth=1
	ds_load_b64 v[34:35], v77 offset:12512
	s_wait_dscnt 0x0
	ds_store_b64 v80, v[34:35] offset:14528
	ds_load_b64 v[34:35], v77 offset:12520
	s_wait_dscnt 0x0
	ds_store_b64 v80, v[34:35] offset:15040
	;; [unrolled: 3-line block ×4, first 2 shown]
.LBB168_487:                            ;   in Loop: Header=BB168_3 Depth=1
	s_or_b32 exec_lo, exec_lo, s51
	s_wait_dscnt 0x0
	s_barrier_signal -1
	s_barrier_wait -1
	s_and_saveexec_b32 s51, s14
	s_cbranch_execz .LBB168_489
; %bb.488:                              ;   in Loop: Header=BB168_3 Depth=1
	ds_load_b128 v[34:37], v5 offset:14560
	ds_load_b64 v[38:39], v5 offset:15080
	s_wait_dscnt 0x1
	v_dual_mov_b32 v98, v37 :: v_dual_mov_b32 v99, v36
	s_wait_dscnt 0x0
	v_dual_mul_f32 v41, v39, v35 :: v_dual_mul_f32 v40, v38, v35
	s_delay_alu instid0(VALU_DEP_1) | instskip(NEXT) | instid1(VALU_DEP_1)
	v_xor_b32_e32 v42, 0x80000000, v41
	v_dual_fmac_f32 v40, v39, v34 :: v_dual_fmac_f32 v42, v38, v34
	s_delay_alu instid0(VALU_DEP_1) | instskip(NEXT) | instid1(VALU_DEP_1)
	v_pk_mul_f32 v[34:35], v[40:41], v[98:99] op_sel_hi:[0,1]
	v_pk_fma_f32 v[38:39], v[42:43], v[36:37], v[34:35] op_sel_hi:[0,1,1]
	v_pk_fma_f32 v[34:35], v[42:43], v[36:37], v[34:35] neg_lo:[0,0,1] neg_hi:[0,0,1]
	v_add_nc_u32_e64 v36, 0x3800, 0
	s_delay_alu instid0(VALU_DEP_3)
	v_mov_b32_e32 v35, v39
	ds_store_2addr_b64 v36, v[34:35], v[34:35] offset0:29 offset1:92
.LBB168_489:                            ;   in Loop: Header=BB168_3 Depth=1
	s_or_b32 exec_lo, exec_lo, s51
	v_mov_b32_e32 v35, 0
	s_wait_dscnt 0x0
	s_barrier_signal -1
	s_barrier_wait -1
	s_delay_alu instid0(VALU_DEP_1)
	v_mov_b32_e32 v34, v35
	s_and_saveexec_b32 s51, s3
	s_cbranch_execz .LBB168_493
; %bb.490:                              ;   in Loop: Header=BB168_3 Depth=1
	ds_load_b64 v[34:35], v44 offset:14576
	ds_load_b64 v[36:37], v45 offset:14560
	s_wait_dscnt 0x0
	v_dual_mul_f32 v38, v37, v35 :: v_dual_mul_f32 v39, v36, v35
	s_delay_alu instid0(VALU_DEP_1) | instskip(NEXT) | instid1(VALU_DEP_1)
	v_dual_fma_f32 v38, v36, v34, -v38 :: v_dual_fmac_f32 v39, v37, v34
	v_pk_add_f32 v[34:35], v[38:39], 0 op_sel_hi:[1,0]
	s_and_saveexec_b32 s52, s16
	s_cbranch_execz .LBB168_492
; %bb.491:                              ;   in Loop: Header=BB168_3 Depth=1
	ds_load_b64 v[36:37], v80 offset:15088
	ds_load_b64 v[38:39], v5 offset:14568
	s_wait_dscnt 0x0
	v_pk_mul_f32 v[40:41], v[38:39], v[36:37] op_sel:[1,1] op_sel_hi:[0,1]
	s_delay_alu instid0(VALU_DEP_1) | instskip(SKIP_1) | instid1(VALU_DEP_2)
	v_pk_fma_f32 v[98:99], v[38:39], v[36:37], v[40:41] op_sel_hi:[1,0,1]
	v_pk_fma_f32 v[36:37], v[38:39], v[36:37], v[40:41] neg_lo:[0,0,1] neg_hi:[0,0,1]
	v_mov_b32_e32 v37, v99
	s_delay_alu instid0(VALU_DEP_1)
	v_pk_add_f32 v[34:35], v[34:35], v[36:37]
.LBB168_492:                            ;   in Loop: Header=BB168_3 Depth=1
	s_or_b32 exec_lo, exec_lo, s52
	s_delay_alu instid0(VALU_DEP_1)
	v_pk_add_f32 v[34:35], v[34:35], 0 neg_lo:[1,1] neg_hi:[1,1]
.LBB168_493:                            ;   in Loop: Header=BB168_3 Depth=1
	s_or_b32 exec_lo, exec_lo, s51
	s_and_saveexec_b32 s51, s93
	s_cbranch_execz .LBB168_495
; %bb.494:                              ;   in Loop: Header=BB168_3 Depth=1
	ds_load_b64 v[36:37], v5 offset:15600
	s_wait_dscnt 0x0
	v_pk_mul_f32 v[38:39], v[34:35], v[36:37] op_sel:[1,1] op_sel_hi:[1,0]
	s_delay_alu instid0(VALU_DEP_1) | instskip(SKIP_1) | instid1(VALU_DEP_2)
	v_pk_fma_f32 v[40:41], v[34:35], v[36:37], v[38:39] op_sel_hi:[0,1,1]
	v_pk_fma_f32 v[36:37], v[34:35], v[36:37], v[38:39] neg_lo:[0,0,1] neg_hi:[0,0,1]
	v_mov_b32_e32 v37, v41
	s_delay_alu instid0(VALU_DEP_1)
	v_mov_b64_e32 v[34:35], v[36:37]
	ds_store_b64 v3, v[36:37]
.LBB168_495:                            ;   in Loop: Header=BB168_3 Depth=1
	s_or_b32 exec_lo, exec_lo, s51
	s_wait_dscnt 0x0
	s_barrier_signal -1
	s_barrier_wait -1
	s_and_saveexec_b32 s51, s94
	s_cbranch_execz .LBB168_497
; %bb.496:                              ;   in Loop: Header=BB168_3 Depth=1
	ds_load_b64 v[36:37], v5 offset:15608
	ds_load_b64 v[38:39], v3
	s_wait_dscnt 0x0
	v_pk_mul_f32 v[40:41], v[38:39], v[36:37] op_sel:[1,1] op_sel_hi:[0,1]
	s_delay_alu instid0(VALU_DEP_1) | instskip(SKIP_1) | instid1(VALU_DEP_2)
	v_pk_fma_f32 v[98:99], v[38:39], v[36:37], v[40:41] op_sel_hi:[1,0,1]
	v_pk_fma_f32 v[36:37], v[38:39], v[36:37], v[40:41] neg_lo:[0,0,1] neg_hi:[0,0,1]
	v_mov_b32_e32 v37, v99
	s_delay_alu instid0(VALU_DEP_1)
	v_pk_add_f32 v[34:35], v[34:35], v[36:37]
.LBB168_497:                            ;   in Loop: Header=BB168_3 Depth=1
	s_or_b32 exec_lo, exec_lo, s51
	s_barrier_signal -1
	s_barrier_wait -1
	s_and_saveexec_b32 s51, s94
	s_cbranch_execz .LBB168_499
; %bb.498:                              ;   in Loop: Header=BB168_3 Depth=1
	ds_load_b64 v[36:37], v5 offset:16120
	s_wait_dscnt 0x0
	v_pk_mul_f32 v[38:39], v[34:35], v[36:37] op_sel:[1,1] op_sel_hi:[1,0]
	s_delay_alu instid0(VALU_DEP_1) | instskip(SKIP_1) | instid1(VALU_DEP_2)
	v_pk_fma_f32 v[40:41], v[34:35], v[36:37], v[38:39] op_sel_hi:[0,1,1]
	v_pk_fma_f32 v[36:37], v[34:35], v[36:37], v[38:39] neg_lo:[0,0,1] neg_hi:[0,0,1]
	v_mov_b32_e32 v37, v41
	s_delay_alu instid0(VALU_DEP_1)
	v_mov_b64_e32 v[34:35], v[36:37]
	ds_store_b64 v3, v[36:37]
.LBB168_499:                            ;   in Loop: Header=BB168_3 Depth=1
	s_or_b32 exec_lo, exec_lo, s51
	s_wait_dscnt 0x0
	s_barrier_signal -1
	s_barrier_wait -1
	s_barrier_signal -1
	s_barrier_wait -1
	s_and_saveexec_b32 s51, s3
; %bb.500:                              ;   in Loop: Header=BB168_3 Depth=1
	v_pk_add_f32 v[34:35], v[34:35], 0 neg_lo:[1,1] neg_hi:[1,1]
	ds_store_b64 v44, v[34:35] offset:14576
; %bb.501:                              ;   in Loop: Header=BB168_3 Depth=1
	s_or_b32 exec_lo, exec_lo, s51
	s_wait_dscnt 0x0
	s_barrier_signal -1
	s_barrier_wait -1
	s_barrier_signal -1
	s_barrier_wait -1
	s_and_saveexec_b32 s51, s95
	s_cbranch_execz .LBB168_503
; %bb.502:                              ;   in Loop: Header=BB168_3 Depth=1
	ds_load_b64 v[34:35], v82 offset:14576
	s_wait_dscnt 0x0
	ds_store_b64 v80, v[34:35] offset:15584
	ds_load_b64 v[34:35], v82 offset:14584
	s_wait_dscnt 0x0
	ds_store_b64 v80, v[34:35] offset:16096
.LBB168_503:                            ;   in Loop: Header=BB168_3 Depth=1
	s_or_b32 exec_lo, exec_lo, s51
	s_wait_dscnt 0x0
	s_barrier_signal -1
	s_barrier_wait -1
	s_and_saveexec_b32 s51, s14
	s_cbranch_execz .LBB168_505
; %bb.504:                              ;   in Loop: Header=BB168_3 Depth=1
	ds_load_b128 v[34:37], v5 offset:15600
	ds_load_b64 v[38:39], v5 offset:16120
	s_wait_dscnt 0x1
	v_dual_mov_b32 v98, v37 :: v_dual_mov_b32 v99, v36
	s_wait_dscnt 0x0
	v_dual_mul_f32 v41, v39, v35 :: v_dual_mul_f32 v40, v38, v35
	s_delay_alu instid0(VALU_DEP_1) | instskip(NEXT) | instid1(VALU_DEP_1)
	v_xor_b32_e32 v42, 0x80000000, v41
	v_dual_fmac_f32 v40, v39, v34 :: v_dual_fmac_f32 v42, v38, v34
	s_delay_alu instid0(VALU_DEP_1) | instskip(NEXT) | instid1(VALU_DEP_1)
	v_pk_mul_f32 v[34:35], v[40:41], v[98:99] op_sel_hi:[0,1]
	v_pk_fma_f32 v[38:39], v[42:43], v[36:37], v[34:35] op_sel_hi:[0,1,1]
	v_pk_fma_f32 v[34:35], v[42:43], v[36:37], v[34:35] neg_lo:[0,0,1] neg_hi:[0,0,1]
	v_add_nc_u32_e64 v36, 0x3800, 0
	s_delay_alu instid0(VALU_DEP_3)
	v_mov_b32_e32 v35, v39
	ds_store_2addr_b64 v36, v[34:35], v[34:35] offset0:159 offset1:222
.LBB168_505:                            ;   in Loop: Header=BB168_3 Depth=1
	s_or_b32 exec_lo, exec_lo, s51
	v_mov_b64_e32 v[34:35], 0
	s_wait_dscnt 0x0
	s_barrier_signal -1
	s_barrier_wait -1
	s_and_saveexec_b32 s86, s36
	s_cbranch_execz .LBB168_567
; %bb.506:                              ;   in Loop: Header=BB168_3 Depth=1
	v_dual_add_nc_u32 v37, v86, v71 :: v_dual_add_nc_u32 v36, v71, v70
	ds_load_b64 v[34:35], v37 offset:256
	ds_load_b64 v[38:39], v36
	s_wait_dscnt 0x0
	v_pk_mul_f32 v[40:41], v[38:39], v[34:35] op_sel:[1,1] op_sel_hi:[0,1]
	s_delay_alu instid0(VALU_DEP_1) | instskip(SKIP_1) | instid1(VALU_DEP_2)
	v_pk_fma_f32 v[98:99], v[38:39], v[34:35], v[40:41] op_sel_hi:[1,0,1]
	v_pk_fma_f32 v[34:35], v[38:39], v[34:35], v[40:41] neg_lo:[0,0,1] neg_hi:[0,0,1]
	v_mov_b32_e32 v35, v99
	s_delay_alu instid0(VALU_DEP_1) | instskip(SKIP_3) | instid1(SALU_CYCLE_1)
	v_pk_add_f32 v[34:35], v[34:35], 0 op_sel_hi:[1,0]
	s_mov_b32 s51, exec_lo
	v_readlane_b32 s52, v107, 13
	s_and_b32 s52, s51, s52
	s_mov_b32 exec_lo, s52
	s_cbranch_execz .LBB168_508
; %bb.507:                              ;   in Loop: Header=BB168_3 Depth=1
	ds_load_b64 v[38:39], v37 offset:768
	ds_load_b64 v[40:41], v36 offset:8
	s_wait_dscnt 0x0
	v_pk_mul_f32 v[98:99], v[40:41], v[38:39] op_sel:[1,1] op_sel_hi:[0,1]
	s_delay_alu instid0(VALU_DEP_1) | instskip(SKIP_1) | instid1(VALU_DEP_2)
	v_pk_fma_f32 v[100:101], v[40:41], v[38:39], v[98:99] op_sel_hi:[1,0,1]
	v_pk_fma_f32 v[38:39], v[40:41], v[38:39], v[98:99] neg_lo:[0,0,1] neg_hi:[0,0,1]
	v_mov_b32_e32 v39, v101
	s_delay_alu instid0(VALU_DEP_1)
	v_pk_add_f32 v[34:35], v[34:35], v[38:39]
.LBB168_508:                            ;   in Loop: Header=BB168_3 Depth=1
	s_or_b32 exec_lo, exec_lo, s51
	s_delay_alu instid0(SALU_CYCLE_1) | instskip(SKIP_2) | instid1(SALU_CYCLE_1)
	s_mov_b32 s51, exec_lo
	v_readlane_b32 s52, v107, 14
	s_and_b32 s52, s51, s52
	s_mov_b32 exec_lo, s52
	s_cbranch_execz .LBB168_510
; %bb.509:                              ;   in Loop: Header=BB168_3 Depth=1
	ds_load_b64 v[38:39], v37 offset:1280
	ds_load_b64 v[40:41], v36 offset:16
	s_wait_dscnt 0x0
	v_pk_mul_f32 v[98:99], v[40:41], v[38:39] op_sel:[1,1] op_sel_hi:[0,1]
	s_delay_alu instid0(VALU_DEP_1) | instskip(SKIP_1) | instid1(VALU_DEP_2)
	v_pk_fma_f32 v[100:101], v[40:41], v[38:39], v[98:99] op_sel_hi:[1,0,1]
	v_pk_fma_f32 v[38:39], v[40:41], v[38:39], v[98:99] neg_lo:[0,0,1] neg_hi:[0,0,1]
	v_mov_b32_e32 v39, v101
	s_delay_alu instid0(VALU_DEP_1)
	v_pk_add_f32 v[34:35], v[34:35], v[38:39]
.LBB168_510:                            ;   in Loop: Header=BB168_3 Depth=1
	s_or_b32 exec_lo, exec_lo, s51
	s_delay_alu instid0(SALU_CYCLE_1) | instskip(SKIP_2) | instid1(SALU_CYCLE_1)
	;; [unrolled: 19-line block ×22, first 2 shown]
	s_mov_b32 s51, exec_lo
	v_readlane_b32 s52, v106, 3
	s_and_b32 s52, s51, s52
	s_mov_b32 exec_lo, s52
	s_cbranch_execz .LBB168_552
; %bb.551:                              ;   in Loop: Header=BB168_3 Depth=1
	ds_load_b64 v[38:39], v37 offset:12032
	ds_load_b64 v[40:41], v36 offset:184
	s_wait_dscnt 0x0
	v_pk_mul_f32 v[98:99], v[40:41], v[38:39] op_sel:[1,1] op_sel_hi:[0,1]
	s_delay_alu instid0(VALU_DEP_1) | instskip(SKIP_1) | instid1(VALU_DEP_2)
	v_pk_fma_f32 v[100:101], v[40:41], v[38:39], v[98:99] op_sel_hi:[1,0,1]
	v_pk_fma_f32 v[38:39], v[40:41], v[38:39], v[98:99] neg_lo:[0,0,1] neg_hi:[0,0,1]
	v_mov_b32_e32 v39, v101
	s_delay_alu instid0(VALU_DEP_1)
	v_pk_add_f32 v[34:35], v[34:35], v[38:39]
.LBB168_552:                            ;   in Loop: Header=BB168_3 Depth=1
	s_or_b32 exec_lo, exec_lo, s51
	s_and_saveexec_b32 s51, s7
	s_cbranch_execz .LBB168_554
; %bb.553:                              ;   in Loop: Header=BB168_3 Depth=1
	ds_load_b64 v[38:39], v37 offset:12544
	ds_load_b64 v[40:41], v36 offset:192
	s_wait_dscnt 0x0
	v_pk_mul_f32 v[98:99], v[40:41], v[38:39] op_sel:[1,1] op_sel_hi:[0,1]
	s_delay_alu instid0(VALU_DEP_1) | instskip(SKIP_1) | instid1(VALU_DEP_2)
	v_pk_fma_f32 v[100:101], v[40:41], v[38:39], v[98:99] op_sel_hi:[1,0,1]
	v_pk_fma_f32 v[38:39], v[40:41], v[38:39], v[98:99] neg_lo:[0,0,1] neg_hi:[0,0,1]
	v_mov_b32_e32 v39, v101
	s_delay_alu instid0(VALU_DEP_1)
	v_pk_add_f32 v[34:35], v[34:35], v[38:39]
.LBB168_554:                            ;   in Loop: Header=BB168_3 Depth=1
	s_or_b32 exec_lo, exec_lo, s51
	s_delay_alu instid0(SALU_CYCLE_1) | instskip(SKIP_2) | instid1(SALU_CYCLE_1)
	s_mov_b32 s51, exec_lo
	v_readlane_b32 s52, v107, 0
	s_and_b32 s52, s51, s52
	s_mov_b32 exec_lo, s52
	s_cbranch_execz .LBB168_556
; %bb.555:                              ;   in Loop: Header=BB168_3 Depth=1
	ds_load_b64 v[38:39], v37 offset:13056
	ds_load_b64 v[40:41], v36 offset:200
	s_wait_dscnt 0x0
	v_pk_mul_f32 v[98:99], v[40:41], v[38:39] op_sel:[1,1] op_sel_hi:[0,1]
	s_delay_alu instid0(VALU_DEP_1) | instskip(SKIP_1) | instid1(VALU_DEP_2)
	v_pk_fma_f32 v[100:101], v[40:41], v[38:39], v[98:99] op_sel_hi:[1,0,1]
	v_pk_fma_f32 v[38:39], v[40:41], v[38:39], v[98:99] neg_lo:[0,0,1] neg_hi:[0,0,1]
	v_mov_b32_e32 v39, v101
	s_delay_alu instid0(VALU_DEP_1)
	v_pk_add_f32 v[34:35], v[34:35], v[38:39]
.LBB168_556:                            ;   in Loop: Header=BB168_3 Depth=1
	s_or_b32 exec_lo, exec_lo, s51
	s_delay_alu instid0(SALU_CYCLE_1) | instskip(SKIP_2) | instid1(SALU_CYCLE_1)
	s_mov_b32 s51, exec_lo
	v_readlane_b32 s52, v107, 2
	s_and_b32 s52, s51, s52
	s_mov_b32 exec_lo, s52
	;; [unrolled: 19-line block ×5, first 2 shown]
	s_cbranch_execnz .LBB168_1148
; %bb.563:                              ;   in Loop: Header=BB168_3 Depth=1
	s_or_b32 exec_lo, exec_lo, s51
	s_and_saveexec_b32 s51, s6
	s_cbranch_execnz .LBB168_1149
.LBB168_564:                            ;   in Loop: Header=BB168_3 Depth=1
	s_or_b32 exec_lo, exec_lo, s51
	s_and_saveexec_b32 s51, s22
	s_cbranch_execz .LBB168_566
.LBB168_565:                            ;   in Loop: Header=BB168_3 Depth=1
	ds_load_b64 v[38:39], v86 offset:16128
	ds_load_b64 v[36:37], v36 offset:248
	s_wait_dscnt 0x0
	v_pk_mul_f32 v[40:41], v[36:37], v[38:39] op_sel:[1,1] op_sel_hi:[0,1]
	s_delay_alu instid0(VALU_DEP_1) | instskip(SKIP_1) | instid1(VALU_DEP_2)
	v_pk_fma_f32 v[98:99], v[36:37], v[38:39], v[40:41] op_sel_hi:[1,0,1]
	v_pk_fma_f32 v[36:37], v[36:37], v[38:39], v[40:41] neg_lo:[0,0,1] neg_hi:[0,0,1]
	v_mov_b32_e32 v37, v99
	s_delay_alu instid0(VALU_DEP_1)
	v_pk_add_f32 v[34:35], v[34:35], v[36:37]
.LBB168_566:                            ;   in Loop: Header=BB168_3 Depth=1
	s_or_b32 exec_lo, exec_lo, s51
	s_delay_alu instid0(VALU_DEP_1)
	v_pk_add_f32 v[34:35], v[34:35], 0 neg_lo:[1,1] neg_hi:[1,1]
.LBB168_567:                            ;   in Loop: Header=BB168_3 Depth=1
	s_or_b32 exec_lo, exec_lo, s86
	v_dual_mov_b32 v36, v69 :: v_dual_mov_b32 v37, v95
	s_mov_b32 s51, 0
	s_branch .LBB168_569
.LBB168_568:                            ;   in Loop: Header=BB168_569 Depth=2
	s_or_b32 exec_lo, exec_lo, s52
	v_add_nc_u32_e32 v37, 0x400, v37
	v_add_nc_u32_e32 v36, -2, v36
	s_add_co_i32 s51, s51, 2
	s_delay_alu instid0(SALU_CYCLE_1)
	s_cmp_eq_u32 s51, 32
	s_barrier_signal -1
	s_barrier_wait -1
	s_cbranch_scc1 .LBB168_577
.LBB168_569:                            ;   Parent Loop BB168_3 Depth=1
                                        ; =>  This Inner Loop Header: Depth=2
	s_delay_alu instid0(VALU_DEP_1) | instskip(SKIP_1) | instid1(SALU_CYCLE_1)
	v_cmp_eq_u32_e32 vcc_lo, 0, v36
	s_and_b32 s53, s50, vcc_lo
	s_and_saveexec_b32 s52, s53
	s_cbranch_execz .LBB168_571
; %bb.570:                              ;   in Loop: Header=BB168_569 Depth=2
	ds_load_b64 v[38:39], v87 offset:16640
	s_wait_dscnt 0x0
	v_pk_mul_f32 v[40:41], v[34:35], v[38:39] op_sel:[1,1] op_sel_hi:[1,0]
	s_delay_alu instid0(VALU_DEP_1) | instskip(SKIP_1) | instid1(VALU_DEP_2)
	v_pk_fma_f32 v[98:99], v[34:35], v[38:39], v[40:41] op_sel_hi:[0,1,1]
	v_pk_fma_f32 v[38:39], v[34:35], v[38:39], v[40:41] neg_lo:[0,0,1] neg_hi:[0,0,1]
	v_mov_b32_e32 v39, v99
	s_delay_alu instid0(VALU_DEP_1)
	v_mov_b64_e32 v[34:35], v[38:39]
	ds_store_b64 v88, v[38:39]
.LBB168_571:                            ;   in Loop: Header=BB168_569 Depth=2
	s_or_b32 exec_lo, exec_lo, s52
	v_cmp_lt_u32_e32 vcc_lo, s51, v69
	s_wait_dscnt 0x0
	s_barrier_signal -1
	s_barrier_wait -1
	s_and_b32 s53, s50, vcc_lo
	s_delay_alu instid0(SALU_CYCLE_1)
	s_and_saveexec_b32 s52, s53
	s_cbranch_execz .LBB168_573
; %bb.572:                              ;   in Loop: Header=BB168_569 Depth=2
	ds_load_b64 v[38:39], v37
	ds_load_b64 v[40:41], v88
	s_wait_dscnt 0x0
	v_pk_mul_f32 v[98:99], v[40:41], v[38:39] op_sel:[1,1] op_sel_hi:[0,1]
	s_delay_alu instid0(VALU_DEP_1) | instskip(SKIP_1) | instid1(VALU_DEP_2)
	v_pk_fma_f32 v[100:101], v[40:41], v[38:39], v[98:99] op_sel_hi:[1,0,1]
	v_pk_fma_f32 v[38:39], v[40:41], v[38:39], v[98:99] neg_lo:[0,0,1] neg_hi:[0,0,1]
	v_mov_b32_e32 v39, v101
	s_delay_alu instid0(VALU_DEP_1)
	v_pk_add_f32 v[34:35], v[34:35], v[38:39]
.LBB168_573:                            ;   in Loop: Header=BB168_569 Depth=2
	s_or_b32 exec_lo, exec_lo, s52
	s_or_b32 s52, s51, 1
	s_delay_alu instid0(SALU_CYCLE_1) | instskip(SKIP_3) | instid1(SALU_CYCLE_1)
	v_cmp_eq_u32_e32 vcc_lo, s52, v69
	s_barrier_signal -1
	s_barrier_wait -1
	s_and_b32 s54, s50, vcc_lo
	s_and_saveexec_b32 s53, s54
	s_cbranch_execz .LBB168_575
; %bb.574:                              ;   in Loop: Header=BB168_569 Depth=2
	ds_load_b64 v[38:39], v87 offset:16640
	s_wait_dscnt 0x0
	v_pk_mul_f32 v[40:41], v[34:35], v[38:39] op_sel:[1,1] op_sel_hi:[1,0]
	s_delay_alu instid0(VALU_DEP_1) | instskip(SKIP_1) | instid1(VALU_DEP_2)
	v_pk_fma_f32 v[98:99], v[34:35], v[38:39], v[40:41] op_sel_hi:[0,1,1]
	v_pk_fma_f32 v[38:39], v[34:35], v[38:39], v[40:41] neg_lo:[0,0,1] neg_hi:[0,0,1]
	v_mov_b32_e32 v39, v99
	s_delay_alu instid0(VALU_DEP_1)
	v_mov_b64_e32 v[34:35], v[38:39]
	ds_store_b64 v88, v[38:39]
.LBB168_575:                            ;   in Loop: Header=BB168_569 Depth=2
	s_or_b32 exec_lo, exec_lo, s53
	v_cmp_lt_u32_e32 vcc_lo, s52, v69
	s_wait_dscnt 0x0
	s_barrier_signal -1
	s_barrier_wait -1
	s_and_b32 s53, s50, vcc_lo
	s_delay_alu instid0(SALU_CYCLE_1)
	s_and_saveexec_b32 s52, s53
	s_cbranch_execz .LBB168_568
; %bb.576:                              ;   in Loop: Header=BB168_569 Depth=2
	ds_load_b64 v[38:39], v37 offset:512
	ds_load_b64 v[40:41], v88
	s_wait_dscnt 0x0
	v_pk_mul_f32 v[98:99], v[40:41], v[38:39] op_sel:[1,1] op_sel_hi:[0,1]
	s_delay_alu instid0(VALU_DEP_1) | instskip(SKIP_1) | instid1(VALU_DEP_2)
	v_pk_fma_f32 v[100:101], v[40:41], v[38:39], v[98:99] op_sel_hi:[1,0,1]
	v_pk_fma_f32 v[38:39], v[40:41], v[38:39], v[98:99] neg_lo:[0,0,1] neg_hi:[0,0,1]
	v_mov_b32_e32 v39, v101
	s_delay_alu instid0(VALU_DEP_1)
	v_pk_add_f32 v[34:35], v[34:35], v[38:39]
	s_branch .LBB168_568
.LBB168_577:                            ;   in Loop: Header=BB168_3 Depth=1
	s_and_saveexec_b32 s51, s36
; %bb.578:                              ;   in Loop: Header=BB168_3 Depth=1
	v_pk_add_f32 v[34:35], v[34:35], 0 neg_lo:[1,1] neg_hi:[1,1]
	ds_store_b64 v89, v[34:35] offset:256
; %bb.579:                              ;   in Loop: Header=BB168_3 Depth=1
	s_or_b32 exec_lo, exec_lo, s51
	s_wait_dscnt 0x0
	s_barrier_signal -1
	s_barrier_wait -1
	s_barrier_signal -1
	s_barrier_wait -1
	s_mov_b32 s51, exec_lo
	v_readlane_b32 s52, v108, 8
	s_and_b32 s52, s51, s52
	s_delay_alu instid0(SALU_CYCLE_1)
	s_mov_b32 exec_lo, s52
	s_cbranch_execz .LBB168_581
; %bb.580:                              ;   in Loop: Header=BB168_3 Depth=1
	ds_load_b64 v[34:35], v82 offset:256
	v_add_nc_u32_e32 v36, v82, v53
	s_wait_dscnt 0x0
	ds_store_b64 v36, v[34:35] offset:16384
	ds_load_b64 v[34:35], v82 offset:264
	s_wait_dscnt 0x0
	ds_store_b64 v36, v[34:35] offset:16896
	ds_load_b64 v[34:35], v82 offset:272
	;; [unrolled: 3-line block ×31, first 2 shown]
	s_wait_dscnt 0x0
	ds_store_b64 v36, v[34:35] offset:32256
.LBB168_581:                            ;   in Loop: Header=BB168_3 Depth=1
	s_or_b32 exec_lo, exec_lo, s51
	s_wait_dscnt 0x0
	s_barrier_signal -1
	s_barrier_wait -1
	s_and_saveexec_b32 s51, s14
	s_cbranch_execz .LBB168_583
; %bb.582:                              ;   in Loop: Header=BB168_3 Depth=1
	ds_load_b128 v[34:37], v5 offset:16640
	ds_load_b64 v[38:39], v5 offset:17160
	s_wait_dscnt 0x1
	v_dual_mov_b32 v98, v37 :: v_dual_mov_b32 v99, v36
	s_wait_dscnt 0x0
	v_dual_mul_f32 v41, v39, v35 :: v_dual_mul_f32 v40, v38, v35
	s_delay_alu instid0(VALU_DEP_1) | instskip(NEXT) | instid1(VALU_DEP_1)
	v_xor_b32_e32 v42, 0x80000000, v41
	v_dual_fmac_f32 v40, v39, v34 :: v_dual_fmac_f32 v42, v38, v34
	s_delay_alu instid0(VALU_DEP_1) | instskip(NEXT) | instid1(VALU_DEP_1)
	v_pk_mul_f32 v[34:35], v[40:41], v[98:99] op_sel_hi:[0,1]
	v_pk_fma_f32 v[38:39], v[42:43], v[36:37], v[34:35] op_sel_hi:[0,1,1]
	v_pk_fma_f32 v[34:35], v[42:43], v[36:37], v[34:35] neg_lo:[0,0,1] neg_hi:[0,0,1]
	v_add_nc_u32_e64 v36, 0x4000, 0
	s_delay_alu instid0(VALU_DEP_3)
	v_mov_b32_e32 v35, v39
	ds_store_2addr_b64 v36, v[34:35], v[34:35] offset0:33 offset1:96
.LBB168_583:                            ;   in Loop: Header=BB168_3 Depth=1
	s_or_b32 exec_lo, exec_lo, s51
	v_mov_b32_e32 v35, 0
	s_wait_dscnt 0x0
	s_barrier_signal -1
	s_barrier_wait -1
	s_delay_alu instid0(VALU_DEP_1)
	v_mov_b32_e32 v34, v35
	s_and_saveexec_b32 s51, s3
	s_cbranch_execz .LBB168_587
; %bb.584:                              ;   in Loop: Header=BB168_3 Depth=1
	ds_load_b64 v[34:35], v44 offset:16656
	ds_load_b64 v[36:37], v45 offset:16640
	s_wait_dscnt 0x0
	v_dual_mul_f32 v38, v37, v35 :: v_dual_mul_f32 v39, v36, v35
	s_delay_alu instid0(VALU_DEP_1) | instskip(NEXT) | instid1(VALU_DEP_1)
	v_dual_fma_f32 v38, v36, v34, -v38 :: v_dual_fmac_f32 v39, v37, v34
	v_pk_add_f32 v[34:35], v[38:39], 0 op_sel_hi:[1,0]
	s_and_saveexec_b32 s52, s16
	s_cbranch_execz .LBB168_586
; %bb.585:                              ;   in Loop: Header=BB168_3 Depth=1
	ds_load_b64 v[36:37], v46 offset:17168
	ds_load_b64 v[38:39], v5 offset:16648
	s_wait_dscnt 0x0
	v_pk_mul_f32 v[40:41], v[38:39], v[36:37] op_sel:[1,1] op_sel_hi:[0,1]
	s_delay_alu instid0(VALU_DEP_1) | instskip(SKIP_1) | instid1(VALU_DEP_2)
	v_pk_fma_f32 v[98:99], v[38:39], v[36:37], v[40:41] op_sel_hi:[1,0,1]
	v_pk_fma_f32 v[36:37], v[38:39], v[36:37], v[40:41] neg_lo:[0,0,1] neg_hi:[0,0,1]
	v_mov_b32_e32 v37, v99
	s_delay_alu instid0(VALU_DEP_1)
	v_pk_add_f32 v[34:35], v[34:35], v[36:37]
.LBB168_586:                            ;   in Loop: Header=BB168_3 Depth=1
	s_or_b32 exec_lo, exec_lo, s52
	s_delay_alu instid0(VALU_DEP_1)
	v_pk_add_f32 v[34:35], v[34:35], 0 neg_lo:[1,1] neg_hi:[1,1]
.LBB168_587:                            ;   in Loop: Header=BB168_3 Depth=1
	s_or_b32 exec_lo, exec_lo, s51
	s_and_saveexec_b32 s51, s93
	s_cbranch_execz .LBB168_589
; %bb.588:                              ;   in Loop: Header=BB168_3 Depth=1
	ds_load_b64 v[36:37], v5 offset:17680
	s_wait_dscnt 0x0
	v_pk_mul_f32 v[38:39], v[34:35], v[36:37] op_sel:[1,1] op_sel_hi:[1,0]
	s_delay_alu instid0(VALU_DEP_1) | instskip(SKIP_1) | instid1(VALU_DEP_2)
	v_pk_fma_f32 v[40:41], v[34:35], v[36:37], v[38:39] op_sel_hi:[0,1,1]
	v_pk_fma_f32 v[36:37], v[34:35], v[36:37], v[38:39] neg_lo:[0,0,1] neg_hi:[0,0,1]
	v_mov_b32_e32 v37, v41
	s_delay_alu instid0(VALU_DEP_1)
	v_mov_b64_e32 v[34:35], v[36:37]
	ds_store_b64 v3, v[36:37]
.LBB168_589:                            ;   in Loop: Header=BB168_3 Depth=1
	s_or_b32 exec_lo, exec_lo, s51
	s_wait_dscnt 0x0
	s_barrier_signal -1
	s_barrier_wait -1
	s_and_saveexec_b32 s51, s94
	s_cbranch_execz .LBB168_591
; %bb.590:                              ;   in Loop: Header=BB168_3 Depth=1
	ds_load_b64 v[36:37], v5 offset:17688
	ds_load_b64 v[38:39], v3
	s_wait_dscnt 0x0
	v_pk_mul_f32 v[40:41], v[38:39], v[36:37] op_sel:[1,1] op_sel_hi:[0,1]
	s_delay_alu instid0(VALU_DEP_1) | instskip(SKIP_1) | instid1(VALU_DEP_2)
	v_pk_fma_f32 v[98:99], v[38:39], v[36:37], v[40:41] op_sel_hi:[1,0,1]
	v_pk_fma_f32 v[36:37], v[38:39], v[36:37], v[40:41] neg_lo:[0,0,1] neg_hi:[0,0,1]
	v_mov_b32_e32 v37, v99
	s_delay_alu instid0(VALU_DEP_1)
	v_pk_add_f32 v[34:35], v[34:35], v[36:37]
.LBB168_591:                            ;   in Loop: Header=BB168_3 Depth=1
	s_or_b32 exec_lo, exec_lo, s51
	s_barrier_signal -1
	s_barrier_wait -1
	s_and_saveexec_b32 s51, s94
	s_cbranch_execz .LBB168_593
; %bb.592:                              ;   in Loop: Header=BB168_3 Depth=1
	ds_load_b64 v[36:37], v5 offset:18200
	s_wait_dscnt 0x0
	v_pk_mul_f32 v[38:39], v[34:35], v[36:37] op_sel:[1,1] op_sel_hi:[1,0]
	s_delay_alu instid0(VALU_DEP_1) | instskip(SKIP_1) | instid1(VALU_DEP_2)
	v_pk_fma_f32 v[40:41], v[34:35], v[36:37], v[38:39] op_sel_hi:[0,1,1]
	v_pk_fma_f32 v[36:37], v[34:35], v[36:37], v[38:39] neg_lo:[0,0,1] neg_hi:[0,0,1]
	v_mov_b32_e32 v37, v41
	s_delay_alu instid0(VALU_DEP_1)
	v_mov_b64_e32 v[34:35], v[36:37]
	ds_store_b64 v3, v[36:37]
.LBB168_593:                            ;   in Loop: Header=BB168_3 Depth=1
	s_or_b32 exec_lo, exec_lo, s51
	s_wait_dscnt 0x0
	s_barrier_signal -1
	s_barrier_wait -1
	s_barrier_signal -1
	s_barrier_wait -1
	s_and_saveexec_b32 s51, s3
; %bb.594:                              ;   in Loop: Header=BB168_3 Depth=1
	v_pk_add_f32 v[34:35], v[34:35], 0 neg_lo:[1,1] neg_hi:[1,1]
	ds_store_b64 v44, v[34:35] offset:16656
; %bb.595:                              ;   in Loop: Header=BB168_3 Depth=1
	s_or_b32 exec_lo, exec_lo, s51
	s_wait_dscnt 0x0
	s_barrier_signal -1
	s_barrier_wait -1
	s_barrier_signal -1
	s_barrier_wait -1
	s_and_saveexec_b32 s51, s95
	s_cbranch_execz .LBB168_597
; %bb.596:                              ;   in Loop: Header=BB168_3 Depth=1
	ds_load_b64 v[34:35], v49 offset:16656
	s_wait_dscnt 0x0
	ds_store_b64 v46, v[34:35] offset:17664
	ds_load_b64 v[34:35], v49 offset:16664
	s_wait_dscnt 0x0
	ds_store_b64 v46, v[34:35] offset:18176
.LBB168_597:                            ;   in Loop: Header=BB168_3 Depth=1
	s_or_b32 exec_lo, exec_lo, s51
	s_wait_dscnt 0x0
	s_barrier_signal -1
	s_barrier_wait -1
	s_and_saveexec_b32 s51, s14
	s_cbranch_execz .LBB168_599
; %bb.598:                              ;   in Loop: Header=BB168_3 Depth=1
	ds_load_b128 v[34:37], v5 offset:17680
	ds_load_b64 v[38:39], v5 offset:18200
	s_wait_dscnt 0x1
	v_dual_mov_b32 v98, v37 :: v_dual_mov_b32 v99, v36
	s_wait_dscnt 0x0
	v_dual_mul_f32 v41, v39, v35 :: v_dual_mul_f32 v40, v38, v35
	s_delay_alu instid0(VALU_DEP_1) | instskip(NEXT) | instid1(VALU_DEP_1)
	v_xor_b32_e32 v42, 0x80000000, v41
	v_dual_fmac_f32 v40, v39, v34 :: v_dual_fmac_f32 v42, v38, v34
	s_delay_alu instid0(VALU_DEP_1) | instskip(NEXT) | instid1(VALU_DEP_1)
	v_pk_mul_f32 v[34:35], v[40:41], v[98:99] op_sel_hi:[0,1]
	v_pk_fma_f32 v[38:39], v[42:43], v[36:37], v[34:35] op_sel_hi:[0,1,1]
	v_pk_fma_f32 v[34:35], v[42:43], v[36:37], v[34:35] neg_lo:[0,0,1] neg_hi:[0,0,1]
	v_add_nc_u32_e64 v36, 0x4000, 0
	s_delay_alu instid0(VALU_DEP_3)
	v_mov_b32_e32 v35, v39
	ds_store_2addr_b64 v36, v[34:35], v[34:35] offset0:163 offset1:226
.LBB168_599:                            ;   in Loop: Header=BB168_3 Depth=1
	s_or_b32 exec_lo, exec_lo, s51
	v_mov_b32_e32 v34, 0
	s_wait_dscnt 0x0
	s_barrier_signal -1
	s_barrier_wait -1
	s_delay_alu instid0(VALU_DEP_1)
	v_mov_b32_e32 v35, v34
	s_and_saveexec_b32 s51, s5
	s_cbranch_execz .LBB168_605
; %bb.600:                              ;   in Loop: Header=BB168_3 Depth=1
	ds_load_b64 v[34:35], v51 offset:16672
	ds_load_b64 v[36:37], v47 offset:16640
	s_wait_dscnt 0x0
	v_pk_mul_f32 v[38:39], v[36:37], v[34:35] op_sel:[0,1]
	s_delay_alu instid0(VALU_DEP_1) | instskip(SKIP_1) | instid1(VALU_DEP_2)
	v_pk_fma_f32 v[40:41], v[36:37], v[34:35], v[38:39] op_sel:[1,0,0] op_sel_hi:[0,0,1] neg_lo:[0,0,1] neg_hi:[0,0,1]
	v_pk_fma_f32 v[34:35], v[36:37], v[34:35], v[38:39] op_sel:[1,0,0] op_sel_hi:[0,1,1]
	v_mov_b32_e32 v35, v41
	s_delay_alu instid0(VALU_DEP_1)
	v_pk_add_f32 v[34:35], v[34:35], 0 op_sel_hi:[1,0]
	s_and_saveexec_b32 s52, s17
	s_cbranch_execnz .LBB168_1150
; %bb.601:                              ;   in Loop: Header=BB168_3 Depth=1
	s_or_b32 exec_lo, exec_lo, s52
	s_and_saveexec_b32 s52, s18
	s_cbranch_execnz .LBB168_1151
.LBB168_602:                            ;   in Loop: Header=BB168_3 Depth=1
	s_or_b32 exec_lo, exec_lo, s52
	s_and_saveexec_b32 s52, s3
	s_cbranch_execz .LBB168_604
.LBB168_603:                            ;   in Loop: Header=BB168_3 Depth=1
	ds_load_b64 v[36:37], v54 offset:18208
	ds_load_b64 v[38:39], v5 offset:16664
	s_wait_dscnt 0x0
	v_pk_mul_f32 v[40:41], v[38:39], v[36:37] op_sel:[0,1]
	s_delay_alu instid0(VALU_DEP_1) | instskip(SKIP_1) | instid1(VALU_DEP_2)
	v_pk_fma_f32 v[98:99], v[38:39], v[36:37], v[40:41] op_sel:[1,0,0] op_sel_hi:[0,0,1] neg_lo:[0,0,1] neg_hi:[0,0,1]
	v_pk_fma_f32 v[36:37], v[38:39], v[36:37], v[40:41] op_sel:[1,0,0] op_sel_hi:[0,1,1]
	v_mov_b32_e32 v37, v99
	s_delay_alu instid0(VALU_DEP_1)
	v_pk_add_f32 v[34:35], v[34:35], v[36:37]
.LBB168_604:                            ;   in Loop: Header=BB168_3 Depth=1
	s_or_b32 exec_lo, exec_lo, s52
	s_delay_alu instid0(VALU_DEP_1) | instskip(NEXT) | instid1(VALU_DEP_1)
	v_pk_add_f32 v[36:37], v[34:35], 0 neg_lo:[1,1] neg_hi:[1,1]
	v_dual_mov_b32 v34, v37 :: v_dual_mov_b32 v35, v36
.LBB168_605:                            ;   in Loop: Header=BB168_3 Depth=1
	s_or_b32 exec_lo, exec_lo, s51
	s_and_saveexec_b32 s51, s96
	s_cbranch_execz .LBB168_607
; %bb.606:                              ;   in Loop: Header=BB168_3 Depth=1
	ds_load_b64 v[36:37], v5 offset:18720
	v_dual_mov_b32 v38, v35 :: v_dual_mov_b32 v39, v34
	s_wait_dscnt 0x0
	s_delay_alu instid0(VALU_DEP_1) | instskip(NEXT) | instid1(VALU_DEP_1)
	v_dual_mul_f32 v40, v38, v36 :: v_dual_mul_f32 v42, v35, v37
	v_pk_fma_f32 v[38:39], v[38:39], v[36:37], v[40:41] op_sel_hi:[1,1,0]
	s_delay_alu instid0(VALU_DEP_2) | instskip(NEXT) | instid1(VALU_DEP_2)
	v_pk_fma_f32 v[34:35], v[34:35], v[36:37], v[42:43] op_sel_hi:[1,1,0] neg_lo:[0,0,1] neg_hi:[0,0,1]
	v_mov_b32_e32 v35, v39
	ds_store_b64 v50, v[34:35]
.LBB168_607:                            ;   in Loop: Header=BB168_3 Depth=1
	s_or_b32 exec_lo, exec_lo, s51
	s_wait_dscnt 0x0
	s_barrier_signal -1
	s_barrier_wait -1
	s_and_saveexec_b32 s51, s97
	s_cbranch_execz .LBB168_609
; %bb.608:                              ;   in Loop: Header=BB168_3 Depth=1
	ds_load_b64 v[36:37], v48 offset:18720
	ds_load_b64 v[38:39], v50
	s_wait_dscnt 0x0
	v_dual_mul_f32 v40, v39, v37 :: v_dual_mul_f32 v41, v38, v37
	s_delay_alu instid0(VALU_DEP_1) | instskip(NEXT) | instid1(VALU_DEP_1)
	v_dual_fma_f32 v40, v38, v36, -v40 :: v_dual_fmac_f32 v41, v39, v36
	v_pk_add_f32 v[34:35], v[34:35], v[40:41]
.LBB168_609:                            ;   in Loop: Header=BB168_3 Depth=1
	s_or_b32 exec_lo, exec_lo, s51
	s_barrier_signal -1
	s_barrier_wait -1
	s_and_saveexec_b32 s51, s98
	s_cbranch_execz .LBB168_611
; %bb.610:                              ;   in Loop: Header=BB168_3 Depth=1
	ds_load_b64 v[36:37], v5 offset:19240
	s_wait_dscnt 0x0
	v_pk_mul_f32 v[38:39], v[34:35], v[36:37] op_sel:[1,1] op_sel_hi:[1,0]
	s_delay_alu instid0(VALU_DEP_1) | instskip(SKIP_1) | instid1(VALU_DEP_2)
	v_pk_fma_f32 v[40:41], v[34:35], v[36:37], v[38:39] op_sel_hi:[0,1,1]
	v_pk_fma_f32 v[36:37], v[34:35], v[36:37], v[38:39] neg_lo:[0,0,1] neg_hi:[0,0,1]
	v_mov_b32_e32 v37, v41
	s_delay_alu instid0(VALU_DEP_1)
	v_mov_b64_e32 v[34:35], v[36:37]
	ds_store_b64 v50, v[36:37]
.LBB168_611:                            ;   in Loop: Header=BB168_3 Depth=1
	s_or_b32 exec_lo, exec_lo, s51
	s_wait_dscnt 0x0
	s_barrier_signal -1
	s_barrier_wait -1
	s_and_saveexec_b32 s51, s99
	s_cbranch_execz .LBB168_613
; %bb.612:                              ;   in Loop: Header=BB168_3 Depth=1
	ds_load_b64 v[36:37], v48 offset:19232
	ds_load_b64 v[38:39], v50
	s_wait_dscnt 0x0
	v_pk_mul_f32 v[40:41], v[38:39], v[36:37] op_sel:[1,1] op_sel_hi:[0,1]
	s_delay_alu instid0(VALU_DEP_1) | instskip(SKIP_1) | instid1(VALU_DEP_2)
	v_pk_fma_f32 v[98:99], v[38:39], v[36:37], v[40:41] op_sel_hi:[1,0,1]
	v_pk_fma_f32 v[36:37], v[38:39], v[36:37], v[40:41] neg_lo:[0,0,1] neg_hi:[0,0,1]
	v_mov_b32_e32 v37, v99
	s_delay_alu instid0(VALU_DEP_1)
	v_pk_add_f32 v[34:35], v[34:35], v[36:37]
.LBB168_613:                            ;   in Loop: Header=BB168_3 Depth=1
	s_or_b32 exec_lo, exec_lo, s51
	s_barrier_signal -1
	s_barrier_wait -1
	s_and_saveexec_b32 s51, s100
	s_cbranch_execz .LBB168_615
; %bb.614:                              ;   in Loop: Header=BB168_3 Depth=1
	ds_load_b64 v[36:37], v5 offset:19760
	s_wait_dscnt 0x0
	v_pk_mul_f32 v[38:39], v[34:35], v[36:37] op_sel:[1,1] op_sel_hi:[1,0]
	s_delay_alu instid0(VALU_DEP_1) | instskip(SKIP_1) | instid1(VALU_DEP_2)
	v_pk_fma_f32 v[40:41], v[34:35], v[36:37], v[38:39] op_sel_hi:[0,1,1]
	v_pk_fma_f32 v[36:37], v[34:35], v[36:37], v[38:39] neg_lo:[0,0,1] neg_hi:[0,0,1]
	v_mov_b32_e32 v37, v41
	s_delay_alu instid0(VALU_DEP_1)
	v_mov_b64_e32 v[34:35], v[36:37]
	ds_store_b64 v50, v[36:37]
.LBB168_615:                            ;   in Loop: Header=BB168_3 Depth=1
	s_or_b32 exec_lo, exec_lo, s51
	s_wait_dscnt 0x0
	s_barrier_signal -1
	s_barrier_wait -1
	s_and_saveexec_b32 s51, s101
	s_cbranch_execz .LBB168_617
; %bb.616:                              ;   in Loop: Header=BB168_3 Depth=1
	ds_load_b64 v[36:37], v5 offset:19768
	ds_load_b64 v[38:39], v50
	s_wait_dscnt 0x0
	v_pk_mul_f32 v[40:41], v[38:39], v[36:37] op_sel:[1,1] op_sel_hi:[0,1]
	s_delay_alu instid0(VALU_DEP_1) | instskip(SKIP_1) | instid1(VALU_DEP_2)
	v_pk_fma_f32 v[98:99], v[38:39], v[36:37], v[40:41] op_sel_hi:[1,0,1]
	v_pk_fma_f32 v[36:37], v[38:39], v[36:37], v[40:41] neg_lo:[0,0,1] neg_hi:[0,0,1]
	v_mov_b32_e32 v37, v99
	s_delay_alu instid0(VALU_DEP_1)
	v_pk_add_f32 v[34:35], v[34:35], v[36:37]
.LBB168_617:                            ;   in Loop: Header=BB168_3 Depth=1
	s_or_b32 exec_lo, exec_lo, s51
	s_barrier_signal -1
	s_barrier_wait -1
	s_and_saveexec_b32 s51, s101
	s_cbranch_execz .LBB168_619
; %bb.618:                              ;   in Loop: Header=BB168_3 Depth=1
	ds_load_b64 v[36:37], v5 offset:20280
	s_wait_dscnt 0x0
	v_pk_mul_f32 v[38:39], v[34:35], v[36:37] op_sel:[1,1] op_sel_hi:[1,0]
	s_delay_alu instid0(VALU_DEP_1) | instskip(SKIP_1) | instid1(VALU_DEP_2)
	v_pk_fma_f32 v[40:41], v[34:35], v[36:37], v[38:39] op_sel_hi:[0,1,1]
	v_pk_fma_f32 v[36:37], v[34:35], v[36:37], v[38:39] neg_lo:[0,0,1] neg_hi:[0,0,1]
	v_mov_b32_e32 v37, v41
	s_delay_alu instid0(VALU_DEP_1)
	v_mov_b64_e32 v[34:35], v[36:37]
	ds_store_b64 v50, v[36:37]
.LBB168_619:                            ;   in Loop: Header=BB168_3 Depth=1
	s_or_b32 exec_lo, exec_lo, s51
	s_wait_dscnt 0x0
	s_barrier_signal -1
	s_barrier_wait -1
	s_barrier_signal -1
	s_barrier_wait -1
	s_and_saveexec_b32 s51, s5
; %bb.620:                              ;   in Loop: Header=BB168_3 Depth=1
	v_pk_add_f32 v[34:35], v[34:35], 0 neg_lo:[1,1] neg_hi:[1,1]
	ds_store_b64 v51, v[34:35] offset:16672
; %bb.621:                              ;   in Loop: Header=BB168_3 Depth=1
	s_or_b32 exec_lo, exec_lo, s51
	s_wait_dscnt 0x0
	s_barrier_signal -1
	s_barrier_wait -1
	s_barrier_signal -1
	s_barrier_wait -1
	s_and_saveexec_b32 s51, s102
	s_cbranch_execz .LBB168_623
; %bb.622:                              ;   in Loop: Header=BB168_3 Depth=1
	ds_load_b64 v[34:35], v55 offset:16672
	s_wait_dscnt 0x0
	ds_store_b64 v56, v[34:35] offset:18688
	ds_load_b64 v[34:35], v55 offset:16680
	s_wait_dscnt 0x0
	ds_store_b64 v56, v[34:35] offset:19200
	;; [unrolled: 3-line block ×4, first 2 shown]
.LBB168_623:                            ;   in Loop: Header=BB168_3 Depth=1
	s_or_b32 exec_lo, exec_lo, s51
	s_wait_dscnt 0x0
	s_barrier_signal -1
	s_barrier_wait -1
	s_and_saveexec_b32 s51, s14
	s_cbranch_execz .LBB168_625
; %bb.624:                              ;   in Loop: Header=BB168_3 Depth=1
	ds_load_b128 v[34:37], v5 offset:18720
	ds_load_b64 v[38:39], v5 offset:19240
	s_wait_dscnt 0x1
	v_dual_mov_b32 v98, v37 :: v_dual_mov_b32 v99, v36
	s_wait_dscnt 0x0
	v_dual_mul_f32 v41, v39, v35 :: v_dual_mul_f32 v40, v38, v35
	s_delay_alu instid0(VALU_DEP_1) | instskip(NEXT) | instid1(VALU_DEP_1)
	v_xor_b32_e32 v42, 0x80000000, v41
	v_dual_fmac_f32 v40, v39, v34 :: v_dual_fmac_f32 v42, v38, v34
	s_delay_alu instid0(VALU_DEP_1) | instskip(NEXT) | instid1(VALU_DEP_1)
	v_pk_mul_f32 v[34:35], v[40:41], v[98:99] op_sel_hi:[0,1]
	v_pk_fma_f32 v[38:39], v[42:43], v[36:37], v[34:35] op_sel_hi:[0,1,1]
	v_pk_fma_f32 v[34:35], v[42:43], v[36:37], v[34:35] neg_lo:[0,0,1] neg_hi:[0,0,1]
	v_add_nc_u32_e64 v36, 0x4800, 0
	s_delay_alu instid0(VALU_DEP_3)
	v_mov_b32_e32 v35, v39
	ds_store_2addr_b64 v36, v[34:35], v[34:35] offset0:37 offset1:100
.LBB168_625:                            ;   in Loop: Header=BB168_3 Depth=1
	s_or_b32 exec_lo, exec_lo, s51
	v_mov_b32_e32 v35, 0
	s_wait_dscnt 0x0
	s_barrier_signal -1
	s_barrier_wait -1
	s_delay_alu instid0(VALU_DEP_1)
	v_mov_b32_e32 v34, v35
	s_and_saveexec_b32 s51, s3
	s_cbranch_execz .LBB168_629
; %bb.626:                              ;   in Loop: Header=BB168_3 Depth=1
	ds_load_b64 v[34:35], v44 offset:18736
	ds_load_b64 v[36:37], v45 offset:18720
	s_wait_dscnt 0x0
	v_dual_mul_f32 v38, v37, v35 :: v_dual_mul_f32 v39, v36, v35
	s_delay_alu instid0(VALU_DEP_1) | instskip(NEXT) | instid1(VALU_DEP_1)
	v_dual_fma_f32 v38, v36, v34, -v38 :: v_dual_fmac_f32 v39, v37, v34
	v_pk_add_f32 v[34:35], v[38:39], 0 op_sel_hi:[1,0]
	s_and_saveexec_b32 s52, s16
	s_cbranch_execz .LBB168_628
; %bb.627:                              ;   in Loop: Header=BB168_3 Depth=1
	ds_load_b64 v[36:37], v56 offset:19248
	ds_load_b64 v[38:39], v5 offset:18728
	s_wait_dscnt 0x0
	v_pk_mul_f32 v[40:41], v[38:39], v[36:37] op_sel:[1,1] op_sel_hi:[0,1]
	s_delay_alu instid0(VALU_DEP_1) | instskip(SKIP_1) | instid1(VALU_DEP_2)
	v_pk_fma_f32 v[98:99], v[38:39], v[36:37], v[40:41] op_sel_hi:[1,0,1]
	v_pk_fma_f32 v[36:37], v[38:39], v[36:37], v[40:41] neg_lo:[0,0,1] neg_hi:[0,0,1]
	v_mov_b32_e32 v37, v99
	s_delay_alu instid0(VALU_DEP_1)
	v_pk_add_f32 v[34:35], v[34:35], v[36:37]
.LBB168_628:                            ;   in Loop: Header=BB168_3 Depth=1
	s_or_b32 exec_lo, exec_lo, s52
	s_delay_alu instid0(VALU_DEP_1)
	v_pk_add_f32 v[34:35], v[34:35], 0 neg_lo:[1,1] neg_hi:[1,1]
.LBB168_629:                            ;   in Loop: Header=BB168_3 Depth=1
	s_or_b32 exec_lo, exec_lo, s51
	s_and_saveexec_b32 s51, s93
	s_cbranch_execz .LBB168_631
; %bb.630:                              ;   in Loop: Header=BB168_3 Depth=1
	ds_load_b64 v[36:37], v5 offset:19760
	s_wait_dscnt 0x0
	v_pk_mul_f32 v[38:39], v[34:35], v[36:37] op_sel:[1,1] op_sel_hi:[1,0]
	s_delay_alu instid0(VALU_DEP_1) | instskip(SKIP_1) | instid1(VALU_DEP_2)
	v_pk_fma_f32 v[40:41], v[34:35], v[36:37], v[38:39] op_sel_hi:[0,1,1]
	v_pk_fma_f32 v[36:37], v[34:35], v[36:37], v[38:39] neg_lo:[0,0,1] neg_hi:[0,0,1]
	v_mov_b32_e32 v37, v41
	s_delay_alu instid0(VALU_DEP_1)
	v_mov_b64_e32 v[34:35], v[36:37]
	ds_store_b64 v3, v[36:37]
.LBB168_631:                            ;   in Loop: Header=BB168_3 Depth=1
	s_or_b32 exec_lo, exec_lo, s51
	s_wait_dscnt 0x0
	s_barrier_signal -1
	s_barrier_wait -1
	s_and_saveexec_b32 s51, s94
	s_cbranch_execz .LBB168_633
; %bb.632:                              ;   in Loop: Header=BB168_3 Depth=1
	ds_load_b64 v[36:37], v5 offset:19768
	ds_load_b64 v[38:39], v3
	s_wait_dscnt 0x0
	v_pk_mul_f32 v[40:41], v[38:39], v[36:37] op_sel:[1,1] op_sel_hi:[0,1]
	s_delay_alu instid0(VALU_DEP_1) | instskip(SKIP_1) | instid1(VALU_DEP_2)
	v_pk_fma_f32 v[98:99], v[38:39], v[36:37], v[40:41] op_sel_hi:[1,0,1]
	v_pk_fma_f32 v[36:37], v[38:39], v[36:37], v[40:41] neg_lo:[0,0,1] neg_hi:[0,0,1]
	v_mov_b32_e32 v37, v99
	s_delay_alu instid0(VALU_DEP_1)
	v_pk_add_f32 v[34:35], v[34:35], v[36:37]
.LBB168_633:                            ;   in Loop: Header=BB168_3 Depth=1
	s_or_b32 exec_lo, exec_lo, s51
	s_barrier_signal -1
	s_barrier_wait -1
	s_and_saveexec_b32 s51, s94
	s_cbranch_execz .LBB168_635
; %bb.634:                              ;   in Loop: Header=BB168_3 Depth=1
	ds_load_b64 v[36:37], v5 offset:20280
	s_wait_dscnt 0x0
	v_pk_mul_f32 v[38:39], v[34:35], v[36:37] op_sel:[1,1] op_sel_hi:[1,0]
	s_delay_alu instid0(VALU_DEP_1) | instskip(SKIP_1) | instid1(VALU_DEP_2)
	v_pk_fma_f32 v[40:41], v[34:35], v[36:37], v[38:39] op_sel_hi:[0,1,1]
	v_pk_fma_f32 v[36:37], v[34:35], v[36:37], v[38:39] neg_lo:[0,0,1] neg_hi:[0,0,1]
	v_mov_b32_e32 v37, v41
	s_delay_alu instid0(VALU_DEP_1)
	v_mov_b64_e32 v[34:35], v[36:37]
	ds_store_b64 v3, v[36:37]
.LBB168_635:                            ;   in Loop: Header=BB168_3 Depth=1
	s_or_b32 exec_lo, exec_lo, s51
	s_wait_dscnt 0x0
	s_barrier_signal -1
	s_barrier_wait -1
	s_barrier_signal -1
	s_barrier_wait -1
	s_and_saveexec_b32 s51, s3
; %bb.636:                              ;   in Loop: Header=BB168_3 Depth=1
	v_pk_add_f32 v[34:35], v[34:35], 0 neg_lo:[1,1] neg_hi:[1,1]
	ds_store_b64 v44, v[34:35] offset:18736
; %bb.637:                              ;   in Loop: Header=BB168_3 Depth=1
	s_or_b32 exec_lo, exec_lo, s51
	s_wait_dscnt 0x0
	s_barrier_signal -1
	s_barrier_wait -1
	s_barrier_signal -1
	s_barrier_wait -1
	s_and_saveexec_b32 s51, s95
	s_cbranch_execz .LBB168_639
; %bb.638:                              ;   in Loop: Header=BB168_3 Depth=1
	ds_load_b64 v[34:35], v58 offset:18736
	s_wait_dscnt 0x0
	ds_store_b64 v56, v[34:35] offset:19744
	ds_load_b64 v[34:35], v58 offset:18744
	s_wait_dscnt 0x0
	ds_store_b64 v56, v[34:35] offset:20256
.LBB168_639:                            ;   in Loop: Header=BB168_3 Depth=1
	s_or_b32 exec_lo, exec_lo, s51
	s_wait_dscnt 0x0
	s_barrier_signal -1
	s_barrier_wait -1
	s_and_saveexec_b32 s51, s14
	s_cbranch_execz .LBB168_641
; %bb.640:                              ;   in Loop: Header=BB168_3 Depth=1
	ds_load_b128 v[34:37], v5 offset:19760
	ds_load_b64 v[38:39], v5 offset:20280
	s_wait_dscnt 0x1
	v_dual_mov_b32 v98, v37 :: v_dual_mov_b32 v99, v36
	s_wait_dscnt 0x0
	v_dual_mul_f32 v41, v39, v35 :: v_dual_mul_f32 v40, v38, v35
	s_delay_alu instid0(VALU_DEP_1) | instskip(NEXT) | instid1(VALU_DEP_1)
	v_xor_b32_e32 v42, 0x80000000, v41
	v_dual_fmac_f32 v40, v39, v34 :: v_dual_fmac_f32 v42, v38, v34
	s_delay_alu instid0(VALU_DEP_1) | instskip(NEXT) | instid1(VALU_DEP_1)
	v_pk_mul_f32 v[34:35], v[40:41], v[98:99] op_sel_hi:[0,1]
	v_pk_fma_f32 v[38:39], v[42:43], v[36:37], v[34:35] op_sel_hi:[0,1,1]
	v_pk_fma_f32 v[34:35], v[42:43], v[36:37], v[34:35] neg_lo:[0,0,1] neg_hi:[0,0,1]
	v_add_nc_u32_e64 v36, 0x4800, 0
	s_delay_alu instid0(VALU_DEP_3)
	v_mov_b32_e32 v35, v39
	ds_store_2addr_b64 v36, v[34:35], v[34:35] offset0:167 offset1:230
.LBB168_641:                            ;   in Loop: Header=BB168_3 Depth=1
	s_or_b32 exec_lo, exec_lo, s51
	v_mov_b32_e32 v34, 0
	s_wait_dscnt 0x0
	s_barrier_signal -1
	s_barrier_wait -1
	s_delay_alu instid0(VALU_DEP_1)
	v_mov_b32_e32 v35, v34
	s_and_saveexec_b32 s51, s6
	s_cbranch_execz .LBB168_651
; %bb.642:                              ;   in Loop: Header=BB168_3 Depth=1
	ds_load_b64 v[34:35], v61 offset:16704
	ds_load_b64 v[36:37], v57 offset:16640
	s_wait_dscnt 0x0
	v_dual_mul_f32 v38, v37, v35 :: v_dual_mul_f32 v39, v36, v35
	s_delay_alu instid0(VALU_DEP_1) | instskip(NEXT) | instid1(VALU_DEP_1)
	v_dual_fma_f32 v35, v36, v34, -v38 :: v_dual_fmac_f32 v39, v37, v34
	v_add_f32_e32 v35, 0, v35
	s_delay_alu instid0(VALU_DEP_2)
	v_add_f32_e32 v34, 0, v39
	s_and_saveexec_b32 s52, s19
	s_cbranch_execnz .LBB168_1152
; %bb.643:                              ;   in Loop: Header=BB168_3 Depth=1
	s_or_b32 exec_lo, exec_lo, s52
	s_and_saveexec_b32 s52, s20
	s_cbranch_execnz .LBB168_1153
.LBB168_644:                            ;   in Loop: Header=BB168_3 Depth=1
	s_or_b32 exec_lo, exec_lo, s52
	s_and_saveexec_b32 s52, s21
	s_cbranch_execnz .LBB168_1154
.LBB168_645:                            ;   in Loop: Header=BB168_3 Depth=1
	s_or_b32 exec_lo, exec_lo, s52
	s_and_saveexec_b32 s52, s22
	s_cbranch_execnz .LBB168_1155
.LBB168_646:                            ;   in Loop: Header=BB168_3 Depth=1
	s_or_b32 exec_lo, exec_lo, s52
	s_and_saveexec_b32 s52, s23
	s_cbranch_execnz .LBB168_1156
.LBB168_647:                            ;   in Loop: Header=BB168_3 Depth=1
	s_or_b32 exec_lo, exec_lo, s52
	s_and_saveexec_b32 s52, s5
	s_cbranch_execnz .LBB168_1157
.LBB168_648:                            ;   in Loop: Header=BB168_3 Depth=1
	s_or_b32 exec_lo, exec_lo, s52
	s_and_saveexec_b32 s52, s18
	s_cbranch_execz .LBB168_650
.LBB168_649:                            ;   in Loop: Header=BB168_3 Depth=1
	ds_load_b64 v[36:37], v63 offset:20288
	ds_load_b64 v[38:39], v5 offset:16696
	s_wait_dscnt 0x0
	v_pk_mul_f32 v[40:41], v[38:39], v[36:37] op_sel:[0,1]
	s_delay_alu instid0(VALU_DEP_1) | instskip(SKIP_1) | instid1(VALU_DEP_2)
	v_pk_fma_f32 v[98:99], v[38:39], v[36:37], v[40:41] op_sel:[1,0,0] op_sel_hi:[0,0,1] neg_lo:[0,0,1] neg_hi:[0,0,1]
	v_pk_fma_f32 v[36:37], v[38:39], v[36:37], v[40:41] op_sel:[1,0,0] op_sel_hi:[0,1,1]
	v_mov_b32_e32 v37, v99
	s_delay_alu instid0(VALU_DEP_1)
	v_pk_add_f32 v[34:35], v[34:35], v[36:37]
.LBB168_650:                            ;   in Loop: Header=BB168_3 Depth=1
	s_or_b32 exec_lo, exec_lo, s52
	s_delay_alu instid0(VALU_DEP_1) | instskip(NEXT) | instid1(VALU_DEP_1)
	v_pk_add_f32 v[36:37], v[34:35], 0 neg_lo:[1,1] neg_hi:[1,1]
	v_dual_mov_b32 v34, v37 :: v_dual_mov_b32 v35, v36
.LBB168_651:                            ;   in Loop: Header=BB168_3 Depth=1
	s_or_b32 exec_lo, exec_lo, s51
	s_and_saveexec_b32 s51, s103
	s_cbranch_execz .LBB168_653
; %bb.652:                              ;   in Loop: Header=BB168_3 Depth=1
	ds_load_b64 v[36:37], v5 offset:20800
	v_dual_mov_b32 v38, v35 :: v_dual_mov_b32 v39, v34
	s_wait_dscnt 0x0
	s_delay_alu instid0(VALU_DEP_1) | instskip(NEXT) | instid1(VALU_DEP_1)
	v_dual_mul_f32 v40, v38, v36 :: v_dual_mul_f32 v42, v35, v37
	v_pk_fma_f32 v[38:39], v[38:39], v[36:37], v[40:41] op_sel_hi:[1,1,0]
	s_delay_alu instid0(VALU_DEP_2) | instskip(NEXT) | instid1(VALU_DEP_2)
	v_pk_fma_f32 v[34:35], v[34:35], v[36:37], v[42:43] op_sel_hi:[1,1,0] neg_lo:[0,0,1] neg_hi:[0,0,1]
	v_mov_b32_e32 v35, v39
	ds_store_b64 v60, v[34:35]
.LBB168_653:                            ;   in Loop: Header=BB168_3 Depth=1
	s_or_b32 exec_lo, exec_lo, s51
	s_wait_dscnt 0x0
	s_barrier_signal -1
	s_barrier_wait -1
	s_and_saveexec_b32 s51, s104
	s_cbranch_execz .LBB168_655
; %bb.654:                              ;   in Loop: Header=BB168_3 Depth=1
	ds_load_b64 v[36:37], v59 offset:20800
	ds_load_b64 v[38:39], v60
	s_wait_dscnt 0x0
	v_dual_mul_f32 v40, v39, v37 :: v_dual_mul_f32 v41, v38, v37
	s_delay_alu instid0(VALU_DEP_1) | instskip(NEXT) | instid1(VALU_DEP_1)
	v_dual_fma_f32 v40, v38, v36, -v40 :: v_dual_fmac_f32 v41, v39, v36
	v_pk_add_f32 v[34:35], v[34:35], v[40:41]
.LBB168_655:                            ;   in Loop: Header=BB168_3 Depth=1
	s_or_b32 exec_lo, exec_lo, s51
	s_barrier_signal -1
	s_barrier_wait -1
	s_and_saveexec_b32 s51, vcc_hi
	s_cbranch_execz .LBB168_657
; %bb.656:                              ;   in Loop: Header=BB168_3 Depth=1
	ds_load_b64 v[36:37], v5 offset:21320
	s_wait_dscnt 0x0
	v_pk_mul_f32 v[38:39], v[34:35], v[36:37] op_sel:[1,1] op_sel_hi:[1,0]
	s_delay_alu instid0(VALU_DEP_1) | instskip(SKIP_1) | instid1(VALU_DEP_2)
	v_pk_fma_f32 v[40:41], v[34:35], v[36:37], v[38:39] op_sel_hi:[0,1,1]
	v_pk_fma_f32 v[34:35], v[34:35], v[36:37], v[38:39] op_sel_hi:[0,1,1] neg_lo:[0,0,1] neg_hi:[0,0,1]
	v_mov_b32_e32 v35, v41
	ds_store_b64 v60, v[34:35]
.LBB168_657:                            ;   in Loop: Header=BB168_3 Depth=1
	s_or_b32 exec_lo, exec_lo, s51
	s_wait_dscnt 0x0
	s_barrier_signal -1
	s_barrier_wait -1
	s_and_saveexec_b32 s51, s15
	s_cbranch_execz .LBB168_659
; %bb.658:                              ;   in Loop: Header=BB168_3 Depth=1
	ds_load_b64 v[36:37], v59 offset:21312
	ds_load_b64 v[38:39], v60
	s_wait_dscnt 0x0
	v_pk_mul_f32 v[40:41], v[38:39], v[36:37] op_sel:[1,1] op_sel_hi:[0,1]
	s_delay_alu instid0(VALU_DEP_1) | instskip(SKIP_1) | instid1(VALU_DEP_2)
	v_pk_fma_f32 v[98:99], v[38:39], v[36:37], v[40:41] op_sel_hi:[1,0,1]
	v_pk_fma_f32 v[36:37], v[38:39], v[36:37], v[40:41] op_sel_hi:[1,0,1] neg_lo:[0,0,1] neg_hi:[0,0,1]
	v_mov_b32_e32 v37, v99
	s_delay_alu instid0(VALU_DEP_1)
	v_pk_add_f32 v[34:35], v[34:35], v[36:37]
.LBB168_659:                            ;   in Loop: Header=BB168_3 Depth=1
	s_or_b32 exec_lo, exec_lo, s51
	s_barrier_signal -1
	s_barrier_wait -1
	s_and_saveexec_b32 s51, s39
	s_cbranch_execz .LBB168_661
; %bb.660:                              ;   in Loop: Header=BB168_3 Depth=1
	ds_load_b64 v[36:37], v5 offset:21840
	s_wait_dscnt 0x0
	v_pk_mul_f32 v[38:39], v[34:35], v[36:37] op_sel:[1,1] op_sel_hi:[1,0]
	s_delay_alu instid0(VALU_DEP_1) | instskip(SKIP_1) | instid1(VALU_DEP_2)
	v_pk_fma_f32 v[40:41], v[34:35], v[36:37], v[38:39] op_sel_hi:[0,1,1]
	v_pk_fma_f32 v[34:35], v[34:35], v[36:37], v[38:39] op_sel_hi:[0,1,1] neg_lo:[0,0,1] neg_hi:[0,0,1]
	v_mov_b32_e32 v35, v41
	ds_store_b64 v60, v[34:35]
.LBB168_661:                            ;   in Loop: Header=BB168_3 Depth=1
	s_or_b32 exec_lo, exec_lo, s51
	s_wait_dscnt 0x0
	s_barrier_signal -1
	s_barrier_wait -1
	s_and_saveexec_b32 s51, s40
	s_cbranch_execz .LBB168_663
; %bb.662:                              ;   in Loop: Header=BB168_3 Depth=1
	ds_load_b64 v[36:37], v59 offset:21824
	ds_load_b64 v[38:39], v60
	s_wait_dscnt 0x0
	v_pk_mul_f32 v[40:41], v[38:39], v[36:37] op_sel:[1,1] op_sel_hi:[0,1]
	s_delay_alu instid0(VALU_DEP_1) | instskip(SKIP_1) | instid1(VALU_DEP_2)
	v_pk_fma_f32 v[98:99], v[38:39], v[36:37], v[40:41] op_sel_hi:[1,0,1]
	v_pk_fma_f32 v[36:37], v[38:39], v[36:37], v[40:41] op_sel_hi:[1,0,1] neg_lo:[0,0,1] neg_hi:[0,0,1]
	v_mov_b32_e32 v37, v99
	s_delay_alu instid0(VALU_DEP_1)
	v_pk_add_f32 v[34:35], v[34:35], v[36:37]
.LBB168_663:                            ;   in Loop: Header=BB168_3 Depth=1
	s_or_b32 exec_lo, exec_lo, s51
	s_barrier_signal -1
	s_barrier_wait -1
	s_and_saveexec_b32 s51, s41
	;; [unrolled: 33-line block ×3, first 2 shown]
	s_cbranch_execz .LBB168_669
; %bb.668:                              ;   in Loop: Header=BB168_3 Depth=1
	ds_load_b64 v[36:37], v5 offset:22880
	s_wait_dscnt 0x0
	v_dual_mul_f32 v38, v34, v37 :: v_dual_mul_f32 v40, v35, v37
	s_delay_alu instid0(VALU_DEP_1) | instskip(NEXT) | instid1(VALU_DEP_2)
	v_pk_fma_f32 v[38:39], v[34:35], v[36:37], v[38:39] op_sel:[0,1,0] op_sel_hi:[1,0,0]
	v_pk_fma_f32 v[36:37], v[34:35], v[36:37], v[40:41] op_sel_hi:[1,1,0] neg_lo:[0,0,1] neg_hi:[0,0,1]
	s_delay_alu instid0(VALU_DEP_2) | instskip(NEXT) | instid1(VALU_DEP_1)
	v_mov_b32_e32 v37, v39
	v_mov_b64_e32 v[34:35], v[36:37]
	ds_store_b64 v60, v[36:37]
.LBB168_669:                            ;   in Loop: Header=BB168_3 Depth=1
	s_or_b32 exec_lo, exec_lo, s51
	s_wait_dscnt 0x0
	s_barrier_signal -1
	s_barrier_wait -1
	s_and_saveexec_b32 s51, s44
	s_cbranch_execz .LBB168_671
; %bb.670:                              ;   in Loop: Header=BB168_3 Depth=1
	ds_load_b64 v[36:37], v59 offset:22848
	ds_load_b64 v[38:39], v60
	s_wait_dscnt 0x0
	v_dual_mul_f32 v40, v39, v37 :: v_dual_mul_f32 v41, v38, v37
	s_delay_alu instid0(VALU_DEP_1) | instskip(NEXT) | instid1(VALU_DEP_1)
	v_dual_fma_f32 v40, v38, v36, -v40 :: v_dual_fmac_f32 v41, v39, v36
	v_pk_add_f32 v[34:35], v[34:35], v[40:41]
.LBB168_671:                            ;   in Loop: Header=BB168_3 Depth=1
	s_or_b32 exec_lo, exec_lo, s51
	s_barrier_signal -1
	s_barrier_wait -1
	s_and_saveexec_b32 s51, s45
	s_cbranch_execz .LBB168_673
; %bb.672:                              ;   in Loop: Header=BB168_3 Depth=1
	ds_load_b64 v[36:37], v5 offset:23400
	s_wait_dscnt 0x0
	v_pk_mul_f32 v[38:39], v[34:35], v[36:37] op_sel:[1,1] op_sel_hi:[1,0]
	s_delay_alu instid0(VALU_DEP_1) | instskip(SKIP_1) | instid1(VALU_DEP_2)
	v_pk_fma_f32 v[40:41], v[34:35], v[36:37], v[38:39] op_sel_hi:[0,1,1]
	v_pk_fma_f32 v[36:37], v[34:35], v[36:37], v[38:39] neg_lo:[0,0,1] neg_hi:[0,0,1]
	v_mov_b32_e32 v37, v41
	s_delay_alu instid0(VALU_DEP_1)
	v_mov_b64_e32 v[34:35], v[36:37]
	ds_store_b64 v60, v[36:37]
.LBB168_673:                            ;   in Loop: Header=BB168_3 Depth=1
	s_or_b32 exec_lo, exec_lo, s51
	s_wait_dscnt 0x0
	s_barrier_signal -1
	s_barrier_wait -1
	s_and_saveexec_b32 s51, s46
	s_cbranch_execz .LBB168_675
; %bb.674:                              ;   in Loop: Header=BB168_3 Depth=1
	ds_load_b64 v[36:37], v59 offset:23360
	ds_load_b64 v[38:39], v60
	s_wait_dscnt 0x0
	v_pk_mul_f32 v[40:41], v[38:39], v[36:37] op_sel:[1,1] op_sel_hi:[0,1]
	s_delay_alu instid0(VALU_DEP_1) | instskip(SKIP_1) | instid1(VALU_DEP_2)
	v_pk_fma_f32 v[98:99], v[38:39], v[36:37], v[40:41] op_sel_hi:[1,0,1]
	v_pk_fma_f32 v[36:37], v[38:39], v[36:37], v[40:41] neg_lo:[0,0,1] neg_hi:[0,0,1]
	v_mov_b32_e32 v37, v99
	s_delay_alu instid0(VALU_DEP_1)
	v_pk_add_f32 v[34:35], v[34:35], v[36:37]
.LBB168_675:                            ;   in Loop: Header=BB168_3 Depth=1
	s_or_b32 exec_lo, exec_lo, s51
	s_barrier_signal -1
	s_barrier_wait -1
	s_and_saveexec_b32 s51, s47
	s_cbranch_execz .LBB168_677
; %bb.676:                              ;   in Loop: Header=BB168_3 Depth=1
	ds_load_b64 v[36:37], v5 offset:23920
	s_wait_dscnt 0x0
	v_pk_mul_f32 v[38:39], v[34:35], v[36:37] op_sel:[1,1] op_sel_hi:[1,0]
	s_delay_alu instid0(VALU_DEP_1) | instskip(SKIP_1) | instid1(VALU_DEP_2)
	v_pk_fma_f32 v[40:41], v[34:35], v[36:37], v[38:39] op_sel_hi:[0,1,1]
	v_pk_fma_f32 v[36:37], v[34:35], v[36:37], v[38:39] neg_lo:[0,0,1] neg_hi:[0,0,1]
	v_mov_b32_e32 v37, v41
	s_delay_alu instid0(VALU_DEP_1)
	v_mov_b64_e32 v[34:35], v[36:37]
	ds_store_b64 v60, v[36:37]
.LBB168_677:                            ;   in Loop: Header=BB168_3 Depth=1
	s_or_b32 exec_lo, exec_lo, s51
	s_wait_dscnt 0x0
	s_barrier_signal -1
	s_barrier_wait -1
	s_and_saveexec_b32 s51, s48
	s_cbranch_execz .LBB168_679
; %bb.678:                              ;   in Loop: Header=BB168_3 Depth=1
	ds_load_b64 v[36:37], v5 offset:23928
	ds_load_b64 v[38:39], v60
	s_wait_dscnt 0x0
	v_pk_mul_f32 v[40:41], v[38:39], v[36:37] op_sel:[1,1] op_sel_hi:[0,1]
	s_delay_alu instid0(VALU_DEP_1) | instskip(SKIP_1) | instid1(VALU_DEP_2)
	v_pk_fma_f32 v[98:99], v[38:39], v[36:37], v[40:41] op_sel_hi:[1,0,1]
	v_pk_fma_f32 v[36:37], v[38:39], v[36:37], v[40:41] neg_lo:[0,0,1] neg_hi:[0,0,1]
	v_mov_b32_e32 v37, v99
	s_delay_alu instid0(VALU_DEP_1)
	v_pk_add_f32 v[34:35], v[34:35], v[36:37]
.LBB168_679:                            ;   in Loop: Header=BB168_3 Depth=1
	s_or_b32 exec_lo, exec_lo, s51
	s_barrier_signal -1
	s_barrier_wait -1
	s_and_saveexec_b32 s51, s48
	s_cbranch_execz .LBB168_681
; %bb.680:                              ;   in Loop: Header=BB168_3 Depth=1
	ds_load_b64 v[36:37], v5 offset:24440
	s_wait_dscnt 0x0
	v_pk_mul_f32 v[38:39], v[34:35], v[36:37] op_sel:[1,1] op_sel_hi:[1,0]
	s_delay_alu instid0(VALU_DEP_1) | instskip(SKIP_1) | instid1(VALU_DEP_2)
	v_pk_fma_f32 v[40:41], v[34:35], v[36:37], v[38:39] op_sel_hi:[0,1,1]
	v_pk_fma_f32 v[36:37], v[34:35], v[36:37], v[38:39] neg_lo:[0,0,1] neg_hi:[0,0,1]
	v_mov_b32_e32 v37, v41
	s_delay_alu instid0(VALU_DEP_1)
	v_mov_b64_e32 v[34:35], v[36:37]
	ds_store_b64 v60, v[36:37]
.LBB168_681:                            ;   in Loop: Header=BB168_3 Depth=1
	s_or_b32 exec_lo, exec_lo, s51
	s_wait_dscnt 0x0
	s_barrier_signal -1
	s_barrier_wait -1
	s_barrier_signal -1
	s_barrier_wait -1
	s_and_saveexec_b32 s51, s6
; %bb.682:                              ;   in Loop: Header=BB168_3 Depth=1
	v_pk_add_f32 v[34:35], v[34:35], 0 neg_lo:[1,1] neg_hi:[1,1]
	ds_store_b64 v61, v[34:35] offset:16704
; %bb.683:                              ;   in Loop: Header=BB168_3 Depth=1
	s_or_b32 exec_lo, exec_lo, s51
	s_wait_dscnt 0x0
	s_barrier_signal -1
	s_barrier_wait -1
	s_barrier_signal -1
	s_barrier_wait -1
	s_and_saveexec_b32 s51, s49
	s_cbranch_execz .LBB168_685
; %bb.684:                              ;   in Loop: Header=BB168_3 Depth=1
	ds_load_b64 v[34:35], v72 offset:16704
	s_wait_dscnt 0x0
	ds_store_b64 v73, v[34:35] offset:20736
	ds_load_b64 v[34:35], v72 offset:16712
	s_wait_dscnt 0x0
	ds_store_b64 v73, v[34:35] offset:21248
	;; [unrolled: 3-line block ×8, first 2 shown]
.LBB168_685:                            ;   in Loop: Header=BB168_3 Depth=1
	s_or_b32 exec_lo, exec_lo, s51
	s_wait_dscnt 0x0
	s_barrier_signal -1
	s_barrier_wait -1
	s_and_saveexec_b32 s51, s14
	s_cbranch_execz .LBB168_687
; %bb.686:                              ;   in Loop: Header=BB168_3 Depth=1
	ds_load_b128 v[34:37], v5 offset:20800
	ds_load_b64 v[38:39], v5 offset:21320
	s_wait_dscnt 0x1
	v_dual_mov_b32 v98, v37 :: v_dual_mov_b32 v99, v36
	s_wait_dscnt 0x0
	v_dual_mul_f32 v41, v39, v35 :: v_dual_mul_f32 v40, v38, v35
	s_delay_alu instid0(VALU_DEP_1) | instskip(NEXT) | instid1(VALU_DEP_1)
	v_xor_b32_e32 v42, 0x80000000, v41
	v_dual_fmac_f32 v40, v39, v34 :: v_dual_fmac_f32 v42, v38, v34
	s_delay_alu instid0(VALU_DEP_1) | instskip(NEXT) | instid1(VALU_DEP_1)
	v_pk_mul_f32 v[34:35], v[40:41], v[98:99] op_sel_hi:[0,1]
	v_pk_fma_f32 v[38:39], v[42:43], v[36:37], v[34:35] op_sel_hi:[0,1,1]
	v_pk_fma_f32 v[34:35], v[42:43], v[36:37], v[34:35] neg_lo:[0,0,1] neg_hi:[0,0,1]
	v_add_nc_u32_e64 v36, 0x5000, 0
	s_delay_alu instid0(VALU_DEP_3)
	v_mov_b32_e32 v35, v39
	ds_store_2addr_b64 v36, v[34:35], v[34:35] offset0:41 offset1:104
.LBB168_687:                            ;   in Loop: Header=BB168_3 Depth=1
	s_or_b32 exec_lo, exec_lo, s51
	v_mov_b32_e32 v35, 0
	s_wait_dscnt 0x0
	s_barrier_signal -1
	s_barrier_wait -1
	s_delay_alu instid0(VALU_DEP_1)
	v_mov_b32_e32 v34, v35
	s_and_saveexec_b32 s51, s3
	s_cbranch_execz .LBB168_691
; %bb.688:                              ;   in Loop: Header=BB168_3 Depth=1
	ds_load_b64 v[34:35], v44 offset:20816
	ds_load_b64 v[36:37], v45 offset:20800
	s_wait_dscnt 0x0
	v_dual_mul_f32 v38, v37, v35 :: v_dual_mul_f32 v39, v36, v35
	s_delay_alu instid0(VALU_DEP_1) | instskip(NEXT) | instid1(VALU_DEP_1)
	v_dual_fma_f32 v38, v36, v34, -v38 :: v_dual_fmac_f32 v39, v37, v34
	v_pk_add_f32 v[34:35], v[38:39], 0 op_sel_hi:[1,0]
	s_and_saveexec_b32 s52, s16
	s_cbranch_execz .LBB168_690
; %bb.689:                              ;   in Loop: Header=BB168_3 Depth=1
	ds_load_b64 v[36:37], v73 offset:21328
	ds_load_b64 v[38:39], v5 offset:20808
	s_wait_dscnt 0x0
	v_pk_mul_f32 v[40:41], v[38:39], v[36:37] op_sel:[1,1] op_sel_hi:[0,1]
	s_delay_alu instid0(VALU_DEP_1) | instskip(SKIP_1) | instid1(VALU_DEP_2)
	v_pk_fma_f32 v[98:99], v[38:39], v[36:37], v[40:41] op_sel_hi:[1,0,1]
	v_pk_fma_f32 v[36:37], v[38:39], v[36:37], v[40:41] neg_lo:[0,0,1] neg_hi:[0,0,1]
	v_mov_b32_e32 v37, v99
	s_delay_alu instid0(VALU_DEP_1)
	v_pk_add_f32 v[34:35], v[34:35], v[36:37]
.LBB168_690:                            ;   in Loop: Header=BB168_3 Depth=1
	s_or_b32 exec_lo, exec_lo, s52
	s_delay_alu instid0(VALU_DEP_1)
	v_pk_add_f32 v[34:35], v[34:35], 0 neg_lo:[1,1] neg_hi:[1,1]
.LBB168_691:                            ;   in Loop: Header=BB168_3 Depth=1
	s_or_b32 exec_lo, exec_lo, s51
	s_and_saveexec_b32 s51, s93
	s_cbranch_execz .LBB168_693
; %bb.692:                              ;   in Loop: Header=BB168_3 Depth=1
	ds_load_b64 v[36:37], v5 offset:21840
	s_wait_dscnt 0x0
	v_pk_mul_f32 v[38:39], v[34:35], v[36:37] op_sel:[1,1] op_sel_hi:[1,0]
	s_delay_alu instid0(VALU_DEP_1) | instskip(SKIP_1) | instid1(VALU_DEP_2)
	v_pk_fma_f32 v[40:41], v[34:35], v[36:37], v[38:39] op_sel_hi:[0,1,1]
	v_pk_fma_f32 v[36:37], v[34:35], v[36:37], v[38:39] neg_lo:[0,0,1] neg_hi:[0,0,1]
	v_mov_b32_e32 v37, v41
	s_delay_alu instid0(VALU_DEP_1)
	v_mov_b64_e32 v[34:35], v[36:37]
	ds_store_b64 v3, v[36:37]
.LBB168_693:                            ;   in Loop: Header=BB168_3 Depth=1
	s_or_b32 exec_lo, exec_lo, s51
	s_wait_dscnt 0x0
	s_barrier_signal -1
	s_barrier_wait -1
	s_and_saveexec_b32 s51, s94
	s_cbranch_execz .LBB168_695
; %bb.694:                              ;   in Loop: Header=BB168_3 Depth=1
	ds_load_b64 v[36:37], v5 offset:21848
	ds_load_b64 v[38:39], v3
	s_wait_dscnt 0x0
	v_pk_mul_f32 v[40:41], v[38:39], v[36:37] op_sel:[1,1] op_sel_hi:[0,1]
	s_delay_alu instid0(VALU_DEP_1) | instskip(SKIP_1) | instid1(VALU_DEP_2)
	v_pk_fma_f32 v[98:99], v[38:39], v[36:37], v[40:41] op_sel_hi:[1,0,1]
	v_pk_fma_f32 v[36:37], v[38:39], v[36:37], v[40:41] neg_lo:[0,0,1] neg_hi:[0,0,1]
	v_mov_b32_e32 v37, v99
	s_delay_alu instid0(VALU_DEP_1)
	v_pk_add_f32 v[34:35], v[34:35], v[36:37]
.LBB168_695:                            ;   in Loop: Header=BB168_3 Depth=1
	s_or_b32 exec_lo, exec_lo, s51
	s_barrier_signal -1
	s_barrier_wait -1
	s_and_saveexec_b32 s51, s94
	s_cbranch_execz .LBB168_697
; %bb.696:                              ;   in Loop: Header=BB168_3 Depth=1
	ds_load_b64 v[36:37], v5 offset:22360
	s_wait_dscnt 0x0
	v_pk_mul_f32 v[38:39], v[34:35], v[36:37] op_sel:[1,1] op_sel_hi:[1,0]
	s_delay_alu instid0(VALU_DEP_1) | instskip(SKIP_1) | instid1(VALU_DEP_2)
	v_pk_fma_f32 v[40:41], v[34:35], v[36:37], v[38:39] op_sel_hi:[0,1,1]
	v_pk_fma_f32 v[36:37], v[34:35], v[36:37], v[38:39] neg_lo:[0,0,1] neg_hi:[0,0,1]
	v_mov_b32_e32 v37, v41
	s_delay_alu instid0(VALU_DEP_1)
	v_mov_b64_e32 v[34:35], v[36:37]
	ds_store_b64 v3, v[36:37]
.LBB168_697:                            ;   in Loop: Header=BB168_3 Depth=1
	s_or_b32 exec_lo, exec_lo, s51
	s_wait_dscnt 0x0
	s_barrier_signal -1
	s_barrier_wait -1
	s_barrier_signal -1
	s_barrier_wait -1
	s_and_saveexec_b32 s51, s3
; %bb.698:                              ;   in Loop: Header=BB168_3 Depth=1
	v_pk_add_f32 v[34:35], v[34:35], 0 neg_lo:[1,1] neg_hi:[1,1]
	ds_store_b64 v44, v[34:35] offset:20816
; %bb.699:                              ;   in Loop: Header=BB168_3 Depth=1
	s_or_b32 exec_lo, exec_lo, s51
	s_wait_dscnt 0x0
	s_barrier_signal -1
	s_barrier_wait -1
	s_barrier_signal -1
	s_barrier_wait -1
	s_and_saveexec_b32 s51, s95
	s_cbranch_execz .LBB168_701
; %bb.700:                              ;   in Loop: Header=BB168_3 Depth=1
	ds_load_b64 v[34:35], v74 offset:20816
	s_wait_dscnt 0x0
	ds_store_b64 v73, v[34:35] offset:21824
	ds_load_b64 v[34:35], v74 offset:20824
	s_wait_dscnt 0x0
	ds_store_b64 v73, v[34:35] offset:22336
.LBB168_701:                            ;   in Loop: Header=BB168_3 Depth=1
	s_or_b32 exec_lo, exec_lo, s51
	s_wait_dscnt 0x0
	s_barrier_signal -1
	s_barrier_wait -1
	s_and_saveexec_b32 s51, s14
	s_cbranch_execz .LBB168_703
; %bb.702:                              ;   in Loop: Header=BB168_3 Depth=1
	ds_load_b128 v[34:37], v5 offset:21840
	ds_load_b64 v[38:39], v5 offset:22360
	s_wait_dscnt 0x1
	v_dual_mov_b32 v98, v37 :: v_dual_mov_b32 v99, v36
	s_wait_dscnt 0x0
	v_dual_mul_f32 v41, v39, v35 :: v_dual_mul_f32 v40, v38, v35
	s_delay_alu instid0(VALU_DEP_1) | instskip(NEXT) | instid1(VALU_DEP_1)
	v_xor_b32_e32 v42, 0x80000000, v41
	v_dual_fmac_f32 v40, v39, v34 :: v_dual_fmac_f32 v42, v38, v34
	s_delay_alu instid0(VALU_DEP_1) | instskip(NEXT) | instid1(VALU_DEP_1)
	v_pk_mul_f32 v[34:35], v[40:41], v[98:99] op_sel_hi:[0,1]
	v_pk_fma_f32 v[38:39], v[42:43], v[36:37], v[34:35] op_sel_hi:[0,1,1]
	v_pk_fma_f32 v[34:35], v[42:43], v[36:37], v[34:35] neg_lo:[0,0,1] neg_hi:[0,0,1]
	v_add_nc_u32_e64 v36, 0x5000, 0
	s_delay_alu instid0(VALU_DEP_3)
	v_mov_b32_e32 v35, v39
	ds_store_2addr_b64 v36, v[34:35], v[34:35] offset0:171 offset1:234
.LBB168_703:                            ;   in Loop: Header=BB168_3 Depth=1
	s_or_b32 exec_lo, exec_lo, s51
	v_mov_b32_e32 v34, 0
	s_wait_dscnt 0x0
	s_barrier_signal -1
	s_barrier_wait -1
	s_delay_alu instid0(VALU_DEP_1)
	v_mov_b32_e32 v35, v34
	s_and_saveexec_b32 s51, s5
	s_cbranch_execz .LBB168_709
; %bb.704:                              ;   in Loop: Header=BB168_3 Depth=1
	ds_load_b64 v[34:35], v51 offset:20832
	ds_load_b64 v[36:37], v47 offset:20800
	s_wait_dscnt 0x0
	v_pk_mul_f32 v[38:39], v[36:37], v[34:35] op_sel:[0,1]
	s_delay_alu instid0(VALU_DEP_1) | instskip(SKIP_1) | instid1(VALU_DEP_2)
	v_pk_fma_f32 v[40:41], v[36:37], v[34:35], v[38:39] op_sel:[1,0,0] op_sel_hi:[0,0,1] neg_lo:[0,0,1] neg_hi:[0,0,1]
	v_pk_fma_f32 v[34:35], v[36:37], v[34:35], v[38:39] op_sel:[1,0,0] op_sel_hi:[0,1,1]
	v_mov_b32_e32 v35, v41
	s_delay_alu instid0(VALU_DEP_1)
	v_pk_add_f32 v[34:35], v[34:35], 0 op_sel_hi:[1,0]
	s_and_saveexec_b32 s52, s17
	s_cbranch_execnz .LBB168_1158
; %bb.705:                              ;   in Loop: Header=BB168_3 Depth=1
	s_or_b32 exec_lo, exec_lo, s52
	s_and_saveexec_b32 s52, s18
	s_cbranch_execnz .LBB168_1159
.LBB168_706:                            ;   in Loop: Header=BB168_3 Depth=1
	s_or_b32 exec_lo, exec_lo, s52
	s_and_saveexec_b32 s52, s3
	s_cbranch_execz .LBB168_708
.LBB168_707:                            ;   in Loop: Header=BB168_3 Depth=1
	ds_load_b64 v[36:37], v76 offset:22368
	ds_load_b64 v[38:39], v5 offset:20824
	s_wait_dscnt 0x0
	v_pk_mul_f32 v[40:41], v[38:39], v[36:37] op_sel:[0,1]
	s_delay_alu instid0(VALU_DEP_1) | instskip(SKIP_1) | instid1(VALU_DEP_2)
	v_pk_fma_f32 v[98:99], v[38:39], v[36:37], v[40:41] op_sel:[1,0,0] op_sel_hi:[0,0,1] neg_lo:[0,0,1] neg_hi:[0,0,1]
	v_pk_fma_f32 v[36:37], v[38:39], v[36:37], v[40:41] op_sel:[1,0,0] op_sel_hi:[0,1,1]
	v_mov_b32_e32 v37, v99
	s_delay_alu instid0(VALU_DEP_1)
	v_pk_add_f32 v[34:35], v[34:35], v[36:37]
.LBB168_708:                            ;   in Loop: Header=BB168_3 Depth=1
	s_or_b32 exec_lo, exec_lo, s52
	s_delay_alu instid0(VALU_DEP_1) | instskip(NEXT) | instid1(VALU_DEP_1)
	v_pk_add_f32 v[36:37], v[34:35], 0 neg_lo:[1,1] neg_hi:[1,1]
	v_dual_mov_b32 v34, v37 :: v_dual_mov_b32 v35, v36
.LBB168_709:                            ;   in Loop: Header=BB168_3 Depth=1
	s_or_b32 exec_lo, exec_lo, s51
	s_and_saveexec_b32 s51, s96
	s_cbranch_execz .LBB168_711
; %bb.710:                              ;   in Loop: Header=BB168_3 Depth=1
	ds_load_b64 v[36:37], v5 offset:22880
	v_dual_mov_b32 v38, v35 :: v_dual_mov_b32 v39, v34
	s_wait_dscnt 0x0
	s_delay_alu instid0(VALU_DEP_1) | instskip(NEXT) | instid1(VALU_DEP_1)
	v_dual_mul_f32 v40, v38, v36 :: v_dual_mul_f32 v42, v35, v37
	v_pk_fma_f32 v[38:39], v[38:39], v[36:37], v[40:41] op_sel_hi:[1,1,0]
	s_delay_alu instid0(VALU_DEP_2) | instskip(NEXT) | instid1(VALU_DEP_2)
	v_pk_fma_f32 v[34:35], v[34:35], v[36:37], v[42:43] op_sel_hi:[1,1,0] neg_lo:[0,0,1] neg_hi:[0,0,1]
	v_mov_b32_e32 v35, v39
	ds_store_b64 v50, v[34:35]
.LBB168_711:                            ;   in Loop: Header=BB168_3 Depth=1
	s_or_b32 exec_lo, exec_lo, s51
	s_wait_dscnt 0x0
	s_barrier_signal -1
	s_barrier_wait -1
	s_and_saveexec_b32 s51, s97
	s_cbranch_execz .LBB168_713
; %bb.712:                              ;   in Loop: Header=BB168_3 Depth=1
	ds_load_b64 v[36:37], v48 offset:22880
	ds_load_b64 v[38:39], v50
	s_wait_dscnt 0x0
	v_dual_mul_f32 v40, v39, v37 :: v_dual_mul_f32 v41, v38, v37
	s_delay_alu instid0(VALU_DEP_1) | instskip(NEXT) | instid1(VALU_DEP_1)
	v_dual_fma_f32 v40, v38, v36, -v40 :: v_dual_fmac_f32 v41, v39, v36
	v_pk_add_f32 v[34:35], v[34:35], v[40:41]
.LBB168_713:                            ;   in Loop: Header=BB168_3 Depth=1
	s_or_b32 exec_lo, exec_lo, s51
	s_barrier_signal -1
	s_barrier_wait -1
	s_and_saveexec_b32 s51, s98
	s_cbranch_execz .LBB168_715
; %bb.714:                              ;   in Loop: Header=BB168_3 Depth=1
	ds_load_b64 v[36:37], v5 offset:23400
	s_wait_dscnt 0x0
	v_pk_mul_f32 v[38:39], v[34:35], v[36:37] op_sel:[1,1] op_sel_hi:[1,0]
	s_delay_alu instid0(VALU_DEP_1) | instskip(SKIP_1) | instid1(VALU_DEP_2)
	v_pk_fma_f32 v[40:41], v[34:35], v[36:37], v[38:39] op_sel_hi:[0,1,1]
	v_pk_fma_f32 v[36:37], v[34:35], v[36:37], v[38:39] neg_lo:[0,0,1] neg_hi:[0,0,1]
	v_mov_b32_e32 v37, v41
	s_delay_alu instid0(VALU_DEP_1)
	v_mov_b64_e32 v[34:35], v[36:37]
	ds_store_b64 v50, v[36:37]
.LBB168_715:                            ;   in Loop: Header=BB168_3 Depth=1
	s_or_b32 exec_lo, exec_lo, s51
	s_wait_dscnt 0x0
	s_barrier_signal -1
	s_barrier_wait -1
	s_and_saveexec_b32 s51, s99
	s_cbranch_execz .LBB168_717
; %bb.716:                              ;   in Loop: Header=BB168_3 Depth=1
	ds_load_b64 v[36:37], v48 offset:23392
	ds_load_b64 v[38:39], v50
	s_wait_dscnt 0x0
	v_pk_mul_f32 v[40:41], v[38:39], v[36:37] op_sel:[1,1] op_sel_hi:[0,1]
	s_delay_alu instid0(VALU_DEP_1) | instskip(SKIP_1) | instid1(VALU_DEP_2)
	v_pk_fma_f32 v[98:99], v[38:39], v[36:37], v[40:41] op_sel_hi:[1,0,1]
	v_pk_fma_f32 v[36:37], v[38:39], v[36:37], v[40:41] neg_lo:[0,0,1] neg_hi:[0,0,1]
	v_mov_b32_e32 v37, v99
	s_delay_alu instid0(VALU_DEP_1)
	v_pk_add_f32 v[34:35], v[34:35], v[36:37]
.LBB168_717:                            ;   in Loop: Header=BB168_3 Depth=1
	s_or_b32 exec_lo, exec_lo, s51
	s_barrier_signal -1
	s_barrier_wait -1
	s_and_saveexec_b32 s51, s100
	s_cbranch_execz .LBB168_719
; %bb.718:                              ;   in Loop: Header=BB168_3 Depth=1
	ds_load_b64 v[36:37], v5 offset:23920
	s_wait_dscnt 0x0
	v_pk_mul_f32 v[38:39], v[34:35], v[36:37] op_sel:[1,1] op_sel_hi:[1,0]
	s_delay_alu instid0(VALU_DEP_1) | instskip(SKIP_1) | instid1(VALU_DEP_2)
	v_pk_fma_f32 v[40:41], v[34:35], v[36:37], v[38:39] op_sel_hi:[0,1,1]
	v_pk_fma_f32 v[36:37], v[34:35], v[36:37], v[38:39] neg_lo:[0,0,1] neg_hi:[0,0,1]
	v_mov_b32_e32 v37, v41
	s_delay_alu instid0(VALU_DEP_1)
	v_mov_b64_e32 v[34:35], v[36:37]
	ds_store_b64 v50, v[36:37]
.LBB168_719:                            ;   in Loop: Header=BB168_3 Depth=1
	s_or_b32 exec_lo, exec_lo, s51
	s_wait_dscnt 0x0
	s_barrier_signal -1
	s_barrier_wait -1
	s_and_saveexec_b32 s51, s101
	s_cbranch_execz .LBB168_721
; %bb.720:                              ;   in Loop: Header=BB168_3 Depth=1
	ds_load_b64 v[36:37], v5 offset:23928
	ds_load_b64 v[38:39], v50
	s_wait_dscnt 0x0
	v_pk_mul_f32 v[40:41], v[38:39], v[36:37] op_sel:[1,1] op_sel_hi:[0,1]
	s_delay_alu instid0(VALU_DEP_1) | instskip(SKIP_1) | instid1(VALU_DEP_2)
	v_pk_fma_f32 v[98:99], v[38:39], v[36:37], v[40:41] op_sel_hi:[1,0,1]
	v_pk_fma_f32 v[36:37], v[38:39], v[36:37], v[40:41] neg_lo:[0,0,1] neg_hi:[0,0,1]
	v_mov_b32_e32 v37, v99
	s_delay_alu instid0(VALU_DEP_1)
	v_pk_add_f32 v[34:35], v[34:35], v[36:37]
.LBB168_721:                            ;   in Loop: Header=BB168_3 Depth=1
	s_or_b32 exec_lo, exec_lo, s51
	s_barrier_signal -1
	s_barrier_wait -1
	s_and_saveexec_b32 s51, s101
	s_cbranch_execz .LBB168_723
; %bb.722:                              ;   in Loop: Header=BB168_3 Depth=1
	ds_load_b64 v[36:37], v5 offset:24440
	s_wait_dscnt 0x0
	v_pk_mul_f32 v[38:39], v[34:35], v[36:37] op_sel:[1,1] op_sel_hi:[1,0]
	s_delay_alu instid0(VALU_DEP_1) | instskip(SKIP_1) | instid1(VALU_DEP_2)
	v_pk_fma_f32 v[40:41], v[34:35], v[36:37], v[38:39] op_sel_hi:[0,1,1]
	v_pk_fma_f32 v[36:37], v[34:35], v[36:37], v[38:39] neg_lo:[0,0,1] neg_hi:[0,0,1]
	v_mov_b32_e32 v37, v41
	s_delay_alu instid0(VALU_DEP_1)
	v_mov_b64_e32 v[34:35], v[36:37]
	ds_store_b64 v50, v[36:37]
.LBB168_723:                            ;   in Loop: Header=BB168_3 Depth=1
	s_or_b32 exec_lo, exec_lo, s51
	s_wait_dscnt 0x0
	s_barrier_signal -1
	s_barrier_wait -1
	s_barrier_signal -1
	s_barrier_wait -1
	s_and_saveexec_b32 s51, s5
; %bb.724:                              ;   in Loop: Header=BB168_3 Depth=1
	v_pk_add_f32 v[34:35], v[34:35], 0 neg_lo:[1,1] neg_hi:[1,1]
	ds_store_b64 v51, v[34:35] offset:20832
; %bb.725:                              ;   in Loop: Header=BB168_3 Depth=1
	s_or_b32 exec_lo, exec_lo, s51
	s_wait_dscnt 0x0
	s_barrier_signal -1
	s_barrier_wait -1
	s_barrier_signal -1
	s_barrier_wait -1
	s_and_saveexec_b32 s51, s102
	s_cbranch_execz .LBB168_727
; %bb.726:                              ;   in Loop: Header=BB168_3 Depth=1
	ds_load_b64 v[34:35], v77 offset:20832
	s_wait_dscnt 0x0
	ds_store_b64 v80, v[34:35] offset:22848
	ds_load_b64 v[34:35], v77 offset:20840
	s_wait_dscnt 0x0
	ds_store_b64 v80, v[34:35] offset:23360
	;; [unrolled: 3-line block ×4, first 2 shown]
.LBB168_727:                            ;   in Loop: Header=BB168_3 Depth=1
	s_or_b32 exec_lo, exec_lo, s51
	s_wait_dscnt 0x0
	s_barrier_signal -1
	s_barrier_wait -1
	s_and_saveexec_b32 s51, s14
	s_cbranch_execz .LBB168_729
; %bb.728:                              ;   in Loop: Header=BB168_3 Depth=1
	ds_load_b128 v[34:37], v5 offset:22880
	ds_load_b64 v[38:39], v5 offset:23400
	s_wait_dscnt 0x1
	v_dual_mov_b32 v98, v37 :: v_dual_mov_b32 v99, v36
	s_wait_dscnt 0x0
	v_dual_mul_f32 v41, v39, v35 :: v_dual_mul_f32 v40, v38, v35
	s_delay_alu instid0(VALU_DEP_1) | instskip(NEXT) | instid1(VALU_DEP_1)
	v_xor_b32_e32 v42, 0x80000000, v41
	v_dual_fmac_f32 v40, v39, v34 :: v_dual_fmac_f32 v42, v38, v34
	s_delay_alu instid0(VALU_DEP_1) | instskip(NEXT) | instid1(VALU_DEP_1)
	v_pk_mul_f32 v[34:35], v[40:41], v[98:99] op_sel_hi:[0,1]
	v_pk_fma_f32 v[38:39], v[42:43], v[36:37], v[34:35] op_sel_hi:[0,1,1]
	v_pk_fma_f32 v[34:35], v[42:43], v[36:37], v[34:35] neg_lo:[0,0,1] neg_hi:[0,0,1]
	v_add_nc_u32_e64 v36, 0x5800, 0
	s_delay_alu instid0(VALU_DEP_3)
	v_mov_b32_e32 v35, v39
	ds_store_2addr_b64 v36, v[34:35], v[34:35] offset0:45 offset1:108
.LBB168_729:                            ;   in Loop: Header=BB168_3 Depth=1
	s_or_b32 exec_lo, exec_lo, s51
	v_mov_b32_e32 v35, 0
	s_wait_dscnt 0x0
	s_barrier_signal -1
	s_barrier_wait -1
	s_delay_alu instid0(VALU_DEP_1)
	v_mov_b32_e32 v34, v35
	s_and_saveexec_b32 s51, s3
	s_cbranch_execz .LBB168_733
; %bb.730:                              ;   in Loop: Header=BB168_3 Depth=1
	ds_load_b64 v[34:35], v44 offset:22896
	ds_load_b64 v[36:37], v45 offset:22880
	s_wait_dscnt 0x0
	v_dual_mul_f32 v38, v37, v35 :: v_dual_mul_f32 v39, v36, v35
	s_delay_alu instid0(VALU_DEP_1) | instskip(NEXT) | instid1(VALU_DEP_1)
	v_dual_fma_f32 v38, v36, v34, -v38 :: v_dual_fmac_f32 v39, v37, v34
	v_pk_add_f32 v[34:35], v[38:39], 0 op_sel_hi:[1,0]
	s_and_saveexec_b32 s52, s16
	s_cbranch_execz .LBB168_732
; %bb.731:                              ;   in Loop: Header=BB168_3 Depth=1
	ds_load_b64 v[36:37], v80 offset:23408
	ds_load_b64 v[38:39], v5 offset:22888
	s_wait_dscnt 0x0
	v_pk_mul_f32 v[40:41], v[38:39], v[36:37] op_sel:[1,1] op_sel_hi:[0,1]
	s_delay_alu instid0(VALU_DEP_1) | instskip(SKIP_1) | instid1(VALU_DEP_2)
	v_pk_fma_f32 v[98:99], v[38:39], v[36:37], v[40:41] op_sel_hi:[1,0,1]
	v_pk_fma_f32 v[36:37], v[38:39], v[36:37], v[40:41] neg_lo:[0,0,1] neg_hi:[0,0,1]
	v_mov_b32_e32 v37, v99
	s_delay_alu instid0(VALU_DEP_1)
	v_pk_add_f32 v[34:35], v[34:35], v[36:37]
.LBB168_732:                            ;   in Loop: Header=BB168_3 Depth=1
	s_or_b32 exec_lo, exec_lo, s52
	s_delay_alu instid0(VALU_DEP_1)
	v_pk_add_f32 v[34:35], v[34:35], 0 neg_lo:[1,1] neg_hi:[1,1]
.LBB168_733:                            ;   in Loop: Header=BB168_3 Depth=1
	s_or_b32 exec_lo, exec_lo, s51
	s_and_saveexec_b32 s51, s93
	s_cbranch_execz .LBB168_735
; %bb.734:                              ;   in Loop: Header=BB168_3 Depth=1
	ds_load_b64 v[36:37], v5 offset:23920
	s_wait_dscnt 0x0
	v_pk_mul_f32 v[38:39], v[34:35], v[36:37] op_sel:[1,1] op_sel_hi:[1,0]
	s_delay_alu instid0(VALU_DEP_1) | instskip(SKIP_1) | instid1(VALU_DEP_2)
	v_pk_fma_f32 v[40:41], v[34:35], v[36:37], v[38:39] op_sel_hi:[0,1,1]
	v_pk_fma_f32 v[36:37], v[34:35], v[36:37], v[38:39] neg_lo:[0,0,1] neg_hi:[0,0,1]
	v_mov_b32_e32 v37, v41
	s_delay_alu instid0(VALU_DEP_1)
	v_mov_b64_e32 v[34:35], v[36:37]
	ds_store_b64 v3, v[36:37]
.LBB168_735:                            ;   in Loop: Header=BB168_3 Depth=1
	s_or_b32 exec_lo, exec_lo, s51
	s_wait_dscnt 0x0
	s_barrier_signal -1
	s_barrier_wait -1
	s_and_saveexec_b32 s51, s94
	s_cbranch_execz .LBB168_737
; %bb.736:                              ;   in Loop: Header=BB168_3 Depth=1
	ds_load_b64 v[36:37], v5 offset:23928
	ds_load_b64 v[38:39], v3
	s_wait_dscnt 0x0
	v_pk_mul_f32 v[40:41], v[38:39], v[36:37] op_sel:[1,1] op_sel_hi:[0,1]
	s_delay_alu instid0(VALU_DEP_1) | instskip(SKIP_1) | instid1(VALU_DEP_2)
	v_pk_fma_f32 v[98:99], v[38:39], v[36:37], v[40:41] op_sel_hi:[1,0,1]
	v_pk_fma_f32 v[36:37], v[38:39], v[36:37], v[40:41] neg_lo:[0,0,1] neg_hi:[0,0,1]
	v_mov_b32_e32 v37, v99
	s_delay_alu instid0(VALU_DEP_1)
	v_pk_add_f32 v[34:35], v[34:35], v[36:37]
.LBB168_737:                            ;   in Loop: Header=BB168_3 Depth=1
	s_or_b32 exec_lo, exec_lo, s51
	s_barrier_signal -1
	s_barrier_wait -1
	s_and_saveexec_b32 s51, s94
	s_cbranch_execz .LBB168_739
; %bb.738:                              ;   in Loop: Header=BB168_3 Depth=1
	ds_load_b64 v[36:37], v5 offset:24440
	s_wait_dscnt 0x0
	v_pk_mul_f32 v[38:39], v[34:35], v[36:37] op_sel:[1,1] op_sel_hi:[1,0]
	s_delay_alu instid0(VALU_DEP_1) | instskip(SKIP_1) | instid1(VALU_DEP_2)
	v_pk_fma_f32 v[40:41], v[34:35], v[36:37], v[38:39] op_sel_hi:[0,1,1]
	v_pk_fma_f32 v[36:37], v[34:35], v[36:37], v[38:39] neg_lo:[0,0,1] neg_hi:[0,0,1]
	v_mov_b32_e32 v37, v41
	s_delay_alu instid0(VALU_DEP_1)
	v_mov_b64_e32 v[34:35], v[36:37]
	ds_store_b64 v3, v[36:37]
.LBB168_739:                            ;   in Loop: Header=BB168_3 Depth=1
	s_or_b32 exec_lo, exec_lo, s51
	s_wait_dscnt 0x0
	s_barrier_signal -1
	s_barrier_wait -1
	s_barrier_signal -1
	s_barrier_wait -1
	s_and_saveexec_b32 s51, s3
; %bb.740:                              ;   in Loop: Header=BB168_3 Depth=1
	v_pk_add_f32 v[34:35], v[34:35], 0 neg_lo:[1,1] neg_hi:[1,1]
	ds_store_b64 v44, v[34:35] offset:22896
; %bb.741:                              ;   in Loop: Header=BB168_3 Depth=1
	s_or_b32 exec_lo, exec_lo, s51
	s_wait_dscnt 0x0
	s_barrier_signal -1
	s_barrier_wait -1
	s_barrier_signal -1
	s_barrier_wait -1
	s_and_saveexec_b32 s51, s95
	s_cbranch_execz .LBB168_743
; %bb.742:                              ;   in Loop: Header=BB168_3 Depth=1
	ds_load_b64 v[34:35], v82 offset:22896
	s_wait_dscnt 0x0
	ds_store_b64 v80, v[34:35] offset:23904
	ds_load_b64 v[34:35], v82 offset:22904
	s_wait_dscnt 0x0
	ds_store_b64 v80, v[34:35] offset:24416
.LBB168_743:                            ;   in Loop: Header=BB168_3 Depth=1
	s_or_b32 exec_lo, exec_lo, s51
	s_wait_dscnt 0x0
	s_barrier_signal -1
	s_barrier_wait -1
	s_and_saveexec_b32 s51, s14
	s_cbranch_execz .LBB168_745
; %bb.744:                              ;   in Loop: Header=BB168_3 Depth=1
	ds_load_b128 v[34:37], v5 offset:23920
	ds_load_b64 v[38:39], v5 offset:24440
	s_wait_dscnt 0x1
	v_dual_mov_b32 v98, v37 :: v_dual_mov_b32 v99, v36
	s_wait_dscnt 0x0
	v_dual_mul_f32 v41, v39, v35 :: v_dual_mul_f32 v40, v38, v35
	s_delay_alu instid0(VALU_DEP_1) | instskip(NEXT) | instid1(VALU_DEP_1)
	v_xor_b32_e32 v42, 0x80000000, v41
	v_dual_fmac_f32 v40, v39, v34 :: v_dual_fmac_f32 v42, v38, v34
	s_delay_alu instid0(VALU_DEP_1) | instskip(NEXT) | instid1(VALU_DEP_1)
	v_pk_mul_f32 v[34:35], v[40:41], v[98:99] op_sel_hi:[0,1]
	v_pk_fma_f32 v[38:39], v[42:43], v[36:37], v[34:35] op_sel_hi:[0,1,1]
	v_pk_fma_f32 v[34:35], v[42:43], v[36:37], v[34:35] neg_lo:[0,0,1] neg_hi:[0,0,1]
	v_add_nc_u32_e64 v36, 0x5800, 0
	s_delay_alu instid0(VALU_DEP_3)
	v_mov_b32_e32 v35, v39
	ds_store_2addr_b64 v36, v[34:35], v[34:35] offset0:175 offset1:238
.LBB168_745:                            ;   in Loop: Header=BB168_3 Depth=1
	s_or_b32 exec_lo, exec_lo, s51
	v_mov_b32_e32 v34, 0
	s_wait_dscnt 0x0
	s_barrier_signal -1
	s_barrier_wait -1
	s_delay_alu instid0(VALU_DEP_1)
	v_mov_b32_e32 v35, v34
	s_and_saveexec_b32 s86, s7
	s_cbranch_execz .LBB168_773
; %bb.746:                              ;   in Loop: Header=BB168_3 Depth=1
	ds_load_b64 v[34:35], v67 offset:16768
	ds_load_b64 v[36:37], v64 offset:16640
	s_wait_dscnt 0x0
	v_dual_mul_f32 v38, v37, v35 :: v_dual_mul_f32 v39, v36, v35
	s_delay_alu instid0(VALU_DEP_1) | instskip(NEXT) | instid1(VALU_DEP_1)
	v_dual_fma_f32 v35, v36, v34, -v38 :: v_dual_fmac_f32 v39, v37, v34
	v_add_f32_e32 v35, 0, v35
	s_delay_alu instid0(VALU_DEP_2) | instskip(SKIP_3) | instid1(SALU_CYCLE_1)
	v_add_f32_e32 v34, 0, v39
	s_mov_b32 s51, exec_lo
	v_readlane_b32 s52, v108, 31
	s_and_b32 s52, s51, s52
	s_mov_b32 exec_lo, s52
	s_cbranch_execz .LBB168_748
; %bb.747:                              ;   in Loop: Header=BB168_3 Depth=1
	ds_load_b64 v[36:37], v68 offset:17280
	ds_load_b64 v[38:39], v64 offset:16648
	s_wait_dscnt 0x0
	v_dual_mul_f32 v40, v39, v37 :: v_dual_mul_f32 v37, v38, v37
	s_delay_alu instid0(VALU_DEP_1) | instskip(NEXT) | instid1(VALU_DEP_1)
	v_dual_fma_f32 v38, v38, v36, -v40 :: v_dual_fmac_f32 v37, v39, v36
	v_dual_add_f32 v35, v35, v38 :: v_dual_add_f32 v34, v34, v37
.LBB168_748:                            ;   in Loop: Header=BB168_3 Depth=1
	s_or_b32 exec_lo, exec_lo, s51
	s_delay_alu instid0(SALU_CYCLE_1) | instskip(SKIP_2) | instid1(SALU_CYCLE_1)
	s_mov_b32 s51, exec_lo
	v_readlane_b32 s52, v107, 0
	s_and_b32 s52, s51, s52
	s_mov_b32 exec_lo, s52
	s_cbranch_execz .LBB168_750
; %bb.749:                              ;   in Loop: Header=BB168_3 Depth=1
	ds_load_b64 v[36:37], v68 offset:17792
	ds_load_b64 v[38:39], v64 offset:16656
	s_wait_dscnt 0x0
	v_dual_mul_f32 v40, v39, v37 :: v_dual_mul_f32 v37, v38, v37
	s_delay_alu instid0(VALU_DEP_1) | instskip(NEXT) | instid1(VALU_DEP_1)
	v_dual_fma_f32 v38, v38, v36, -v40 :: v_dual_fmac_f32 v37, v39, v36
	v_dual_add_f32 v35, v35, v38 :: v_dual_add_f32 v34, v34, v37
.LBB168_750:                            ;   in Loop: Header=BB168_3 Depth=1
	s_or_b32 exec_lo, exec_lo, s51
	s_delay_alu instid0(SALU_CYCLE_1) | instskip(SKIP_2) | instid1(SALU_CYCLE_1)
	;; [unrolled: 16-line block ×10, first 2 shown]
	s_mov_b32 s51, exec_lo
	v_readlane_b32 s52, v107, 9
	s_and_b32 s52, s51, s52
	s_mov_b32 exec_lo, s52
	s_cbranch_execnz .LBB168_1160
; %bb.767:                              ;   in Loop: Header=BB168_3 Depth=1
	s_or_b32 exec_lo, exec_lo, s51
	s_and_saveexec_b32 s51, s6
	s_cbranch_execnz .LBB168_1161
.LBB168_768:                            ;   in Loop: Header=BB168_3 Depth=1
	s_or_b32 exec_lo, exec_lo, s51
	s_and_saveexec_b32 s51, s20
	s_cbranch_execnz .LBB168_1162
.LBB168_769:                            ;   in Loop: Header=BB168_3 Depth=1
	s_or_b32 exec_lo, exec_lo, s51
	s_and_saveexec_b32 s51, s22
	s_cbranch_execnz .LBB168_1163
.LBB168_770:                            ;   in Loop: Header=BB168_3 Depth=1
	s_or_b32 exec_lo, exec_lo, s51
	s_and_saveexec_b32 s51, s5
	s_cbranch_execz .LBB168_772
.LBB168_771:                            ;   in Loop: Header=BB168_3 Depth=1
	ds_load_b64 v[36:37], v46 offset:24448
	ds_load_b64 v[38:39], v5 offset:16760
	s_wait_dscnt 0x0
	v_pk_mul_f32 v[40:41], v[38:39], v[36:37] op_sel:[0,1]
	s_delay_alu instid0(VALU_DEP_1) | instskip(SKIP_1) | instid1(VALU_DEP_2)
	v_pk_fma_f32 v[98:99], v[38:39], v[36:37], v[40:41] op_sel:[1,0,0] op_sel_hi:[0,0,1] neg_lo:[0,0,1] neg_hi:[0,0,1]
	v_pk_fma_f32 v[36:37], v[38:39], v[36:37], v[40:41] op_sel:[1,0,0] op_sel_hi:[0,1,1]
	v_mov_b32_e32 v37, v99
	s_delay_alu instid0(VALU_DEP_1)
	v_pk_add_f32 v[34:35], v[34:35], v[36:37]
.LBB168_772:                            ;   in Loop: Header=BB168_3 Depth=1
	s_or_b32 exec_lo, exec_lo, s51
	s_delay_alu instid0(VALU_DEP_1) | instskip(NEXT) | instid1(VALU_DEP_1)
	v_pk_add_f32 v[36:37], v[34:35], 0 neg_lo:[1,1] neg_hi:[1,1]
	v_dual_mov_b32 v34, v37 :: v_dual_mov_b32 v35, v36
.LBB168_773:                            ;   in Loop: Header=BB168_3 Depth=1
	s_or_b32 exec_lo, exec_lo, s86
	s_delay_alu instid0(SALU_CYCLE_1) | instskip(SKIP_2) | instid1(SALU_CYCLE_1)
	s_mov_b32 s51, exec_lo
	v_readlane_b32 s52, v108, 1
	s_and_b32 s52, s51, s52
	s_mov_b32 exec_lo, s52
	s_cbranch_execz .LBB168_775
; %bb.774:                              ;   in Loop: Header=BB168_3 Depth=1
	ds_load_b64 v[36:37], v5 offset:24960
	v_dual_mov_b32 v38, v35 :: v_dual_mov_b32 v39, v34
	s_wait_dscnt 0x0
	s_delay_alu instid0(VALU_DEP_1) | instskip(NEXT) | instid1(VALU_DEP_1)
	v_dual_mul_f32 v40, v38, v36 :: v_dual_mul_f32 v42, v35, v37
	v_pk_fma_f32 v[38:39], v[38:39], v[36:37], v[40:41] op_sel_hi:[1,1,0]
	s_delay_alu instid0(VALU_DEP_2) | instskip(NEXT) | instid1(VALU_DEP_2)
	v_pk_fma_f32 v[34:35], v[34:35], v[36:37], v[42:43] op_sel_hi:[1,1,0] neg_lo:[0,0,1] neg_hi:[0,0,1]
	v_mov_b32_e32 v35, v39
	ds_store_b64 v66, v[34:35]
.LBB168_775:                            ;   in Loop: Header=BB168_3 Depth=1
	s_or_b32 exec_lo, exec_lo, s51
	s_wait_dscnt 0x0
	s_barrier_signal -1
	s_barrier_wait -1
	s_mov_b32 s51, exec_lo
	v_readlane_b32 s52, v108, 2
	s_and_b32 s52, s51, s52
	s_delay_alu instid0(SALU_CYCLE_1)
	s_mov_b32 exec_lo, s52
	s_cbranch_execz .LBB168_777
; %bb.776:                              ;   in Loop: Header=BB168_3 Depth=1
	ds_load_b64 v[36:37], v65 offset:24960
	ds_load_b64 v[38:39], v66
	s_wait_dscnt 0x0
	v_dual_mul_f32 v40, v39, v37 :: v_dual_mul_f32 v41, v38, v37
	s_delay_alu instid0(VALU_DEP_1) | instskip(NEXT) | instid1(VALU_DEP_1)
	v_dual_fma_f32 v40, v38, v36, -v40 :: v_dual_fmac_f32 v41, v39, v36
	v_pk_add_f32 v[34:35], v[34:35], v[40:41]
.LBB168_777:                            ;   in Loop: Header=BB168_3 Depth=1
	s_or_b32 exec_lo, exec_lo, s51
	s_barrier_signal -1
	s_barrier_wait -1
	s_mov_b32 s51, exec_lo
	v_readlane_b32 s52, v108, 3
	s_and_b32 s52, s51, s52
	s_delay_alu instid0(SALU_CYCLE_1)
	s_mov_b32 exec_lo, s52
	s_cbranch_execz .LBB168_779
; %bb.778:                              ;   in Loop: Header=BB168_3 Depth=1
	ds_load_b64 v[36:37], v5 offset:25480
	s_wait_dscnt 0x0
	v_pk_mul_f32 v[38:39], v[34:35], v[36:37] op_sel:[1,1] op_sel_hi:[1,0]
	s_delay_alu instid0(VALU_DEP_1) | instskip(SKIP_1) | instid1(VALU_DEP_2)
	v_pk_fma_f32 v[40:41], v[34:35], v[36:37], v[38:39] op_sel_hi:[0,1,1]
	v_pk_fma_f32 v[34:35], v[34:35], v[36:37], v[38:39] op_sel_hi:[0,1,1] neg_lo:[0,0,1] neg_hi:[0,0,1]
	v_mov_b32_e32 v35, v41
	ds_store_b64 v66, v[34:35]
.LBB168_779:                            ;   in Loop: Header=BB168_3 Depth=1
	s_or_b32 exec_lo, exec_lo, s51
	s_wait_dscnt 0x0
	s_barrier_signal -1
	s_barrier_wait -1
	s_mov_b32 s51, exec_lo
	v_readlane_b32 s52, v108, 4
	s_and_b32 s52, s51, s52
	s_delay_alu instid0(SALU_CYCLE_1)
	s_mov_b32 exec_lo, s52
	s_cbranch_execz .LBB168_781
; %bb.780:                              ;   in Loop: Header=BB168_3 Depth=1
	ds_load_b64 v[36:37], v65 offset:25472
	ds_load_b64 v[38:39], v66
	s_wait_dscnt 0x0
	v_pk_mul_f32 v[40:41], v[38:39], v[36:37] op_sel:[1,1] op_sel_hi:[0,1]
	s_delay_alu instid0(VALU_DEP_1) | instskip(SKIP_1) | instid1(VALU_DEP_2)
	v_pk_fma_f32 v[98:99], v[38:39], v[36:37], v[40:41] op_sel_hi:[1,0,1]
	v_pk_fma_f32 v[36:37], v[38:39], v[36:37], v[40:41] op_sel_hi:[1,0,1] neg_lo:[0,0,1] neg_hi:[0,0,1]
	v_mov_b32_e32 v37, v99
	s_delay_alu instid0(VALU_DEP_1)
	v_pk_add_f32 v[34:35], v[34:35], v[36:37]
.LBB168_781:                            ;   in Loop: Header=BB168_3 Depth=1
	s_or_b32 exec_lo, exec_lo, s51
	s_barrier_signal -1
	s_barrier_wait -1
	s_mov_b32 s51, exec_lo
	v_readlane_b32 s52, v108, 5
	s_and_b32 s52, s51, s52
	s_delay_alu instid0(SALU_CYCLE_1)
	s_mov_b32 exec_lo, s52
	s_cbranch_execz .LBB168_783
; %bb.782:                              ;   in Loop: Header=BB168_3 Depth=1
	ds_load_b64 v[36:37], v5 offset:26000
	s_wait_dscnt 0x0
	v_pk_mul_f32 v[38:39], v[34:35], v[36:37] op_sel:[1,1] op_sel_hi:[1,0]
	s_delay_alu instid0(VALU_DEP_1) | instskip(SKIP_1) | instid1(VALU_DEP_2)
	v_pk_fma_f32 v[40:41], v[34:35], v[36:37], v[38:39] op_sel_hi:[0,1,1]
	v_pk_fma_f32 v[34:35], v[34:35], v[36:37], v[38:39] op_sel_hi:[0,1,1] neg_lo:[0,0,1] neg_hi:[0,0,1]
	v_mov_b32_e32 v35, v41
	ds_store_b64 v66, v[34:35]
.LBB168_783:                            ;   in Loop: Header=BB168_3 Depth=1
	s_or_b32 exec_lo, exec_lo, s51
	s_wait_dscnt 0x0
	s_barrier_signal -1
	s_barrier_wait -1
	s_mov_b32 s51, exec_lo
	v_readlane_b32 s52, v108, 6
	s_and_b32 s52, s51, s52
	s_delay_alu instid0(SALU_CYCLE_1)
	s_mov_b32 exec_lo, s52
	s_cbranch_execz .LBB168_785
; %bb.784:                              ;   in Loop: Header=BB168_3 Depth=1
	ds_load_b64 v[36:37], v65 offset:25984
	ds_load_b64 v[38:39], v66
	s_wait_dscnt 0x0
	v_pk_mul_f32 v[40:41], v[38:39], v[36:37] op_sel:[1,1] op_sel_hi:[0,1]
	s_delay_alu instid0(VALU_DEP_1) | instskip(SKIP_1) | instid1(VALU_DEP_2)
	v_pk_fma_f32 v[98:99], v[38:39], v[36:37], v[40:41] op_sel_hi:[1,0,1]
	v_pk_fma_f32 v[36:37], v[38:39], v[36:37], v[40:41] op_sel_hi:[1,0,1] neg_lo:[0,0,1] neg_hi:[0,0,1]
	v_mov_b32_e32 v37, v99
	s_delay_alu instid0(VALU_DEP_1)
	v_pk_add_f32 v[34:35], v[34:35], v[36:37]
.LBB168_785:                            ;   in Loop: Header=BB168_3 Depth=1
	s_or_b32 exec_lo, exec_lo, s51
	s_barrier_signal -1
	s_barrier_wait -1
	s_mov_b32 s51, exec_lo
	v_readlane_b32 s52, v108, 7
	s_and_b32 s52, s51, s52
	s_delay_alu instid0(SALU_CYCLE_1)
	s_mov_b32 exec_lo, s52
	s_cbranch_execz .LBB168_787
; %bb.786:                              ;   in Loop: Header=BB168_3 Depth=1
	ds_load_b64 v[36:37], v5 offset:26520
	s_wait_dscnt 0x0
	v_pk_mul_f32 v[38:39], v[34:35], v[36:37] op_sel:[1,1] op_sel_hi:[1,0]
	s_delay_alu instid0(VALU_DEP_1) | instskip(SKIP_1) | instid1(VALU_DEP_2)
	v_pk_fma_f32 v[40:41], v[34:35], v[36:37], v[38:39] op_sel_hi:[0,1,1]
	v_pk_fma_f32 v[34:35], v[34:35], v[36:37], v[38:39] op_sel_hi:[0,1,1] neg_lo:[0,0,1] neg_hi:[0,0,1]
	v_mov_b32_e32 v35, v41
	ds_store_b64 v66, v[34:35]
.LBB168_787:                            ;   in Loop: Header=BB168_3 Depth=1
	s_or_b32 exec_lo, exec_lo, s51
	s_wait_dscnt 0x0
	s_barrier_signal -1
	s_barrier_wait -1
	s_and_saveexec_b32 s51, s57
	s_cbranch_execz .LBB168_789
; %bb.788:                              ;   in Loop: Header=BB168_3 Depth=1
	ds_load_b64 v[36:37], v65 offset:26496
	ds_load_b64 v[38:39], v66
	s_wait_dscnt 0x0
	v_pk_mul_f32 v[40:41], v[38:39], v[36:37] op_sel:[1,1] op_sel_hi:[0,1]
	s_delay_alu instid0(VALU_DEP_1) | instskip(SKIP_1) | instid1(VALU_DEP_2)
	v_pk_fma_f32 v[98:99], v[38:39], v[36:37], v[40:41] op_sel_hi:[1,0,1]
	v_pk_fma_f32 v[36:37], v[38:39], v[36:37], v[40:41] op_sel_hi:[1,0,1] neg_lo:[0,0,1] neg_hi:[0,0,1]
	v_mov_b32_e32 v37, v99
	s_delay_alu instid0(VALU_DEP_1)
	v_pk_add_f32 v[34:35], v[34:35], v[36:37]
.LBB168_789:                            ;   in Loop: Header=BB168_3 Depth=1
	s_or_b32 exec_lo, exec_lo, s51
	s_barrier_signal -1
	s_barrier_wait -1
	s_and_saveexec_b32 s51, s58
	s_cbranch_execz .LBB168_791
; %bb.790:                              ;   in Loop: Header=BB168_3 Depth=1
	ds_load_b64 v[36:37], v5 offset:27040
	s_wait_dscnt 0x0
	v_dual_mul_f32 v38, v34, v37 :: v_dual_mul_f32 v40, v35, v37
	s_delay_alu instid0(VALU_DEP_1) | instskip(NEXT) | instid1(VALU_DEP_2)
	v_pk_fma_f32 v[38:39], v[34:35], v[36:37], v[38:39] op_sel:[0,1,0] op_sel_hi:[1,0,0]
	v_pk_fma_f32 v[36:37], v[34:35], v[36:37], v[40:41] op_sel_hi:[1,1,0] neg_lo:[0,0,1] neg_hi:[0,0,1]
	s_delay_alu instid0(VALU_DEP_2) | instskip(NEXT) | instid1(VALU_DEP_1)
	v_mov_b32_e32 v37, v39
	v_mov_b64_e32 v[34:35], v[36:37]
	ds_store_b64 v66, v[36:37]
.LBB168_791:                            ;   in Loop: Header=BB168_3 Depth=1
	s_or_b32 exec_lo, exec_lo, s51
	s_wait_dscnt 0x0
	s_barrier_signal -1
	s_barrier_wait -1
	s_and_saveexec_b32 s51, s59
	s_cbranch_execz .LBB168_793
; %bb.792:                              ;   in Loop: Header=BB168_3 Depth=1
	ds_load_b64 v[36:37], v65 offset:27008
	ds_load_b64 v[38:39], v66
	s_wait_dscnt 0x0
	v_dual_mul_f32 v40, v39, v37 :: v_dual_mul_f32 v41, v38, v37
	s_delay_alu instid0(VALU_DEP_1) | instskip(NEXT) | instid1(VALU_DEP_1)
	v_dual_fma_f32 v40, v38, v36, -v40 :: v_dual_fmac_f32 v41, v39, v36
	v_pk_add_f32 v[34:35], v[34:35], v[40:41]
.LBB168_793:                            ;   in Loop: Header=BB168_3 Depth=1
	s_or_b32 exec_lo, exec_lo, s51
	s_barrier_signal -1
	s_barrier_wait -1
	s_and_saveexec_b32 s51, s60
	s_cbranch_execz .LBB168_795
; %bb.794:                              ;   in Loop: Header=BB168_3 Depth=1
	ds_load_b64 v[36:37], v5 offset:27560
	s_wait_dscnt 0x0
	v_pk_mul_f32 v[38:39], v[34:35], v[36:37] op_sel:[1,1] op_sel_hi:[1,0]
	s_delay_alu instid0(VALU_DEP_1) | instskip(SKIP_1) | instid1(VALU_DEP_2)
	v_pk_fma_f32 v[40:41], v[34:35], v[36:37], v[38:39] op_sel_hi:[0,1,1]
	v_pk_fma_f32 v[34:35], v[34:35], v[36:37], v[38:39] op_sel_hi:[0,1,1] neg_lo:[0,0,1] neg_hi:[0,0,1]
	v_mov_b32_e32 v35, v41
	ds_store_b64 v66, v[34:35]
.LBB168_795:                            ;   in Loop: Header=BB168_3 Depth=1
	s_or_b32 exec_lo, exec_lo, s51
	s_wait_dscnt 0x0
	s_barrier_signal -1
	s_barrier_wait -1
	s_and_saveexec_b32 s51, s61
	s_cbranch_execz .LBB168_797
; %bb.796:                              ;   in Loop: Header=BB168_3 Depth=1
	ds_load_b64 v[36:37], v65 offset:27520
	ds_load_b64 v[38:39], v66
	s_wait_dscnt 0x0
	v_pk_mul_f32 v[40:41], v[38:39], v[36:37] op_sel:[1,1] op_sel_hi:[0,1]
	s_delay_alu instid0(VALU_DEP_1) | instskip(SKIP_1) | instid1(VALU_DEP_2)
	v_pk_fma_f32 v[98:99], v[38:39], v[36:37], v[40:41] op_sel_hi:[1,0,1]
	v_pk_fma_f32 v[36:37], v[38:39], v[36:37], v[40:41] op_sel_hi:[1,0,1] neg_lo:[0,0,1] neg_hi:[0,0,1]
	v_mov_b32_e32 v37, v99
	s_delay_alu instid0(VALU_DEP_1)
	v_pk_add_f32 v[34:35], v[34:35], v[36:37]
.LBB168_797:                            ;   in Loop: Header=BB168_3 Depth=1
	s_or_b32 exec_lo, exec_lo, s51
	s_barrier_signal -1
	s_barrier_wait -1
	s_and_saveexec_b32 s51, s62
	s_cbranch_execz .LBB168_799
; %bb.798:                              ;   in Loop: Header=BB168_3 Depth=1
	ds_load_b64 v[36:37], v5 offset:28080
	s_wait_dscnt 0x0
	v_pk_mul_f32 v[38:39], v[34:35], v[36:37] op_sel:[1,1] op_sel_hi:[1,0]
	s_delay_alu instid0(VALU_DEP_1) | instskip(SKIP_1) | instid1(VALU_DEP_2)
	v_pk_fma_f32 v[40:41], v[34:35], v[36:37], v[38:39] op_sel_hi:[0,1,1]
	v_pk_fma_f32 v[34:35], v[34:35], v[36:37], v[38:39] op_sel_hi:[0,1,1] neg_lo:[0,0,1] neg_hi:[0,0,1]
	v_mov_b32_e32 v35, v41
	ds_store_b64 v66, v[34:35]
.LBB168_799:                            ;   in Loop: Header=BB168_3 Depth=1
	s_or_b32 exec_lo, exec_lo, s51
	s_wait_dscnt 0x0
	s_barrier_signal -1
	s_barrier_wait -1
	s_and_saveexec_b32 s51, s63
	s_cbranch_execz .LBB168_801
; %bb.800:                              ;   in Loop: Header=BB168_3 Depth=1
	ds_load_b64 v[36:37], v65 offset:28032
	ds_load_b64 v[38:39], v66
	s_wait_dscnt 0x0
	v_pk_mul_f32 v[40:41], v[38:39], v[36:37] op_sel:[1,1] op_sel_hi:[0,1]
	s_delay_alu instid0(VALU_DEP_1) | instskip(SKIP_1) | instid1(VALU_DEP_2)
	v_pk_fma_f32 v[98:99], v[38:39], v[36:37], v[40:41] op_sel_hi:[1,0,1]
	v_pk_fma_f32 v[36:37], v[38:39], v[36:37], v[40:41] op_sel_hi:[1,0,1] neg_lo:[0,0,1] neg_hi:[0,0,1]
	v_mov_b32_e32 v37, v99
	s_delay_alu instid0(VALU_DEP_1)
	v_pk_add_f32 v[34:35], v[34:35], v[36:37]
.LBB168_801:                            ;   in Loop: Header=BB168_3 Depth=1
	;; [unrolled: 33-line block ×3, first 2 shown]
	s_or_b32 exec_lo, exec_lo, s51
	s_barrier_signal -1
	s_barrier_wait -1
	s_and_saveexec_b32 s51, s24
	s_cbranch_execz .LBB168_807
; %bb.806:                              ;   in Loop: Header=BB168_3 Depth=1
	ds_load_b64 v[36:37], v5 offset:29120
	s_wait_dscnt 0x0
	v_dual_mul_f32 v38, v34, v37 :: v_dual_mul_f32 v40, v35, v37
	s_delay_alu instid0(VALU_DEP_1) | instskip(NEXT) | instid1(VALU_DEP_2)
	v_pk_fma_f32 v[38:39], v[34:35], v[36:37], v[38:39] op_sel:[0,1,0] op_sel_hi:[1,0,0]
	v_pk_fma_f32 v[36:37], v[34:35], v[36:37], v[40:41] op_sel_hi:[1,1,0] neg_lo:[0,0,1] neg_hi:[0,0,1]
	s_delay_alu instid0(VALU_DEP_2) | instskip(NEXT) | instid1(VALU_DEP_1)
	v_mov_b32_e32 v37, v39
	v_mov_b64_e32 v[34:35], v[36:37]
	ds_store_b64 v66, v[36:37]
.LBB168_807:                            ;   in Loop: Header=BB168_3 Depth=1
	s_or_b32 exec_lo, exec_lo, s51
	s_wait_dscnt 0x0
	s_barrier_signal -1
	s_barrier_wait -1
	s_and_saveexec_b32 s51, s26
	s_cbranch_execz .LBB168_809
; %bb.808:                              ;   in Loop: Header=BB168_3 Depth=1
	ds_load_b64 v[36:37], v65 offset:29056
	ds_load_b64 v[38:39], v66
	s_wait_dscnt 0x0
	v_dual_mul_f32 v40, v39, v37 :: v_dual_mul_f32 v41, v38, v37
	s_delay_alu instid0(VALU_DEP_1) | instskip(NEXT) | instid1(VALU_DEP_1)
	v_dual_fma_f32 v40, v38, v36, -v40 :: v_dual_fmac_f32 v41, v39, v36
	v_pk_add_f32 v[34:35], v[34:35], v[40:41]
.LBB168_809:                            ;   in Loop: Header=BB168_3 Depth=1
	s_or_b32 exec_lo, exec_lo, s51
	s_barrier_signal -1
	s_barrier_wait -1
	s_and_saveexec_b32 s51, s28
	s_cbranch_execz .LBB168_811
; %bb.810:                              ;   in Loop: Header=BB168_3 Depth=1
	ds_load_b64 v[36:37], v5 offset:29640
	s_wait_dscnt 0x0
	v_pk_mul_f32 v[38:39], v[34:35], v[36:37] op_sel:[1,1] op_sel_hi:[1,0]
	s_delay_alu instid0(VALU_DEP_1) | instskip(SKIP_1) | instid1(VALU_DEP_2)
	v_pk_fma_f32 v[40:41], v[34:35], v[36:37], v[38:39] op_sel_hi:[0,1,1]
	v_pk_fma_f32 v[34:35], v[34:35], v[36:37], v[38:39] op_sel_hi:[0,1,1] neg_lo:[0,0,1] neg_hi:[0,0,1]
	v_mov_b32_e32 v35, v41
	ds_store_b64 v66, v[34:35]
.LBB168_811:                            ;   in Loop: Header=BB168_3 Depth=1
	s_or_b32 exec_lo, exec_lo, s51
	s_wait_dscnt 0x0
	s_barrier_signal -1
	s_barrier_wait -1
	s_and_saveexec_b32 s51, s30
	s_cbranch_execz .LBB168_813
; %bb.812:                              ;   in Loop: Header=BB168_3 Depth=1
	ds_load_b64 v[36:37], v65 offset:29568
	ds_load_b64 v[38:39], v66
	s_wait_dscnt 0x0
	v_pk_mul_f32 v[40:41], v[38:39], v[36:37] op_sel:[1,1] op_sel_hi:[0,1]
	s_delay_alu instid0(VALU_DEP_1) | instskip(SKIP_1) | instid1(VALU_DEP_2)
	v_pk_fma_f32 v[98:99], v[38:39], v[36:37], v[40:41] op_sel_hi:[1,0,1]
	v_pk_fma_f32 v[36:37], v[38:39], v[36:37], v[40:41] op_sel_hi:[1,0,1] neg_lo:[0,0,1] neg_hi:[0,0,1]
	v_mov_b32_e32 v37, v99
	s_delay_alu instid0(VALU_DEP_1)
	v_pk_add_f32 v[34:35], v[34:35], v[36:37]
.LBB168_813:                            ;   in Loop: Header=BB168_3 Depth=1
	s_or_b32 exec_lo, exec_lo, s51
	s_barrier_signal -1
	s_barrier_wait -1
	s_and_saveexec_b32 s51, s33
	s_cbranch_execz .LBB168_815
; %bb.814:                              ;   in Loop: Header=BB168_3 Depth=1
	ds_load_b64 v[36:37], v5 offset:30160
	s_wait_dscnt 0x0
	v_pk_mul_f32 v[38:39], v[34:35], v[36:37] op_sel:[1,1] op_sel_hi:[1,0]
	s_delay_alu instid0(VALU_DEP_1) | instskip(SKIP_1) | instid1(VALU_DEP_2)
	v_pk_fma_f32 v[40:41], v[34:35], v[36:37], v[38:39] op_sel_hi:[0,1,1]
	v_pk_fma_f32 v[34:35], v[34:35], v[36:37], v[38:39] op_sel_hi:[0,1,1] neg_lo:[0,0,1] neg_hi:[0,0,1]
	v_mov_b32_e32 v35, v41
	ds_store_b64 v66, v[34:35]
.LBB168_815:                            ;   in Loop: Header=BB168_3 Depth=1
	s_or_b32 exec_lo, exec_lo, s51
	s_wait_dscnt 0x0
	s_barrier_signal -1
	s_barrier_wait -1
	s_and_saveexec_b32 s51, s35
	s_cbranch_execz .LBB168_817
; %bb.816:                              ;   in Loop: Header=BB168_3 Depth=1
	ds_load_b64 v[36:37], v65 offset:30080
	ds_load_b64 v[38:39], v66
	s_wait_dscnt 0x0
	v_pk_mul_f32 v[40:41], v[38:39], v[36:37] op_sel:[1,1] op_sel_hi:[0,1]
	s_delay_alu instid0(VALU_DEP_1) | instskip(SKIP_1) | instid1(VALU_DEP_2)
	v_pk_fma_f32 v[98:99], v[38:39], v[36:37], v[40:41] op_sel_hi:[1,0,1]
	v_pk_fma_f32 v[36:37], v[38:39], v[36:37], v[40:41] op_sel_hi:[1,0,1] neg_lo:[0,0,1] neg_hi:[0,0,1]
	v_mov_b32_e32 v37, v99
	s_delay_alu instid0(VALU_DEP_1)
	v_pk_add_f32 v[34:35], v[34:35], v[36:37]
.LBB168_817:                            ;   in Loop: Header=BB168_3 Depth=1
	;; [unrolled: 33-line block ×3, first 2 shown]
	s_or_b32 exec_lo, exec_lo, s51
	s_barrier_signal -1
	s_barrier_wait -1
	s_and_saveexec_b32 s51, s78
	s_cbranch_execz .LBB168_823
; %bb.822:                              ;   in Loop: Header=BB168_3 Depth=1
	ds_load_b64 v[36:37], v5 offset:31200
	s_wait_dscnt 0x0
	v_dual_mul_f32 v38, v34, v37 :: v_dual_mul_f32 v40, v35, v37
	s_delay_alu instid0(VALU_DEP_1) | instskip(NEXT) | instid1(VALU_DEP_2)
	v_pk_fma_f32 v[38:39], v[34:35], v[36:37], v[38:39] op_sel:[0,1,0] op_sel_hi:[1,0,0]
	v_pk_fma_f32 v[36:37], v[34:35], v[36:37], v[40:41] op_sel_hi:[1,1,0] neg_lo:[0,0,1] neg_hi:[0,0,1]
	s_delay_alu instid0(VALU_DEP_2) | instskip(NEXT) | instid1(VALU_DEP_1)
	v_mov_b32_e32 v37, v39
	v_mov_b64_e32 v[34:35], v[36:37]
	ds_store_b64 v66, v[36:37]
.LBB168_823:                            ;   in Loop: Header=BB168_3 Depth=1
	s_or_b32 exec_lo, exec_lo, s51
	s_wait_dscnt 0x0
	s_barrier_signal -1
	s_barrier_wait -1
	s_and_saveexec_b32 s51, s79
	s_cbranch_execz .LBB168_825
; %bb.824:                              ;   in Loop: Header=BB168_3 Depth=1
	ds_load_b64 v[36:37], v65 offset:31104
	ds_load_b64 v[38:39], v66
	s_wait_dscnt 0x0
	v_dual_mul_f32 v40, v39, v37 :: v_dual_mul_f32 v41, v38, v37
	s_delay_alu instid0(VALU_DEP_1) | instskip(NEXT) | instid1(VALU_DEP_1)
	v_dual_fma_f32 v40, v38, v36, -v40 :: v_dual_fmac_f32 v41, v39, v36
	v_pk_add_f32 v[34:35], v[34:35], v[40:41]
.LBB168_825:                            ;   in Loop: Header=BB168_3 Depth=1
	s_or_b32 exec_lo, exec_lo, s51
	s_barrier_signal -1
	s_barrier_wait -1
	s_and_saveexec_b32 s51, s25
	s_cbranch_execz .LBB168_827
; %bb.826:                              ;   in Loop: Header=BB168_3 Depth=1
	ds_load_b64 v[36:37], v5 offset:31720
	s_wait_dscnt 0x0
	v_pk_mul_f32 v[38:39], v[34:35], v[36:37] op_sel:[1,1] op_sel_hi:[1,0]
	s_delay_alu instid0(VALU_DEP_1) | instskip(SKIP_1) | instid1(VALU_DEP_2)
	v_pk_fma_f32 v[40:41], v[34:35], v[36:37], v[38:39] op_sel_hi:[0,1,1]
	v_pk_fma_f32 v[36:37], v[34:35], v[36:37], v[38:39] neg_lo:[0,0,1] neg_hi:[0,0,1]
	v_mov_b32_e32 v37, v41
	s_delay_alu instid0(VALU_DEP_1)
	v_mov_b64_e32 v[34:35], v[36:37]
	ds_store_b64 v66, v[36:37]
.LBB168_827:                            ;   in Loop: Header=BB168_3 Depth=1
	s_or_b32 exec_lo, exec_lo, s51
	s_wait_dscnt 0x0
	s_barrier_signal -1
	s_barrier_wait -1
	s_and_saveexec_b32 s51, s11
	s_cbranch_execz .LBB168_829
; %bb.828:                              ;   in Loop: Header=BB168_3 Depth=1
	ds_load_b64 v[36:37], v65 offset:31616
	ds_load_b64 v[38:39], v66
	s_wait_dscnt 0x0
	v_pk_mul_f32 v[40:41], v[38:39], v[36:37] op_sel:[1,1] op_sel_hi:[0,1]
	s_delay_alu instid0(VALU_DEP_1) | instskip(SKIP_1) | instid1(VALU_DEP_2)
	v_pk_fma_f32 v[98:99], v[38:39], v[36:37], v[40:41] op_sel_hi:[1,0,1]
	v_pk_fma_f32 v[36:37], v[38:39], v[36:37], v[40:41] neg_lo:[0,0,1] neg_hi:[0,0,1]
	v_mov_b32_e32 v37, v99
	s_delay_alu instid0(VALU_DEP_1)
	v_pk_add_f32 v[34:35], v[34:35], v[36:37]
.LBB168_829:                            ;   in Loop: Header=BB168_3 Depth=1
	s_or_b32 exec_lo, exec_lo, s51
	s_barrier_signal -1
	s_barrier_wait -1
	s_and_saveexec_b32 s51, s10
	s_cbranch_execz .LBB168_831
; %bb.830:                              ;   in Loop: Header=BB168_3 Depth=1
	ds_load_b64 v[36:37], v5 offset:32240
	s_wait_dscnt 0x0
	v_pk_mul_f32 v[38:39], v[34:35], v[36:37] op_sel:[1,1] op_sel_hi:[1,0]
	s_delay_alu instid0(VALU_DEP_1) | instskip(SKIP_1) | instid1(VALU_DEP_2)
	v_pk_fma_f32 v[40:41], v[34:35], v[36:37], v[38:39] op_sel_hi:[0,1,1]
	v_pk_fma_f32 v[36:37], v[34:35], v[36:37], v[38:39] neg_lo:[0,0,1] neg_hi:[0,0,1]
	v_mov_b32_e32 v37, v41
	s_delay_alu instid0(VALU_DEP_1)
	v_mov_b64_e32 v[34:35], v[36:37]
	ds_store_b64 v66, v[36:37]
.LBB168_831:                            ;   in Loop: Header=BB168_3 Depth=1
	s_or_b32 exec_lo, exec_lo, s51
	s_wait_dscnt 0x0
	s_barrier_signal -1
	s_barrier_wait -1
	s_and_saveexec_b32 s51, s12
	s_cbranch_execz .LBB168_833
; %bb.832:                              ;   in Loop: Header=BB168_3 Depth=1
	ds_load_b64 v[36:37], v5 offset:32248
	ds_load_b64 v[38:39], v66
	s_wait_dscnt 0x0
	v_pk_mul_f32 v[40:41], v[38:39], v[36:37] op_sel:[1,1] op_sel_hi:[0,1]
	s_delay_alu instid0(VALU_DEP_1) | instskip(SKIP_1) | instid1(VALU_DEP_2)
	v_pk_fma_f32 v[98:99], v[38:39], v[36:37], v[40:41] op_sel_hi:[1,0,1]
	v_pk_fma_f32 v[36:37], v[38:39], v[36:37], v[40:41] neg_lo:[0,0,1] neg_hi:[0,0,1]
	v_mov_b32_e32 v37, v99
	s_delay_alu instid0(VALU_DEP_1)
	v_pk_add_f32 v[34:35], v[34:35], v[36:37]
.LBB168_833:                            ;   in Loop: Header=BB168_3 Depth=1
	s_or_b32 exec_lo, exec_lo, s51
	s_barrier_signal -1
	s_barrier_wait -1
	s_and_saveexec_b32 s51, s12
	s_cbranch_execz .LBB168_835
; %bb.834:                              ;   in Loop: Header=BB168_3 Depth=1
	ds_load_b64 v[36:37], v5 offset:32760
	s_wait_dscnt 0x0
	v_pk_mul_f32 v[38:39], v[34:35], v[36:37] op_sel:[1,1] op_sel_hi:[1,0]
	s_delay_alu instid0(VALU_DEP_1) | instskip(SKIP_1) | instid1(VALU_DEP_2)
	v_pk_fma_f32 v[40:41], v[34:35], v[36:37], v[38:39] op_sel_hi:[0,1,1]
	v_pk_fma_f32 v[36:37], v[34:35], v[36:37], v[38:39] neg_lo:[0,0,1] neg_hi:[0,0,1]
	v_mov_b32_e32 v37, v41
	s_delay_alu instid0(VALU_DEP_1)
	v_mov_b64_e32 v[34:35], v[36:37]
	ds_store_b64 v66, v[36:37]
.LBB168_835:                            ;   in Loop: Header=BB168_3 Depth=1
	s_or_b32 exec_lo, exec_lo, s51
	s_wait_dscnt 0x0
	s_barrier_signal -1
	s_barrier_wait -1
	s_barrier_signal -1
	s_barrier_wait -1
	s_and_saveexec_b32 s51, s7
; %bb.836:                              ;   in Loop: Header=BB168_3 Depth=1
	v_pk_add_f32 v[34:35], v[34:35], 0 neg_lo:[1,1] neg_hi:[1,1]
	ds_store_b64 v67, v[34:35] offset:16768
; %bb.837:                              ;   in Loop: Header=BB168_3 Depth=1
	s_or_b32 exec_lo, exec_lo, s51
	s_wait_dscnt 0x0
	s_barrier_signal -1
	s_barrier_wait -1
	s_barrier_signal -1
	s_barrier_wait -1
	s_and_saveexec_b32 s51, s27
	s_cbranch_execz .LBB168_839
; %bb.838:                              ;   in Loop: Header=BB168_3 Depth=1
	ds_load_b64 v[34:35], v49 offset:16768
	s_wait_dscnt 0x0
	ds_store_b64 v54, v[34:35] offset:24832
	ds_load_b64 v[34:35], v49 offset:16776
	s_wait_dscnt 0x0
	ds_store_b64 v54, v[34:35] offset:25344
	;; [unrolled: 3-line block ×16, first 2 shown]
.LBB168_839:                            ;   in Loop: Header=BB168_3 Depth=1
	s_or_b32 exec_lo, exec_lo, s51
	s_wait_dscnt 0x0
	s_barrier_signal -1
	s_barrier_wait -1
	s_and_saveexec_b32 s51, s14
	s_cbranch_execz .LBB168_841
; %bb.840:                              ;   in Loop: Header=BB168_3 Depth=1
	ds_load_b128 v[34:37], v5 offset:24960
	ds_load_b64 v[38:39], v5 offset:25480
	s_wait_dscnt 0x1
	v_dual_mov_b32 v98, v37 :: v_dual_mov_b32 v99, v36
	s_wait_dscnt 0x0
	v_dual_mul_f32 v41, v39, v35 :: v_dual_mul_f32 v40, v38, v35
	s_delay_alu instid0(VALU_DEP_1) | instskip(NEXT) | instid1(VALU_DEP_1)
	v_xor_b32_e32 v42, 0x80000000, v41
	v_dual_fmac_f32 v40, v39, v34 :: v_dual_fmac_f32 v42, v38, v34
	s_delay_alu instid0(VALU_DEP_1) | instskip(NEXT) | instid1(VALU_DEP_1)
	v_pk_mul_f32 v[34:35], v[40:41], v[98:99] op_sel_hi:[0,1]
	v_pk_fma_f32 v[38:39], v[42:43], v[36:37], v[34:35] op_sel_hi:[0,1,1]
	v_pk_fma_f32 v[34:35], v[42:43], v[36:37], v[34:35] neg_lo:[0,0,1] neg_hi:[0,0,1]
	v_add_nc_u32_e64 v36, 0x6000, 0
	s_delay_alu instid0(VALU_DEP_3)
	v_mov_b32_e32 v35, v39
	ds_store_2addr_b64 v36, v[34:35], v[34:35] offset0:49 offset1:112
.LBB168_841:                            ;   in Loop: Header=BB168_3 Depth=1
	s_or_b32 exec_lo, exec_lo, s51
	v_mov_b32_e32 v35, 0
	s_wait_dscnt 0x0
	s_barrier_signal -1
	s_barrier_wait -1
	s_delay_alu instid0(VALU_DEP_1)
	v_mov_b32_e32 v34, v35
	s_and_saveexec_b32 s51, s3
	s_cbranch_execz .LBB168_845
; %bb.842:                              ;   in Loop: Header=BB168_3 Depth=1
	ds_load_b64 v[34:35], v44 offset:24976
	ds_load_b64 v[36:37], v45 offset:24960
	s_wait_dscnt 0x0
	v_dual_mul_f32 v38, v37, v35 :: v_dual_mul_f32 v39, v36, v35
	s_delay_alu instid0(VALU_DEP_1) | instskip(NEXT) | instid1(VALU_DEP_1)
	v_dual_fma_f32 v38, v36, v34, -v38 :: v_dual_fmac_f32 v39, v37, v34
	v_pk_add_f32 v[34:35], v[38:39], 0 op_sel_hi:[1,0]
	s_and_saveexec_b32 s52, s16
	s_cbranch_execz .LBB168_844
; %bb.843:                              ;   in Loop: Header=BB168_3 Depth=1
	ds_load_b64 v[36:37], v46 offset:25488
	ds_load_b64 v[38:39], v5 offset:24968
	s_wait_dscnt 0x0
	v_pk_mul_f32 v[40:41], v[38:39], v[36:37] op_sel:[1,1] op_sel_hi:[0,1]
	s_delay_alu instid0(VALU_DEP_1) | instskip(SKIP_1) | instid1(VALU_DEP_2)
	v_pk_fma_f32 v[98:99], v[38:39], v[36:37], v[40:41] op_sel_hi:[1,0,1]
	v_pk_fma_f32 v[36:37], v[38:39], v[36:37], v[40:41] neg_lo:[0,0,1] neg_hi:[0,0,1]
	v_mov_b32_e32 v37, v99
	s_delay_alu instid0(VALU_DEP_1)
	v_pk_add_f32 v[34:35], v[34:35], v[36:37]
.LBB168_844:                            ;   in Loop: Header=BB168_3 Depth=1
	s_or_b32 exec_lo, exec_lo, s52
	s_delay_alu instid0(VALU_DEP_1)
	v_pk_add_f32 v[34:35], v[34:35], 0 neg_lo:[1,1] neg_hi:[1,1]
.LBB168_845:                            ;   in Loop: Header=BB168_3 Depth=1
	s_or_b32 exec_lo, exec_lo, s51
	s_and_saveexec_b32 s51, s93
	s_cbranch_execz .LBB168_847
; %bb.846:                              ;   in Loop: Header=BB168_3 Depth=1
	ds_load_b64 v[36:37], v5 offset:26000
	s_wait_dscnt 0x0
	v_pk_mul_f32 v[38:39], v[34:35], v[36:37] op_sel:[1,1] op_sel_hi:[1,0]
	s_delay_alu instid0(VALU_DEP_1) | instskip(SKIP_1) | instid1(VALU_DEP_2)
	v_pk_fma_f32 v[40:41], v[34:35], v[36:37], v[38:39] op_sel_hi:[0,1,1]
	v_pk_fma_f32 v[36:37], v[34:35], v[36:37], v[38:39] neg_lo:[0,0,1] neg_hi:[0,0,1]
	v_mov_b32_e32 v37, v41
	s_delay_alu instid0(VALU_DEP_1)
	v_mov_b64_e32 v[34:35], v[36:37]
	ds_store_b64 v3, v[36:37]
.LBB168_847:                            ;   in Loop: Header=BB168_3 Depth=1
	s_or_b32 exec_lo, exec_lo, s51
	s_wait_dscnt 0x0
	s_barrier_signal -1
	s_barrier_wait -1
	s_and_saveexec_b32 s51, s94
	s_cbranch_execz .LBB168_849
; %bb.848:                              ;   in Loop: Header=BB168_3 Depth=1
	ds_load_b64 v[36:37], v5 offset:26008
	ds_load_b64 v[38:39], v3
	s_wait_dscnt 0x0
	v_pk_mul_f32 v[40:41], v[38:39], v[36:37] op_sel:[1,1] op_sel_hi:[0,1]
	s_delay_alu instid0(VALU_DEP_1) | instskip(SKIP_1) | instid1(VALU_DEP_2)
	v_pk_fma_f32 v[98:99], v[38:39], v[36:37], v[40:41] op_sel_hi:[1,0,1]
	v_pk_fma_f32 v[36:37], v[38:39], v[36:37], v[40:41] neg_lo:[0,0,1] neg_hi:[0,0,1]
	v_mov_b32_e32 v37, v99
	s_delay_alu instid0(VALU_DEP_1)
	v_pk_add_f32 v[34:35], v[34:35], v[36:37]
.LBB168_849:                            ;   in Loop: Header=BB168_3 Depth=1
	s_or_b32 exec_lo, exec_lo, s51
	s_barrier_signal -1
	s_barrier_wait -1
	s_and_saveexec_b32 s51, s94
	s_cbranch_execz .LBB168_851
; %bb.850:                              ;   in Loop: Header=BB168_3 Depth=1
	ds_load_b64 v[36:37], v5 offset:26520
	s_wait_dscnt 0x0
	v_pk_mul_f32 v[38:39], v[34:35], v[36:37] op_sel:[1,1] op_sel_hi:[1,0]
	s_delay_alu instid0(VALU_DEP_1) | instskip(SKIP_1) | instid1(VALU_DEP_2)
	v_pk_fma_f32 v[40:41], v[34:35], v[36:37], v[38:39] op_sel_hi:[0,1,1]
	v_pk_fma_f32 v[36:37], v[34:35], v[36:37], v[38:39] neg_lo:[0,0,1] neg_hi:[0,0,1]
	v_mov_b32_e32 v37, v41
	s_delay_alu instid0(VALU_DEP_1)
	v_mov_b64_e32 v[34:35], v[36:37]
	ds_store_b64 v3, v[36:37]
.LBB168_851:                            ;   in Loop: Header=BB168_3 Depth=1
	s_or_b32 exec_lo, exec_lo, s51
	s_wait_dscnt 0x0
	s_barrier_signal -1
	s_barrier_wait -1
	s_barrier_signal -1
	s_barrier_wait -1
	s_and_saveexec_b32 s51, s3
; %bb.852:                              ;   in Loop: Header=BB168_3 Depth=1
	v_pk_add_f32 v[34:35], v[34:35], 0 neg_lo:[1,1] neg_hi:[1,1]
	ds_store_b64 v44, v[34:35] offset:24976
; %bb.853:                              ;   in Loop: Header=BB168_3 Depth=1
	s_or_b32 exec_lo, exec_lo, s51
	s_wait_dscnt 0x0
	s_barrier_signal -1
	s_barrier_wait -1
	s_barrier_signal -1
	s_barrier_wait -1
	s_and_saveexec_b32 s51, s95
	s_cbranch_execz .LBB168_855
; %bb.854:                              ;   in Loop: Header=BB168_3 Depth=1
	ds_load_b64 v[34:35], v49 offset:24976
	s_wait_dscnt 0x0
	ds_store_b64 v46, v[34:35] offset:25984
	ds_load_b64 v[34:35], v49 offset:24984
	s_wait_dscnt 0x0
	ds_store_b64 v46, v[34:35] offset:26496
.LBB168_855:                            ;   in Loop: Header=BB168_3 Depth=1
	s_or_b32 exec_lo, exec_lo, s51
	s_wait_dscnt 0x0
	s_barrier_signal -1
	s_barrier_wait -1
	s_and_saveexec_b32 s51, s14
	s_cbranch_execz .LBB168_857
; %bb.856:                              ;   in Loop: Header=BB168_3 Depth=1
	ds_load_b128 v[34:37], v5 offset:26000
	ds_load_b64 v[38:39], v5 offset:26520
	s_wait_dscnt 0x1
	v_dual_mov_b32 v98, v37 :: v_dual_mov_b32 v99, v36
	s_wait_dscnt 0x0
	v_dual_mul_f32 v41, v39, v35 :: v_dual_mul_f32 v40, v38, v35
	s_delay_alu instid0(VALU_DEP_1) | instskip(NEXT) | instid1(VALU_DEP_1)
	v_xor_b32_e32 v42, 0x80000000, v41
	v_dual_fmac_f32 v40, v39, v34 :: v_dual_fmac_f32 v42, v38, v34
	s_delay_alu instid0(VALU_DEP_1) | instskip(NEXT) | instid1(VALU_DEP_1)
	v_pk_mul_f32 v[34:35], v[40:41], v[98:99] op_sel_hi:[0,1]
	v_pk_fma_f32 v[38:39], v[42:43], v[36:37], v[34:35] op_sel_hi:[0,1,1]
	v_pk_fma_f32 v[34:35], v[42:43], v[36:37], v[34:35] neg_lo:[0,0,1] neg_hi:[0,0,1]
	v_add_nc_u32_e64 v36, 0x6000, 0
	s_delay_alu instid0(VALU_DEP_3)
	v_mov_b32_e32 v35, v39
	ds_store_2addr_b64 v36, v[34:35], v[34:35] offset0:179 offset1:242
.LBB168_857:                            ;   in Loop: Header=BB168_3 Depth=1
	s_or_b32 exec_lo, exec_lo, s51
	v_mov_b32_e32 v34, 0
	s_wait_dscnt 0x0
	s_barrier_signal -1
	s_barrier_wait -1
	s_delay_alu instid0(VALU_DEP_1)
	v_mov_b32_e32 v35, v34
	s_and_saveexec_b32 s51, s5
	s_cbranch_execz .LBB168_863
; %bb.858:                              ;   in Loop: Header=BB168_3 Depth=1
	ds_load_b64 v[34:35], v51 offset:24992
	ds_load_b64 v[36:37], v47 offset:24960
	s_wait_dscnt 0x0
	v_pk_mul_f32 v[38:39], v[36:37], v[34:35] op_sel:[0,1]
	s_delay_alu instid0(VALU_DEP_1) | instskip(SKIP_1) | instid1(VALU_DEP_2)
	v_pk_fma_f32 v[40:41], v[36:37], v[34:35], v[38:39] op_sel:[1,0,0] op_sel_hi:[0,0,1] neg_lo:[0,0,1] neg_hi:[0,0,1]
	v_pk_fma_f32 v[34:35], v[36:37], v[34:35], v[38:39] op_sel:[1,0,0] op_sel_hi:[0,1,1]
	v_mov_b32_e32 v35, v41
	s_delay_alu instid0(VALU_DEP_1)
	v_pk_add_f32 v[34:35], v[34:35], 0 op_sel_hi:[1,0]
	s_and_saveexec_b32 s52, s17
	s_cbranch_execnz .LBB168_1164
; %bb.859:                              ;   in Loop: Header=BB168_3 Depth=1
	s_or_b32 exec_lo, exec_lo, s52
	s_and_saveexec_b32 s52, s18
	s_cbranch_execnz .LBB168_1165
.LBB168_860:                            ;   in Loop: Header=BB168_3 Depth=1
	s_or_b32 exec_lo, exec_lo, s52
	s_and_saveexec_b32 s52, s3
	s_cbranch_execz .LBB168_862
.LBB168_861:                            ;   in Loop: Header=BB168_3 Depth=1
	ds_load_b64 v[36:37], v54 offset:26528
	ds_load_b64 v[38:39], v5 offset:24984
	s_wait_dscnt 0x0
	v_pk_mul_f32 v[40:41], v[38:39], v[36:37] op_sel:[0,1]
	s_delay_alu instid0(VALU_DEP_1) | instskip(SKIP_1) | instid1(VALU_DEP_2)
	v_pk_fma_f32 v[98:99], v[38:39], v[36:37], v[40:41] op_sel:[1,0,0] op_sel_hi:[0,0,1] neg_lo:[0,0,1] neg_hi:[0,0,1]
	v_pk_fma_f32 v[36:37], v[38:39], v[36:37], v[40:41] op_sel:[1,0,0] op_sel_hi:[0,1,1]
	v_mov_b32_e32 v37, v99
	s_delay_alu instid0(VALU_DEP_1)
	v_pk_add_f32 v[34:35], v[34:35], v[36:37]
.LBB168_862:                            ;   in Loop: Header=BB168_3 Depth=1
	s_or_b32 exec_lo, exec_lo, s52
	s_delay_alu instid0(VALU_DEP_1) | instskip(NEXT) | instid1(VALU_DEP_1)
	v_pk_add_f32 v[36:37], v[34:35], 0 neg_lo:[1,1] neg_hi:[1,1]
	v_dual_mov_b32 v34, v37 :: v_dual_mov_b32 v35, v36
.LBB168_863:                            ;   in Loop: Header=BB168_3 Depth=1
	s_or_b32 exec_lo, exec_lo, s51
	s_and_saveexec_b32 s51, s96
	s_cbranch_execz .LBB168_865
; %bb.864:                              ;   in Loop: Header=BB168_3 Depth=1
	ds_load_b64 v[36:37], v5 offset:27040
	v_dual_mov_b32 v38, v35 :: v_dual_mov_b32 v39, v34
	s_wait_dscnt 0x0
	s_delay_alu instid0(VALU_DEP_1) | instskip(NEXT) | instid1(VALU_DEP_1)
	v_dual_mul_f32 v40, v38, v36 :: v_dual_mul_f32 v42, v35, v37
	v_pk_fma_f32 v[38:39], v[38:39], v[36:37], v[40:41] op_sel_hi:[1,1,0]
	s_delay_alu instid0(VALU_DEP_2) | instskip(NEXT) | instid1(VALU_DEP_2)
	v_pk_fma_f32 v[34:35], v[34:35], v[36:37], v[42:43] op_sel_hi:[1,1,0] neg_lo:[0,0,1] neg_hi:[0,0,1]
	v_mov_b32_e32 v35, v39
	ds_store_b64 v50, v[34:35]
.LBB168_865:                            ;   in Loop: Header=BB168_3 Depth=1
	s_or_b32 exec_lo, exec_lo, s51
	s_wait_dscnt 0x0
	s_barrier_signal -1
	s_barrier_wait -1
	s_and_saveexec_b32 s51, s97
	s_cbranch_execz .LBB168_867
; %bb.866:                              ;   in Loop: Header=BB168_3 Depth=1
	ds_load_b64 v[36:37], v48 offset:27040
	ds_load_b64 v[38:39], v50
	s_wait_dscnt 0x0
	v_dual_mul_f32 v40, v39, v37 :: v_dual_mul_f32 v41, v38, v37
	s_delay_alu instid0(VALU_DEP_1) | instskip(NEXT) | instid1(VALU_DEP_1)
	v_dual_fma_f32 v40, v38, v36, -v40 :: v_dual_fmac_f32 v41, v39, v36
	v_pk_add_f32 v[34:35], v[34:35], v[40:41]
.LBB168_867:                            ;   in Loop: Header=BB168_3 Depth=1
	s_or_b32 exec_lo, exec_lo, s51
	s_barrier_signal -1
	s_barrier_wait -1
	s_and_saveexec_b32 s51, s98
	s_cbranch_execz .LBB168_869
; %bb.868:                              ;   in Loop: Header=BB168_3 Depth=1
	ds_load_b64 v[36:37], v5 offset:27560
	s_wait_dscnt 0x0
	v_pk_mul_f32 v[38:39], v[34:35], v[36:37] op_sel:[1,1] op_sel_hi:[1,0]
	s_delay_alu instid0(VALU_DEP_1) | instskip(SKIP_1) | instid1(VALU_DEP_2)
	v_pk_fma_f32 v[40:41], v[34:35], v[36:37], v[38:39] op_sel_hi:[0,1,1]
	v_pk_fma_f32 v[36:37], v[34:35], v[36:37], v[38:39] neg_lo:[0,0,1] neg_hi:[0,0,1]
	v_mov_b32_e32 v37, v41
	s_delay_alu instid0(VALU_DEP_1)
	v_mov_b64_e32 v[34:35], v[36:37]
	ds_store_b64 v50, v[36:37]
.LBB168_869:                            ;   in Loop: Header=BB168_3 Depth=1
	s_or_b32 exec_lo, exec_lo, s51
	s_wait_dscnt 0x0
	s_barrier_signal -1
	s_barrier_wait -1
	s_and_saveexec_b32 s51, s99
	s_cbranch_execz .LBB168_871
; %bb.870:                              ;   in Loop: Header=BB168_3 Depth=1
	ds_load_b64 v[36:37], v48 offset:27552
	ds_load_b64 v[38:39], v50
	s_wait_dscnt 0x0
	v_pk_mul_f32 v[40:41], v[38:39], v[36:37] op_sel:[1,1] op_sel_hi:[0,1]
	s_delay_alu instid0(VALU_DEP_1) | instskip(SKIP_1) | instid1(VALU_DEP_2)
	v_pk_fma_f32 v[98:99], v[38:39], v[36:37], v[40:41] op_sel_hi:[1,0,1]
	v_pk_fma_f32 v[36:37], v[38:39], v[36:37], v[40:41] neg_lo:[0,0,1] neg_hi:[0,0,1]
	v_mov_b32_e32 v37, v99
	s_delay_alu instid0(VALU_DEP_1)
	v_pk_add_f32 v[34:35], v[34:35], v[36:37]
.LBB168_871:                            ;   in Loop: Header=BB168_3 Depth=1
	s_or_b32 exec_lo, exec_lo, s51
	s_barrier_signal -1
	s_barrier_wait -1
	s_and_saveexec_b32 s51, s100
	s_cbranch_execz .LBB168_873
; %bb.872:                              ;   in Loop: Header=BB168_3 Depth=1
	ds_load_b64 v[36:37], v5 offset:28080
	s_wait_dscnt 0x0
	v_pk_mul_f32 v[38:39], v[34:35], v[36:37] op_sel:[1,1] op_sel_hi:[1,0]
	s_delay_alu instid0(VALU_DEP_1) | instskip(SKIP_1) | instid1(VALU_DEP_2)
	v_pk_fma_f32 v[40:41], v[34:35], v[36:37], v[38:39] op_sel_hi:[0,1,1]
	v_pk_fma_f32 v[36:37], v[34:35], v[36:37], v[38:39] neg_lo:[0,0,1] neg_hi:[0,0,1]
	v_mov_b32_e32 v37, v41
	s_delay_alu instid0(VALU_DEP_1)
	v_mov_b64_e32 v[34:35], v[36:37]
	ds_store_b64 v50, v[36:37]
.LBB168_873:                            ;   in Loop: Header=BB168_3 Depth=1
	s_or_b32 exec_lo, exec_lo, s51
	s_wait_dscnt 0x0
	s_barrier_signal -1
	s_barrier_wait -1
	s_and_saveexec_b32 s51, s101
	s_cbranch_execz .LBB168_875
; %bb.874:                              ;   in Loop: Header=BB168_3 Depth=1
	ds_load_b64 v[36:37], v5 offset:28088
	ds_load_b64 v[38:39], v50
	s_wait_dscnt 0x0
	v_pk_mul_f32 v[40:41], v[38:39], v[36:37] op_sel:[1,1] op_sel_hi:[0,1]
	s_delay_alu instid0(VALU_DEP_1) | instskip(SKIP_1) | instid1(VALU_DEP_2)
	v_pk_fma_f32 v[98:99], v[38:39], v[36:37], v[40:41] op_sel_hi:[1,0,1]
	v_pk_fma_f32 v[36:37], v[38:39], v[36:37], v[40:41] neg_lo:[0,0,1] neg_hi:[0,0,1]
	v_mov_b32_e32 v37, v99
	s_delay_alu instid0(VALU_DEP_1)
	v_pk_add_f32 v[34:35], v[34:35], v[36:37]
.LBB168_875:                            ;   in Loop: Header=BB168_3 Depth=1
	s_or_b32 exec_lo, exec_lo, s51
	s_barrier_signal -1
	s_barrier_wait -1
	s_and_saveexec_b32 s51, s101
	s_cbranch_execz .LBB168_877
; %bb.876:                              ;   in Loop: Header=BB168_3 Depth=1
	ds_load_b64 v[36:37], v5 offset:28600
	s_wait_dscnt 0x0
	v_pk_mul_f32 v[38:39], v[34:35], v[36:37] op_sel:[1,1] op_sel_hi:[1,0]
	s_delay_alu instid0(VALU_DEP_1) | instskip(SKIP_1) | instid1(VALU_DEP_2)
	v_pk_fma_f32 v[40:41], v[34:35], v[36:37], v[38:39] op_sel_hi:[0,1,1]
	v_pk_fma_f32 v[36:37], v[34:35], v[36:37], v[38:39] neg_lo:[0,0,1] neg_hi:[0,0,1]
	v_mov_b32_e32 v37, v41
	s_delay_alu instid0(VALU_DEP_1)
	v_mov_b64_e32 v[34:35], v[36:37]
	ds_store_b64 v50, v[36:37]
.LBB168_877:                            ;   in Loop: Header=BB168_3 Depth=1
	s_or_b32 exec_lo, exec_lo, s51
	s_wait_dscnt 0x0
	s_barrier_signal -1
	s_barrier_wait -1
	s_barrier_signal -1
	s_barrier_wait -1
	s_and_saveexec_b32 s51, s5
; %bb.878:                              ;   in Loop: Header=BB168_3 Depth=1
	v_pk_add_f32 v[34:35], v[34:35], 0 neg_lo:[1,1] neg_hi:[1,1]
	ds_store_b64 v51, v[34:35] offset:24992
; %bb.879:                              ;   in Loop: Header=BB168_3 Depth=1
	s_or_b32 exec_lo, exec_lo, s51
	s_wait_dscnt 0x0
	s_barrier_signal -1
	s_barrier_wait -1
	s_barrier_signal -1
	s_barrier_wait -1
	s_and_saveexec_b32 s51, s102
	s_cbranch_execz .LBB168_881
; %bb.880:                              ;   in Loop: Header=BB168_3 Depth=1
	ds_load_b64 v[34:35], v55 offset:24992
	s_wait_dscnt 0x0
	ds_store_b64 v56, v[34:35] offset:27008
	ds_load_b64 v[34:35], v55 offset:25000
	s_wait_dscnt 0x0
	ds_store_b64 v56, v[34:35] offset:27520
	;; [unrolled: 3-line block ×4, first 2 shown]
.LBB168_881:                            ;   in Loop: Header=BB168_3 Depth=1
	s_or_b32 exec_lo, exec_lo, s51
	s_wait_dscnt 0x0
	s_barrier_signal -1
	s_barrier_wait -1
	s_and_saveexec_b32 s51, s14
	s_cbranch_execz .LBB168_883
; %bb.882:                              ;   in Loop: Header=BB168_3 Depth=1
	ds_load_b128 v[34:37], v5 offset:27040
	ds_load_b64 v[38:39], v5 offset:27560
	s_wait_dscnt 0x1
	v_dual_mov_b32 v98, v37 :: v_dual_mov_b32 v99, v36
	s_wait_dscnt 0x0
	v_dual_mul_f32 v41, v39, v35 :: v_dual_mul_f32 v40, v38, v35
	s_delay_alu instid0(VALU_DEP_1) | instskip(NEXT) | instid1(VALU_DEP_1)
	v_xor_b32_e32 v42, 0x80000000, v41
	v_dual_fmac_f32 v40, v39, v34 :: v_dual_fmac_f32 v42, v38, v34
	s_delay_alu instid0(VALU_DEP_1) | instskip(NEXT) | instid1(VALU_DEP_1)
	v_pk_mul_f32 v[34:35], v[40:41], v[98:99] op_sel_hi:[0,1]
	v_pk_fma_f32 v[38:39], v[42:43], v[36:37], v[34:35] op_sel_hi:[0,1,1]
	v_pk_fma_f32 v[34:35], v[42:43], v[36:37], v[34:35] neg_lo:[0,0,1] neg_hi:[0,0,1]
	v_add_nc_u32_e64 v36, 0x6800, 0
	s_delay_alu instid0(VALU_DEP_3)
	v_mov_b32_e32 v35, v39
	ds_store_2addr_b64 v36, v[34:35], v[34:35] offset0:53 offset1:116
.LBB168_883:                            ;   in Loop: Header=BB168_3 Depth=1
	s_or_b32 exec_lo, exec_lo, s51
	v_mov_b32_e32 v35, 0
	s_wait_dscnt 0x0
	s_barrier_signal -1
	s_barrier_wait -1
	s_delay_alu instid0(VALU_DEP_1)
	v_mov_b32_e32 v34, v35
	s_and_saveexec_b32 s51, s3
	s_cbranch_execz .LBB168_887
; %bb.884:                              ;   in Loop: Header=BB168_3 Depth=1
	ds_load_b64 v[34:35], v44 offset:27056
	ds_load_b64 v[36:37], v45 offset:27040
	s_wait_dscnt 0x0
	v_dual_mul_f32 v38, v37, v35 :: v_dual_mul_f32 v39, v36, v35
	s_delay_alu instid0(VALU_DEP_1) | instskip(NEXT) | instid1(VALU_DEP_1)
	v_dual_fma_f32 v38, v36, v34, -v38 :: v_dual_fmac_f32 v39, v37, v34
	v_pk_add_f32 v[34:35], v[38:39], 0 op_sel_hi:[1,0]
	s_and_saveexec_b32 s52, s16
	s_cbranch_execz .LBB168_886
; %bb.885:                              ;   in Loop: Header=BB168_3 Depth=1
	ds_load_b64 v[36:37], v56 offset:27568
	ds_load_b64 v[38:39], v5 offset:27048
	s_wait_dscnt 0x0
	v_pk_mul_f32 v[40:41], v[38:39], v[36:37] op_sel:[1,1] op_sel_hi:[0,1]
	s_delay_alu instid0(VALU_DEP_1) | instskip(SKIP_1) | instid1(VALU_DEP_2)
	v_pk_fma_f32 v[98:99], v[38:39], v[36:37], v[40:41] op_sel_hi:[1,0,1]
	v_pk_fma_f32 v[36:37], v[38:39], v[36:37], v[40:41] neg_lo:[0,0,1] neg_hi:[0,0,1]
	v_mov_b32_e32 v37, v99
	s_delay_alu instid0(VALU_DEP_1)
	v_pk_add_f32 v[34:35], v[34:35], v[36:37]
.LBB168_886:                            ;   in Loop: Header=BB168_3 Depth=1
	s_or_b32 exec_lo, exec_lo, s52
	s_delay_alu instid0(VALU_DEP_1)
	v_pk_add_f32 v[34:35], v[34:35], 0 neg_lo:[1,1] neg_hi:[1,1]
.LBB168_887:                            ;   in Loop: Header=BB168_3 Depth=1
	s_or_b32 exec_lo, exec_lo, s51
	s_and_saveexec_b32 s51, s93
	s_cbranch_execz .LBB168_889
; %bb.888:                              ;   in Loop: Header=BB168_3 Depth=1
	ds_load_b64 v[36:37], v5 offset:28080
	s_wait_dscnt 0x0
	v_pk_mul_f32 v[38:39], v[34:35], v[36:37] op_sel:[1,1] op_sel_hi:[1,0]
	s_delay_alu instid0(VALU_DEP_1) | instskip(SKIP_1) | instid1(VALU_DEP_2)
	v_pk_fma_f32 v[40:41], v[34:35], v[36:37], v[38:39] op_sel_hi:[0,1,1]
	v_pk_fma_f32 v[36:37], v[34:35], v[36:37], v[38:39] neg_lo:[0,0,1] neg_hi:[0,0,1]
	v_mov_b32_e32 v37, v41
	s_delay_alu instid0(VALU_DEP_1)
	v_mov_b64_e32 v[34:35], v[36:37]
	ds_store_b64 v3, v[36:37]
.LBB168_889:                            ;   in Loop: Header=BB168_3 Depth=1
	s_or_b32 exec_lo, exec_lo, s51
	s_wait_dscnt 0x0
	s_barrier_signal -1
	s_barrier_wait -1
	s_and_saveexec_b32 s51, s94
	s_cbranch_execz .LBB168_891
; %bb.890:                              ;   in Loop: Header=BB168_3 Depth=1
	ds_load_b64 v[36:37], v5 offset:28088
	ds_load_b64 v[38:39], v3
	s_wait_dscnt 0x0
	v_pk_mul_f32 v[40:41], v[38:39], v[36:37] op_sel:[1,1] op_sel_hi:[0,1]
	s_delay_alu instid0(VALU_DEP_1) | instskip(SKIP_1) | instid1(VALU_DEP_2)
	v_pk_fma_f32 v[98:99], v[38:39], v[36:37], v[40:41] op_sel_hi:[1,0,1]
	v_pk_fma_f32 v[36:37], v[38:39], v[36:37], v[40:41] neg_lo:[0,0,1] neg_hi:[0,0,1]
	v_mov_b32_e32 v37, v99
	s_delay_alu instid0(VALU_DEP_1)
	v_pk_add_f32 v[34:35], v[34:35], v[36:37]
.LBB168_891:                            ;   in Loop: Header=BB168_3 Depth=1
	s_or_b32 exec_lo, exec_lo, s51
	s_barrier_signal -1
	s_barrier_wait -1
	s_and_saveexec_b32 s51, s94
	s_cbranch_execz .LBB168_893
; %bb.892:                              ;   in Loop: Header=BB168_3 Depth=1
	ds_load_b64 v[36:37], v5 offset:28600
	s_wait_dscnt 0x0
	v_pk_mul_f32 v[38:39], v[34:35], v[36:37] op_sel:[1,1] op_sel_hi:[1,0]
	s_delay_alu instid0(VALU_DEP_1) | instskip(SKIP_1) | instid1(VALU_DEP_2)
	v_pk_fma_f32 v[40:41], v[34:35], v[36:37], v[38:39] op_sel_hi:[0,1,1]
	v_pk_fma_f32 v[36:37], v[34:35], v[36:37], v[38:39] neg_lo:[0,0,1] neg_hi:[0,0,1]
	v_mov_b32_e32 v37, v41
	s_delay_alu instid0(VALU_DEP_1)
	v_mov_b64_e32 v[34:35], v[36:37]
	ds_store_b64 v3, v[36:37]
.LBB168_893:                            ;   in Loop: Header=BB168_3 Depth=1
	s_or_b32 exec_lo, exec_lo, s51
	s_wait_dscnt 0x0
	s_barrier_signal -1
	s_barrier_wait -1
	s_barrier_signal -1
	s_barrier_wait -1
	s_and_saveexec_b32 s51, s3
; %bb.894:                              ;   in Loop: Header=BB168_3 Depth=1
	v_pk_add_f32 v[34:35], v[34:35], 0 neg_lo:[1,1] neg_hi:[1,1]
	ds_store_b64 v44, v[34:35] offset:27056
; %bb.895:                              ;   in Loop: Header=BB168_3 Depth=1
	s_or_b32 exec_lo, exec_lo, s51
	s_wait_dscnt 0x0
	s_barrier_signal -1
	s_barrier_wait -1
	s_barrier_signal -1
	s_barrier_wait -1
	s_and_saveexec_b32 s51, s95
	s_cbranch_execz .LBB168_897
; %bb.896:                              ;   in Loop: Header=BB168_3 Depth=1
	ds_load_b64 v[34:35], v58 offset:27056
	s_wait_dscnt 0x0
	ds_store_b64 v56, v[34:35] offset:28064
	ds_load_b64 v[34:35], v58 offset:27064
	s_wait_dscnt 0x0
	ds_store_b64 v56, v[34:35] offset:28576
.LBB168_897:                            ;   in Loop: Header=BB168_3 Depth=1
	s_or_b32 exec_lo, exec_lo, s51
	s_wait_dscnt 0x0
	s_barrier_signal -1
	s_barrier_wait -1
	s_and_saveexec_b32 s51, s14
	s_cbranch_execz .LBB168_899
; %bb.898:                              ;   in Loop: Header=BB168_3 Depth=1
	ds_load_b128 v[34:37], v5 offset:28080
	ds_load_b64 v[38:39], v5 offset:28600
	s_wait_dscnt 0x1
	v_dual_mov_b32 v98, v37 :: v_dual_mov_b32 v99, v36
	s_wait_dscnt 0x0
	v_dual_mul_f32 v41, v39, v35 :: v_dual_mul_f32 v40, v38, v35
	s_delay_alu instid0(VALU_DEP_1) | instskip(NEXT) | instid1(VALU_DEP_1)
	v_xor_b32_e32 v42, 0x80000000, v41
	v_dual_fmac_f32 v40, v39, v34 :: v_dual_fmac_f32 v42, v38, v34
	s_delay_alu instid0(VALU_DEP_1) | instskip(NEXT) | instid1(VALU_DEP_1)
	v_pk_mul_f32 v[34:35], v[40:41], v[98:99] op_sel_hi:[0,1]
	v_pk_fma_f32 v[38:39], v[42:43], v[36:37], v[34:35] op_sel_hi:[0,1,1]
	v_pk_fma_f32 v[34:35], v[42:43], v[36:37], v[34:35] neg_lo:[0,0,1] neg_hi:[0,0,1]
	v_add_nc_u32_e64 v36, 0x6800, 0
	s_delay_alu instid0(VALU_DEP_3)
	v_mov_b32_e32 v35, v39
	ds_store_2addr_b64 v36, v[34:35], v[34:35] offset0:183 offset1:246
.LBB168_899:                            ;   in Loop: Header=BB168_3 Depth=1
	s_or_b32 exec_lo, exec_lo, s51
	v_mov_b32_e32 v34, 0
	s_wait_dscnt 0x0
	s_barrier_signal -1
	s_barrier_wait -1
	s_delay_alu instid0(VALU_DEP_1)
	v_mov_b32_e32 v35, v34
	s_and_saveexec_b32 s51, s6
	s_cbranch_execz .LBB168_909
; %bb.900:                              ;   in Loop: Header=BB168_3 Depth=1
	ds_load_b64 v[34:35], v61 offset:25024
	ds_load_b64 v[36:37], v57 offset:24960
	s_wait_dscnt 0x0
	v_dual_mul_f32 v38, v37, v35 :: v_dual_mul_f32 v39, v36, v35
	s_delay_alu instid0(VALU_DEP_1) | instskip(NEXT) | instid1(VALU_DEP_1)
	v_dual_fma_f32 v35, v36, v34, -v38 :: v_dual_fmac_f32 v39, v37, v34
	v_add_f32_e32 v35, 0, v35
	s_delay_alu instid0(VALU_DEP_2)
	v_add_f32_e32 v34, 0, v39
	s_and_saveexec_b32 s52, s19
	s_cbranch_execnz .LBB168_1166
; %bb.901:                              ;   in Loop: Header=BB168_3 Depth=1
	s_or_b32 exec_lo, exec_lo, s52
	s_and_saveexec_b32 s52, s20
	s_cbranch_execnz .LBB168_1167
.LBB168_902:                            ;   in Loop: Header=BB168_3 Depth=1
	s_or_b32 exec_lo, exec_lo, s52
	s_and_saveexec_b32 s52, s21
	s_cbranch_execnz .LBB168_1168
.LBB168_903:                            ;   in Loop: Header=BB168_3 Depth=1
	s_or_b32 exec_lo, exec_lo, s52
	s_and_saveexec_b32 s52, s22
	s_cbranch_execnz .LBB168_1169
.LBB168_904:                            ;   in Loop: Header=BB168_3 Depth=1
	s_or_b32 exec_lo, exec_lo, s52
	s_and_saveexec_b32 s52, s23
	s_cbranch_execnz .LBB168_1170
.LBB168_905:                            ;   in Loop: Header=BB168_3 Depth=1
	s_or_b32 exec_lo, exec_lo, s52
	s_and_saveexec_b32 s52, s5
	s_cbranch_execnz .LBB168_1171
.LBB168_906:                            ;   in Loop: Header=BB168_3 Depth=1
	s_or_b32 exec_lo, exec_lo, s52
	s_and_saveexec_b32 s52, s18
	s_cbranch_execz .LBB168_908
.LBB168_907:                            ;   in Loop: Header=BB168_3 Depth=1
	ds_load_b64 v[36:37], v63 offset:28608
	ds_load_b64 v[38:39], v5 offset:25016
	s_wait_dscnt 0x0
	v_pk_mul_f32 v[40:41], v[38:39], v[36:37] op_sel:[0,1]
	s_delay_alu instid0(VALU_DEP_1) | instskip(SKIP_1) | instid1(VALU_DEP_2)
	v_pk_fma_f32 v[98:99], v[38:39], v[36:37], v[40:41] op_sel:[1,0,0] op_sel_hi:[0,0,1] neg_lo:[0,0,1] neg_hi:[0,0,1]
	v_pk_fma_f32 v[36:37], v[38:39], v[36:37], v[40:41] op_sel:[1,0,0] op_sel_hi:[0,1,1]
	v_mov_b32_e32 v37, v99
	s_delay_alu instid0(VALU_DEP_1)
	v_pk_add_f32 v[34:35], v[34:35], v[36:37]
.LBB168_908:                            ;   in Loop: Header=BB168_3 Depth=1
	s_or_b32 exec_lo, exec_lo, s52
	s_delay_alu instid0(VALU_DEP_1) | instskip(NEXT) | instid1(VALU_DEP_1)
	v_pk_add_f32 v[36:37], v[34:35], 0 neg_lo:[1,1] neg_hi:[1,1]
	v_dual_mov_b32 v34, v37 :: v_dual_mov_b32 v35, v36
.LBB168_909:                            ;   in Loop: Header=BB168_3 Depth=1
	s_or_b32 exec_lo, exec_lo, s51
	s_and_saveexec_b32 s51, s103
	s_cbranch_execz .LBB168_911
; %bb.910:                              ;   in Loop: Header=BB168_3 Depth=1
	ds_load_b64 v[36:37], v5 offset:29120
	v_dual_mov_b32 v38, v35 :: v_dual_mov_b32 v39, v34
	s_wait_dscnt 0x0
	s_delay_alu instid0(VALU_DEP_1) | instskip(NEXT) | instid1(VALU_DEP_1)
	v_dual_mul_f32 v40, v38, v36 :: v_dual_mul_f32 v42, v35, v37
	v_pk_fma_f32 v[38:39], v[38:39], v[36:37], v[40:41] op_sel_hi:[1,1,0]
	s_delay_alu instid0(VALU_DEP_2) | instskip(NEXT) | instid1(VALU_DEP_2)
	v_pk_fma_f32 v[34:35], v[34:35], v[36:37], v[42:43] op_sel_hi:[1,1,0] neg_lo:[0,0,1] neg_hi:[0,0,1]
	v_mov_b32_e32 v35, v39
	ds_store_b64 v60, v[34:35]
.LBB168_911:                            ;   in Loop: Header=BB168_3 Depth=1
	s_or_b32 exec_lo, exec_lo, s51
	s_wait_dscnt 0x0
	s_barrier_signal -1
	s_barrier_wait -1
	s_and_saveexec_b32 s51, s104
	s_cbranch_execz .LBB168_913
; %bb.912:                              ;   in Loop: Header=BB168_3 Depth=1
	ds_load_b64 v[36:37], v59 offset:29120
	ds_load_b64 v[38:39], v60
	s_wait_dscnt 0x0
	v_dual_mul_f32 v40, v39, v37 :: v_dual_mul_f32 v41, v38, v37
	s_delay_alu instid0(VALU_DEP_1) | instskip(NEXT) | instid1(VALU_DEP_1)
	v_dual_fma_f32 v40, v38, v36, -v40 :: v_dual_fmac_f32 v41, v39, v36
	v_pk_add_f32 v[34:35], v[34:35], v[40:41]
.LBB168_913:                            ;   in Loop: Header=BB168_3 Depth=1
	s_or_b32 exec_lo, exec_lo, s51
	s_barrier_signal -1
	s_barrier_wait -1
	s_and_saveexec_b32 s51, vcc_hi
	s_cbranch_execz .LBB168_915
; %bb.914:                              ;   in Loop: Header=BB168_3 Depth=1
	ds_load_b64 v[36:37], v5 offset:29640
	s_wait_dscnt 0x0
	v_pk_mul_f32 v[38:39], v[34:35], v[36:37] op_sel:[1,1] op_sel_hi:[1,0]
	s_delay_alu instid0(VALU_DEP_1) | instskip(SKIP_1) | instid1(VALU_DEP_2)
	v_pk_fma_f32 v[40:41], v[34:35], v[36:37], v[38:39] op_sel_hi:[0,1,1]
	v_pk_fma_f32 v[34:35], v[34:35], v[36:37], v[38:39] op_sel_hi:[0,1,1] neg_lo:[0,0,1] neg_hi:[0,0,1]
	v_mov_b32_e32 v35, v41
	ds_store_b64 v60, v[34:35]
.LBB168_915:                            ;   in Loop: Header=BB168_3 Depth=1
	s_or_b32 exec_lo, exec_lo, s51
	s_wait_dscnt 0x0
	s_barrier_signal -1
	s_barrier_wait -1
	s_and_saveexec_b32 s51, s15
	s_cbranch_execz .LBB168_917
; %bb.916:                              ;   in Loop: Header=BB168_3 Depth=1
	ds_load_b64 v[36:37], v59 offset:29632
	ds_load_b64 v[38:39], v60
	s_wait_dscnt 0x0
	v_pk_mul_f32 v[40:41], v[38:39], v[36:37] op_sel:[1,1] op_sel_hi:[0,1]
	s_delay_alu instid0(VALU_DEP_1) | instskip(SKIP_1) | instid1(VALU_DEP_2)
	v_pk_fma_f32 v[98:99], v[38:39], v[36:37], v[40:41] op_sel_hi:[1,0,1]
	v_pk_fma_f32 v[36:37], v[38:39], v[36:37], v[40:41] op_sel_hi:[1,0,1] neg_lo:[0,0,1] neg_hi:[0,0,1]
	v_mov_b32_e32 v37, v99
	s_delay_alu instid0(VALU_DEP_1)
	v_pk_add_f32 v[34:35], v[34:35], v[36:37]
.LBB168_917:                            ;   in Loop: Header=BB168_3 Depth=1
	s_or_b32 exec_lo, exec_lo, s51
	s_barrier_signal -1
	s_barrier_wait -1
	s_and_saveexec_b32 s51, s39
	s_cbranch_execz .LBB168_919
; %bb.918:                              ;   in Loop: Header=BB168_3 Depth=1
	ds_load_b64 v[36:37], v5 offset:30160
	s_wait_dscnt 0x0
	v_pk_mul_f32 v[38:39], v[34:35], v[36:37] op_sel:[1,1] op_sel_hi:[1,0]
	s_delay_alu instid0(VALU_DEP_1) | instskip(SKIP_1) | instid1(VALU_DEP_2)
	v_pk_fma_f32 v[40:41], v[34:35], v[36:37], v[38:39] op_sel_hi:[0,1,1]
	v_pk_fma_f32 v[34:35], v[34:35], v[36:37], v[38:39] op_sel_hi:[0,1,1] neg_lo:[0,0,1] neg_hi:[0,0,1]
	v_mov_b32_e32 v35, v41
	ds_store_b64 v60, v[34:35]
.LBB168_919:                            ;   in Loop: Header=BB168_3 Depth=1
	s_or_b32 exec_lo, exec_lo, s51
	s_wait_dscnt 0x0
	s_barrier_signal -1
	s_barrier_wait -1
	s_and_saveexec_b32 s51, s40
	s_cbranch_execz .LBB168_921
; %bb.920:                              ;   in Loop: Header=BB168_3 Depth=1
	ds_load_b64 v[36:37], v59 offset:30144
	ds_load_b64 v[38:39], v60
	s_wait_dscnt 0x0
	v_pk_mul_f32 v[40:41], v[38:39], v[36:37] op_sel:[1,1] op_sel_hi:[0,1]
	s_delay_alu instid0(VALU_DEP_1) | instskip(SKIP_1) | instid1(VALU_DEP_2)
	v_pk_fma_f32 v[98:99], v[38:39], v[36:37], v[40:41] op_sel_hi:[1,0,1]
	v_pk_fma_f32 v[36:37], v[38:39], v[36:37], v[40:41] op_sel_hi:[1,0,1] neg_lo:[0,0,1] neg_hi:[0,0,1]
	v_mov_b32_e32 v37, v99
	s_delay_alu instid0(VALU_DEP_1)
	v_pk_add_f32 v[34:35], v[34:35], v[36:37]
.LBB168_921:                            ;   in Loop: Header=BB168_3 Depth=1
	s_or_b32 exec_lo, exec_lo, s51
	s_barrier_signal -1
	s_barrier_wait -1
	s_and_saveexec_b32 s51, s41
	;; [unrolled: 33-line block ×3, first 2 shown]
	s_cbranch_execz .LBB168_927
; %bb.926:                              ;   in Loop: Header=BB168_3 Depth=1
	ds_load_b64 v[36:37], v5 offset:31200
	s_wait_dscnt 0x0
	v_dual_mul_f32 v38, v34, v37 :: v_dual_mul_f32 v40, v35, v37
	s_delay_alu instid0(VALU_DEP_1) | instskip(NEXT) | instid1(VALU_DEP_2)
	v_pk_fma_f32 v[38:39], v[34:35], v[36:37], v[38:39] op_sel:[0,1,0] op_sel_hi:[1,0,0]
	v_pk_fma_f32 v[36:37], v[34:35], v[36:37], v[40:41] op_sel_hi:[1,1,0] neg_lo:[0,0,1] neg_hi:[0,0,1]
	s_delay_alu instid0(VALU_DEP_2) | instskip(NEXT) | instid1(VALU_DEP_1)
	v_mov_b32_e32 v37, v39
	v_mov_b64_e32 v[34:35], v[36:37]
	ds_store_b64 v60, v[36:37]
.LBB168_927:                            ;   in Loop: Header=BB168_3 Depth=1
	s_or_b32 exec_lo, exec_lo, s51
	s_wait_dscnt 0x0
	s_barrier_signal -1
	s_barrier_wait -1
	s_and_saveexec_b32 s51, s44
	s_cbranch_execz .LBB168_929
; %bb.928:                              ;   in Loop: Header=BB168_3 Depth=1
	ds_load_b64 v[36:37], v59 offset:31168
	ds_load_b64 v[38:39], v60
	s_wait_dscnt 0x0
	v_dual_mul_f32 v40, v39, v37 :: v_dual_mul_f32 v41, v38, v37
	s_delay_alu instid0(VALU_DEP_1) | instskip(NEXT) | instid1(VALU_DEP_1)
	v_dual_fma_f32 v40, v38, v36, -v40 :: v_dual_fmac_f32 v41, v39, v36
	v_pk_add_f32 v[34:35], v[34:35], v[40:41]
.LBB168_929:                            ;   in Loop: Header=BB168_3 Depth=1
	s_or_b32 exec_lo, exec_lo, s51
	s_barrier_signal -1
	s_barrier_wait -1
	s_and_saveexec_b32 s51, s45
	s_cbranch_execz .LBB168_931
; %bb.930:                              ;   in Loop: Header=BB168_3 Depth=1
	ds_load_b64 v[36:37], v5 offset:31720
	s_wait_dscnt 0x0
	v_pk_mul_f32 v[38:39], v[34:35], v[36:37] op_sel:[1,1] op_sel_hi:[1,0]
	s_delay_alu instid0(VALU_DEP_1) | instskip(SKIP_1) | instid1(VALU_DEP_2)
	v_pk_fma_f32 v[40:41], v[34:35], v[36:37], v[38:39] op_sel_hi:[0,1,1]
	v_pk_fma_f32 v[36:37], v[34:35], v[36:37], v[38:39] neg_lo:[0,0,1] neg_hi:[0,0,1]
	v_mov_b32_e32 v37, v41
	s_delay_alu instid0(VALU_DEP_1)
	v_mov_b64_e32 v[34:35], v[36:37]
	ds_store_b64 v60, v[36:37]
.LBB168_931:                            ;   in Loop: Header=BB168_3 Depth=1
	s_or_b32 exec_lo, exec_lo, s51
	s_wait_dscnt 0x0
	s_barrier_signal -1
	s_barrier_wait -1
	s_and_saveexec_b32 s51, s46
	s_cbranch_execz .LBB168_933
; %bb.932:                              ;   in Loop: Header=BB168_3 Depth=1
	ds_load_b64 v[36:37], v59 offset:31680
	ds_load_b64 v[38:39], v60
	s_wait_dscnt 0x0
	v_pk_mul_f32 v[40:41], v[38:39], v[36:37] op_sel:[1,1] op_sel_hi:[0,1]
	s_delay_alu instid0(VALU_DEP_1) | instskip(SKIP_1) | instid1(VALU_DEP_2)
	v_pk_fma_f32 v[98:99], v[38:39], v[36:37], v[40:41] op_sel_hi:[1,0,1]
	v_pk_fma_f32 v[36:37], v[38:39], v[36:37], v[40:41] neg_lo:[0,0,1] neg_hi:[0,0,1]
	v_mov_b32_e32 v37, v99
	s_delay_alu instid0(VALU_DEP_1)
	v_pk_add_f32 v[34:35], v[34:35], v[36:37]
.LBB168_933:                            ;   in Loop: Header=BB168_3 Depth=1
	s_or_b32 exec_lo, exec_lo, s51
	s_barrier_signal -1
	s_barrier_wait -1
	s_and_saveexec_b32 s51, s47
	s_cbranch_execz .LBB168_935
; %bb.934:                              ;   in Loop: Header=BB168_3 Depth=1
	ds_load_b64 v[36:37], v5 offset:32240
	s_wait_dscnt 0x0
	v_pk_mul_f32 v[38:39], v[34:35], v[36:37] op_sel:[1,1] op_sel_hi:[1,0]
	s_delay_alu instid0(VALU_DEP_1) | instskip(SKIP_1) | instid1(VALU_DEP_2)
	v_pk_fma_f32 v[40:41], v[34:35], v[36:37], v[38:39] op_sel_hi:[0,1,1]
	v_pk_fma_f32 v[36:37], v[34:35], v[36:37], v[38:39] neg_lo:[0,0,1] neg_hi:[0,0,1]
	v_mov_b32_e32 v37, v41
	s_delay_alu instid0(VALU_DEP_1)
	v_mov_b64_e32 v[34:35], v[36:37]
	ds_store_b64 v60, v[36:37]
.LBB168_935:                            ;   in Loop: Header=BB168_3 Depth=1
	s_or_b32 exec_lo, exec_lo, s51
	s_wait_dscnt 0x0
	s_barrier_signal -1
	s_barrier_wait -1
	s_and_saveexec_b32 s51, s48
	s_cbranch_execz .LBB168_937
; %bb.936:                              ;   in Loop: Header=BB168_3 Depth=1
	ds_load_b64 v[36:37], v5 offset:32248
	ds_load_b64 v[38:39], v60
	s_wait_dscnt 0x0
	v_pk_mul_f32 v[40:41], v[38:39], v[36:37] op_sel:[1,1] op_sel_hi:[0,1]
	s_delay_alu instid0(VALU_DEP_1) | instskip(SKIP_1) | instid1(VALU_DEP_2)
	v_pk_fma_f32 v[98:99], v[38:39], v[36:37], v[40:41] op_sel_hi:[1,0,1]
	v_pk_fma_f32 v[36:37], v[38:39], v[36:37], v[40:41] neg_lo:[0,0,1] neg_hi:[0,0,1]
	v_mov_b32_e32 v37, v99
	s_delay_alu instid0(VALU_DEP_1)
	v_pk_add_f32 v[34:35], v[34:35], v[36:37]
.LBB168_937:                            ;   in Loop: Header=BB168_3 Depth=1
	s_or_b32 exec_lo, exec_lo, s51
	s_barrier_signal -1
	s_barrier_wait -1
	s_and_saveexec_b32 s51, s48
	s_cbranch_execz .LBB168_939
; %bb.938:                              ;   in Loop: Header=BB168_3 Depth=1
	ds_load_b64 v[36:37], v5 offset:32760
	s_wait_dscnt 0x0
	v_pk_mul_f32 v[38:39], v[34:35], v[36:37] op_sel:[1,1] op_sel_hi:[1,0]
	s_delay_alu instid0(VALU_DEP_1) | instskip(SKIP_1) | instid1(VALU_DEP_2)
	v_pk_fma_f32 v[40:41], v[34:35], v[36:37], v[38:39] op_sel_hi:[0,1,1]
	v_pk_fma_f32 v[36:37], v[34:35], v[36:37], v[38:39] neg_lo:[0,0,1] neg_hi:[0,0,1]
	v_mov_b32_e32 v37, v41
	s_delay_alu instid0(VALU_DEP_1)
	v_mov_b64_e32 v[34:35], v[36:37]
	ds_store_b64 v60, v[36:37]
.LBB168_939:                            ;   in Loop: Header=BB168_3 Depth=1
	s_or_b32 exec_lo, exec_lo, s51
	s_wait_dscnt 0x0
	s_barrier_signal -1
	s_barrier_wait -1
	s_barrier_signal -1
	s_barrier_wait -1
	s_and_saveexec_b32 s51, s6
; %bb.940:                              ;   in Loop: Header=BB168_3 Depth=1
	v_pk_add_f32 v[34:35], v[34:35], 0 neg_lo:[1,1] neg_hi:[1,1]
	ds_store_b64 v61, v[34:35] offset:25024
; %bb.941:                              ;   in Loop: Header=BB168_3 Depth=1
	s_or_b32 exec_lo, exec_lo, s51
	s_wait_dscnt 0x0
	s_barrier_signal -1
	s_barrier_wait -1
	s_barrier_signal -1
	s_barrier_wait -1
	s_and_saveexec_b32 s51, s49
	s_cbranch_execz .LBB168_943
; %bb.942:                              ;   in Loop: Header=BB168_3 Depth=1
	ds_load_b64 v[34:35], v72 offset:25024
	s_wait_dscnt 0x0
	ds_store_b64 v73, v[34:35] offset:29056
	ds_load_b64 v[34:35], v72 offset:25032
	s_wait_dscnt 0x0
	ds_store_b64 v73, v[34:35] offset:29568
	;; [unrolled: 3-line block ×8, first 2 shown]
.LBB168_943:                            ;   in Loop: Header=BB168_3 Depth=1
	s_or_b32 exec_lo, exec_lo, s51
	s_wait_dscnt 0x0
	s_barrier_signal -1
	s_barrier_wait -1
	s_and_saveexec_b32 s51, s14
	s_cbranch_execz .LBB168_945
; %bb.944:                              ;   in Loop: Header=BB168_3 Depth=1
	ds_load_b128 v[34:37], v5 offset:29120
	ds_load_b64 v[38:39], v5 offset:29640
	s_wait_dscnt 0x1
	v_dual_mov_b32 v98, v37 :: v_dual_mov_b32 v99, v36
	s_wait_dscnt 0x0
	v_dual_mul_f32 v41, v39, v35 :: v_dual_mul_f32 v40, v38, v35
	s_delay_alu instid0(VALU_DEP_1) | instskip(NEXT) | instid1(VALU_DEP_1)
	v_xor_b32_e32 v42, 0x80000000, v41
	v_dual_fmac_f32 v40, v39, v34 :: v_dual_fmac_f32 v42, v38, v34
	s_delay_alu instid0(VALU_DEP_1) | instskip(NEXT) | instid1(VALU_DEP_1)
	v_pk_mul_f32 v[34:35], v[40:41], v[98:99] op_sel_hi:[0,1]
	v_pk_fma_f32 v[38:39], v[42:43], v[36:37], v[34:35] op_sel_hi:[0,1,1]
	v_pk_fma_f32 v[34:35], v[42:43], v[36:37], v[34:35] neg_lo:[0,0,1] neg_hi:[0,0,1]
	v_add_nc_u32_e64 v36, 0x7000, 0
	s_delay_alu instid0(VALU_DEP_3)
	v_mov_b32_e32 v35, v39
	ds_store_2addr_b64 v36, v[34:35], v[34:35] offset0:57 offset1:120
.LBB168_945:                            ;   in Loop: Header=BB168_3 Depth=1
	s_or_b32 exec_lo, exec_lo, s51
	v_mov_b32_e32 v35, 0
	s_wait_dscnt 0x0
	s_barrier_signal -1
	s_barrier_wait -1
	s_delay_alu instid0(VALU_DEP_1)
	v_mov_b32_e32 v34, v35
	s_and_saveexec_b32 s51, s3
	s_cbranch_execz .LBB168_949
; %bb.946:                              ;   in Loop: Header=BB168_3 Depth=1
	ds_load_b64 v[34:35], v44 offset:29136
	ds_load_b64 v[36:37], v45 offset:29120
	s_wait_dscnt 0x0
	v_dual_mul_f32 v38, v37, v35 :: v_dual_mul_f32 v39, v36, v35
	s_delay_alu instid0(VALU_DEP_1) | instskip(NEXT) | instid1(VALU_DEP_1)
	v_dual_fma_f32 v38, v36, v34, -v38 :: v_dual_fmac_f32 v39, v37, v34
	v_pk_add_f32 v[34:35], v[38:39], 0 op_sel_hi:[1,0]
	s_and_saveexec_b32 s52, s16
	s_cbranch_execz .LBB168_948
; %bb.947:                              ;   in Loop: Header=BB168_3 Depth=1
	ds_load_b64 v[36:37], v73 offset:29648
	ds_load_b64 v[38:39], v5 offset:29128
	s_wait_dscnt 0x0
	v_pk_mul_f32 v[40:41], v[38:39], v[36:37] op_sel:[1,1] op_sel_hi:[0,1]
	s_delay_alu instid0(VALU_DEP_1) | instskip(SKIP_1) | instid1(VALU_DEP_2)
	v_pk_fma_f32 v[98:99], v[38:39], v[36:37], v[40:41] op_sel_hi:[1,0,1]
	v_pk_fma_f32 v[36:37], v[38:39], v[36:37], v[40:41] neg_lo:[0,0,1] neg_hi:[0,0,1]
	v_mov_b32_e32 v37, v99
	s_delay_alu instid0(VALU_DEP_1)
	v_pk_add_f32 v[34:35], v[34:35], v[36:37]
.LBB168_948:                            ;   in Loop: Header=BB168_3 Depth=1
	s_or_b32 exec_lo, exec_lo, s52
	s_delay_alu instid0(VALU_DEP_1)
	v_pk_add_f32 v[34:35], v[34:35], 0 neg_lo:[1,1] neg_hi:[1,1]
.LBB168_949:                            ;   in Loop: Header=BB168_3 Depth=1
	s_or_b32 exec_lo, exec_lo, s51
	s_and_saveexec_b32 s51, s93
	s_cbranch_execz .LBB168_951
; %bb.950:                              ;   in Loop: Header=BB168_3 Depth=1
	ds_load_b64 v[36:37], v5 offset:30160
	s_wait_dscnt 0x0
	v_pk_mul_f32 v[38:39], v[34:35], v[36:37] op_sel:[1,1] op_sel_hi:[1,0]
	s_delay_alu instid0(VALU_DEP_1) | instskip(SKIP_1) | instid1(VALU_DEP_2)
	v_pk_fma_f32 v[40:41], v[34:35], v[36:37], v[38:39] op_sel_hi:[0,1,1]
	v_pk_fma_f32 v[36:37], v[34:35], v[36:37], v[38:39] neg_lo:[0,0,1] neg_hi:[0,0,1]
	v_mov_b32_e32 v37, v41
	s_delay_alu instid0(VALU_DEP_1)
	v_mov_b64_e32 v[34:35], v[36:37]
	ds_store_b64 v3, v[36:37]
.LBB168_951:                            ;   in Loop: Header=BB168_3 Depth=1
	s_or_b32 exec_lo, exec_lo, s51
	s_wait_dscnt 0x0
	s_barrier_signal -1
	s_barrier_wait -1
	s_and_saveexec_b32 s51, s94
	s_cbranch_execz .LBB168_953
; %bb.952:                              ;   in Loop: Header=BB168_3 Depth=1
	ds_load_b64 v[36:37], v5 offset:30168
	ds_load_b64 v[38:39], v3
	s_wait_dscnt 0x0
	v_pk_mul_f32 v[40:41], v[38:39], v[36:37] op_sel:[1,1] op_sel_hi:[0,1]
	s_delay_alu instid0(VALU_DEP_1) | instskip(SKIP_1) | instid1(VALU_DEP_2)
	v_pk_fma_f32 v[98:99], v[38:39], v[36:37], v[40:41] op_sel_hi:[1,0,1]
	v_pk_fma_f32 v[36:37], v[38:39], v[36:37], v[40:41] neg_lo:[0,0,1] neg_hi:[0,0,1]
	v_mov_b32_e32 v37, v99
	s_delay_alu instid0(VALU_DEP_1)
	v_pk_add_f32 v[34:35], v[34:35], v[36:37]
.LBB168_953:                            ;   in Loop: Header=BB168_3 Depth=1
	s_or_b32 exec_lo, exec_lo, s51
	s_barrier_signal -1
	s_barrier_wait -1
	s_and_saveexec_b32 s51, s94
	s_cbranch_execz .LBB168_955
; %bb.954:                              ;   in Loop: Header=BB168_3 Depth=1
	ds_load_b64 v[36:37], v5 offset:30680
	s_wait_dscnt 0x0
	v_pk_mul_f32 v[38:39], v[34:35], v[36:37] op_sel:[1,1] op_sel_hi:[1,0]
	s_delay_alu instid0(VALU_DEP_1) | instskip(SKIP_1) | instid1(VALU_DEP_2)
	v_pk_fma_f32 v[40:41], v[34:35], v[36:37], v[38:39] op_sel_hi:[0,1,1]
	v_pk_fma_f32 v[36:37], v[34:35], v[36:37], v[38:39] neg_lo:[0,0,1] neg_hi:[0,0,1]
	v_mov_b32_e32 v37, v41
	s_delay_alu instid0(VALU_DEP_1)
	v_mov_b64_e32 v[34:35], v[36:37]
	ds_store_b64 v3, v[36:37]
.LBB168_955:                            ;   in Loop: Header=BB168_3 Depth=1
	s_or_b32 exec_lo, exec_lo, s51
	s_wait_dscnt 0x0
	s_barrier_signal -1
	s_barrier_wait -1
	s_barrier_signal -1
	s_barrier_wait -1
	s_and_saveexec_b32 s51, s3
; %bb.956:                              ;   in Loop: Header=BB168_3 Depth=1
	v_pk_add_f32 v[34:35], v[34:35], 0 neg_lo:[1,1] neg_hi:[1,1]
	ds_store_b64 v44, v[34:35] offset:29136
; %bb.957:                              ;   in Loop: Header=BB168_3 Depth=1
	s_or_b32 exec_lo, exec_lo, s51
	s_wait_dscnt 0x0
	s_barrier_signal -1
	s_barrier_wait -1
	s_barrier_signal -1
	s_barrier_wait -1
	s_and_saveexec_b32 s51, s95
	s_cbranch_execz .LBB168_959
; %bb.958:                              ;   in Loop: Header=BB168_3 Depth=1
	ds_load_b64 v[34:35], v74 offset:29136
	s_wait_dscnt 0x0
	ds_store_b64 v73, v[34:35] offset:30144
	ds_load_b64 v[34:35], v74 offset:29144
	s_wait_dscnt 0x0
	ds_store_b64 v73, v[34:35] offset:30656
.LBB168_959:                            ;   in Loop: Header=BB168_3 Depth=1
	s_or_b32 exec_lo, exec_lo, s51
	s_wait_dscnt 0x0
	s_barrier_signal -1
	s_barrier_wait -1
	s_and_saveexec_b32 s51, s14
	s_cbranch_execz .LBB168_961
; %bb.960:                              ;   in Loop: Header=BB168_3 Depth=1
	ds_load_b128 v[34:37], v5 offset:30160
	ds_load_b64 v[38:39], v5 offset:30680
	s_wait_dscnt 0x1
	v_dual_mov_b32 v98, v37 :: v_dual_mov_b32 v99, v36
	s_wait_dscnt 0x0
	v_dual_mul_f32 v41, v39, v35 :: v_dual_mul_f32 v40, v38, v35
	s_delay_alu instid0(VALU_DEP_1) | instskip(NEXT) | instid1(VALU_DEP_1)
	v_xor_b32_e32 v42, 0x80000000, v41
	v_dual_fmac_f32 v40, v39, v34 :: v_dual_fmac_f32 v42, v38, v34
	s_delay_alu instid0(VALU_DEP_1) | instskip(NEXT) | instid1(VALU_DEP_1)
	v_pk_mul_f32 v[34:35], v[40:41], v[98:99] op_sel_hi:[0,1]
	v_pk_fma_f32 v[38:39], v[42:43], v[36:37], v[34:35] op_sel_hi:[0,1,1]
	v_pk_fma_f32 v[34:35], v[42:43], v[36:37], v[34:35] neg_lo:[0,0,1] neg_hi:[0,0,1]
	v_add_nc_u32_e64 v36, 0x7000, 0
	s_delay_alu instid0(VALU_DEP_3)
	v_mov_b32_e32 v35, v39
	ds_store_2addr_b64 v36, v[34:35], v[34:35] offset0:187 offset1:250
.LBB168_961:                            ;   in Loop: Header=BB168_3 Depth=1
	s_or_b32 exec_lo, exec_lo, s51
	v_mov_b32_e32 v34, 0
	s_wait_dscnt 0x0
	s_barrier_signal -1
	s_barrier_wait -1
	s_delay_alu instid0(VALU_DEP_1)
	v_mov_b32_e32 v35, v34
	s_and_saveexec_b32 s51, s5
	s_cbranch_execz .LBB168_967
; %bb.962:                              ;   in Loop: Header=BB168_3 Depth=1
	ds_load_b64 v[34:35], v51 offset:29152
	ds_load_b64 v[36:37], v47 offset:29120
	s_wait_dscnt 0x0
	v_pk_mul_f32 v[38:39], v[36:37], v[34:35] op_sel:[0,1]
	s_delay_alu instid0(VALU_DEP_1) | instskip(SKIP_1) | instid1(VALU_DEP_2)
	v_pk_fma_f32 v[40:41], v[36:37], v[34:35], v[38:39] op_sel:[1,0,0] op_sel_hi:[0,0,1] neg_lo:[0,0,1] neg_hi:[0,0,1]
	v_pk_fma_f32 v[34:35], v[36:37], v[34:35], v[38:39] op_sel:[1,0,0] op_sel_hi:[0,1,1]
	v_mov_b32_e32 v35, v41
	s_delay_alu instid0(VALU_DEP_1)
	v_pk_add_f32 v[34:35], v[34:35], 0 op_sel_hi:[1,0]
	s_and_saveexec_b32 s52, s17
	s_cbranch_execnz .LBB168_1172
; %bb.963:                              ;   in Loop: Header=BB168_3 Depth=1
	s_or_b32 exec_lo, exec_lo, s52
	s_and_saveexec_b32 s52, s18
	s_cbranch_execnz .LBB168_1173
.LBB168_964:                            ;   in Loop: Header=BB168_3 Depth=1
	s_or_b32 exec_lo, exec_lo, s52
	s_and_saveexec_b32 s52, s3
	s_cbranch_execz .LBB168_966
.LBB168_965:                            ;   in Loop: Header=BB168_3 Depth=1
	ds_load_b64 v[36:37], v76 offset:30688
	ds_load_b64 v[38:39], v5 offset:29144
	s_wait_dscnt 0x0
	v_pk_mul_f32 v[40:41], v[38:39], v[36:37] op_sel:[0,1]
	s_delay_alu instid0(VALU_DEP_1) | instskip(SKIP_1) | instid1(VALU_DEP_2)
	v_pk_fma_f32 v[98:99], v[38:39], v[36:37], v[40:41] op_sel:[1,0,0] op_sel_hi:[0,0,1] neg_lo:[0,0,1] neg_hi:[0,0,1]
	v_pk_fma_f32 v[36:37], v[38:39], v[36:37], v[40:41] op_sel:[1,0,0] op_sel_hi:[0,1,1]
	v_mov_b32_e32 v37, v99
	s_delay_alu instid0(VALU_DEP_1)
	v_pk_add_f32 v[34:35], v[34:35], v[36:37]
.LBB168_966:                            ;   in Loop: Header=BB168_3 Depth=1
	s_or_b32 exec_lo, exec_lo, s52
	s_delay_alu instid0(VALU_DEP_1) | instskip(NEXT) | instid1(VALU_DEP_1)
	v_pk_add_f32 v[36:37], v[34:35], 0 neg_lo:[1,1] neg_hi:[1,1]
	v_dual_mov_b32 v34, v37 :: v_dual_mov_b32 v35, v36
.LBB168_967:                            ;   in Loop: Header=BB168_3 Depth=1
	s_or_b32 exec_lo, exec_lo, s51
	s_and_saveexec_b32 s51, s96
	s_cbranch_execz .LBB168_969
; %bb.968:                              ;   in Loop: Header=BB168_3 Depth=1
	ds_load_b64 v[36:37], v5 offset:31200
	v_dual_mov_b32 v38, v35 :: v_dual_mov_b32 v39, v34
	s_wait_dscnt 0x0
	s_delay_alu instid0(VALU_DEP_1) | instskip(NEXT) | instid1(VALU_DEP_1)
	v_dual_mul_f32 v40, v38, v36 :: v_dual_mul_f32 v42, v35, v37
	v_pk_fma_f32 v[38:39], v[38:39], v[36:37], v[40:41] op_sel_hi:[1,1,0]
	s_delay_alu instid0(VALU_DEP_2) | instskip(NEXT) | instid1(VALU_DEP_2)
	v_pk_fma_f32 v[34:35], v[34:35], v[36:37], v[42:43] op_sel_hi:[1,1,0] neg_lo:[0,0,1] neg_hi:[0,0,1]
	v_mov_b32_e32 v35, v39
	ds_store_b64 v50, v[34:35]
.LBB168_969:                            ;   in Loop: Header=BB168_3 Depth=1
	s_or_b32 exec_lo, exec_lo, s51
	s_wait_dscnt 0x0
	s_barrier_signal -1
	s_barrier_wait -1
	s_and_saveexec_b32 s51, s97
	s_cbranch_execz .LBB168_971
; %bb.970:                              ;   in Loop: Header=BB168_3 Depth=1
	ds_load_b64 v[36:37], v48 offset:31200
	ds_load_b64 v[38:39], v50
	s_wait_dscnt 0x0
	v_dual_mul_f32 v40, v39, v37 :: v_dual_mul_f32 v41, v38, v37
	s_delay_alu instid0(VALU_DEP_1) | instskip(NEXT) | instid1(VALU_DEP_1)
	v_dual_fma_f32 v40, v38, v36, -v40 :: v_dual_fmac_f32 v41, v39, v36
	v_pk_add_f32 v[34:35], v[34:35], v[40:41]
.LBB168_971:                            ;   in Loop: Header=BB168_3 Depth=1
	s_or_b32 exec_lo, exec_lo, s51
	s_barrier_signal -1
	s_barrier_wait -1
	s_and_saveexec_b32 s51, s98
	s_cbranch_execz .LBB168_973
; %bb.972:                              ;   in Loop: Header=BB168_3 Depth=1
	ds_load_b64 v[36:37], v5 offset:31720
	s_wait_dscnt 0x0
	v_pk_mul_f32 v[38:39], v[34:35], v[36:37] op_sel:[1,1] op_sel_hi:[1,0]
	s_delay_alu instid0(VALU_DEP_1) | instskip(SKIP_1) | instid1(VALU_DEP_2)
	v_pk_fma_f32 v[40:41], v[34:35], v[36:37], v[38:39] op_sel_hi:[0,1,1]
	v_pk_fma_f32 v[36:37], v[34:35], v[36:37], v[38:39] neg_lo:[0,0,1] neg_hi:[0,0,1]
	v_mov_b32_e32 v37, v41
	s_delay_alu instid0(VALU_DEP_1)
	v_mov_b64_e32 v[34:35], v[36:37]
	ds_store_b64 v50, v[36:37]
.LBB168_973:                            ;   in Loop: Header=BB168_3 Depth=1
	s_or_b32 exec_lo, exec_lo, s51
	s_wait_dscnt 0x0
	s_barrier_signal -1
	s_barrier_wait -1
	s_and_saveexec_b32 s51, s99
	s_cbranch_execz .LBB168_975
; %bb.974:                              ;   in Loop: Header=BB168_3 Depth=1
	ds_load_b64 v[36:37], v48 offset:31712
	ds_load_b64 v[38:39], v50
	s_wait_dscnt 0x0
	v_pk_mul_f32 v[40:41], v[38:39], v[36:37] op_sel:[1,1] op_sel_hi:[0,1]
	s_delay_alu instid0(VALU_DEP_1) | instskip(SKIP_1) | instid1(VALU_DEP_2)
	v_pk_fma_f32 v[98:99], v[38:39], v[36:37], v[40:41] op_sel_hi:[1,0,1]
	v_pk_fma_f32 v[36:37], v[38:39], v[36:37], v[40:41] neg_lo:[0,0,1] neg_hi:[0,0,1]
	v_mov_b32_e32 v37, v99
	s_delay_alu instid0(VALU_DEP_1)
	v_pk_add_f32 v[34:35], v[34:35], v[36:37]
.LBB168_975:                            ;   in Loop: Header=BB168_3 Depth=1
	s_or_b32 exec_lo, exec_lo, s51
	s_barrier_signal -1
	s_barrier_wait -1
	s_and_saveexec_b32 s51, s100
	s_cbranch_execz .LBB168_977
; %bb.976:                              ;   in Loop: Header=BB168_3 Depth=1
	ds_load_b64 v[36:37], v5 offset:32240
	s_wait_dscnt 0x0
	v_pk_mul_f32 v[38:39], v[34:35], v[36:37] op_sel:[1,1] op_sel_hi:[1,0]
	s_delay_alu instid0(VALU_DEP_1) | instskip(SKIP_1) | instid1(VALU_DEP_2)
	v_pk_fma_f32 v[40:41], v[34:35], v[36:37], v[38:39] op_sel_hi:[0,1,1]
	v_pk_fma_f32 v[36:37], v[34:35], v[36:37], v[38:39] neg_lo:[0,0,1] neg_hi:[0,0,1]
	v_mov_b32_e32 v37, v41
	s_delay_alu instid0(VALU_DEP_1)
	v_mov_b64_e32 v[34:35], v[36:37]
	ds_store_b64 v50, v[36:37]
.LBB168_977:                            ;   in Loop: Header=BB168_3 Depth=1
	s_or_b32 exec_lo, exec_lo, s51
	s_wait_dscnt 0x0
	s_barrier_signal -1
	s_barrier_wait -1
	s_and_saveexec_b32 s51, s101
	s_cbranch_execz .LBB168_979
; %bb.978:                              ;   in Loop: Header=BB168_3 Depth=1
	ds_load_b64 v[36:37], v5 offset:32248
	ds_load_b64 v[38:39], v50
	s_wait_dscnt 0x0
	v_pk_mul_f32 v[40:41], v[38:39], v[36:37] op_sel:[1,1] op_sel_hi:[0,1]
	s_delay_alu instid0(VALU_DEP_1) | instskip(SKIP_1) | instid1(VALU_DEP_2)
	v_pk_fma_f32 v[98:99], v[38:39], v[36:37], v[40:41] op_sel_hi:[1,0,1]
	v_pk_fma_f32 v[36:37], v[38:39], v[36:37], v[40:41] neg_lo:[0,0,1] neg_hi:[0,0,1]
	v_mov_b32_e32 v37, v99
	s_delay_alu instid0(VALU_DEP_1)
	v_pk_add_f32 v[34:35], v[34:35], v[36:37]
.LBB168_979:                            ;   in Loop: Header=BB168_3 Depth=1
	s_or_b32 exec_lo, exec_lo, s51
	s_barrier_signal -1
	s_barrier_wait -1
	s_and_saveexec_b32 s51, s101
	s_cbranch_execz .LBB168_981
; %bb.980:                              ;   in Loop: Header=BB168_3 Depth=1
	ds_load_b64 v[36:37], v5 offset:32760
	s_wait_dscnt 0x0
	v_pk_mul_f32 v[38:39], v[34:35], v[36:37] op_sel:[1,1] op_sel_hi:[1,0]
	s_delay_alu instid0(VALU_DEP_1) | instskip(SKIP_1) | instid1(VALU_DEP_2)
	v_pk_fma_f32 v[40:41], v[34:35], v[36:37], v[38:39] op_sel_hi:[0,1,1]
	v_pk_fma_f32 v[36:37], v[34:35], v[36:37], v[38:39] neg_lo:[0,0,1] neg_hi:[0,0,1]
	v_mov_b32_e32 v37, v41
	s_delay_alu instid0(VALU_DEP_1)
	v_mov_b64_e32 v[34:35], v[36:37]
	ds_store_b64 v50, v[36:37]
.LBB168_981:                            ;   in Loop: Header=BB168_3 Depth=1
	s_or_b32 exec_lo, exec_lo, s51
	s_wait_dscnt 0x0
	s_barrier_signal -1
	s_barrier_wait -1
	s_barrier_signal -1
	s_barrier_wait -1
	s_and_saveexec_b32 s51, s5
; %bb.982:                              ;   in Loop: Header=BB168_3 Depth=1
	v_pk_add_f32 v[34:35], v[34:35], 0 neg_lo:[1,1] neg_hi:[1,1]
	ds_store_b64 v51, v[34:35] offset:29152
; %bb.983:                              ;   in Loop: Header=BB168_3 Depth=1
	s_or_b32 exec_lo, exec_lo, s51
	s_wait_dscnt 0x0
	s_barrier_signal -1
	s_barrier_wait -1
	s_barrier_signal -1
	s_barrier_wait -1
	s_and_saveexec_b32 s51, s102
	s_cbranch_execz .LBB168_985
; %bb.984:                              ;   in Loop: Header=BB168_3 Depth=1
	ds_load_b64 v[34:35], v77 offset:29152
	s_wait_dscnt 0x0
	ds_store_b64 v80, v[34:35] offset:31168
	ds_load_b64 v[34:35], v77 offset:29160
	s_wait_dscnt 0x0
	ds_store_b64 v80, v[34:35] offset:31680
	;; [unrolled: 3-line block ×4, first 2 shown]
.LBB168_985:                            ;   in Loop: Header=BB168_3 Depth=1
	s_or_b32 exec_lo, exec_lo, s51
	s_wait_dscnt 0x0
	s_barrier_signal -1
	s_barrier_wait -1
	s_and_saveexec_b32 s51, s14
	s_cbranch_execz .LBB168_987
; %bb.986:                              ;   in Loop: Header=BB168_3 Depth=1
	ds_load_b128 v[34:37], v5 offset:31200
	ds_load_b64 v[38:39], v5 offset:31720
	s_wait_dscnt 0x1
	v_dual_mov_b32 v98, v37 :: v_dual_mov_b32 v99, v36
	s_wait_dscnt 0x0
	v_dual_mul_f32 v41, v39, v35 :: v_dual_mul_f32 v40, v38, v35
	s_delay_alu instid0(VALU_DEP_1) | instskip(NEXT) | instid1(VALU_DEP_1)
	v_xor_b32_e32 v42, 0x80000000, v41
	v_dual_fmac_f32 v40, v39, v34 :: v_dual_fmac_f32 v42, v38, v34
	s_delay_alu instid0(VALU_DEP_1) | instskip(NEXT) | instid1(VALU_DEP_1)
	v_pk_mul_f32 v[34:35], v[40:41], v[98:99] op_sel_hi:[0,1]
	v_pk_fma_f32 v[38:39], v[42:43], v[36:37], v[34:35] op_sel_hi:[0,1,1]
	v_pk_fma_f32 v[34:35], v[42:43], v[36:37], v[34:35] neg_lo:[0,0,1] neg_hi:[0,0,1]
	v_add_nc_u32_e64 v36, 0x7800, 0
	s_delay_alu instid0(VALU_DEP_3)
	v_mov_b32_e32 v35, v39
	ds_store_2addr_b64 v36, v[34:35], v[34:35] offset0:61 offset1:124
.LBB168_987:                            ;   in Loop: Header=BB168_3 Depth=1
	s_or_b32 exec_lo, exec_lo, s51
	v_mov_b32_e32 v35, 0
	s_wait_dscnt 0x0
	s_barrier_signal -1
	s_barrier_wait -1
	s_delay_alu instid0(VALU_DEP_1)
	v_mov_b32_e32 v34, v35
	s_and_saveexec_b32 s51, s3
	s_cbranch_execz .LBB168_991
; %bb.988:                              ;   in Loop: Header=BB168_3 Depth=1
	ds_load_b64 v[34:35], v44 offset:31216
	ds_load_b64 v[36:37], v45 offset:31200
	s_wait_dscnt 0x0
	v_dual_mul_f32 v38, v37, v35 :: v_dual_mul_f32 v39, v36, v35
	s_delay_alu instid0(VALU_DEP_1) | instskip(NEXT) | instid1(VALU_DEP_1)
	v_dual_fma_f32 v38, v36, v34, -v38 :: v_dual_fmac_f32 v39, v37, v34
	v_pk_add_f32 v[34:35], v[38:39], 0 op_sel_hi:[1,0]
	s_and_saveexec_b32 s52, s16
	s_cbranch_execz .LBB168_990
; %bb.989:                              ;   in Loop: Header=BB168_3 Depth=1
	ds_load_b64 v[36:37], v80 offset:31728
	ds_load_b64 v[38:39], v5 offset:31208
	s_wait_dscnt 0x0
	v_pk_mul_f32 v[40:41], v[38:39], v[36:37] op_sel:[1,1] op_sel_hi:[0,1]
	s_delay_alu instid0(VALU_DEP_1) | instskip(SKIP_1) | instid1(VALU_DEP_2)
	v_pk_fma_f32 v[98:99], v[38:39], v[36:37], v[40:41] op_sel_hi:[1,0,1]
	v_pk_fma_f32 v[36:37], v[38:39], v[36:37], v[40:41] neg_lo:[0,0,1] neg_hi:[0,0,1]
	v_mov_b32_e32 v37, v99
	s_delay_alu instid0(VALU_DEP_1)
	v_pk_add_f32 v[34:35], v[34:35], v[36:37]
.LBB168_990:                            ;   in Loop: Header=BB168_3 Depth=1
	s_or_b32 exec_lo, exec_lo, s52
	s_delay_alu instid0(VALU_DEP_1)
	v_pk_add_f32 v[34:35], v[34:35], 0 neg_lo:[1,1] neg_hi:[1,1]
.LBB168_991:                            ;   in Loop: Header=BB168_3 Depth=1
	s_or_b32 exec_lo, exec_lo, s51
	s_and_saveexec_b32 s51, s93
	s_cbranch_execz .LBB168_993
; %bb.992:                              ;   in Loop: Header=BB168_3 Depth=1
	ds_load_b64 v[36:37], v5 offset:32240
	s_wait_dscnt 0x0
	v_pk_mul_f32 v[38:39], v[34:35], v[36:37] op_sel:[1,1] op_sel_hi:[1,0]
	s_delay_alu instid0(VALU_DEP_1) | instskip(SKIP_1) | instid1(VALU_DEP_2)
	v_pk_fma_f32 v[40:41], v[34:35], v[36:37], v[38:39] op_sel_hi:[0,1,1]
	v_pk_fma_f32 v[36:37], v[34:35], v[36:37], v[38:39] neg_lo:[0,0,1] neg_hi:[0,0,1]
	v_mov_b32_e32 v37, v41
	s_delay_alu instid0(VALU_DEP_1)
	v_mov_b64_e32 v[34:35], v[36:37]
	ds_store_b64 v3, v[36:37]
.LBB168_993:                            ;   in Loop: Header=BB168_3 Depth=1
	s_or_b32 exec_lo, exec_lo, s51
	s_wait_dscnt 0x0
	s_barrier_signal -1
	s_barrier_wait -1
	s_and_saveexec_b32 s51, s94
	s_cbranch_execz .LBB168_995
; %bb.994:                              ;   in Loop: Header=BB168_3 Depth=1
	ds_load_b64 v[36:37], v5 offset:32248
	ds_load_b64 v[38:39], v3
	s_wait_dscnt 0x0
	v_pk_mul_f32 v[40:41], v[38:39], v[36:37] op_sel:[1,1] op_sel_hi:[0,1]
	s_delay_alu instid0(VALU_DEP_1) | instskip(SKIP_1) | instid1(VALU_DEP_2)
	v_pk_fma_f32 v[98:99], v[38:39], v[36:37], v[40:41] op_sel_hi:[1,0,1]
	v_pk_fma_f32 v[36:37], v[38:39], v[36:37], v[40:41] neg_lo:[0,0,1] neg_hi:[0,0,1]
	v_mov_b32_e32 v37, v99
	s_delay_alu instid0(VALU_DEP_1)
	v_pk_add_f32 v[34:35], v[34:35], v[36:37]
.LBB168_995:                            ;   in Loop: Header=BB168_3 Depth=1
	s_or_b32 exec_lo, exec_lo, s51
	s_barrier_signal -1
	s_barrier_wait -1
	s_and_saveexec_b32 s51, s94
	s_cbranch_execz .LBB168_997
; %bb.996:                              ;   in Loop: Header=BB168_3 Depth=1
	ds_load_b64 v[36:37], v5 offset:32760
	s_wait_dscnt 0x0
	v_pk_mul_f32 v[38:39], v[34:35], v[36:37] op_sel:[1,1] op_sel_hi:[1,0]
	s_delay_alu instid0(VALU_DEP_1) | instskip(SKIP_1) | instid1(VALU_DEP_2)
	v_pk_fma_f32 v[40:41], v[34:35], v[36:37], v[38:39] op_sel_hi:[0,1,1]
	v_pk_fma_f32 v[36:37], v[34:35], v[36:37], v[38:39] neg_lo:[0,0,1] neg_hi:[0,0,1]
	v_mov_b32_e32 v37, v41
	s_delay_alu instid0(VALU_DEP_1)
	v_mov_b64_e32 v[34:35], v[36:37]
	ds_store_b64 v3, v[36:37]
.LBB168_997:                            ;   in Loop: Header=BB168_3 Depth=1
	s_or_b32 exec_lo, exec_lo, s51
	s_wait_dscnt 0x0
	s_barrier_signal -1
	s_barrier_wait -1
	s_barrier_signal -1
	s_barrier_wait -1
	s_and_saveexec_b32 s51, s3
; %bb.998:                              ;   in Loop: Header=BB168_3 Depth=1
	v_pk_add_f32 v[34:35], v[34:35], 0 neg_lo:[1,1] neg_hi:[1,1]
	ds_store_b64 v44, v[34:35] offset:31216
; %bb.999:                              ;   in Loop: Header=BB168_3 Depth=1
	s_or_b32 exec_lo, exec_lo, s51
	s_wait_dscnt 0x0
	s_barrier_signal -1
	s_barrier_wait -1
	s_barrier_signal -1
	s_barrier_wait -1
	s_and_saveexec_b32 s51, s95
	s_cbranch_execz .LBB168_1001
; %bb.1000:                             ;   in Loop: Header=BB168_3 Depth=1
	ds_load_b64 v[34:35], v82 offset:31216
	s_wait_dscnt 0x0
	ds_store_b64 v80, v[34:35] offset:32224
	ds_load_b64 v[34:35], v82 offset:31224
	s_wait_dscnt 0x0
	ds_store_b64 v80, v[34:35] offset:32736
.LBB168_1001:                           ;   in Loop: Header=BB168_3 Depth=1
	s_or_b32 exec_lo, exec_lo, s51
	s_wait_dscnt 0x0
	s_barrier_signal -1
	s_barrier_wait -1
	s_and_saveexec_b32 s51, s14
	s_cbranch_execz .LBB168_1003
; %bb.1002:                             ;   in Loop: Header=BB168_3 Depth=1
	ds_load_b128 v[34:37], v5 offset:32240
	ds_load_b64 v[38:39], v5 offset:32760
	s_wait_dscnt 0x1
	v_dual_mov_b32 v98, v37 :: v_dual_mov_b32 v99, v36
	s_wait_dscnt 0x0
	v_dual_mul_f32 v41, v39, v35 :: v_dual_mul_f32 v40, v38, v35
	s_delay_alu instid0(VALU_DEP_1) | instskip(NEXT) | instid1(VALU_DEP_1)
	v_xor_b32_e32 v42, 0x80000000, v41
	v_dual_fmac_f32 v40, v39, v34 :: v_dual_fmac_f32 v42, v38, v34
	s_delay_alu instid0(VALU_DEP_1) | instskip(NEXT) | instid1(VALU_DEP_1)
	v_pk_mul_f32 v[34:35], v[40:41], v[98:99] op_sel_hi:[0,1]
	v_pk_fma_f32 v[38:39], v[42:43], v[36:37], v[34:35] op_sel_hi:[0,1,1]
	v_pk_fma_f32 v[34:35], v[42:43], v[36:37], v[34:35] neg_lo:[0,0,1] neg_hi:[0,0,1]
	v_add_nc_u32_e64 v36, 0x7800, 0
	s_delay_alu instid0(VALU_DEP_3)
	v_mov_b32_e32 v35, v39
	ds_store_2addr_b64 v36, v[34:35], v[34:35] offset0:191 offset1:254
.LBB168_1003:                           ;   in Loop: Header=BB168_3 Depth=1
	s_or_b32 exec_lo, exec_lo, s51
.LBB168_1004:                           ;   in Loop: Header=BB168_3 Depth=1
	v_add_nc_u64_e32 v[32:33], s[74:75], v[32:33]
	v_mov_b64_e32 v[34:35], 0
	s_wait_dscnt 0x0
	s_barrier_signal -1
	s_barrier_wait -1
	s_and_saveexec_b32 s51, s31
	s_cbranch_execz .LBB168_1006
; %bb.1005:                             ;   in Loop: Header=BB168_3 Depth=1
	v_lshl_add_u64 v[34:35], v[0:1], 3, v[32:33]
	v_readlane_b32 s52, v108, 26
	v_readlane_b32 s53, v108, 27
	flat_load_b64 v[34:35], v[34:35]
	v_mov_b64_e32 v[36:37], s[52:53]
	v_readlane_b32 s52, v108, 28
	v_readlane_b32 s53, v108, 29
	s_delay_alu instid0(VALU_DEP_1) | instskip(SKIP_1) | instid1(VALU_DEP_4)
	v_mov_b64_e32 v[38:39], s[52:53]
	s_wait_loadcnt_dscnt 0x0
	v_pk_mul_f32 v[36:37], v[36:37], v[34:35]
	s_delay_alu instid0(VALU_DEP_1)
	v_pk_fma_f32 v[34:35], v[38:39], v[34:35], v[36:37] op_sel:[0,0,1] op_sel_hi:[1,1,0] neg_lo:[1,0,0] neg_hi:[1,0,0]
.LBB168_1006:                           ;   in Loop: Header=BB168_3 Depth=1
	s_or_b32 exec_lo, exec_lo, s51
	s_delay_alu instid0(SALU_CYCLE_1)
	s_and_not1_b32 vcc_lo, exec_lo, s34
	s_cbranch_vccnz .LBB168_1041
; %bb.1007:                             ;   in Loop: Header=BB168_3 Depth=1
	v_mov_b32_e32 v97, -1
	s_lshl_b64 s[52:53], s[66:67], 2
	s_mov_b32 s51, 0
	s_add_nc_u64 s[86:87], s[82:83], s[52:53]
	s_branch .LBB168_1010
.LBB168_1008:                           ;   in Loop: Header=BB168_1010 Depth=2
	s_wait_xcnt 0x0
	ds_load_b64 v[36:37], v83 offset:384
	s_wait_loadcnt_dscnt 0x0
	v_pk_mul_f32 v[40:41], v[40:41], v[36:37] op_sel:[0,1] op_sel_hi:[0,0]
	s_delay_alu instid0(VALU_DEP_1) | instskip(SKIP_1) | instid1(VALU_DEP_2)
	v_pk_fma_f32 v[98:99], v[38:39], v[36:37], v[40:41] op_sel_hi:[0,1,1] neg_lo:[0,0,1] neg_hi:[0,0,1]
	v_pk_fma_f32 v[36:37], v[38:39], v[36:37], v[40:41]
	v_mov_b32_e32 v37, v99
	s_delay_alu instid0(VALU_DEP_1)
	v_pk_add_f32 v[34:35], v[34:35], v[36:37]
.LBB168_1009:                           ;   in Loop: Header=BB168_1010 Depth=2
	s_or_b32 exec_lo, exec_lo, s52
	s_add_co_i32 s51, s51, 1
	s_delay_alu instid0(SALU_CYCLE_1)
	s_cmp_eq_u32 s51, s88
	s_cbranch_scc1 .LBB168_1041
.LBB168_1010:                           ;   Parent Loop BB168_3 Depth=1
                                        ; =>  This Loop Header: Depth=2
                                        ;       Child Loop BB168_1012 Depth 3
	v_cmp_gt_i32_e32 vcc_lo, s51, v97
	s_and_b32 s53, s37, vcc_lo
	s_delay_alu instid0(SALU_CYCLE_1)
	s_and_saveexec_b32 s52, s53
	s_cbranch_execz .LBB168_1013
; %bb.1011:                             ;   in Loop: Header=BB168_1010 Depth=2
	global_load_b32 v97, v5, s[86:87]
	s_wait_loadcnt 0x0
	v_cmp_le_i32_e32 vcc_lo, s51, v97
	s_cbranch_vccnz .LBB168_1013
.LBB168_1012:                           ;   Parent Loop BB168_3 Depth=1
                                        ;     Parent Loop BB168_1010 Depth=2
                                        ; =>    This Inner Loop Header: Depth=3
	global_wb scope:SCOPE_DEV
	s_wait_storecnt 0x0
	global_inv scope:SCOPE_DEV
	global_load_b32 v97, v5, s[86:87]
	s_wait_loadcnt 0x0
	v_cmp_gt_i32_e32 vcc_lo, s51, v97
	s_cbranch_vccnz .LBB168_1012
.LBB168_1013:                           ;   in Loop: Header=BB168_1010 Depth=2
	s_or_b32 exec_lo, exec_lo, s52
	s_sub_co_i32 s52, s89, s51
	global_wb scope:SCOPE_DEV
	s_wait_storecnt 0x0
	global_inv scope:SCOPE_DEV
	s_lshl_b32 s53, s52, 6
	s_wait_loadcnt 0x0
	s_barrier_signal -1
	s_barrier_wait -1
	s_and_saveexec_b32 s54, s38
	s_cbranch_execz .LBB168_1018
; %bb.1014:                             ;   in Loop: Header=BB168_1010 Depth=2
	s_ashr_i32 vcc_lo, s53, 31
	s_delay_alu instid0(SALU_CYCLE_1) | instskip(NEXT) | instid1(VALU_DEP_1)
	v_dual_mov_b32 v37, vcc_lo :: v_dual_bitop2_b32 v36, s53, v4 bitop3:0x54
	v_cmp_le_i64_e32 vcc_lo, s[76:77], v[36:37]
	s_and_saveexec_b32 s55, vcc_lo
	s_delay_alu instid0(SALU_CYCLE_1)
	s_xor_b32 vcc_lo, exec_lo, s55
; %bb.1015:                             ;   in Loop: Header=BB168_1010 Depth=2
	ds_store_b64 v90, v[20:21]
                                        ; implicit-def: $vgpr36_vgpr37
; %bb.1016:                             ;   in Loop: Header=BB168_1010 Depth=2
	s_and_not1_saveexec_b32 s55, vcc_lo
	s_cbranch_execz .LBB168_1018
; %bb.1017:                             ;   in Loop: Header=BB168_1010 Depth=2
	v_mul_u64_e32 v[36:37], s[80:81], v[36:37]
	s_delay_alu instid0(VALU_DEP_1)
	v_lshl_add_u64 v[36:37], v[36:37], 3, v[32:33]
	flat_load_b64 v[36:37], v[36:37]
	s_wait_loadcnt_dscnt 0x0
	ds_store_b64 v90, v[36:37]
.LBB168_1018:                           ;   in Loop: Header=BB168_1010 Depth=2
	s_or_b32 exec_lo, exec_lo, s54
	v_add_nc_u32_e32 v38, s53, v43
	s_cmp_lg_u32 s52, s91
	s_wait_dscnt 0x0
	s_cselect_b32 s53, -1, 0
	s_barrier_signal -1
	v_ashrrev_i32_e32 v39, 31, v38
	v_cmp_gt_i32_e32 vcc_lo, s76, v38
	s_barrier_wait -1
	s_delay_alu instid0(VALU_DEP_2) | instskip(SKIP_2) | instid1(SALU_CYCLE_1)
	v_lshl_add_u64 v[36:37], v[38:39], 3, v[30:31]
	v_cndmask_b32_e64 v39, 0, 1, s53
	s_and_b32 s54, vcc_lo, s2
	s_and_saveexec_b32 s52, s54
	s_cbranch_execz .LBB168_1024
; %bb.1019:                             ;   in Loop: Header=BB168_1010 Depth=2
	v_mov_b32_e32 v40, v22
	s_and_not1_b32 vcc_lo, exec_lo, s53
	s_cbranch_vccnz .LBB168_1021
; %bb.1020:                             ;   in Loop: Header=BB168_1010 Depth=2
	flat_load_b32 v40, v[36:37]
.LBB168_1021:                           ;   in Loop: Header=BB168_1010 Depth=2
	v_cmp_ne_u32_e32 vcc_lo, 1, v39
	v_mov_b32_e32 v42, v23
	s_cbranch_vccnz .LBB168_1023
; %bb.1022:                             ;   in Loop: Header=BB168_1010 Depth=2
	flat_load_b32 v42, v[36:37] offset:4
.LBB168_1023:                           ;   in Loop: Header=BB168_1010 Depth=2
	ds_load_b64 v[98:99], v83
	s_wait_loadcnt_dscnt 0x0
	v_pk_mul_f32 v[100:101], v[42:43], v[98:99] op_sel:[0,1] op_sel_hi:[0,0]
	s_delay_alu instid0(VALU_DEP_1) | instskip(SKIP_1) | instid1(VALU_DEP_2)
	v_pk_fma_f32 v[102:103], v[40:41], v[98:99], v[100:101] op_sel_hi:[0,1,1] neg_lo:[0,0,1] neg_hi:[0,0,1]
	v_pk_fma_f32 v[40:41], v[40:41], v[98:99], v[100:101]
	v_mov_b32_e32 v41, v103
	s_delay_alu instid0(VALU_DEP_1)
	v_pk_add_f32 v[34:35], v[34:35], v[40:41]
.LBB168_1024:                           ;   in Loop: Header=BB168_1010 Depth=2
	s_or_b32 exec_lo, exec_lo, s52
	v_add_nc_u32_e32 v40, 16, v38
	s_delay_alu instid0(VALU_DEP_1) | instskip(SKIP_1) | instid1(SALU_CYCLE_1)
	v_cmp_gt_i32_e32 vcc_lo, s76, v40
	s_and_b32 s53, vcc_lo, s2
	s_and_saveexec_b32 s52, s53
	s_cbranch_execz .LBB168_1030
; %bb.1025:                             ;   in Loop: Header=BB168_1010 Depth=2
	v_cmp_ne_u32_e32 vcc_lo, 1, v39
	v_mov_b32_e32 v40, v24
	s_cbranch_vccnz .LBB168_1027
; %bb.1026:                             ;   in Loop: Header=BB168_1010 Depth=2
	flat_load_b32 v40, v[36:37] offset:128
.LBB168_1027:                           ;   in Loop: Header=BB168_1010 Depth=2
	v_cmp_ne_u32_e32 vcc_lo, 1, v39
	v_mov_b32_e32 v41, v25
	s_cbranch_vccnz .LBB168_1029
; %bb.1028:                             ;   in Loop: Header=BB168_1010 Depth=2
	flat_load_b32 v41, v[36:37] offset:132
.LBB168_1029:                           ;   in Loop: Header=BB168_1010 Depth=2
	ds_load_b64 v[98:99], v83 offset:128
	s_wait_loadcnt_dscnt 0x1
	v_dual_mov_b32 v100, v41 :: v_dual_mov_b32 v101, v40
	s_wait_dscnt 0x0
	v_dual_mul_f32 v42, v41, v98 :: v_dual_mul_f32 v102, v41, v99
	s_delay_alu instid0(VALU_DEP_1) | instskip(NEXT) | instid1(VALU_DEP_2)
	v_pk_fma_f32 v[100:101], v[100:101], v[98:99], v[42:43] op_sel_hi:[1,1,0] neg_lo:[0,0,1] neg_hi:[0,0,1]
	v_pk_fma_f32 v[40:41], v[40:41], v[98:99], v[102:103] op_sel_hi:[1,1,0]
	s_delay_alu instid0(VALU_DEP_2) | instskip(NEXT) | instid1(VALU_DEP_1)
	v_mov_b32_e32 v41, v101
	v_pk_add_f32 v[34:35], v[34:35], v[40:41]
.LBB168_1030:                           ;   in Loop: Header=BB168_1010 Depth=2
	s_or_b32 exec_lo, exec_lo, s52
	v_add_nc_u32_e32 v40, 32, v38
	s_delay_alu instid0(VALU_DEP_1) | instskip(SKIP_1) | instid1(SALU_CYCLE_1)
	v_cmp_gt_i32_e32 vcc_lo, s76, v40
	s_and_b32 s53, vcc_lo, s2
	s_and_saveexec_b32 s52, s53
	s_cbranch_execz .LBB168_1036
; %bb.1031:                             ;   in Loop: Header=BB168_1010 Depth=2
	v_cmp_ne_u32_e32 vcc_lo, 1, v39
	v_mov_b32_e32 v40, v26
	s_cbranch_vccnz .LBB168_1033
; %bb.1032:                             ;   in Loop: Header=BB168_1010 Depth=2
	flat_load_b32 v40, v[36:37] offset:256
.LBB168_1033:                           ;   in Loop: Header=BB168_1010 Depth=2
	v_cmp_ne_u32_e32 vcc_lo, 1, v39
	v_mov_b32_e32 v42, v27
	s_cbranch_vccnz .LBB168_1035
; %bb.1034:                             ;   in Loop: Header=BB168_1010 Depth=2
	flat_load_b32 v42, v[36:37] offset:260
.LBB168_1035:                           ;   in Loop: Header=BB168_1010 Depth=2
	ds_load_b64 v[98:99], v83 offset:256
	s_wait_loadcnt_dscnt 0x0
	v_pk_mul_f32 v[100:101], v[42:43], v[98:99] op_sel:[0,1] op_sel_hi:[0,0]
	s_delay_alu instid0(VALU_DEP_1) | instskip(SKIP_1) | instid1(VALU_DEP_2)
	v_pk_fma_f32 v[102:103], v[40:41], v[98:99], v[100:101] op_sel_hi:[0,1,1] neg_lo:[0,0,1] neg_hi:[0,0,1]
	v_pk_fma_f32 v[40:41], v[40:41], v[98:99], v[100:101]
	v_mov_b32_e32 v41, v103
	s_delay_alu instid0(VALU_DEP_1)
	v_pk_add_f32 v[34:35], v[34:35], v[40:41]
.LBB168_1036:                           ;   in Loop: Header=BB168_1010 Depth=2
	s_or_b32 exec_lo, exec_lo, s52
	v_add_nc_u32_e32 v38, 48, v38
	s_delay_alu instid0(VALU_DEP_1) | instskip(SKIP_1) | instid1(SALU_CYCLE_1)
	v_cmp_gt_i32_e32 vcc_lo, s76, v38
	s_and_b32 s53, vcc_lo, s2
	s_and_saveexec_b32 s52, s53
	s_cbranch_execz .LBB168_1009
; %bb.1037:                             ;   in Loop: Header=BB168_1010 Depth=2
	v_cmp_ne_u32_e32 vcc_lo, 1, v39
	v_mov_b32_e32 v38, v28
	s_cbranch_vccnz .LBB168_1039
; %bb.1038:                             ;   in Loop: Header=BB168_1010 Depth=2
	flat_load_b32 v38, v[36:37] offset:384
.LBB168_1039:                           ;   in Loop: Header=BB168_1010 Depth=2
	v_cmp_ne_u32_e32 vcc_lo, 1, v39
	v_mov_b32_e32 v40, v29
	s_cbranch_vccnz .LBB168_1008
; %bb.1040:                             ;   in Loop: Header=BB168_1010 Depth=2
	flat_load_b32 v40, v[36:37] offset:388
	s_branch .LBB168_1008
.LBB168_1041:                           ;   in Loop: Header=BB168_3 Depth=1
	ds_store_b64 v91, v[34:35]
	s_wait_dscnt 0x0
	s_barrier_signal -1
	s_barrier_wait -1
	s_and_saveexec_b32 s51, s4
	s_cbranch_execz .LBB168_1043
; %bb.1042:                             ;   in Loop: Header=BB168_3 Depth=1
	ds_load_2addr_stride64_b64 v[36:39], v92 offset0:1 offset1:2
	ds_load_2addr_stride64_b64 v[98:101], v92 offset0:3 offset1:4
	;; [unrolled: 1-line block ×3, first 2 shown]
	s_wait_dscnt 0x2
	v_pk_add_f32 v[30:31], v[34:35], v[36:37]
	ds_load_2addr_stride64_b64 v[34:37], v92 offset0:7 offset1:8
	v_pk_add_f32 v[30:31], v[30:31], v[38:39]
	ds_load_2addr_stride64_b64 v[38:41], v92 offset0:9 offset1:10
	s_wait_dscnt 0x3
	v_pk_add_f32 v[30:31], v[30:31], v[98:99]
	s_delay_alu instid0(VALU_DEP_1) | instskip(SKIP_3) | instid1(VALU_DEP_1)
	v_pk_add_f32 v[30:31], v[30:31], v[100:101]
	ds_load_2addr_stride64_b64 v[98:101], v92 offset0:11 offset1:12
	s_wait_dscnt 0x3
	v_pk_add_f32 v[30:31], v[30:31], v[102:103]
	v_pk_add_f32 v[30:31], v[30:31], v[104:105]
	s_wait_dscnt 0x2
	s_delay_alu instid0(VALU_DEP_1) | instskip(NEXT) | instid1(VALU_DEP_1)
	v_pk_add_f32 v[30:31], v[30:31], v[34:35]
	v_pk_add_f32 v[30:31], v[30:31], v[36:37]
	ds_load_2addr_stride64_b64 v[34:37], v92 offset0:13 offset1:14
	s_wait_dscnt 0x2
	v_pk_add_f32 v[30:31], v[30:31], v[38:39]
	ds_load_b64 v[38:39], v92 offset:7680
	v_pk_add_f32 v[30:31], v[30:31], v[40:41]
	s_wait_dscnt 0x2
	s_delay_alu instid0(VALU_DEP_1) | instskip(NEXT) | instid1(VALU_DEP_1)
	v_pk_add_f32 v[30:31], v[30:31], v[98:99]
	v_pk_add_f32 v[30:31], v[30:31], v[100:101]
	s_wait_dscnt 0x1
	s_delay_alu instid0(VALU_DEP_1) | instskip(NEXT) | instid1(VALU_DEP_1)
	v_pk_add_f32 v[30:31], v[30:31], v[34:35]
	;; [unrolled: 4-line block ×3, first 2 shown]
	v_cndmask_b32_e64 v35, -v31, 0, s29
	s_delay_alu instid0(VALU_DEP_2)
	v_cndmask_b32_e64 v34, -v30, 0, s29
.LBB168_1043:                           ;   in Loop: Header=BB168_3 Depth=1
	s_or_b32 exec_lo, exec_lo, s51
	s_delay_alu instid0(SALU_CYCLE_1)
	s_and_not1_b32 vcc_lo, exec_lo, s92
	s_cbranch_vccnz .LBB168_1053
; %bb.1044:                             ;   in Loop: Header=BB168_3 Depth=1
	s_and_saveexec_b32 s51, s4
; %bb.1045:                             ;   in Loop: Header=BB168_3 Depth=1
	ds_store_b64 v94, v[34:35]
; %bb.1046:                             ;   in Loop: Header=BB168_3 Depth=1
	s_or_b32 exec_lo, exec_lo, s51
	v_mov_b64_e32 v[30:31], 0
	s_wait_dscnt 0x0
	s_barrier_signal -1
	s_barrier_wait -1
	s_and_saveexec_b32 s51, s0
	s_cbranch_execnz .LBB168_1117
; %bb.1047:                             ;   in Loop: Header=BB168_3 Depth=1
	s_or_b32 exec_lo, exec_lo, s51
	s_and_saveexec_b32 s51, s1
	s_cbranch_execnz .LBB168_1118
.LBB168_1048:                           ;   in Loop: Header=BB168_3 Depth=1
	s_or_b32 exec_lo, exec_lo, s51
	s_and_saveexec_b32 s51, s8
	s_cbranch_execnz .LBB168_1119
.LBB168_1049:                           ;   in Loop: Header=BB168_3 Depth=1
	s_or_b32 exec_lo, exec_lo, s51
	s_and_saveexec_b32 s51, s9
	s_cbranch_execz .LBB168_1051
.LBB168_1050:                           ;   in Loop: Header=BB168_3 Depth=1
	ds_load_b64 v[36:37], v93 offset:24576
	ds_load_b64 v[38:39], v83 offset:384
	s_wait_dscnt 0x0
	v_pk_mul_f32 v[40:41], v[38:39], v[36:37] op_sel:[1,1] op_sel_hi:[0,1]
	s_delay_alu instid0(VALU_DEP_1) | instskip(SKIP_1) | instid1(VALU_DEP_2)
	v_pk_fma_f32 v[98:99], v[38:39], v[36:37], v[40:41] op_sel_hi:[1,0,1]
	v_pk_fma_f32 v[36:37], v[38:39], v[36:37], v[40:41] neg_lo:[0,0,1] neg_hi:[0,0,1]
	v_mov_b32_e32 v37, v99
	s_delay_alu instid0(VALU_DEP_1)
	v_pk_add_f32 v[30:31], v[30:31], v[36:37]
.LBB168_1051:                           ;   in Loop: Header=BB168_3 Depth=1
	s_or_b32 exec_lo, exec_lo, s51
	s_mov_b32 s86, 0
	s_mov_b32 s51, 0
	ds_store_b64 v91, v[30:31]
	s_wait_dscnt 0x0
	s_barrier_signal -1
	s_barrier_wait -1
                                        ; implicit-def: $vgpr36_vgpr37
	s_and_saveexec_b32 s52, s4
	s_cbranch_execz .LBB168_1120
; %bb.1052:                             ;   in Loop: Header=BB168_3 Depth=1
	ds_load_2addr_stride64_b64 v[36:39], v92 offset0:1 offset1:2
	ds_load_2addr_stride64_b64 v[98:101], v92 offset0:3 offset1:4
	;; [unrolled: 1-line block ×3, first 2 shown]
	ds_load_b64 v[40:41], v92 offset:7680
	s_mov_b32 s51, exec_lo
	s_wait_dscnt 0x3
	v_pk_add_f32 v[30:31], v[30:31], v[36:37]
	s_delay_alu instid0(VALU_DEP_1) | instskip(SKIP_3) | instid1(VALU_DEP_1)
	v_pk_add_f32 v[30:31], v[30:31], v[38:39]
	ds_load_2addr_stride64_b64 v[36:39], v92 offset0:7 offset1:8
	s_wait_dscnt 0x3
	v_pk_add_f32 v[30:31], v[30:31], v[98:99]
	v_pk_add_f32 v[30:31], v[30:31], v[100:101]
	ds_load_2addr_stride64_b64 v[98:101], v92 offset0:9 offset1:10
	s_wait_dscnt 0x3
	v_pk_add_f32 v[30:31], v[30:31], v[102:103]
	s_delay_alu instid0(VALU_DEP_1) | instskip(SKIP_3) | instid1(VALU_DEP_1)
	v_pk_add_f32 v[30:31], v[30:31], v[104:105]
	ds_load_2addr_stride64_b64 v[102:105], v92 offset0:11 offset1:12
	s_wait_dscnt 0x2
	v_pk_add_f32 v[30:31], v[30:31], v[36:37]
	v_pk_add_f32 v[30:31], v[30:31], v[38:39]
	ds_load_2addr_stride64_b64 v[36:39], v92 offset0:13 offset1:14
	s_wait_dscnt 0x2
	v_pk_add_f32 v[30:31], v[30:31], v[98:99]
	s_delay_alu instid0(VALU_DEP_1) | instskip(SKIP_1) | instid1(VALU_DEP_1)
	v_pk_add_f32 v[30:31], v[30:31], v[100:101]
	s_wait_dscnt 0x1
	v_pk_add_f32 v[30:31], v[30:31], v[102:103]
	s_delay_alu instid0(VALU_DEP_1) | instskip(SKIP_1) | instid1(VALU_DEP_1)
	v_pk_add_f32 v[30:31], v[30:31], v[104:105]
	s_wait_dscnt 0x0
	v_pk_add_f32 v[30:31], v[30:31], v[36:37]
	s_delay_alu instid0(VALU_DEP_1) | instskip(NEXT) | instid1(VALU_DEP_1)
	v_pk_add_f32 v[30:31], v[30:31], v[38:39]
	v_pk_add_f32 v[36:37], v[30:31], v[40:41]
	s_or_b32 exec_lo, exec_lo, s52
	s_delay_alu instid0(SALU_CYCLE_1)
	s_and_b32 vcc_lo, exec_lo, s86
	s_cbranch_vccnz .LBB168_1054
	s_branch .LBB168_1121
.LBB168_1053:                           ;   in Loop: Header=BB168_3 Depth=1
	s_mov_b32 s51, 0
                                        ; implicit-def: $vgpr36_vgpr37
	s_cbranch_execz .LBB168_1121
.LBB168_1054:                           ;   in Loop: Header=BB168_3 Depth=1
	v_dual_mov_b32 v30, v96 :: v_dual_mov_b32 v31, v85
	s_mov_b32 s86, 63
	s_branch .LBB168_1056
.LBB168_1055:                           ;   in Loop: Header=BB168_1056 Depth=2
	s_or_b32 exec_lo, exec_lo, s52
	v_add_nc_u32_e32 v31, 0xfffffc00, v31
	v_add_nc_u32_e32 v30, 2, v30
	s_add_co_i32 s86, s86, -2
	s_cmp_lg_u32 s87, 0
	s_barrier_signal -1
	s_barrier_wait -1
	s_cbranch_scc0 .LBB168_1064
.LBB168_1056:                           ;   Parent Loop BB168_3 Depth=1
                                        ; =>  This Inner Loop Header: Depth=2
	s_delay_alu instid0(VALU_DEP_1) | instskip(SKIP_2) | instid1(SALU_CYCLE_1)
	v_cmp_eq_u32_e32 vcc_lo, 0, v30
	v_add_nc_u32_e32 v36, v82, v46
	s_and_b32 s53, s4, vcc_lo
	s_and_saveexec_b32 s52, s53
	s_cbranch_execz .LBB168_1058
; %bb.1057:                             ;   in Loop: Header=BB168_1056 Depth=2
	ds_load_b64 v[38:39], v36
	s_wait_dscnt 0x0
	v_pk_mul_f32 v[40:41], v[34:35], v[38:39] op_sel:[1,1] op_sel_hi:[1,0]
	s_delay_alu instid0(VALU_DEP_1) | instskip(SKIP_1) | instid1(VALU_DEP_2)
	v_pk_fma_f32 v[98:99], v[34:35], v[38:39], v[40:41] op_sel_hi:[0,1,1]
	v_pk_fma_f32 v[38:39], v[34:35], v[38:39], v[40:41] neg_lo:[0,0,1] neg_hi:[0,0,1]
	v_mov_b32_e32 v39, v99
	s_delay_alu instid0(VALU_DEP_1)
	v_mov_b64_e32 v[34:35], v[38:39]
	ds_store_b64 v5, v[38:39] offset:41472
.LBB168_1058:                           ;   in Loop: Header=BB168_1056 Depth=2
	s_or_b32 exec_lo, exec_lo, s52
	v_cmp_gt_u32_e32 vcc_lo, s86, v2
	s_wait_dscnt 0x0
	s_barrier_signal -1
	s_barrier_wait -1
	s_and_b32 s53, s4, vcc_lo
	s_delay_alu instid0(SALU_CYCLE_1)
	s_and_saveexec_b32 s52, s53
	s_cbranch_execz .LBB168_1060
; %bb.1059:                             ;   in Loop: Header=BB168_1056 Depth=2
	ds_load_b64 v[38:39], v31 offset:512
	ds_load_b64 v[40:41], v5 offset:41472
	s_wait_dscnt 0x0
	v_pk_mul_f32 v[98:99], v[40:41], v[38:39] op_sel:[1,1] op_sel_hi:[0,1]
	s_delay_alu instid0(VALU_DEP_1) | instskip(SKIP_1) | instid1(VALU_DEP_2)
	v_pk_fma_f32 v[100:101], v[40:41], v[38:39], v[98:99] op_sel_hi:[1,0,1]
	v_pk_fma_f32 v[38:39], v[40:41], v[38:39], v[98:99] neg_lo:[0,0,1] neg_hi:[0,0,1]
	v_mov_b32_e32 v39, v101
	s_delay_alu instid0(VALU_DEP_1)
	v_pk_add_f32 v[34:35], v[34:35], v[38:39]
.LBB168_1060:                           ;   in Loop: Header=BB168_1056 Depth=2
	s_or_b32 exec_lo, exec_lo, s52
	s_add_co_i32 s87, s86, -1
	s_delay_alu instid0(SALU_CYCLE_1) | instskip(SKIP_3) | instid1(SALU_CYCLE_1)
	v_cmp_eq_u32_e32 vcc_lo, s87, v2
	s_barrier_signal -1
	s_barrier_wait -1
	s_and_b32 s53, s4, vcc_lo
	s_and_saveexec_b32 s52, s53
	s_cbranch_execz .LBB168_1062
; %bb.1061:                             ;   in Loop: Header=BB168_1056 Depth=2
	ds_load_b64 v[36:37], v36
	s_wait_dscnt 0x0
	v_pk_mul_f32 v[38:39], v[34:35], v[36:37] op_sel:[1,1] op_sel_hi:[1,0]
	s_delay_alu instid0(VALU_DEP_1) | instskip(SKIP_1) | instid1(VALU_DEP_2)
	v_pk_fma_f32 v[40:41], v[34:35], v[36:37], v[38:39] op_sel_hi:[0,1,1]
	v_pk_fma_f32 v[36:37], v[34:35], v[36:37], v[38:39] neg_lo:[0,0,1] neg_hi:[0,0,1]
	v_mov_b32_e32 v37, v41
	s_delay_alu instid0(VALU_DEP_1)
	v_mov_b64_e32 v[34:35], v[36:37]
	ds_store_b64 v5, v[36:37] offset:41472
.LBB168_1062:                           ;   in Loop: Header=BB168_1056 Depth=2
	s_or_b32 exec_lo, exec_lo, s52
	v_cmp_gt_u32_e32 vcc_lo, s87, v2
	s_wait_dscnt 0x0
	s_barrier_signal -1
	s_barrier_wait -1
	s_and_b32 s53, s4, vcc_lo
	s_delay_alu instid0(SALU_CYCLE_1)
	s_and_saveexec_b32 s52, s53
	s_cbranch_execz .LBB168_1055
; %bb.1063:                             ;   in Loop: Header=BB168_1056 Depth=2
	ds_load_b64 v[36:37], v31
	ds_load_b64 v[38:39], v5 offset:41472
	s_wait_dscnt 0x0
	v_pk_mul_f32 v[40:41], v[38:39], v[36:37] op_sel:[1,1] op_sel_hi:[0,1]
	s_delay_alu instid0(VALU_DEP_1) | instskip(SKIP_1) | instid1(VALU_DEP_2)
	v_pk_fma_f32 v[98:99], v[38:39], v[36:37], v[40:41] op_sel_hi:[1,0,1]
	v_pk_fma_f32 v[36:37], v[38:39], v[36:37], v[40:41] neg_lo:[0,0,1] neg_hi:[0,0,1]
	v_mov_b32_e32 v37, v99
	s_delay_alu instid0(VALU_DEP_1)
	v_pk_add_f32 v[34:35], v[34:35], v[36:37]
	s_branch .LBB168_1055
.LBB168_1064:                           ;   in Loop: Header=BB168_3 Depth=1
	s_and_b32 vcc_lo, exec_lo, s90
	s_mov_b32 s52, -1
	s_cbranch_vccnz .LBB168_1122
; %bb.1065:                             ;   in Loop: Header=BB168_3 Depth=1
	s_and_not1_b32 vcc_lo, exec_lo, s52
	s_cbranch_vccz .LBB168_1123
.LBB168_1066:                           ;   in Loop: Header=BB168_3 Depth=1
	s_and_saveexec_b32 s52, s51
	s_cbranch_execz .LBB168_1068
.LBB168_1067:                           ;   in Loop: Header=BB168_3 Depth=1
	v_lshl_add_u64 v[30:31], v[10:11], 3, v[32:33]
	flat_store_b64 v[30:31], v[34:35]
.LBB168_1068:                           ;   in Loop: Header=BB168_3 Depth=1
	s_wait_xcnt 0x0
	s_or_b32 exec_lo, exec_lo, s52
	global_wb scope:SCOPE_DEV
	s_wait_storecnt_dscnt 0x0
	global_inv scope:SCOPE_DEV
	s_wait_loadcnt 0x0
	s_barrier_signal -1
	s_barrier_wait -1
	s_and_saveexec_b32 s51, s37
	s_cbranch_execz .LBB168_2
; %bb.1069:                             ;   in Loop: Header=BB168_3 Depth=1
	s_lshl_b64 s[52:53], s[66:67], 2
	s_delay_alu instid0(SALU_CYCLE_1)
	s_add_nc_u64 s[52:53], s[82:83], s[52:53]
	global_load_b32 v30, v5, s[52:53]
	s_wait_loadcnt 0x0
	v_add_nc_u32_e32 v30, 1, v30
	global_store_b32 v5, v30, s[52:53]
	s_branch .LBB168_2
.LBB168_1070:                           ;   in Loop: Header=BB168_3 Depth=1
	s_mov_b32 s52, exec_lo
	v_readlane_b32 s53, v108, 18
	s_and_b32 s53, s52, s53
	s_delay_alu instid0(SALU_CYCLE_1)
	s_xor_b32 s52, s53, s52
	s_mov_b32 exec_lo, s53
	s_cbranch_execz .LBB168_1074
; %bb.1071:                             ;   in Loop: Header=BB168_3 Depth=1
	s_mov_b32 s53, exec_lo
	v_readlane_b32 s54, v108, 30
	s_and_b32 s54, s53, s54
	s_delay_alu instid0(SALU_CYCLE_1)
	s_mov_b32 exec_lo, s54
; %bb.1072:                             ;   in Loop: Header=BB168_3 Depth=1
	ds_store_b64 v75, v[20:21]
; %bb.1073:                             ;   in Loop: Header=BB168_3 Depth=1
	s_or_b32 exec_lo, exec_lo, s53
.LBB168_1074:                           ;   in Loop: Header=BB168_3 Depth=1
	s_and_not1_saveexec_b32 s86, s52
	s_cbranch_execz .LBB168_1080
; %bb.1075:                             ;   in Loop: Header=BB168_3 Depth=1
	v_lshl_add_u64 v[36:37], v[12:13], 3, v[34:35]
                                        ; implicit-def: $vgpr38_vgpr39
	flat_load_b64 v[36:37], v[36:37]
	s_wait_loadcnt_dscnt 0x0
	v_cmp_ngt_f32_e64 s52, |v36|, |v37|
	s_and_saveexec_b32 s53, s52
	s_delay_alu instid0(SALU_CYCLE_1)
	s_xor_b32 s52, exec_lo, s53
	s_cbranch_execz .LBB168_1077
; %bb.1076:                             ;   in Loop: Header=BB168_3 Depth=1
	v_div_scale_f32 v38, null, -v37, -v37, v36
	v_div_scale_f32 v41, vcc_lo, v36, -v37, v36
	s_delay_alu instid0(VALU_DEP_2) | instskip(SKIP_1) | instid1(TRANS32_DEP_1)
	v_rcp_f32_e32 v39, v38
	v_nop
	v_fma_f32 v40, -v38, v39, 1.0
	s_delay_alu instid0(VALU_DEP_1) | instskip(NEXT) | instid1(VALU_DEP_1)
	v_fmac_f32_e32 v39, v40, v39
	v_mul_f32_e32 v40, v41, v39
	s_delay_alu instid0(VALU_DEP_1) | instskip(NEXT) | instid1(VALU_DEP_1)
	v_fma_f32 v42, -v38, v40, v41
	v_fmac_f32_e32 v40, v42, v39
	s_delay_alu instid0(VALU_DEP_1) | instskip(NEXT) | instid1(VALU_DEP_1)
	v_fma_f32 v38, -v38, v40, v41
	v_div_fmas_f32 v38, v38, v39, v40
	s_delay_alu instid0(VALU_DEP_1) | instskip(NEXT) | instid1(VALU_DEP_1)
	v_div_fixup_f32 v38, v38, -v37, v36
	v_fma_f32 v36, v36, v38, -v37
	s_delay_alu instid0(VALU_DEP_1) | instskip(SKIP_1) | instid1(VALU_DEP_2)
	v_div_scale_f32 v37, null, v36, v36, 1.0
	v_div_scale_f32 v41, vcc_lo, 1.0, v36, 1.0
	v_rcp_f32_e32 v39, v37
	v_nop
	s_delay_alu instid0(TRANS32_DEP_1) | instskip(NEXT) | instid1(VALU_DEP_1)
	v_fma_f32 v40, -v37, v39, 1.0
	v_fmac_f32_e32 v39, v40, v39
	s_delay_alu instid0(VALU_DEP_1) | instskip(NEXT) | instid1(VALU_DEP_1)
	v_mul_f32_e32 v40, v41, v39
	v_fma_f32 v42, -v37, v40, v41
	s_delay_alu instid0(VALU_DEP_1) | instskip(NEXT) | instid1(VALU_DEP_1)
	v_fmac_f32_e32 v40, v42, v39
	v_fma_f32 v37, -v37, v40, v41
	s_delay_alu instid0(VALU_DEP_1) | instskip(NEXT) | instid1(VALU_DEP_1)
	v_div_fmas_f32 v37, v37, v39, v40
	v_div_fixup_f32 v36, v37, v36, 1.0
	s_delay_alu instid0(VALU_DEP_1)
	v_mul_f32_e32 v38, v38, v36
	v_xor_b32_e32 v39, 0x80000000, v36
                                        ; implicit-def: $vgpr36_vgpr37
.LBB168_1077:                           ;   in Loop: Header=BB168_3 Depth=1
	s_and_not1_saveexec_b32 s52, s52
	s_cbranch_execz .LBB168_1079
; %bb.1078:                             ;   in Loop: Header=BB168_3 Depth=1
	v_div_scale_f32 v38, null, v36, v36, -v37
	v_div_scale_f32 v41, vcc_lo, -v37, v36, -v37
	s_delay_alu instid0(VALU_DEP_2) | instskip(SKIP_1) | instid1(TRANS32_DEP_1)
	v_rcp_f32_e32 v39, v38
	v_nop
	v_fma_f32 v40, -v38, v39, 1.0
	s_delay_alu instid0(VALU_DEP_1) | instskip(NEXT) | instid1(VALU_DEP_1)
	v_fmac_f32_e32 v39, v40, v39
	v_mul_f32_e32 v40, v41, v39
	s_delay_alu instid0(VALU_DEP_1) | instskip(NEXT) | instid1(VALU_DEP_1)
	v_fma_f32 v42, -v38, v40, v41
	v_fmac_f32_e32 v40, v42, v39
	s_delay_alu instid0(VALU_DEP_1) | instskip(NEXT) | instid1(VALU_DEP_1)
	v_fma_f32 v38, -v38, v40, v41
	v_div_fmas_f32 v38, v38, v39, v40
	s_delay_alu instid0(VALU_DEP_1) | instskip(NEXT) | instid1(VALU_DEP_1)
	v_div_fixup_f32 v39, v38, v36, -v37
	v_fma_f32 v36, -v37, v39, v36
	s_delay_alu instid0(VALU_DEP_1) | instskip(NEXT) | instid1(VALU_DEP_1)
	v_div_scale_f32 v37, null, v36, v36, 1.0
	v_rcp_f32_e32 v38, v37
	v_nop
	s_delay_alu instid0(TRANS32_DEP_1) | instskip(NEXT) | instid1(VALU_DEP_1)
	v_fma_f32 v40, -v37, v38, 1.0
	v_fmac_f32_e32 v38, v40, v38
	v_div_scale_f32 v40, vcc_lo, 1.0, v36, 1.0
	s_delay_alu instid0(VALU_DEP_1) | instskip(NEXT) | instid1(VALU_DEP_1)
	v_mul_f32_e32 v41, v40, v38
	v_fma_f32 v42, -v37, v41, v40
	s_delay_alu instid0(VALU_DEP_1) | instskip(NEXT) | instid1(VALU_DEP_1)
	v_fmac_f32_e32 v41, v42, v38
	v_fma_f32 v37, -v37, v41, v40
	s_delay_alu instid0(VALU_DEP_1) | instskip(NEXT) | instid1(VALU_DEP_1)
	v_div_fmas_f32 v37, v37, v38, v41
	v_div_fixup_f32 v38, v37, v36, 1.0
	s_delay_alu instid0(VALU_DEP_1)
	v_mul_f32_e64 v39, v39, -v38
.LBB168_1079:                           ;   in Loop: Header=BB168_3 Depth=1
	s_or_b32 exec_lo, exec_lo, s52
	ds_store_b64 v75, v[38:39]
.LBB168_1080:                           ;   in Loop: Header=BB168_3 Depth=1
	s_or_b32 exec_lo, exec_lo, s86
	s_and_not1_saveexec_b32 s51, s51
	s_cbranch_execz .LBB168_16
.LBB168_1081:                           ;   in Loop: Header=BB168_3 Depth=1
	v_lshl_add_u64 v[36:37], v[12:13], 3, v[34:35]
	flat_load_b64 v[36:37], v[36:37]
	s_wait_loadcnt_dscnt 0x0
	v_xor_b32_e32 v36, 0x80000000, v36
	ds_store_b64 v75, v[36:37]
	s_or_b32 exec_lo, exec_lo, s51
	s_and_saveexec_b32 s51, s1
	s_delay_alu instid0(SALU_CYCLE_1)
	s_xor_b32 s51, exec_lo, s51
	s_cbranch_execz .LBB168_17
.LBB168_1082:                           ;   in Loop: Header=BB168_3 Depth=1
	s_mov_b32 s52, exec_lo
	v_readlane_b32 s53, v108, 20
	s_and_b32 s53, s52, s53
	s_delay_alu instid0(SALU_CYCLE_1)
	s_xor_b32 s52, s53, s52
	s_mov_b32 exec_lo, s53
	s_cbranch_execz .LBB168_1086
; %bb.1083:                             ;   in Loop: Header=BB168_3 Depth=1
	s_mov_b32 s53, exec_lo
	v_readlane_b32 s54, v107, 10
	s_and_b32 s54, s53, s54
	s_delay_alu instid0(SALU_CYCLE_1)
	s_mov_b32 exec_lo, s54
; %bb.1084:                             ;   in Loop: Header=BB168_3 Depth=1
	ds_store_b64 v78, v[20:21]
; %bb.1085:                             ;   in Loop: Header=BB168_3 Depth=1
	s_or_b32 exec_lo, exec_lo, s53
.LBB168_1086:                           ;   in Loop: Header=BB168_3 Depth=1
	s_and_not1_saveexec_b32 s86, s52
	s_cbranch_execz .LBB168_1092
; %bb.1087:                             ;   in Loop: Header=BB168_3 Depth=1
	v_lshl_add_u64 v[36:37], v[14:15], 3, v[34:35]
                                        ; implicit-def: $vgpr38_vgpr39
	flat_load_b64 v[36:37], v[36:37]
	s_wait_loadcnt_dscnt 0x0
	v_cmp_ngt_f32_e64 s52, |v36|, |v37|
	s_and_saveexec_b32 s53, s52
	s_delay_alu instid0(SALU_CYCLE_1)
	s_xor_b32 s52, exec_lo, s53
	s_cbranch_execz .LBB168_1089
; %bb.1088:                             ;   in Loop: Header=BB168_3 Depth=1
	v_div_scale_f32 v38, null, -v37, -v37, v36
	v_div_scale_f32 v41, vcc_lo, v36, -v37, v36
	s_delay_alu instid0(VALU_DEP_2) | instskip(SKIP_1) | instid1(TRANS32_DEP_1)
	v_rcp_f32_e32 v39, v38
	v_nop
	v_fma_f32 v40, -v38, v39, 1.0
	s_delay_alu instid0(VALU_DEP_1) | instskip(NEXT) | instid1(VALU_DEP_1)
	v_fmac_f32_e32 v39, v40, v39
	v_mul_f32_e32 v40, v41, v39
	s_delay_alu instid0(VALU_DEP_1) | instskip(NEXT) | instid1(VALU_DEP_1)
	v_fma_f32 v42, -v38, v40, v41
	v_fmac_f32_e32 v40, v42, v39
	s_delay_alu instid0(VALU_DEP_1) | instskip(NEXT) | instid1(VALU_DEP_1)
	v_fma_f32 v38, -v38, v40, v41
	v_div_fmas_f32 v38, v38, v39, v40
	s_delay_alu instid0(VALU_DEP_1) | instskip(NEXT) | instid1(VALU_DEP_1)
	v_div_fixup_f32 v38, v38, -v37, v36
	v_fma_f32 v36, v36, v38, -v37
	s_delay_alu instid0(VALU_DEP_1) | instskip(SKIP_1) | instid1(VALU_DEP_2)
	v_div_scale_f32 v37, null, v36, v36, 1.0
	v_div_scale_f32 v41, vcc_lo, 1.0, v36, 1.0
	v_rcp_f32_e32 v39, v37
	v_nop
	s_delay_alu instid0(TRANS32_DEP_1) | instskip(NEXT) | instid1(VALU_DEP_1)
	v_fma_f32 v40, -v37, v39, 1.0
	v_fmac_f32_e32 v39, v40, v39
	s_delay_alu instid0(VALU_DEP_1) | instskip(NEXT) | instid1(VALU_DEP_1)
	v_mul_f32_e32 v40, v41, v39
	v_fma_f32 v42, -v37, v40, v41
	s_delay_alu instid0(VALU_DEP_1) | instskip(NEXT) | instid1(VALU_DEP_1)
	v_fmac_f32_e32 v40, v42, v39
	v_fma_f32 v37, -v37, v40, v41
	s_delay_alu instid0(VALU_DEP_1) | instskip(NEXT) | instid1(VALU_DEP_1)
	v_div_fmas_f32 v37, v37, v39, v40
	v_div_fixup_f32 v36, v37, v36, 1.0
	s_delay_alu instid0(VALU_DEP_1)
	v_mul_f32_e32 v38, v38, v36
	v_xor_b32_e32 v39, 0x80000000, v36
                                        ; implicit-def: $vgpr36_vgpr37
.LBB168_1089:                           ;   in Loop: Header=BB168_3 Depth=1
	s_and_not1_saveexec_b32 s52, s52
	s_cbranch_execz .LBB168_1091
; %bb.1090:                             ;   in Loop: Header=BB168_3 Depth=1
	v_div_scale_f32 v38, null, v36, v36, -v37
	v_div_scale_f32 v41, vcc_lo, -v37, v36, -v37
	s_delay_alu instid0(VALU_DEP_2) | instskip(SKIP_1) | instid1(TRANS32_DEP_1)
	v_rcp_f32_e32 v39, v38
	v_nop
	v_fma_f32 v40, -v38, v39, 1.0
	s_delay_alu instid0(VALU_DEP_1) | instskip(NEXT) | instid1(VALU_DEP_1)
	v_fmac_f32_e32 v39, v40, v39
	v_mul_f32_e32 v40, v41, v39
	s_delay_alu instid0(VALU_DEP_1) | instskip(NEXT) | instid1(VALU_DEP_1)
	v_fma_f32 v42, -v38, v40, v41
	v_fmac_f32_e32 v40, v42, v39
	s_delay_alu instid0(VALU_DEP_1) | instskip(NEXT) | instid1(VALU_DEP_1)
	v_fma_f32 v38, -v38, v40, v41
	v_div_fmas_f32 v38, v38, v39, v40
	s_delay_alu instid0(VALU_DEP_1) | instskip(NEXT) | instid1(VALU_DEP_1)
	v_div_fixup_f32 v39, v38, v36, -v37
	v_fma_f32 v36, -v37, v39, v36
	s_delay_alu instid0(VALU_DEP_1) | instskip(NEXT) | instid1(VALU_DEP_1)
	v_div_scale_f32 v37, null, v36, v36, 1.0
	v_rcp_f32_e32 v38, v37
	v_nop
	s_delay_alu instid0(TRANS32_DEP_1) | instskip(NEXT) | instid1(VALU_DEP_1)
	v_fma_f32 v40, -v37, v38, 1.0
	v_fmac_f32_e32 v38, v40, v38
	v_div_scale_f32 v40, vcc_lo, 1.0, v36, 1.0
	s_delay_alu instid0(VALU_DEP_1) | instskip(NEXT) | instid1(VALU_DEP_1)
	v_mul_f32_e32 v41, v40, v38
	v_fma_f32 v42, -v37, v41, v40
	s_delay_alu instid0(VALU_DEP_1) | instskip(NEXT) | instid1(VALU_DEP_1)
	v_fmac_f32_e32 v41, v42, v38
	v_fma_f32 v37, -v37, v41, v40
	s_delay_alu instid0(VALU_DEP_1) | instskip(NEXT) | instid1(VALU_DEP_1)
	v_div_fmas_f32 v37, v37, v38, v41
	v_div_fixup_f32 v38, v37, v36, 1.0
	s_delay_alu instid0(VALU_DEP_1)
	v_mul_f32_e64 v39, v39, -v38
.LBB168_1091:                           ;   in Loop: Header=BB168_3 Depth=1
	s_or_b32 exec_lo, exec_lo, s52
	ds_store_b64 v78, v[38:39]
.LBB168_1092:                           ;   in Loop: Header=BB168_3 Depth=1
	s_or_b32 exec_lo, exec_lo, s86
	s_and_not1_saveexec_b32 s51, s51
	s_cbranch_execz .LBB168_18
.LBB168_1093:                           ;   in Loop: Header=BB168_3 Depth=1
	v_lshl_add_u64 v[36:37], v[14:15], 3, v[34:35]
	flat_load_b64 v[36:37], v[36:37]
	s_wait_loadcnt_dscnt 0x0
	v_xor_b32_e32 v36, 0x80000000, v36
	ds_store_b64 v78, v[36:37]
	s_or_b32 exec_lo, exec_lo, s51
	s_and_saveexec_b32 s51, s8
	s_delay_alu instid0(SALU_CYCLE_1)
	s_xor_b32 s51, exec_lo, s51
	s_cbranch_execz .LBB168_19
.LBB168_1094:                           ;   in Loop: Header=BB168_3 Depth=1
	s_mov_b32 s52, exec_lo
	v_readlane_b32 s53, v108, 22
	s_and_b32 s53, s52, s53
	s_delay_alu instid0(SALU_CYCLE_1)
	s_xor_b32 s52, s53, s52
	s_mov_b32 exec_lo, s53
	s_cbranch_execz .LBB168_1098
; %bb.1095:                             ;   in Loop: Header=BB168_3 Depth=1
	s_mov_b32 s53, exec_lo
	v_readlane_b32 s54, v107, 11
	s_and_b32 s54, s53, s54
	s_delay_alu instid0(SALU_CYCLE_1)
	s_mov_b32 exec_lo, s54
; %bb.1096:                             ;   in Loop: Header=BB168_3 Depth=1
	ds_store_b64 v79, v[20:21]
; %bb.1097:                             ;   in Loop: Header=BB168_3 Depth=1
	s_or_b32 exec_lo, exec_lo, s53
.LBB168_1098:                           ;   in Loop: Header=BB168_3 Depth=1
	s_and_not1_saveexec_b32 s86, s52
	s_cbranch_execz .LBB168_1104
; %bb.1099:                             ;   in Loop: Header=BB168_3 Depth=1
	v_lshl_add_u64 v[36:37], v[16:17], 3, v[34:35]
                                        ; implicit-def: $vgpr38_vgpr39
	flat_load_b64 v[36:37], v[36:37]
	s_wait_loadcnt_dscnt 0x0
	v_cmp_ngt_f32_e64 s52, |v36|, |v37|
	s_and_saveexec_b32 s53, s52
	s_delay_alu instid0(SALU_CYCLE_1)
	s_xor_b32 s52, exec_lo, s53
	s_cbranch_execz .LBB168_1101
; %bb.1100:                             ;   in Loop: Header=BB168_3 Depth=1
	v_div_scale_f32 v38, null, -v37, -v37, v36
	v_div_scale_f32 v41, vcc_lo, v36, -v37, v36
	s_delay_alu instid0(VALU_DEP_2) | instskip(SKIP_1) | instid1(TRANS32_DEP_1)
	v_rcp_f32_e32 v39, v38
	v_nop
	v_fma_f32 v40, -v38, v39, 1.0
	s_delay_alu instid0(VALU_DEP_1) | instskip(NEXT) | instid1(VALU_DEP_1)
	v_fmac_f32_e32 v39, v40, v39
	v_mul_f32_e32 v40, v41, v39
	s_delay_alu instid0(VALU_DEP_1) | instskip(NEXT) | instid1(VALU_DEP_1)
	v_fma_f32 v42, -v38, v40, v41
	v_fmac_f32_e32 v40, v42, v39
	s_delay_alu instid0(VALU_DEP_1) | instskip(NEXT) | instid1(VALU_DEP_1)
	v_fma_f32 v38, -v38, v40, v41
	v_div_fmas_f32 v38, v38, v39, v40
	s_delay_alu instid0(VALU_DEP_1) | instskip(NEXT) | instid1(VALU_DEP_1)
	v_div_fixup_f32 v38, v38, -v37, v36
	v_fma_f32 v36, v36, v38, -v37
	s_delay_alu instid0(VALU_DEP_1) | instskip(SKIP_1) | instid1(VALU_DEP_2)
	v_div_scale_f32 v37, null, v36, v36, 1.0
	v_div_scale_f32 v41, vcc_lo, 1.0, v36, 1.0
	v_rcp_f32_e32 v39, v37
	v_nop
	s_delay_alu instid0(TRANS32_DEP_1) | instskip(NEXT) | instid1(VALU_DEP_1)
	v_fma_f32 v40, -v37, v39, 1.0
	v_fmac_f32_e32 v39, v40, v39
	s_delay_alu instid0(VALU_DEP_1) | instskip(NEXT) | instid1(VALU_DEP_1)
	v_mul_f32_e32 v40, v41, v39
	v_fma_f32 v42, -v37, v40, v41
	s_delay_alu instid0(VALU_DEP_1) | instskip(NEXT) | instid1(VALU_DEP_1)
	v_fmac_f32_e32 v40, v42, v39
	v_fma_f32 v37, -v37, v40, v41
	s_delay_alu instid0(VALU_DEP_1) | instskip(NEXT) | instid1(VALU_DEP_1)
	v_div_fmas_f32 v37, v37, v39, v40
	v_div_fixup_f32 v36, v37, v36, 1.0
	s_delay_alu instid0(VALU_DEP_1)
	v_mul_f32_e32 v38, v38, v36
	v_xor_b32_e32 v39, 0x80000000, v36
                                        ; implicit-def: $vgpr36_vgpr37
.LBB168_1101:                           ;   in Loop: Header=BB168_3 Depth=1
	s_and_not1_saveexec_b32 s52, s52
	s_cbranch_execz .LBB168_1103
; %bb.1102:                             ;   in Loop: Header=BB168_3 Depth=1
	v_div_scale_f32 v38, null, v36, v36, -v37
	v_div_scale_f32 v41, vcc_lo, -v37, v36, -v37
	s_delay_alu instid0(VALU_DEP_2) | instskip(SKIP_1) | instid1(TRANS32_DEP_1)
	v_rcp_f32_e32 v39, v38
	v_nop
	v_fma_f32 v40, -v38, v39, 1.0
	s_delay_alu instid0(VALU_DEP_1) | instskip(NEXT) | instid1(VALU_DEP_1)
	v_fmac_f32_e32 v39, v40, v39
	v_mul_f32_e32 v40, v41, v39
	s_delay_alu instid0(VALU_DEP_1) | instskip(NEXT) | instid1(VALU_DEP_1)
	v_fma_f32 v42, -v38, v40, v41
	v_fmac_f32_e32 v40, v42, v39
	s_delay_alu instid0(VALU_DEP_1) | instskip(NEXT) | instid1(VALU_DEP_1)
	v_fma_f32 v38, -v38, v40, v41
	v_div_fmas_f32 v38, v38, v39, v40
	s_delay_alu instid0(VALU_DEP_1) | instskip(NEXT) | instid1(VALU_DEP_1)
	v_div_fixup_f32 v39, v38, v36, -v37
	v_fma_f32 v36, -v37, v39, v36
	s_delay_alu instid0(VALU_DEP_1) | instskip(NEXT) | instid1(VALU_DEP_1)
	v_div_scale_f32 v37, null, v36, v36, 1.0
	v_rcp_f32_e32 v38, v37
	v_nop
	s_delay_alu instid0(TRANS32_DEP_1) | instskip(NEXT) | instid1(VALU_DEP_1)
	v_fma_f32 v40, -v37, v38, 1.0
	v_fmac_f32_e32 v38, v40, v38
	v_div_scale_f32 v40, vcc_lo, 1.0, v36, 1.0
	s_delay_alu instid0(VALU_DEP_1) | instskip(NEXT) | instid1(VALU_DEP_1)
	v_mul_f32_e32 v41, v40, v38
	v_fma_f32 v42, -v37, v41, v40
	s_delay_alu instid0(VALU_DEP_1) | instskip(NEXT) | instid1(VALU_DEP_1)
	v_fmac_f32_e32 v41, v42, v38
	v_fma_f32 v37, -v37, v41, v40
	s_delay_alu instid0(VALU_DEP_1) | instskip(NEXT) | instid1(VALU_DEP_1)
	v_div_fmas_f32 v37, v37, v38, v41
	v_div_fixup_f32 v38, v37, v36, 1.0
	s_delay_alu instid0(VALU_DEP_1)
	v_mul_f32_e64 v39, v39, -v38
.LBB168_1103:                           ;   in Loop: Header=BB168_3 Depth=1
	s_or_b32 exec_lo, exec_lo, s52
	ds_store_b64 v79, v[38:39]
.LBB168_1104:                           ;   in Loop: Header=BB168_3 Depth=1
	s_or_b32 exec_lo, exec_lo, s86
	s_and_not1_saveexec_b32 s51, s51
	s_cbranch_execz .LBB168_20
.LBB168_1105:                           ;   in Loop: Header=BB168_3 Depth=1
	v_lshl_add_u64 v[36:37], v[16:17], 3, v[34:35]
	flat_load_b64 v[36:37], v[36:37]
	s_wait_loadcnt_dscnt 0x0
	v_xor_b32_e32 v36, 0x80000000, v36
	ds_store_b64 v79, v[36:37]
	s_or_b32 exec_lo, exec_lo, s51
	s_and_saveexec_b32 s51, s9
	s_delay_alu instid0(SALU_CYCLE_1)
	s_xor_b32 s51, exec_lo, s51
	s_cbranch_execz .LBB168_21
.LBB168_1106:                           ;   in Loop: Header=BB168_3 Depth=1
	s_mov_b32 s52, exec_lo
	v_readlane_b32 s53, v108, 24
	s_and_b32 s53, s52, s53
	s_delay_alu instid0(SALU_CYCLE_1)
	s_xor_b32 s52, s53, s52
	s_mov_b32 exec_lo, s53
	s_cbranch_execz .LBB168_1110
; %bb.1107:                             ;   in Loop: Header=BB168_3 Depth=1
	s_mov_b32 s53, exec_lo
	v_readlane_b32 s54, v107, 12
	s_and_b32 s54, s53, s54
	s_delay_alu instid0(SALU_CYCLE_1)
	s_mov_b32 exec_lo, s54
; %bb.1108:                             ;   in Loop: Header=BB168_3 Depth=1
	ds_store_b64 v81, v[20:21]
; %bb.1109:                             ;   in Loop: Header=BB168_3 Depth=1
	s_or_b32 exec_lo, exec_lo, s53
.LBB168_1110:                           ;   in Loop: Header=BB168_3 Depth=1
	s_and_not1_saveexec_b32 s86, s52
	s_cbranch_execz .LBB168_1116
; %bb.1111:                             ;   in Loop: Header=BB168_3 Depth=1
	v_lshl_add_u64 v[36:37], v[18:19], 3, v[34:35]
                                        ; implicit-def: $vgpr38_vgpr39
	flat_load_b64 v[36:37], v[36:37]
	s_wait_loadcnt_dscnt 0x0
	v_cmp_ngt_f32_e64 s52, |v36|, |v37|
	s_and_saveexec_b32 s53, s52
	s_delay_alu instid0(SALU_CYCLE_1)
	s_xor_b32 s52, exec_lo, s53
	s_cbranch_execz .LBB168_1113
; %bb.1112:                             ;   in Loop: Header=BB168_3 Depth=1
	v_div_scale_f32 v38, null, -v37, -v37, v36
	v_div_scale_f32 v41, vcc_lo, v36, -v37, v36
	s_delay_alu instid0(VALU_DEP_2) | instskip(SKIP_1) | instid1(TRANS32_DEP_1)
	v_rcp_f32_e32 v39, v38
	v_nop
	v_fma_f32 v40, -v38, v39, 1.0
	s_delay_alu instid0(VALU_DEP_1) | instskip(NEXT) | instid1(VALU_DEP_1)
	v_fmac_f32_e32 v39, v40, v39
	v_mul_f32_e32 v40, v41, v39
	s_delay_alu instid0(VALU_DEP_1) | instskip(NEXT) | instid1(VALU_DEP_1)
	v_fma_f32 v42, -v38, v40, v41
	v_fmac_f32_e32 v40, v42, v39
	s_delay_alu instid0(VALU_DEP_1) | instskip(NEXT) | instid1(VALU_DEP_1)
	v_fma_f32 v38, -v38, v40, v41
	v_div_fmas_f32 v38, v38, v39, v40
	s_delay_alu instid0(VALU_DEP_1) | instskip(NEXT) | instid1(VALU_DEP_1)
	v_div_fixup_f32 v38, v38, -v37, v36
	v_fma_f32 v36, v36, v38, -v37
	s_delay_alu instid0(VALU_DEP_1) | instskip(SKIP_1) | instid1(VALU_DEP_2)
	v_div_scale_f32 v37, null, v36, v36, 1.0
	v_div_scale_f32 v41, vcc_lo, 1.0, v36, 1.0
	v_rcp_f32_e32 v39, v37
	v_nop
	s_delay_alu instid0(TRANS32_DEP_1) | instskip(NEXT) | instid1(VALU_DEP_1)
	v_fma_f32 v40, -v37, v39, 1.0
	v_fmac_f32_e32 v39, v40, v39
	s_delay_alu instid0(VALU_DEP_1) | instskip(NEXT) | instid1(VALU_DEP_1)
	v_mul_f32_e32 v40, v41, v39
	v_fma_f32 v42, -v37, v40, v41
	s_delay_alu instid0(VALU_DEP_1) | instskip(NEXT) | instid1(VALU_DEP_1)
	v_fmac_f32_e32 v40, v42, v39
	v_fma_f32 v37, -v37, v40, v41
	s_delay_alu instid0(VALU_DEP_1) | instskip(NEXT) | instid1(VALU_DEP_1)
	v_div_fmas_f32 v37, v37, v39, v40
	v_div_fixup_f32 v36, v37, v36, 1.0
	s_delay_alu instid0(VALU_DEP_1)
	v_mul_f32_e32 v38, v38, v36
	v_xor_b32_e32 v39, 0x80000000, v36
                                        ; implicit-def: $vgpr36_vgpr37
.LBB168_1113:                           ;   in Loop: Header=BB168_3 Depth=1
	s_and_not1_saveexec_b32 s52, s52
	s_cbranch_execz .LBB168_1115
; %bb.1114:                             ;   in Loop: Header=BB168_3 Depth=1
	v_div_scale_f32 v38, null, v36, v36, -v37
	v_div_scale_f32 v41, vcc_lo, -v37, v36, -v37
	s_delay_alu instid0(VALU_DEP_2) | instskip(SKIP_1) | instid1(TRANS32_DEP_1)
	v_rcp_f32_e32 v39, v38
	v_nop
	v_fma_f32 v40, -v38, v39, 1.0
	s_delay_alu instid0(VALU_DEP_1) | instskip(NEXT) | instid1(VALU_DEP_1)
	v_fmac_f32_e32 v39, v40, v39
	v_mul_f32_e32 v40, v41, v39
	s_delay_alu instid0(VALU_DEP_1) | instskip(NEXT) | instid1(VALU_DEP_1)
	v_fma_f32 v42, -v38, v40, v41
	v_fmac_f32_e32 v40, v42, v39
	s_delay_alu instid0(VALU_DEP_1) | instskip(NEXT) | instid1(VALU_DEP_1)
	v_fma_f32 v38, -v38, v40, v41
	v_div_fmas_f32 v38, v38, v39, v40
	s_delay_alu instid0(VALU_DEP_1) | instskip(NEXT) | instid1(VALU_DEP_1)
	v_div_fixup_f32 v39, v38, v36, -v37
	v_fma_f32 v36, -v37, v39, v36
	s_delay_alu instid0(VALU_DEP_1) | instskip(NEXT) | instid1(VALU_DEP_1)
	v_div_scale_f32 v37, null, v36, v36, 1.0
	v_rcp_f32_e32 v38, v37
	v_nop
	s_delay_alu instid0(TRANS32_DEP_1) | instskip(NEXT) | instid1(VALU_DEP_1)
	v_fma_f32 v40, -v37, v38, 1.0
	v_fmac_f32_e32 v38, v40, v38
	v_div_scale_f32 v40, vcc_lo, 1.0, v36, 1.0
	s_delay_alu instid0(VALU_DEP_1) | instskip(NEXT) | instid1(VALU_DEP_1)
	v_mul_f32_e32 v41, v40, v38
	v_fma_f32 v42, -v37, v41, v40
	s_delay_alu instid0(VALU_DEP_1) | instskip(NEXT) | instid1(VALU_DEP_1)
	v_fmac_f32_e32 v41, v42, v38
	v_fma_f32 v37, -v37, v41, v40
	s_delay_alu instid0(VALU_DEP_1) | instskip(NEXT) | instid1(VALU_DEP_1)
	v_div_fmas_f32 v37, v37, v38, v41
	v_div_fixup_f32 v38, v37, v36, 1.0
	s_delay_alu instid0(VALU_DEP_1)
	v_mul_f32_e64 v39, v39, -v38
.LBB168_1115:                           ;   in Loop: Header=BB168_3 Depth=1
	s_or_b32 exec_lo, exec_lo, s52
	ds_store_b64 v81, v[38:39]
.LBB168_1116:                           ;   in Loop: Header=BB168_3 Depth=1
	s_or_b32 exec_lo, exec_lo, s86
	s_and_not1_saveexec_b32 s51, s51
	s_cbranch_execnz .LBB168_22
	s_branch .LBB168_23
.LBB168_1117:                           ;   in Loop: Header=BB168_3 Depth=1
	ds_load_b64 v[30:31], v93
	ds_load_b64 v[36:37], v83
	s_wait_dscnt 0x0
	v_dual_mul_f32 v38, v37, v31 :: v_dual_mul_f32 v31, v36, v31
	s_delay_alu instid0(VALU_DEP_1) | instskip(NEXT) | instid1(VALU_DEP_1)
	v_dual_fma_f32 v36, v36, v30, -v38 :: v_dual_fmac_f32 v31, v37, v30
	v_dual_add_f32 v30, 0, v36 :: v_dual_add_f32 v31, 0, v31
	s_or_b32 exec_lo, exec_lo, s51
	s_and_saveexec_b32 s51, s1
	s_cbranch_execz .LBB168_1048
.LBB168_1118:                           ;   in Loop: Header=BB168_3 Depth=1
	ds_load_b64 v[36:37], v93 offset:8192
	ds_load_b64 v[38:39], v83 offset:128
	s_wait_dscnt 0x0
	v_dual_mul_f32 v40, v39, v37 :: v_dual_mul_f32 v41, v38, v37
	s_delay_alu instid0(VALU_DEP_1) | instskip(NEXT) | instid1(VALU_DEP_1)
	v_dual_fma_f32 v40, v38, v36, -v40 :: v_dual_fmac_f32 v41, v39, v36
	v_pk_add_f32 v[30:31], v[30:31], v[40:41]
	s_or_b32 exec_lo, exec_lo, s51
	s_and_saveexec_b32 s51, s8
	s_cbranch_execz .LBB168_1049
.LBB168_1119:                           ;   in Loop: Header=BB168_3 Depth=1
	ds_load_b64 v[36:37], v93 offset:16384
	ds_load_b64 v[38:39], v83 offset:256
	s_wait_dscnt 0x0
	v_pk_mul_f32 v[40:41], v[38:39], v[36:37] op_sel:[1,1] op_sel_hi:[0,1]
	s_delay_alu instid0(VALU_DEP_1) | instskip(SKIP_1) | instid1(VALU_DEP_2)
	v_pk_fma_f32 v[98:99], v[38:39], v[36:37], v[40:41] op_sel_hi:[1,0,1]
	v_pk_fma_f32 v[36:37], v[38:39], v[36:37], v[40:41] neg_lo:[0,0,1] neg_hi:[0,0,1]
	v_mov_b32_e32 v37, v99
	s_delay_alu instid0(VALU_DEP_1)
	v_pk_add_f32 v[30:31], v[30:31], v[36:37]
	s_or_b32 exec_lo, exec_lo, s51
	s_and_saveexec_b32 s51, s9
	s_cbranch_execnz .LBB168_1050
	s_branch .LBB168_1051
.LBB168_1120:                           ;   in Loop: Header=BB168_3 Depth=1
	s_or_b32 exec_lo, exec_lo, s52
	s_delay_alu instid0(SALU_CYCLE_1)
	s_and_b32 vcc_lo, exec_lo, s86
	s_cbranch_vccnz .LBB168_1054
.LBB168_1121:                           ;   in Loop: Header=BB168_3 Depth=1
	v_mov_b64_e32 v[34:35], v[36:37]
	s_and_saveexec_b32 s52, s51
	s_cbranch_execnz .LBB168_1067
	s_branch .LBB168_1068
.LBB168_1122:                           ;   in Loop: Header=BB168_3 Depth=1
	s_and_not1_b32 s51, s51, exec_lo
	s_and_b32 s53, s4, exec_lo
	s_delay_alu instid0(SALU_CYCLE_1)
	s_or_b32 s51, s51, s53
	s_cbranch_execnz .LBB168_1066
.LBB168_1123:                           ;   in Loop: Header=BB168_3 Depth=1
	v_readlane_b32 s52, v108, 9
	s_and_not1_b32 s51, s51, exec_lo
	s_and_b32 s52, s52, exec_lo
	s_delay_alu instid0(SALU_CYCLE_1) | instskip(NEXT) | instid1(SALU_CYCLE_1)
	s_or_b32 s51, s51, s52
	s_and_saveexec_b32 s52, s51
	s_cbranch_execnz .LBB168_1067
	s_branch .LBB168_1068
.LBB168_1124:                           ;   in Loop: Header=BB168_3 Depth=1
	ds_load_b64 v[36:37], v52 offset:544
	ds_load_b64 v[38:39], v47 offset:8
	s_wait_dscnt 0x0
	v_pk_mul_f32 v[40:41], v[38:39], v[36:37] op_sel:[0,1]
	s_delay_alu instid0(VALU_DEP_1) | instskip(SKIP_1) | instid1(VALU_DEP_2)
	v_pk_fma_f32 v[98:99], v[38:39], v[36:37], v[40:41] op_sel:[1,0,0] op_sel_hi:[0,0,1] neg_lo:[0,0,1] neg_hi:[0,0,1]
	v_pk_fma_f32 v[36:37], v[38:39], v[36:37], v[40:41] op_sel:[1,0,0] op_sel_hi:[0,1,1]
	v_mov_b32_e32 v37, v99
	s_delay_alu instid0(VALU_DEP_1)
	v_pk_add_f32 v[34:35], v[34:35], v[36:37]
	s_or_b32 exec_lo, exec_lo, s52
	s_and_saveexec_b32 s52, s18
	s_cbranch_execz .LBB168_104
.LBB168_1125:                           ;   in Loop: Header=BB168_3 Depth=1
	ds_load_b64 v[36:37], v51 offset:1056
	ds_load_b64 v[38:39], v47 offset:16
	s_wait_dscnt 0x0
	v_pk_mul_f32 v[40:41], v[38:39], v[36:37] op_sel:[0,1]
	s_delay_alu instid0(VALU_DEP_1) | instskip(SKIP_1) | instid1(VALU_DEP_2)
	v_pk_fma_f32 v[98:99], v[38:39], v[36:37], v[40:41] op_sel:[1,0,0] op_sel_hi:[0,0,1] neg_lo:[0,0,1] neg_hi:[0,0,1]
	v_pk_fma_f32 v[36:37], v[38:39], v[36:37], v[40:41] op_sel:[1,0,0] op_sel_hi:[0,1,1]
	v_mov_b32_e32 v37, v99
	s_delay_alu instid0(VALU_DEP_1)
	v_pk_add_f32 v[34:35], v[34:35], v[36:37]
	s_or_b32 exec_lo, exec_lo, s52
	s_and_saveexec_b32 s52, s3
	s_cbranch_execnz .LBB168_105
	s_branch .LBB168_106
.LBB168_1126:                           ;   in Loop: Header=BB168_3 Depth=1
	ds_load_b64 v[36:37], v62 offset:576
	ds_load_b64 v[38:39], v57 offset:8
	s_wait_dscnt 0x0
	v_dual_mul_f32 v40, v39, v37 :: v_dual_mul_f32 v37, v38, v37
	s_delay_alu instid0(VALU_DEP_1) | instskip(NEXT) | instid1(VALU_DEP_1)
	v_dual_fma_f32 v38, v38, v36, -v40 :: v_dual_fmac_f32 v37, v39, v36
	v_dual_add_f32 v35, v35, v38 :: v_dual_add_f32 v34, v34, v37
	s_or_b32 exec_lo, exec_lo, s52
	s_and_saveexec_b32 s52, s20
	s_cbranch_execz .LBB168_146
.LBB168_1127:                           ;   in Loop: Header=BB168_3 Depth=1
	ds_load_b64 v[36:37], v62 offset:1088
	ds_load_b64 v[38:39], v57 offset:16
	s_wait_dscnt 0x0
	v_dual_mul_f32 v40, v39, v37 :: v_dual_mul_f32 v37, v38, v37
	s_delay_alu instid0(VALU_DEP_1) | instskip(NEXT) | instid1(VALU_DEP_1)
	v_dual_fma_f32 v38, v38, v36, -v40 :: v_dual_fmac_f32 v37, v39, v36
	v_dual_add_f32 v35, v35, v38 :: v_dual_add_f32 v34, v34, v37
	s_or_b32 exec_lo, exec_lo, s52
	s_and_saveexec_b32 s52, s21
	s_cbranch_execz .LBB168_147
.LBB168_1128:                           ;   in Loop: Header=BB168_3 Depth=1
	ds_load_b64 v[36:37], v62 offset:1600
	ds_load_b64 v[38:39], v57 offset:24
	s_wait_dscnt 0x0
	v_dual_mul_f32 v40, v39, v37 :: v_dual_mul_f32 v37, v38, v37
	s_delay_alu instid0(VALU_DEP_1) | instskip(NEXT) | instid1(VALU_DEP_1)
	v_dual_fma_f32 v38, v38, v36, -v40 :: v_dual_fmac_f32 v37, v39, v36
	v_dual_add_f32 v35, v35, v38 :: v_dual_add_f32 v34, v34, v37
	s_or_b32 exec_lo, exec_lo, s52
	s_and_saveexec_b32 s52, s22
	s_cbranch_execz .LBB168_148
.LBB168_1129:                           ;   in Loop: Header=BB168_3 Depth=1
	ds_load_b64 v[36:37], v61 offset:2112
	ds_load_b64 v[38:39], v57 offset:32
	s_wait_dscnt 0x0
	v_dual_mul_f32 v41, v39, v37 :: v_dual_mul_f32 v40, v38, v37
	s_delay_alu instid0(VALU_DEP_1) | instskip(NEXT) | instid1(VALU_DEP_1)
	v_dual_fma_f32 v41, v38, v36, -v41 :: v_dual_fmac_f32 v40, v39, v36
	v_pk_add_f32 v[34:35], v[34:35], v[40:41]
	s_or_b32 exec_lo, exec_lo, s52
	s_and_saveexec_b32 s52, s23
	s_cbranch_execz .LBB168_149
.LBB168_1130:                           ;   in Loop: Header=BB168_3 Depth=1
	ds_load_b64 v[36:37], v62 offset:2624
	ds_load_b64 v[38:39], v57 offset:40
	s_wait_dscnt 0x0
	v_pk_mul_f32 v[40:41], v[38:39], v[36:37] op_sel:[0,1]
	s_delay_alu instid0(VALU_DEP_1) | instskip(SKIP_1) | instid1(VALU_DEP_2)
	v_pk_fma_f32 v[98:99], v[38:39], v[36:37], v[40:41] op_sel:[1,0,0] op_sel_hi:[0,0,1] neg_lo:[0,0,1] neg_hi:[0,0,1]
	v_pk_fma_f32 v[36:37], v[38:39], v[36:37], v[40:41] op_sel:[1,0,0] op_sel_hi:[0,1,1]
	v_mov_b32_e32 v37, v99
	s_delay_alu instid0(VALU_DEP_1)
	v_pk_add_f32 v[34:35], v[34:35], v[36:37]
	s_or_b32 exec_lo, exec_lo, s52
	s_and_saveexec_b32 s52, s5
	s_cbranch_execz .LBB168_150
.LBB168_1131:                           ;   in Loop: Header=BB168_3 Depth=1
	ds_load_b64 v[36:37], v61 offset:3136
	ds_load_b64 v[38:39], v57 offset:48
	s_wait_dscnt 0x0
	v_pk_mul_f32 v[40:41], v[38:39], v[36:37] op_sel:[0,1]
	s_delay_alu instid0(VALU_DEP_1) | instskip(SKIP_1) | instid1(VALU_DEP_2)
	v_pk_fma_f32 v[98:99], v[38:39], v[36:37], v[40:41] op_sel:[1,0,0] op_sel_hi:[0,0,1] neg_lo:[0,0,1] neg_hi:[0,0,1]
	v_pk_fma_f32 v[36:37], v[38:39], v[36:37], v[40:41] op_sel:[1,0,0] op_sel_hi:[0,1,1]
	v_mov_b32_e32 v37, v99
	s_delay_alu instid0(VALU_DEP_1)
	v_pk_add_f32 v[34:35], v[34:35], v[36:37]
	s_or_b32 exec_lo, exec_lo, s52
	s_and_saveexec_b32 s52, s18
	s_cbranch_execnz .LBB168_151
	s_branch .LBB168_152
.LBB168_1132:                           ;   in Loop: Header=BB168_3 Depth=1
	ds_load_b64 v[36:37], v52 offset:4704
	ds_load_b64 v[38:39], v47 offset:4168
	s_wait_dscnt 0x0
	v_pk_mul_f32 v[40:41], v[38:39], v[36:37] op_sel:[0,1]
	s_delay_alu instid0(VALU_DEP_1) | instskip(SKIP_1) | instid1(VALU_DEP_2)
	v_pk_fma_f32 v[98:99], v[38:39], v[36:37], v[40:41] op_sel:[1,0,0] op_sel_hi:[0,0,1] neg_lo:[0,0,1] neg_hi:[0,0,1]
	v_pk_fma_f32 v[36:37], v[38:39], v[36:37], v[40:41] op_sel:[1,0,0] op_sel_hi:[0,1,1]
	v_mov_b32_e32 v37, v99
	s_delay_alu instid0(VALU_DEP_1)
	v_pk_add_f32 v[34:35], v[34:35], v[36:37]
	s_or_b32 exec_lo, exec_lo, s52
	s_and_saveexec_b32 s52, s18
	s_cbranch_execz .LBB168_208
.LBB168_1133:                           ;   in Loop: Header=BB168_3 Depth=1
	ds_load_b64 v[36:37], v51 offset:5216
	ds_load_b64 v[38:39], v47 offset:4176
	s_wait_dscnt 0x0
	v_pk_mul_f32 v[40:41], v[38:39], v[36:37] op_sel:[0,1]
	s_delay_alu instid0(VALU_DEP_1) | instskip(SKIP_1) | instid1(VALU_DEP_2)
	v_pk_fma_f32 v[98:99], v[38:39], v[36:37], v[40:41] op_sel:[1,0,0] op_sel_hi:[0,0,1] neg_lo:[0,0,1] neg_hi:[0,0,1]
	v_pk_fma_f32 v[36:37], v[38:39], v[36:37], v[40:41] op_sel:[1,0,0] op_sel_hi:[0,1,1]
	v_mov_b32_e32 v37, v99
	s_delay_alu instid0(VALU_DEP_1)
	v_pk_add_f32 v[34:35], v[34:35], v[36:37]
	s_or_b32 exec_lo, exec_lo, s52
	s_and_saveexec_b32 s52, s3
	s_cbranch_execnz .LBB168_209
	s_branch .LBB168_210
.LBB168_1134:                           ;   in Loop: Header=BB168_3 Depth=1
	ds_load_b64 v[36:37], v68 offset:5760
	ds_load_b64 v[38:39], v64 offset:88
	s_wait_dscnt 0x0
	v_dual_mul_f32 v40, v39, v37 :: v_dual_mul_f32 v37, v38, v37
	s_delay_alu instid0(VALU_DEP_1) | instskip(NEXT) | instid1(VALU_DEP_1)
	v_dual_fma_f32 v38, v38, v36, -v40 :: v_dual_fmac_f32 v37, v39, v36
	v_dual_add_f32 v35, v35, v38 :: v_dual_add_f32 v34, v34, v37
	s_or_b32 exec_lo, exec_lo, s51
	s_and_saveexec_b32 s51, s6
	s_cbranch_execz .LBB168_270
.LBB168_1135:                           ;   in Loop: Header=BB168_3 Depth=1
	ds_load_b64 v[36:37], v67 offset:6272
	ds_load_b64 v[38:39], v64 offset:96
	s_wait_dscnt 0x0
	v_dual_mul_f32 v41, v39, v37 :: v_dual_mul_f32 v40, v38, v37
	s_delay_alu instid0(VALU_DEP_1) | instskip(NEXT) | instid1(VALU_DEP_1)
	v_dual_fma_f32 v41, v38, v36, -v41 :: v_dual_fmac_f32 v40, v39, v36
	v_pk_add_f32 v[34:35], v[34:35], v[40:41]
	s_or_b32 exec_lo, exec_lo, s51
	s_and_saveexec_b32 s51, s20
	s_cbranch_execz .LBB168_271
.LBB168_1136:                           ;   in Loop: Header=BB168_3 Depth=1
	ds_load_b64 v[36:37], v68 offset:6784
	ds_load_b64 v[38:39], v64 offset:104
	s_wait_dscnt 0x0
	v_pk_mul_f32 v[40:41], v[38:39], v[36:37] op_sel:[0,1]
	s_delay_alu instid0(VALU_DEP_1) | instskip(SKIP_1) | instid1(VALU_DEP_2)
	v_pk_fma_f32 v[98:99], v[38:39], v[36:37], v[40:41] op_sel:[1,0,0] op_sel_hi:[0,0,1] neg_lo:[0,0,1] neg_hi:[0,0,1]
	v_pk_fma_f32 v[36:37], v[38:39], v[36:37], v[40:41] op_sel:[1,0,0] op_sel_hi:[0,1,1]
	v_mov_b32_e32 v37, v99
	s_delay_alu instid0(VALU_DEP_1)
	v_pk_add_f32 v[34:35], v[34:35], v[36:37]
	s_or_b32 exec_lo, exec_lo, s51
	s_and_saveexec_b32 s51, s22
	s_cbranch_execz .LBB168_272
.LBB168_1137:                           ;   in Loop: Header=BB168_3 Depth=1
	ds_load_b64 v[36:37], v67 offset:7296
	ds_load_b64 v[38:39], v64 offset:112
	s_wait_dscnt 0x0
	v_pk_mul_f32 v[40:41], v[38:39], v[36:37] op_sel:[0,1]
	s_delay_alu instid0(VALU_DEP_1) | instskip(SKIP_1) | instid1(VALU_DEP_2)
	v_pk_fma_f32 v[98:99], v[38:39], v[36:37], v[40:41] op_sel:[1,0,0] op_sel_hi:[0,0,1] neg_lo:[0,0,1] neg_hi:[0,0,1]
	v_pk_fma_f32 v[36:37], v[38:39], v[36:37], v[40:41] op_sel:[1,0,0] op_sel_hi:[0,1,1]
	v_mov_b32_e32 v37, v99
	s_delay_alu instid0(VALU_DEP_1)
	v_pk_add_f32 v[34:35], v[34:35], v[36:37]
	s_or_b32 exec_lo, exec_lo, s51
	s_and_saveexec_b32 s51, s5
	s_cbranch_execnz .LBB168_273
	s_branch .LBB168_274
.LBB168_1138:                           ;   in Loop: Header=BB168_3 Depth=1
	ds_load_b64 v[36:37], v52 offset:8864
	ds_load_b64 v[38:39], v47 offset:8328
	s_wait_dscnt 0x0
	v_pk_mul_f32 v[40:41], v[38:39], v[36:37] op_sel:[0,1]
	s_delay_alu instid0(VALU_DEP_1) | instskip(SKIP_1) | instid1(VALU_DEP_2)
	v_pk_fma_f32 v[98:99], v[38:39], v[36:37], v[40:41] op_sel:[1,0,0] op_sel_hi:[0,0,1] neg_lo:[0,0,1] neg_hi:[0,0,1]
	v_pk_fma_f32 v[36:37], v[38:39], v[36:37], v[40:41] op_sel:[1,0,0] op_sel_hi:[0,1,1]
	v_mov_b32_e32 v37, v99
	s_delay_alu instid0(VALU_DEP_1)
	v_pk_add_f32 v[34:35], v[34:35], v[36:37]
	s_or_b32 exec_lo, exec_lo, s52
	s_and_saveexec_b32 s52, s18
	s_cbranch_execz .LBB168_362
.LBB168_1139:                           ;   in Loop: Header=BB168_3 Depth=1
	ds_load_b64 v[36:37], v51 offset:9376
	ds_load_b64 v[38:39], v47 offset:8336
	s_wait_dscnt 0x0
	v_pk_mul_f32 v[40:41], v[38:39], v[36:37] op_sel:[0,1]
	s_delay_alu instid0(VALU_DEP_1) | instskip(SKIP_1) | instid1(VALU_DEP_2)
	v_pk_fma_f32 v[98:99], v[38:39], v[36:37], v[40:41] op_sel:[1,0,0] op_sel_hi:[0,0,1] neg_lo:[0,0,1] neg_hi:[0,0,1]
	v_pk_fma_f32 v[36:37], v[38:39], v[36:37], v[40:41] op_sel:[1,0,0] op_sel_hi:[0,1,1]
	v_mov_b32_e32 v37, v99
	s_delay_alu instid0(VALU_DEP_1)
	v_pk_add_f32 v[34:35], v[34:35], v[36:37]
	s_or_b32 exec_lo, exec_lo, s52
	s_and_saveexec_b32 s52, s3
	s_cbranch_execnz .LBB168_363
	s_branch .LBB168_364
.LBB168_1140:                           ;   in Loop: Header=BB168_3 Depth=1
	ds_load_b64 v[36:37], v62 offset:8896
	ds_load_b64 v[38:39], v57 offset:8328
	s_wait_dscnt 0x0
	v_dual_mul_f32 v40, v39, v37 :: v_dual_mul_f32 v37, v38, v37
	s_delay_alu instid0(VALU_DEP_1) | instskip(NEXT) | instid1(VALU_DEP_1)
	v_dual_fma_f32 v38, v38, v36, -v40 :: v_dual_fmac_f32 v37, v39, v36
	v_dual_add_f32 v35, v35, v38 :: v_dual_add_f32 v34, v34, v37
	s_or_b32 exec_lo, exec_lo, s52
	s_and_saveexec_b32 s52, s20
	s_cbranch_execz .LBB168_404
.LBB168_1141:                           ;   in Loop: Header=BB168_3 Depth=1
	ds_load_b64 v[36:37], v62 offset:9408
	ds_load_b64 v[38:39], v57 offset:8336
	s_wait_dscnt 0x0
	v_dual_mul_f32 v40, v39, v37 :: v_dual_mul_f32 v37, v38, v37
	s_delay_alu instid0(VALU_DEP_1) | instskip(NEXT) | instid1(VALU_DEP_1)
	v_dual_fma_f32 v38, v38, v36, -v40 :: v_dual_fmac_f32 v37, v39, v36
	v_dual_add_f32 v35, v35, v38 :: v_dual_add_f32 v34, v34, v37
	s_or_b32 exec_lo, exec_lo, s52
	s_and_saveexec_b32 s52, s21
	s_cbranch_execz .LBB168_405
.LBB168_1142:                           ;   in Loop: Header=BB168_3 Depth=1
	ds_load_b64 v[36:37], v62 offset:9920
	ds_load_b64 v[38:39], v57 offset:8344
	s_wait_dscnt 0x0
	v_dual_mul_f32 v40, v39, v37 :: v_dual_mul_f32 v37, v38, v37
	s_delay_alu instid0(VALU_DEP_1) | instskip(NEXT) | instid1(VALU_DEP_1)
	v_dual_fma_f32 v38, v38, v36, -v40 :: v_dual_fmac_f32 v37, v39, v36
	v_dual_add_f32 v35, v35, v38 :: v_dual_add_f32 v34, v34, v37
	s_or_b32 exec_lo, exec_lo, s52
	s_and_saveexec_b32 s52, s22
	s_cbranch_execz .LBB168_406
.LBB168_1143:                           ;   in Loop: Header=BB168_3 Depth=1
	ds_load_b64 v[36:37], v61 offset:10432
	ds_load_b64 v[38:39], v57 offset:8352
	s_wait_dscnt 0x0
	v_dual_mul_f32 v41, v39, v37 :: v_dual_mul_f32 v40, v38, v37
	s_delay_alu instid0(VALU_DEP_1) | instskip(NEXT) | instid1(VALU_DEP_1)
	v_dual_fma_f32 v41, v38, v36, -v41 :: v_dual_fmac_f32 v40, v39, v36
	v_pk_add_f32 v[34:35], v[34:35], v[40:41]
	s_or_b32 exec_lo, exec_lo, s52
	s_and_saveexec_b32 s52, s23
	s_cbranch_execz .LBB168_407
.LBB168_1144:                           ;   in Loop: Header=BB168_3 Depth=1
	ds_load_b64 v[36:37], v62 offset:10944
	ds_load_b64 v[38:39], v57 offset:8360
	s_wait_dscnt 0x0
	v_pk_mul_f32 v[40:41], v[38:39], v[36:37] op_sel:[0,1]
	s_delay_alu instid0(VALU_DEP_1) | instskip(SKIP_1) | instid1(VALU_DEP_2)
	v_pk_fma_f32 v[98:99], v[38:39], v[36:37], v[40:41] op_sel:[1,0,0] op_sel_hi:[0,0,1] neg_lo:[0,0,1] neg_hi:[0,0,1]
	v_pk_fma_f32 v[36:37], v[38:39], v[36:37], v[40:41] op_sel:[1,0,0] op_sel_hi:[0,1,1]
	v_mov_b32_e32 v37, v99
	s_delay_alu instid0(VALU_DEP_1)
	v_pk_add_f32 v[34:35], v[34:35], v[36:37]
	s_or_b32 exec_lo, exec_lo, s52
	s_and_saveexec_b32 s52, s5
	s_cbranch_execz .LBB168_408
.LBB168_1145:                           ;   in Loop: Header=BB168_3 Depth=1
	ds_load_b64 v[36:37], v61 offset:11456
	ds_load_b64 v[38:39], v57 offset:8368
	s_wait_dscnt 0x0
	v_pk_mul_f32 v[40:41], v[38:39], v[36:37] op_sel:[0,1]
	s_delay_alu instid0(VALU_DEP_1) | instskip(SKIP_1) | instid1(VALU_DEP_2)
	v_pk_fma_f32 v[98:99], v[38:39], v[36:37], v[40:41] op_sel:[1,0,0] op_sel_hi:[0,0,1] neg_lo:[0,0,1] neg_hi:[0,0,1]
	v_pk_fma_f32 v[36:37], v[38:39], v[36:37], v[40:41] op_sel:[1,0,0] op_sel_hi:[0,1,1]
	v_mov_b32_e32 v37, v99
	s_delay_alu instid0(VALU_DEP_1)
	v_pk_add_f32 v[34:35], v[34:35], v[36:37]
	s_or_b32 exec_lo, exec_lo, s52
	s_and_saveexec_b32 s52, s18
	s_cbranch_execnz .LBB168_409
	s_branch .LBB168_410
.LBB168_1146:                           ;   in Loop: Header=BB168_3 Depth=1
	ds_load_b64 v[36:37], v52 offset:13024
	ds_load_b64 v[38:39], v47 offset:12488
	s_wait_dscnt 0x0
	v_pk_mul_f32 v[40:41], v[38:39], v[36:37] op_sel:[0,1]
	s_delay_alu instid0(VALU_DEP_1) | instskip(SKIP_1) | instid1(VALU_DEP_2)
	v_pk_fma_f32 v[98:99], v[38:39], v[36:37], v[40:41] op_sel:[1,0,0] op_sel_hi:[0,0,1] neg_lo:[0,0,1] neg_hi:[0,0,1]
	v_pk_fma_f32 v[36:37], v[38:39], v[36:37], v[40:41] op_sel:[1,0,0] op_sel_hi:[0,1,1]
	v_mov_b32_e32 v37, v99
	s_delay_alu instid0(VALU_DEP_1)
	v_pk_add_f32 v[34:35], v[34:35], v[36:37]
	s_or_b32 exec_lo, exec_lo, s52
	s_and_saveexec_b32 s52, s18
	s_cbranch_execz .LBB168_466
.LBB168_1147:                           ;   in Loop: Header=BB168_3 Depth=1
	ds_load_b64 v[36:37], v51 offset:13536
	ds_load_b64 v[38:39], v47 offset:12496
	s_wait_dscnt 0x0
	v_pk_mul_f32 v[40:41], v[38:39], v[36:37] op_sel:[0,1]
	s_delay_alu instid0(VALU_DEP_1) | instskip(SKIP_1) | instid1(VALU_DEP_2)
	v_pk_fma_f32 v[98:99], v[38:39], v[36:37], v[40:41] op_sel:[1,0,0] op_sel_hi:[0,0,1] neg_lo:[0,0,1] neg_hi:[0,0,1]
	v_pk_fma_f32 v[36:37], v[38:39], v[36:37], v[40:41] op_sel:[1,0,0] op_sel_hi:[0,1,1]
	v_mov_b32_e32 v37, v99
	s_delay_alu instid0(VALU_DEP_1)
	v_pk_add_f32 v[34:35], v[34:35], v[36:37]
	s_or_b32 exec_lo, exec_lo, s52
	s_and_saveexec_b32 s52, s3
	s_cbranch_execnz .LBB168_467
	s_branch .LBB168_468
.LBB168_1148:                           ;   in Loop: Header=BB168_3 Depth=1
	ds_load_b64 v[38:39], v37 offset:15104
	ds_load_b64 v[40:41], v36 offset:232
	s_wait_dscnt 0x0
	v_pk_mul_f32 v[98:99], v[40:41], v[38:39] op_sel:[1,1] op_sel_hi:[0,1]
	s_delay_alu instid0(VALU_DEP_1) | instskip(SKIP_1) | instid1(VALU_DEP_2)
	v_pk_fma_f32 v[100:101], v[40:41], v[38:39], v[98:99] op_sel_hi:[1,0,1]
	v_pk_fma_f32 v[38:39], v[40:41], v[38:39], v[98:99] neg_lo:[0,0,1] neg_hi:[0,0,1]
	v_mov_b32_e32 v39, v101
	s_delay_alu instid0(VALU_DEP_1)
	v_pk_add_f32 v[34:35], v[34:35], v[38:39]
	s_or_b32 exec_lo, exec_lo, s51
	s_and_saveexec_b32 s51, s6
	s_cbranch_execz .LBB168_564
.LBB168_1149:                           ;   in Loop: Header=BB168_3 Depth=1
	ds_load_b64 v[38:39], v37 offset:15616
	ds_load_b64 v[40:41], v36 offset:240
	s_wait_dscnt 0x0
	v_pk_mul_f32 v[98:99], v[40:41], v[38:39] op_sel:[1,1] op_sel_hi:[0,1]
	s_delay_alu instid0(VALU_DEP_1) | instskip(SKIP_1) | instid1(VALU_DEP_2)
	v_pk_fma_f32 v[100:101], v[40:41], v[38:39], v[98:99] op_sel_hi:[1,0,1]
	v_pk_fma_f32 v[38:39], v[40:41], v[38:39], v[98:99] neg_lo:[0,0,1] neg_hi:[0,0,1]
	v_mov_b32_e32 v39, v101
	s_delay_alu instid0(VALU_DEP_1)
	v_pk_add_f32 v[34:35], v[34:35], v[38:39]
	s_or_b32 exec_lo, exec_lo, s51
	s_and_saveexec_b32 s51, s22
	s_cbranch_execnz .LBB168_565
	s_branch .LBB168_566
.LBB168_1150:                           ;   in Loop: Header=BB168_3 Depth=1
	ds_load_b64 v[36:37], v52 offset:17184
	ds_load_b64 v[38:39], v47 offset:16648
	s_wait_dscnt 0x0
	v_pk_mul_f32 v[40:41], v[38:39], v[36:37] op_sel:[0,1]
	s_delay_alu instid0(VALU_DEP_1) | instskip(SKIP_1) | instid1(VALU_DEP_2)
	v_pk_fma_f32 v[98:99], v[38:39], v[36:37], v[40:41] op_sel:[1,0,0] op_sel_hi:[0,0,1] neg_lo:[0,0,1] neg_hi:[0,0,1]
	v_pk_fma_f32 v[36:37], v[38:39], v[36:37], v[40:41] op_sel:[1,0,0] op_sel_hi:[0,1,1]
	v_mov_b32_e32 v37, v99
	s_delay_alu instid0(VALU_DEP_1)
	v_pk_add_f32 v[34:35], v[34:35], v[36:37]
	s_or_b32 exec_lo, exec_lo, s52
	s_and_saveexec_b32 s52, s18
	s_cbranch_execz .LBB168_602
.LBB168_1151:                           ;   in Loop: Header=BB168_3 Depth=1
	ds_load_b64 v[36:37], v51 offset:17696
	ds_load_b64 v[38:39], v47 offset:16656
	s_wait_dscnt 0x0
	v_pk_mul_f32 v[40:41], v[38:39], v[36:37] op_sel:[0,1]
	s_delay_alu instid0(VALU_DEP_1) | instskip(SKIP_1) | instid1(VALU_DEP_2)
	v_pk_fma_f32 v[98:99], v[38:39], v[36:37], v[40:41] op_sel:[1,0,0] op_sel_hi:[0,0,1] neg_lo:[0,0,1] neg_hi:[0,0,1]
	v_pk_fma_f32 v[36:37], v[38:39], v[36:37], v[40:41] op_sel:[1,0,0] op_sel_hi:[0,1,1]
	v_mov_b32_e32 v37, v99
	s_delay_alu instid0(VALU_DEP_1)
	v_pk_add_f32 v[34:35], v[34:35], v[36:37]
	s_or_b32 exec_lo, exec_lo, s52
	s_and_saveexec_b32 s52, s3
	s_cbranch_execnz .LBB168_603
	s_branch .LBB168_604
.LBB168_1152:                           ;   in Loop: Header=BB168_3 Depth=1
	ds_load_b64 v[36:37], v62 offset:17216
	ds_load_b64 v[38:39], v57 offset:16648
	s_wait_dscnt 0x0
	v_dual_mul_f32 v40, v39, v37 :: v_dual_mul_f32 v37, v38, v37
	s_delay_alu instid0(VALU_DEP_1) | instskip(NEXT) | instid1(VALU_DEP_1)
	v_dual_fma_f32 v38, v38, v36, -v40 :: v_dual_fmac_f32 v37, v39, v36
	v_dual_add_f32 v35, v35, v38 :: v_dual_add_f32 v34, v34, v37
	s_or_b32 exec_lo, exec_lo, s52
	s_and_saveexec_b32 s52, s20
	s_cbranch_execz .LBB168_644
.LBB168_1153:                           ;   in Loop: Header=BB168_3 Depth=1
	ds_load_b64 v[36:37], v62 offset:17728
	ds_load_b64 v[38:39], v57 offset:16656
	s_wait_dscnt 0x0
	v_dual_mul_f32 v40, v39, v37 :: v_dual_mul_f32 v37, v38, v37
	s_delay_alu instid0(VALU_DEP_1) | instskip(NEXT) | instid1(VALU_DEP_1)
	v_dual_fma_f32 v38, v38, v36, -v40 :: v_dual_fmac_f32 v37, v39, v36
	v_dual_add_f32 v35, v35, v38 :: v_dual_add_f32 v34, v34, v37
	s_or_b32 exec_lo, exec_lo, s52
	s_and_saveexec_b32 s52, s21
	s_cbranch_execz .LBB168_645
.LBB168_1154:                           ;   in Loop: Header=BB168_3 Depth=1
	ds_load_b64 v[36:37], v62 offset:18240
	ds_load_b64 v[38:39], v57 offset:16664
	s_wait_dscnt 0x0
	v_dual_mul_f32 v40, v39, v37 :: v_dual_mul_f32 v37, v38, v37
	s_delay_alu instid0(VALU_DEP_1) | instskip(NEXT) | instid1(VALU_DEP_1)
	v_dual_fma_f32 v38, v38, v36, -v40 :: v_dual_fmac_f32 v37, v39, v36
	v_dual_add_f32 v35, v35, v38 :: v_dual_add_f32 v34, v34, v37
	s_or_b32 exec_lo, exec_lo, s52
	s_and_saveexec_b32 s52, s22
	s_cbranch_execz .LBB168_646
.LBB168_1155:                           ;   in Loop: Header=BB168_3 Depth=1
	ds_load_b64 v[36:37], v61 offset:18752
	ds_load_b64 v[38:39], v57 offset:16672
	s_wait_dscnt 0x0
	v_dual_mul_f32 v41, v39, v37 :: v_dual_mul_f32 v40, v38, v37
	s_delay_alu instid0(VALU_DEP_1) | instskip(NEXT) | instid1(VALU_DEP_1)
	v_dual_fma_f32 v41, v38, v36, -v41 :: v_dual_fmac_f32 v40, v39, v36
	v_pk_add_f32 v[34:35], v[34:35], v[40:41]
	s_or_b32 exec_lo, exec_lo, s52
	s_and_saveexec_b32 s52, s23
	s_cbranch_execz .LBB168_647
.LBB168_1156:                           ;   in Loop: Header=BB168_3 Depth=1
	ds_load_b64 v[36:37], v62 offset:19264
	ds_load_b64 v[38:39], v57 offset:16680
	s_wait_dscnt 0x0
	v_pk_mul_f32 v[40:41], v[38:39], v[36:37] op_sel:[0,1]
	s_delay_alu instid0(VALU_DEP_1) | instskip(SKIP_1) | instid1(VALU_DEP_2)
	v_pk_fma_f32 v[98:99], v[38:39], v[36:37], v[40:41] op_sel:[1,0,0] op_sel_hi:[0,0,1] neg_lo:[0,0,1] neg_hi:[0,0,1]
	v_pk_fma_f32 v[36:37], v[38:39], v[36:37], v[40:41] op_sel:[1,0,0] op_sel_hi:[0,1,1]
	v_mov_b32_e32 v37, v99
	s_delay_alu instid0(VALU_DEP_1)
	v_pk_add_f32 v[34:35], v[34:35], v[36:37]
	s_or_b32 exec_lo, exec_lo, s52
	s_and_saveexec_b32 s52, s5
	s_cbranch_execz .LBB168_648
.LBB168_1157:                           ;   in Loop: Header=BB168_3 Depth=1
	ds_load_b64 v[36:37], v61 offset:19776
	ds_load_b64 v[38:39], v57 offset:16688
	s_wait_dscnt 0x0
	v_pk_mul_f32 v[40:41], v[38:39], v[36:37] op_sel:[0,1]
	s_delay_alu instid0(VALU_DEP_1) | instskip(SKIP_1) | instid1(VALU_DEP_2)
	v_pk_fma_f32 v[98:99], v[38:39], v[36:37], v[40:41] op_sel:[1,0,0] op_sel_hi:[0,0,1] neg_lo:[0,0,1] neg_hi:[0,0,1]
	v_pk_fma_f32 v[36:37], v[38:39], v[36:37], v[40:41] op_sel:[1,0,0] op_sel_hi:[0,1,1]
	v_mov_b32_e32 v37, v99
	s_delay_alu instid0(VALU_DEP_1)
	v_pk_add_f32 v[34:35], v[34:35], v[36:37]
	s_or_b32 exec_lo, exec_lo, s52
	s_and_saveexec_b32 s52, s18
	s_cbranch_execnz .LBB168_649
	s_branch .LBB168_650
.LBB168_1158:                           ;   in Loop: Header=BB168_3 Depth=1
	ds_load_b64 v[36:37], v52 offset:21344
	ds_load_b64 v[38:39], v47 offset:20808
	s_wait_dscnt 0x0
	v_pk_mul_f32 v[40:41], v[38:39], v[36:37] op_sel:[0,1]
	s_delay_alu instid0(VALU_DEP_1) | instskip(SKIP_1) | instid1(VALU_DEP_2)
	v_pk_fma_f32 v[98:99], v[38:39], v[36:37], v[40:41] op_sel:[1,0,0] op_sel_hi:[0,0,1] neg_lo:[0,0,1] neg_hi:[0,0,1]
	v_pk_fma_f32 v[36:37], v[38:39], v[36:37], v[40:41] op_sel:[1,0,0] op_sel_hi:[0,1,1]
	v_mov_b32_e32 v37, v99
	s_delay_alu instid0(VALU_DEP_1)
	v_pk_add_f32 v[34:35], v[34:35], v[36:37]
	s_or_b32 exec_lo, exec_lo, s52
	s_and_saveexec_b32 s52, s18
	s_cbranch_execz .LBB168_706
.LBB168_1159:                           ;   in Loop: Header=BB168_3 Depth=1
	ds_load_b64 v[36:37], v51 offset:21856
	ds_load_b64 v[38:39], v47 offset:20816
	s_wait_dscnt 0x0
	v_pk_mul_f32 v[40:41], v[38:39], v[36:37] op_sel:[0,1]
	s_delay_alu instid0(VALU_DEP_1) | instskip(SKIP_1) | instid1(VALU_DEP_2)
	v_pk_fma_f32 v[98:99], v[38:39], v[36:37], v[40:41] op_sel:[1,0,0] op_sel_hi:[0,0,1] neg_lo:[0,0,1] neg_hi:[0,0,1]
	v_pk_fma_f32 v[36:37], v[38:39], v[36:37], v[40:41] op_sel:[1,0,0] op_sel_hi:[0,1,1]
	v_mov_b32_e32 v37, v99
	s_delay_alu instid0(VALU_DEP_1)
	v_pk_add_f32 v[34:35], v[34:35], v[36:37]
	s_or_b32 exec_lo, exec_lo, s52
	s_and_saveexec_b32 s52, s3
	s_cbranch_execnz .LBB168_707
	s_branch .LBB168_708
.LBB168_1160:                           ;   in Loop: Header=BB168_3 Depth=1
	ds_load_b64 v[36:37], v68 offset:22400
	ds_load_b64 v[38:39], v64 offset:16728
	s_wait_dscnt 0x0
	v_dual_mul_f32 v40, v39, v37 :: v_dual_mul_f32 v37, v38, v37
	s_delay_alu instid0(VALU_DEP_1) | instskip(NEXT) | instid1(VALU_DEP_1)
	v_dual_fma_f32 v38, v38, v36, -v40 :: v_dual_fmac_f32 v37, v39, v36
	v_dual_add_f32 v35, v35, v38 :: v_dual_add_f32 v34, v34, v37
	s_or_b32 exec_lo, exec_lo, s51
	s_and_saveexec_b32 s51, s6
	s_cbranch_execz .LBB168_768
.LBB168_1161:                           ;   in Loop: Header=BB168_3 Depth=1
	ds_load_b64 v[36:37], v67 offset:22912
	ds_load_b64 v[38:39], v64 offset:16736
	s_wait_dscnt 0x0
	v_dual_mul_f32 v41, v39, v37 :: v_dual_mul_f32 v40, v38, v37
	s_delay_alu instid0(VALU_DEP_1) | instskip(NEXT) | instid1(VALU_DEP_1)
	v_dual_fma_f32 v41, v38, v36, -v41 :: v_dual_fmac_f32 v40, v39, v36
	v_pk_add_f32 v[34:35], v[34:35], v[40:41]
	s_or_b32 exec_lo, exec_lo, s51
	s_and_saveexec_b32 s51, s20
	s_cbranch_execz .LBB168_769
.LBB168_1162:                           ;   in Loop: Header=BB168_3 Depth=1
	ds_load_b64 v[36:37], v68 offset:23424
	ds_load_b64 v[38:39], v64 offset:16744
	s_wait_dscnt 0x0
	v_pk_mul_f32 v[40:41], v[38:39], v[36:37] op_sel:[0,1]
	s_delay_alu instid0(VALU_DEP_1) | instskip(SKIP_1) | instid1(VALU_DEP_2)
	v_pk_fma_f32 v[98:99], v[38:39], v[36:37], v[40:41] op_sel:[1,0,0] op_sel_hi:[0,0,1] neg_lo:[0,0,1] neg_hi:[0,0,1]
	v_pk_fma_f32 v[36:37], v[38:39], v[36:37], v[40:41] op_sel:[1,0,0] op_sel_hi:[0,1,1]
	v_mov_b32_e32 v37, v99
	s_delay_alu instid0(VALU_DEP_1)
	v_pk_add_f32 v[34:35], v[34:35], v[36:37]
	s_or_b32 exec_lo, exec_lo, s51
	s_and_saveexec_b32 s51, s22
	s_cbranch_execz .LBB168_770
.LBB168_1163:                           ;   in Loop: Header=BB168_3 Depth=1
	ds_load_b64 v[36:37], v67 offset:23936
	ds_load_b64 v[38:39], v64 offset:16752
	s_wait_dscnt 0x0
	v_pk_mul_f32 v[40:41], v[38:39], v[36:37] op_sel:[0,1]
	s_delay_alu instid0(VALU_DEP_1) | instskip(SKIP_1) | instid1(VALU_DEP_2)
	v_pk_fma_f32 v[98:99], v[38:39], v[36:37], v[40:41] op_sel:[1,0,0] op_sel_hi:[0,0,1] neg_lo:[0,0,1] neg_hi:[0,0,1]
	v_pk_fma_f32 v[36:37], v[38:39], v[36:37], v[40:41] op_sel:[1,0,0] op_sel_hi:[0,1,1]
	v_mov_b32_e32 v37, v99
	s_delay_alu instid0(VALU_DEP_1)
	v_pk_add_f32 v[34:35], v[34:35], v[36:37]
	s_or_b32 exec_lo, exec_lo, s51
	s_and_saveexec_b32 s51, s5
	s_cbranch_execnz .LBB168_771
	s_branch .LBB168_772
.LBB168_1164:                           ;   in Loop: Header=BB168_3 Depth=1
	ds_load_b64 v[36:37], v52 offset:25504
	ds_load_b64 v[38:39], v47 offset:24968
	s_wait_dscnt 0x0
	v_pk_mul_f32 v[40:41], v[38:39], v[36:37] op_sel:[0,1]
	s_delay_alu instid0(VALU_DEP_1) | instskip(SKIP_1) | instid1(VALU_DEP_2)
	v_pk_fma_f32 v[98:99], v[38:39], v[36:37], v[40:41] op_sel:[1,0,0] op_sel_hi:[0,0,1] neg_lo:[0,0,1] neg_hi:[0,0,1]
	v_pk_fma_f32 v[36:37], v[38:39], v[36:37], v[40:41] op_sel:[1,0,0] op_sel_hi:[0,1,1]
	v_mov_b32_e32 v37, v99
	s_delay_alu instid0(VALU_DEP_1)
	v_pk_add_f32 v[34:35], v[34:35], v[36:37]
	s_or_b32 exec_lo, exec_lo, s52
	s_and_saveexec_b32 s52, s18
	s_cbranch_execz .LBB168_860
.LBB168_1165:                           ;   in Loop: Header=BB168_3 Depth=1
	ds_load_b64 v[36:37], v51 offset:26016
	ds_load_b64 v[38:39], v47 offset:24976
	s_wait_dscnt 0x0
	v_pk_mul_f32 v[40:41], v[38:39], v[36:37] op_sel:[0,1]
	s_delay_alu instid0(VALU_DEP_1) | instskip(SKIP_1) | instid1(VALU_DEP_2)
	v_pk_fma_f32 v[98:99], v[38:39], v[36:37], v[40:41] op_sel:[1,0,0] op_sel_hi:[0,0,1] neg_lo:[0,0,1] neg_hi:[0,0,1]
	v_pk_fma_f32 v[36:37], v[38:39], v[36:37], v[40:41] op_sel:[1,0,0] op_sel_hi:[0,1,1]
	v_mov_b32_e32 v37, v99
	s_delay_alu instid0(VALU_DEP_1)
	v_pk_add_f32 v[34:35], v[34:35], v[36:37]
	s_or_b32 exec_lo, exec_lo, s52
	s_and_saveexec_b32 s52, s3
	s_cbranch_execnz .LBB168_861
	s_branch .LBB168_862
.LBB168_1166:                           ;   in Loop: Header=BB168_3 Depth=1
	ds_load_b64 v[36:37], v62 offset:25536
	ds_load_b64 v[38:39], v57 offset:24968
	s_wait_dscnt 0x0
	v_dual_mul_f32 v40, v39, v37 :: v_dual_mul_f32 v37, v38, v37
	s_delay_alu instid0(VALU_DEP_1) | instskip(NEXT) | instid1(VALU_DEP_1)
	v_dual_fma_f32 v38, v38, v36, -v40 :: v_dual_fmac_f32 v37, v39, v36
	v_dual_add_f32 v35, v35, v38 :: v_dual_add_f32 v34, v34, v37
	s_or_b32 exec_lo, exec_lo, s52
	s_and_saveexec_b32 s52, s20
	s_cbranch_execz .LBB168_902
.LBB168_1167:                           ;   in Loop: Header=BB168_3 Depth=1
	ds_load_b64 v[36:37], v62 offset:26048
	ds_load_b64 v[38:39], v57 offset:24976
	s_wait_dscnt 0x0
	v_dual_mul_f32 v40, v39, v37 :: v_dual_mul_f32 v37, v38, v37
	s_delay_alu instid0(VALU_DEP_1) | instskip(NEXT) | instid1(VALU_DEP_1)
	v_dual_fma_f32 v38, v38, v36, -v40 :: v_dual_fmac_f32 v37, v39, v36
	v_dual_add_f32 v35, v35, v38 :: v_dual_add_f32 v34, v34, v37
	s_or_b32 exec_lo, exec_lo, s52
	s_and_saveexec_b32 s52, s21
	s_cbranch_execz .LBB168_903
.LBB168_1168:                           ;   in Loop: Header=BB168_3 Depth=1
	ds_load_b64 v[36:37], v62 offset:26560
	ds_load_b64 v[38:39], v57 offset:24984
	s_wait_dscnt 0x0
	v_dual_mul_f32 v40, v39, v37 :: v_dual_mul_f32 v37, v38, v37
	s_delay_alu instid0(VALU_DEP_1) | instskip(NEXT) | instid1(VALU_DEP_1)
	v_dual_fma_f32 v38, v38, v36, -v40 :: v_dual_fmac_f32 v37, v39, v36
	v_dual_add_f32 v35, v35, v38 :: v_dual_add_f32 v34, v34, v37
	s_or_b32 exec_lo, exec_lo, s52
	s_and_saveexec_b32 s52, s22
	s_cbranch_execz .LBB168_904
.LBB168_1169:                           ;   in Loop: Header=BB168_3 Depth=1
	ds_load_b64 v[36:37], v61 offset:27072
	ds_load_b64 v[38:39], v57 offset:24992
	s_wait_dscnt 0x0
	v_dual_mul_f32 v41, v39, v37 :: v_dual_mul_f32 v40, v38, v37
	s_delay_alu instid0(VALU_DEP_1) | instskip(NEXT) | instid1(VALU_DEP_1)
	v_dual_fma_f32 v41, v38, v36, -v41 :: v_dual_fmac_f32 v40, v39, v36
	v_pk_add_f32 v[34:35], v[34:35], v[40:41]
	s_or_b32 exec_lo, exec_lo, s52
	s_and_saveexec_b32 s52, s23
	s_cbranch_execz .LBB168_905
.LBB168_1170:                           ;   in Loop: Header=BB168_3 Depth=1
	ds_load_b64 v[36:37], v62 offset:27584
	ds_load_b64 v[38:39], v57 offset:25000
	s_wait_dscnt 0x0
	v_pk_mul_f32 v[40:41], v[38:39], v[36:37] op_sel:[0,1]
	s_delay_alu instid0(VALU_DEP_1) | instskip(SKIP_1) | instid1(VALU_DEP_2)
	v_pk_fma_f32 v[98:99], v[38:39], v[36:37], v[40:41] op_sel:[1,0,0] op_sel_hi:[0,0,1] neg_lo:[0,0,1] neg_hi:[0,0,1]
	v_pk_fma_f32 v[36:37], v[38:39], v[36:37], v[40:41] op_sel:[1,0,0] op_sel_hi:[0,1,1]
	v_mov_b32_e32 v37, v99
	s_delay_alu instid0(VALU_DEP_1)
	v_pk_add_f32 v[34:35], v[34:35], v[36:37]
	s_or_b32 exec_lo, exec_lo, s52
	s_and_saveexec_b32 s52, s5
	s_cbranch_execz .LBB168_906
.LBB168_1171:                           ;   in Loop: Header=BB168_3 Depth=1
	ds_load_b64 v[36:37], v61 offset:28096
	ds_load_b64 v[38:39], v57 offset:25008
	s_wait_dscnt 0x0
	v_pk_mul_f32 v[40:41], v[38:39], v[36:37] op_sel:[0,1]
	s_delay_alu instid0(VALU_DEP_1) | instskip(SKIP_1) | instid1(VALU_DEP_2)
	v_pk_fma_f32 v[98:99], v[38:39], v[36:37], v[40:41] op_sel:[1,0,0] op_sel_hi:[0,0,1] neg_lo:[0,0,1] neg_hi:[0,0,1]
	v_pk_fma_f32 v[36:37], v[38:39], v[36:37], v[40:41] op_sel:[1,0,0] op_sel_hi:[0,1,1]
	v_mov_b32_e32 v37, v99
	s_delay_alu instid0(VALU_DEP_1)
	v_pk_add_f32 v[34:35], v[34:35], v[36:37]
	s_or_b32 exec_lo, exec_lo, s52
	s_and_saveexec_b32 s52, s18
	s_cbranch_execnz .LBB168_907
	s_branch .LBB168_908
.LBB168_1172:                           ;   in Loop: Header=BB168_3 Depth=1
	ds_load_b64 v[36:37], v52 offset:29664
	ds_load_b64 v[38:39], v47 offset:29128
	s_wait_dscnt 0x0
	v_pk_mul_f32 v[40:41], v[38:39], v[36:37] op_sel:[0,1]
	s_delay_alu instid0(VALU_DEP_1) | instskip(SKIP_1) | instid1(VALU_DEP_2)
	v_pk_fma_f32 v[98:99], v[38:39], v[36:37], v[40:41] op_sel:[1,0,0] op_sel_hi:[0,0,1] neg_lo:[0,0,1] neg_hi:[0,0,1]
	v_pk_fma_f32 v[36:37], v[38:39], v[36:37], v[40:41] op_sel:[1,0,0] op_sel_hi:[0,1,1]
	v_mov_b32_e32 v37, v99
	s_delay_alu instid0(VALU_DEP_1)
	v_pk_add_f32 v[34:35], v[34:35], v[36:37]
	s_or_b32 exec_lo, exec_lo, s52
	s_and_saveexec_b32 s52, s18
	s_cbranch_execz .LBB168_964
.LBB168_1173:                           ;   in Loop: Header=BB168_3 Depth=1
	ds_load_b64 v[36:37], v51 offset:30176
	ds_load_b64 v[38:39], v47 offset:29136
	s_wait_dscnt 0x0
	v_pk_mul_f32 v[40:41], v[38:39], v[36:37] op_sel:[0,1]
	s_delay_alu instid0(VALU_DEP_1) | instskip(SKIP_1) | instid1(VALU_DEP_2)
	v_pk_fma_f32 v[98:99], v[38:39], v[36:37], v[40:41] op_sel:[1,0,0] op_sel_hi:[0,0,1] neg_lo:[0,0,1] neg_hi:[0,0,1]
	v_pk_fma_f32 v[36:37], v[38:39], v[36:37], v[40:41] op_sel:[1,0,0] op_sel_hi:[0,1,1]
	v_mov_b32_e32 v37, v99
	s_delay_alu instid0(VALU_DEP_1)
	v_pk_add_f32 v[34:35], v[34:35], v[36:37]
	s_or_b32 exec_lo, exec_lo, s52
	s_and_saveexec_b32 s52, s3
	s_cbranch_execnz .LBB168_965
	s_branch .LBB168_966
.LBB168_1174:
	s_endpgm
	.section	.rodata,"a",@progbits
	.p2align	6, 0x0
	.amdhsa_kernel _ZL19rocblas_trsv_deviceILi64ELi16ELb1ELb1ELb1ELb0E19rocblas_complex_numIfES1_PKPKS1_PKPS1_EviT7_lllT6_T8_lllPii
		.amdhsa_group_segment_fixed_size 41480
		.amdhsa_private_segment_fixed_size 0
		.amdhsa_kernarg_size 352
		.amdhsa_user_sgpr_count 2
		.amdhsa_user_sgpr_dispatch_ptr 0
		.amdhsa_user_sgpr_queue_ptr 0
		.amdhsa_user_sgpr_kernarg_segment_ptr 1
		.amdhsa_user_sgpr_dispatch_id 0
		.amdhsa_user_sgpr_kernarg_preload_length 0
		.amdhsa_user_sgpr_kernarg_preload_offset 0
		.amdhsa_user_sgpr_private_segment_size 0
		.amdhsa_wavefront_size32 1
		.amdhsa_uses_dynamic_stack 0
		.amdhsa_enable_private_segment 0
		.amdhsa_system_sgpr_workgroup_id_x 1
		.amdhsa_system_sgpr_workgroup_id_y 0
		.amdhsa_system_sgpr_workgroup_id_z 1
		.amdhsa_system_sgpr_workgroup_info 0
		.amdhsa_system_vgpr_workitem_id 1
		.amdhsa_next_free_vgpr 109
		.amdhsa_next_free_sgpr 105
		.amdhsa_named_barrier_count 0
		.amdhsa_reserve_vcc 1
		.amdhsa_float_round_mode_32 0
		.amdhsa_float_round_mode_16_64 0
		.amdhsa_float_denorm_mode_32 3
		.amdhsa_float_denorm_mode_16_64 3
		.amdhsa_fp16_overflow 0
		.amdhsa_memory_ordered 1
		.amdhsa_forward_progress 1
		.amdhsa_inst_pref_size 255
		.amdhsa_round_robin_scheduling 0
		.amdhsa_exception_fp_ieee_invalid_op 0
		.amdhsa_exception_fp_denorm_src 0
		.amdhsa_exception_fp_ieee_div_zero 0
		.amdhsa_exception_fp_ieee_overflow 0
		.amdhsa_exception_fp_ieee_underflow 0
		.amdhsa_exception_fp_ieee_inexact 0
		.amdhsa_exception_int_div_zero 0
	.end_amdhsa_kernel
	.section	.text._ZL19rocblas_trsv_deviceILi64ELi16ELb1ELb1ELb1ELb0E19rocblas_complex_numIfES1_PKPKS1_PKPS1_EviT7_lllT6_T8_lllPii,"axG",@progbits,_ZL19rocblas_trsv_deviceILi64ELi16ELb1ELb1ELb1ELb0E19rocblas_complex_numIfES1_PKPKS1_PKPS1_EviT7_lllT6_T8_lllPii,comdat
.Lfunc_end168:
	.size	_ZL19rocblas_trsv_deviceILi64ELi16ELb1ELb1ELb1ELb0E19rocblas_complex_numIfES1_PKPKS1_PKPS1_EviT7_lllT6_T8_lllPii, .Lfunc_end168-_ZL19rocblas_trsv_deviceILi64ELi16ELb1ELb1ELb1ELb0E19rocblas_complex_numIfES1_PKPKS1_PKPS1_EviT7_lllT6_T8_lllPii
                                        ; -- End function
	.set _ZL19rocblas_trsv_deviceILi64ELi16ELb1ELb1ELb1ELb0E19rocblas_complex_numIfES1_PKPKS1_PKPS1_EviT7_lllT6_T8_lllPii.num_vgpr, 109
	.set _ZL19rocblas_trsv_deviceILi64ELi16ELb1ELb1ELb1ELb0E19rocblas_complex_numIfES1_PKPKS1_PKPS1_EviT7_lllT6_T8_lllPii.num_agpr, 0
	.set _ZL19rocblas_trsv_deviceILi64ELi16ELb1ELb1ELb1ELb0E19rocblas_complex_numIfES1_PKPKS1_PKPS1_EviT7_lllT6_T8_lllPii.numbered_sgpr, 105
	.set _ZL19rocblas_trsv_deviceILi64ELi16ELb1ELb1ELb1ELb0E19rocblas_complex_numIfES1_PKPKS1_PKPS1_EviT7_lllT6_T8_lllPii.num_named_barrier, 0
	.set _ZL19rocblas_trsv_deviceILi64ELi16ELb1ELb1ELb1ELb0E19rocblas_complex_numIfES1_PKPKS1_PKPS1_EviT7_lllT6_T8_lllPii.private_seg_size, 0
	.set _ZL19rocblas_trsv_deviceILi64ELi16ELb1ELb1ELb1ELb0E19rocblas_complex_numIfES1_PKPKS1_PKPS1_EviT7_lllT6_T8_lllPii.uses_vcc, 1
	.set _ZL19rocblas_trsv_deviceILi64ELi16ELb1ELb1ELb1ELb0E19rocblas_complex_numIfES1_PKPKS1_PKPS1_EviT7_lllT6_T8_lllPii.uses_flat_scratch, 0
	.set _ZL19rocblas_trsv_deviceILi64ELi16ELb1ELb1ELb1ELb0E19rocblas_complex_numIfES1_PKPKS1_PKPS1_EviT7_lllT6_T8_lllPii.has_dyn_sized_stack, 0
	.set _ZL19rocblas_trsv_deviceILi64ELi16ELb1ELb1ELb1ELb0E19rocblas_complex_numIfES1_PKPKS1_PKPS1_EviT7_lllT6_T8_lllPii.has_recursion, 0
	.set _ZL19rocblas_trsv_deviceILi64ELi16ELb1ELb1ELb1ELb0E19rocblas_complex_numIfES1_PKPKS1_PKPS1_EviT7_lllT6_T8_lllPii.has_indirect_call, 0
	.section	.AMDGPU.csdata,"",@progbits
; Kernel info:
; codeLenInByte = 55228
; TotalNumSgprs: 107
; NumVgprs: 109
; ScratchSize: 0
; MemoryBound: 0
; FloatMode: 240
; IeeeMode: 1
; LDSByteSize: 41480 bytes/workgroup (compile time only)
; SGPRBlocks: 0
; VGPRBlocks: 6
; NumSGPRsForWavesPerEU: 107
; NumVGPRsForWavesPerEU: 109
; NamedBarCnt: 0
; Occupancy: 9
; WaveLimiterHint : 1
; COMPUTE_PGM_RSRC2:SCRATCH_EN: 0
; COMPUTE_PGM_RSRC2:USER_SGPR: 2
; COMPUTE_PGM_RSRC2:TRAP_HANDLER: 0
; COMPUTE_PGM_RSRC2:TGID_X_EN: 1
; COMPUTE_PGM_RSRC2:TGID_Y_EN: 0
; COMPUTE_PGM_RSRC2:TGID_Z_EN: 1
; COMPUTE_PGM_RSRC2:TIDIG_COMP_CNT: 1
	.section	.text._ZL19rocblas_trsv_deviceILi32ELi16ELb0ELb0ELb0ELb1E19rocblas_complex_numIdEPKS1_PKS3_PKPS1_EviT7_lllT6_T8_lllPii,"axG",@progbits,_ZL19rocblas_trsv_deviceILi32ELi16ELb0ELb0ELb0ELb1E19rocblas_complex_numIdEPKS1_PKS3_PKPS1_EviT7_lllT6_T8_lllPii,comdat
	.globl	_ZL19rocblas_trsv_deviceILi32ELi16ELb0ELb0ELb0ELb1E19rocblas_complex_numIdEPKS1_PKS3_PKPS1_EviT7_lllT6_T8_lllPii ; -- Begin function _ZL19rocblas_trsv_deviceILi32ELi16ELb0ELb0ELb0ELb1E19rocblas_complex_numIdEPKS1_PKS3_PKPS1_EviT7_lllT6_T8_lllPii
	.p2align	8
	.type	_ZL19rocblas_trsv_deviceILi32ELi16ELb0ELb0ELb0ELb1E19rocblas_complex_numIdEPKS1_PKS3_PKPS1_EviT7_lllT6_T8_lllPii,@function
_ZL19rocblas_trsv_deviceILi32ELi16ELb0ELb0ELb0ELb1E19rocblas_complex_numIdEPKS1_PKS3_PKPS1_EviT7_lllT6_T8_lllPii: ; @_ZL19rocblas_trsv_deviceILi32ELi16ELb0ELb0ELb0ELb1E19rocblas_complex_numIdEPKS1_PKS3_PKPS1_EviT7_lllT6_T8_lllPii
; %bb.0:
	s_load_b32 s35, s[0:1], 0x58
	s_bfe_u32 s2, ttmp6, 0x40014
	s_lshr_b32 s3, ttmp7, 16
	s_add_co_i32 s2, s2, 1
	s_bfe_u32 s5, ttmp6, 0x40008
	s_mul_i32 s4, s3, s2
	s_getreg_b32 s2, hwreg(HW_REG_IB_STS2, 6, 4)
	s_add_co_i32 s5, s5, s4
	s_cmp_eq_u32 s2, 0
	s_mov_b32 s53, 0
	s_cselect_b32 s52, s3, s5
	s_wait_kmcnt 0x0
	s_cmp_ge_u32 s52, s35
	s_cbranch_scc1 .LBB169_512
; %bb.1:
	s_clause 0x2
	s_load_b32 s3, s[0:1], 0x6c
	s_load_b32 s65, s[0:1], 0x60
	;; [unrolled: 1-line block ×3, first 2 shown]
	s_bfe_u32 s5, ttmp6, 0x4000c
	s_and_b32 s4, ttmp6, 15
	s_add_co_i32 s5, s5, 1
	s_clause 0x1
	s_load_b64 s[56:57], s[0:1], 0x18
	s_load_b128 s[44:47], s[0:1], 0x8
	s_mul_i32 s5, ttmp9, s5
	s_load_b256 s[36:43], s[0:1], 0x28
	s_add_co_i32 s4, s4, s5
	s_cmp_eq_u32 s2, 0
	s_load_b64 s[58:59], s[0:1], 0x50
	s_cselect_b32 s64, ttmp9, s4
	v_bfe_u32 v22, v0, 10, 10
	v_and_b32_e32 v24, 0x3ff, v0
	v_dual_mov_b32 v2, 0 :: v_dual_lshrrev_b32 v1, 10, v0
	v_and_b32_e32 v3, 1, v0
                                        ; implicit-def: $vgpr78 : SGPR spill to VGPR lane
	s_delay_alu instid0(VALU_DEP_4)
	v_lshl_add_u32 v63, v22, 4, 0x6000
	s_wait_kmcnt 0x0
	s_and_b32 s2, s3, 0xffff
	s_add_co_i32 s65, s65, -1
	s_add_co_i32 s0, s54, -1
	s_ashr_i32 s55, s54, 31
	s_ashr_i32 s1, s0, 31
	s_lshr_b32 s3, s55, 27
	s_lshr_b32 s1, s1, 27
	s_add_co_i32 s3, s54, s3
	s_add_co_i32 s0, s0, s1
	s_and_not1_b32 s3, s3, 31
	s_sub_co_i32 s100, s65, s64
	s_ashr_i32 s0, s0, 5
	s_sub_co_i32 s15, s54, s3
	s_cmp_eq_u32 s0, s100
	v_lshl_add_u32 v12, v22, 5, v24
	s_cselect_b32 s0, -1, 0
	s_cmp_lg_u32 s15, 0
	v_bitop3_b32 v13, v0, v1, 0x3ff bitop3:0xa8
	s_cselect_b32 s1, -1, 0
	v_mov_b32_e32 v27, v2
	s_and_b32 s28, s1, s0
	v_mad_u32_u24 v26, v22, s2, v24
	s_xor_b32 s66, s28, -1
	s_cmp_lg_u32 s64, 0
	v_cmp_gt_u32_e64 s2, 4, v12
	s_cselect_b32 s67, -1, 0
	s_lshl_b32 s18, s100, 5
	s_delay_alu instid0(SALU_CYCLE_1) | instskip(SKIP_3) | instid1(VALU_DEP_4)
	v_dual_lshrrev_b32 v1, 1, v12 :: v_dual_add_nc_u32 v9, s18, v22
	v_cmp_eq_u32_e64 s4, 1, v3
	v_add_nc_u32_e32 v28, s18, v24
	v_cmp_eq_u32_e64 s5, 0, v3
	v_lshl_add_u32 v25, v1, 4, 0x4000
	v_add_nc_u32_e32 v4, 32, v9
	s_ashr_i32 s19, s18, 31
	v_dual_ashrrev_i32 v29, 31, v28 :: v_dual_lshlrev_b32 v46, 4, v3
	s_add_nc_u64 s[0:1], s[56:57], 1
	s_delay_alu instid0(VALU_DEP_2)
	v_ashrrev_i32_e32 v5, 31, v4
	s_cmp_gt_i32 s64, 4
	s_mul_u64 s[16:17], s[0:1], s[18:19]
	s_cselect_b32 s1, -1, 0
	s_and_b32 s69, s4, s2
	v_mul_u64_e32 v[30:31], s[56:57], v[4:5]
	v_dual_lshlrev_b32 v5, 9, v1 :: v_dual_lshrrev_b32 v1, 2, v12
	v_and_b32_e32 v3, 3, v0
	v_cmp_gt_u32_e64 s4, 16, v12
	v_cmp_gt_i32_e32 vcc_lo, s15, v24
	s_delay_alu instid0(VALU_DEP_4)
	v_dual_sub_nc_u32 v47, 0, v5 :: v_dual_lshlrev_b32 v48, 4, v24
	v_sub_nc_u32_e32 v49, v46, v5
	v_dual_lshlrev_b32 v5, 9, v1 :: v_dual_lshlrev_b32 v51, 4, v3
	v_cmp_eq_u32_e64 s7, 3, v3
	v_cmp_ne_u32_e64 s8, 3, v3
	v_lshl_add_u32 v50, v1, 4, 0x4000
	s_delay_alu instid0(VALU_DEP_4)
	v_sub_nc_u32_e32 v52, 0, v5
	v_cmp_eq_u32_e64 s9, 1, v3
	s_and_b32 s71, s7, s4
	v_cmp_eq_u32_e64 s7, 2, v3
	s_and_b32 s72, s8, s4
	v_cmp_gt_u32_e64 s8, 2, v3
	v_cmp_eq_u32_e64 s10, 0, v3
	v_dual_lshrrev_b32 v1, 3, v12 :: v_dual_sub_nc_u32 v53, v51, v5
	v_and_b32_e32 v3, 7, v0
	s_and_b32 s73, s7, s4
	s_and_b32 s75, s9, s4
	s_and_b32 s76, s10, s4
	v_lshlrev_b32_e32 v6, 9, v1
	v_cmp_gt_u32_e64 s7, 64, v12
	v_cmp_eq_u32_e64 s9, 7, v3
	v_cmp_ne_u32_e64 s10, 7, v3
	v_lshl_add_u32 v54, v1, 4, 0x4000
	v_dual_lshlrev_b32 v55, 4, v3 :: v_dual_sub_nc_u32 v56, 0, v6
	v_cmp_eq_u32_e64 s11, 6, v3
	s_and_b32 s77, s9, s7
	s_and_b32 s78, s10, s7
	v_cmp_eq_u32_e64 s9, 5, v3
	v_cmp_gt_u32_e64 s10, 5, v3
	v_dual_lshlrev_b32 v1, 5, v12 :: v_dual_sub_nc_u32 v57, v55, v6
	s_and_b32 s79, s11, s7
	v_cmp_eq_u32_e64 s11, 4, v3
	s_and_b32 s81, s9, s7
	s_and_b32 s82, s10, s7
	v_cmp_gt_u32_e64 s9, 3, v3
	v_cmp_eq_u32_e64 s10, 2, v3
	v_and_b32_e32 v1, 0xfffffe00, v1
	v_and_b32_e32 v0, 15, v0
	s_and_b32 s74, s8, s4
	v_cmp_gt_u32_e64 s8, 56, v12
	v_cmp_gt_u32_e64 s12, 6, v3
	s_and_b32 s83, s11, s7
	v_cmp_gt_u32_e64 s11, 2, v3
	s_and_b32 s86, s9, s7
	s_and_b32 s87, s10, s7
	v_cmp_gt_u32_e64 s9, 0x100, v12
	v_sub_nc_u32_e32 v60, 0, v1
	v_cmp_eq_u32_e64 s10, 15, v0
	v_writelane_b32 v78, s8, 0
	s_and_b32 s80, s12, s7
	v_cmp_gt_u32_e64 s12, 4, v3
	s_and_b32 s88, s11, s7
	v_cmp_ne_u32_e64 s11, 15, v0
	s_and_b32 s8, s10, s9
	v_cmp_eq_u32_e64 s10, 14, v0
	v_writelane_b32 v78, s8, 1
	s_and_b32 s84, s12, s7
	v_cmp_eq_u32_e64 s12, 1, v3
	s_and_b32 s8, s11, s9
	v_cmp_eq_u32_e64 s13, 3, v3
	v_writelane_b32 v78, s8, 2
	s_and_b32 s8, s10, s9
	s_and_b32 s89, s12, s7
	v_cmp_gt_u32_e64 s12, 14, v0
	s_and_b32 s85, s13, s7
	v_writelane_b32 v78, s8, 3
	v_cmp_eq_u32_e64 s13, 0, v3
	v_cmp_eq_u32_e64 s11, 13, v0
	s_and_b32 s8, s12, s9
	v_cmp_eq_u32_e64 s10, 12, v0
	v_writelane_b32 v78, s8, 4
	s_and_b32 s90, s13, s7
	v_cmp_gt_u32_e64 s13, 13, v0
	s_and_b32 s8, s11, s9
	v_cmp_gt_u32_e64 s11, 12, v0
	v_writelane_b32 v78, s8, 5
	v_cmp_eq_u32_e64 s12, 11, v0
	s_and_b32 s8, s13, s9
	v_cmp_eq_u32_e64 s13, 10, v0
	v_dual_lshlrev_b32 v59, 4, v0 :: v_dual_add_nc_u32 v8, 16, v22
	v_writelane_b32 v78, s8, 6
	s_and_b32 s8, s10, s9
	v_cmp_gt_u32_e64 s10, 11, v0
	v_cmp_eq_u32_e64 s14, 0, v0
	s_and_b32 s68, s1, s66
	v_writelane_b32 v78, s8, 7
	s_and_b32 s8, s11, s9
	v_cmp_gt_u32_e64 s11, 10, v0
	s_and_b32 s70, s5, s2
	s_and_b32 s97, s14, s9
	v_writelane_b32 v78, s8, 8
	s_and_b32 s8, s12, s9
	v_cmp_gt_u32_e64 s12, 9, v0
	v_and_b32_e32 v3, 0x7ff0, v12
	v_add_nc_u64_e32 v[6:7], s[18:19], v[26:27]
	v_writelane_b32 v78, s8, 9
	s_and_b32 s8, s10, s9
	v_cmp_eq_u32_e64 s10, 9, v0
	v_dual_mov_b32 v23, v2 :: v_dual_add_nc_u32 v58, 0x4000, v3
	v_writelane_b32 v78, s8, 10
	s_and_b32 s8, s13, s9
	v_cmp_gt_u32_e64 s13, 8, v0
	v_sub_nc_u32_e32 v61, v59, v1
	v_dual_add_nc_u32 v3, 48, v9 :: v_dual_add_nc_u32 v27, v63, v48
	v_writelane_b32 v78, s8, 11
	s_and_b32 s8, s11, s9
	v_cmp_eq_u32_e64 s11, 8, v0
	v_mov_b32_e32 v9, v2
	v_mul_u64_e32 v[32:33], s[42:43], v[6:7]
	v_writelane_b32 v78, s8, 12
	s_and_b32 s8, s10, s9
	v_cmp_eq_u32_e64 s10, 7, v0
	v_mul_u64_e32 v[34:35], s[56:57], v[22:23]
	v_mul_u64_e32 v[36:37], s[56:57], v[8:9]
	v_writelane_b32 v78, s8, 13
	s_and_b32 s8, s12, s9
	s_and_b32 s21, s10, s9
	v_cmp_gt_u32_e64 s10, 6, v0
	v_cmp_eq_u32_e64 s12, 6, v0
	v_writelane_b32 v78, s8, 14
	s_and_b32 s8, s11, s9
	v_cmp_gt_u32_e64 s11, 7, v0
	s_and_b32 s24, s10, s9
	v_cmp_eq_u32_e64 s10, 4, v0
	v_writelane_b32 v78, s8, 15
	s_and_b32 s8, s13, s9
	v_cmp_eq_u32_e64 s13, 5, v0
	s_and_b32 s22, s11, s9
	v_cmp_gt_u32_e64 s11, 5, v0
	s_and_b32 s23, s12, s9
	v_cmp_gt_u32_e64 s12, 4, v0
	;; [unrolled: 2-line block ×3, first 2 shown]
	s_and_b32 s26, s11, s9
	v_cmp_eq_u32_e64 s11, 3, v0
	s_and_b32 s27, s10, s9
	v_cmp_eq_u32_e64 s10, 2, v0
	s_and_b32 s92, s13, s9
	v_cmp_le_i32_e64 s13, s15, v24
	s_and_b32 s91, s11, s9
	v_cmp_gt_u32_e64 s11, 2, v0
	v_writelane_b32 v78, s8, 16
	s_and_b32 s8, s12, s9
	v_cmp_eq_u32_e64 s12, 1, v0
	s_and_b32 s93, s10, s9
	v_cmp_eq_u32_e64 s10, 0, v22
	s_and_b32 s96, s13, s28
	s_and_b32 s94, s11, s9
	s_xor_b32 s11, s96, -1
	s_and_b32 s95, s12, s9
	s_and_b32 s98, s10, s11
	v_cmp_le_i32_e64 s11, s15, v22
	v_cmp_le_i32_e64 s12, s15, v8
	s_cmp_gt_i32 s64, 0
	v_mul_u64_e32 v[0:1], s[42:43], v[28:29]
	s_cselect_b32 s99, -1, 0
	s_or_b32 s15, s11, s13
	s_or_b32 s13, s12, s13
	s_and_b32 s12, s10, vcc_lo
	s_lshl_b64 s[60:61], s[16:17], 4
	v_writelane_b32 v78, s12, 17
	v_cmp_gt_u32_e64 s17, 0xf0, v12
	v_cmp_gt_i32_e64 s0, s54, v28
	v_cmp_gt_i32_e64 s11, s54, v3
	;; [unrolled: 1-line block ×3, first 2 shown]
	v_cmp_le_u32_e64 s12, v8, v24
	v_writelane_b32 v78, s17, 18
	v_cmp_gt_u32_e64 s17, 0xe0, v12
	s_and_b32 s18, s0, s11
	v_cmp_le_u32_e64 s11, v22, v24
	v_dual_lshlrev_b32 v38, 4, v24 :: v_dual_bitop2_b32 v3, v8, v24 bitop3:0x54
	v_writelane_b32 v78, s17, 19
	v_cmp_gt_u32_e64 s17, 0xd0, v12
	v_cmp_eq_u32_e64 s1, 0, v13
	v_cmp_gt_u32_e64 s3, 2, v12
	v_cmp_gt_u32_e64 s5, 12, v12
	;; [unrolled: 1-line block ×3, first 2 shown]
	v_writelane_b32 v78, s17, 20
	v_cmp_gt_u32_e64 s17, 0xc0, v12
	v_lshl_add_u32 v62, v26, 4, 0x6000
	v_lshl_add_u32 v64, v12, 4, 0x4000
	v_add_nc_u32_e32 v65, 0x4000, v48
	v_lshl_add_u32 v66, v22, 9, v48
	v_writelane_b32 v78, s17, 21
	v_cmp_gt_u32_e64 s17, 0xb0, v12
	s_and_b32 s19, s0, s14
	v_lshl_add_u32 v67, v8, 9, v48
	s_or_b32 s101, s15, s11
	s_or_b32 s102, s13, s12
	v_writelane_b32 v78, s17, 22
	v_cmp_gt_u32_e64 s17, 0xa0, v12
	v_add_nc_u32_e32 v23, 0x3c00, v48
	v_mov_b32_e32 v39, v2
	v_subrev_nc_u32_e32 v68, 31, v24
	v_cmp_gt_u32_e64 s13, 48, v12
	v_writelane_b32 v78, s17, 23
	v_cmp_gt_u32_e64 s17, 0x90, v12
	v_cmp_gt_u32_e64 s14, 40, v12
	;; [unrolled: 1-line block ×4, first 2 shown]
	v_cmp_eq_u32_e64 s28, 0, v26
	v_writelane_b32 v78, s17, 24
	v_cmp_gt_u32_e64 s17, 0x80, v12
	v_cmp_gt_u32_e64 s29, 32, v26
	v_cmp_le_u32_e64 s30, v24, v22
	v_cmp_le_u32_e64 s31, v24, v8
	v_cmp_gt_u32_e64 s33, 32, v13
	v_writelane_b32 v78, s17, 25
	v_cmp_gt_u32_e64 s17, 0x70, v12
	v_cmp_gt_u32_e64 s34, 32, v3
	s_add_co_i32 s100, s100, 1
	s_lshl_b64 s[62:63], s[56:57], 8
	s_lshl_b64 s[46:47], s[46:47], 4
	v_writelane_b32 v78, s17, 26
	v_cmp_gt_u32_e64 s17, 0x60, v12
	s_lshl_b64 s[40:41], s[40:41], 4
	s_mov_b32 s49, 0x3ff00000
                                        ; implicit-def: $vgpr6_vgpr7
                                        ; implicit-def: $vgpr10_vgpr11
	v_writelane_b32 v78, s17, 27
	v_cmp_gt_u32_e64 s17, 0x50, v12
	s_delay_alu instid0(VALU_DEP_1)
	v_writelane_b32 v78, s17, 28
	s_branch .LBB169_3
.LBB169_2:                              ;   in Loop: Header=BB169_3 Depth=1
	s_wait_xcnt 0x0
	s_or_b32 exec_lo, exec_lo, s17
	s_add_co_i32 s52, s52, 0x10000
	global_wb scope:SCOPE_DEV
	s_wait_storecnt 0x0
	global_inv scope:SCOPE_DEV
	s_cmp_lt_u32 s52, s35
	s_cbranch_scc0 .LBB169_512
.LBB169_3:                              ; =>This Loop Header: Depth=1
                                        ;     Child Loop BB169_427 Depth 2
                                        ;       Child Loop BB169_429 Depth 3
                                        ;     Child Loop BB169_460 Depth 2
	v_mov_b32_e32 v3, s52
	s_and_not1_b32 vcc_lo, exec_lo, s67
	s_clause 0x1
	global_load_b64 v[4:5], v3, s[44:45] scale_offset
	global_load_b64 v[42:43], v3, s[38:39] scale_offset
	global_load_b128 v[14:17], v2, s[36:37]
	s_wait_loadcnt 0x2
	v_add_nc_u64_e32 v[40:41], s[46:47], v[4:5]
	s_cbranch_vccnz .LBB169_9
; %bb.4:                                ;   in Loop: Header=BB169_3 Depth=1
	s_delay_alu instid0(VALU_DEP_1)
	v_lshl_add_u64 v[4:5], v[30:31], 4, v[40:41]
	v_mov_b64_e32 v[12:13], 0
	v_mov_b64_e32 v[6:7], 0
	;; [unrolled: 1-line block ×3, first 2 shown]
	s_wait_loadcnt 0x0
	v_lshl_add_u64 v[4:5], v[28:29], 4, v[4:5]
	s_barrier_signal -1
	s_barrier_wait -1
	s_wait_xcnt 0x0
	s_and_saveexec_b32 s17, s19
	s_cbranch_execz .LBB169_6
; %bb.5:                                ;   in Loop: Header=BB169_3 Depth=1
	flat_load_b128 v[6:9], v[4:5]
.LBB169_6:                              ;   in Loop: Header=BB169_3 Depth=1
	s_wait_xcnt 0x0
	s_or_b32 exec_lo, exec_lo, s17
	v_mov_b64_e32 v[10:11], 0
	s_wait_loadcnt_dscnt 0x0
	s_barrier_signal -1
	s_barrier_wait -1
	s_and_saveexec_b32 s17, s18
	s_cbranch_execz .LBB169_8
; %bb.7:                                ;   in Loop: Header=BB169_3 Depth=1
	v_add_nc_u64_e32 v[4:5], s[62:63], v[4:5]
	flat_load_b128 v[10:13], v[4:5]
.LBB169_8:                              ;   in Loop: Header=BB169_3 Depth=1
	s_wait_xcnt 0x0
	s_or_b32 exec_lo, exec_lo, s17
.LBB169_9:                              ;   in Loop: Header=BB169_3 Depth=1
	s_delay_alu instid0(VALU_DEP_1) | instskip(SKIP_2) | instid1(VALU_DEP_1)
	v_add_nc_u64_e32 v[4:5], s[60:61], v[40:41]
	s_and_not1_b32 vcc_lo, exec_lo, s66
	s_mov_b32 s17, -1
	v_add_nc_u64_e32 v[44:45], v[4:5], v[38:39]
	s_cbranch_vccnz .LBB169_18
; %bb.10:                               ;   in Loop: Header=BB169_3 Depth=1
	s_mov_b32 s17, 0
	s_wait_xcnt 0x0
	s_and_saveexec_b32 s48, s11
	s_delay_alu instid0(SALU_CYCLE_1)
	s_xor_b32 s48, exec_lo, s48
; %bb.11:                               ;   in Loop: Header=BB169_3 Depth=1
	s_and_b32 s17, s33, exec_lo
; %bb.12:                               ;   in Loop: Header=BB169_3 Depth=1
	s_or_saveexec_b32 s48, s48
	v_mov_b64_e32 v[20:21], 0
	v_mov_b64_e32 v[18:19], 0
	s_xor_b32 exec_lo, exec_lo, s48
	s_cbranch_execnz .LBB169_474
; %bb.13:                               ;   in Loop: Header=BB169_3 Depth=1
	s_or_b32 exec_lo, exec_lo, s48
	s_and_saveexec_b32 s48, s17
	s_cbranch_execnz .LBB169_475
.LBB169_14:                             ;   in Loop: Header=BB169_3 Depth=1
	s_or_b32 exec_lo, exec_lo, s48
	s_and_saveexec_b32 s17, s12
	s_delay_alu instid0(SALU_CYCLE_1)
	s_xor_b32 s17, exec_lo, s17
	s_cbranch_execnz .LBB169_476
.LBB169_15:                             ;   in Loop: Header=BB169_3 Depth=1
	s_and_not1_saveexec_b32 s17, s17
	s_cbranch_execz .LBB169_17
.LBB169_16:                             ;   in Loop: Header=BB169_3 Depth=1
	v_lshl_add_u64 v[4:5], v[36:37], 4, v[44:45]
	flat_load_b128 v[18:21], v[4:5]
	s_wait_loadcnt_dscnt 0x0
	v_xor_b32_e32 v19, 0x80000000, v19
	v_xor_b32_e32 v21, 0x80000000, v21
	ds_store_b128 v67, v[18:21]
.LBB169_17:                             ;   in Loop: Header=BB169_3 Depth=1
	s_or_b32 exec_lo, exec_lo, s17
	s_mov_b32 s17, 0
.LBB169_18:                             ;   in Loop: Header=BB169_3 Depth=1
	s_delay_alu instid0(SALU_CYCLE_1)
	s_and_b32 vcc_lo, exec_lo, s17
	s_cbranch_vccz .LBB169_27
; %bb.19:                               ;   in Loop: Header=BB169_3 Depth=1
	s_mov_b32 s17, 0
	s_wait_xcnt 0x0
	s_and_saveexec_b32 s48, s101
	s_delay_alu instid0(SALU_CYCLE_1)
	s_xor_b32 s48, exec_lo, s48
; %bb.20:                               ;   in Loop: Header=BB169_3 Depth=1
	s_and_b32 s17, s33, exec_lo
; %bb.21:                               ;   in Loop: Header=BB169_3 Depth=1
	s_or_saveexec_b32 s48, s48
	v_mov_b64_e32 v[20:21], 0
	v_mov_b64_e32 v[18:19], 0
	s_xor_b32 exec_lo, exec_lo, s48
	s_cbranch_execnz .LBB169_479
; %bb.22:                               ;   in Loop: Header=BB169_3 Depth=1
	s_or_b32 exec_lo, exec_lo, s48
	s_and_saveexec_b32 s48, s17
	s_cbranch_execnz .LBB169_480
.LBB169_23:                             ;   in Loop: Header=BB169_3 Depth=1
	s_or_b32 exec_lo, exec_lo, s48
	s_and_saveexec_b32 s17, s102
	s_delay_alu instid0(SALU_CYCLE_1)
	s_xor_b32 s17, exec_lo, s17
	s_cbranch_execnz .LBB169_481
.LBB169_24:                             ;   in Loop: Header=BB169_3 Depth=1
	s_and_not1_saveexec_b32 s17, s17
	s_cbranch_execz .LBB169_26
.LBB169_25:                             ;   in Loop: Header=BB169_3 Depth=1
	v_lshl_add_u64 v[4:5], v[36:37], 4, v[44:45]
	flat_load_b128 v[18:21], v[4:5]
	s_wait_loadcnt_dscnt 0x0
	v_xor_b32_e32 v19, 0x80000000, v19
	v_xor_b32_e32 v21, 0x80000000, v21
	ds_store_b128 v67, v[18:21]
.LBB169_26:                             ;   in Loop: Header=BB169_3 Depth=1
	s_or_b32 exec_lo, exec_lo, s17
.LBB169_27:                             ;   in Loop: Header=BB169_3 Depth=1
	s_delay_alu instid0(SALU_CYCLE_1)
	s_and_not1_b32 vcc_lo, exec_lo, s68
	s_wait_loadcnt_dscnt 0x0
	s_barrier_signal -1
	s_barrier_wait -1
	s_cbranch_vccnz .LBB169_421
; %bb.28:                               ;   in Loop: Header=BB169_3 Depth=1
	s_wait_xcnt 0x0
	s_and_saveexec_b32 s17, s1
	s_cbranch_execz .LBB169_30
; %bb.29:                               ;   in Loop: Header=BB169_3 Depth=1
	s_mov_b32 s48, s53
	s_mov_b32 s50, s53
	;; [unrolled: 1-line block ×3, first 2 shown]
	v_mov_b64_e32 v[18:19], s[48:49]
	v_mov_b64_e32 v[20:21], s[50:51]
	ds_store_b128 v2, v[18:21] offset:15840
	ds_store_b128 v2, v[18:21] offset:16368
.LBB169_30:                             ;   in Loop: Header=BB169_3 Depth=1
	s_or_b32 exec_lo, exec_lo, s17
	v_mov_b64_e32 v[18:19], 0
	v_mov_b64_e32 v[20:21], 0
	s_wait_dscnt 0x0
	s_barrier_signal -1
	s_barrier_wait -1
	global_wb scope:SCOPE_DEV
	s_wait_storecnt 0x0
	global_inv scope:SCOPE_DEV
	s_and_saveexec_b32 s48, s2
	s_cbranch_execz .LBB169_34
; %bb.31:                               ;   in Loop: Header=BB169_3 Depth=1
	ds_load_b128 v[18:21], v47 offset:16352
	ds_load_b128 v[70:73], v46 offset:15808
	s_wait_dscnt 0x0
	v_mul_f64_e32 v[4:5], v[20:21], v[72:73]
	v_mul_f64_e32 v[44:45], v[18:19], v[72:73]
	s_delay_alu instid0(VALU_DEP_2) | instskip(NEXT) | instid1(VALU_DEP_2)
	v_fma_f64 v[4:5], v[18:19], v[70:71], -v[4:5]
	v_fmac_f64_e32 v[44:45], v[20:21], v[70:71]
	s_delay_alu instid0(VALU_DEP_2) | instskip(NEXT) | instid1(VALU_DEP_2)
	v_add_f64_e32 v[18:19], 0, v[4:5]
	v_add_f64_e32 v[20:21], 0, v[44:45]
	s_and_saveexec_b32 s17, s3
	s_cbranch_execz .LBB169_33
; %bb.32:                               ;   in Loop: Header=BB169_3 Depth=1
	ds_load_b128 v[70:73], v2 offset:16368
	ds_load_b128 v[74:77], v48 offset:16320
	s_wait_dscnt 0x0
	v_mul_f64_e32 v[4:5], v[72:73], v[76:77]
	v_mul_f64_e32 v[44:45], v[70:71], v[76:77]
	s_delay_alu instid0(VALU_DEP_2) | instskip(NEXT) | instid1(VALU_DEP_2)
	v_fma_f64 v[4:5], v[70:71], v[74:75], -v[4:5]
	v_fmac_f64_e32 v[44:45], v[72:73], v[74:75]
	s_delay_alu instid0(VALU_DEP_2) | instskip(NEXT) | instid1(VALU_DEP_2)
	v_add_f64_e32 v[18:19], v[18:19], v[4:5]
	v_add_f64_e32 v[20:21], v[20:21], v[44:45]
.LBB169_33:                             ;   in Loop: Header=BB169_3 Depth=1
	s_or_b32 exec_lo, exec_lo, s17
.LBB169_34:                             ;   in Loop: Header=BB169_3 Depth=1
	s_delay_alu instid0(SALU_CYCLE_1)
	s_or_b32 exec_lo, exec_lo, s48
	s_and_saveexec_b32 s17, s69
	s_cbranch_execz .LBB169_36
; %bb.35:                               ;   in Loop: Header=BB169_3 Depth=1
	s_delay_alu instid0(VALU_DEP_2) | instskip(NEXT) | instid1(VALU_DEP_2)
	v_xor_b32_e32 v71, 0x80000000, v19
	v_xor_b32_e32 v73, 0x80000000, v21
	s_delay_alu instid0(VALU_DEP_3)
	v_dual_mov_b32 v70, v18 :: v_dual_mov_b32 v72, v20
	ds_store_b128 v25, v[70:73]
.LBB169_36:                             ;   in Loop: Header=BB169_3 Depth=1
	s_or_b32 exec_lo, exec_lo, s17
	s_wait_loadcnt_dscnt 0x0
	s_barrier_signal -1
	s_barrier_wait -1
	s_and_saveexec_b32 s17, s70
	s_cbranch_execz .LBB169_38
; %bb.37:                               ;   in Loop: Header=BB169_3 Depth=1
	ds_load_b128 v[70:73], v25
	ds_load_b128 v[74:77], v2 offset:15296
	s_wait_dscnt 0x0
	v_mul_f64_e32 v[4:5], v[70:71], v[74:75]
	v_mul_f64_e32 v[44:45], v[70:71], v[76:77]
	s_delay_alu instid0(VALU_DEP_2) | instskip(NEXT) | instid1(VALU_DEP_2)
	v_fma_f64 v[4:5], v[72:73], v[76:77], -v[4:5]
	v_fmac_f64_e32 v[44:45], v[72:73], v[74:75]
	s_delay_alu instid0(VALU_DEP_2) | instskip(NEXT) | instid1(VALU_DEP_2)
	v_add_f64_e32 v[18:19], v[18:19], v[4:5]
	v_add_f64_e64 v[20:21], v[20:21], -v[44:45]
.LBB169_38:                             ;   in Loop: Header=BB169_3 Depth=1
	s_or_b32 exec_lo, exec_lo, s17
	s_barrier_signal -1
	s_barrier_wait -1
	s_and_saveexec_b32 s17, s70
	s_cbranch_execz .LBB169_40
; %bb.39:                               ;   in Loop: Header=BB169_3 Depth=1
	s_delay_alu instid0(VALU_DEP_2) | instskip(NEXT) | instid1(VALU_DEP_2)
	v_xor_b32_e32 v71, 0x80000000, v19
	v_xor_b32_e32 v73, 0x80000000, v21
	s_delay_alu instid0(VALU_DEP_3)
	v_dual_mov_b32 v70, v18 :: v_dual_mov_b32 v72, v20
	ds_store_b128 v25, v[70:73]
.LBB169_40:                             ;   in Loop: Header=BB169_3 Depth=1
	s_or_b32 exec_lo, exec_lo, s17
	s_wait_dscnt 0x0
	s_barrier_signal -1
	s_barrier_wait -1
	s_barrier_signal -1
	s_barrier_wait -1
	s_and_saveexec_b32 s17, s2
; %bb.41:                               ;   in Loop: Header=BB169_3 Depth=1
	ds_store_b128 v49, v[18:21] offset:16320
; %bb.42:                               ;   in Loop: Header=BB169_3 Depth=1
	s_or_b32 exec_lo, exec_lo, s17
	s_wait_dscnt 0x0
	s_barrier_signal -1
	s_barrier_wait -1
	s_barrier_signal -1
	s_barrier_wait -1
	s_and_saveexec_b32 s17, s1
	s_cbranch_execz .LBB169_44
; %bb.43:                               ;   in Loop: Header=BB169_3 Depth=1
	s_mov_b32 s48, s53
	s_mov_b32 s50, s53
	;; [unrolled: 1-line block ×3, first 2 shown]
	v_mov_b64_e32 v[18:19], s[48:49]
	v_mov_b64_e32 v[20:21], s[50:51]
	ds_store_b128 v2, v[18:21] offset:14784
	ds_store_b128 v2, v[18:21] offset:15312
.LBB169_44:                             ;   in Loop: Header=BB169_3 Depth=1
	s_or_b32 exec_lo, exec_lo, s17
	v_mov_b64_e32 v[20:21], 0
	v_mov_b64_e32 v[18:19], 0
	s_wait_dscnt 0x0
	s_barrier_signal -1
	s_barrier_wait -1
	global_wb scope:SCOPE_DEV
	s_wait_storecnt 0x0
	global_inv scope:SCOPE_DEV
	s_and_saveexec_b32 s48, s4
	s_cbranch_execz .LBB169_50
; %bb.45:                               ;   in Loop: Header=BB169_3 Depth=1
	ds_load_b128 v[18:21], v52 offset:16320
	ds_load_b128 v[70:73], v51 offset:14720
	s_wait_dscnt 0x0
	v_mul_f64_e32 v[4:5], v[20:21], v[72:73]
	v_mul_f64_e32 v[44:45], v[18:19], v[72:73]
	s_delay_alu instid0(VALU_DEP_2) | instskip(NEXT) | instid1(VALU_DEP_2)
	v_fma_f64 v[4:5], v[18:19], v[70:71], -v[4:5]
	v_fmac_f64_e32 v[44:45], v[20:21], v[70:71]
	s_delay_alu instid0(VALU_DEP_2) | instskip(NEXT) | instid1(VALU_DEP_2)
	v_add_f64_e32 v[18:19], 0, v[4:5]
	v_add_f64_e32 v[20:21], 0, v[44:45]
	s_and_saveexec_b32 s17, s5
	s_cbranch_execnz .LBB169_488
; %bb.46:                               ;   in Loop: Header=BB169_3 Depth=1
	s_or_b32 exec_lo, exec_lo, s17
	s_and_saveexec_b32 s17, s6
	s_cbranch_execnz .LBB169_489
.LBB169_47:                             ;   in Loop: Header=BB169_3 Depth=1
	s_or_b32 exec_lo, exec_lo, s17
	s_and_saveexec_b32 s17, s2
	s_cbranch_execz .LBB169_49
.LBB169_48:                             ;   in Loop: Header=BB169_3 Depth=1
	ds_load_b128 v[70:73], v2 offset:16368
	ds_load_b128 v[74:77], v48 offset:16256
	s_wait_dscnt 0x0
	v_mul_f64_e32 v[4:5], v[72:73], v[76:77]
	v_mul_f64_e32 v[44:45], v[70:71], v[76:77]
	s_delay_alu instid0(VALU_DEP_2) | instskip(NEXT) | instid1(VALU_DEP_2)
	v_fma_f64 v[4:5], v[70:71], v[74:75], -v[4:5]
	v_fmac_f64_e32 v[44:45], v[72:73], v[74:75]
	s_delay_alu instid0(VALU_DEP_2) | instskip(NEXT) | instid1(VALU_DEP_2)
	v_add_f64_e32 v[18:19], v[18:19], v[4:5]
	v_add_f64_e32 v[20:21], v[20:21], v[44:45]
.LBB169_49:                             ;   in Loop: Header=BB169_3 Depth=1
	s_or_b32 exec_lo, exec_lo, s17
.LBB169_50:                             ;   in Loop: Header=BB169_3 Depth=1
	s_delay_alu instid0(SALU_CYCLE_1)
	s_or_b32 exec_lo, exec_lo, s48
	s_and_saveexec_b32 s17, s71
	s_cbranch_execz .LBB169_52
; %bb.51:                               ;   in Loop: Header=BB169_3 Depth=1
	s_delay_alu instid0(VALU_DEP_1) | instskip(NEXT) | instid1(VALU_DEP_3)
	v_xor_b32_e32 v73, 0x80000000, v21
	v_xor_b32_e32 v71, 0x80000000, v19
	s_delay_alu instid0(VALU_DEP_3)
	v_dual_mov_b32 v70, v18 :: v_dual_mov_b32 v72, v20
	ds_store_b128 v50, v[70:73]
.LBB169_52:                             ;   in Loop: Header=BB169_3 Depth=1
	s_or_b32 exec_lo, exec_lo, s17
	s_wait_loadcnt_dscnt 0x0
	s_barrier_signal -1
	s_barrier_wait -1
	s_and_saveexec_b32 s17, s72
	s_cbranch_execz .LBB169_54
; %bb.53:                               ;   in Loop: Header=BB169_3 Depth=1
	ds_load_b128 v[70:73], v50
	ds_load_b128 v[74:77], v51 offset:14208
	s_wait_dscnt 0x0
	v_mul_f64_e32 v[4:5], v[72:73], v[76:77]
	v_mul_f64_e32 v[44:45], v[70:71], v[76:77]
	s_delay_alu instid0(VALU_DEP_2) | instskip(NEXT) | instid1(VALU_DEP_2)
	v_fma_f64 v[4:5], v[70:71], v[74:75], -v[4:5]
	v_fmac_f64_e32 v[44:45], v[72:73], v[74:75]
	s_delay_alu instid0(VALU_DEP_2) | instskip(NEXT) | instid1(VALU_DEP_2)
	v_add_f64_e64 v[18:19], v[18:19], -v[4:5]
	v_add_f64_e64 v[20:21], v[20:21], -v[44:45]
.LBB169_54:                             ;   in Loop: Header=BB169_3 Depth=1
	s_or_b32 exec_lo, exec_lo, s17
	s_barrier_signal -1
	s_barrier_wait -1
	s_and_saveexec_b32 s17, s73
	s_cbranch_execz .LBB169_56
; %bb.55:                               ;   in Loop: Header=BB169_3 Depth=1
	s_delay_alu instid0(VALU_DEP_1) | instskip(NEXT) | instid1(VALU_DEP_3)
	v_xor_b32_e32 v73, 0x80000000, v21
	v_xor_b32_e32 v71, 0x80000000, v19
	s_delay_alu instid0(VALU_DEP_3)
	v_dual_mov_b32 v70, v18 :: v_dual_mov_b32 v72, v20
	ds_store_b128 v50, v[70:73]
.LBB169_56:                             ;   in Loop: Header=BB169_3 Depth=1
	s_or_b32 exec_lo, exec_lo, s17
	s_wait_dscnt 0x0
	s_barrier_signal -1
	s_barrier_wait -1
	s_and_saveexec_b32 s17, s74
	s_cbranch_execz .LBB169_58
; %bb.57:                               ;   in Loop: Header=BB169_3 Depth=1
	ds_load_b128 v[70:73], v50
	ds_load_b128 v[74:77], v51 offset:13696
	s_wait_dscnt 0x0
	v_mul_f64_e32 v[4:5], v[72:73], v[76:77]
	v_mul_f64_e32 v[44:45], v[70:71], v[76:77]
	s_delay_alu instid0(VALU_DEP_2) | instskip(NEXT) | instid1(VALU_DEP_2)
	v_fma_f64 v[4:5], v[70:71], v[74:75], -v[4:5]
	v_fmac_f64_e32 v[44:45], v[72:73], v[74:75]
	s_delay_alu instid0(VALU_DEP_2) | instskip(NEXT) | instid1(VALU_DEP_2)
	v_add_f64_e64 v[18:19], v[18:19], -v[4:5]
	v_add_f64_e64 v[20:21], v[20:21], -v[44:45]
.LBB169_58:                             ;   in Loop: Header=BB169_3 Depth=1
	s_or_b32 exec_lo, exec_lo, s17
	s_barrier_signal -1
	s_barrier_wait -1
	s_and_saveexec_b32 s17, s75
	s_cbranch_execz .LBB169_60
; %bb.59:                               ;   in Loop: Header=BB169_3 Depth=1
	s_delay_alu instid0(VALU_DEP_1) | instskip(NEXT) | instid1(VALU_DEP_3)
	v_xor_b32_e32 v73, 0x80000000, v21
	v_xor_b32_e32 v71, 0x80000000, v19
	s_delay_alu instid0(VALU_DEP_3)
	v_dual_mov_b32 v70, v18 :: v_dual_mov_b32 v72, v20
	ds_store_b128 v50, v[70:73]
.LBB169_60:                             ;   in Loop: Header=BB169_3 Depth=1
	s_or_b32 exec_lo, exec_lo, s17
	s_wait_dscnt 0x0
	;; [unrolled: 32-line block ×3, first 2 shown]
	s_barrier_signal -1
	s_barrier_wait -1
	s_barrier_signal -1
	s_barrier_wait -1
	s_and_saveexec_b32 s17, s4
; %bb.65:                               ;   in Loop: Header=BB169_3 Depth=1
	ds_store_b128 v53, v[18:21] offset:16256
; %bb.66:                               ;   in Loop: Header=BB169_3 Depth=1
	s_or_b32 exec_lo, exec_lo, s17
	s_wait_dscnt 0x0
	s_barrier_signal -1
	s_barrier_wait -1
	s_barrier_signal -1
	s_barrier_wait -1
	s_and_saveexec_b32 s17, s1
	s_cbranch_execz .LBB169_68
; %bb.67:                               ;   in Loop: Header=BB169_3 Depth=1
	s_mov_b32 s48, s53
	s_mov_b32 s50, s53
	;; [unrolled: 1-line block ×3, first 2 shown]
	v_mov_b64_e32 v[18:19], s[48:49]
	v_mov_b64_e32 v[20:21], s[50:51]
	ds_store_b128 v2, v[18:21] offset:13728
	ds_store_b128 v2, v[18:21] offset:14256
.LBB169_68:                             ;   in Loop: Header=BB169_3 Depth=1
	s_or_b32 exec_lo, exec_lo, s17
	v_mov_b64_e32 v[18:19], 0
	v_mov_b64_e32 v[20:21], 0
	s_wait_dscnt 0x0
	s_barrier_signal -1
	s_barrier_wait -1
	global_wb scope:SCOPE_DEV
	s_wait_storecnt 0x0
	global_inv scope:SCOPE_DEV
	s_and_saveexec_b32 s48, s2
	s_cbranch_execz .LBB169_72
; %bb.69:                               ;   in Loop: Header=BB169_3 Depth=1
	ds_load_b128 v[18:21], v47 offset:14240
	ds_load_b128 v[70:73], v46 offset:13696
	s_wait_dscnt 0x0
	v_mul_f64_e32 v[4:5], v[20:21], v[72:73]
	v_mul_f64_e32 v[44:45], v[18:19], v[72:73]
	s_delay_alu instid0(VALU_DEP_2) | instskip(NEXT) | instid1(VALU_DEP_2)
	v_fma_f64 v[4:5], v[18:19], v[70:71], -v[4:5]
	v_fmac_f64_e32 v[44:45], v[20:21], v[70:71]
	s_delay_alu instid0(VALU_DEP_2) | instskip(NEXT) | instid1(VALU_DEP_2)
	v_add_f64_e32 v[18:19], 0, v[4:5]
	v_add_f64_e32 v[20:21], 0, v[44:45]
	s_and_saveexec_b32 s17, s3
	s_cbranch_execz .LBB169_71
; %bb.70:                               ;   in Loop: Header=BB169_3 Depth=1
	ds_load_b128 v[70:73], v2 offset:14256
	ds_load_b128 v[74:77], v48 offset:14208
	s_wait_dscnt 0x0
	v_mul_f64_e32 v[4:5], v[72:73], v[76:77]
	v_mul_f64_e32 v[44:45], v[70:71], v[76:77]
	s_delay_alu instid0(VALU_DEP_2) | instskip(NEXT) | instid1(VALU_DEP_2)
	v_fma_f64 v[4:5], v[70:71], v[74:75], -v[4:5]
	v_fmac_f64_e32 v[44:45], v[72:73], v[74:75]
	s_delay_alu instid0(VALU_DEP_2) | instskip(NEXT) | instid1(VALU_DEP_2)
	v_add_f64_e32 v[18:19], v[18:19], v[4:5]
	v_add_f64_e32 v[20:21], v[20:21], v[44:45]
.LBB169_71:                             ;   in Loop: Header=BB169_3 Depth=1
	s_or_b32 exec_lo, exec_lo, s17
.LBB169_72:                             ;   in Loop: Header=BB169_3 Depth=1
	s_delay_alu instid0(SALU_CYCLE_1)
	s_or_b32 exec_lo, exec_lo, s48
	s_and_saveexec_b32 s17, s69
	s_cbranch_execz .LBB169_74
; %bb.73:                               ;   in Loop: Header=BB169_3 Depth=1
	s_delay_alu instid0(VALU_DEP_2) | instskip(NEXT) | instid1(VALU_DEP_2)
	v_xor_b32_e32 v71, 0x80000000, v19
	v_xor_b32_e32 v73, 0x80000000, v21
	s_delay_alu instid0(VALU_DEP_3)
	v_dual_mov_b32 v70, v18 :: v_dual_mov_b32 v72, v20
	ds_store_b128 v25, v[70:73]
.LBB169_74:                             ;   in Loop: Header=BB169_3 Depth=1
	s_or_b32 exec_lo, exec_lo, s17
	s_wait_loadcnt_dscnt 0x0
	s_barrier_signal -1
	s_barrier_wait -1
	s_and_saveexec_b32 s17, s70
	s_cbranch_execz .LBB169_76
; %bb.75:                               ;   in Loop: Header=BB169_3 Depth=1
	ds_load_b128 v[70:73], v25
	ds_load_b128 v[74:77], v2 offset:13184
	s_wait_dscnt 0x0
	v_mul_f64_e32 v[4:5], v[70:71], v[74:75]
	v_mul_f64_e32 v[44:45], v[70:71], v[76:77]
	s_delay_alu instid0(VALU_DEP_2) | instskip(NEXT) | instid1(VALU_DEP_2)
	v_fma_f64 v[4:5], v[72:73], v[76:77], -v[4:5]
	v_fmac_f64_e32 v[44:45], v[72:73], v[74:75]
	s_delay_alu instid0(VALU_DEP_2) | instskip(NEXT) | instid1(VALU_DEP_2)
	v_add_f64_e32 v[18:19], v[18:19], v[4:5]
	v_add_f64_e64 v[20:21], v[20:21], -v[44:45]
.LBB169_76:                             ;   in Loop: Header=BB169_3 Depth=1
	s_or_b32 exec_lo, exec_lo, s17
	s_barrier_signal -1
	s_barrier_wait -1
	s_and_saveexec_b32 s17, s70
	s_cbranch_execz .LBB169_78
; %bb.77:                               ;   in Loop: Header=BB169_3 Depth=1
	s_delay_alu instid0(VALU_DEP_2) | instskip(NEXT) | instid1(VALU_DEP_2)
	v_xor_b32_e32 v71, 0x80000000, v19
	v_xor_b32_e32 v73, 0x80000000, v21
	s_delay_alu instid0(VALU_DEP_3)
	v_dual_mov_b32 v70, v18 :: v_dual_mov_b32 v72, v20
	ds_store_b128 v25, v[70:73]
.LBB169_78:                             ;   in Loop: Header=BB169_3 Depth=1
	s_or_b32 exec_lo, exec_lo, s17
	s_wait_dscnt 0x0
	s_barrier_signal -1
	s_barrier_wait -1
	s_barrier_signal -1
	s_barrier_wait -1
	s_and_saveexec_b32 s17, s2
; %bb.79:                               ;   in Loop: Header=BB169_3 Depth=1
	ds_store_b128 v49, v[18:21] offset:14208
; %bb.80:                               ;   in Loop: Header=BB169_3 Depth=1
	s_or_b32 exec_lo, exec_lo, s17
	s_wait_dscnt 0x0
	s_barrier_signal -1
	s_barrier_wait -1
	s_barrier_signal -1
	s_barrier_wait -1
	s_and_saveexec_b32 s17, s1
	s_cbranch_execz .LBB169_82
; %bb.81:                               ;   in Loop: Header=BB169_3 Depth=1
	s_mov_b32 s48, s53
	s_mov_b32 s50, s53
	s_mov_b32 s51, s53
	v_mov_b64_e32 v[18:19], s[48:49]
	v_mov_b64_e32 v[20:21], s[50:51]
	ds_store_b128 v2, v[18:21] offset:12672
	ds_store_b128 v2, v[18:21] offset:13200
.LBB169_82:                             ;   in Loop: Header=BB169_3 Depth=1
	s_or_b32 exec_lo, exec_lo, s17
	v_mov_b64_e32 v[20:21], 0
	v_mov_b64_e32 v[18:19], 0
	s_wait_dscnt 0x0
	s_barrier_signal -1
	s_barrier_wait -1
	global_wb scope:SCOPE_DEV
	s_wait_storecnt 0x0
	global_inv scope:SCOPE_DEV
	s_and_saveexec_b32 s48, s7
	s_cbranch_execz .LBB169_92
; %bb.83:                               ;   in Loop: Header=BB169_3 Depth=1
	ds_load_b128 v[18:21], v56 offset:16256
	ds_load_b128 v[70:73], v55 offset:12544
	v_readlane_b32 s20, v78, 0
	s_wait_dscnt 0x0
	v_mul_f64_e32 v[4:5], v[20:21], v[72:73]
	v_mul_f64_e32 v[44:45], v[18:19], v[72:73]
	s_delay_alu instid0(VALU_DEP_2) | instskip(NEXT) | instid1(VALU_DEP_2)
	v_fma_f64 v[4:5], v[18:19], v[70:71], -v[4:5]
	v_fmac_f64_e32 v[44:45], v[20:21], v[70:71]
	s_delay_alu instid0(VALU_DEP_2) | instskip(NEXT) | instid1(VALU_DEP_2)
	v_add_f64_e32 v[18:19], 0, v[4:5]
	v_add_f64_e32 v[20:21], 0, v[44:45]
	s_and_saveexec_b32 s17, s20
	s_cbranch_execnz .LBB169_490
; %bb.84:                               ;   in Loop: Header=BB169_3 Depth=1
	s_or_b32 exec_lo, exec_lo, s17
	s_and_saveexec_b32 s17, s13
	s_cbranch_execnz .LBB169_491
.LBB169_85:                             ;   in Loop: Header=BB169_3 Depth=1
	s_or_b32 exec_lo, exec_lo, s17
	s_and_saveexec_b32 s17, s14
	s_cbranch_execnz .LBB169_492
.LBB169_86:                             ;   in Loop: Header=BB169_3 Depth=1
	s_or_b32 exec_lo, exec_lo, s17
	s_and_saveexec_b32 s17, s15
	s_cbranch_execnz .LBB169_493
.LBB169_87:                             ;   in Loop: Header=BB169_3 Depth=1
	s_or_b32 exec_lo, exec_lo, s17
	s_and_saveexec_b32 s17, s16
	s_cbranch_execnz .LBB169_494
.LBB169_88:                             ;   in Loop: Header=BB169_3 Depth=1
	s_or_b32 exec_lo, exec_lo, s17
	s_and_saveexec_b32 s17, s4
	s_cbranch_execnz .LBB169_495
.LBB169_89:                             ;   in Loop: Header=BB169_3 Depth=1
	s_or_b32 exec_lo, exec_lo, s17
	s_and_saveexec_b32 s17, s6
	s_cbranch_execz .LBB169_91
.LBB169_90:                             ;   in Loop: Header=BB169_3 Depth=1
	ds_load_b128 v[70:73], v2 offset:16368
	ds_load_b128 v[74:77], v48 offset:16128
	s_wait_dscnt 0x0
	v_mul_f64_e32 v[4:5], v[72:73], v[76:77]
	v_mul_f64_e32 v[44:45], v[70:71], v[76:77]
	s_delay_alu instid0(VALU_DEP_2) | instskip(NEXT) | instid1(VALU_DEP_2)
	v_fma_f64 v[4:5], v[70:71], v[74:75], -v[4:5]
	v_fmac_f64_e32 v[44:45], v[72:73], v[74:75]
	s_delay_alu instid0(VALU_DEP_2) | instskip(NEXT) | instid1(VALU_DEP_2)
	v_add_f64_e32 v[18:19], v[18:19], v[4:5]
	v_add_f64_e32 v[20:21], v[20:21], v[44:45]
.LBB169_91:                             ;   in Loop: Header=BB169_3 Depth=1
	s_or_b32 exec_lo, exec_lo, s17
.LBB169_92:                             ;   in Loop: Header=BB169_3 Depth=1
	s_delay_alu instid0(SALU_CYCLE_1)
	s_or_b32 exec_lo, exec_lo, s48
	s_and_saveexec_b32 s17, s77
	s_cbranch_execz .LBB169_94
; %bb.93:                               ;   in Loop: Header=BB169_3 Depth=1
	s_delay_alu instid0(VALU_DEP_2) | instskip(NEXT) | instid1(VALU_DEP_2)
	v_xor_b32_e32 v71, 0x80000000, v19
	v_xor_b32_e32 v73, 0x80000000, v21
	s_delay_alu instid0(VALU_DEP_3)
	v_dual_mov_b32 v70, v18 :: v_dual_mov_b32 v72, v20
	ds_store_b128 v54, v[70:73]
.LBB169_94:                             ;   in Loop: Header=BB169_3 Depth=1
	s_or_b32 exec_lo, exec_lo, s17
	s_wait_loadcnt_dscnt 0x0
	s_barrier_signal -1
	s_barrier_wait -1
	s_and_saveexec_b32 s17, s78
	s_cbranch_execz .LBB169_96
; %bb.95:                               ;   in Loop: Header=BB169_3 Depth=1
	ds_load_b128 v[70:73], v54
	ds_load_b128 v[74:77], v55 offset:12032
	s_wait_dscnt 0x0
	v_mul_f64_e32 v[4:5], v[72:73], v[76:77]
	v_mul_f64_e32 v[44:45], v[70:71], v[76:77]
	s_delay_alu instid0(VALU_DEP_2) | instskip(NEXT) | instid1(VALU_DEP_2)
	v_fma_f64 v[4:5], v[70:71], v[74:75], -v[4:5]
	v_fmac_f64_e32 v[44:45], v[72:73], v[74:75]
	s_delay_alu instid0(VALU_DEP_2) | instskip(NEXT) | instid1(VALU_DEP_2)
	v_add_f64_e64 v[18:19], v[18:19], -v[4:5]
	v_add_f64_e64 v[20:21], v[20:21], -v[44:45]
.LBB169_96:                             ;   in Loop: Header=BB169_3 Depth=1
	s_or_b32 exec_lo, exec_lo, s17
	s_barrier_signal -1
	s_barrier_wait -1
	s_and_saveexec_b32 s17, s79
	s_cbranch_execz .LBB169_98
; %bb.97:                               ;   in Loop: Header=BB169_3 Depth=1
	s_delay_alu instid0(VALU_DEP_2) | instskip(NEXT) | instid1(VALU_DEP_2)
	v_xor_b32_e32 v71, 0x80000000, v19
	v_xor_b32_e32 v73, 0x80000000, v21
	s_delay_alu instid0(VALU_DEP_3)
	v_dual_mov_b32 v70, v18 :: v_dual_mov_b32 v72, v20
	ds_store_b128 v54, v[70:73]
.LBB169_98:                             ;   in Loop: Header=BB169_3 Depth=1
	s_or_b32 exec_lo, exec_lo, s17
	s_wait_dscnt 0x0
	s_barrier_signal -1
	s_barrier_wait -1
	s_and_saveexec_b32 s17, s80
	s_cbranch_execz .LBB169_100
; %bb.99:                               ;   in Loop: Header=BB169_3 Depth=1
	ds_load_b128 v[70:73], v54
	ds_load_b128 v[74:77], v55 offset:11520
	s_wait_dscnt 0x0
	v_mul_f64_e32 v[4:5], v[72:73], v[76:77]
	v_mul_f64_e32 v[44:45], v[70:71], v[76:77]
	s_delay_alu instid0(VALU_DEP_2) | instskip(NEXT) | instid1(VALU_DEP_2)
	v_fma_f64 v[4:5], v[70:71], v[74:75], -v[4:5]
	v_fmac_f64_e32 v[44:45], v[72:73], v[74:75]
	s_delay_alu instid0(VALU_DEP_2) | instskip(NEXT) | instid1(VALU_DEP_2)
	v_add_f64_e64 v[18:19], v[18:19], -v[4:5]
	v_add_f64_e64 v[20:21], v[20:21], -v[44:45]
.LBB169_100:                            ;   in Loop: Header=BB169_3 Depth=1
	s_or_b32 exec_lo, exec_lo, s17
	s_barrier_signal -1
	s_barrier_wait -1
	s_and_saveexec_b32 s17, s81
	s_cbranch_execz .LBB169_102
; %bb.101:                              ;   in Loop: Header=BB169_3 Depth=1
	s_delay_alu instid0(VALU_DEP_2) | instskip(NEXT) | instid1(VALU_DEP_2)
	v_xor_b32_e32 v71, 0x80000000, v19
	v_xor_b32_e32 v73, 0x80000000, v21
	s_delay_alu instid0(VALU_DEP_3)
	v_dual_mov_b32 v70, v18 :: v_dual_mov_b32 v72, v20
	ds_store_b128 v54, v[70:73]
.LBB169_102:                            ;   in Loop: Header=BB169_3 Depth=1
	s_or_b32 exec_lo, exec_lo, s17
	s_wait_dscnt 0x0
	s_barrier_signal -1
	s_barrier_wait -1
	s_and_saveexec_b32 s17, s82
	s_cbranch_execz .LBB169_104
; %bb.103:                              ;   in Loop: Header=BB169_3 Depth=1
	ds_load_b128 v[70:73], v54
	ds_load_b128 v[74:77], v55 offset:11008
	s_wait_dscnt 0x0
	v_mul_f64_e32 v[4:5], v[72:73], v[76:77]
	v_mul_f64_e32 v[44:45], v[70:71], v[76:77]
	s_delay_alu instid0(VALU_DEP_2) | instskip(NEXT) | instid1(VALU_DEP_2)
	v_fma_f64 v[4:5], v[70:71], v[74:75], -v[4:5]
	v_fmac_f64_e32 v[44:45], v[72:73], v[74:75]
	s_delay_alu instid0(VALU_DEP_2) | instskip(NEXT) | instid1(VALU_DEP_2)
	v_add_f64_e64 v[18:19], v[18:19], -v[4:5]
	v_add_f64_e64 v[20:21], v[20:21], -v[44:45]
.LBB169_104:                            ;   in Loop: Header=BB169_3 Depth=1
	s_or_b32 exec_lo, exec_lo, s17
	s_barrier_signal -1
	s_barrier_wait -1
	s_and_saveexec_b32 s17, s83
	s_cbranch_execz .LBB169_106
; %bb.105:                              ;   in Loop: Header=BB169_3 Depth=1
	s_delay_alu instid0(VALU_DEP_2) | instskip(NEXT) | instid1(VALU_DEP_2)
	v_xor_b32_e32 v71, 0x80000000, v19
	v_xor_b32_e32 v73, 0x80000000, v21
	s_delay_alu instid0(VALU_DEP_3)
	v_dual_mov_b32 v70, v18 :: v_dual_mov_b32 v72, v20
	ds_store_b128 v54, v[70:73]
.LBB169_106:                            ;   in Loop: Header=BB169_3 Depth=1
	s_or_b32 exec_lo, exec_lo, s17
	s_wait_dscnt 0x0
	s_barrier_signal -1
	s_barrier_wait -1
	s_and_saveexec_b32 s17, s84
	s_cbranch_execz .LBB169_108
; %bb.107:                              ;   in Loop: Header=BB169_3 Depth=1
	ds_load_b128 v[70:73], v54
	ds_load_b128 v[74:77], v55 offset:10496
	s_wait_dscnt 0x0
	v_mul_f64_e32 v[4:5], v[72:73], v[76:77]
	v_mul_f64_e32 v[44:45], v[70:71], v[76:77]
	s_delay_alu instid0(VALU_DEP_2) | instskip(NEXT) | instid1(VALU_DEP_2)
	v_fma_f64 v[4:5], v[70:71], v[74:75], -v[4:5]
	v_fmac_f64_e32 v[44:45], v[72:73], v[74:75]
	s_delay_alu instid0(VALU_DEP_2) | instskip(NEXT) | instid1(VALU_DEP_2)
	v_add_f64_e64 v[18:19], v[18:19], -v[4:5]
	v_add_f64_e64 v[20:21], v[20:21], -v[44:45]
.LBB169_108:                            ;   in Loop: Header=BB169_3 Depth=1
	;; [unrolled: 32-line block ×5, first 2 shown]
	s_or_b32 exec_lo, exec_lo, s17
	s_barrier_signal -1
	s_barrier_wait -1
	s_and_saveexec_b32 s17, s90
	s_cbranch_execz .LBB169_122
; %bb.121:                              ;   in Loop: Header=BB169_3 Depth=1
	s_delay_alu instid0(VALU_DEP_2) | instskip(NEXT) | instid1(VALU_DEP_2)
	v_xor_b32_e32 v71, 0x80000000, v19
	v_xor_b32_e32 v73, 0x80000000, v21
	s_delay_alu instid0(VALU_DEP_3)
	v_dual_mov_b32 v70, v18 :: v_dual_mov_b32 v72, v20
	ds_store_b128 v54, v[70:73]
.LBB169_122:                            ;   in Loop: Header=BB169_3 Depth=1
	s_or_b32 exec_lo, exec_lo, s17
	s_wait_dscnt 0x0
	s_barrier_signal -1
	s_barrier_wait -1
	s_barrier_signal -1
	s_barrier_wait -1
	s_and_saveexec_b32 s17, s7
; %bb.123:                              ;   in Loop: Header=BB169_3 Depth=1
	ds_store_b128 v57, v[18:21] offset:16128
; %bb.124:                              ;   in Loop: Header=BB169_3 Depth=1
	s_or_b32 exec_lo, exec_lo, s17
	s_wait_dscnt 0x0
	s_barrier_signal -1
	s_barrier_wait -1
	s_barrier_signal -1
	s_barrier_wait -1
	s_and_saveexec_b32 s17, s1
	s_cbranch_execz .LBB169_126
; %bb.125:                              ;   in Loop: Header=BB169_3 Depth=1
	s_mov_b32 s48, s53
	s_mov_b32 s50, s53
	;; [unrolled: 1-line block ×3, first 2 shown]
	v_mov_b64_e32 v[18:19], s[48:49]
	v_mov_b64_e32 v[20:21], s[50:51]
	ds_store_b128 v2, v[18:21] offset:11616
	ds_store_b128 v2, v[18:21] offset:12144
.LBB169_126:                            ;   in Loop: Header=BB169_3 Depth=1
	s_or_b32 exec_lo, exec_lo, s17
	v_mov_b64_e32 v[18:19], 0
	v_mov_b64_e32 v[20:21], 0
	s_wait_dscnt 0x0
	s_barrier_signal -1
	s_barrier_wait -1
	global_wb scope:SCOPE_DEV
	s_wait_storecnt 0x0
	global_inv scope:SCOPE_DEV
	s_and_saveexec_b32 s48, s2
	s_cbranch_execz .LBB169_130
; %bb.127:                              ;   in Loop: Header=BB169_3 Depth=1
	ds_load_b128 v[18:21], v47 offset:12128
	ds_load_b128 v[70:73], v46 offset:11584
	s_wait_dscnt 0x0
	v_mul_f64_e32 v[4:5], v[20:21], v[72:73]
	v_mul_f64_e32 v[44:45], v[18:19], v[72:73]
	s_delay_alu instid0(VALU_DEP_2) | instskip(NEXT) | instid1(VALU_DEP_2)
	v_fma_f64 v[4:5], v[18:19], v[70:71], -v[4:5]
	v_fmac_f64_e32 v[44:45], v[20:21], v[70:71]
	s_delay_alu instid0(VALU_DEP_2) | instskip(NEXT) | instid1(VALU_DEP_2)
	v_add_f64_e32 v[18:19], 0, v[4:5]
	v_add_f64_e32 v[20:21], 0, v[44:45]
	s_and_saveexec_b32 s17, s3
	s_cbranch_execz .LBB169_129
; %bb.128:                              ;   in Loop: Header=BB169_3 Depth=1
	ds_load_b128 v[70:73], v2 offset:12144
	ds_load_b128 v[74:77], v48 offset:12096
	s_wait_dscnt 0x0
	v_mul_f64_e32 v[4:5], v[72:73], v[76:77]
	v_mul_f64_e32 v[44:45], v[70:71], v[76:77]
	s_delay_alu instid0(VALU_DEP_2) | instskip(NEXT) | instid1(VALU_DEP_2)
	v_fma_f64 v[4:5], v[70:71], v[74:75], -v[4:5]
	v_fmac_f64_e32 v[44:45], v[72:73], v[74:75]
	s_delay_alu instid0(VALU_DEP_2) | instskip(NEXT) | instid1(VALU_DEP_2)
	v_add_f64_e32 v[18:19], v[18:19], v[4:5]
	v_add_f64_e32 v[20:21], v[20:21], v[44:45]
.LBB169_129:                            ;   in Loop: Header=BB169_3 Depth=1
	s_or_b32 exec_lo, exec_lo, s17
.LBB169_130:                            ;   in Loop: Header=BB169_3 Depth=1
	s_delay_alu instid0(SALU_CYCLE_1)
	s_or_b32 exec_lo, exec_lo, s48
	s_and_saveexec_b32 s17, s69
	s_cbranch_execz .LBB169_132
; %bb.131:                              ;   in Loop: Header=BB169_3 Depth=1
	s_delay_alu instid0(VALU_DEP_2) | instskip(NEXT) | instid1(VALU_DEP_2)
	v_xor_b32_e32 v71, 0x80000000, v19
	v_xor_b32_e32 v73, 0x80000000, v21
	s_delay_alu instid0(VALU_DEP_3)
	v_dual_mov_b32 v70, v18 :: v_dual_mov_b32 v72, v20
	ds_store_b128 v25, v[70:73]
.LBB169_132:                            ;   in Loop: Header=BB169_3 Depth=1
	s_or_b32 exec_lo, exec_lo, s17
	s_wait_loadcnt_dscnt 0x0
	s_barrier_signal -1
	s_barrier_wait -1
	s_and_saveexec_b32 s17, s70
	s_cbranch_execz .LBB169_134
; %bb.133:                              ;   in Loop: Header=BB169_3 Depth=1
	ds_load_b128 v[70:73], v25
	ds_load_b128 v[74:77], v2 offset:11072
	s_wait_dscnt 0x0
	v_mul_f64_e32 v[4:5], v[70:71], v[74:75]
	v_mul_f64_e32 v[44:45], v[70:71], v[76:77]
	s_delay_alu instid0(VALU_DEP_2) | instskip(NEXT) | instid1(VALU_DEP_2)
	v_fma_f64 v[4:5], v[72:73], v[76:77], -v[4:5]
	v_fmac_f64_e32 v[44:45], v[72:73], v[74:75]
	s_delay_alu instid0(VALU_DEP_2) | instskip(NEXT) | instid1(VALU_DEP_2)
	v_add_f64_e32 v[18:19], v[18:19], v[4:5]
	v_add_f64_e64 v[20:21], v[20:21], -v[44:45]
.LBB169_134:                            ;   in Loop: Header=BB169_3 Depth=1
	s_or_b32 exec_lo, exec_lo, s17
	s_barrier_signal -1
	s_barrier_wait -1
	s_and_saveexec_b32 s17, s70
	s_cbranch_execz .LBB169_136
; %bb.135:                              ;   in Loop: Header=BB169_3 Depth=1
	s_delay_alu instid0(VALU_DEP_2) | instskip(NEXT) | instid1(VALU_DEP_2)
	v_xor_b32_e32 v71, 0x80000000, v19
	v_xor_b32_e32 v73, 0x80000000, v21
	s_delay_alu instid0(VALU_DEP_3)
	v_dual_mov_b32 v70, v18 :: v_dual_mov_b32 v72, v20
	ds_store_b128 v25, v[70:73]
.LBB169_136:                            ;   in Loop: Header=BB169_3 Depth=1
	s_or_b32 exec_lo, exec_lo, s17
	s_wait_dscnt 0x0
	s_barrier_signal -1
	s_barrier_wait -1
	s_barrier_signal -1
	s_barrier_wait -1
	s_and_saveexec_b32 s17, s2
; %bb.137:                              ;   in Loop: Header=BB169_3 Depth=1
	ds_store_b128 v49, v[18:21] offset:12096
; %bb.138:                              ;   in Loop: Header=BB169_3 Depth=1
	s_or_b32 exec_lo, exec_lo, s17
	s_wait_dscnt 0x0
	s_barrier_signal -1
	s_barrier_wait -1
	s_barrier_signal -1
	s_barrier_wait -1
	s_and_saveexec_b32 s17, s1
	s_cbranch_execz .LBB169_140
; %bb.139:                              ;   in Loop: Header=BB169_3 Depth=1
	s_mov_b32 s48, s53
	s_mov_b32 s50, s53
	;; [unrolled: 1-line block ×3, first 2 shown]
	v_mov_b64_e32 v[18:19], s[48:49]
	v_mov_b64_e32 v[20:21], s[50:51]
	ds_store_b128 v2, v[18:21] offset:10560
	ds_store_b128 v2, v[18:21] offset:11088
.LBB169_140:                            ;   in Loop: Header=BB169_3 Depth=1
	s_or_b32 exec_lo, exec_lo, s17
	v_mov_b64_e32 v[20:21], 0
	v_mov_b64_e32 v[18:19], 0
	s_wait_dscnt 0x0
	s_barrier_signal -1
	s_barrier_wait -1
	global_wb scope:SCOPE_DEV
	s_wait_storecnt 0x0
	global_inv scope:SCOPE_DEV
	s_and_saveexec_b32 s48, s4
	s_cbranch_execz .LBB169_146
; %bb.141:                              ;   in Loop: Header=BB169_3 Depth=1
	ds_load_b128 v[18:21], v52 offset:12096
	ds_load_b128 v[70:73], v51 offset:10496
	s_wait_dscnt 0x0
	v_mul_f64_e32 v[4:5], v[20:21], v[72:73]
	v_mul_f64_e32 v[44:45], v[18:19], v[72:73]
	s_delay_alu instid0(VALU_DEP_2) | instskip(NEXT) | instid1(VALU_DEP_2)
	v_fma_f64 v[4:5], v[18:19], v[70:71], -v[4:5]
	v_fmac_f64_e32 v[44:45], v[20:21], v[70:71]
	s_delay_alu instid0(VALU_DEP_2) | instskip(NEXT) | instid1(VALU_DEP_2)
	v_add_f64_e32 v[18:19], 0, v[4:5]
	v_add_f64_e32 v[20:21], 0, v[44:45]
	s_and_saveexec_b32 s17, s5
	s_cbranch_execnz .LBB169_496
; %bb.142:                              ;   in Loop: Header=BB169_3 Depth=1
	s_or_b32 exec_lo, exec_lo, s17
	s_and_saveexec_b32 s17, s6
	s_cbranch_execnz .LBB169_497
.LBB169_143:                            ;   in Loop: Header=BB169_3 Depth=1
	s_or_b32 exec_lo, exec_lo, s17
	s_and_saveexec_b32 s17, s2
	s_cbranch_execz .LBB169_145
.LBB169_144:                            ;   in Loop: Header=BB169_3 Depth=1
	ds_load_b128 v[70:73], v2 offset:12144
	ds_load_b128 v[74:77], v48 offset:12032
	s_wait_dscnt 0x0
	v_mul_f64_e32 v[4:5], v[72:73], v[76:77]
	v_mul_f64_e32 v[44:45], v[70:71], v[76:77]
	s_delay_alu instid0(VALU_DEP_2) | instskip(NEXT) | instid1(VALU_DEP_2)
	v_fma_f64 v[4:5], v[70:71], v[74:75], -v[4:5]
	v_fmac_f64_e32 v[44:45], v[72:73], v[74:75]
	s_delay_alu instid0(VALU_DEP_2) | instskip(NEXT) | instid1(VALU_DEP_2)
	v_add_f64_e32 v[18:19], v[18:19], v[4:5]
	v_add_f64_e32 v[20:21], v[20:21], v[44:45]
.LBB169_145:                            ;   in Loop: Header=BB169_3 Depth=1
	s_or_b32 exec_lo, exec_lo, s17
.LBB169_146:                            ;   in Loop: Header=BB169_3 Depth=1
	s_delay_alu instid0(SALU_CYCLE_1)
	s_or_b32 exec_lo, exec_lo, s48
	s_and_saveexec_b32 s17, s71
	s_cbranch_execz .LBB169_148
; %bb.147:                              ;   in Loop: Header=BB169_3 Depth=1
	s_delay_alu instid0(VALU_DEP_1) | instskip(NEXT) | instid1(VALU_DEP_3)
	v_xor_b32_e32 v73, 0x80000000, v21
	v_xor_b32_e32 v71, 0x80000000, v19
	s_delay_alu instid0(VALU_DEP_3)
	v_dual_mov_b32 v70, v18 :: v_dual_mov_b32 v72, v20
	ds_store_b128 v50, v[70:73]
.LBB169_148:                            ;   in Loop: Header=BB169_3 Depth=1
	s_or_b32 exec_lo, exec_lo, s17
	s_wait_loadcnt_dscnt 0x0
	s_barrier_signal -1
	s_barrier_wait -1
	s_and_saveexec_b32 s17, s72
	s_cbranch_execz .LBB169_150
; %bb.149:                              ;   in Loop: Header=BB169_3 Depth=1
	ds_load_b128 v[70:73], v50
	ds_load_b128 v[74:77], v51 offset:9984
	s_wait_dscnt 0x0
	v_mul_f64_e32 v[4:5], v[72:73], v[76:77]
	v_mul_f64_e32 v[44:45], v[70:71], v[76:77]
	s_delay_alu instid0(VALU_DEP_2) | instskip(NEXT) | instid1(VALU_DEP_2)
	v_fma_f64 v[4:5], v[70:71], v[74:75], -v[4:5]
	v_fmac_f64_e32 v[44:45], v[72:73], v[74:75]
	s_delay_alu instid0(VALU_DEP_2) | instskip(NEXT) | instid1(VALU_DEP_2)
	v_add_f64_e64 v[18:19], v[18:19], -v[4:5]
	v_add_f64_e64 v[20:21], v[20:21], -v[44:45]
.LBB169_150:                            ;   in Loop: Header=BB169_3 Depth=1
	s_or_b32 exec_lo, exec_lo, s17
	s_barrier_signal -1
	s_barrier_wait -1
	s_and_saveexec_b32 s17, s73
	s_cbranch_execz .LBB169_152
; %bb.151:                              ;   in Loop: Header=BB169_3 Depth=1
	s_delay_alu instid0(VALU_DEP_1) | instskip(NEXT) | instid1(VALU_DEP_3)
	v_xor_b32_e32 v73, 0x80000000, v21
	v_xor_b32_e32 v71, 0x80000000, v19
	s_delay_alu instid0(VALU_DEP_3)
	v_dual_mov_b32 v70, v18 :: v_dual_mov_b32 v72, v20
	ds_store_b128 v50, v[70:73]
.LBB169_152:                            ;   in Loop: Header=BB169_3 Depth=1
	s_or_b32 exec_lo, exec_lo, s17
	s_wait_dscnt 0x0
	s_barrier_signal -1
	s_barrier_wait -1
	s_and_saveexec_b32 s17, s74
	s_cbranch_execz .LBB169_154
; %bb.153:                              ;   in Loop: Header=BB169_3 Depth=1
	ds_load_b128 v[70:73], v50
	ds_load_b128 v[74:77], v51 offset:9472
	s_wait_dscnt 0x0
	v_mul_f64_e32 v[4:5], v[72:73], v[76:77]
	v_mul_f64_e32 v[44:45], v[70:71], v[76:77]
	s_delay_alu instid0(VALU_DEP_2) | instskip(NEXT) | instid1(VALU_DEP_2)
	v_fma_f64 v[4:5], v[70:71], v[74:75], -v[4:5]
	v_fmac_f64_e32 v[44:45], v[72:73], v[74:75]
	s_delay_alu instid0(VALU_DEP_2) | instskip(NEXT) | instid1(VALU_DEP_2)
	v_add_f64_e64 v[18:19], v[18:19], -v[4:5]
	v_add_f64_e64 v[20:21], v[20:21], -v[44:45]
.LBB169_154:                            ;   in Loop: Header=BB169_3 Depth=1
	s_or_b32 exec_lo, exec_lo, s17
	s_barrier_signal -1
	s_barrier_wait -1
	s_and_saveexec_b32 s17, s75
	s_cbranch_execz .LBB169_156
; %bb.155:                              ;   in Loop: Header=BB169_3 Depth=1
	s_delay_alu instid0(VALU_DEP_1) | instskip(NEXT) | instid1(VALU_DEP_3)
	v_xor_b32_e32 v73, 0x80000000, v21
	v_xor_b32_e32 v71, 0x80000000, v19
	s_delay_alu instid0(VALU_DEP_3)
	v_dual_mov_b32 v70, v18 :: v_dual_mov_b32 v72, v20
	ds_store_b128 v50, v[70:73]
.LBB169_156:                            ;   in Loop: Header=BB169_3 Depth=1
	s_or_b32 exec_lo, exec_lo, s17
	s_wait_dscnt 0x0
	;; [unrolled: 32-line block ×3, first 2 shown]
	s_barrier_signal -1
	s_barrier_wait -1
	s_barrier_signal -1
	s_barrier_wait -1
	s_and_saveexec_b32 s17, s4
; %bb.161:                              ;   in Loop: Header=BB169_3 Depth=1
	ds_store_b128 v53, v[18:21] offset:12032
; %bb.162:                              ;   in Loop: Header=BB169_3 Depth=1
	s_or_b32 exec_lo, exec_lo, s17
	s_wait_dscnt 0x0
	s_barrier_signal -1
	s_barrier_wait -1
	s_barrier_signal -1
	s_barrier_wait -1
	s_and_saveexec_b32 s17, s1
	s_cbranch_execz .LBB169_164
; %bb.163:                              ;   in Loop: Header=BB169_3 Depth=1
	s_mov_b32 s48, s53
	s_mov_b32 s50, s53
	;; [unrolled: 1-line block ×3, first 2 shown]
	v_mov_b64_e32 v[18:19], s[48:49]
	v_mov_b64_e32 v[20:21], s[50:51]
	ds_store_b128 v2, v[18:21] offset:9504
	ds_store_b128 v2, v[18:21] offset:10032
.LBB169_164:                            ;   in Loop: Header=BB169_3 Depth=1
	s_or_b32 exec_lo, exec_lo, s17
	v_mov_b64_e32 v[18:19], 0
	v_mov_b64_e32 v[20:21], 0
	s_wait_dscnt 0x0
	s_barrier_signal -1
	s_barrier_wait -1
	global_wb scope:SCOPE_DEV
	s_wait_storecnt 0x0
	global_inv scope:SCOPE_DEV
	s_and_saveexec_b32 s48, s2
	s_cbranch_execz .LBB169_168
; %bb.165:                              ;   in Loop: Header=BB169_3 Depth=1
	ds_load_b128 v[18:21], v47 offset:10016
	ds_load_b128 v[70:73], v46 offset:9472
	s_wait_dscnt 0x0
	v_mul_f64_e32 v[4:5], v[20:21], v[72:73]
	v_mul_f64_e32 v[44:45], v[18:19], v[72:73]
	s_delay_alu instid0(VALU_DEP_2) | instskip(NEXT) | instid1(VALU_DEP_2)
	v_fma_f64 v[4:5], v[18:19], v[70:71], -v[4:5]
	v_fmac_f64_e32 v[44:45], v[20:21], v[70:71]
	s_delay_alu instid0(VALU_DEP_2) | instskip(NEXT) | instid1(VALU_DEP_2)
	v_add_f64_e32 v[18:19], 0, v[4:5]
	v_add_f64_e32 v[20:21], 0, v[44:45]
	s_and_saveexec_b32 s17, s3
	s_cbranch_execz .LBB169_167
; %bb.166:                              ;   in Loop: Header=BB169_3 Depth=1
	ds_load_b128 v[70:73], v2 offset:10032
	ds_load_b128 v[74:77], v48 offset:9984
	s_wait_dscnt 0x0
	v_mul_f64_e32 v[4:5], v[72:73], v[76:77]
	v_mul_f64_e32 v[44:45], v[70:71], v[76:77]
	s_delay_alu instid0(VALU_DEP_2) | instskip(NEXT) | instid1(VALU_DEP_2)
	v_fma_f64 v[4:5], v[70:71], v[74:75], -v[4:5]
	v_fmac_f64_e32 v[44:45], v[72:73], v[74:75]
	s_delay_alu instid0(VALU_DEP_2) | instskip(NEXT) | instid1(VALU_DEP_2)
	v_add_f64_e32 v[18:19], v[18:19], v[4:5]
	v_add_f64_e32 v[20:21], v[20:21], v[44:45]
.LBB169_167:                            ;   in Loop: Header=BB169_3 Depth=1
	s_or_b32 exec_lo, exec_lo, s17
.LBB169_168:                            ;   in Loop: Header=BB169_3 Depth=1
	s_delay_alu instid0(SALU_CYCLE_1)
	s_or_b32 exec_lo, exec_lo, s48
	s_and_saveexec_b32 s17, s69
	s_cbranch_execz .LBB169_170
; %bb.169:                              ;   in Loop: Header=BB169_3 Depth=1
	s_delay_alu instid0(VALU_DEP_2) | instskip(NEXT) | instid1(VALU_DEP_2)
	v_xor_b32_e32 v71, 0x80000000, v19
	v_xor_b32_e32 v73, 0x80000000, v21
	s_delay_alu instid0(VALU_DEP_3)
	v_dual_mov_b32 v70, v18 :: v_dual_mov_b32 v72, v20
	ds_store_b128 v25, v[70:73]
.LBB169_170:                            ;   in Loop: Header=BB169_3 Depth=1
	s_or_b32 exec_lo, exec_lo, s17
	s_wait_loadcnt_dscnt 0x0
	s_barrier_signal -1
	s_barrier_wait -1
	s_and_saveexec_b32 s17, s70
	s_cbranch_execz .LBB169_172
; %bb.171:                              ;   in Loop: Header=BB169_3 Depth=1
	ds_load_b128 v[70:73], v25
	ds_load_b128 v[74:77], v2 offset:8960
	s_wait_dscnt 0x0
	v_mul_f64_e32 v[4:5], v[70:71], v[74:75]
	v_mul_f64_e32 v[44:45], v[70:71], v[76:77]
	s_delay_alu instid0(VALU_DEP_2) | instskip(NEXT) | instid1(VALU_DEP_2)
	v_fma_f64 v[4:5], v[72:73], v[76:77], -v[4:5]
	v_fmac_f64_e32 v[44:45], v[72:73], v[74:75]
	s_delay_alu instid0(VALU_DEP_2) | instskip(NEXT) | instid1(VALU_DEP_2)
	v_add_f64_e32 v[18:19], v[18:19], v[4:5]
	v_add_f64_e64 v[20:21], v[20:21], -v[44:45]
.LBB169_172:                            ;   in Loop: Header=BB169_3 Depth=1
	s_or_b32 exec_lo, exec_lo, s17
	s_barrier_signal -1
	s_barrier_wait -1
	s_and_saveexec_b32 s17, s70
	s_cbranch_execz .LBB169_174
; %bb.173:                              ;   in Loop: Header=BB169_3 Depth=1
	s_delay_alu instid0(VALU_DEP_2) | instskip(NEXT) | instid1(VALU_DEP_2)
	v_xor_b32_e32 v71, 0x80000000, v19
	v_xor_b32_e32 v73, 0x80000000, v21
	s_delay_alu instid0(VALU_DEP_3)
	v_dual_mov_b32 v70, v18 :: v_dual_mov_b32 v72, v20
	ds_store_b128 v25, v[70:73]
.LBB169_174:                            ;   in Loop: Header=BB169_3 Depth=1
	s_or_b32 exec_lo, exec_lo, s17
	s_wait_dscnt 0x0
	s_barrier_signal -1
	s_barrier_wait -1
	s_barrier_signal -1
	s_barrier_wait -1
	s_and_saveexec_b32 s17, s2
; %bb.175:                              ;   in Loop: Header=BB169_3 Depth=1
	ds_store_b128 v49, v[18:21] offset:9984
; %bb.176:                              ;   in Loop: Header=BB169_3 Depth=1
	s_or_b32 exec_lo, exec_lo, s17
	s_wait_dscnt 0x0
	s_barrier_signal -1
	s_barrier_wait -1
	s_barrier_signal -1
	s_barrier_wait -1
	s_and_saveexec_b32 s17, s1
	s_cbranch_execz .LBB169_178
; %bb.177:                              ;   in Loop: Header=BB169_3 Depth=1
	s_mov_b32 s48, s53
	s_mov_b32 s50, s53
	;; [unrolled: 1-line block ×3, first 2 shown]
	v_mov_b64_e32 v[18:19], s[48:49]
	v_mov_b64_e32 v[20:21], s[50:51]
	ds_store_b128 v2, v[18:21] offset:8448
	ds_store_b128 v2, v[18:21] offset:8976
.LBB169_178:                            ;   in Loop: Header=BB169_3 Depth=1
	s_or_b32 exec_lo, exec_lo, s17
	v_mov_b64_e32 v[20:21], 0
	v_mov_b64_e32 v[18:19], 0
	s_wait_dscnt 0x0
	s_barrier_signal -1
	s_barrier_wait -1
	global_wb scope:SCOPE_DEV
	s_wait_storecnt 0x0
	global_inv scope:SCOPE_DEV
	s_and_saveexec_b32 s48, s9
	s_cbranch_execz .LBB169_206
; %bb.179:                              ;   in Loop: Header=BB169_3 Depth=1
	ds_load_b128 v[18:21], v60 offset:16128
	ds_load_b128 v[70:73], v59 offset:8192
	v_readlane_b32 s20, v78, 18
	s_wait_dscnt 0x0
	v_mul_f64_e32 v[4:5], v[20:21], v[72:73]
	v_mul_f64_e32 v[44:45], v[18:19], v[72:73]
	s_delay_alu instid0(VALU_DEP_2) | instskip(NEXT) | instid1(VALU_DEP_2)
	v_fma_f64 v[4:5], v[18:19], v[70:71], -v[4:5]
	v_fmac_f64_e32 v[44:45], v[20:21], v[70:71]
	s_delay_alu instid0(VALU_DEP_2) | instskip(NEXT) | instid1(VALU_DEP_2)
	v_add_f64_e32 v[18:19], 0, v[4:5]
	v_add_f64_e32 v[20:21], 0, v[44:45]
	s_and_saveexec_b32 s17, s20
	s_cbranch_execz .LBB169_181
; %bb.180:                              ;   in Loop: Header=BB169_3 Depth=1
	ds_load_b128 v[70:73], v60 offset:16144
	ds_load_b128 v[74:77], v59 offset:8704
	s_wait_dscnt 0x0
	v_mul_f64_e32 v[4:5], v[72:73], v[76:77]
	v_mul_f64_e32 v[44:45], v[70:71], v[76:77]
	s_delay_alu instid0(VALU_DEP_2) | instskip(NEXT) | instid1(VALU_DEP_2)
	v_fma_f64 v[4:5], v[70:71], v[74:75], -v[4:5]
	v_fmac_f64_e32 v[44:45], v[72:73], v[74:75]
	s_delay_alu instid0(VALU_DEP_2) | instskip(NEXT) | instid1(VALU_DEP_2)
	v_add_f64_e32 v[18:19], v[18:19], v[4:5]
	v_add_f64_e32 v[20:21], v[20:21], v[44:45]
.LBB169_181:                            ;   in Loop: Header=BB169_3 Depth=1
	s_or_b32 exec_lo, exec_lo, s17
	v_readlane_b32 s20, v78, 19
	s_and_saveexec_b32 s17, s20
	s_cbranch_execz .LBB169_183
; %bb.182:                              ;   in Loop: Header=BB169_3 Depth=1
	ds_load_b128 v[70:73], v60 offset:16160
	ds_load_b128 v[74:77], v59 offset:9216
	s_wait_dscnt 0x0
	v_mul_f64_e32 v[4:5], v[72:73], v[76:77]
	v_mul_f64_e32 v[44:45], v[70:71], v[76:77]
	s_delay_alu instid0(VALU_DEP_2) | instskip(NEXT) | instid1(VALU_DEP_2)
	v_fma_f64 v[4:5], v[70:71], v[74:75], -v[4:5]
	v_fmac_f64_e32 v[44:45], v[72:73], v[74:75]
	s_delay_alu instid0(VALU_DEP_2) | instskip(NEXT) | instid1(VALU_DEP_2)
	v_add_f64_e32 v[18:19], v[18:19], v[4:5]
	v_add_f64_e32 v[20:21], v[20:21], v[44:45]
.LBB169_183:                            ;   in Loop: Header=BB169_3 Depth=1
	s_or_b32 exec_lo, exec_lo, s17
	v_readlane_b32 s20, v78, 20
	;; [unrolled: 17-line block ×10, first 2 shown]
	s_and_saveexec_b32 s17, s20
	s_cbranch_execnz .LBB169_498
; %bb.200:                              ;   in Loop: Header=BB169_3 Depth=1
	s_or_b32 exec_lo, exec_lo, s17
	s_and_saveexec_b32 s17, s7
	s_cbranch_execnz .LBB169_499
.LBB169_201:                            ;   in Loop: Header=BB169_3 Depth=1
	s_or_b32 exec_lo, exec_lo, s17
	s_and_saveexec_b32 s17, s13
	s_cbranch_execnz .LBB169_500
.LBB169_202:                            ;   in Loop: Header=BB169_3 Depth=1
	s_or_b32 exec_lo, exec_lo, s17
	s_and_saveexec_b32 s17, s15
	s_cbranch_execnz .LBB169_501
.LBB169_203:                            ;   in Loop: Header=BB169_3 Depth=1
	s_or_b32 exec_lo, exec_lo, s17
	s_and_saveexec_b32 s17, s4
	s_cbranch_execz .LBB169_205
.LBB169_204:                            ;   in Loop: Header=BB169_3 Depth=1
	ds_load_b128 v[70:73], v2 offset:16368
	ds_load_b128 v[74:77], v48 offset:15872
	s_wait_dscnt 0x0
	v_mul_f64_e32 v[4:5], v[72:73], v[76:77]
	v_mul_f64_e32 v[44:45], v[70:71], v[76:77]
	s_delay_alu instid0(VALU_DEP_2) | instskip(NEXT) | instid1(VALU_DEP_2)
	v_fma_f64 v[4:5], v[70:71], v[74:75], -v[4:5]
	v_fmac_f64_e32 v[44:45], v[72:73], v[74:75]
	s_delay_alu instid0(VALU_DEP_2) | instskip(NEXT) | instid1(VALU_DEP_2)
	v_add_f64_e32 v[18:19], v[18:19], v[4:5]
	v_add_f64_e32 v[20:21], v[20:21], v[44:45]
.LBB169_205:                            ;   in Loop: Header=BB169_3 Depth=1
	s_or_b32 exec_lo, exec_lo, s17
.LBB169_206:                            ;   in Loop: Header=BB169_3 Depth=1
	s_delay_alu instid0(SALU_CYCLE_1)
	s_or_b32 exec_lo, exec_lo, s48
	v_readlane_b32 s20, v78, 1
	s_and_saveexec_b32 s17, s20
	s_cbranch_execz .LBB169_208
; %bb.207:                              ;   in Loop: Header=BB169_3 Depth=1
	v_xor_b32_e32 v73, 0x80000000, v21
	v_xor_b32_e32 v71, 0x80000000, v19
	v_dual_mov_b32 v70, v18 :: v_dual_mov_b32 v72, v20
	ds_store_b128 v58, v[70:73]
.LBB169_208:                            ;   in Loop: Header=BB169_3 Depth=1
	s_or_b32 exec_lo, exec_lo, s17
	v_readlane_b32 s20, v78, 2
	s_wait_loadcnt_dscnt 0x0
	s_barrier_signal -1
	s_barrier_wait -1
	s_and_saveexec_b32 s17, s20
	s_cbranch_execz .LBB169_210
; %bb.209:                              ;   in Loop: Header=BB169_3 Depth=1
	ds_load_b128 v[70:73], v58
	ds_load_b128 v[74:77], v59 offset:7680
	s_wait_dscnt 0x0
	v_mul_f64_e32 v[4:5], v[72:73], v[76:77]
	v_mul_f64_e32 v[44:45], v[70:71], v[76:77]
	s_delay_alu instid0(VALU_DEP_2) | instskip(NEXT) | instid1(VALU_DEP_2)
	v_fma_f64 v[4:5], v[70:71], v[74:75], -v[4:5]
	v_fmac_f64_e32 v[44:45], v[72:73], v[74:75]
	s_delay_alu instid0(VALU_DEP_2) | instskip(NEXT) | instid1(VALU_DEP_2)
	v_add_f64_e64 v[18:19], v[18:19], -v[4:5]
	v_add_f64_e64 v[20:21], v[20:21], -v[44:45]
.LBB169_210:                            ;   in Loop: Header=BB169_3 Depth=1
	s_or_b32 exec_lo, exec_lo, s17
	v_readlane_b32 s20, v78, 3
	s_barrier_signal -1
	s_barrier_wait -1
	s_and_saveexec_b32 s17, s20
	s_cbranch_execz .LBB169_212
; %bb.211:                              ;   in Loop: Header=BB169_3 Depth=1
	v_xor_b32_e32 v73, 0x80000000, v21
	v_xor_b32_e32 v71, 0x80000000, v19
	v_dual_mov_b32 v70, v18 :: v_dual_mov_b32 v72, v20
	ds_store_b128 v58, v[70:73]
.LBB169_212:                            ;   in Loop: Header=BB169_3 Depth=1
	s_or_b32 exec_lo, exec_lo, s17
	v_readlane_b32 s20, v78, 4
	s_wait_dscnt 0x0
	s_barrier_signal -1
	s_barrier_wait -1
	s_and_saveexec_b32 s17, s20
	s_cbranch_execz .LBB169_214
; %bb.213:                              ;   in Loop: Header=BB169_3 Depth=1
	ds_load_b128 v[70:73], v58
	ds_load_b128 v[74:77], v59 offset:7168
	s_wait_dscnt 0x0
	v_mul_f64_e32 v[4:5], v[72:73], v[76:77]
	v_mul_f64_e32 v[44:45], v[70:71], v[76:77]
	s_delay_alu instid0(VALU_DEP_2) | instskip(NEXT) | instid1(VALU_DEP_2)
	v_fma_f64 v[4:5], v[70:71], v[74:75], -v[4:5]
	v_fmac_f64_e32 v[44:45], v[72:73], v[74:75]
	s_delay_alu instid0(VALU_DEP_2) | instskip(NEXT) | instid1(VALU_DEP_2)
	v_add_f64_e64 v[18:19], v[18:19], -v[4:5]
	v_add_f64_e64 v[20:21], v[20:21], -v[44:45]
.LBB169_214:                            ;   in Loop: Header=BB169_3 Depth=1
	s_or_b32 exec_lo, exec_lo, s17
	v_readlane_b32 s20, v78, 5
	s_barrier_signal -1
	s_barrier_wait -1
	s_and_saveexec_b32 s17, s20
	s_cbranch_execz .LBB169_216
; %bb.215:                              ;   in Loop: Header=BB169_3 Depth=1
	v_xor_b32_e32 v73, 0x80000000, v21
	v_xor_b32_e32 v71, 0x80000000, v19
	v_dual_mov_b32 v70, v18 :: v_dual_mov_b32 v72, v20
	ds_store_b128 v58, v[70:73]
.LBB169_216:                            ;   in Loop: Header=BB169_3 Depth=1
	s_or_b32 exec_lo, exec_lo, s17
	v_readlane_b32 s20, v78, 6
	s_wait_dscnt 0x0
	;; [unrolled: 32-line block ×7, first 2 shown]
	s_barrier_signal -1
	s_barrier_wait -1
	s_and_saveexec_b32 s17, s20
	s_cbranch_execz .LBB169_238
; %bb.237:                              ;   in Loop: Header=BB169_3 Depth=1
	ds_load_b128 v[70:73], v58
	ds_load_b128 v[74:77], v59 offset:4096
	s_wait_dscnt 0x0
	v_mul_f64_e32 v[4:5], v[72:73], v[76:77]
	v_mul_f64_e32 v[44:45], v[70:71], v[76:77]
	s_delay_alu instid0(VALU_DEP_2) | instskip(NEXT) | instid1(VALU_DEP_2)
	v_fma_f64 v[4:5], v[70:71], v[74:75], -v[4:5]
	v_fmac_f64_e32 v[44:45], v[72:73], v[74:75]
	s_delay_alu instid0(VALU_DEP_2) | instskip(NEXT) | instid1(VALU_DEP_2)
	v_add_f64_e64 v[18:19], v[18:19], -v[4:5]
	v_add_f64_e64 v[20:21], v[20:21], -v[44:45]
.LBB169_238:                            ;   in Loop: Header=BB169_3 Depth=1
	s_or_b32 exec_lo, exec_lo, s17
	s_barrier_signal -1
	s_barrier_wait -1
	s_and_saveexec_b32 s17, s21
	s_cbranch_execz .LBB169_240
; %bb.239:                              ;   in Loop: Header=BB169_3 Depth=1
	s_delay_alu instid0(VALU_DEP_1) | instskip(NEXT) | instid1(VALU_DEP_3)
	v_xor_b32_e32 v73, 0x80000000, v21
	v_xor_b32_e32 v71, 0x80000000, v19
	s_delay_alu instid0(VALU_DEP_3)
	v_dual_mov_b32 v70, v18 :: v_dual_mov_b32 v72, v20
	ds_store_b128 v58, v[70:73]
.LBB169_240:                            ;   in Loop: Header=BB169_3 Depth=1
	s_or_b32 exec_lo, exec_lo, s17
	s_wait_dscnt 0x0
	s_barrier_signal -1
	s_barrier_wait -1
	s_and_saveexec_b32 s17, s22
	s_cbranch_execz .LBB169_242
; %bb.241:                              ;   in Loop: Header=BB169_3 Depth=1
	ds_load_b128 v[70:73], v58
	ds_load_b128 v[74:77], v59 offset:3584
	s_wait_dscnt 0x0
	v_mul_f64_e32 v[4:5], v[72:73], v[76:77]
	v_mul_f64_e32 v[44:45], v[70:71], v[76:77]
	s_delay_alu instid0(VALU_DEP_2) | instskip(NEXT) | instid1(VALU_DEP_2)
	v_fma_f64 v[4:5], v[70:71], v[74:75], -v[4:5]
	v_fmac_f64_e32 v[44:45], v[72:73], v[74:75]
	s_delay_alu instid0(VALU_DEP_2) | instskip(NEXT) | instid1(VALU_DEP_2)
	v_add_f64_e64 v[18:19], v[18:19], -v[4:5]
	v_add_f64_e64 v[20:21], v[20:21], -v[44:45]
.LBB169_242:                            ;   in Loop: Header=BB169_3 Depth=1
	s_or_b32 exec_lo, exec_lo, s17
	s_barrier_signal -1
	s_barrier_wait -1
	s_and_saveexec_b32 s17, s23
	s_cbranch_execz .LBB169_244
; %bb.243:                              ;   in Loop: Header=BB169_3 Depth=1
	s_delay_alu instid0(VALU_DEP_1) | instskip(NEXT) | instid1(VALU_DEP_3)
	v_xor_b32_e32 v73, 0x80000000, v21
	v_xor_b32_e32 v71, 0x80000000, v19
	s_delay_alu instid0(VALU_DEP_3)
	v_dual_mov_b32 v70, v18 :: v_dual_mov_b32 v72, v20
	ds_store_b128 v58, v[70:73]
.LBB169_244:                            ;   in Loop: Header=BB169_3 Depth=1
	s_or_b32 exec_lo, exec_lo, s17
	s_wait_dscnt 0x0
	;; [unrolled: 32-line block ×8, first 2 shown]
	s_barrier_signal -1
	s_barrier_wait -1
	s_barrier_signal -1
	s_barrier_wait -1
	s_and_saveexec_b32 s17, s9
; %bb.269:                              ;   in Loop: Header=BB169_3 Depth=1
	ds_store_b128 v61, v[18:21] offset:15872
; %bb.270:                              ;   in Loop: Header=BB169_3 Depth=1
	s_or_b32 exec_lo, exec_lo, s17
	s_wait_dscnt 0x0
	s_barrier_signal -1
	s_barrier_wait -1
	s_barrier_signal -1
	s_barrier_wait -1
	s_and_saveexec_b32 s17, s1
	s_cbranch_execz .LBB169_272
; %bb.271:                              ;   in Loop: Header=BB169_3 Depth=1
	s_mov_b32 s48, s53
	s_mov_b32 s50, s53
	;; [unrolled: 1-line block ×3, first 2 shown]
	v_mov_b64_e32 v[18:19], s[48:49]
	v_mov_b64_e32 v[20:21], s[50:51]
	ds_store_b128 v2, v[18:21] offset:7392
	ds_store_b128 v2, v[18:21] offset:7920
.LBB169_272:                            ;   in Loop: Header=BB169_3 Depth=1
	s_or_b32 exec_lo, exec_lo, s17
	v_mov_b64_e32 v[18:19], 0
	v_mov_b64_e32 v[20:21], 0
	s_wait_dscnt 0x0
	s_barrier_signal -1
	s_barrier_wait -1
	global_wb scope:SCOPE_DEV
	s_wait_storecnt 0x0
	global_inv scope:SCOPE_DEV
	s_and_saveexec_b32 s48, s2
	s_cbranch_execz .LBB169_276
; %bb.273:                              ;   in Loop: Header=BB169_3 Depth=1
	ds_load_b128 v[18:21], v47 offset:7904
	ds_load_b128 v[70:73], v46 offset:7360
	s_wait_dscnt 0x0
	v_mul_f64_e32 v[4:5], v[20:21], v[72:73]
	v_mul_f64_e32 v[44:45], v[18:19], v[72:73]
	s_delay_alu instid0(VALU_DEP_2) | instskip(NEXT) | instid1(VALU_DEP_2)
	v_fma_f64 v[4:5], v[18:19], v[70:71], -v[4:5]
	v_fmac_f64_e32 v[44:45], v[20:21], v[70:71]
	s_delay_alu instid0(VALU_DEP_2) | instskip(NEXT) | instid1(VALU_DEP_2)
	v_add_f64_e32 v[18:19], 0, v[4:5]
	v_add_f64_e32 v[20:21], 0, v[44:45]
	s_and_saveexec_b32 s17, s3
	s_cbranch_execz .LBB169_275
; %bb.274:                              ;   in Loop: Header=BB169_3 Depth=1
	ds_load_b128 v[70:73], v2 offset:7920
	ds_load_b128 v[74:77], v48 offset:7872
	s_wait_dscnt 0x0
	v_mul_f64_e32 v[4:5], v[72:73], v[76:77]
	v_mul_f64_e32 v[44:45], v[70:71], v[76:77]
	s_delay_alu instid0(VALU_DEP_2) | instskip(NEXT) | instid1(VALU_DEP_2)
	v_fma_f64 v[4:5], v[70:71], v[74:75], -v[4:5]
	v_fmac_f64_e32 v[44:45], v[72:73], v[74:75]
	s_delay_alu instid0(VALU_DEP_2) | instskip(NEXT) | instid1(VALU_DEP_2)
	v_add_f64_e32 v[18:19], v[18:19], v[4:5]
	v_add_f64_e32 v[20:21], v[20:21], v[44:45]
.LBB169_275:                            ;   in Loop: Header=BB169_3 Depth=1
	s_or_b32 exec_lo, exec_lo, s17
.LBB169_276:                            ;   in Loop: Header=BB169_3 Depth=1
	s_delay_alu instid0(SALU_CYCLE_1)
	s_or_b32 exec_lo, exec_lo, s48
	s_and_saveexec_b32 s17, s69
	s_cbranch_execz .LBB169_278
; %bb.277:                              ;   in Loop: Header=BB169_3 Depth=1
	s_delay_alu instid0(VALU_DEP_2) | instskip(NEXT) | instid1(VALU_DEP_2)
	v_xor_b32_e32 v71, 0x80000000, v19
	v_xor_b32_e32 v73, 0x80000000, v21
	s_delay_alu instid0(VALU_DEP_3)
	v_dual_mov_b32 v70, v18 :: v_dual_mov_b32 v72, v20
	ds_store_b128 v25, v[70:73]
.LBB169_278:                            ;   in Loop: Header=BB169_3 Depth=1
	s_or_b32 exec_lo, exec_lo, s17
	s_wait_loadcnt_dscnt 0x0
	s_barrier_signal -1
	s_barrier_wait -1
	s_and_saveexec_b32 s17, s70
	s_cbranch_execz .LBB169_280
; %bb.279:                              ;   in Loop: Header=BB169_3 Depth=1
	ds_load_b128 v[70:73], v25
	ds_load_b128 v[74:77], v2 offset:6848
	s_wait_dscnt 0x0
	v_mul_f64_e32 v[4:5], v[70:71], v[74:75]
	v_mul_f64_e32 v[44:45], v[70:71], v[76:77]
	s_delay_alu instid0(VALU_DEP_2) | instskip(NEXT) | instid1(VALU_DEP_2)
	v_fma_f64 v[4:5], v[72:73], v[76:77], -v[4:5]
	v_fmac_f64_e32 v[44:45], v[72:73], v[74:75]
	s_delay_alu instid0(VALU_DEP_2) | instskip(NEXT) | instid1(VALU_DEP_2)
	v_add_f64_e32 v[18:19], v[18:19], v[4:5]
	v_add_f64_e64 v[20:21], v[20:21], -v[44:45]
.LBB169_280:                            ;   in Loop: Header=BB169_3 Depth=1
	s_or_b32 exec_lo, exec_lo, s17
	s_barrier_signal -1
	s_barrier_wait -1
	s_and_saveexec_b32 s17, s70
	s_cbranch_execz .LBB169_282
; %bb.281:                              ;   in Loop: Header=BB169_3 Depth=1
	s_delay_alu instid0(VALU_DEP_2) | instskip(NEXT) | instid1(VALU_DEP_2)
	v_xor_b32_e32 v71, 0x80000000, v19
	v_xor_b32_e32 v73, 0x80000000, v21
	s_delay_alu instid0(VALU_DEP_3)
	v_dual_mov_b32 v70, v18 :: v_dual_mov_b32 v72, v20
	ds_store_b128 v25, v[70:73]
.LBB169_282:                            ;   in Loop: Header=BB169_3 Depth=1
	s_or_b32 exec_lo, exec_lo, s17
	s_wait_dscnt 0x0
	s_barrier_signal -1
	s_barrier_wait -1
	s_barrier_signal -1
	s_barrier_wait -1
	s_and_saveexec_b32 s17, s2
; %bb.283:                              ;   in Loop: Header=BB169_3 Depth=1
	ds_store_b128 v49, v[18:21] offset:7872
; %bb.284:                              ;   in Loop: Header=BB169_3 Depth=1
	s_or_b32 exec_lo, exec_lo, s17
	s_wait_dscnt 0x0
	s_barrier_signal -1
	s_barrier_wait -1
	s_barrier_signal -1
	s_barrier_wait -1
	s_and_saveexec_b32 s17, s1
	s_cbranch_execz .LBB169_286
; %bb.285:                              ;   in Loop: Header=BB169_3 Depth=1
	s_mov_b32 s48, s53
	s_mov_b32 s50, s53
	;; [unrolled: 1-line block ×3, first 2 shown]
	v_mov_b64_e32 v[18:19], s[48:49]
	v_mov_b64_e32 v[20:21], s[50:51]
	ds_store_b128 v2, v[18:21] offset:6336
	ds_store_b128 v2, v[18:21] offset:6864
.LBB169_286:                            ;   in Loop: Header=BB169_3 Depth=1
	s_or_b32 exec_lo, exec_lo, s17
	v_mov_b64_e32 v[20:21], 0
	v_mov_b64_e32 v[18:19], 0
	s_wait_dscnt 0x0
	s_barrier_signal -1
	s_barrier_wait -1
	global_wb scope:SCOPE_DEV
	s_wait_storecnt 0x0
	global_inv scope:SCOPE_DEV
	s_and_saveexec_b32 s48, s4
	s_cbranch_execz .LBB169_292
; %bb.287:                              ;   in Loop: Header=BB169_3 Depth=1
	ds_load_b128 v[18:21], v52 offset:7872
	ds_load_b128 v[70:73], v51 offset:6272
	s_wait_dscnt 0x0
	v_mul_f64_e32 v[4:5], v[20:21], v[72:73]
	v_mul_f64_e32 v[44:45], v[18:19], v[72:73]
	s_delay_alu instid0(VALU_DEP_2) | instskip(NEXT) | instid1(VALU_DEP_2)
	v_fma_f64 v[4:5], v[18:19], v[70:71], -v[4:5]
	v_fmac_f64_e32 v[44:45], v[20:21], v[70:71]
	s_delay_alu instid0(VALU_DEP_2) | instskip(NEXT) | instid1(VALU_DEP_2)
	v_add_f64_e32 v[18:19], 0, v[4:5]
	v_add_f64_e32 v[20:21], 0, v[44:45]
	s_and_saveexec_b32 s17, s5
	s_cbranch_execnz .LBB169_502
; %bb.288:                              ;   in Loop: Header=BB169_3 Depth=1
	s_or_b32 exec_lo, exec_lo, s17
	s_and_saveexec_b32 s17, s6
	s_cbranch_execnz .LBB169_503
.LBB169_289:                            ;   in Loop: Header=BB169_3 Depth=1
	s_or_b32 exec_lo, exec_lo, s17
	s_and_saveexec_b32 s17, s2
	s_cbranch_execz .LBB169_291
.LBB169_290:                            ;   in Loop: Header=BB169_3 Depth=1
	ds_load_b128 v[70:73], v2 offset:7920
	ds_load_b128 v[74:77], v48 offset:7808
	s_wait_dscnt 0x0
	v_mul_f64_e32 v[4:5], v[72:73], v[76:77]
	v_mul_f64_e32 v[44:45], v[70:71], v[76:77]
	s_delay_alu instid0(VALU_DEP_2) | instskip(NEXT) | instid1(VALU_DEP_2)
	v_fma_f64 v[4:5], v[70:71], v[74:75], -v[4:5]
	v_fmac_f64_e32 v[44:45], v[72:73], v[74:75]
	s_delay_alu instid0(VALU_DEP_2) | instskip(NEXT) | instid1(VALU_DEP_2)
	v_add_f64_e32 v[18:19], v[18:19], v[4:5]
	v_add_f64_e32 v[20:21], v[20:21], v[44:45]
.LBB169_291:                            ;   in Loop: Header=BB169_3 Depth=1
	s_or_b32 exec_lo, exec_lo, s17
.LBB169_292:                            ;   in Loop: Header=BB169_3 Depth=1
	s_delay_alu instid0(SALU_CYCLE_1)
	s_or_b32 exec_lo, exec_lo, s48
	s_and_saveexec_b32 s17, s71
	s_cbranch_execz .LBB169_294
; %bb.293:                              ;   in Loop: Header=BB169_3 Depth=1
	s_delay_alu instid0(VALU_DEP_1) | instskip(NEXT) | instid1(VALU_DEP_3)
	v_xor_b32_e32 v73, 0x80000000, v21
	v_xor_b32_e32 v71, 0x80000000, v19
	s_delay_alu instid0(VALU_DEP_3)
	v_dual_mov_b32 v70, v18 :: v_dual_mov_b32 v72, v20
	ds_store_b128 v50, v[70:73]
.LBB169_294:                            ;   in Loop: Header=BB169_3 Depth=1
	s_or_b32 exec_lo, exec_lo, s17
	s_wait_loadcnt_dscnt 0x0
	s_barrier_signal -1
	s_barrier_wait -1
	s_and_saveexec_b32 s17, s72
	s_cbranch_execz .LBB169_296
; %bb.295:                              ;   in Loop: Header=BB169_3 Depth=1
	ds_load_b128 v[70:73], v50
	ds_load_b128 v[74:77], v51 offset:5760
	s_wait_dscnt 0x0
	v_mul_f64_e32 v[4:5], v[72:73], v[76:77]
	v_mul_f64_e32 v[44:45], v[70:71], v[76:77]
	s_delay_alu instid0(VALU_DEP_2) | instskip(NEXT) | instid1(VALU_DEP_2)
	v_fma_f64 v[4:5], v[70:71], v[74:75], -v[4:5]
	v_fmac_f64_e32 v[44:45], v[72:73], v[74:75]
	s_delay_alu instid0(VALU_DEP_2) | instskip(NEXT) | instid1(VALU_DEP_2)
	v_add_f64_e64 v[18:19], v[18:19], -v[4:5]
	v_add_f64_e64 v[20:21], v[20:21], -v[44:45]
.LBB169_296:                            ;   in Loop: Header=BB169_3 Depth=1
	s_or_b32 exec_lo, exec_lo, s17
	s_barrier_signal -1
	s_barrier_wait -1
	s_and_saveexec_b32 s17, s73
	s_cbranch_execz .LBB169_298
; %bb.297:                              ;   in Loop: Header=BB169_3 Depth=1
	s_delay_alu instid0(VALU_DEP_1) | instskip(NEXT) | instid1(VALU_DEP_3)
	v_xor_b32_e32 v73, 0x80000000, v21
	v_xor_b32_e32 v71, 0x80000000, v19
	s_delay_alu instid0(VALU_DEP_3)
	v_dual_mov_b32 v70, v18 :: v_dual_mov_b32 v72, v20
	ds_store_b128 v50, v[70:73]
.LBB169_298:                            ;   in Loop: Header=BB169_3 Depth=1
	s_or_b32 exec_lo, exec_lo, s17
	s_wait_dscnt 0x0
	s_barrier_signal -1
	s_barrier_wait -1
	s_and_saveexec_b32 s17, s74
	s_cbranch_execz .LBB169_300
; %bb.299:                              ;   in Loop: Header=BB169_3 Depth=1
	ds_load_b128 v[70:73], v50
	ds_load_b128 v[74:77], v51 offset:5248
	s_wait_dscnt 0x0
	v_mul_f64_e32 v[4:5], v[72:73], v[76:77]
	v_mul_f64_e32 v[44:45], v[70:71], v[76:77]
	s_delay_alu instid0(VALU_DEP_2) | instskip(NEXT) | instid1(VALU_DEP_2)
	v_fma_f64 v[4:5], v[70:71], v[74:75], -v[4:5]
	v_fmac_f64_e32 v[44:45], v[72:73], v[74:75]
	s_delay_alu instid0(VALU_DEP_2) | instskip(NEXT) | instid1(VALU_DEP_2)
	v_add_f64_e64 v[18:19], v[18:19], -v[4:5]
	v_add_f64_e64 v[20:21], v[20:21], -v[44:45]
.LBB169_300:                            ;   in Loop: Header=BB169_3 Depth=1
	s_or_b32 exec_lo, exec_lo, s17
	s_barrier_signal -1
	s_barrier_wait -1
	s_and_saveexec_b32 s17, s75
	s_cbranch_execz .LBB169_302
; %bb.301:                              ;   in Loop: Header=BB169_3 Depth=1
	s_delay_alu instid0(VALU_DEP_1) | instskip(NEXT) | instid1(VALU_DEP_3)
	v_xor_b32_e32 v73, 0x80000000, v21
	v_xor_b32_e32 v71, 0x80000000, v19
	s_delay_alu instid0(VALU_DEP_3)
	v_dual_mov_b32 v70, v18 :: v_dual_mov_b32 v72, v20
	ds_store_b128 v50, v[70:73]
.LBB169_302:                            ;   in Loop: Header=BB169_3 Depth=1
	s_or_b32 exec_lo, exec_lo, s17
	s_wait_dscnt 0x0
	;; [unrolled: 32-line block ×3, first 2 shown]
	s_barrier_signal -1
	s_barrier_wait -1
	s_barrier_signal -1
	s_barrier_wait -1
	s_and_saveexec_b32 s17, s4
; %bb.307:                              ;   in Loop: Header=BB169_3 Depth=1
	ds_store_b128 v53, v[18:21] offset:7808
; %bb.308:                              ;   in Loop: Header=BB169_3 Depth=1
	s_or_b32 exec_lo, exec_lo, s17
	s_wait_dscnt 0x0
	s_barrier_signal -1
	s_barrier_wait -1
	s_barrier_signal -1
	s_barrier_wait -1
	s_and_saveexec_b32 s17, s1
	s_cbranch_execz .LBB169_310
; %bb.309:                              ;   in Loop: Header=BB169_3 Depth=1
	s_mov_b32 s48, s53
	s_mov_b32 s50, s53
	;; [unrolled: 1-line block ×3, first 2 shown]
	v_mov_b64_e32 v[18:19], s[48:49]
	v_mov_b64_e32 v[20:21], s[50:51]
	ds_store_b128 v2, v[18:21] offset:5280
	ds_store_b128 v2, v[18:21] offset:5808
.LBB169_310:                            ;   in Loop: Header=BB169_3 Depth=1
	s_or_b32 exec_lo, exec_lo, s17
	v_mov_b64_e32 v[18:19], 0
	v_mov_b64_e32 v[20:21], 0
	s_wait_dscnt 0x0
	s_barrier_signal -1
	s_barrier_wait -1
	global_wb scope:SCOPE_DEV
	s_wait_storecnt 0x0
	global_inv scope:SCOPE_DEV
	s_and_saveexec_b32 s48, s2
	s_cbranch_execz .LBB169_314
; %bb.311:                              ;   in Loop: Header=BB169_3 Depth=1
	ds_load_b128 v[18:21], v47 offset:5792
	ds_load_b128 v[70:73], v46 offset:5248
	s_wait_dscnt 0x0
	v_mul_f64_e32 v[4:5], v[20:21], v[72:73]
	v_mul_f64_e32 v[44:45], v[18:19], v[72:73]
	s_delay_alu instid0(VALU_DEP_2) | instskip(NEXT) | instid1(VALU_DEP_2)
	v_fma_f64 v[4:5], v[18:19], v[70:71], -v[4:5]
	v_fmac_f64_e32 v[44:45], v[20:21], v[70:71]
	s_delay_alu instid0(VALU_DEP_2) | instskip(NEXT) | instid1(VALU_DEP_2)
	v_add_f64_e32 v[18:19], 0, v[4:5]
	v_add_f64_e32 v[20:21], 0, v[44:45]
	s_and_saveexec_b32 s17, s3
	s_cbranch_execz .LBB169_313
; %bb.312:                              ;   in Loop: Header=BB169_3 Depth=1
	ds_load_b128 v[70:73], v2 offset:5808
	ds_load_b128 v[74:77], v48 offset:5760
	s_wait_dscnt 0x0
	v_mul_f64_e32 v[4:5], v[72:73], v[76:77]
	v_mul_f64_e32 v[44:45], v[70:71], v[76:77]
	s_delay_alu instid0(VALU_DEP_2) | instskip(NEXT) | instid1(VALU_DEP_2)
	v_fma_f64 v[4:5], v[70:71], v[74:75], -v[4:5]
	v_fmac_f64_e32 v[44:45], v[72:73], v[74:75]
	s_delay_alu instid0(VALU_DEP_2) | instskip(NEXT) | instid1(VALU_DEP_2)
	v_add_f64_e32 v[18:19], v[18:19], v[4:5]
	v_add_f64_e32 v[20:21], v[20:21], v[44:45]
.LBB169_313:                            ;   in Loop: Header=BB169_3 Depth=1
	s_or_b32 exec_lo, exec_lo, s17
.LBB169_314:                            ;   in Loop: Header=BB169_3 Depth=1
	s_delay_alu instid0(SALU_CYCLE_1)
	s_or_b32 exec_lo, exec_lo, s48
	s_and_saveexec_b32 s17, s69
	s_cbranch_execz .LBB169_316
; %bb.315:                              ;   in Loop: Header=BB169_3 Depth=1
	s_delay_alu instid0(VALU_DEP_2) | instskip(NEXT) | instid1(VALU_DEP_2)
	v_xor_b32_e32 v71, 0x80000000, v19
	v_xor_b32_e32 v73, 0x80000000, v21
	s_delay_alu instid0(VALU_DEP_3)
	v_dual_mov_b32 v70, v18 :: v_dual_mov_b32 v72, v20
	ds_store_b128 v25, v[70:73]
.LBB169_316:                            ;   in Loop: Header=BB169_3 Depth=1
	s_or_b32 exec_lo, exec_lo, s17
	s_wait_loadcnt_dscnt 0x0
	s_barrier_signal -1
	s_barrier_wait -1
	s_and_saveexec_b32 s17, s70
	s_cbranch_execz .LBB169_318
; %bb.317:                              ;   in Loop: Header=BB169_3 Depth=1
	ds_load_b128 v[70:73], v25
	ds_load_b128 v[74:77], v2 offset:4736
	s_wait_dscnt 0x0
	v_mul_f64_e32 v[4:5], v[70:71], v[74:75]
	v_mul_f64_e32 v[44:45], v[70:71], v[76:77]
	s_delay_alu instid0(VALU_DEP_2) | instskip(NEXT) | instid1(VALU_DEP_2)
	v_fma_f64 v[4:5], v[72:73], v[76:77], -v[4:5]
	v_fmac_f64_e32 v[44:45], v[72:73], v[74:75]
	s_delay_alu instid0(VALU_DEP_2) | instskip(NEXT) | instid1(VALU_DEP_2)
	v_add_f64_e32 v[18:19], v[18:19], v[4:5]
	v_add_f64_e64 v[20:21], v[20:21], -v[44:45]
.LBB169_318:                            ;   in Loop: Header=BB169_3 Depth=1
	s_or_b32 exec_lo, exec_lo, s17
	s_barrier_signal -1
	s_barrier_wait -1
	s_and_saveexec_b32 s17, s70
	s_cbranch_execz .LBB169_320
; %bb.319:                              ;   in Loop: Header=BB169_3 Depth=1
	s_delay_alu instid0(VALU_DEP_2) | instskip(NEXT) | instid1(VALU_DEP_2)
	v_xor_b32_e32 v71, 0x80000000, v19
	v_xor_b32_e32 v73, 0x80000000, v21
	s_delay_alu instid0(VALU_DEP_3)
	v_dual_mov_b32 v70, v18 :: v_dual_mov_b32 v72, v20
	ds_store_b128 v25, v[70:73]
.LBB169_320:                            ;   in Loop: Header=BB169_3 Depth=1
	s_or_b32 exec_lo, exec_lo, s17
	s_wait_dscnt 0x0
	s_barrier_signal -1
	s_barrier_wait -1
	s_barrier_signal -1
	s_barrier_wait -1
	s_and_saveexec_b32 s17, s2
; %bb.321:                              ;   in Loop: Header=BB169_3 Depth=1
	ds_store_b128 v49, v[18:21] offset:5760
; %bb.322:                              ;   in Loop: Header=BB169_3 Depth=1
	s_or_b32 exec_lo, exec_lo, s17
	s_wait_dscnt 0x0
	s_barrier_signal -1
	s_barrier_wait -1
	s_barrier_signal -1
	s_barrier_wait -1
	s_and_saveexec_b32 s17, s1
	s_cbranch_execz .LBB169_324
; %bb.323:                              ;   in Loop: Header=BB169_3 Depth=1
	s_mov_b32 s48, s53
	s_mov_b32 s50, s53
	;; [unrolled: 1-line block ×3, first 2 shown]
	v_mov_b64_e32 v[18:19], s[48:49]
	v_mov_b64_e32 v[20:21], s[50:51]
	ds_store_b128 v2, v[18:21] offset:4224
	ds_store_b128 v2, v[18:21] offset:4752
.LBB169_324:                            ;   in Loop: Header=BB169_3 Depth=1
	s_or_b32 exec_lo, exec_lo, s17
	v_mov_b64_e32 v[20:21], 0
	v_mov_b64_e32 v[18:19], 0
	s_wait_dscnt 0x0
	s_barrier_signal -1
	s_barrier_wait -1
	global_wb scope:SCOPE_DEV
	s_wait_storecnt 0x0
	global_inv scope:SCOPE_DEV
	s_and_saveexec_b32 s48, s7
	s_cbranch_execz .LBB169_334
; %bb.325:                              ;   in Loop: Header=BB169_3 Depth=1
	ds_load_b128 v[18:21], v56 offset:7808
	ds_load_b128 v[70:73], v55 offset:4096
	v_readlane_b32 s20, v78, 0
	s_wait_dscnt 0x0
	v_mul_f64_e32 v[4:5], v[20:21], v[72:73]
	v_mul_f64_e32 v[44:45], v[18:19], v[72:73]
	s_delay_alu instid0(VALU_DEP_2) | instskip(NEXT) | instid1(VALU_DEP_2)
	v_fma_f64 v[4:5], v[18:19], v[70:71], -v[4:5]
	v_fmac_f64_e32 v[44:45], v[20:21], v[70:71]
	s_delay_alu instid0(VALU_DEP_2) | instskip(NEXT) | instid1(VALU_DEP_2)
	v_add_f64_e32 v[18:19], 0, v[4:5]
	v_add_f64_e32 v[20:21], 0, v[44:45]
	s_and_saveexec_b32 s17, s20
	s_cbranch_execnz .LBB169_504
; %bb.326:                              ;   in Loop: Header=BB169_3 Depth=1
	s_or_b32 exec_lo, exec_lo, s17
	s_and_saveexec_b32 s17, s13
	s_cbranch_execnz .LBB169_505
.LBB169_327:                            ;   in Loop: Header=BB169_3 Depth=1
	s_or_b32 exec_lo, exec_lo, s17
	s_and_saveexec_b32 s17, s14
	s_cbranch_execnz .LBB169_506
.LBB169_328:                            ;   in Loop: Header=BB169_3 Depth=1
	s_or_b32 exec_lo, exec_lo, s17
	s_and_saveexec_b32 s17, s15
	s_cbranch_execnz .LBB169_507
.LBB169_329:                            ;   in Loop: Header=BB169_3 Depth=1
	s_or_b32 exec_lo, exec_lo, s17
	s_and_saveexec_b32 s17, s16
	s_cbranch_execnz .LBB169_508
.LBB169_330:                            ;   in Loop: Header=BB169_3 Depth=1
	s_or_b32 exec_lo, exec_lo, s17
	s_and_saveexec_b32 s17, s4
	s_cbranch_execnz .LBB169_509
.LBB169_331:                            ;   in Loop: Header=BB169_3 Depth=1
	s_or_b32 exec_lo, exec_lo, s17
	s_and_saveexec_b32 s17, s6
	s_cbranch_execz .LBB169_333
.LBB169_332:                            ;   in Loop: Header=BB169_3 Depth=1
	ds_load_b128 v[70:73], v2 offset:7920
	ds_load_b128 v[74:77], v48 offset:7680
	s_wait_dscnt 0x0
	v_mul_f64_e32 v[4:5], v[72:73], v[76:77]
	v_mul_f64_e32 v[44:45], v[70:71], v[76:77]
	s_delay_alu instid0(VALU_DEP_2) | instskip(NEXT) | instid1(VALU_DEP_2)
	v_fma_f64 v[4:5], v[70:71], v[74:75], -v[4:5]
	v_fmac_f64_e32 v[44:45], v[72:73], v[74:75]
	s_delay_alu instid0(VALU_DEP_2) | instskip(NEXT) | instid1(VALU_DEP_2)
	v_add_f64_e32 v[18:19], v[18:19], v[4:5]
	v_add_f64_e32 v[20:21], v[20:21], v[44:45]
.LBB169_333:                            ;   in Loop: Header=BB169_3 Depth=1
	s_or_b32 exec_lo, exec_lo, s17
.LBB169_334:                            ;   in Loop: Header=BB169_3 Depth=1
	s_delay_alu instid0(SALU_CYCLE_1)
	s_or_b32 exec_lo, exec_lo, s48
	s_and_saveexec_b32 s17, s77
	s_cbranch_execz .LBB169_336
; %bb.335:                              ;   in Loop: Header=BB169_3 Depth=1
	s_delay_alu instid0(VALU_DEP_2) | instskip(NEXT) | instid1(VALU_DEP_2)
	v_xor_b32_e32 v71, 0x80000000, v19
	v_xor_b32_e32 v73, 0x80000000, v21
	s_delay_alu instid0(VALU_DEP_3)
	v_dual_mov_b32 v70, v18 :: v_dual_mov_b32 v72, v20
	ds_store_b128 v54, v[70:73]
.LBB169_336:                            ;   in Loop: Header=BB169_3 Depth=1
	s_or_b32 exec_lo, exec_lo, s17
	s_wait_loadcnt_dscnt 0x0
	s_barrier_signal -1
	s_barrier_wait -1
	s_and_saveexec_b32 s17, s78
	s_cbranch_execz .LBB169_338
; %bb.337:                              ;   in Loop: Header=BB169_3 Depth=1
	ds_load_b128 v[70:73], v54
	ds_load_b128 v[74:77], v55 offset:3584
	s_wait_dscnt 0x0
	v_mul_f64_e32 v[4:5], v[72:73], v[76:77]
	v_mul_f64_e32 v[44:45], v[70:71], v[76:77]
	s_delay_alu instid0(VALU_DEP_2) | instskip(NEXT) | instid1(VALU_DEP_2)
	v_fma_f64 v[4:5], v[70:71], v[74:75], -v[4:5]
	v_fmac_f64_e32 v[44:45], v[72:73], v[74:75]
	s_delay_alu instid0(VALU_DEP_2) | instskip(NEXT) | instid1(VALU_DEP_2)
	v_add_f64_e64 v[18:19], v[18:19], -v[4:5]
	v_add_f64_e64 v[20:21], v[20:21], -v[44:45]
.LBB169_338:                            ;   in Loop: Header=BB169_3 Depth=1
	s_or_b32 exec_lo, exec_lo, s17
	s_barrier_signal -1
	s_barrier_wait -1
	s_and_saveexec_b32 s17, s79
	s_cbranch_execz .LBB169_340
; %bb.339:                              ;   in Loop: Header=BB169_3 Depth=1
	s_delay_alu instid0(VALU_DEP_2) | instskip(NEXT) | instid1(VALU_DEP_2)
	v_xor_b32_e32 v71, 0x80000000, v19
	v_xor_b32_e32 v73, 0x80000000, v21
	s_delay_alu instid0(VALU_DEP_3)
	v_dual_mov_b32 v70, v18 :: v_dual_mov_b32 v72, v20
	ds_store_b128 v54, v[70:73]
.LBB169_340:                            ;   in Loop: Header=BB169_3 Depth=1
	s_or_b32 exec_lo, exec_lo, s17
	s_wait_dscnt 0x0
	s_barrier_signal -1
	s_barrier_wait -1
	s_and_saveexec_b32 s17, s80
	s_cbranch_execz .LBB169_342
; %bb.341:                              ;   in Loop: Header=BB169_3 Depth=1
	ds_load_b128 v[70:73], v54
	ds_load_b128 v[74:77], v55 offset:3072
	s_wait_dscnt 0x0
	v_mul_f64_e32 v[4:5], v[72:73], v[76:77]
	v_mul_f64_e32 v[44:45], v[70:71], v[76:77]
	s_delay_alu instid0(VALU_DEP_2) | instskip(NEXT) | instid1(VALU_DEP_2)
	v_fma_f64 v[4:5], v[70:71], v[74:75], -v[4:5]
	v_fmac_f64_e32 v[44:45], v[72:73], v[74:75]
	s_delay_alu instid0(VALU_DEP_2) | instskip(NEXT) | instid1(VALU_DEP_2)
	v_add_f64_e64 v[18:19], v[18:19], -v[4:5]
	v_add_f64_e64 v[20:21], v[20:21], -v[44:45]
.LBB169_342:                            ;   in Loop: Header=BB169_3 Depth=1
	s_or_b32 exec_lo, exec_lo, s17
	s_barrier_signal -1
	s_barrier_wait -1
	s_and_saveexec_b32 s17, s81
	s_cbranch_execz .LBB169_344
; %bb.343:                              ;   in Loop: Header=BB169_3 Depth=1
	s_delay_alu instid0(VALU_DEP_2) | instskip(NEXT) | instid1(VALU_DEP_2)
	v_xor_b32_e32 v71, 0x80000000, v19
	v_xor_b32_e32 v73, 0x80000000, v21
	s_delay_alu instid0(VALU_DEP_3)
	v_dual_mov_b32 v70, v18 :: v_dual_mov_b32 v72, v20
	ds_store_b128 v54, v[70:73]
.LBB169_344:                            ;   in Loop: Header=BB169_3 Depth=1
	s_or_b32 exec_lo, exec_lo, s17
	s_wait_dscnt 0x0
	;; [unrolled: 32-line block ×7, first 2 shown]
	s_barrier_signal -1
	s_barrier_wait -1
	s_barrier_signal -1
	s_barrier_wait -1
	s_and_saveexec_b32 s17, s7
; %bb.365:                              ;   in Loop: Header=BB169_3 Depth=1
	ds_store_b128 v57, v[18:21] offset:7680
; %bb.366:                              ;   in Loop: Header=BB169_3 Depth=1
	s_or_b32 exec_lo, exec_lo, s17
	s_wait_dscnt 0x0
	s_barrier_signal -1
	s_barrier_wait -1
	s_barrier_signal -1
	s_barrier_wait -1
	s_and_saveexec_b32 s17, s1
	s_cbranch_execz .LBB169_368
; %bb.367:                              ;   in Loop: Header=BB169_3 Depth=1
	s_mov_b32 s48, s53
	s_mov_b32 s50, s53
	;; [unrolled: 1-line block ×3, first 2 shown]
	v_mov_b64_e32 v[18:19], s[48:49]
	v_mov_b64_e32 v[20:21], s[50:51]
	ds_store_b128 v2, v[18:21] offset:3168
	ds_store_b128 v2, v[18:21] offset:3696
.LBB169_368:                            ;   in Loop: Header=BB169_3 Depth=1
	s_or_b32 exec_lo, exec_lo, s17
	v_mov_b64_e32 v[18:19], 0
	v_mov_b64_e32 v[20:21], 0
	s_wait_dscnt 0x0
	s_barrier_signal -1
	s_barrier_wait -1
	global_wb scope:SCOPE_DEV
	s_wait_storecnt 0x0
	global_inv scope:SCOPE_DEV
	s_and_saveexec_b32 s48, s2
	s_cbranch_execz .LBB169_372
; %bb.369:                              ;   in Loop: Header=BB169_3 Depth=1
	ds_load_b128 v[18:21], v47 offset:3680
	ds_load_b128 v[70:73], v46 offset:3136
	s_wait_dscnt 0x0
	v_mul_f64_e32 v[4:5], v[20:21], v[72:73]
	v_mul_f64_e32 v[44:45], v[18:19], v[72:73]
	s_delay_alu instid0(VALU_DEP_2) | instskip(NEXT) | instid1(VALU_DEP_2)
	v_fma_f64 v[4:5], v[18:19], v[70:71], -v[4:5]
	v_fmac_f64_e32 v[44:45], v[20:21], v[70:71]
	s_delay_alu instid0(VALU_DEP_2) | instskip(NEXT) | instid1(VALU_DEP_2)
	v_add_f64_e32 v[18:19], 0, v[4:5]
	v_add_f64_e32 v[20:21], 0, v[44:45]
	s_and_saveexec_b32 s17, s3
	s_cbranch_execz .LBB169_371
; %bb.370:                              ;   in Loop: Header=BB169_3 Depth=1
	ds_load_b128 v[70:73], v2 offset:3696
	ds_load_b128 v[74:77], v48 offset:3648
	s_wait_dscnt 0x0
	v_mul_f64_e32 v[4:5], v[72:73], v[76:77]
	v_mul_f64_e32 v[44:45], v[70:71], v[76:77]
	s_delay_alu instid0(VALU_DEP_2) | instskip(NEXT) | instid1(VALU_DEP_2)
	v_fma_f64 v[4:5], v[70:71], v[74:75], -v[4:5]
	v_fmac_f64_e32 v[44:45], v[72:73], v[74:75]
	s_delay_alu instid0(VALU_DEP_2) | instskip(NEXT) | instid1(VALU_DEP_2)
	v_add_f64_e32 v[18:19], v[18:19], v[4:5]
	v_add_f64_e32 v[20:21], v[20:21], v[44:45]
.LBB169_371:                            ;   in Loop: Header=BB169_3 Depth=1
	s_or_b32 exec_lo, exec_lo, s17
.LBB169_372:                            ;   in Loop: Header=BB169_3 Depth=1
	s_delay_alu instid0(SALU_CYCLE_1)
	s_or_b32 exec_lo, exec_lo, s48
	s_and_saveexec_b32 s17, s69
	s_cbranch_execz .LBB169_374
; %bb.373:                              ;   in Loop: Header=BB169_3 Depth=1
	s_delay_alu instid0(VALU_DEP_2) | instskip(NEXT) | instid1(VALU_DEP_2)
	v_xor_b32_e32 v71, 0x80000000, v19
	v_xor_b32_e32 v73, 0x80000000, v21
	s_delay_alu instid0(VALU_DEP_3)
	v_dual_mov_b32 v70, v18 :: v_dual_mov_b32 v72, v20
	ds_store_b128 v25, v[70:73]
.LBB169_374:                            ;   in Loop: Header=BB169_3 Depth=1
	s_or_b32 exec_lo, exec_lo, s17
	s_wait_loadcnt_dscnt 0x0
	s_barrier_signal -1
	s_barrier_wait -1
	s_and_saveexec_b32 s17, s70
	s_cbranch_execz .LBB169_376
; %bb.375:                              ;   in Loop: Header=BB169_3 Depth=1
	ds_load_b128 v[70:73], v25
	ds_load_b128 v[74:77], v2 offset:2624
	s_wait_dscnt 0x0
	v_mul_f64_e32 v[4:5], v[70:71], v[74:75]
	v_mul_f64_e32 v[44:45], v[70:71], v[76:77]
	s_delay_alu instid0(VALU_DEP_2) | instskip(NEXT) | instid1(VALU_DEP_2)
	v_fma_f64 v[4:5], v[72:73], v[76:77], -v[4:5]
	v_fmac_f64_e32 v[44:45], v[72:73], v[74:75]
	s_delay_alu instid0(VALU_DEP_2) | instskip(NEXT) | instid1(VALU_DEP_2)
	v_add_f64_e32 v[18:19], v[18:19], v[4:5]
	v_add_f64_e64 v[20:21], v[20:21], -v[44:45]
.LBB169_376:                            ;   in Loop: Header=BB169_3 Depth=1
	s_or_b32 exec_lo, exec_lo, s17
	s_barrier_signal -1
	s_barrier_wait -1
	s_and_saveexec_b32 s17, s70
	s_cbranch_execz .LBB169_378
; %bb.377:                              ;   in Loop: Header=BB169_3 Depth=1
	s_delay_alu instid0(VALU_DEP_2) | instskip(NEXT) | instid1(VALU_DEP_2)
	v_xor_b32_e32 v71, 0x80000000, v19
	v_xor_b32_e32 v73, 0x80000000, v21
	s_delay_alu instid0(VALU_DEP_3)
	v_dual_mov_b32 v70, v18 :: v_dual_mov_b32 v72, v20
	ds_store_b128 v25, v[70:73]
.LBB169_378:                            ;   in Loop: Header=BB169_3 Depth=1
	s_or_b32 exec_lo, exec_lo, s17
	s_wait_dscnt 0x0
	s_barrier_signal -1
	s_barrier_wait -1
	s_barrier_signal -1
	s_barrier_wait -1
	s_and_saveexec_b32 s17, s2
; %bb.379:                              ;   in Loop: Header=BB169_3 Depth=1
	ds_store_b128 v49, v[18:21] offset:3648
; %bb.380:                              ;   in Loop: Header=BB169_3 Depth=1
	s_or_b32 exec_lo, exec_lo, s17
	s_wait_dscnt 0x0
	s_barrier_signal -1
	s_barrier_wait -1
	s_barrier_signal -1
	s_barrier_wait -1
	s_and_saveexec_b32 s17, s1
	s_cbranch_execz .LBB169_382
; %bb.381:                              ;   in Loop: Header=BB169_3 Depth=1
	s_mov_b32 s48, s53
	s_mov_b32 s50, s53
	;; [unrolled: 1-line block ×3, first 2 shown]
	v_mov_b64_e32 v[18:19], s[48:49]
	v_mov_b64_e32 v[20:21], s[50:51]
	ds_store_b128 v2, v[18:21] offset:2112
	ds_store_b128 v2, v[18:21] offset:2640
.LBB169_382:                            ;   in Loop: Header=BB169_3 Depth=1
	s_or_b32 exec_lo, exec_lo, s17
	v_mov_b64_e32 v[20:21], 0
	v_mov_b64_e32 v[18:19], 0
	s_wait_dscnt 0x0
	s_barrier_signal -1
	s_barrier_wait -1
	global_wb scope:SCOPE_DEV
	s_wait_storecnt 0x0
	global_inv scope:SCOPE_DEV
	s_and_saveexec_b32 s48, s4
	s_cbranch_execz .LBB169_388
; %bb.383:                              ;   in Loop: Header=BB169_3 Depth=1
	ds_load_b128 v[18:21], v52 offset:3648
	ds_load_b128 v[70:73], v51 offset:2048
	s_wait_dscnt 0x0
	v_mul_f64_e32 v[4:5], v[20:21], v[72:73]
	v_mul_f64_e32 v[44:45], v[18:19], v[72:73]
	s_delay_alu instid0(VALU_DEP_2) | instskip(NEXT) | instid1(VALU_DEP_2)
	v_fma_f64 v[4:5], v[18:19], v[70:71], -v[4:5]
	v_fmac_f64_e32 v[44:45], v[20:21], v[70:71]
	s_delay_alu instid0(VALU_DEP_2) | instskip(NEXT) | instid1(VALU_DEP_2)
	v_add_f64_e32 v[18:19], 0, v[4:5]
	v_add_f64_e32 v[20:21], 0, v[44:45]
	s_and_saveexec_b32 s17, s5
	s_cbranch_execnz .LBB169_510
; %bb.384:                              ;   in Loop: Header=BB169_3 Depth=1
	s_or_b32 exec_lo, exec_lo, s17
	s_and_saveexec_b32 s17, s6
	s_cbranch_execnz .LBB169_511
.LBB169_385:                            ;   in Loop: Header=BB169_3 Depth=1
	s_or_b32 exec_lo, exec_lo, s17
	s_and_saveexec_b32 s17, s2
	s_cbranch_execz .LBB169_387
.LBB169_386:                            ;   in Loop: Header=BB169_3 Depth=1
	ds_load_b128 v[70:73], v2 offset:3696
	ds_load_b128 v[74:77], v48 offset:3584
	s_wait_dscnt 0x0
	v_mul_f64_e32 v[4:5], v[72:73], v[76:77]
	v_mul_f64_e32 v[44:45], v[70:71], v[76:77]
	s_delay_alu instid0(VALU_DEP_2) | instskip(NEXT) | instid1(VALU_DEP_2)
	v_fma_f64 v[4:5], v[70:71], v[74:75], -v[4:5]
	v_fmac_f64_e32 v[44:45], v[72:73], v[74:75]
	s_delay_alu instid0(VALU_DEP_2) | instskip(NEXT) | instid1(VALU_DEP_2)
	v_add_f64_e32 v[18:19], v[18:19], v[4:5]
	v_add_f64_e32 v[20:21], v[20:21], v[44:45]
.LBB169_387:                            ;   in Loop: Header=BB169_3 Depth=1
	s_or_b32 exec_lo, exec_lo, s17
.LBB169_388:                            ;   in Loop: Header=BB169_3 Depth=1
	s_delay_alu instid0(SALU_CYCLE_1)
	s_or_b32 exec_lo, exec_lo, s48
	s_and_saveexec_b32 s17, s71
	s_cbranch_execz .LBB169_390
; %bb.389:                              ;   in Loop: Header=BB169_3 Depth=1
	s_delay_alu instid0(VALU_DEP_1) | instskip(NEXT) | instid1(VALU_DEP_3)
	v_xor_b32_e32 v73, 0x80000000, v21
	v_xor_b32_e32 v71, 0x80000000, v19
	s_delay_alu instid0(VALU_DEP_3)
	v_dual_mov_b32 v70, v18 :: v_dual_mov_b32 v72, v20
	ds_store_b128 v50, v[70:73]
.LBB169_390:                            ;   in Loop: Header=BB169_3 Depth=1
	s_or_b32 exec_lo, exec_lo, s17
	s_wait_loadcnt_dscnt 0x0
	s_barrier_signal -1
	s_barrier_wait -1
	s_and_saveexec_b32 s17, s72
	s_cbranch_execz .LBB169_392
; %bb.391:                              ;   in Loop: Header=BB169_3 Depth=1
	ds_load_b128 v[70:73], v50
	ds_load_b128 v[74:77], v51 offset:1536
	s_wait_dscnt 0x0
	v_mul_f64_e32 v[4:5], v[72:73], v[76:77]
	v_mul_f64_e32 v[44:45], v[70:71], v[76:77]
	s_delay_alu instid0(VALU_DEP_2) | instskip(NEXT) | instid1(VALU_DEP_2)
	v_fma_f64 v[4:5], v[70:71], v[74:75], -v[4:5]
	v_fmac_f64_e32 v[44:45], v[72:73], v[74:75]
	s_delay_alu instid0(VALU_DEP_2) | instskip(NEXT) | instid1(VALU_DEP_2)
	v_add_f64_e64 v[18:19], v[18:19], -v[4:5]
	v_add_f64_e64 v[20:21], v[20:21], -v[44:45]
.LBB169_392:                            ;   in Loop: Header=BB169_3 Depth=1
	s_or_b32 exec_lo, exec_lo, s17
	s_barrier_signal -1
	s_barrier_wait -1
	s_and_saveexec_b32 s17, s73
	s_cbranch_execz .LBB169_394
; %bb.393:                              ;   in Loop: Header=BB169_3 Depth=1
	s_delay_alu instid0(VALU_DEP_1) | instskip(NEXT) | instid1(VALU_DEP_3)
	v_xor_b32_e32 v73, 0x80000000, v21
	v_xor_b32_e32 v71, 0x80000000, v19
	s_delay_alu instid0(VALU_DEP_3)
	v_dual_mov_b32 v70, v18 :: v_dual_mov_b32 v72, v20
	ds_store_b128 v50, v[70:73]
.LBB169_394:                            ;   in Loop: Header=BB169_3 Depth=1
	s_or_b32 exec_lo, exec_lo, s17
	s_wait_dscnt 0x0
	s_barrier_signal -1
	s_barrier_wait -1
	s_and_saveexec_b32 s17, s74
	s_cbranch_execz .LBB169_396
; %bb.395:                              ;   in Loop: Header=BB169_3 Depth=1
	ds_load_b128 v[70:73], v50
	ds_load_b128 v[74:77], v51 offset:1024
	s_wait_dscnt 0x0
	v_mul_f64_e32 v[4:5], v[72:73], v[76:77]
	v_mul_f64_e32 v[44:45], v[70:71], v[76:77]
	s_delay_alu instid0(VALU_DEP_2) | instskip(NEXT) | instid1(VALU_DEP_2)
	v_fma_f64 v[4:5], v[70:71], v[74:75], -v[4:5]
	v_fmac_f64_e32 v[44:45], v[72:73], v[74:75]
	s_delay_alu instid0(VALU_DEP_2) | instskip(NEXT) | instid1(VALU_DEP_2)
	v_add_f64_e64 v[18:19], v[18:19], -v[4:5]
	v_add_f64_e64 v[20:21], v[20:21], -v[44:45]
.LBB169_396:                            ;   in Loop: Header=BB169_3 Depth=1
	s_or_b32 exec_lo, exec_lo, s17
	s_barrier_signal -1
	s_barrier_wait -1
	s_and_saveexec_b32 s17, s75
	s_cbranch_execz .LBB169_398
; %bb.397:                              ;   in Loop: Header=BB169_3 Depth=1
	s_delay_alu instid0(VALU_DEP_1) | instskip(NEXT) | instid1(VALU_DEP_3)
	v_xor_b32_e32 v73, 0x80000000, v21
	v_xor_b32_e32 v71, 0x80000000, v19
	s_delay_alu instid0(VALU_DEP_3)
	v_dual_mov_b32 v70, v18 :: v_dual_mov_b32 v72, v20
	ds_store_b128 v50, v[70:73]
.LBB169_398:                            ;   in Loop: Header=BB169_3 Depth=1
	s_or_b32 exec_lo, exec_lo, s17
	s_wait_dscnt 0x0
	s_barrier_signal -1
	s_barrier_wait -1
	s_and_saveexec_b32 s17, s76
	s_cbranch_execz .LBB169_400
; %bb.399:                              ;   in Loop: Header=BB169_3 Depth=1
	ds_load_b128 v[70:73], v50
	ds_load_b128 v[74:77], v2 offset:512
	s_wait_dscnt 0x0
	v_mul_f64_e32 v[4:5], v[72:73], v[76:77]
	v_mul_f64_e32 v[44:45], v[70:71], v[76:77]
	s_delay_alu instid0(VALU_DEP_2) | instskip(NEXT) | instid1(VALU_DEP_2)
	v_fma_f64 v[4:5], v[70:71], v[74:75], -v[4:5]
	v_fmac_f64_e32 v[44:45], v[72:73], v[74:75]
	s_delay_alu instid0(VALU_DEP_2) | instskip(NEXT) | instid1(VALU_DEP_2)
	v_add_f64_e64 v[18:19], v[18:19], -v[4:5]
	v_add_f64_e64 v[20:21], v[20:21], -v[44:45]
.LBB169_400:                            ;   in Loop: Header=BB169_3 Depth=1
	s_or_b32 exec_lo, exec_lo, s17
	s_barrier_signal -1
	s_barrier_wait -1
	s_and_saveexec_b32 s17, s76
	s_cbranch_execz .LBB169_402
; %bb.401:                              ;   in Loop: Header=BB169_3 Depth=1
	s_delay_alu instid0(VALU_DEP_1) | instskip(NEXT) | instid1(VALU_DEP_3)
	v_xor_b32_e32 v73, 0x80000000, v21
	v_xor_b32_e32 v71, 0x80000000, v19
	s_delay_alu instid0(VALU_DEP_3)
	v_dual_mov_b32 v70, v18 :: v_dual_mov_b32 v72, v20
	ds_store_b128 v50, v[70:73]
.LBB169_402:                            ;   in Loop: Header=BB169_3 Depth=1
	s_or_b32 exec_lo, exec_lo, s17
	s_wait_dscnt 0x0
	s_barrier_signal -1
	s_barrier_wait -1
	s_barrier_signal -1
	s_barrier_wait -1
	s_and_saveexec_b32 s17, s4
; %bb.403:                              ;   in Loop: Header=BB169_3 Depth=1
	ds_store_b128 v53, v[18:21] offset:3584
; %bb.404:                              ;   in Loop: Header=BB169_3 Depth=1
	s_or_b32 exec_lo, exec_lo, s17
	s_wait_dscnt 0x0
	s_barrier_signal -1
	s_barrier_wait -1
	s_barrier_signal -1
	s_barrier_wait -1
	s_and_saveexec_b32 s17, s1
	s_cbranch_execz .LBB169_406
; %bb.405:                              ;   in Loop: Header=BB169_3 Depth=1
	s_mov_b32 s48, s53
	s_mov_b32 s50, s53
	;; [unrolled: 1-line block ×3, first 2 shown]
	v_mov_b64_e32 v[18:19], s[48:49]
	v_mov_b64_e32 v[20:21], s[50:51]
	ds_store_b128 v2, v[18:21] offset:1056
	ds_store_b128 v2, v[18:21] offset:1584
.LBB169_406:                            ;   in Loop: Header=BB169_3 Depth=1
	s_or_b32 exec_lo, exec_lo, s17
	v_mov_b64_e32 v[18:19], 0
	v_mov_b64_e32 v[20:21], 0
	s_wait_dscnt 0x0
	s_barrier_signal -1
	s_barrier_wait -1
	global_wb scope:SCOPE_DEV
	s_wait_storecnt 0x0
	global_inv scope:SCOPE_DEV
	s_and_saveexec_b32 s48, s2
	s_cbranch_execz .LBB169_410
; %bb.407:                              ;   in Loop: Header=BB169_3 Depth=1
	ds_load_b128 v[18:21], v47 offset:1568
	ds_load_b128 v[70:73], v46 offset:1024
	s_wait_dscnt 0x0
	v_mul_f64_e32 v[4:5], v[20:21], v[72:73]
	v_mul_f64_e32 v[44:45], v[18:19], v[72:73]
	s_delay_alu instid0(VALU_DEP_2) | instskip(NEXT) | instid1(VALU_DEP_2)
	v_fma_f64 v[4:5], v[18:19], v[70:71], -v[4:5]
	v_fmac_f64_e32 v[44:45], v[20:21], v[70:71]
	s_delay_alu instid0(VALU_DEP_2) | instskip(NEXT) | instid1(VALU_DEP_2)
	v_add_f64_e32 v[18:19], 0, v[4:5]
	v_add_f64_e32 v[20:21], 0, v[44:45]
	s_and_saveexec_b32 s17, s3
	s_cbranch_execz .LBB169_409
; %bb.408:                              ;   in Loop: Header=BB169_3 Depth=1
	ds_load_b128 v[70:73], v2 offset:1584
	ds_load_b128 v[74:77], v48 offset:1536
	s_wait_dscnt 0x0
	v_mul_f64_e32 v[4:5], v[72:73], v[76:77]
	v_mul_f64_e32 v[44:45], v[70:71], v[76:77]
	s_delay_alu instid0(VALU_DEP_2) | instskip(NEXT) | instid1(VALU_DEP_2)
	v_fma_f64 v[4:5], v[70:71], v[74:75], -v[4:5]
	v_fmac_f64_e32 v[44:45], v[72:73], v[74:75]
	s_delay_alu instid0(VALU_DEP_2) | instskip(NEXT) | instid1(VALU_DEP_2)
	v_add_f64_e32 v[18:19], v[18:19], v[4:5]
	v_add_f64_e32 v[20:21], v[20:21], v[44:45]
.LBB169_409:                            ;   in Loop: Header=BB169_3 Depth=1
	s_or_b32 exec_lo, exec_lo, s17
.LBB169_410:                            ;   in Loop: Header=BB169_3 Depth=1
	s_delay_alu instid0(SALU_CYCLE_1)
	s_or_b32 exec_lo, exec_lo, s48
	s_and_saveexec_b32 s17, s69
	s_cbranch_execz .LBB169_412
; %bb.411:                              ;   in Loop: Header=BB169_3 Depth=1
	s_delay_alu instid0(VALU_DEP_2) | instskip(NEXT) | instid1(VALU_DEP_2)
	v_xor_b32_e32 v71, 0x80000000, v19
	v_xor_b32_e32 v73, 0x80000000, v21
	s_delay_alu instid0(VALU_DEP_3)
	v_dual_mov_b32 v70, v18 :: v_dual_mov_b32 v72, v20
	ds_store_b128 v25, v[70:73]
.LBB169_412:                            ;   in Loop: Header=BB169_3 Depth=1
	s_or_b32 exec_lo, exec_lo, s17
	s_wait_loadcnt_dscnt 0x0
	s_barrier_signal -1
	s_barrier_wait -1
	s_and_saveexec_b32 s17, s70
	s_cbranch_execz .LBB169_414
; %bb.413:                              ;   in Loop: Header=BB169_3 Depth=1
	ds_load_b128 v[70:73], v25
	ds_load_b128 v[74:77], v2 offset:512
	s_wait_dscnt 0x0
	v_mul_f64_e32 v[4:5], v[70:71], v[74:75]
	v_mul_f64_e32 v[44:45], v[70:71], v[76:77]
	s_delay_alu instid0(VALU_DEP_2) | instskip(NEXT) | instid1(VALU_DEP_2)
	v_fma_f64 v[4:5], v[72:73], v[76:77], -v[4:5]
	v_fmac_f64_e32 v[44:45], v[72:73], v[74:75]
	s_delay_alu instid0(VALU_DEP_2) | instskip(NEXT) | instid1(VALU_DEP_2)
	v_add_f64_e32 v[18:19], v[18:19], v[4:5]
	v_add_f64_e64 v[20:21], v[20:21], -v[44:45]
.LBB169_414:                            ;   in Loop: Header=BB169_3 Depth=1
	s_or_b32 exec_lo, exec_lo, s17
	s_barrier_signal -1
	s_barrier_wait -1
	s_and_saveexec_b32 s17, s70
	s_cbranch_execz .LBB169_416
; %bb.415:                              ;   in Loop: Header=BB169_3 Depth=1
	s_delay_alu instid0(VALU_DEP_2) | instskip(NEXT) | instid1(VALU_DEP_2)
	v_xor_b32_e32 v71, 0x80000000, v19
	v_xor_b32_e32 v73, 0x80000000, v21
	s_delay_alu instid0(VALU_DEP_3)
	v_dual_mov_b32 v70, v18 :: v_dual_mov_b32 v72, v20
	ds_store_b128 v25, v[70:73]
.LBB169_416:                            ;   in Loop: Header=BB169_3 Depth=1
	s_or_b32 exec_lo, exec_lo, s17
	s_wait_dscnt 0x0
	s_barrier_signal -1
	s_barrier_wait -1
	s_barrier_signal -1
	s_barrier_wait -1
	s_and_saveexec_b32 s17, s2
; %bb.417:                              ;   in Loop: Header=BB169_3 Depth=1
	ds_store_b128 v49, v[18:21] offset:1536
; %bb.418:                              ;   in Loop: Header=BB169_3 Depth=1
	s_or_b32 exec_lo, exec_lo, s17
	s_wait_dscnt 0x0
	s_barrier_signal -1
	s_barrier_wait -1
	s_barrier_signal -1
	s_barrier_wait -1
	s_and_saveexec_b32 s17, s1
	s_cbranch_execz .LBB169_420
; %bb.419:                              ;   in Loop: Header=BB169_3 Depth=1
	s_mov_b32 s48, s53
	s_mov_b32 s50, s53
	s_mov_b32 s51, s53
	v_mov_b64_e32 v[18:19], s[48:49]
	v_mov_b64_e32 v[20:21], s[50:51]
	ds_store_b128 v2, v[18:21]
	ds_store_b128 v2, v[18:21] offset:528
.LBB169_420:                            ;   in Loop: Header=BB169_3 Depth=1
	s_or_b32 exec_lo, exec_lo, s17
.LBB169_421:                            ;   in Loop: Header=BB169_3 Depth=1
	v_mov_b64_e32 v[18:19], 0
	v_add_nc_u64_e32 v[42:43], s[40:41], v[42:43]
	s_wait_dscnt 0x0
	s_barrier_signal -1
	s_barrier_wait -1
	s_delay_alu instid0(VALU_DEP_2)
	v_mov_b64_e32 v[20:21], v[18:19]
	s_wait_xcnt 0x0
	s_and_saveexec_b32 s17, s98
	s_cbranch_execz .LBB169_423
; %bb.422:                              ;   in Loop: Header=BB169_3 Depth=1
	v_lshl_add_u64 v[4:5], v[0:1], 4, v[42:43]
	flat_load_b128 v[70:73], v[4:5]
	s_wait_loadcnt_dscnt 0x0
	v_mul_f64_e32 v[4:5], v[14:15], v[70:71]
	v_mul_f64_e32 v[14:15], v[14:15], v[72:73]
	s_delay_alu instid0(VALU_DEP_2) | instskip(NEXT) | instid1(VALU_DEP_2)
	v_fma_f64 v[18:19], v[16:17], v[72:73], -v[4:5]
	v_fma_f64 v[20:21], v[70:71], -v[16:17], -v[14:15]
.LBB169_423:                            ;   in Loop: Header=BB169_3 Depth=1
	s_or_b32 exec_lo, exec_lo, s17
	s_delay_alu instid0(SALU_CYCLE_1)
	s_and_not1_b32 vcc_lo, exec_lo, s99
	s_cbranch_vccnz .LBB169_446
; %bb.424:                              ;   in Loop: Header=BB169_3 Depth=1
	v_lshl_add_u64 v[14:15], v[28:29], 4, v[40:41]
	v_mov_b32_e32 v69, -1
	s_lshl_b64 s[50:51], s[52:53], 2
	s_mov_b32 s48, 0
	s_add_nc_u64 s[50:51], s[58:59], s[50:51]
	s_branch .LBB169_427
.LBB169_425:                            ;   in Loop: Header=BB169_427 Depth=2
	ds_load_b128 v[70:73], v63 offset:256
	s_wait_loadcnt_dscnt 0x0
	v_mul_f64_e32 v[16:17], v[40:41], v[72:73]
	v_mul_f64_e32 v[44:45], v[4:5], v[72:73]
	s_delay_alu instid0(VALU_DEP_2) | instskip(NEXT) | instid1(VALU_DEP_2)
	v_fma_f64 v[4:5], v[4:5], v[70:71], -v[16:17]
	v_fmac_f64_e32 v[44:45], v[40:41], v[70:71]
	s_delay_alu instid0(VALU_DEP_2) | instskip(NEXT) | instid1(VALU_DEP_2)
	v_add_f64_e32 v[18:19], v[18:19], v[4:5]
	v_add_f64_e32 v[20:21], v[20:21], v[44:45]
.LBB169_426:                            ;   in Loop: Header=BB169_427 Depth=2
	s_or_b32 exec_lo, exec_lo, s17
	s_add_co_i32 s48, s48, 1
	s_delay_alu instid0(SALU_CYCLE_1)
	s_cmp_eq_u32 s48, s64
	s_cbranch_scc1 .LBB169_446
.LBB169_427:                            ;   Parent Loop BB169_3 Depth=1
                                        ; =>  This Loop Header: Depth=2
                                        ;       Child Loop BB169_429 Depth 3
	v_cmp_gt_i32_e32 vcc_lo, s48, v69
	s_and_b32 s103, s28, vcc_lo
	s_delay_alu instid0(SALU_CYCLE_1)
	s_and_saveexec_b32 s17, s103
	s_cbranch_execz .LBB169_430
; %bb.428:                              ;   in Loop: Header=BB169_427 Depth=2
	global_load_b32 v69, v2, s[50:51]
	s_wait_loadcnt 0x0
	v_cmp_le_i32_e32 vcc_lo, s48, v69
	s_cbranch_vccnz .LBB169_430
.LBB169_429:                            ;   Parent Loop BB169_3 Depth=1
                                        ;     Parent Loop BB169_427 Depth=2
                                        ; =>    This Inner Loop Header: Depth=3
	global_wb scope:SCOPE_DEV
	s_wait_storecnt 0x0
	global_inv scope:SCOPE_DEV
	global_load_b32 v69, v2, s[50:51]
	s_wait_loadcnt 0x0
	v_cmp_gt_i32_e32 vcc_lo, s48, v69
	s_cbranch_vccnz .LBB169_429
.LBB169_430:                            ;   in Loop: Header=BB169_427 Depth=2
	s_or_b32 exec_lo, exec_lo, s17
	s_sub_co_i32 s17, s65, s48
	global_wb scope:SCOPE_DEV
	s_wait_storecnt 0x0
	global_inv scope:SCOPE_DEV
	s_lshl_b32 s103, s17, 5
	s_wait_loadcnt 0x0
	s_barrier_signal -1
	s_barrier_wait -1
	s_and_saveexec_b32 s104, s29
	s_cbranch_execz .LBB169_435
; %bb.431:                              ;   in Loop: Header=BB169_427 Depth=2
	s_ashr_i32 vcc_lo, s103, 31
	s_delay_alu instid0(SALU_CYCLE_1) | instskip(NEXT) | instid1(VALU_DEP_1)
	v_dual_mov_b32 v5, vcc_lo :: v_dual_bitop2_b32 v4, s103, v26 bitop3:0x54
	v_cmp_le_i64_e32 vcc_lo, s[54:55], v[4:5]
	s_and_saveexec_b32 vcc_hi, vcc_lo
	s_delay_alu instid0(SALU_CYCLE_1)
	s_xor_b32 vcc_lo, exec_lo, vcc_hi
; %bb.432:                              ;   in Loop: Header=BB169_427 Depth=2
	v_dual_mov_b32 v3, v2 :: v_dual_mov_b32 v4, v2
	v_mov_b32_e32 v5, v2
	ds_store_b128 v62, v[2:5]
                                        ; implicit-def: $vgpr4_vgpr5
; %bb.433:                              ;   in Loop: Header=BB169_427 Depth=2
	s_and_not1_saveexec_b32 s20, vcc_lo
	s_cbranch_execz .LBB169_435
; %bb.434:                              ;   in Loop: Header=BB169_427 Depth=2
	v_mul_u64_e32 v[4:5], s[42:43], v[4:5]
	s_delay_alu instid0(VALU_DEP_1)
	v_lshl_add_u64 v[4:5], v[4:5], 4, v[42:43]
	flat_load_b128 v[70:73], v[4:5]
	s_wait_loadcnt_dscnt 0x0
	ds_store_2addr_b64 v62, v[70:71], v[72:73] offset1:1
.LBB169_435:                            ;   in Loop: Header=BB169_427 Depth=2
	s_or_b32 exec_lo, exec_lo, s104
	v_add_nc_u32_e32 v4, s103, v22
	s_cmp_lg_u32 s17, s100
	s_wait_dscnt 0x0
	s_cselect_b32 s103, -1, 0
	s_barrier_signal -1
	v_ashrrev_i32_e32 v5, 31, v4
	v_cmp_gt_i32_e32 vcc_lo, s54, v4
	v_cndmask_b32_e64 v3, 0, 1, s103
	s_barrier_wait -1
	s_delay_alu instid0(VALU_DEP_3) | instskip(SKIP_1) | instid1(VALU_DEP_1)
	v_mul_u64_e32 v[16:17], s[56:57], v[4:5]
	s_and_b32 s20, s0, vcc_lo
	v_lshl_add_u64 v[16:17], v[16:17], 4, v[14:15]
	s_and_saveexec_b32 s17, s20
	s_cbranch_execz .LBB169_441
; %bb.436:                              ;   in Loop: Header=BB169_427 Depth=2
	v_mov_b64_e32 v[40:41], v[6:7]
	s_and_not1_b32 vcc_lo, exec_lo, s103
	s_cbranch_vccnz .LBB169_438
; %bb.437:                              ;   in Loop: Header=BB169_427 Depth=2
	flat_load_b64 v[40:41], v[16:17]
.LBB169_438:                            ;   in Loop: Header=BB169_427 Depth=2
	v_cmp_ne_u32_e32 vcc_lo, 1, v3
	v_mov_b64_e32 v[44:45], v[8:9]
	s_cbranch_vccnz .LBB169_440
; %bb.439:                              ;   in Loop: Header=BB169_427 Depth=2
	flat_load_b64 v[44:45], v[16:17] offset:8
.LBB169_440:                            ;   in Loop: Header=BB169_427 Depth=2
	ds_load_b128 v[70:73], v63
	s_wait_loadcnt_dscnt 0x0
	v_mul_f64_e32 v[74:75], v[44:45], v[72:73]
	v_mul_f64_e32 v[72:73], v[40:41], v[72:73]
	s_delay_alu instid0(VALU_DEP_2) | instskip(NEXT) | instid1(VALU_DEP_2)
	v_fma_f64 v[40:41], v[40:41], v[70:71], -v[74:75]
	v_fmac_f64_e32 v[72:73], v[44:45], v[70:71]
	s_delay_alu instid0(VALU_DEP_2) | instskip(NEXT) | instid1(VALU_DEP_2)
	v_add_f64_e32 v[18:19], v[18:19], v[40:41]
	v_add_f64_e32 v[20:21], v[20:21], v[72:73]
.LBB169_441:                            ;   in Loop: Header=BB169_427 Depth=2
	s_or_b32 exec_lo, exec_lo, s17
	v_add_nc_u32_e32 v4, 16, v4
	s_delay_alu instid0(VALU_DEP_1) | instskip(SKIP_1) | instid1(SALU_CYCLE_1)
	v_cmp_gt_i32_e32 vcc_lo, s54, v4
	s_and_b32 s20, s0, vcc_lo
	s_and_saveexec_b32 s17, s20
	s_cbranch_execz .LBB169_426
; %bb.442:                              ;   in Loop: Header=BB169_427 Depth=2
	v_cmp_ne_u32_e32 vcc_lo, 1, v3
	v_add_nc_u64_e32 v[16:17], s[62:63], v[16:17]
	v_mov_b64_e32 v[4:5], v[10:11]
	s_cbranch_vccnz .LBB169_444
; %bb.443:                              ;   in Loop: Header=BB169_427 Depth=2
	flat_load_b64 v[4:5], v[16:17]
.LBB169_444:                            ;   in Loop: Header=BB169_427 Depth=2
	v_cmp_ne_u32_e32 vcc_lo, 1, v3
	v_mov_b64_e32 v[40:41], v[12:13]
	s_cbranch_vccnz .LBB169_425
; %bb.445:                              ;   in Loop: Header=BB169_427 Depth=2
	flat_load_b64 v[40:41], v[16:17] offset:8
	s_branch .LBB169_425
.LBB169_446:                            ;   in Loop: Header=BB169_3 Depth=1
	ds_store_b128 v64, v[18:21]
	s_wait_dscnt 0x0
	s_barrier_signal -1
	s_barrier_wait -1
	s_and_saveexec_b32 s48, s10
	s_cbranch_execz .LBB169_448
; %bb.447:                              ;   in Loop: Header=BB169_3 Depth=1
	ds_load_b128 v[14:17], v65 offset:512
	ds_load_b128 v[70:73], v65 offset:1024
	s_wait_dscnt 0x1
	v_add_f64_e32 v[4:5], v[18:19], v[14:15]
	v_add_f64_e32 v[14:15], v[20:21], v[16:17]
	s_wait_dscnt 0x0
	s_delay_alu instid0(VALU_DEP_2) | instskip(NEXT) | instid1(VALU_DEP_2)
	v_add_f64_e32 v[4:5], v[4:5], v[70:71]
	v_add_f64_e32 v[40:41], v[14:15], v[72:73]
	ds_load_b128 v[14:17], v65 offset:1536
	ds_load_b128 v[18:21], v65 offset:2048
	s_wait_dscnt 0x1
	v_add_f64_e32 v[4:5], v[4:5], v[14:15]
	v_add_f64_e32 v[14:15], v[40:41], v[16:17]
	s_wait_dscnt 0x0
	s_delay_alu instid0(VALU_DEP_2) | instskip(NEXT) | instid1(VALU_DEP_2)
	v_add_f64_e32 v[4:5], v[4:5], v[18:19]
	v_add_f64_e32 v[40:41], v[14:15], v[20:21]
	;; [unrolled: 9-line block ×7, first 2 shown]
	ds_load_b128 v[14:17], v65 offset:7680
	s_wait_dscnt 0x0
	v_add_f64_e32 v[4:5], v[4:5], v[14:15]
	v_add_f64_e32 v[14:15], v[18:19], v[16:17]
	s_delay_alu instid0(VALU_DEP_2) | instskip(NEXT) | instid1(VALU_DEP_2)
	v_xor_b32_e32 v3, 0x80000000, v5
	v_xor_b32_e32 v5, 0x80000000, v15
	s_delay_alu instid0(VALU_DEP_4) | instskip(NEXT) | instid1(VALU_DEP_4)
	v_cndmask_b32_e64 v18, v4, 0, s96
	v_cndmask_b32_e64 v20, v14, 0, s96
	s_delay_alu instid0(VALU_DEP_4) | instskip(NEXT) | instid1(VALU_DEP_4)
	v_cndmask_b32_e64 v19, v3, 0, s96
	v_cndmask_b32_e64 v21, v5, 0, s96
.LBB169_448:                            ;   in Loop: Header=BB169_3 Depth=1
	s_or_b32 exec_lo, exec_lo, s48
	s_delay_alu instid0(SALU_CYCLE_1)
	s_and_not1_b32 vcc_lo, exec_lo, s68
	s_cbranch_vccnz .LBB169_457
; %bb.449:                              ;   in Loop: Header=BB169_3 Depth=1
	s_and_saveexec_b32 s17, s10
; %bb.450:                              ;   in Loop: Header=BB169_3 Depth=1
	ds_store_b128 v27, v[18:21]
; %bb.451:                              ;   in Loop: Header=BB169_3 Depth=1
	s_or_b32 exec_lo, exec_lo, s17
	v_mov_b64_e32 v[14:15], 0
	v_mov_b64_e32 v[16:17], 0
	s_wait_dscnt 0x0
	s_barrier_signal -1
	s_barrier_wait -1
	s_and_saveexec_b32 s17, s30
	s_cbranch_execz .LBB169_453
; %bb.452:                              ;   in Loop: Header=BB169_3 Depth=1
	ds_load_b128 v[14:17], v63
	ds_load_b128 v[70:73], v66
	s_wait_dscnt 0x0
	v_mul_f64_e32 v[4:5], v[16:17], v[72:73]
	v_mul_f64_e32 v[40:41], v[14:15], v[72:73]
	s_delay_alu instid0(VALU_DEP_2) | instskip(NEXT) | instid1(VALU_DEP_2)
	v_fma_f64 v[4:5], v[14:15], v[70:71], -v[4:5]
	v_fmac_f64_e32 v[40:41], v[16:17], v[70:71]
	s_delay_alu instid0(VALU_DEP_2) | instskip(NEXT) | instid1(VALU_DEP_2)
	v_add_f64_e32 v[14:15], 0, v[4:5]
	v_add_f64_e32 v[16:17], 0, v[40:41]
.LBB169_453:                            ;   in Loop: Header=BB169_3 Depth=1
	s_or_b32 exec_lo, exec_lo, s17
	s_and_saveexec_b32 s17, s31
	s_cbranch_execz .LBB169_455
; %bb.454:                              ;   in Loop: Header=BB169_3 Depth=1
	ds_load_b128 v[70:73], v63 offset:256
	ds_load_b128 v[74:77], v66 offset:8192
	s_wait_dscnt 0x0
	v_mul_f64_e32 v[4:5], v[72:73], v[76:77]
	v_mul_f64_e32 v[40:41], v[70:71], v[76:77]
	s_delay_alu instid0(VALU_DEP_2) | instskip(NEXT) | instid1(VALU_DEP_2)
	v_fma_f64 v[4:5], v[70:71], v[74:75], -v[4:5]
	v_fmac_f64_e32 v[40:41], v[72:73], v[74:75]
	s_delay_alu instid0(VALU_DEP_2) | instskip(NEXT) | instid1(VALU_DEP_2)
	v_add_f64_e32 v[14:15], v[14:15], v[4:5]
	v_add_f64_e32 v[16:17], v[16:17], v[40:41]
.LBB169_455:                            ;   in Loop: Header=BB169_3 Depth=1
	s_or_b32 exec_lo, exec_lo, s17
	s_mov_b32 s50, 0
	s_mov_b32 s48, 0
	ds_store_b128 v64, v[14:17]
	s_wait_dscnt 0x0
	s_barrier_signal -1
	s_barrier_wait -1
                                        ; implicit-def: $vgpr4_vgpr5
                                        ; implicit-def: $vgpr40_vgpr41
	s_and_saveexec_b32 s51, s10
	s_cbranch_execz .LBB169_484
; %bb.456:                              ;   in Loop: Header=BB169_3 Depth=1
	ds_load_b128 v[70:73], v65 offset:512
	ds_load_b128 v[74:77], v65 offset:1024
	s_mov_b32 s48, exec_lo
	s_wait_dscnt 0x1
	v_add_f64_e32 v[4:5], v[14:15], v[70:71]
	v_add_f64_e32 v[14:15], v[16:17], v[72:73]
	s_wait_dscnt 0x0
	s_delay_alu instid0(VALU_DEP_2) | instskip(NEXT) | instid1(VALU_DEP_2)
	v_add_f64_e32 v[4:5], v[4:5], v[74:75]
	v_add_f64_e32 v[40:41], v[14:15], v[76:77]
	ds_load_b128 v[14:17], v65 offset:1536
	ds_load_b128 v[70:73], v65 offset:2048
	s_wait_dscnt 0x1
	v_add_f64_e32 v[4:5], v[4:5], v[14:15]
	v_add_f64_e32 v[14:15], v[40:41], v[16:17]
	s_wait_dscnt 0x0
	s_delay_alu instid0(VALU_DEP_2) | instskip(NEXT) | instid1(VALU_DEP_2)
	v_add_f64_e32 v[4:5], v[4:5], v[70:71]
	v_add_f64_e32 v[40:41], v[14:15], v[72:73]
	ds_load_b128 v[14:17], v65 offset:2560
	ds_load_b128 v[70:73], v65 offset:3072
	;; [unrolled: 9-line block ×6, first 2 shown]
	s_wait_dscnt 0x1
	v_add_f64_e32 v[4:5], v[4:5], v[14:15]
	v_add_f64_e32 v[14:15], v[40:41], v[16:17]
	s_wait_dscnt 0x0
	s_delay_alu instid0(VALU_DEP_2) | instskip(NEXT) | instid1(VALU_DEP_2)
	v_add_f64_e32 v[4:5], v[4:5], v[70:71]
	v_add_f64_e32 v[44:45], v[14:15], v[72:73]
	ds_load_b128 v[14:17], v65 offset:7680
	s_wait_dscnt 0x0
	v_add_f64_e32 v[40:41], v[4:5], v[14:15]
	v_add_f64_e32 v[4:5], v[44:45], v[16:17]
	s_or_b32 exec_lo, exec_lo, s51
	s_delay_alu instid0(SALU_CYCLE_1)
	s_and_b32 vcc_lo, exec_lo, s50
	s_cbranch_vccnz .LBB169_458
	s_branch .LBB169_485
.LBB169_457:                            ;   in Loop: Header=BB169_3 Depth=1
	s_mov_b32 s48, 0
                                        ; implicit-def: $vgpr4_vgpr5
                                        ; implicit-def: $vgpr40_vgpr41
	s_cbranch_execz .LBB169_485
.LBB169_458:                            ;   in Loop: Header=BB169_3 Depth=1
	v_dual_mov_b32 v3, v68 :: v_dual_mov_b32 v4, v23
	s_mov_b32 s50, 31
	s_branch .LBB169_460
.LBB169_459:                            ;   in Loop: Header=BB169_460 Depth=2
	s_or_b32 exec_lo, exec_lo, s17
	v_add_nc_u32_e32 v4, 0xfffffc00, v4
	v_add_nc_u32_e32 v3, 2, v3
	s_add_co_i32 s50, s50, -2
	s_cmp_lg_u32 s51, 0
	s_barrier_signal -1
	s_barrier_wait -1
	s_cbranch_scc0 .LBB169_468
.LBB169_460:                            ;   Parent Loop BB169_3 Depth=1
                                        ; =>  This Inner Loop Header: Depth=2
	s_delay_alu instid0(VALU_DEP_1) | instskip(SKIP_1) | instid1(SALU_CYCLE_1)
	v_cmp_eq_u32_e32 vcc_lo, 0, v3
	s_and_b32 s20, s10, vcc_lo
	s_and_saveexec_b32 s17, s20
; %bb.461:                              ;   in Loop: Header=BB169_460 Depth=2
	ds_store_b128 v2, v[18:21] offset:25088
; %bb.462:                              ;   in Loop: Header=BB169_460 Depth=2
	s_or_b32 exec_lo, exec_lo, s17
	v_cmp_gt_u32_e32 vcc_lo, s50, v24
	s_wait_dscnt 0x0
	s_barrier_signal -1
	s_barrier_wait -1
	s_and_b32 s20, s10, vcc_lo
	s_delay_alu instid0(SALU_CYCLE_1)
	s_and_saveexec_b32 s17, s20
	s_cbranch_execz .LBB169_464
; %bb.463:                              ;   in Loop: Header=BB169_460 Depth=2
	ds_load_b128 v[14:17], v2 offset:25088
	ds_load_b128 v[70:73], v4 offset:512
	s_wait_dscnt 0x0
	v_mul_f64_e32 v[40:41], v[16:17], v[72:73]
	v_mul_f64_e32 v[44:45], v[14:15], v[72:73]
	s_delay_alu instid0(VALU_DEP_2) | instskip(NEXT) | instid1(VALU_DEP_2)
	v_fma_f64 v[14:15], v[14:15], v[70:71], -v[40:41]
	v_fmac_f64_e32 v[44:45], v[16:17], v[70:71]
	s_delay_alu instid0(VALU_DEP_2) | instskip(NEXT) | instid1(VALU_DEP_2)
	v_add_f64_e32 v[18:19], v[18:19], v[14:15]
	v_add_f64_e32 v[20:21], v[20:21], v[44:45]
.LBB169_464:                            ;   in Loop: Header=BB169_460 Depth=2
	s_or_b32 exec_lo, exec_lo, s17
	s_add_co_i32 s51, s50, -1
	s_delay_alu instid0(SALU_CYCLE_1) | instskip(SKIP_3) | instid1(SALU_CYCLE_1)
	v_cmp_eq_u32_e32 vcc_lo, s51, v24
	s_barrier_signal -1
	s_barrier_wait -1
	s_and_b32 s20, s10, vcc_lo
	s_and_saveexec_b32 s17, s20
; %bb.465:                              ;   in Loop: Header=BB169_460 Depth=2
	ds_store_b128 v2, v[18:21] offset:25088
; %bb.466:                              ;   in Loop: Header=BB169_460 Depth=2
	s_or_b32 exec_lo, exec_lo, s17
	v_cmp_gt_u32_e32 vcc_lo, s51, v24
	s_wait_dscnt 0x0
	s_barrier_signal -1
	s_barrier_wait -1
	s_and_b32 s20, s10, vcc_lo
	s_delay_alu instid0(SALU_CYCLE_1)
	s_and_saveexec_b32 s17, s20
	s_cbranch_execz .LBB169_459
; %bb.467:                              ;   in Loop: Header=BB169_460 Depth=2
	ds_load_b128 v[14:17], v2 offset:25088
	ds_load_b128 v[70:73], v4
	s_wait_dscnt 0x0
	v_mul_f64_e32 v[40:41], v[16:17], v[72:73]
	v_mul_f64_e32 v[44:45], v[14:15], v[72:73]
	s_delay_alu instid0(VALU_DEP_2) | instskip(NEXT) | instid1(VALU_DEP_2)
	v_fma_f64 v[14:15], v[14:15], v[70:71], -v[40:41]
	v_fmac_f64_e32 v[44:45], v[16:17], v[70:71]
	s_delay_alu instid0(VALU_DEP_2) | instskip(NEXT) | instid1(VALU_DEP_2)
	v_add_f64_e32 v[18:19], v[18:19], v[14:15]
	v_add_f64_e32 v[20:21], v[20:21], v[44:45]
	s_branch .LBB169_459
.LBB169_468:                            ;   in Loop: Header=BB169_3 Depth=1
	s_and_b32 vcc_lo, exec_lo, s66
	s_mov_b32 s17, -1
	s_cbranch_vccnz .LBB169_486
; %bb.469:                              ;   in Loop: Header=BB169_3 Depth=1
	s_and_not1_b32 vcc_lo, exec_lo, s17
	s_cbranch_vccz .LBB169_487
.LBB169_470:                            ;   in Loop: Header=BB169_3 Depth=1
	s_and_saveexec_b32 s17, s48
	s_cbranch_execz .LBB169_472
.LBB169_471:                            ;   in Loop: Header=BB169_3 Depth=1
	v_lshl_add_u64 v[4:5], v[32:33], 4, v[42:43]
	flat_store_b128 v[4:5], v[18:21]
.LBB169_472:                            ;   in Loop: Header=BB169_3 Depth=1
	s_wait_xcnt 0x0
	s_or_b32 exec_lo, exec_lo, s17
	global_wb scope:SCOPE_DEV
	s_wait_storecnt_dscnt 0x0
	global_inv scope:SCOPE_DEV
	s_wait_loadcnt 0x0
	s_barrier_signal -1
	s_barrier_wait -1
	s_and_saveexec_b32 s17, s28
	s_cbranch_execz .LBB169_2
; %bb.473:                              ;   in Loop: Header=BB169_3 Depth=1
	s_lshl_b64 s[50:51], s[52:53], 2
	s_delay_alu instid0(SALU_CYCLE_1)
	s_add_nc_u64 s[50:51], s[58:59], s[50:51]
	global_load_b32 v3, v2, s[50:51]
	s_wait_loadcnt 0x0
	v_add_nc_u32_e32 v3, 1, v3
	global_store_b32 v2, v3, s[50:51]
	s_branch .LBB169_2
.LBB169_474:                            ;   in Loop: Header=BB169_3 Depth=1
	v_lshl_add_u64 v[4:5], v[34:35], 4, v[44:45]
	s_or_b32 s17, s17, exec_lo
	flat_load_b128 v[18:21], v[4:5]
	s_wait_loadcnt_dscnt 0x0
	v_xor_b32_e32 v19, 0x80000000, v19
	v_xor_b32_e32 v21, 0x80000000, v21
	s_or_b32 exec_lo, exec_lo, s48
	s_and_saveexec_b32 s48, s17
	s_cbranch_execz .LBB169_14
.LBB169_475:                            ;   in Loop: Header=BB169_3 Depth=1
	ds_store_b128 v66, v[18:21]
	s_or_b32 exec_lo, exec_lo, s48
	s_and_saveexec_b32 s17, s12
	s_delay_alu instid0(SALU_CYCLE_1)
	s_xor_b32 s17, exec_lo, s17
	s_cbranch_execz .LBB169_15
.LBB169_476:                            ;   in Loop: Header=BB169_3 Depth=1
	s_and_saveexec_b32 s48, s34
; %bb.477:                              ;   in Loop: Header=BB169_3 Depth=1
	v_dual_mov_b32 v3, v2 :: v_dual_mov_b32 v4, v2
	v_mov_b32_e32 v5, v2
	ds_store_b128 v67, v[2:5]
; %bb.478:                              ;   in Loop: Header=BB169_3 Depth=1
	s_or_b32 exec_lo, exec_lo, s48
	s_and_not1_saveexec_b32 s17, s17
	s_cbranch_execnz .LBB169_16
	s_branch .LBB169_17
.LBB169_479:                            ;   in Loop: Header=BB169_3 Depth=1
	v_lshl_add_u64 v[4:5], v[34:35], 4, v[44:45]
	s_or_b32 s17, s17, exec_lo
	flat_load_b128 v[18:21], v[4:5]
	s_wait_loadcnt_dscnt 0x0
	v_xor_b32_e32 v19, 0x80000000, v19
	v_xor_b32_e32 v21, 0x80000000, v21
	s_or_b32 exec_lo, exec_lo, s48
	s_and_saveexec_b32 s48, s17
	s_cbranch_execz .LBB169_23
.LBB169_480:                            ;   in Loop: Header=BB169_3 Depth=1
	ds_store_b128 v66, v[18:21]
	s_or_b32 exec_lo, exec_lo, s48
	s_and_saveexec_b32 s17, s102
	s_delay_alu instid0(SALU_CYCLE_1)
	s_xor_b32 s17, exec_lo, s17
	s_cbranch_execz .LBB169_24
.LBB169_481:                            ;   in Loop: Header=BB169_3 Depth=1
	s_and_saveexec_b32 s48, s34
; %bb.482:                              ;   in Loop: Header=BB169_3 Depth=1
	v_dual_mov_b32 v3, v2 :: v_dual_mov_b32 v4, v2
	v_mov_b32_e32 v5, v2
	ds_store_b128 v67, v[2:5]
; %bb.483:                              ;   in Loop: Header=BB169_3 Depth=1
	s_or_b32 exec_lo, exec_lo, s48
                                        ; implicit-def: $vgpr44_vgpr45
	s_and_not1_saveexec_b32 s17, s17
	s_cbranch_execnz .LBB169_25
	s_branch .LBB169_26
.LBB169_484:                            ;   in Loop: Header=BB169_3 Depth=1
	s_or_b32 exec_lo, exec_lo, s51
	s_delay_alu instid0(SALU_CYCLE_1)
	s_and_b32 vcc_lo, exec_lo, s50
	s_cbranch_vccnz .LBB169_458
.LBB169_485:                            ;   in Loop: Header=BB169_3 Depth=1
	s_delay_alu instid0(VALU_DEP_1) | instskip(NEXT) | instid1(VALU_DEP_3)
	v_mov_b64_e32 v[20:21], v[4:5]
	v_mov_b64_e32 v[18:19], v[40:41]
	s_and_saveexec_b32 s17, s48
	s_cbranch_execnz .LBB169_471
	s_branch .LBB169_472
.LBB169_486:                            ;   in Loop: Header=BB169_3 Depth=1
	s_and_not1_b32 s20, s48, exec_lo
	s_and_b32 s48, s10, exec_lo
	s_delay_alu instid0(SALU_CYCLE_1)
	s_or_b32 s48, s20, s48
	s_cbranch_execnz .LBB169_470
.LBB169_487:                            ;   in Loop: Header=BB169_3 Depth=1
	v_readlane_b32 s20, v78, 17
	s_and_not1_b32 s17, s48, exec_lo
	s_and_b32 s20, s20, exec_lo
	s_delay_alu instid0(SALU_CYCLE_1) | instskip(NEXT) | instid1(SALU_CYCLE_1)
	s_or_b32 s48, s17, s20
	s_and_saveexec_b32 s17, s48
	s_cbranch_execnz .LBB169_471
	s_branch .LBB169_472
.LBB169_488:                            ;   in Loop: Header=BB169_3 Depth=1
	ds_load_b128 v[70:73], v52 offset:16336
	ds_load_b128 v[74:77], v51 offset:15232
	s_wait_dscnt 0x0
	v_mul_f64_e32 v[4:5], v[72:73], v[76:77]
	v_mul_f64_e32 v[44:45], v[70:71], v[76:77]
	s_delay_alu instid0(VALU_DEP_2) | instskip(NEXT) | instid1(VALU_DEP_2)
	v_fma_f64 v[4:5], v[70:71], v[74:75], -v[4:5]
	v_fmac_f64_e32 v[44:45], v[72:73], v[74:75]
	s_delay_alu instid0(VALU_DEP_2) | instskip(NEXT) | instid1(VALU_DEP_2)
	v_add_f64_e32 v[18:19], v[18:19], v[4:5]
	v_add_f64_e32 v[20:21], v[20:21], v[44:45]
	s_or_b32 exec_lo, exec_lo, s17
	s_and_saveexec_b32 s17, s6
	s_cbranch_execz .LBB169_47
.LBB169_489:                            ;   in Loop: Header=BB169_3 Depth=1
	ds_load_b128 v[70:73], v52 offset:16352
	ds_load_b128 v[74:77], v51 offset:15744
	s_wait_dscnt 0x0
	v_mul_f64_e32 v[4:5], v[72:73], v[76:77]
	v_mul_f64_e32 v[44:45], v[70:71], v[76:77]
	s_delay_alu instid0(VALU_DEP_2) | instskip(NEXT) | instid1(VALU_DEP_2)
	v_fma_f64 v[4:5], v[70:71], v[74:75], -v[4:5]
	v_fmac_f64_e32 v[44:45], v[72:73], v[74:75]
	s_delay_alu instid0(VALU_DEP_2) | instskip(NEXT) | instid1(VALU_DEP_2)
	v_add_f64_e32 v[18:19], v[18:19], v[4:5]
	v_add_f64_e32 v[20:21], v[20:21], v[44:45]
	s_or_b32 exec_lo, exec_lo, s17
	s_and_saveexec_b32 s17, s2
	s_cbranch_execnz .LBB169_48
	s_branch .LBB169_49
.LBB169_490:                            ;   in Loop: Header=BB169_3 Depth=1
	ds_load_b128 v[70:73], v56 offset:16272
	ds_load_b128 v[74:77], v55 offset:13056
	s_wait_dscnt 0x0
	v_mul_f64_e32 v[4:5], v[72:73], v[76:77]
	v_mul_f64_e32 v[44:45], v[70:71], v[76:77]
	s_delay_alu instid0(VALU_DEP_2) | instskip(NEXT) | instid1(VALU_DEP_2)
	v_fma_f64 v[4:5], v[70:71], v[74:75], -v[4:5]
	v_fmac_f64_e32 v[44:45], v[72:73], v[74:75]
	s_delay_alu instid0(VALU_DEP_2) | instskip(NEXT) | instid1(VALU_DEP_2)
	v_add_f64_e32 v[18:19], v[18:19], v[4:5]
	v_add_f64_e32 v[20:21], v[20:21], v[44:45]
	s_or_b32 exec_lo, exec_lo, s17
	s_and_saveexec_b32 s17, s13
	s_cbranch_execz .LBB169_85
.LBB169_491:                            ;   in Loop: Header=BB169_3 Depth=1
	ds_load_b128 v[70:73], v56 offset:16288
	ds_load_b128 v[74:77], v55 offset:13568
	s_wait_dscnt 0x0
	v_mul_f64_e32 v[4:5], v[72:73], v[76:77]
	v_mul_f64_e32 v[44:45], v[70:71], v[76:77]
	s_delay_alu instid0(VALU_DEP_2) | instskip(NEXT) | instid1(VALU_DEP_2)
	v_fma_f64 v[4:5], v[70:71], v[74:75], -v[4:5]
	v_fmac_f64_e32 v[44:45], v[72:73], v[74:75]
	s_delay_alu instid0(VALU_DEP_2) | instskip(NEXT) | instid1(VALU_DEP_2)
	v_add_f64_e32 v[18:19], v[18:19], v[4:5]
	v_add_f64_e32 v[20:21], v[20:21], v[44:45]
	s_or_b32 exec_lo, exec_lo, s17
	s_and_saveexec_b32 s17, s14
	s_cbranch_execz .LBB169_86
.LBB169_492:                            ;   in Loop: Header=BB169_3 Depth=1
	ds_load_b128 v[70:73], v56 offset:16304
	ds_load_b128 v[74:77], v55 offset:14080
	s_wait_dscnt 0x0
	v_mul_f64_e32 v[4:5], v[72:73], v[76:77]
	v_mul_f64_e32 v[44:45], v[70:71], v[76:77]
	s_delay_alu instid0(VALU_DEP_2) | instskip(NEXT) | instid1(VALU_DEP_2)
	v_fma_f64 v[4:5], v[70:71], v[74:75], -v[4:5]
	v_fmac_f64_e32 v[44:45], v[72:73], v[74:75]
	s_delay_alu instid0(VALU_DEP_2) | instskip(NEXT) | instid1(VALU_DEP_2)
	v_add_f64_e32 v[18:19], v[18:19], v[4:5]
	v_add_f64_e32 v[20:21], v[20:21], v[44:45]
	s_or_b32 exec_lo, exec_lo, s17
	s_and_saveexec_b32 s17, s15
	s_cbranch_execz .LBB169_87
.LBB169_493:                            ;   in Loop: Header=BB169_3 Depth=1
	ds_load_b128 v[70:73], v56 offset:16320
	ds_load_b128 v[74:77], v55 offset:14592
	s_wait_dscnt 0x0
	v_mul_f64_e32 v[4:5], v[72:73], v[76:77]
	v_mul_f64_e32 v[44:45], v[70:71], v[76:77]
	s_delay_alu instid0(VALU_DEP_2) | instskip(NEXT) | instid1(VALU_DEP_2)
	v_fma_f64 v[4:5], v[70:71], v[74:75], -v[4:5]
	v_fmac_f64_e32 v[44:45], v[72:73], v[74:75]
	s_delay_alu instid0(VALU_DEP_2) | instskip(NEXT) | instid1(VALU_DEP_2)
	v_add_f64_e32 v[18:19], v[18:19], v[4:5]
	v_add_f64_e32 v[20:21], v[20:21], v[44:45]
	s_or_b32 exec_lo, exec_lo, s17
	s_and_saveexec_b32 s17, s16
	s_cbranch_execz .LBB169_88
.LBB169_494:                            ;   in Loop: Header=BB169_3 Depth=1
	ds_load_b128 v[70:73], v56 offset:16336
	ds_load_b128 v[74:77], v55 offset:15104
	s_wait_dscnt 0x0
	v_mul_f64_e32 v[4:5], v[72:73], v[76:77]
	v_mul_f64_e32 v[44:45], v[70:71], v[76:77]
	s_delay_alu instid0(VALU_DEP_2) | instskip(NEXT) | instid1(VALU_DEP_2)
	v_fma_f64 v[4:5], v[70:71], v[74:75], -v[4:5]
	v_fmac_f64_e32 v[44:45], v[72:73], v[74:75]
	s_delay_alu instid0(VALU_DEP_2) | instskip(NEXT) | instid1(VALU_DEP_2)
	v_add_f64_e32 v[18:19], v[18:19], v[4:5]
	v_add_f64_e32 v[20:21], v[20:21], v[44:45]
	s_or_b32 exec_lo, exec_lo, s17
	s_and_saveexec_b32 s17, s4
	s_cbranch_execz .LBB169_89
.LBB169_495:                            ;   in Loop: Header=BB169_3 Depth=1
	ds_load_b128 v[70:73], v56 offset:16352
	ds_load_b128 v[74:77], v55 offset:15616
	s_wait_dscnt 0x0
	v_mul_f64_e32 v[4:5], v[72:73], v[76:77]
	v_mul_f64_e32 v[44:45], v[70:71], v[76:77]
	s_delay_alu instid0(VALU_DEP_2) | instskip(NEXT) | instid1(VALU_DEP_2)
	v_fma_f64 v[4:5], v[70:71], v[74:75], -v[4:5]
	v_fmac_f64_e32 v[44:45], v[72:73], v[74:75]
	s_delay_alu instid0(VALU_DEP_2) | instskip(NEXT) | instid1(VALU_DEP_2)
	v_add_f64_e32 v[18:19], v[18:19], v[4:5]
	v_add_f64_e32 v[20:21], v[20:21], v[44:45]
	s_or_b32 exec_lo, exec_lo, s17
	s_and_saveexec_b32 s17, s6
	s_cbranch_execnz .LBB169_90
	s_branch .LBB169_91
.LBB169_496:                            ;   in Loop: Header=BB169_3 Depth=1
	ds_load_b128 v[70:73], v52 offset:12112
	ds_load_b128 v[74:77], v51 offset:11008
	s_wait_dscnt 0x0
	v_mul_f64_e32 v[4:5], v[72:73], v[76:77]
	v_mul_f64_e32 v[44:45], v[70:71], v[76:77]
	s_delay_alu instid0(VALU_DEP_2) | instskip(NEXT) | instid1(VALU_DEP_2)
	v_fma_f64 v[4:5], v[70:71], v[74:75], -v[4:5]
	v_fmac_f64_e32 v[44:45], v[72:73], v[74:75]
	s_delay_alu instid0(VALU_DEP_2) | instskip(NEXT) | instid1(VALU_DEP_2)
	v_add_f64_e32 v[18:19], v[18:19], v[4:5]
	v_add_f64_e32 v[20:21], v[20:21], v[44:45]
	s_or_b32 exec_lo, exec_lo, s17
	s_and_saveexec_b32 s17, s6
	s_cbranch_execz .LBB169_143
.LBB169_497:                            ;   in Loop: Header=BB169_3 Depth=1
	ds_load_b128 v[70:73], v52 offset:12128
	ds_load_b128 v[74:77], v51 offset:11520
	s_wait_dscnt 0x0
	v_mul_f64_e32 v[4:5], v[72:73], v[76:77]
	v_mul_f64_e32 v[44:45], v[70:71], v[76:77]
	s_delay_alu instid0(VALU_DEP_2) | instskip(NEXT) | instid1(VALU_DEP_2)
	v_fma_f64 v[4:5], v[70:71], v[74:75], -v[4:5]
	v_fmac_f64_e32 v[44:45], v[72:73], v[74:75]
	s_delay_alu instid0(VALU_DEP_2) | instskip(NEXT) | instid1(VALU_DEP_2)
	v_add_f64_e32 v[18:19], v[18:19], v[4:5]
	v_add_f64_e32 v[20:21], v[20:21], v[44:45]
	s_or_b32 exec_lo, exec_lo, s17
	s_and_saveexec_b32 s17, s2
	s_cbranch_execnz .LBB169_144
	s_branch .LBB169_145
.LBB169_498:                            ;   in Loop: Header=BB169_3 Depth=1
	ds_load_b128 v[70:73], v60 offset:16304
	ds_load_b128 v[74:77], v59 offset:13824
	s_wait_dscnt 0x0
	v_mul_f64_e32 v[4:5], v[72:73], v[76:77]
	v_mul_f64_e32 v[44:45], v[70:71], v[76:77]
	s_delay_alu instid0(VALU_DEP_2) | instskip(NEXT) | instid1(VALU_DEP_2)
	v_fma_f64 v[4:5], v[70:71], v[74:75], -v[4:5]
	v_fmac_f64_e32 v[44:45], v[72:73], v[74:75]
	s_delay_alu instid0(VALU_DEP_2) | instskip(NEXT) | instid1(VALU_DEP_2)
	v_add_f64_e32 v[18:19], v[18:19], v[4:5]
	v_add_f64_e32 v[20:21], v[20:21], v[44:45]
	s_or_b32 exec_lo, exec_lo, s17
	s_and_saveexec_b32 s17, s7
	s_cbranch_execz .LBB169_201
.LBB169_499:                            ;   in Loop: Header=BB169_3 Depth=1
	ds_load_b128 v[70:73], v60 offset:16320
	ds_load_b128 v[74:77], v59 offset:14336
	s_wait_dscnt 0x0
	v_mul_f64_e32 v[4:5], v[72:73], v[76:77]
	v_mul_f64_e32 v[44:45], v[70:71], v[76:77]
	s_delay_alu instid0(VALU_DEP_2) | instskip(NEXT) | instid1(VALU_DEP_2)
	v_fma_f64 v[4:5], v[70:71], v[74:75], -v[4:5]
	v_fmac_f64_e32 v[44:45], v[72:73], v[74:75]
	s_delay_alu instid0(VALU_DEP_2) | instskip(NEXT) | instid1(VALU_DEP_2)
	v_add_f64_e32 v[18:19], v[18:19], v[4:5]
	v_add_f64_e32 v[20:21], v[20:21], v[44:45]
	s_or_b32 exec_lo, exec_lo, s17
	s_and_saveexec_b32 s17, s13
	s_cbranch_execz .LBB169_202
.LBB169_500:                            ;   in Loop: Header=BB169_3 Depth=1
	ds_load_b128 v[70:73], v60 offset:16336
	ds_load_b128 v[74:77], v59 offset:14848
	s_wait_dscnt 0x0
	v_mul_f64_e32 v[4:5], v[72:73], v[76:77]
	v_mul_f64_e32 v[44:45], v[70:71], v[76:77]
	s_delay_alu instid0(VALU_DEP_2) | instskip(NEXT) | instid1(VALU_DEP_2)
	v_fma_f64 v[4:5], v[70:71], v[74:75], -v[4:5]
	v_fmac_f64_e32 v[44:45], v[72:73], v[74:75]
	s_delay_alu instid0(VALU_DEP_2) | instskip(NEXT) | instid1(VALU_DEP_2)
	v_add_f64_e32 v[18:19], v[18:19], v[4:5]
	v_add_f64_e32 v[20:21], v[20:21], v[44:45]
	s_or_b32 exec_lo, exec_lo, s17
	s_and_saveexec_b32 s17, s15
	s_cbranch_execz .LBB169_203
.LBB169_501:                            ;   in Loop: Header=BB169_3 Depth=1
	ds_load_b128 v[70:73], v60 offset:16352
	ds_load_b128 v[74:77], v59 offset:15360
	s_wait_dscnt 0x0
	v_mul_f64_e32 v[4:5], v[72:73], v[76:77]
	v_mul_f64_e32 v[44:45], v[70:71], v[76:77]
	s_delay_alu instid0(VALU_DEP_2) | instskip(NEXT) | instid1(VALU_DEP_2)
	v_fma_f64 v[4:5], v[70:71], v[74:75], -v[4:5]
	v_fmac_f64_e32 v[44:45], v[72:73], v[74:75]
	s_delay_alu instid0(VALU_DEP_2) | instskip(NEXT) | instid1(VALU_DEP_2)
	v_add_f64_e32 v[18:19], v[18:19], v[4:5]
	v_add_f64_e32 v[20:21], v[20:21], v[44:45]
	s_or_b32 exec_lo, exec_lo, s17
	s_and_saveexec_b32 s17, s4
	s_cbranch_execnz .LBB169_204
	s_branch .LBB169_205
.LBB169_502:                            ;   in Loop: Header=BB169_3 Depth=1
	ds_load_b128 v[70:73], v52 offset:7888
	ds_load_b128 v[74:77], v51 offset:6784
	s_wait_dscnt 0x0
	v_mul_f64_e32 v[4:5], v[72:73], v[76:77]
	v_mul_f64_e32 v[44:45], v[70:71], v[76:77]
	s_delay_alu instid0(VALU_DEP_2) | instskip(NEXT) | instid1(VALU_DEP_2)
	v_fma_f64 v[4:5], v[70:71], v[74:75], -v[4:5]
	v_fmac_f64_e32 v[44:45], v[72:73], v[74:75]
	s_delay_alu instid0(VALU_DEP_2) | instskip(NEXT) | instid1(VALU_DEP_2)
	v_add_f64_e32 v[18:19], v[18:19], v[4:5]
	v_add_f64_e32 v[20:21], v[20:21], v[44:45]
	s_or_b32 exec_lo, exec_lo, s17
	s_and_saveexec_b32 s17, s6
	s_cbranch_execz .LBB169_289
.LBB169_503:                            ;   in Loop: Header=BB169_3 Depth=1
	ds_load_b128 v[70:73], v52 offset:7904
	ds_load_b128 v[74:77], v51 offset:7296
	s_wait_dscnt 0x0
	v_mul_f64_e32 v[4:5], v[72:73], v[76:77]
	v_mul_f64_e32 v[44:45], v[70:71], v[76:77]
	s_delay_alu instid0(VALU_DEP_2) | instskip(NEXT) | instid1(VALU_DEP_2)
	v_fma_f64 v[4:5], v[70:71], v[74:75], -v[4:5]
	v_fmac_f64_e32 v[44:45], v[72:73], v[74:75]
	s_delay_alu instid0(VALU_DEP_2) | instskip(NEXT) | instid1(VALU_DEP_2)
	v_add_f64_e32 v[18:19], v[18:19], v[4:5]
	v_add_f64_e32 v[20:21], v[20:21], v[44:45]
	s_or_b32 exec_lo, exec_lo, s17
	s_and_saveexec_b32 s17, s2
	s_cbranch_execnz .LBB169_290
	s_branch .LBB169_291
.LBB169_504:                            ;   in Loop: Header=BB169_3 Depth=1
	ds_load_b128 v[70:73], v56 offset:7824
	ds_load_b128 v[74:77], v55 offset:4608
	s_wait_dscnt 0x0
	v_mul_f64_e32 v[4:5], v[72:73], v[76:77]
	v_mul_f64_e32 v[44:45], v[70:71], v[76:77]
	s_delay_alu instid0(VALU_DEP_2) | instskip(NEXT) | instid1(VALU_DEP_2)
	v_fma_f64 v[4:5], v[70:71], v[74:75], -v[4:5]
	v_fmac_f64_e32 v[44:45], v[72:73], v[74:75]
	s_delay_alu instid0(VALU_DEP_2) | instskip(NEXT) | instid1(VALU_DEP_2)
	v_add_f64_e32 v[18:19], v[18:19], v[4:5]
	v_add_f64_e32 v[20:21], v[20:21], v[44:45]
	s_or_b32 exec_lo, exec_lo, s17
	s_and_saveexec_b32 s17, s13
	s_cbranch_execz .LBB169_327
.LBB169_505:                            ;   in Loop: Header=BB169_3 Depth=1
	ds_load_b128 v[70:73], v56 offset:7840
	ds_load_b128 v[74:77], v55 offset:5120
	s_wait_dscnt 0x0
	v_mul_f64_e32 v[4:5], v[72:73], v[76:77]
	v_mul_f64_e32 v[44:45], v[70:71], v[76:77]
	s_delay_alu instid0(VALU_DEP_2) | instskip(NEXT) | instid1(VALU_DEP_2)
	v_fma_f64 v[4:5], v[70:71], v[74:75], -v[4:5]
	v_fmac_f64_e32 v[44:45], v[72:73], v[74:75]
	s_delay_alu instid0(VALU_DEP_2) | instskip(NEXT) | instid1(VALU_DEP_2)
	v_add_f64_e32 v[18:19], v[18:19], v[4:5]
	v_add_f64_e32 v[20:21], v[20:21], v[44:45]
	s_or_b32 exec_lo, exec_lo, s17
	s_and_saveexec_b32 s17, s14
	s_cbranch_execz .LBB169_328
.LBB169_506:                            ;   in Loop: Header=BB169_3 Depth=1
	ds_load_b128 v[70:73], v56 offset:7856
	ds_load_b128 v[74:77], v55 offset:5632
	s_wait_dscnt 0x0
	v_mul_f64_e32 v[4:5], v[72:73], v[76:77]
	v_mul_f64_e32 v[44:45], v[70:71], v[76:77]
	s_delay_alu instid0(VALU_DEP_2) | instskip(NEXT) | instid1(VALU_DEP_2)
	v_fma_f64 v[4:5], v[70:71], v[74:75], -v[4:5]
	v_fmac_f64_e32 v[44:45], v[72:73], v[74:75]
	s_delay_alu instid0(VALU_DEP_2) | instskip(NEXT) | instid1(VALU_DEP_2)
	v_add_f64_e32 v[18:19], v[18:19], v[4:5]
	v_add_f64_e32 v[20:21], v[20:21], v[44:45]
	s_or_b32 exec_lo, exec_lo, s17
	s_and_saveexec_b32 s17, s15
	s_cbranch_execz .LBB169_329
.LBB169_507:                            ;   in Loop: Header=BB169_3 Depth=1
	ds_load_b128 v[70:73], v56 offset:7872
	ds_load_b128 v[74:77], v55 offset:6144
	s_wait_dscnt 0x0
	v_mul_f64_e32 v[4:5], v[72:73], v[76:77]
	v_mul_f64_e32 v[44:45], v[70:71], v[76:77]
	s_delay_alu instid0(VALU_DEP_2) | instskip(NEXT) | instid1(VALU_DEP_2)
	v_fma_f64 v[4:5], v[70:71], v[74:75], -v[4:5]
	v_fmac_f64_e32 v[44:45], v[72:73], v[74:75]
	s_delay_alu instid0(VALU_DEP_2) | instskip(NEXT) | instid1(VALU_DEP_2)
	v_add_f64_e32 v[18:19], v[18:19], v[4:5]
	v_add_f64_e32 v[20:21], v[20:21], v[44:45]
	s_or_b32 exec_lo, exec_lo, s17
	s_and_saveexec_b32 s17, s16
	s_cbranch_execz .LBB169_330
.LBB169_508:                            ;   in Loop: Header=BB169_3 Depth=1
	ds_load_b128 v[70:73], v56 offset:7888
	ds_load_b128 v[74:77], v55 offset:6656
	s_wait_dscnt 0x0
	v_mul_f64_e32 v[4:5], v[72:73], v[76:77]
	v_mul_f64_e32 v[44:45], v[70:71], v[76:77]
	s_delay_alu instid0(VALU_DEP_2) | instskip(NEXT) | instid1(VALU_DEP_2)
	v_fma_f64 v[4:5], v[70:71], v[74:75], -v[4:5]
	v_fmac_f64_e32 v[44:45], v[72:73], v[74:75]
	s_delay_alu instid0(VALU_DEP_2) | instskip(NEXT) | instid1(VALU_DEP_2)
	v_add_f64_e32 v[18:19], v[18:19], v[4:5]
	v_add_f64_e32 v[20:21], v[20:21], v[44:45]
	s_or_b32 exec_lo, exec_lo, s17
	s_and_saveexec_b32 s17, s4
	s_cbranch_execz .LBB169_331
.LBB169_509:                            ;   in Loop: Header=BB169_3 Depth=1
	ds_load_b128 v[70:73], v56 offset:7904
	ds_load_b128 v[74:77], v55 offset:7168
	s_wait_dscnt 0x0
	v_mul_f64_e32 v[4:5], v[72:73], v[76:77]
	v_mul_f64_e32 v[44:45], v[70:71], v[76:77]
	s_delay_alu instid0(VALU_DEP_2) | instskip(NEXT) | instid1(VALU_DEP_2)
	v_fma_f64 v[4:5], v[70:71], v[74:75], -v[4:5]
	v_fmac_f64_e32 v[44:45], v[72:73], v[74:75]
	s_delay_alu instid0(VALU_DEP_2) | instskip(NEXT) | instid1(VALU_DEP_2)
	v_add_f64_e32 v[18:19], v[18:19], v[4:5]
	v_add_f64_e32 v[20:21], v[20:21], v[44:45]
	s_or_b32 exec_lo, exec_lo, s17
	s_and_saveexec_b32 s17, s6
	s_cbranch_execnz .LBB169_332
	s_branch .LBB169_333
.LBB169_510:                            ;   in Loop: Header=BB169_3 Depth=1
	ds_load_b128 v[70:73], v52 offset:3664
	ds_load_b128 v[74:77], v51 offset:2560
	s_wait_dscnt 0x0
	v_mul_f64_e32 v[4:5], v[72:73], v[76:77]
	v_mul_f64_e32 v[44:45], v[70:71], v[76:77]
	s_delay_alu instid0(VALU_DEP_2) | instskip(NEXT) | instid1(VALU_DEP_2)
	v_fma_f64 v[4:5], v[70:71], v[74:75], -v[4:5]
	v_fmac_f64_e32 v[44:45], v[72:73], v[74:75]
	s_delay_alu instid0(VALU_DEP_2) | instskip(NEXT) | instid1(VALU_DEP_2)
	v_add_f64_e32 v[18:19], v[18:19], v[4:5]
	v_add_f64_e32 v[20:21], v[20:21], v[44:45]
	s_or_b32 exec_lo, exec_lo, s17
	s_and_saveexec_b32 s17, s6
	s_cbranch_execz .LBB169_385
.LBB169_511:                            ;   in Loop: Header=BB169_3 Depth=1
	ds_load_b128 v[70:73], v52 offset:3680
	ds_load_b128 v[74:77], v51 offset:3072
	s_wait_dscnt 0x0
	v_mul_f64_e32 v[4:5], v[72:73], v[76:77]
	v_mul_f64_e32 v[44:45], v[70:71], v[76:77]
	s_delay_alu instid0(VALU_DEP_2) | instskip(NEXT) | instid1(VALU_DEP_2)
	v_fma_f64 v[4:5], v[70:71], v[74:75], -v[4:5]
	v_fmac_f64_e32 v[44:45], v[72:73], v[74:75]
	s_delay_alu instid0(VALU_DEP_2) | instskip(NEXT) | instid1(VALU_DEP_2)
	v_add_f64_e32 v[18:19], v[18:19], v[4:5]
	v_add_f64_e32 v[20:21], v[20:21], v[44:45]
	s_or_b32 exec_lo, exec_lo, s17
	s_and_saveexec_b32 s17, s2
	s_cbranch_execnz .LBB169_386
	s_branch .LBB169_387
.LBB169_512:
	s_endpgm
	.section	.rodata,"a",@progbits
	.p2align	6, 0x0
	.amdhsa_kernel _ZL19rocblas_trsv_deviceILi32ELi16ELb0ELb0ELb0ELb1E19rocblas_complex_numIdEPKS1_PKS3_PKPS1_EviT7_lllT6_T8_lllPii
		.amdhsa_group_segment_fixed_size 25104
		.amdhsa_private_segment_fixed_size 0
		.amdhsa_kernarg_size 352
		.amdhsa_user_sgpr_count 2
		.amdhsa_user_sgpr_dispatch_ptr 0
		.amdhsa_user_sgpr_queue_ptr 0
		.amdhsa_user_sgpr_kernarg_segment_ptr 1
		.amdhsa_user_sgpr_dispatch_id 0
		.amdhsa_user_sgpr_kernarg_preload_length 0
		.amdhsa_user_sgpr_kernarg_preload_offset 0
		.amdhsa_user_sgpr_private_segment_size 0
		.amdhsa_wavefront_size32 1
		.amdhsa_uses_dynamic_stack 0
		.amdhsa_enable_private_segment 0
		.amdhsa_system_sgpr_workgroup_id_x 1
		.amdhsa_system_sgpr_workgroup_id_y 0
		.amdhsa_system_sgpr_workgroup_id_z 1
		.amdhsa_system_sgpr_workgroup_info 0
		.amdhsa_system_vgpr_workitem_id 1
		.amdhsa_next_free_vgpr 79
		.amdhsa_next_free_sgpr 105
		.amdhsa_named_barrier_count 0
		.amdhsa_reserve_vcc 1
		.amdhsa_float_round_mode_32 0
		.amdhsa_float_round_mode_16_64 0
		.amdhsa_float_denorm_mode_32 3
		.amdhsa_float_denorm_mode_16_64 3
		.amdhsa_fp16_overflow 0
		.amdhsa_memory_ordered 1
		.amdhsa_forward_progress 1
		.amdhsa_inst_pref_size 161
		.amdhsa_round_robin_scheduling 0
		.amdhsa_exception_fp_ieee_invalid_op 0
		.amdhsa_exception_fp_denorm_src 0
		.amdhsa_exception_fp_ieee_div_zero 0
		.amdhsa_exception_fp_ieee_overflow 0
		.amdhsa_exception_fp_ieee_underflow 0
		.amdhsa_exception_fp_ieee_inexact 0
		.amdhsa_exception_int_div_zero 0
	.end_amdhsa_kernel
	.section	.text._ZL19rocblas_trsv_deviceILi32ELi16ELb0ELb0ELb0ELb1E19rocblas_complex_numIdEPKS1_PKS3_PKPS1_EviT7_lllT6_T8_lllPii,"axG",@progbits,_ZL19rocblas_trsv_deviceILi32ELi16ELb0ELb0ELb0ELb1E19rocblas_complex_numIdEPKS1_PKS3_PKPS1_EviT7_lllT6_T8_lllPii,comdat
.Lfunc_end169:
	.size	_ZL19rocblas_trsv_deviceILi32ELi16ELb0ELb0ELb0ELb1E19rocblas_complex_numIdEPKS1_PKS3_PKPS1_EviT7_lllT6_T8_lllPii, .Lfunc_end169-_ZL19rocblas_trsv_deviceILi32ELi16ELb0ELb0ELb0ELb1E19rocblas_complex_numIdEPKS1_PKS3_PKPS1_EviT7_lllT6_T8_lllPii
                                        ; -- End function
	.set _ZL19rocblas_trsv_deviceILi32ELi16ELb0ELb0ELb0ELb1E19rocblas_complex_numIdEPKS1_PKS3_PKPS1_EviT7_lllT6_T8_lllPii.num_vgpr, 79
	.set _ZL19rocblas_trsv_deviceILi32ELi16ELb0ELb0ELb0ELb1E19rocblas_complex_numIdEPKS1_PKS3_PKPS1_EviT7_lllT6_T8_lllPii.num_agpr, 0
	.set _ZL19rocblas_trsv_deviceILi32ELi16ELb0ELb0ELb0ELb1E19rocblas_complex_numIdEPKS1_PKS3_PKPS1_EviT7_lllT6_T8_lllPii.numbered_sgpr, 105
	.set _ZL19rocblas_trsv_deviceILi32ELi16ELb0ELb0ELb0ELb1E19rocblas_complex_numIdEPKS1_PKS3_PKPS1_EviT7_lllT6_T8_lllPii.num_named_barrier, 0
	.set _ZL19rocblas_trsv_deviceILi32ELi16ELb0ELb0ELb0ELb1E19rocblas_complex_numIdEPKS1_PKS3_PKPS1_EviT7_lllT6_T8_lllPii.private_seg_size, 0
	.set _ZL19rocblas_trsv_deviceILi32ELi16ELb0ELb0ELb0ELb1E19rocblas_complex_numIdEPKS1_PKS3_PKPS1_EviT7_lllT6_T8_lllPii.uses_vcc, 1
	.set _ZL19rocblas_trsv_deviceILi32ELi16ELb0ELb0ELb0ELb1E19rocblas_complex_numIdEPKS1_PKS3_PKPS1_EviT7_lllT6_T8_lllPii.uses_flat_scratch, 0
	.set _ZL19rocblas_trsv_deviceILi32ELi16ELb0ELb0ELb0ELb1E19rocblas_complex_numIdEPKS1_PKS3_PKPS1_EviT7_lllT6_T8_lllPii.has_dyn_sized_stack, 0
	.set _ZL19rocblas_trsv_deviceILi32ELi16ELb0ELb0ELb0ELb1E19rocblas_complex_numIdEPKS1_PKS3_PKPS1_EviT7_lllT6_T8_lllPii.has_recursion, 0
	.set _ZL19rocblas_trsv_deviceILi32ELi16ELb0ELb0ELb0ELb1E19rocblas_complex_numIdEPKS1_PKS3_PKPS1_EviT7_lllT6_T8_lllPii.has_indirect_call, 0
	.section	.AMDGPU.csdata,"",@progbits
; Kernel info:
; codeLenInByte = 20588
; TotalNumSgprs: 107
; NumVgprs: 79
; ScratchSize: 0
; MemoryBound: 1
; FloatMode: 240
; IeeeMode: 1
; LDSByteSize: 25104 bytes/workgroup (compile time only)
; SGPRBlocks: 0
; VGPRBlocks: 4
; NumSGPRsForWavesPerEU: 107
; NumVGPRsForWavesPerEU: 79
; NamedBarCnt: 0
; Occupancy: 12
; WaveLimiterHint : 1
; COMPUTE_PGM_RSRC2:SCRATCH_EN: 0
; COMPUTE_PGM_RSRC2:USER_SGPR: 2
; COMPUTE_PGM_RSRC2:TRAP_HANDLER: 0
; COMPUTE_PGM_RSRC2:TGID_X_EN: 1
; COMPUTE_PGM_RSRC2:TGID_Y_EN: 0
; COMPUTE_PGM_RSRC2:TGID_Z_EN: 1
; COMPUTE_PGM_RSRC2:TIDIG_COMP_CNT: 1
	.section	.text._ZL19rocblas_trsv_deviceILi32ELi16ELb0ELb1ELb0ELb1E19rocblas_complex_numIdEPKS1_PKS3_PKPS1_EviT7_lllT6_T8_lllPii,"axG",@progbits,_ZL19rocblas_trsv_deviceILi32ELi16ELb0ELb1ELb0ELb1E19rocblas_complex_numIdEPKS1_PKS3_PKPS1_EviT7_lllT6_T8_lllPii,comdat
	.globl	_ZL19rocblas_trsv_deviceILi32ELi16ELb0ELb1ELb0ELb1E19rocblas_complex_numIdEPKS1_PKS3_PKPS1_EviT7_lllT6_T8_lllPii ; -- Begin function _ZL19rocblas_trsv_deviceILi32ELi16ELb0ELb1ELb0ELb1E19rocblas_complex_numIdEPKS1_PKS3_PKPS1_EviT7_lllT6_T8_lllPii
	.p2align	8
	.type	_ZL19rocblas_trsv_deviceILi32ELi16ELb0ELb1ELb0ELb1E19rocblas_complex_numIdEPKS1_PKS3_PKPS1_EviT7_lllT6_T8_lllPii,@function
_ZL19rocblas_trsv_deviceILi32ELi16ELb0ELb1ELb0ELb1E19rocblas_complex_numIdEPKS1_PKS3_PKPS1_EviT7_lllT6_T8_lllPii: ; @_ZL19rocblas_trsv_deviceILi32ELi16ELb0ELb1ELb0ELb1E19rocblas_complex_numIdEPKS1_PKS3_PKPS1_EviT7_lllT6_T8_lllPii
; %bb.0:
	s_load_b32 s56, s[0:1], 0x58
	s_bfe_u32 s2, ttmp6, 0x40014
	s_lshr_b32 s3, ttmp7, 16
	s_add_co_i32 s2, s2, 1
	s_bfe_u32 s5, ttmp6, 0x40008
	s_mul_i32 s4, s3, s2
	s_getreg_b32 s2, hwreg(HW_REG_IB_STS2, 6, 4)
	s_add_co_i32 s5, s5, s4
	s_cmp_eq_u32 s2, 0
	s_mov_b32 s35, 0
	s_cselect_b32 s34, s3, s5
	s_wait_kmcnt 0x0
	s_cmp_ge_u32 s34, s56
	s_cbranch_scc1 .LBB170_542
; %bb.1:
	s_clause 0x3
	s_load_b32 s3, s[0:1], 0x6c
	s_load_b32 s57, s[0:1], 0x0
	s_load_b64 s[14:15], s[0:1], 0x18
	s_load_b256 s[36:43], s[0:1], 0x28
	s_bfe_u32 s5, ttmp6, 0x4000c
	s_and_b32 s4, ttmp6, 15
	s_add_co_i32 s5, s5, 1
	s_clause 0x1
	s_load_b64 s[52:53], s[0:1], 0x50
	s_load_b128 s[44:47], s[0:1], 0x8
	s_wait_xcnt 0x0
	s_mul_i32 s0, ttmp9, s5
	v_and_b32_e32 v22, 0x3ff, v0
	s_add_co_i32 s4, s4, s0
	s_cmp_eq_u32 s2, 0
	v_mov_b32_e32 v1, 0
	s_cselect_b32 s58, ttmp9, s4
	v_bfe_u32 v20, v0, 10, 10
	v_lshlrev_b32_e32 v3, 5, v22
                                        ; implicit-def: $vgpr210 : SGPR spill to VGPR lane
	v_cmp_gt_u32_e64 s5, 2, v22
	v_dual_mov_b32 v25, v1 :: v_dual_lshlrev_b32 v40, 4, v22
	s_wait_kmcnt 0x0
	s_and_b32 s0, s3, 0xffff
	s_add_co_i32 s1, s57, -1
	s_ashr_i32 s2, s57, 31
	s_ashr_i32 s3, s1, 31
	s_lshr_b32 s2, s2, 27
	s_lshr_b32 s3, s3, 27
	s_add_co_i32 s2, s57, s2
	s_add_co_i32 s1, s1, s3
	s_and_not1_b32 s2, s2, 31
	s_ashr_i32 s1, s1, 5
	s_sub_co_i32 s13, s57, s2
	s_cmp_eq_u32 s1, s58
	v_add_nc_u32_e32 v2, 16, v20
	s_cselect_b32 s1, -1, 0
	s_cmp_lg_u32 s13, 0
	v_sub_co_u32 v23, s3, s58, 1
	s_cselect_b32 s2, -1, 0
	v_lshl_add_u32 v6, v20, 5, v22
	s_and_b32 s27, s2, s1
	s_lshl_b32 s16, s58, 5
	s_delay_alu instid0(SALU_CYCLE_1)
	v_dual_add_nc_u32 v7, v20, v3 :: v_dual_add_nc_u32 v8, s16, v20
	s_xor_b32 s59, s3, -1
	s_xor_b32 s60, s27, -1
	s_cmp_lt_i32 s58, 5
	v_dual_add_nc_u32 v4, s16, v22 :: v_dual_add_nc_u32 v3, v2, v3
	v_lshl_add_u32 v9, v2, 5, v22
	s_cselect_b32 vcc_lo, -1, 0
	v_dual_cndmask_b32 v7, v6, v7 :: v_dual_lshrrev_b32 v10, 1, v6
	s_or_b32 vcc_lo, vcc_lo, s27
	s_delay_alu instid0(VALU_DEP_2) | instid1(SALU_CYCLE_1)
	v_dual_cndmask_b32 v9, v9, v3, vcc_lo :: v_dual_bitop2_b32 v11, 1, v0 bitop3:0x40
	v_lshrrev_b32_e32 v3, 10, v0
	s_add_nc_u64 s[2:3], s[14:15], 1
	s_ashr_i32 s17, s16, 31
	v_cmp_gt_u32_e64 s1, 4, v6
	s_mul_u64 s[18:19], s[2:3], s[16:17]
	v_bitop3_b32 v12, v0, v3, 0x3ff bitop3:0xa8
	v_dual_lshlrev_b32 v3, 9, v10 :: v_dual_lshlrev_b32 v47, 4, v11
	v_lshlrev_b32_e32 v49, 4, v22
	v_cmp_eq_u32_e64 s3, 1, v11
	v_cmp_eq_u32_e64 s4, 0, v11
	s_delay_alu instid0(VALU_DEP_4)
	v_dual_sub_nc_u32 v48, 0, v3 :: v_dual_sub_nc_u32 v50, v47, v3
	v_dual_lshrrev_b32 v3, 2, v6 :: v_dual_bitop2_b32 v11, 3, v0 bitop3:0x40
	s_and_b32 s63, s4, s1
	v_cmp_gt_u32_e64 s4, 16, v6
	s_and_b32 s62, s3, s1
	v_lshlrev_b32_e32 v13, 9, v3
	v_cmp_eq_u32_e64 s7, 3, v11
	v_lshl_add_u32 v54, v3, 4, 0x4000
	v_cmp_ne_u32_e64 s8, 3, v11
	v_dual_lshrrev_b32 v3, 3, v6 :: v_dual_lshlrev_b32 v55, 4, v11
	v_sub_nc_u32_e32 v56, 0, v13
	s_and_b32 s65, s7, s4
	v_cmp_gt_u32_e64 s7, 2, v11
	v_cmp_eq_u32_e64 s3, 0, v20
	v_cmp_eq_u32_e64 s9, 2, v11
	;; [unrolled: 1-line block ×3, first 2 shown]
	s_and_b32 s66, s8, s4
	v_cmp_eq_u32_e64 s8, 0, v11
	s_and_b32 s68, s7, s4
	v_cmp_gt_u32_e64 s7, 4, v22
	v_dual_sub_nc_u32 v57, v55, v13 :: v_dual_bitop2_b32 v11, 7, v0 bitop3:0x40
	s_and_b32 s70, s8, s4
	s_and_b32 s67, s9, s4
	;; [unrolled: 1-line block ×3, first 2 shown]
	v_cmp_gt_u32_e64 s7, 64, v6
	v_cmp_eq_u32_e64 s8, 7, v11
	v_cmp_ne_u32_e64 s9, 7, v11
	s_and_b32 s69, s10, s4
	v_lshlrev_b32_e32 v13, 9, v3
	v_lshl_add_u32 v58, v3, 4, 0x4000
	s_and_b32 s72, s8, s7
	v_cmp_eq_u32_e64 s8, 5, v11
	s_and_b32 s73, s9, s7
	v_cmp_gt_u32_e64 s9, 5, v11
	v_cmp_eq_u32_e64 s10, 6, v11
	v_lshlrev_b32_e32 v3, 5, v6
	s_and_b32 s76, s8, s7
	v_cmp_eq_u32_e64 s8, 4, v11
	v_dual_lshlrev_b32 v59, 4, v11 :: v_dual_sub_nc_u32 v60, 0, v13
	s_and_b32 s77, s9, s7
	v_cmp_gt_u32_e64 s9, 3, v11
	s_and_b32 s78, s8, s7
	v_cmp_eq_u32_e64 s8, 2, v11
	s_and_b32 s74, s10, s7
	v_cmp_gt_u32_e64 s10, 4, v11
	s_and_b32 s81, s9, s7
	v_cmp_gt_u32_e64 s9, 2, v11
	;; [unrolled: 2-line block ×3, first 2 shown]
	v_dual_sub_nc_u32 v61, v59, v13 :: v_dual_bitop2_b32 v0, 15, v0 bitop3:0x40
	v_cmp_gt_u32_e64 s11, 6, v11
	s_and_b32 s79, s10, s7
	v_cmp_eq_u32_e64 s10, 1, v11
	s_and_b32 s83, s9, s7
	s_and_b32 s86, s3, s8
	v_cmp_gt_u32_e64 s8, 0x100, v6
	v_cmp_eq_u32_e64 s9, 15, v0
	s_and_b32 s75, s11, s7
	v_cmp_eq_u32_e64 s11, 3, v11
	s_and_b32 s84, s10, s7
	v_cmp_ne_u32_e64 s10, 15, v0
	s_and_b32 s9, s9, s8
	v_cmp_eq_u32_e64 s12, 13, v0
	v_writelane_b32 v210, s9, 0
	s_and_b32 s80, s11, s7
	v_cmp_eq_u32_e64 s11, 0, v11
	v_cmp_eq_u32_e64 s9, 14, v0
	s_and_b32 s10, s10, s8
	v_lshl_add_u32 v46, v10, 4, 0x4000
	v_writelane_b32 v210, s10, 1
	s_and_b32 s85, s11, s7
	v_cmp_gt_u32_e64 s11, 14, v0
	s_and_b32 s9, s9, s8
	v_cmp_gt_u32_e64 s10, 13, v0
	v_writelane_b32 v210, s9, 2
	v_mad_u32_u24 v10, 0x1f0, v22, v49
	s_and_b32 s9, s11, s8
	v_cmp_eq_u32_e64 s11, 11, v0
	s_and_b32 s10, s10, s8
	v_writelane_b32 v210, s9, 3
	s_and_b32 s9, s12, s8
	v_cmp_gt_u32_e64 s12, 11, v0
	v_mad_i32_i24 v53, 0xfffffe10, v22, v10
	v_dual_lshlrev_b32 v71, 4, v0 :: v_dual_bitop2_b32 v11, -16, v6 bitop3:0x40
	v_writelane_b32 v210, s9, 4
	v_cmp_eq_u32_e64 s9, 12, v0
	v_and_b32_e32 v3, 0xfffffe00, v3
	v_mad_u32_u24 v24, v20, s0, v22
	v_subrev_nc_u32_e32 v26, 32, v8
	v_writelane_b32 v210, s10, 5
	v_cmp_gt_u32_e64 s10, 12, v0
	s_and_b32 s9, s9, s8
	v_dual_sub_nc_u32 v72, 0, v3 :: v_dual_sub_nc_u32 v73, v71, v3
	v_writelane_b32 v210, s9, 6
	s_and_b32 s10, s10, s8
	v_cmp_eq_u32_e64 s9, 10, v0
	v_dual_ashrrev_i32 v5, 31, v4 :: v_dual_ashrrev_i32 v27, 31, v26
	v_writelane_b32 v210, s10, 7
	s_and_b32 s10, s11, s8
	s_and_b32 s9, s9, s8
	v_cmp_gt_u32_e64 s11, 9, v0
	s_xor_b32 s61, vcc_lo, -1
	v_writelane_b32 v210, s10, 8
	s_and_b32 s10, s12, s8
	v_cmp_eq_u32_e64 s12, 8, v0
	s_and_b32 s100, s11, s8
	v_cmp_eq_u32_e64 s11, 6, v0
	v_writelane_b32 v210, s10, 9
	v_cmp_gt_u32_e64 s10, 10, v0
	s_and_b32 s101, s12, s8
	v_cmp_gt_u32_e64 s12, 6, v0
	s_and_b32 vcc_hi, s11, s8
	v_writelane_b32 v210, s9, 10
	v_cmp_eq_u32_e64 s9, 9, v0
	s_and_b32 s98, s10, s8
	v_cmp_gt_u32_e64 s10, 8, v0
	s_and_b32 s20, s12, s8
	v_cmp_gt_u32_e64 s11, 4, v0
	s_and_b32 s99, s9, s8
	v_cmp_eq_u32_e64 s9, 7, v0
	s_and_b32 s102, s10, s8
	v_cmp_gt_u32_e64 s10, 7, v0
	v_cmp_eq_u32_e64 s12, 3, v0
	s_and_b32 s24, s11, s8
	s_and_b32 s103, s9, s8
	v_cmp_eq_u32_e64 s9, 5, v0
	s_and_b32 s104, s10, s8
	v_cmp_gt_u32_e64 s10, 5, v0
	s_and_b32 s25, s12, s8
	v_cmp_eq_u32_e64 s11, 1, v0
	s_and_b32 s21, s9, s8
	v_cmp_eq_u32_e64 s9, 4, v0
	s_and_b32 s22, s10, s8
	v_cmp_gt_u32_e64 s10, 3, v0
	v_cmp_eq_u32_e64 s12, 0, v0
	s_and_b32 s89, s11, s8
	s_and_b32 s23, s9, s8
	v_cmp_eq_u32_e64 s9, 2, v0
	s_and_b32 s26, s10, s8
	v_cmp_gt_u32_e64 s10, 2, v0
	v_add_nc_u32_e32 v0, -16, v8
	v_cmp_gt_i32_e32 vcc_lo, s13, v22
	s_and_b32 s87, s9, s8
	v_cmp_gt_u32_e64 s9, 16, v22
	s_and_b32 s88, s10, s8
	v_cmp_gt_i32_e64 s11, s57, v0
	v_mad_u32_u24 v0, 0x1f0, v22, v53
	v_cmp_le_i32_e64 s10, s13, v22
	s_and_b32 s91, s3, s9
	s_and_b32 s64, s3, s5
	;; [unrolled: 1-line block ×3, first 2 shown]
	v_mad_i32_i24 v104, 0xfffffe10, v22, v0
	s_and_b32 s92, s10, s27
	v_add_nc_u32_e32 v100, 0x3980, v0
	v_add_nc_u32_e32 v101, 0x39b0, v0
	;; [unrolled: 1-line block ×3, first 2 shown]
	v_mad_u32_u24 v3, 0x1f0, v22, v104
	v_add_nc_u32_e32 v103, 0x3990, v0
	v_add_nc_u32_e32 v105, 0x2d40, v0
	;; [unrolled: 1-line block ×4, first 2 shown]
	v_mad_i32_i24 v115, 0xfffffe10, v22, v3
	v_add_nc_u32_e32 v108, 0x18b0, v0
	v_add_nc_u32_e32 v109, 0x18a0, v0
	;; [unrolled: 1-line block ×5, first 2 shown]
	s_xor_b32 s9, s92, -1
	v_add_nc_u32_e32 v113, 0x3580, v3
	v_add_nc_u32_e32 v114, 0x3590, v3
	;; [unrolled: 1-line block ×12, first 2 shown]
	v_mad_u32_u24 v0, 0x1f0, v22, v115
	v_dual_lshlrev_b32 v3, 4, v20 :: v_dual_lshlrev_b32 v136, 4, v7
	s_and_b32 s93, s3, s9
	s_cmp_gt_i32 s58, 0
	v_cmp_gt_i32_e64 s0, s57, v4
	v_mul_u64_e32 v[28:29], s[14:15], v[4:5]
	v_mul_u64_e32 v[30:31], s[42:43], v[4:5]
	s_cselect_b32 s94, -1, 0
	v_add_nc_u32_e32 v126, 0x2500, v0
	v_add_nc_u32_e32 v127, 0x2510, v0
	v_mad_i32_i24 v8, 0xfffffe10, v22, v0
	v_add_nc_u32_e32 v128, 0x400, v0
	v_add_nc_u32_e32 v129, 0x410, v0
	v_dual_add_nc_u32 v130, v0, v3 :: v_dual_add_nc_u32 v0, s16, v24
	v_add_nc_u64_e32 v[4:5], s[16:17], v[24:25]
	s_and_b32 s16, s3, vcc_lo
	s_lshl_b64 s[54:55], s[18:19], 4
	v_writelane_b32 v210, s16, 11
	v_cmp_gt_u32_e64 s18, 0xf0, v6
	v_add_nc_u32_e32 v52, 0x3dd0, v10
	v_dual_mov_b32 v21, v1 :: v_dual_add_nc_u32 v62, 0x3100, v10
	v_add_nc_u32_e32 v131, 0x6000, v3
	s_delay_alu instid0(VALU_DEP_4)
	v_writelane_b32 v210, s18, 12
	v_cmp_gt_u32_e64 s18, 0xe0, v6
	v_mov_b32_e32 v3, v1
	v_mul_u64_e32 v[32:33], s[42:43], v[4:5]
	v_mul_u64_e32 v[36:37], s[42:43], v[0:1]
	;; [unrolled: 1-line block ×3, first 2 shown]
	v_writelane_b32 v210, s18, 13
	v_cmp_gt_u32_e64 s18, 0xd0, v6
	v_mul_u64_e32 v[34:35], s[14:15], v[2:3]
	v_cmp_le_i32_e64 s12, s13, v20
	v_cmp_le_i32_e64 s13, s13, v2
	v_cmp_ge_u32_e64 s9, v22, v20
	v_writelane_b32 v210, s18, 14
	v_cmp_gt_u32_e64 s18, 0xc0, v6
	s_or_b32 s27, s12, s10
	s_or_b32 s13, s13, s10
	v_cmp_gt_i32_e64 s12, s57, v26
	v_cmp_ge_u32_e64 s10, v22, v2
	v_writelane_b32 v210, s18, 15
	v_cmp_gt_u32_e64 s18, 0xb0, v6
	v_dual_lshlrev_b32 v137, 4, v9 :: v_dual_bitop2_b32 v7, v2, v22 bitop3:0x54
	v_cmp_gt_u32_e64 s2, 2, v6
	v_add_nc_u32_e32 v51, 0x3dc0, v10
	s_delay_alu instid0(VALU_DEP_4)
	v_writelane_b32 v210, s18, 16
	v_cmp_gt_u32_e64 s18, 0xa0, v6
	v_cmp_gt_u32_e64 s5, 12, v6
	;; [unrolled: 1-line block ×3, first 2 shown]
	v_add_nc_u32_e32 v63, 0x3110, v10
	v_add_nc_u32_e32 v64, 0x3120, v10
	v_writelane_b32 v210, s18, 17
	v_cmp_gt_u32_e64 s18, 0x90, v6
	v_add_nc_u32_e32 v65, 0x3130, v10
	v_add_nc_u32_e32 v66, 0x3140, v10
	v_add_nc_u32_e32 v67, 0x3150, v10
	v_add_nc_u32_e32 v68, 0x3160, v10
	v_writelane_b32 v210, s18, 18
	v_cmp_gt_u32_e64 s18, 0x80, v6
	v_add_nc_u32_e32 v69, 0x3170, v10
	v_add_nc_u32_e32 v70, 0x4000, v11
	;; [unrolled: 6-line block ×4, first 2 shown]
	v_add_nc_u32_e32 v82, 0x2080, v10
	v_add_nc_u32_e32 v83, 0x2090, v10
	;; [unrolled: 1-line block ×22, first 2 shown]
	v_lshl_add_u32 v135, v20, 9, v8
	s_and_b32 s16, s12, s0
	s_and_b32 s17, s11, s0
	s_or_b32 s95, s27, s9
	s_or_b32 s96, s13, s10
	v_add_nc_u32_e32 v138, 0x39e0, v53
	v_add_nc_u32_e32 v139, 0x3be0, v53
	;; [unrolled: 1-line block ×56, first 2 shown]
	v_dual_add_nc_u32 v194, 64, v104 :: v_dual_add_nc_u32 v200, v131, v49
	v_add_nc_u32_e32 v195, 0x640, v104
	v_add_nc_u32_e32 v196, 0x440, v104
	;; [unrolled: 1-line block ×3, first 2 shown]
	v_lshl_add_u32 v197, v24, 4, 0x6000
	v_lshl_add_u32 v198, v6, 4, 0x4000
	v_add_nc_u32_e32 v199, 0x4000, v49
	v_cmp_gt_u32_e64 s11, 56, v6
	v_cmp_gt_u32_e64 s12, 48, v6
	;; [unrolled: 1-line block ×5, first 2 shown]
	v_writelane_b32 v210, s18, 21
	v_cmp_gt_u32_e64 s18, 0x50, v6
	v_cmp_eq_u32_e64 s27, 0, v12
	v_cmp_gt_u32_e64 s28, 32, v12
	v_cmp_gt_u32_e64 s29, 32, v7
	v_cmp_eq_u32_e64 s30, 0, v24
	v_cmp_gt_u32_e64 s31, 32, v24
	s_lshl_b64 s[46:47], s[46:47], 4
	s_lshl_b64 s[40:41], s[40:41], 4
	s_mov_b32 s49, 0x3ff00000
                                        ; implicit-def: $vgpr4_vgpr5
                                        ; implicit-def: $vgpr8_vgpr9
	v_writelane_b32 v210, s18, 22
	s_branch .LBB170_3
.LBB170_2:                              ;   in Loop: Header=BB170_3 Depth=1
	s_wait_xcnt 0x0
	s_or_b32 exec_lo, exec_lo, s19
	s_add_co_i32 s34, s34, 0x10000
	global_wb scope:SCOPE_DEV
	s_wait_storecnt 0x0
	global_inv scope:SCOPE_DEV
	s_cmp_lt_u32 s34, s56
	s_cbranch_scc0 .LBB170_542
.LBB170_3:                              ; =>This Loop Header: Depth=1
                                        ;     Child Loop BB170_453 Depth 2
                                        ;       Child Loop BB170_455 Depth 3
                                        ;     Child Loop BB170_486 Depth 2
	v_mov_b32_e32 v0, s34
	s_and_not1_b32 vcc_lo, exec_lo, s59
	s_clause 0x1
	global_load_b64 v[2:3], v0, s[44:45] scale_offset
	global_load_b64 v[44:45], v0, s[38:39] scale_offset
	global_load_b128 v[12:15], v1, s[36:37]
	s_wait_loadcnt 0x2
	v_add_nc_u64_e32 v[2:3], s[46:47], v[2:3]
	s_delay_alu instid0(VALU_DEP_1)
	v_lshl_add_u64 v[42:43], v[28:29], 4, v[2:3]
	s_cbranch_vccnz .LBB170_9
; %bb.4:                                ;   in Loop: Header=BB170_3 Depth=1
	v_mov_b64_e32 v[10:11], 0
	v_mov_b64_e32 v[4:5], 0
	;; [unrolled: 1-line block ×3, first 2 shown]
	v_lshl_add_u64 v[16:17], v[26:27], 4, v[42:43]
	s_wait_loadcnt 0x0
	s_barrier_signal -1
	s_barrier_wait -1
	s_wait_xcnt 0x0
	s_and_saveexec_b32 s19, s16
	s_cbranch_execz .LBB170_6
; %bb.5:                                ;   in Loop: Header=BB170_3 Depth=1
	flat_load_b128 v[4:7], v[16:17]
.LBB170_6:                              ;   in Loop: Header=BB170_3 Depth=1
	s_wait_xcnt 0x0
	s_or_b32 exec_lo, exec_lo, s19
	v_mov_b64_e32 v[8:9], 0
	s_wait_loadcnt_dscnt 0x0
	s_barrier_signal -1
	s_barrier_wait -1
	s_and_saveexec_b32 s19, s17
	s_cbranch_execz .LBB170_8
; %bb.7:                                ;   in Loop: Header=BB170_3 Depth=1
	flat_load_b128 v[8:11], v[16:17] offset:256
.LBB170_8:                              ;   in Loop: Header=BB170_3 Depth=1
	s_wait_xcnt 0x0
	s_or_b32 exec_lo, exec_lo, s19
.LBB170_9:                              ;   in Loop: Header=BB170_3 Depth=1
	v_add_nc_u64_e32 v[2:3], s[54:55], v[2:3]
	v_mov_b32_e32 v41, v1
	s_and_not1_b32 vcc_lo, exec_lo, s60
	s_mov_b32 s19, -1
	s_delay_alu instid0(VALU_DEP_1)
	v_add_nc_u64_e32 v[16:17], v[2:3], v[40:41]
	s_cbranch_vccnz .LBB170_16
; %bb.10:                               ;   in Loop: Header=BB170_3 Depth=1
	s_wait_xcnt 0x0
	s_and_saveexec_b32 s19, s9
	s_delay_alu instid0(SALU_CYCLE_1)
	s_xor_b32 s19, exec_lo, s19
	s_cbranch_execnz .LBB170_499
; %bb.11:                               ;   in Loop: Header=BB170_3 Depth=1
	s_and_not1_saveexec_b32 s19, s19
	s_cbranch_execnz .LBB170_502
.LBB170_12:                             ;   in Loop: Header=BB170_3 Depth=1
	s_or_b32 exec_lo, exec_lo, s19
	s_and_saveexec_b32 s19, s10
	s_delay_alu instid0(SALU_CYCLE_1)
	s_xor_b32 s19, exec_lo, s19
	s_cbranch_execnz .LBB170_503
.LBB170_13:                             ;   in Loop: Header=BB170_3 Depth=1
	s_and_not1_saveexec_b32 s19, s19
	s_cbranch_execz .LBB170_15
.LBB170_14:                             ;   in Loop: Header=BB170_3 Depth=1
	v_lshl_add_u64 v[2:3], v[34:35], 4, v[16:17]
	flat_load_b128 v[202:205], v[2:3]
	s_wait_loadcnt_dscnt 0x0
	v_xor_b32_e32 v203, 0x80000000, v203
	v_xor_b32_e32 v205, 0x80000000, v205
	ds_store_b128 v137, v[202:205]
.LBB170_15:                             ;   in Loop: Header=BB170_3 Depth=1
	s_or_b32 exec_lo, exec_lo, s19
	s_mov_b32 s19, 0
.LBB170_16:                             ;   in Loop: Header=BB170_3 Depth=1
	s_delay_alu instid0(SALU_CYCLE_1)
	s_and_b32 vcc_lo, exec_lo, s19
	s_cbranch_vccz .LBB170_23
; %bb.17:                               ;   in Loop: Header=BB170_3 Depth=1
	s_wait_xcnt 0x0
	s_and_saveexec_b32 s19, s95
	s_delay_alu instid0(SALU_CYCLE_1)
	s_xor_b32 s19, exec_lo, s19
	s_cbranch_execnz .LBB170_506
; %bb.18:                               ;   in Loop: Header=BB170_3 Depth=1
	s_and_not1_saveexec_b32 s19, s19
	s_cbranch_execnz .LBB170_509
.LBB170_19:                             ;   in Loop: Header=BB170_3 Depth=1
	s_or_b32 exec_lo, exec_lo, s19
	s_and_saveexec_b32 s19, s96
	s_delay_alu instid0(SALU_CYCLE_1)
	s_xor_b32 s19, exec_lo, s19
	s_cbranch_execnz .LBB170_510
.LBB170_20:                             ;   in Loop: Header=BB170_3 Depth=1
	s_and_not1_saveexec_b32 s19, s19
	s_cbranch_execz .LBB170_22
.LBB170_21:                             ;   in Loop: Header=BB170_3 Depth=1
	v_lshl_add_u64 v[2:3], v[34:35], 4, v[16:17]
	flat_load_b128 v[16:19], v[2:3]
	s_wait_loadcnt_dscnt 0x0
	v_xor_b32_e32 v17, 0x80000000, v17
	v_xor_b32_e32 v19, 0x80000000, v19
	ds_store_b128 v137, v[16:19]
.LBB170_22:                             ;   in Loop: Header=BB170_3 Depth=1
	s_or_b32 exec_lo, exec_lo, s19
.LBB170_23:                             ;   in Loop: Header=BB170_3 Depth=1
	s_delay_alu instid0(SALU_CYCLE_1)
	s_and_not1_b32 vcc_lo, exec_lo, s61
	s_wait_loadcnt_dscnt 0x0
	s_barrier_signal -1
	s_barrier_wait -1
	s_cbranch_vccnz .LBB170_447
; %bb.24:                               ;   in Loop: Header=BB170_3 Depth=1
	s_wait_xcnt 0x0
	s_and_saveexec_b32 s33, s27
	s_cbranch_execz .LBB170_26
; %bb.25:                               ;   in Loop: Header=BB170_3 Depth=1
	s_mov_b32 s48, s35
	s_mov_b32 s50, s35
	s_mov_b32 s51, s35
	v_mov_b64_e32 v[16:17], s[48:49]
	v_mov_b64_e32 v[18:19], s[50:51]
	ds_store_b128 v1, v[16:19] offset:15840
	ds_store_b128 v1, v[16:19] offset:16368
	ds_load_b128 v[16:19], v1 offset:16352
	s_wait_dscnt 0x0
	ds_store_b128 v1, v[16:19] offset:15856
.LBB170_26:                             ;   in Loop: Header=BB170_3 Depth=1
	s_or_b32 exec_lo, exec_lo, s33
	v_mov_b64_e32 v[16:17], 0
	v_mov_b64_e32 v[18:19], 0
	s_wait_dscnt 0x0
	s_barrier_signal -1
	s_barrier_wait -1
	global_wb scope:SCOPE_DEV
	s_wait_storecnt 0x0
	global_inv scope:SCOPE_DEV
	s_and_saveexec_b32 s33, s1
	s_cbranch_execz .LBB170_30
; %bb.27:                               ;   in Loop: Header=BB170_3 Depth=1
	ds_load_b128 v[16:19], v48 offset:16352
	ds_load_b128 v[202:205], v47 offset:15808
	s_wait_dscnt 0x0
	v_mul_f64_e32 v[2:3], v[18:19], v[204:205]
	v_mul_f64_e32 v[204:205], v[16:17], v[204:205]
	s_delay_alu instid0(VALU_DEP_2) | instskip(NEXT) | instid1(VALU_DEP_2)
	v_fma_f64 v[2:3], v[16:17], v[202:203], -v[2:3]
	v_fmac_f64_e32 v[204:205], v[18:19], v[202:203]
	s_delay_alu instid0(VALU_DEP_2) | instskip(NEXT) | instid1(VALU_DEP_2)
	v_add_f64_e32 v[16:17], 0, v[2:3]
	v_add_f64_e32 v[18:19], 0, v[204:205]
	s_and_saveexec_b32 s19, s2
	s_cbranch_execz .LBB170_29
; %bb.28:                               ;   in Loop: Header=BB170_3 Depth=1
	ds_load_b128 v[202:205], v1 offset:16368
	ds_load_b128 v[206:209], v49 offset:16320
	s_wait_dscnt 0x0
	v_mul_f64_e32 v[2:3], v[204:205], v[208:209]
	s_delay_alu instid0(VALU_DEP_1) | instskip(SKIP_1) | instid1(VALU_DEP_2)
	v_fma_f64 v[2:3], v[202:203], v[206:207], -v[2:3]
	v_mul_f64_e32 v[202:203], v[202:203], v[208:209]
	v_add_f64_e32 v[16:17], v[16:17], v[2:3]
	s_delay_alu instid0(VALU_DEP_2) | instskip(NEXT) | instid1(VALU_DEP_1)
	v_fmac_f64_e32 v[202:203], v[204:205], v[206:207]
	v_add_f64_e32 v[18:19], v[18:19], v[202:203]
.LBB170_29:                             ;   in Loop: Header=BB170_3 Depth=1
	s_or_b32 exec_lo, exec_lo, s19
.LBB170_30:                             ;   in Loop: Header=BB170_3 Depth=1
	s_delay_alu instid0(SALU_CYCLE_1)
	s_or_b32 exec_lo, exec_lo, s33
	s_and_saveexec_b32 s19, s62
	s_cbranch_execz .LBB170_32
; %bb.31:                               ;   in Loop: Header=BB170_3 Depth=1
	s_delay_alu instid0(VALU_DEP_2) | instskip(NEXT) | instid1(VALU_DEP_2)
	v_xor_b32_e32 v203, 0x80000000, v17
	v_xor_b32_e32 v205, 0x80000000, v19
	s_delay_alu instid0(VALU_DEP_3)
	v_dual_mov_b32 v202, v16 :: v_dual_mov_b32 v204, v18
	ds_store_b128 v46, v[202:205]
.LBB170_32:                             ;   in Loop: Header=BB170_3 Depth=1
	s_or_b32 exec_lo, exec_lo, s19
	s_wait_loadcnt_dscnt 0x0
	s_barrier_signal -1
	s_barrier_wait -1
	s_and_saveexec_b32 s19, s63
	s_cbranch_execz .LBB170_34
; %bb.33:                               ;   in Loop: Header=BB170_3 Depth=1
	ds_load_b128 v[202:205], v46
	ds_load_b128 v[206:209], v1 offset:15296
	s_wait_dscnt 0x0
	v_mul_f64_e32 v[2:3], v[202:203], v[206:207]
	v_mul_f64_e32 v[202:203], v[202:203], v[208:209]
	s_delay_alu instid0(VALU_DEP_2) | instskip(NEXT) | instid1(VALU_DEP_2)
	v_fma_f64 v[2:3], v[204:205], v[208:209], -v[2:3]
	v_fmac_f64_e32 v[202:203], v[204:205], v[206:207]
	s_delay_alu instid0(VALU_DEP_2) | instskip(NEXT) | instid1(VALU_DEP_2)
	v_add_f64_e32 v[16:17], v[16:17], v[2:3]
	v_add_f64_e64 v[18:19], v[18:19], -v[202:203]
.LBB170_34:                             ;   in Loop: Header=BB170_3 Depth=1
	s_or_b32 exec_lo, exec_lo, s19
	s_barrier_signal -1
	s_barrier_wait -1
	s_and_saveexec_b32 s19, s63
	s_cbranch_execz .LBB170_36
; %bb.35:                               ;   in Loop: Header=BB170_3 Depth=1
	s_delay_alu instid0(VALU_DEP_2) | instskip(NEXT) | instid1(VALU_DEP_2)
	v_xor_b32_e32 v203, 0x80000000, v17
	v_xor_b32_e32 v205, 0x80000000, v19
	s_delay_alu instid0(VALU_DEP_3)
	v_dual_mov_b32 v202, v16 :: v_dual_mov_b32 v204, v18
	ds_store_b128 v46, v[202:205]
.LBB170_36:                             ;   in Loop: Header=BB170_3 Depth=1
	s_or_b32 exec_lo, exec_lo, s19
	s_wait_dscnt 0x0
	s_barrier_signal -1
	s_barrier_wait -1
	s_barrier_signal -1
	s_barrier_wait -1
	s_and_saveexec_b32 s19, s1
; %bb.37:                               ;   in Loop: Header=BB170_3 Depth=1
	ds_store_b128 v50, v[16:19] offset:16320
; %bb.38:                               ;   in Loop: Header=BB170_3 Depth=1
	s_or_b32 exec_lo, exec_lo, s19
	s_wait_dscnt 0x0
	s_barrier_signal -1
	s_barrier_wait -1
	s_barrier_signal -1
	s_barrier_wait -1
	s_and_saveexec_b32 s19, s64
	s_cbranch_execz .LBB170_40
; %bb.39:                               ;   in Loop: Header=BB170_3 Depth=1
	ds_load_b128 v[16:19], v51
	s_wait_dscnt 0x0
	ds_store_b128 v138, v[16:19]
	ds_load_b128 v[16:19], v52
	s_wait_dscnt 0x0
	ds_store_b128 v139, v[16:19]
.LBB170_40:                             ;   in Loop: Header=BB170_3 Depth=1
	s_or_b32 exec_lo, exec_lo, s19
	s_wait_dscnt 0x0
	s_barrier_signal -1
	s_barrier_wait -1
	s_and_saveexec_b32 s33, s27
	s_cbranch_execz .LBB170_42
; %bb.41:                               ;   in Loop: Header=BB170_3 Depth=1
	s_mov_b32 s48, s35
	s_mov_b32 s50, s35
	;; [unrolled: 1-line block ×3, first 2 shown]
	v_mov_b64_e32 v[16:17], s[48:49]
	v_mov_b64_e32 v[18:19], s[50:51]
	ds_store_b128 v1, v[16:19] offset:14784
	ds_store_b128 v1, v[16:19] offset:15312
	ds_load_b128 v[16:19], v1 offset:15296
	s_wait_dscnt 0x0
	ds_store_b128 v1, v[16:19] offset:14800
.LBB170_42:                             ;   in Loop: Header=BB170_3 Depth=1
	s_or_b32 exec_lo, exec_lo, s33
	v_mov_b64_e32 v[18:19], 0
	v_mov_b64_e32 v[16:17], 0
	s_wait_dscnt 0x0
	s_barrier_signal -1
	s_barrier_wait -1
	global_wb scope:SCOPE_DEV
	s_wait_storecnt 0x0
	global_inv scope:SCOPE_DEV
	s_and_saveexec_b32 s33, s4
	s_cbranch_execz .LBB170_48
; %bb.43:                               ;   in Loop: Header=BB170_3 Depth=1
	ds_load_b128 v[16:19], v56 offset:16320
	ds_load_b128 v[202:205], v55 offset:14720
	s_wait_dscnt 0x0
	v_mul_f64_e32 v[2:3], v[18:19], v[204:205]
	v_mul_f64_e32 v[204:205], v[16:17], v[204:205]
	s_delay_alu instid0(VALU_DEP_2) | instskip(NEXT) | instid1(VALU_DEP_2)
	v_fma_f64 v[2:3], v[16:17], v[202:203], -v[2:3]
	v_fmac_f64_e32 v[204:205], v[18:19], v[202:203]
	s_delay_alu instid0(VALU_DEP_2) | instskip(NEXT) | instid1(VALU_DEP_2)
	v_add_f64_e32 v[16:17], 0, v[2:3]
	v_add_f64_e32 v[18:19], 0, v[204:205]
	s_and_saveexec_b32 s19, s5
	s_cbranch_execnz .LBB170_518
; %bb.44:                               ;   in Loop: Header=BB170_3 Depth=1
	s_or_b32 exec_lo, exec_lo, s19
	s_and_saveexec_b32 s19, s6
	s_cbranch_execnz .LBB170_519
.LBB170_45:                             ;   in Loop: Header=BB170_3 Depth=1
	s_or_b32 exec_lo, exec_lo, s19
	s_and_saveexec_b32 s19, s1
	s_cbranch_execz .LBB170_47
.LBB170_46:                             ;   in Loop: Header=BB170_3 Depth=1
	ds_load_b128 v[202:205], v1 offset:16368
	ds_load_b128 v[206:209], v53 offset:16256
	s_wait_dscnt 0x0
	v_mul_f64_e32 v[2:3], v[204:205], v[208:209]
	s_delay_alu instid0(VALU_DEP_1) | instskip(SKIP_1) | instid1(VALU_DEP_2)
	v_fma_f64 v[2:3], v[202:203], v[206:207], -v[2:3]
	v_mul_f64_e32 v[202:203], v[202:203], v[208:209]
	v_add_f64_e32 v[16:17], v[16:17], v[2:3]
	s_delay_alu instid0(VALU_DEP_2) | instskip(NEXT) | instid1(VALU_DEP_1)
	v_fmac_f64_e32 v[202:203], v[204:205], v[206:207]
	v_add_f64_e32 v[18:19], v[18:19], v[202:203]
.LBB170_47:                             ;   in Loop: Header=BB170_3 Depth=1
	s_or_b32 exec_lo, exec_lo, s19
.LBB170_48:                             ;   in Loop: Header=BB170_3 Depth=1
	s_delay_alu instid0(SALU_CYCLE_1)
	s_or_b32 exec_lo, exec_lo, s33
	s_and_saveexec_b32 s19, s65
	s_cbranch_execz .LBB170_50
; %bb.49:                               ;   in Loop: Header=BB170_3 Depth=1
	s_delay_alu instid0(VALU_DEP_1) | instskip(NEXT) | instid1(VALU_DEP_3)
	v_xor_b32_e32 v205, 0x80000000, v19
	v_xor_b32_e32 v203, 0x80000000, v17
	s_delay_alu instid0(VALU_DEP_3)
	v_dual_mov_b32 v202, v16 :: v_dual_mov_b32 v204, v18
	ds_store_b128 v54, v[202:205]
.LBB170_50:                             ;   in Loop: Header=BB170_3 Depth=1
	s_or_b32 exec_lo, exec_lo, s19
	s_wait_loadcnt_dscnt 0x0
	s_barrier_signal -1
	s_barrier_wait -1
	s_and_saveexec_b32 s19, s66
	s_cbranch_execz .LBB170_52
; %bb.51:                               ;   in Loop: Header=BB170_3 Depth=1
	ds_load_b128 v[202:205], v54
	ds_load_b128 v[206:209], v55 offset:14208
	s_wait_dscnt 0x0
	v_mul_f64_e32 v[2:3], v[204:205], v[208:209]
	s_delay_alu instid0(VALU_DEP_1) | instskip(SKIP_1) | instid1(VALU_DEP_2)
	v_fma_f64 v[2:3], v[202:203], v[206:207], -v[2:3]
	v_mul_f64_e32 v[202:203], v[202:203], v[208:209]
	v_add_f64_e64 v[16:17], v[16:17], -v[2:3]
	s_delay_alu instid0(VALU_DEP_2) | instskip(NEXT) | instid1(VALU_DEP_1)
	v_fmac_f64_e32 v[202:203], v[204:205], v[206:207]
	v_add_f64_e64 v[18:19], v[18:19], -v[202:203]
.LBB170_52:                             ;   in Loop: Header=BB170_3 Depth=1
	s_or_b32 exec_lo, exec_lo, s19
	s_barrier_signal -1
	s_barrier_wait -1
	s_and_saveexec_b32 s19, s67
	s_cbranch_execz .LBB170_54
; %bb.53:                               ;   in Loop: Header=BB170_3 Depth=1
	s_delay_alu instid0(VALU_DEP_1) | instskip(NEXT) | instid1(VALU_DEP_3)
	v_xor_b32_e32 v205, 0x80000000, v19
	v_xor_b32_e32 v203, 0x80000000, v17
	s_delay_alu instid0(VALU_DEP_3)
	v_dual_mov_b32 v202, v16 :: v_dual_mov_b32 v204, v18
	ds_store_b128 v54, v[202:205]
.LBB170_54:                             ;   in Loop: Header=BB170_3 Depth=1
	s_or_b32 exec_lo, exec_lo, s19
	s_wait_dscnt 0x0
	s_barrier_signal -1
	s_barrier_wait -1
	s_and_saveexec_b32 s19, s68
	s_cbranch_execz .LBB170_56
; %bb.55:                               ;   in Loop: Header=BB170_3 Depth=1
	ds_load_b128 v[202:205], v54
	ds_load_b128 v[206:209], v55 offset:13696
	s_wait_dscnt 0x0
	v_mul_f64_e32 v[2:3], v[204:205], v[208:209]
	s_delay_alu instid0(VALU_DEP_1) | instskip(SKIP_1) | instid1(VALU_DEP_2)
	v_fma_f64 v[2:3], v[202:203], v[206:207], -v[2:3]
	v_mul_f64_e32 v[202:203], v[202:203], v[208:209]
	v_add_f64_e64 v[16:17], v[16:17], -v[2:3]
	s_delay_alu instid0(VALU_DEP_2) | instskip(NEXT) | instid1(VALU_DEP_1)
	v_fmac_f64_e32 v[202:203], v[204:205], v[206:207]
	v_add_f64_e64 v[18:19], v[18:19], -v[202:203]
.LBB170_56:                             ;   in Loop: Header=BB170_3 Depth=1
	s_or_b32 exec_lo, exec_lo, s19
	s_barrier_signal -1
	s_barrier_wait -1
	s_and_saveexec_b32 s19, s69
	s_cbranch_execz .LBB170_58
; %bb.57:                               ;   in Loop: Header=BB170_3 Depth=1
	s_delay_alu instid0(VALU_DEP_1) | instskip(NEXT) | instid1(VALU_DEP_3)
	v_xor_b32_e32 v205, 0x80000000, v19
	v_xor_b32_e32 v203, 0x80000000, v17
	s_delay_alu instid0(VALU_DEP_3)
	v_dual_mov_b32 v202, v16 :: v_dual_mov_b32 v204, v18
	ds_store_b128 v54, v[202:205]
.LBB170_58:                             ;   in Loop: Header=BB170_3 Depth=1
	s_or_b32 exec_lo, exec_lo, s19
	s_wait_dscnt 0x0
	;; [unrolled: 32-line block ×3, first 2 shown]
	s_barrier_signal -1
	s_barrier_wait -1
	s_barrier_signal -1
	s_barrier_wait -1
	s_and_saveexec_b32 s19, s4
; %bb.63:                               ;   in Loop: Header=BB170_3 Depth=1
	ds_store_b128 v57, v[16:19] offset:16256
; %bb.64:                               ;   in Loop: Header=BB170_3 Depth=1
	s_or_b32 exec_lo, exec_lo, s19
	s_wait_dscnt 0x0
	s_barrier_signal -1
	s_barrier_wait -1
	s_barrier_signal -1
	s_barrier_wait -1
	s_and_saveexec_b32 s19, s71
	s_cbranch_execz .LBB170_66
; %bb.65:                               ;   in Loop: Header=BB170_3 Depth=1
	ds_load_b128 v[16:19], v100
	s_wait_dscnt 0x0
	ds_store_b128 v140, v[16:19]
	ds_load_b128 v[16:19], v103
	s_wait_dscnt 0x0
	ds_store_b128 v143, v[16:19]
	;; [unrolled: 3-line block ×4, first 2 shown]
.LBB170_66:                             ;   in Loop: Header=BB170_3 Depth=1
	s_or_b32 exec_lo, exec_lo, s19
	s_wait_dscnt 0x0
	s_barrier_signal -1
	s_barrier_wait -1
	s_and_saveexec_b32 s33, s27
	s_cbranch_execz .LBB170_68
; %bb.67:                               ;   in Loop: Header=BB170_3 Depth=1
	s_mov_b32 s48, s35
	s_mov_b32 s50, s35
	;; [unrolled: 1-line block ×3, first 2 shown]
	v_mov_b64_e32 v[16:17], s[48:49]
	v_mov_b64_e32 v[18:19], s[50:51]
	ds_store_b128 v1, v[16:19] offset:13728
	ds_store_b128 v1, v[16:19] offset:14256
	ds_load_b128 v[16:19], v1 offset:14240
	s_wait_dscnt 0x0
	ds_store_b128 v1, v[16:19] offset:13744
.LBB170_68:                             ;   in Loop: Header=BB170_3 Depth=1
	s_or_b32 exec_lo, exec_lo, s33
	v_mov_b64_e32 v[16:17], 0
	v_mov_b64_e32 v[18:19], 0
	s_wait_dscnt 0x0
	s_barrier_signal -1
	s_barrier_wait -1
	global_wb scope:SCOPE_DEV
	s_wait_storecnt 0x0
	global_inv scope:SCOPE_DEV
	s_and_saveexec_b32 s33, s1
	s_cbranch_execz .LBB170_72
; %bb.69:                               ;   in Loop: Header=BB170_3 Depth=1
	ds_load_b128 v[16:19], v48 offset:14240
	ds_load_b128 v[202:205], v47 offset:13696
	s_wait_dscnt 0x0
	v_mul_f64_e32 v[2:3], v[18:19], v[204:205]
	v_mul_f64_e32 v[204:205], v[16:17], v[204:205]
	s_delay_alu instid0(VALU_DEP_2) | instskip(NEXT) | instid1(VALU_DEP_2)
	v_fma_f64 v[2:3], v[16:17], v[202:203], -v[2:3]
	v_fmac_f64_e32 v[204:205], v[18:19], v[202:203]
	s_delay_alu instid0(VALU_DEP_2) | instskip(NEXT) | instid1(VALU_DEP_2)
	v_add_f64_e32 v[16:17], 0, v[2:3]
	v_add_f64_e32 v[18:19], 0, v[204:205]
	s_and_saveexec_b32 s19, s2
	s_cbranch_execz .LBB170_71
; %bb.70:                               ;   in Loop: Header=BB170_3 Depth=1
	ds_load_b128 v[202:205], v1 offset:14256
	ds_load_b128 v[206:209], v104 offset:14208
	s_wait_dscnt 0x0
	v_mul_f64_e32 v[2:3], v[204:205], v[208:209]
	s_delay_alu instid0(VALU_DEP_1) | instskip(SKIP_1) | instid1(VALU_DEP_2)
	v_fma_f64 v[2:3], v[202:203], v[206:207], -v[2:3]
	v_mul_f64_e32 v[202:203], v[202:203], v[208:209]
	v_add_f64_e32 v[16:17], v[16:17], v[2:3]
	s_delay_alu instid0(VALU_DEP_2) | instskip(NEXT) | instid1(VALU_DEP_1)
	v_fmac_f64_e32 v[202:203], v[204:205], v[206:207]
	v_add_f64_e32 v[18:19], v[18:19], v[202:203]
.LBB170_71:                             ;   in Loop: Header=BB170_3 Depth=1
	s_or_b32 exec_lo, exec_lo, s19
.LBB170_72:                             ;   in Loop: Header=BB170_3 Depth=1
	s_delay_alu instid0(SALU_CYCLE_1)
	s_or_b32 exec_lo, exec_lo, s33
	s_and_saveexec_b32 s19, s62
	s_cbranch_execz .LBB170_74
; %bb.73:                               ;   in Loop: Header=BB170_3 Depth=1
	s_delay_alu instid0(VALU_DEP_2) | instskip(NEXT) | instid1(VALU_DEP_2)
	v_xor_b32_e32 v203, 0x80000000, v17
	v_xor_b32_e32 v205, 0x80000000, v19
	s_delay_alu instid0(VALU_DEP_3)
	v_dual_mov_b32 v202, v16 :: v_dual_mov_b32 v204, v18
	ds_store_b128 v46, v[202:205]
.LBB170_74:                             ;   in Loop: Header=BB170_3 Depth=1
	s_or_b32 exec_lo, exec_lo, s19
	s_wait_loadcnt_dscnt 0x0
	s_barrier_signal -1
	s_barrier_wait -1
	s_and_saveexec_b32 s19, s63
	s_cbranch_execz .LBB170_76
; %bb.75:                               ;   in Loop: Header=BB170_3 Depth=1
	ds_load_b128 v[202:205], v46
	ds_load_b128 v[206:209], v1 offset:13184
	s_wait_dscnt 0x0
	v_mul_f64_e32 v[2:3], v[202:203], v[206:207]
	v_mul_f64_e32 v[202:203], v[202:203], v[208:209]
	s_delay_alu instid0(VALU_DEP_2) | instskip(NEXT) | instid1(VALU_DEP_2)
	v_fma_f64 v[2:3], v[204:205], v[208:209], -v[2:3]
	v_fmac_f64_e32 v[202:203], v[204:205], v[206:207]
	s_delay_alu instid0(VALU_DEP_2) | instskip(NEXT) | instid1(VALU_DEP_2)
	v_add_f64_e32 v[16:17], v[16:17], v[2:3]
	v_add_f64_e64 v[18:19], v[18:19], -v[202:203]
.LBB170_76:                             ;   in Loop: Header=BB170_3 Depth=1
	s_or_b32 exec_lo, exec_lo, s19
	s_barrier_signal -1
	s_barrier_wait -1
	s_and_saveexec_b32 s19, s63
	s_cbranch_execz .LBB170_78
; %bb.77:                               ;   in Loop: Header=BB170_3 Depth=1
	s_delay_alu instid0(VALU_DEP_2) | instskip(NEXT) | instid1(VALU_DEP_2)
	v_xor_b32_e32 v203, 0x80000000, v17
	v_xor_b32_e32 v205, 0x80000000, v19
	s_delay_alu instid0(VALU_DEP_3)
	v_dual_mov_b32 v202, v16 :: v_dual_mov_b32 v204, v18
	ds_store_b128 v46, v[202:205]
.LBB170_78:                             ;   in Loop: Header=BB170_3 Depth=1
	s_or_b32 exec_lo, exec_lo, s19
	s_wait_dscnt 0x0
	s_barrier_signal -1
	s_barrier_wait -1
	s_barrier_signal -1
	s_barrier_wait -1
	s_and_saveexec_b32 s19, s1
; %bb.79:                               ;   in Loop: Header=BB170_3 Depth=1
	ds_store_b128 v50, v[16:19] offset:14208
; %bb.80:                               ;   in Loop: Header=BB170_3 Depth=1
	s_or_b32 exec_lo, exec_lo, s19
	s_wait_dscnt 0x0
	s_barrier_signal -1
	s_barrier_wait -1
	s_barrier_signal -1
	s_barrier_wait -1
	s_and_saveexec_b32 s19, s64
	s_cbranch_execz .LBB170_82
; %bb.81:                               ;   in Loop: Header=BB170_3 Depth=1
	ds_load_b128 v[16:19], v113
	s_wait_dscnt 0x0
	ds_store_b128 v144, v[16:19]
	ds_load_b128 v[16:19], v114
	s_wait_dscnt 0x0
	ds_store_b128 v145, v[16:19]
.LBB170_82:                             ;   in Loop: Header=BB170_3 Depth=1
	s_or_b32 exec_lo, exec_lo, s19
	s_wait_dscnt 0x0
	s_barrier_signal -1
	s_barrier_wait -1
	s_and_saveexec_b32 s33, s27
	s_cbranch_execz .LBB170_84
; %bb.83:                               ;   in Loop: Header=BB170_3 Depth=1
	s_mov_b32 s48, s35
	s_mov_b32 s50, s35
	;; [unrolled: 1-line block ×3, first 2 shown]
	v_mov_b64_e32 v[16:17], s[48:49]
	v_mov_b64_e32 v[18:19], s[50:51]
	ds_store_b128 v1, v[16:19] offset:12672
	ds_store_b128 v1, v[16:19] offset:13200
	ds_load_b128 v[16:19], v1 offset:13184
	s_wait_dscnt 0x0
	ds_store_b128 v1, v[16:19] offset:12688
.LBB170_84:                             ;   in Loop: Header=BB170_3 Depth=1
	s_or_b32 exec_lo, exec_lo, s33
	v_mov_b64_e32 v[18:19], 0
	v_mov_b64_e32 v[16:17], 0
	s_wait_dscnt 0x0
	s_barrier_signal -1
	s_barrier_wait -1
	global_wb scope:SCOPE_DEV
	s_wait_storecnt 0x0
	global_inv scope:SCOPE_DEV
	s_and_saveexec_b32 s33, s7
	s_cbranch_execz .LBB170_94
; %bb.85:                               ;   in Loop: Header=BB170_3 Depth=1
	ds_load_b128 v[16:19], v60 offset:16256
	ds_load_b128 v[202:205], v59 offset:12544
	s_wait_dscnt 0x0
	v_mul_f64_e32 v[2:3], v[18:19], v[204:205]
	v_mul_f64_e32 v[204:205], v[16:17], v[204:205]
	s_delay_alu instid0(VALU_DEP_2) | instskip(NEXT) | instid1(VALU_DEP_2)
	v_fma_f64 v[2:3], v[16:17], v[202:203], -v[2:3]
	v_fmac_f64_e32 v[204:205], v[18:19], v[202:203]
	s_delay_alu instid0(VALU_DEP_2) | instskip(NEXT) | instid1(VALU_DEP_2)
	v_add_f64_e32 v[16:17], 0, v[2:3]
	v_add_f64_e32 v[18:19], 0, v[204:205]
	s_and_saveexec_b32 s19, s11
	s_cbranch_execnz .LBB170_520
; %bb.86:                               ;   in Loop: Header=BB170_3 Depth=1
	s_or_b32 exec_lo, exec_lo, s19
	s_and_saveexec_b32 s19, s12
	s_cbranch_execnz .LBB170_521
.LBB170_87:                             ;   in Loop: Header=BB170_3 Depth=1
	s_or_b32 exec_lo, exec_lo, s19
	s_and_saveexec_b32 s19, s13
	s_cbranch_execnz .LBB170_522
.LBB170_88:                             ;   in Loop: Header=BB170_3 Depth=1
	s_or_b32 exec_lo, exec_lo, s19
	s_and_saveexec_b32 s19, s14
	s_cbranch_execnz .LBB170_523
.LBB170_89:                             ;   in Loop: Header=BB170_3 Depth=1
	s_or_b32 exec_lo, exec_lo, s19
	s_and_saveexec_b32 s19, s15
	s_cbranch_execnz .LBB170_524
.LBB170_90:                             ;   in Loop: Header=BB170_3 Depth=1
	s_or_b32 exec_lo, exec_lo, s19
	s_and_saveexec_b32 s19, s4
	s_cbranch_execnz .LBB170_525
.LBB170_91:                             ;   in Loop: Header=BB170_3 Depth=1
	s_or_b32 exec_lo, exec_lo, s19
	s_and_saveexec_b32 s19, s6
	s_cbranch_execz .LBB170_93
.LBB170_92:                             ;   in Loop: Header=BB170_3 Depth=1
	ds_load_b128 v[202:205], v1 offset:16368
	ds_load_b128 v[206:209], v49 offset:16128
	s_wait_dscnt 0x0
	v_mul_f64_e32 v[2:3], v[204:205], v[208:209]
	s_delay_alu instid0(VALU_DEP_1) | instskip(SKIP_1) | instid1(VALU_DEP_2)
	v_fma_f64 v[2:3], v[202:203], v[206:207], -v[2:3]
	v_mul_f64_e32 v[202:203], v[202:203], v[208:209]
	v_add_f64_e32 v[16:17], v[16:17], v[2:3]
	s_delay_alu instid0(VALU_DEP_2) | instskip(NEXT) | instid1(VALU_DEP_1)
	v_fmac_f64_e32 v[202:203], v[204:205], v[206:207]
	v_add_f64_e32 v[18:19], v[18:19], v[202:203]
.LBB170_93:                             ;   in Loop: Header=BB170_3 Depth=1
	s_or_b32 exec_lo, exec_lo, s19
.LBB170_94:                             ;   in Loop: Header=BB170_3 Depth=1
	s_delay_alu instid0(SALU_CYCLE_1)
	s_or_b32 exec_lo, exec_lo, s33
	s_and_saveexec_b32 s19, s72
	s_cbranch_execz .LBB170_96
; %bb.95:                               ;   in Loop: Header=BB170_3 Depth=1
	s_delay_alu instid0(VALU_DEP_2) | instskip(NEXT) | instid1(VALU_DEP_2)
	v_xor_b32_e32 v203, 0x80000000, v17
	v_xor_b32_e32 v205, 0x80000000, v19
	s_delay_alu instid0(VALU_DEP_3)
	v_dual_mov_b32 v202, v16 :: v_dual_mov_b32 v204, v18
	ds_store_b128 v58, v[202:205]
.LBB170_96:                             ;   in Loop: Header=BB170_3 Depth=1
	s_or_b32 exec_lo, exec_lo, s19
	s_wait_loadcnt_dscnt 0x0
	s_barrier_signal -1
	s_barrier_wait -1
	s_and_saveexec_b32 s19, s73
	s_cbranch_execz .LBB170_98
; %bb.97:                               ;   in Loop: Header=BB170_3 Depth=1
	ds_load_b128 v[202:205], v58
	ds_load_b128 v[206:209], v59 offset:12032
	s_wait_dscnt 0x0
	v_mul_f64_e32 v[2:3], v[204:205], v[208:209]
	s_delay_alu instid0(VALU_DEP_1) | instskip(SKIP_1) | instid1(VALU_DEP_2)
	v_fma_f64 v[2:3], v[202:203], v[206:207], -v[2:3]
	v_mul_f64_e32 v[202:203], v[202:203], v[208:209]
	v_add_f64_e64 v[16:17], v[16:17], -v[2:3]
	s_delay_alu instid0(VALU_DEP_2) | instskip(NEXT) | instid1(VALU_DEP_1)
	v_fmac_f64_e32 v[202:203], v[204:205], v[206:207]
	v_add_f64_e64 v[18:19], v[18:19], -v[202:203]
.LBB170_98:                             ;   in Loop: Header=BB170_3 Depth=1
	s_or_b32 exec_lo, exec_lo, s19
	s_barrier_signal -1
	s_barrier_wait -1
	s_and_saveexec_b32 s19, s74
	s_cbranch_execz .LBB170_100
; %bb.99:                               ;   in Loop: Header=BB170_3 Depth=1
	s_delay_alu instid0(VALU_DEP_2) | instskip(NEXT) | instid1(VALU_DEP_2)
	v_xor_b32_e32 v203, 0x80000000, v17
	v_xor_b32_e32 v205, 0x80000000, v19
	s_delay_alu instid0(VALU_DEP_3)
	v_dual_mov_b32 v202, v16 :: v_dual_mov_b32 v204, v18
	ds_store_b128 v58, v[202:205]
.LBB170_100:                            ;   in Loop: Header=BB170_3 Depth=1
	s_or_b32 exec_lo, exec_lo, s19
	s_wait_dscnt 0x0
	s_barrier_signal -1
	s_barrier_wait -1
	s_and_saveexec_b32 s19, s75
	s_cbranch_execz .LBB170_102
; %bb.101:                              ;   in Loop: Header=BB170_3 Depth=1
	ds_load_b128 v[202:205], v58
	ds_load_b128 v[206:209], v59 offset:11520
	s_wait_dscnt 0x0
	v_mul_f64_e32 v[2:3], v[204:205], v[208:209]
	s_delay_alu instid0(VALU_DEP_1) | instskip(SKIP_1) | instid1(VALU_DEP_2)
	v_fma_f64 v[2:3], v[202:203], v[206:207], -v[2:3]
	v_mul_f64_e32 v[202:203], v[202:203], v[208:209]
	v_add_f64_e64 v[16:17], v[16:17], -v[2:3]
	s_delay_alu instid0(VALU_DEP_2) | instskip(NEXT) | instid1(VALU_DEP_1)
	v_fmac_f64_e32 v[202:203], v[204:205], v[206:207]
	v_add_f64_e64 v[18:19], v[18:19], -v[202:203]
.LBB170_102:                            ;   in Loop: Header=BB170_3 Depth=1
	s_or_b32 exec_lo, exec_lo, s19
	s_barrier_signal -1
	s_barrier_wait -1
	s_and_saveexec_b32 s19, s76
	s_cbranch_execz .LBB170_104
; %bb.103:                              ;   in Loop: Header=BB170_3 Depth=1
	s_delay_alu instid0(VALU_DEP_2) | instskip(NEXT) | instid1(VALU_DEP_2)
	v_xor_b32_e32 v203, 0x80000000, v17
	v_xor_b32_e32 v205, 0x80000000, v19
	s_delay_alu instid0(VALU_DEP_3)
	v_dual_mov_b32 v202, v16 :: v_dual_mov_b32 v204, v18
	ds_store_b128 v58, v[202:205]
.LBB170_104:                            ;   in Loop: Header=BB170_3 Depth=1
	s_or_b32 exec_lo, exec_lo, s19
	s_wait_dscnt 0x0
	s_barrier_signal -1
	s_barrier_wait -1
	s_and_saveexec_b32 s19, s77
	s_cbranch_execz .LBB170_106
; %bb.105:                              ;   in Loop: Header=BB170_3 Depth=1
	ds_load_b128 v[202:205], v58
	ds_load_b128 v[206:209], v59 offset:11008
	s_wait_dscnt 0x0
	v_mul_f64_e32 v[2:3], v[204:205], v[208:209]
	s_delay_alu instid0(VALU_DEP_1) | instskip(SKIP_1) | instid1(VALU_DEP_2)
	v_fma_f64 v[2:3], v[202:203], v[206:207], -v[2:3]
	v_mul_f64_e32 v[202:203], v[202:203], v[208:209]
	v_add_f64_e64 v[16:17], v[16:17], -v[2:3]
	s_delay_alu instid0(VALU_DEP_2) | instskip(NEXT) | instid1(VALU_DEP_1)
	v_fmac_f64_e32 v[202:203], v[204:205], v[206:207]
	v_add_f64_e64 v[18:19], v[18:19], -v[202:203]
.LBB170_106:                            ;   in Loop: Header=BB170_3 Depth=1
	s_or_b32 exec_lo, exec_lo, s19
	s_barrier_signal -1
	s_barrier_wait -1
	s_and_saveexec_b32 s19, s78
	s_cbranch_execz .LBB170_108
; %bb.107:                              ;   in Loop: Header=BB170_3 Depth=1
	s_delay_alu instid0(VALU_DEP_2) | instskip(NEXT) | instid1(VALU_DEP_2)
	v_xor_b32_e32 v203, 0x80000000, v17
	v_xor_b32_e32 v205, 0x80000000, v19
	s_delay_alu instid0(VALU_DEP_3)
	v_dual_mov_b32 v202, v16 :: v_dual_mov_b32 v204, v18
	ds_store_b128 v58, v[202:205]
.LBB170_108:                            ;   in Loop: Header=BB170_3 Depth=1
	;; [unrolled: 32-line block ×6, first 2 shown]
	s_or_b32 exec_lo, exec_lo, s19
	s_wait_dscnt 0x0
	s_barrier_signal -1
	s_barrier_wait -1
	s_barrier_signal -1
	s_barrier_wait -1
	s_and_saveexec_b32 s19, s7
; %bb.125:                              ;   in Loop: Header=BB170_3 Depth=1
	ds_store_b128 v61, v[16:19] offset:16128
; %bb.126:                              ;   in Loop: Header=BB170_3 Depth=1
	s_or_b32 exec_lo, exec_lo, s19
	s_wait_dscnt 0x0
	s_barrier_signal -1
	s_barrier_wait -1
	s_barrier_signal -1
	s_barrier_wait -1
	s_and_saveexec_b32 s19, s86
	s_cbranch_execz .LBB170_128
; %bb.127:                              ;   in Loop: Header=BB170_3 Depth=1
	ds_load_b128 v[16:19], v62
	s_wait_dscnt 0x0
	ds_store_b128 v146, v[16:19]
	ds_load_b128 v[16:19], v63
	s_wait_dscnt 0x0
	ds_store_b128 v147, v[16:19]
	;; [unrolled: 3-line block ×8, first 2 shown]
.LBB170_128:                            ;   in Loop: Header=BB170_3 Depth=1
	s_or_b32 exec_lo, exec_lo, s19
	s_wait_dscnt 0x0
	s_barrier_signal -1
	s_barrier_wait -1
	s_and_saveexec_b32 s33, s27
	s_cbranch_execz .LBB170_130
; %bb.129:                              ;   in Loop: Header=BB170_3 Depth=1
	s_mov_b32 s48, s35
	s_mov_b32 s50, s35
	;; [unrolled: 1-line block ×3, first 2 shown]
	v_mov_b64_e32 v[16:17], s[48:49]
	v_mov_b64_e32 v[18:19], s[50:51]
	ds_store_b128 v1, v[16:19] offset:11616
	ds_store_b128 v1, v[16:19] offset:12144
	ds_load_b128 v[16:19], v1 offset:12128
	s_wait_dscnt 0x0
	ds_store_b128 v1, v[16:19] offset:11632
.LBB170_130:                            ;   in Loop: Header=BB170_3 Depth=1
	s_or_b32 exec_lo, exec_lo, s33
	v_mov_b64_e32 v[16:17], 0
	v_mov_b64_e32 v[18:19], 0
	s_wait_dscnt 0x0
	s_barrier_signal -1
	s_barrier_wait -1
	global_wb scope:SCOPE_DEV
	s_wait_storecnt 0x0
	global_inv scope:SCOPE_DEV
	s_and_saveexec_b32 s33, s1
	s_cbranch_execz .LBB170_134
; %bb.131:                              ;   in Loop: Header=BB170_3 Depth=1
	ds_load_b128 v[16:19], v48 offset:12128
	ds_load_b128 v[202:205], v47 offset:11584
	s_wait_dscnt 0x0
	v_mul_f64_e32 v[2:3], v[18:19], v[204:205]
	v_mul_f64_e32 v[204:205], v[16:17], v[204:205]
	s_delay_alu instid0(VALU_DEP_2) | instskip(NEXT) | instid1(VALU_DEP_2)
	v_fma_f64 v[2:3], v[16:17], v[202:203], -v[2:3]
	v_fmac_f64_e32 v[204:205], v[18:19], v[202:203]
	s_delay_alu instid0(VALU_DEP_2) | instskip(NEXT) | instid1(VALU_DEP_2)
	v_add_f64_e32 v[16:17], 0, v[2:3]
	v_add_f64_e32 v[18:19], 0, v[204:205]
	s_and_saveexec_b32 s19, s2
	s_cbranch_execz .LBB170_133
; %bb.132:                              ;   in Loop: Header=BB170_3 Depth=1
	ds_load_b128 v[202:205], v1 offset:12144
	ds_load_b128 v[206:209], v53 offset:12096
	s_wait_dscnt 0x0
	v_mul_f64_e32 v[2:3], v[204:205], v[208:209]
	s_delay_alu instid0(VALU_DEP_1) | instskip(SKIP_1) | instid1(VALU_DEP_2)
	v_fma_f64 v[2:3], v[202:203], v[206:207], -v[2:3]
	v_mul_f64_e32 v[202:203], v[202:203], v[208:209]
	v_add_f64_e32 v[16:17], v[16:17], v[2:3]
	s_delay_alu instid0(VALU_DEP_2) | instskip(NEXT) | instid1(VALU_DEP_1)
	v_fmac_f64_e32 v[202:203], v[204:205], v[206:207]
	v_add_f64_e32 v[18:19], v[18:19], v[202:203]
.LBB170_133:                            ;   in Loop: Header=BB170_3 Depth=1
	s_or_b32 exec_lo, exec_lo, s19
.LBB170_134:                            ;   in Loop: Header=BB170_3 Depth=1
	s_delay_alu instid0(SALU_CYCLE_1)
	s_or_b32 exec_lo, exec_lo, s33
	s_and_saveexec_b32 s19, s62
	s_cbranch_execz .LBB170_136
; %bb.135:                              ;   in Loop: Header=BB170_3 Depth=1
	s_delay_alu instid0(VALU_DEP_2) | instskip(NEXT) | instid1(VALU_DEP_2)
	v_xor_b32_e32 v203, 0x80000000, v17
	v_xor_b32_e32 v205, 0x80000000, v19
	s_delay_alu instid0(VALU_DEP_3)
	v_dual_mov_b32 v202, v16 :: v_dual_mov_b32 v204, v18
	ds_store_b128 v46, v[202:205]
.LBB170_136:                            ;   in Loop: Header=BB170_3 Depth=1
	s_or_b32 exec_lo, exec_lo, s19
	s_wait_loadcnt_dscnt 0x0
	s_barrier_signal -1
	s_barrier_wait -1
	s_and_saveexec_b32 s19, s63
	s_cbranch_execz .LBB170_138
; %bb.137:                              ;   in Loop: Header=BB170_3 Depth=1
	ds_load_b128 v[202:205], v46
	ds_load_b128 v[206:209], v1 offset:11072
	s_wait_dscnt 0x0
	v_mul_f64_e32 v[2:3], v[202:203], v[206:207]
	v_mul_f64_e32 v[202:203], v[202:203], v[208:209]
	s_delay_alu instid0(VALU_DEP_2) | instskip(NEXT) | instid1(VALU_DEP_2)
	v_fma_f64 v[2:3], v[204:205], v[208:209], -v[2:3]
	v_fmac_f64_e32 v[202:203], v[204:205], v[206:207]
	s_delay_alu instid0(VALU_DEP_2) | instskip(NEXT) | instid1(VALU_DEP_2)
	v_add_f64_e32 v[16:17], v[16:17], v[2:3]
	v_add_f64_e64 v[18:19], v[18:19], -v[202:203]
.LBB170_138:                            ;   in Loop: Header=BB170_3 Depth=1
	s_or_b32 exec_lo, exec_lo, s19
	s_barrier_signal -1
	s_barrier_wait -1
	s_and_saveexec_b32 s19, s63
	s_cbranch_execz .LBB170_140
; %bb.139:                              ;   in Loop: Header=BB170_3 Depth=1
	s_delay_alu instid0(VALU_DEP_2) | instskip(NEXT) | instid1(VALU_DEP_2)
	v_xor_b32_e32 v203, 0x80000000, v17
	v_xor_b32_e32 v205, 0x80000000, v19
	s_delay_alu instid0(VALU_DEP_3)
	v_dual_mov_b32 v202, v16 :: v_dual_mov_b32 v204, v18
	ds_store_b128 v46, v[202:205]
.LBB170_140:                            ;   in Loop: Header=BB170_3 Depth=1
	s_or_b32 exec_lo, exec_lo, s19
	s_wait_dscnt 0x0
	s_barrier_signal -1
	s_barrier_wait -1
	s_barrier_signal -1
	s_barrier_wait -1
	s_and_saveexec_b32 s19, s1
; %bb.141:                              ;   in Loop: Header=BB170_3 Depth=1
	ds_store_b128 v50, v[16:19] offset:12096
; %bb.142:                              ;   in Loop: Header=BB170_3 Depth=1
	s_or_b32 exec_lo, exec_lo, s19
	s_wait_dscnt 0x0
	s_barrier_signal -1
	s_barrier_wait -1
	s_barrier_signal -1
	s_barrier_wait -1
	s_and_saveexec_b32 s19, s64
	s_cbranch_execz .LBB170_144
; %bb.143:                              ;   in Loop: Header=BB170_3 Depth=1
	ds_load_b128 v[16:19], v105
	s_wait_dscnt 0x0
	ds_store_b128 v154, v[16:19]
	ds_load_b128 v[16:19], v106
	s_wait_dscnt 0x0
	ds_store_b128 v155, v[16:19]
.LBB170_144:                            ;   in Loop: Header=BB170_3 Depth=1
	s_or_b32 exec_lo, exec_lo, s19
	s_wait_dscnt 0x0
	s_barrier_signal -1
	s_barrier_wait -1
	s_and_saveexec_b32 s33, s27
	s_cbranch_execz .LBB170_146
; %bb.145:                              ;   in Loop: Header=BB170_3 Depth=1
	s_mov_b32 s48, s35
	s_mov_b32 s50, s35
	;; [unrolled: 1-line block ×3, first 2 shown]
	v_mov_b64_e32 v[16:17], s[48:49]
	v_mov_b64_e32 v[18:19], s[50:51]
	ds_store_b128 v1, v[16:19] offset:10560
	ds_store_b128 v1, v[16:19] offset:11088
	ds_load_b128 v[16:19], v1 offset:11072
	s_wait_dscnt 0x0
	ds_store_b128 v1, v[16:19] offset:10576
.LBB170_146:                            ;   in Loop: Header=BB170_3 Depth=1
	s_or_b32 exec_lo, exec_lo, s33
	v_mov_b64_e32 v[18:19], 0
	v_mov_b64_e32 v[16:17], 0
	s_wait_dscnt 0x0
	s_barrier_signal -1
	s_barrier_wait -1
	global_wb scope:SCOPE_DEV
	s_wait_storecnt 0x0
	global_inv scope:SCOPE_DEV
	s_and_saveexec_b32 s33, s4
	s_cbranch_execz .LBB170_152
; %bb.147:                              ;   in Loop: Header=BB170_3 Depth=1
	ds_load_b128 v[16:19], v56 offset:12096
	ds_load_b128 v[202:205], v55 offset:10496
	s_wait_dscnt 0x0
	v_mul_f64_e32 v[2:3], v[18:19], v[204:205]
	v_mul_f64_e32 v[204:205], v[16:17], v[204:205]
	s_delay_alu instid0(VALU_DEP_2) | instskip(NEXT) | instid1(VALU_DEP_2)
	v_fma_f64 v[2:3], v[16:17], v[202:203], -v[2:3]
	v_fmac_f64_e32 v[204:205], v[18:19], v[202:203]
	s_delay_alu instid0(VALU_DEP_2) | instskip(NEXT) | instid1(VALU_DEP_2)
	v_add_f64_e32 v[16:17], 0, v[2:3]
	v_add_f64_e32 v[18:19], 0, v[204:205]
	s_and_saveexec_b32 s19, s5
	s_cbranch_execnz .LBB170_526
; %bb.148:                              ;   in Loop: Header=BB170_3 Depth=1
	s_or_b32 exec_lo, exec_lo, s19
	s_and_saveexec_b32 s19, s6
	s_cbranch_execnz .LBB170_527
.LBB170_149:                            ;   in Loop: Header=BB170_3 Depth=1
	s_or_b32 exec_lo, exec_lo, s19
	s_and_saveexec_b32 s19, s1
	s_cbranch_execz .LBB170_151
.LBB170_150:                            ;   in Loop: Header=BB170_3 Depth=1
	ds_load_b128 v[202:205], v1 offset:12144
	ds_load_b128 v[206:209], v104 offset:12032
	s_wait_dscnt 0x0
	v_mul_f64_e32 v[2:3], v[204:205], v[208:209]
	s_delay_alu instid0(VALU_DEP_1) | instskip(SKIP_1) | instid1(VALU_DEP_2)
	v_fma_f64 v[2:3], v[202:203], v[206:207], -v[2:3]
	v_mul_f64_e32 v[202:203], v[202:203], v[208:209]
	v_add_f64_e32 v[16:17], v[16:17], v[2:3]
	s_delay_alu instid0(VALU_DEP_2) | instskip(NEXT) | instid1(VALU_DEP_1)
	v_fmac_f64_e32 v[202:203], v[204:205], v[206:207]
	v_add_f64_e32 v[18:19], v[18:19], v[202:203]
.LBB170_151:                            ;   in Loop: Header=BB170_3 Depth=1
	s_or_b32 exec_lo, exec_lo, s19
.LBB170_152:                            ;   in Loop: Header=BB170_3 Depth=1
	s_delay_alu instid0(SALU_CYCLE_1)
	s_or_b32 exec_lo, exec_lo, s33
	s_and_saveexec_b32 s19, s65
	s_cbranch_execz .LBB170_154
; %bb.153:                              ;   in Loop: Header=BB170_3 Depth=1
	s_delay_alu instid0(VALU_DEP_1) | instskip(NEXT) | instid1(VALU_DEP_3)
	v_xor_b32_e32 v205, 0x80000000, v19
	v_xor_b32_e32 v203, 0x80000000, v17
	s_delay_alu instid0(VALU_DEP_3)
	v_dual_mov_b32 v202, v16 :: v_dual_mov_b32 v204, v18
	ds_store_b128 v54, v[202:205]
.LBB170_154:                            ;   in Loop: Header=BB170_3 Depth=1
	s_or_b32 exec_lo, exec_lo, s19
	s_wait_loadcnt_dscnt 0x0
	s_barrier_signal -1
	s_barrier_wait -1
	s_and_saveexec_b32 s19, s66
	s_cbranch_execz .LBB170_156
; %bb.155:                              ;   in Loop: Header=BB170_3 Depth=1
	ds_load_b128 v[202:205], v54
	ds_load_b128 v[206:209], v55 offset:9984
	s_wait_dscnt 0x0
	v_mul_f64_e32 v[2:3], v[204:205], v[208:209]
	s_delay_alu instid0(VALU_DEP_1) | instskip(SKIP_1) | instid1(VALU_DEP_2)
	v_fma_f64 v[2:3], v[202:203], v[206:207], -v[2:3]
	v_mul_f64_e32 v[202:203], v[202:203], v[208:209]
	v_add_f64_e64 v[16:17], v[16:17], -v[2:3]
	s_delay_alu instid0(VALU_DEP_2) | instskip(NEXT) | instid1(VALU_DEP_1)
	v_fmac_f64_e32 v[202:203], v[204:205], v[206:207]
	v_add_f64_e64 v[18:19], v[18:19], -v[202:203]
.LBB170_156:                            ;   in Loop: Header=BB170_3 Depth=1
	s_or_b32 exec_lo, exec_lo, s19
	s_barrier_signal -1
	s_barrier_wait -1
	s_and_saveexec_b32 s19, s67
	s_cbranch_execz .LBB170_158
; %bb.157:                              ;   in Loop: Header=BB170_3 Depth=1
	s_delay_alu instid0(VALU_DEP_1) | instskip(NEXT) | instid1(VALU_DEP_3)
	v_xor_b32_e32 v205, 0x80000000, v19
	v_xor_b32_e32 v203, 0x80000000, v17
	s_delay_alu instid0(VALU_DEP_3)
	v_dual_mov_b32 v202, v16 :: v_dual_mov_b32 v204, v18
	ds_store_b128 v54, v[202:205]
.LBB170_158:                            ;   in Loop: Header=BB170_3 Depth=1
	s_or_b32 exec_lo, exec_lo, s19
	s_wait_dscnt 0x0
	s_barrier_signal -1
	s_barrier_wait -1
	s_and_saveexec_b32 s19, s68
	s_cbranch_execz .LBB170_160
; %bb.159:                              ;   in Loop: Header=BB170_3 Depth=1
	ds_load_b128 v[202:205], v54
	ds_load_b128 v[206:209], v55 offset:9472
	s_wait_dscnt 0x0
	v_mul_f64_e32 v[2:3], v[204:205], v[208:209]
	s_delay_alu instid0(VALU_DEP_1) | instskip(SKIP_1) | instid1(VALU_DEP_2)
	v_fma_f64 v[2:3], v[202:203], v[206:207], -v[2:3]
	v_mul_f64_e32 v[202:203], v[202:203], v[208:209]
	v_add_f64_e64 v[16:17], v[16:17], -v[2:3]
	s_delay_alu instid0(VALU_DEP_2) | instskip(NEXT) | instid1(VALU_DEP_1)
	v_fmac_f64_e32 v[202:203], v[204:205], v[206:207]
	v_add_f64_e64 v[18:19], v[18:19], -v[202:203]
.LBB170_160:                            ;   in Loop: Header=BB170_3 Depth=1
	s_or_b32 exec_lo, exec_lo, s19
	s_barrier_signal -1
	s_barrier_wait -1
	s_and_saveexec_b32 s19, s69
	s_cbranch_execz .LBB170_162
; %bb.161:                              ;   in Loop: Header=BB170_3 Depth=1
	s_delay_alu instid0(VALU_DEP_1) | instskip(NEXT) | instid1(VALU_DEP_3)
	v_xor_b32_e32 v205, 0x80000000, v19
	v_xor_b32_e32 v203, 0x80000000, v17
	s_delay_alu instid0(VALU_DEP_3)
	v_dual_mov_b32 v202, v16 :: v_dual_mov_b32 v204, v18
	ds_store_b128 v54, v[202:205]
.LBB170_162:                            ;   in Loop: Header=BB170_3 Depth=1
	s_or_b32 exec_lo, exec_lo, s19
	s_wait_dscnt 0x0
	;; [unrolled: 32-line block ×3, first 2 shown]
	s_barrier_signal -1
	s_barrier_wait -1
	s_barrier_signal -1
	s_barrier_wait -1
	s_and_saveexec_b32 s19, s4
; %bb.167:                              ;   in Loop: Header=BB170_3 Depth=1
	ds_store_b128 v57, v[16:19] offset:12032
; %bb.168:                              ;   in Loop: Header=BB170_3 Depth=1
	s_or_b32 exec_lo, exec_lo, s19
	s_wait_dscnt 0x0
	s_barrier_signal -1
	s_barrier_wait -1
	s_barrier_signal -1
	s_barrier_wait -1
	s_and_saveexec_b32 s19, s71
	s_cbranch_execz .LBB170_170
; %bb.169:                              ;   in Loop: Header=BB170_3 Depth=1
	ds_load_b128 v[16:19], v116
	s_wait_dscnt 0x0
	ds_store_b128 v156, v[16:19]
	ds_load_b128 v[16:19], v119
	s_wait_dscnt 0x0
	ds_store_b128 v159, v[16:19]
	;; [unrolled: 3-line block ×4, first 2 shown]
.LBB170_170:                            ;   in Loop: Header=BB170_3 Depth=1
	s_or_b32 exec_lo, exec_lo, s19
	s_wait_dscnt 0x0
	s_barrier_signal -1
	s_barrier_wait -1
	s_and_saveexec_b32 s33, s27
	s_cbranch_execz .LBB170_172
; %bb.171:                              ;   in Loop: Header=BB170_3 Depth=1
	s_mov_b32 s48, s35
	s_mov_b32 s50, s35
	;; [unrolled: 1-line block ×3, first 2 shown]
	v_mov_b64_e32 v[16:17], s[48:49]
	v_mov_b64_e32 v[18:19], s[50:51]
	ds_store_b128 v1, v[16:19] offset:9504
	ds_store_b128 v1, v[16:19] offset:10032
	ds_load_b128 v[16:19], v1 offset:10016
	s_wait_dscnt 0x0
	ds_store_b128 v1, v[16:19] offset:9520
.LBB170_172:                            ;   in Loop: Header=BB170_3 Depth=1
	s_or_b32 exec_lo, exec_lo, s33
	v_mov_b64_e32 v[16:17], 0
	v_mov_b64_e32 v[18:19], 0
	s_wait_dscnt 0x0
	s_barrier_signal -1
	s_barrier_wait -1
	global_wb scope:SCOPE_DEV
	s_wait_storecnt 0x0
	global_inv scope:SCOPE_DEV
	s_and_saveexec_b32 s33, s1
	s_cbranch_execz .LBB170_176
; %bb.173:                              ;   in Loop: Header=BB170_3 Depth=1
	ds_load_b128 v[16:19], v48 offset:10016
	ds_load_b128 v[202:205], v47 offset:9472
	s_wait_dscnt 0x0
	v_mul_f64_e32 v[2:3], v[18:19], v[204:205]
	v_mul_f64_e32 v[204:205], v[16:17], v[204:205]
	s_delay_alu instid0(VALU_DEP_2) | instskip(NEXT) | instid1(VALU_DEP_2)
	v_fma_f64 v[2:3], v[16:17], v[202:203], -v[2:3]
	v_fmac_f64_e32 v[204:205], v[18:19], v[202:203]
	s_delay_alu instid0(VALU_DEP_2) | instskip(NEXT) | instid1(VALU_DEP_2)
	v_add_f64_e32 v[16:17], 0, v[2:3]
	v_add_f64_e32 v[18:19], 0, v[204:205]
	s_and_saveexec_b32 s19, s2
	s_cbranch_execz .LBB170_175
; %bb.174:                              ;   in Loop: Header=BB170_3 Depth=1
	ds_load_b128 v[202:205], v1 offset:10032
	ds_load_b128 v[206:209], v115 offset:9984
	s_wait_dscnt 0x0
	v_mul_f64_e32 v[2:3], v[204:205], v[208:209]
	s_delay_alu instid0(VALU_DEP_1) | instskip(SKIP_1) | instid1(VALU_DEP_2)
	v_fma_f64 v[2:3], v[202:203], v[206:207], -v[2:3]
	v_mul_f64_e32 v[202:203], v[202:203], v[208:209]
	v_add_f64_e32 v[16:17], v[16:17], v[2:3]
	s_delay_alu instid0(VALU_DEP_2) | instskip(NEXT) | instid1(VALU_DEP_1)
	v_fmac_f64_e32 v[202:203], v[204:205], v[206:207]
	v_add_f64_e32 v[18:19], v[18:19], v[202:203]
.LBB170_175:                            ;   in Loop: Header=BB170_3 Depth=1
	s_or_b32 exec_lo, exec_lo, s19
.LBB170_176:                            ;   in Loop: Header=BB170_3 Depth=1
	s_delay_alu instid0(SALU_CYCLE_1)
	s_or_b32 exec_lo, exec_lo, s33
	s_and_saveexec_b32 s19, s62
	s_cbranch_execz .LBB170_178
; %bb.177:                              ;   in Loop: Header=BB170_3 Depth=1
	s_delay_alu instid0(VALU_DEP_2) | instskip(NEXT) | instid1(VALU_DEP_2)
	v_xor_b32_e32 v203, 0x80000000, v17
	v_xor_b32_e32 v205, 0x80000000, v19
	s_delay_alu instid0(VALU_DEP_3)
	v_dual_mov_b32 v202, v16 :: v_dual_mov_b32 v204, v18
	ds_store_b128 v46, v[202:205]
.LBB170_178:                            ;   in Loop: Header=BB170_3 Depth=1
	s_or_b32 exec_lo, exec_lo, s19
	s_wait_loadcnt_dscnt 0x0
	s_barrier_signal -1
	s_barrier_wait -1
	s_and_saveexec_b32 s19, s63
	s_cbranch_execz .LBB170_180
; %bb.179:                              ;   in Loop: Header=BB170_3 Depth=1
	ds_load_b128 v[202:205], v46
	ds_load_b128 v[206:209], v1 offset:8960
	s_wait_dscnt 0x0
	v_mul_f64_e32 v[2:3], v[202:203], v[206:207]
	v_mul_f64_e32 v[202:203], v[202:203], v[208:209]
	s_delay_alu instid0(VALU_DEP_2) | instskip(NEXT) | instid1(VALU_DEP_2)
	v_fma_f64 v[2:3], v[204:205], v[208:209], -v[2:3]
	v_fmac_f64_e32 v[202:203], v[204:205], v[206:207]
	s_delay_alu instid0(VALU_DEP_2) | instskip(NEXT) | instid1(VALU_DEP_2)
	v_add_f64_e32 v[16:17], v[16:17], v[2:3]
	v_add_f64_e64 v[18:19], v[18:19], -v[202:203]
.LBB170_180:                            ;   in Loop: Header=BB170_3 Depth=1
	s_or_b32 exec_lo, exec_lo, s19
	s_barrier_signal -1
	s_barrier_wait -1
	s_and_saveexec_b32 s19, s63
	s_cbranch_execz .LBB170_182
; %bb.181:                              ;   in Loop: Header=BB170_3 Depth=1
	s_delay_alu instid0(VALU_DEP_2) | instskip(NEXT) | instid1(VALU_DEP_2)
	v_xor_b32_e32 v203, 0x80000000, v17
	v_xor_b32_e32 v205, 0x80000000, v19
	s_delay_alu instid0(VALU_DEP_3)
	v_dual_mov_b32 v202, v16 :: v_dual_mov_b32 v204, v18
	ds_store_b128 v46, v[202:205]
.LBB170_182:                            ;   in Loop: Header=BB170_3 Depth=1
	s_or_b32 exec_lo, exec_lo, s19
	s_wait_dscnt 0x0
	s_barrier_signal -1
	s_barrier_wait -1
	s_barrier_signal -1
	s_barrier_wait -1
	s_and_saveexec_b32 s19, s1
; %bb.183:                              ;   in Loop: Header=BB170_3 Depth=1
	ds_store_b128 v50, v[16:19] offset:9984
; %bb.184:                              ;   in Loop: Header=BB170_3 Depth=1
	s_or_b32 exec_lo, exec_lo, s19
	s_wait_dscnt 0x0
	s_barrier_signal -1
	s_barrier_wait -1
	s_barrier_signal -1
	s_barrier_wait -1
	s_and_saveexec_b32 s19, s64
	s_cbranch_execz .LBB170_186
; %bb.185:                              ;   in Loop: Header=BB170_3 Depth=1
	ds_load_b128 v[16:19], v126
	s_wait_dscnt 0x0
	ds_store_b128 v132, v[16:19]
	ds_load_b128 v[16:19], v127
	s_wait_dscnt 0x0
	ds_store_b128 v133, v[16:19]
.LBB170_186:                            ;   in Loop: Header=BB170_3 Depth=1
	s_or_b32 exec_lo, exec_lo, s19
	s_wait_dscnt 0x0
	s_barrier_signal -1
	s_barrier_wait -1
	s_and_saveexec_b32 s33, s27
	s_cbranch_execz .LBB170_188
; %bb.187:                              ;   in Loop: Header=BB170_3 Depth=1
	s_mov_b32 s48, s35
	s_mov_b32 s50, s35
	;; [unrolled: 1-line block ×3, first 2 shown]
	v_mov_b64_e32 v[16:17], s[48:49]
	v_mov_b64_e32 v[18:19], s[50:51]
	ds_store_b128 v1, v[16:19] offset:8448
	ds_store_b128 v1, v[16:19] offset:8976
	ds_load_b128 v[16:19], v1 offset:8960
	s_wait_dscnt 0x0
	ds_store_b128 v1, v[16:19] offset:8464
.LBB170_188:                            ;   in Loop: Header=BB170_3 Depth=1
	s_or_b32 exec_lo, exec_lo, s33
	v_mov_b64_e32 v[18:19], 0
	v_mov_b64_e32 v[16:17], 0
	s_wait_dscnt 0x0
	s_barrier_signal -1
	s_barrier_wait -1
	global_wb scope:SCOPE_DEV
	s_wait_storecnt 0x0
	global_inv scope:SCOPE_DEV
	s_and_saveexec_b32 s33, s8
	s_cbranch_execz .LBB170_216
; %bb.189:                              ;   in Loop: Header=BB170_3 Depth=1
	ds_load_b128 v[16:19], v72 offset:16128
	ds_load_b128 v[202:205], v71 offset:8192
	v_readlane_b32 s18, v210, 12
	s_wait_dscnt 0x0
	v_mul_f64_e32 v[2:3], v[18:19], v[204:205]
	v_mul_f64_e32 v[204:205], v[16:17], v[204:205]
	s_delay_alu instid0(VALU_DEP_2) | instskip(NEXT) | instid1(VALU_DEP_2)
	v_fma_f64 v[2:3], v[16:17], v[202:203], -v[2:3]
	v_fmac_f64_e32 v[204:205], v[18:19], v[202:203]
	s_delay_alu instid0(VALU_DEP_2) | instskip(NEXT) | instid1(VALU_DEP_2)
	v_add_f64_e32 v[16:17], 0, v[2:3]
	v_add_f64_e32 v[18:19], 0, v[204:205]
	s_and_saveexec_b32 s19, s18
	s_cbranch_execz .LBB170_191
; %bb.190:                              ;   in Loop: Header=BB170_3 Depth=1
	ds_load_b128 v[202:205], v72 offset:16144
	ds_load_b128 v[206:209], v71 offset:8704
	s_wait_dscnt 0x0
	v_mul_f64_e32 v[2:3], v[204:205], v[208:209]
	s_delay_alu instid0(VALU_DEP_1) | instskip(SKIP_1) | instid1(VALU_DEP_2)
	v_fma_f64 v[2:3], v[202:203], v[206:207], -v[2:3]
	v_mul_f64_e32 v[202:203], v[202:203], v[208:209]
	v_add_f64_e32 v[16:17], v[16:17], v[2:3]
	s_delay_alu instid0(VALU_DEP_2) | instskip(NEXT) | instid1(VALU_DEP_1)
	v_fmac_f64_e32 v[202:203], v[204:205], v[206:207]
	v_add_f64_e32 v[18:19], v[18:19], v[202:203]
.LBB170_191:                            ;   in Loop: Header=BB170_3 Depth=1
	s_or_b32 exec_lo, exec_lo, s19
	v_readlane_b32 s18, v210, 13
	s_and_saveexec_b32 s19, s18
	s_cbranch_execz .LBB170_193
; %bb.192:                              ;   in Loop: Header=BB170_3 Depth=1
	ds_load_b128 v[202:205], v72 offset:16160
	ds_load_b128 v[206:209], v71 offset:9216
	s_wait_dscnt 0x0
	v_mul_f64_e32 v[2:3], v[204:205], v[208:209]
	s_delay_alu instid0(VALU_DEP_1) | instskip(SKIP_1) | instid1(VALU_DEP_2)
	v_fma_f64 v[2:3], v[202:203], v[206:207], -v[2:3]
	v_mul_f64_e32 v[202:203], v[202:203], v[208:209]
	v_add_f64_e32 v[16:17], v[16:17], v[2:3]
	s_delay_alu instid0(VALU_DEP_2) | instskip(NEXT) | instid1(VALU_DEP_1)
	v_fmac_f64_e32 v[202:203], v[204:205], v[206:207]
	v_add_f64_e32 v[18:19], v[18:19], v[202:203]
.LBB170_193:                            ;   in Loop: Header=BB170_3 Depth=1
	s_or_b32 exec_lo, exec_lo, s19
	v_readlane_b32 s18, v210, 14
	;; [unrolled: 17-line block ×10, first 2 shown]
	s_and_saveexec_b32 s19, s18
	s_cbranch_execnz .LBB170_528
; %bb.210:                              ;   in Loop: Header=BB170_3 Depth=1
	s_or_b32 exec_lo, exec_lo, s19
	s_and_saveexec_b32 s19, s7
	s_cbranch_execnz .LBB170_529
.LBB170_211:                            ;   in Loop: Header=BB170_3 Depth=1
	s_or_b32 exec_lo, exec_lo, s19
	s_and_saveexec_b32 s19, s12
	s_cbranch_execnz .LBB170_530
.LBB170_212:                            ;   in Loop: Header=BB170_3 Depth=1
	s_or_b32 exec_lo, exec_lo, s19
	s_and_saveexec_b32 s19, s14
	s_cbranch_execnz .LBB170_531
.LBB170_213:                            ;   in Loop: Header=BB170_3 Depth=1
	s_or_b32 exec_lo, exec_lo, s19
	s_and_saveexec_b32 s19, s4
	s_cbranch_execz .LBB170_215
.LBB170_214:                            ;   in Loop: Header=BB170_3 Depth=1
	ds_load_b128 v[202:205], v1 offset:16368
	ds_load_b128 v[206:209], v49 offset:15872
	s_wait_dscnt 0x0
	v_mul_f64_e32 v[2:3], v[204:205], v[208:209]
	s_delay_alu instid0(VALU_DEP_1) | instskip(SKIP_1) | instid1(VALU_DEP_2)
	v_fma_f64 v[2:3], v[202:203], v[206:207], -v[2:3]
	v_mul_f64_e32 v[202:203], v[202:203], v[208:209]
	v_add_f64_e32 v[16:17], v[16:17], v[2:3]
	s_delay_alu instid0(VALU_DEP_2) | instskip(NEXT) | instid1(VALU_DEP_1)
	v_fmac_f64_e32 v[202:203], v[204:205], v[206:207]
	v_add_f64_e32 v[18:19], v[18:19], v[202:203]
.LBB170_215:                            ;   in Loop: Header=BB170_3 Depth=1
	s_or_b32 exec_lo, exec_lo, s19
.LBB170_216:                            ;   in Loop: Header=BB170_3 Depth=1
	s_delay_alu instid0(SALU_CYCLE_1)
	s_or_b32 exec_lo, exec_lo, s33
	v_readlane_b32 s18, v210, 0
	s_and_saveexec_b32 s19, s18
	s_cbranch_execz .LBB170_218
; %bb.217:                              ;   in Loop: Header=BB170_3 Depth=1
	v_xor_b32_e32 v205, 0x80000000, v19
	v_xor_b32_e32 v203, 0x80000000, v17
	v_dual_mov_b32 v202, v16 :: v_dual_mov_b32 v204, v18
	ds_store_b128 v70, v[202:205]
.LBB170_218:                            ;   in Loop: Header=BB170_3 Depth=1
	s_or_b32 exec_lo, exec_lo, s19
	v_readlane_b32 s18, v210, 1
	s_wait_loadcnt_dscnt 0x0
	s_barrier_signal -1
	s_barrier_wait -1
	s_and_saveexec_b32 s19, s18
	s_cbranch_execz .LBB170_220
; %bb.219:                              ;   in Loop: Header=BB170_3 Depth=1
	ds_load_b128 v[202:205], v70
	ds_load_b128 v[206:209], v71 offset:7680
	s_wait_dscnt 0x0
	v_mul_f64_e32 v[2:3], v[204:205], v[208:209]
	s_delay_alu instid0(VALU_DEP_1) | instskip(SKIP_1) | instid1(VALU_DEP_2)
	v_fma_f64 v[2:3], v[202:203], v[206:207], -v[2:3]
	v_mul_f64_e32 v[202:203], v[202:203], v[208:209]
	v_add_f64_e64 v[16:17], v[16:17], -v[2:3]
	s_delay_alu instid0(VALU_DEP_2) | instskip(NEXT) | instid1(VALU_DEP_1)
	v_fmac_f64_e32 v[202:203], v[204:205], v[206:207]
	v_add_f64_e64 v[18:19], v[18:19], -v[202:203]
.LBB170_220:                            ;   in Loop: Header=BB170_3 Depth=1
	s_or_b32 exec_lo, exec_lo, s19
	v_readlane_b32 s18, v210, 2
	s_barrier_signal -1
	s_barrier_wait -1
	s_and_saveexec_b32 s19, s18
	s_cbranch_execz .LBB170_222
; %bb.221:                              ;   in Loop: Header=BB170_3 Depth=1
	v_xor_b32_e32 v205, 0x80000000, v19
	v_xor_b32_e32 v203, 0x80000000, v17
	v_dual_mov_b32 v202, v16 :: v_dual_mov_b32 v204, v18
	ds_store_b128 v70, v[202:205]
.LBB170_222:                            ;   in Loop: Header=BB170_3 Depth=1
	s_or_b32 exec_lo, exec_lo, s19
	v_readlane_b32 s18, v210, 3
	s_wait_dscnt 0x0
	s_barrier_signal -1
	s_barrier_wait -1
	s_and_saveexec_b32 s19, s18
	s_cbranch_execz .LBB170_224
; %bb.223:                              ;   in Loop: Header=BB170_3 Depth=1
	ds_load_b128 v[202:205], v70
	ds_load_b128 v[206:209], v71 offset:7168
	s_wait_dscnt 0x0
	v_mul_f64_e32 v[2:3], v[204:205], v[208:209]
	s_delay_alu instid0(VALU_DEP_1) | instskip(SKIP_1) | instid1(VALU_DEP_2)
	v_fma_f64 v[2:3], v[202:203], v[206:207], -v[2:3]
	v_mul_f64_e32 v[202:203], v[202:203], v[208:209]
	v_add_f64_e64 v[16:17], v[16:17], -v[2:3]
	s_delay_alu instid0(VALU_DEP_2) | instskip(NEXT) | instid1(VALU_DEP_1)
	v_fmac_f64_e32 v[202:203], v[204:205], v[206:207]
	v_add_f64_e64 v[18:19], v[18:19], -v[202:203]
.LBB170_224:                            ;   in Loop: Header=BB170_3 Depth=1
	s_or_b32 exec_lo, exec_lo, s19
	v_readlane_b32 s18, v210, 4
	s_barrier_signal -1
	s_barrier_wait -1
	s_and_saveexec_b32 s19, s18
	s_cbranch_execz .LBB170_226
; %bb.225:                              ;   in Loop: Header=BB170_3 Depth=1
	v_xor_b32_e32 v205, 0x80000000, v19
	v_xor_b32_e32 v203, 0x80000000, v17
	v_dual_mov_b32 v202, v16 :: v_dual_mov_b32 v204, v18
	ds_store_b128 v70, v[202:205]
.LBB170_226:                            ;   in Loop: Header=BB170_3 Depth=1
	s_or_b32 exec_lo, exec_lo, s19
	v_readlane_b32 s18, v210, 5
	s_wait_dscnt 0x0
	;; [unrolled: 32-line block ×4, first 2 shown]
	s_barrier_signal -1
	s_barrier_wait -1
	s_and_saveexec_b32 s19, s18
	s_cbranch_execz .LBB170_236
; %bb.235:                              ;   in Loop: Header=BB170_3 Depth=1
	ds_load_b128 v[202:205], v70
	ds_load_b128 v[206:209], v71 offset:5632
	s_wait_dscnt 0x0
	v_mul_f64_e32 v[2:3], v[204:205], v[208:209]
	s_delay_alu instid0(VALU_DEP_1) | instskip(SKIP_1) | instid1(VALU_DEP_2)
	v_fma_f64 v[2:3], v[202:203], v[206:207], -v[2:3]
	v_mul_f64_e32 v[202:203], v[202:203], v[208:209]
	v_add_f64_e64 v[16:17], v[16:17], -v[2:3]
	s_delay_alu instid0(VALU_DEP_2) | instskip(NEXT) | instid1(VALU_DEP_1)
	v_fmac_f64_e32 v[202:203], v[204:205], v[206:207]
	v_add_f64_e64 v[18:19], v[18:19], -v[202:203]
.LBB170_236:                            ;   in Loop: Header=BB170_3 Depth=1
	s_or_b32 exec_lo, exec_lo, s19
	v_readlane_b32 s18, v210, 10
	s_barrier_signal -1
	s_barrier_wait -1
	s_and_saveexec_b32 s19, s18
	s_cbranch_execz .LBB170_238
; %bb.237:                              ;   in Loop: Header=BB170_3 Depth=1
	v_xor_b32_e32 v205, 0x80000000, v19
	v_xor_b32_e32 v203, 0x80000000, v17
	v_dual_mov_b32 v202, v16 :: v_dual_mov_b32 v204, v18
	ds_store_b128 v70, v[202:205]
.LBB170_238:                            ;   in Loop: Header=BB170_3 Depth=1
	s_or_b32 exec_lo, exec_lo, s19
	s_wait_dscnt 0x0
	s_barrier_signal -1
	s_barrier_wait -1
	s_and_saveexec_b32 s19, s98
	s_cbranch_execz .LBB170_240
; %bb.239:                              ;   in Loop: Header=BB170_3 Depth=1
	ds_load_b128 v[202:205], v70
	ds_load_b128 v[206:209], v71 offset:5120
	s_wait_dscnt 0x0
	v_mul_f64_e32 v[2:3], v[204:205], v[208:209]
	s_delay_alu instid0(VALU_DEP_1) | instskip(SKIP_1) | instid1(VALU_DEP_2)
	v_fma_f64 v[2:3], v[202:203], v[206:207], -v[2:3]
	v_mul_f64_e32 v[202:203], v[202:203], v[208:209]
	v_add_f64_e64 v[16:17], v[16:17], -v[2:3]
	s_delay_alu instid0(VALU_DEP_2) | instskip(NEXT) | instid1(VALU_DEP_1)
	v_fmac_f64_e32 v[202:203], v[204:205], v[206:207]
	v_add_f64_e64 v[18:19], v[18:19], -v[202:203]
.LBB170_240:                            ;   in Loop: Header=BB170_3 Depth=1
	s_or_b32 exec_lo, exec_lo, s19
	s_barrier_signal -1
	s_barrier_wait -1
	s_and_saveexec_b32 s19, s99
	s_cbranch_execz .LBB170_242
; %bb.241:                              ;   in Loop: Header=BB170_3 Depth=1
	s_delay_alu instid0(VALU_DEP_1) | instskip(NEXT) | instid1(VALU_DEP_4)
	v_xor_b32_e32 v205, 0x80000000, v19
	v_xor_b32_e32 v203, 0x80000000, v17
	s_delay_alu instid0(VALU_DEP_3)
	v_dual_mov_b32 v202, v16 :: v_dual_mov_b32 v204, v18
	ds_store_b128 v70, v[202:205]
.LBB170_242:                            ;   in Loop: Header=BB170_3 Depth=1
	s_or_b32 exec_lo, exec_lo, s19
	s_wait_dscnt 0x0
	s_barrier_signal -1
	s_barrier_wait -1
	s_and_saveexec_b32 s19, s100
	s_cbranch_execz .LBB170_244
; %bb.243:                              ;   in Loop: Header=BB170_3 Depth=1
	ds_load_b128 v[202:205], v70
	ds_load_b128 v[206:209], v71 offset:4608
	s_wait_dscnt 0x0
	v_mul_f64_e32 v[2:3], v[204:205], v[208:209]
	s_delay_alu instid0(VALU_DEP_1) | instskip(SKIP_1) | instid1(VALU_DEP_2)
	v_fma_f64 v[2:3], v[202:203], v[206:207], -v[2:3]
	v_mul_f64_e32 v[202:203], v[202:203], v[208:209]
	v_add_f64_e64 v[16:17], v[16:17], -v[2:3]
	s_delay_alu instid0(VALU_DEP_2) | instskip(NEXT) | instid1(VALU_DEP_1)
	v_fmac_f64_e32 v[202:203], v[204:205], v[206:207]
	v_add_f64_e64 v[18:19], v[18:19], -v[202:203]
.LBB170_244:                            ;   in Loop: Header=BB170_3 Depth=1
	s_or_b32 exec_lo, exec_lo, s19
	s_barrier_signal -1
	s_barrier_wait -1
	s_and_saveexec_b32 s19, s101
	s_cbranch_execz .LBB170_246
; %bb.245:                              ;   in Loop: Header=BB170_3 Depth=1
	s_delay_alu instid0(VALU_DEP_1) | instskip(NEXT) | instid1(VALU_DEP_4)
	v_xor_b32_e32 v205, 0x80000000, v19
	v_xor_b32_e32 v203, 0x80000000, v17
	s_delay_alu instid0(VALU_DEP_3)
	v_dual_mov_b32 v202, v16 :: v_dual_mov_b32 v204, v18
	ds_store_b128 v70, v[202:205]
.LBB170_246:                            ;   in Loop: Header=BB170_3 Depth=1
	s_or_b32 exec_lo, exec_lo, s19
	s_wait_dscnt 0x0
	s_barrier_signal -1
	s_barrier_wait -1
	s_and_saveexec_b32 s19, s102
	s_cbranch_execz .LBB170_248
; %bb.247:                              ;   in Loop: Header=BB170_3 Depth=1
	ds_load_b128 v[202:205], v70
	ds_load_b128 v[206:209], v71 offset:4096
	s_wait_dscnt 0x0
	v_mul_f64_e32 v[2:3], v[204:205], v[208:209]
	s_delay_alu instid0(VALU_DEP_1) | instskip(SKIP_1) | instid1(VALU_DEP_2)
	v_fma_f64 v[2:3], v[202:203], v[206:207], -v[2:3]
	v_mul_f64_e32 v[202:203], v[202:203], v[208:209]
	v_add_f64_e64 v[16:17], v[16:17], -v[2:3]
	s_delay_alu instid0(VALU_DEP_2) | instskip(NEXT) | instid1(VALU_DEP_1)
	v_fmac_f64_e32 v[202:203], v[204:205], v[206:207]
	v_add_f64_e64 v[18:19], v[18:19], -v[202:203]
.LBB170_248:                            ;   in Loop: Header=BB170_3 Depth=1
	s_or_b32 exec_lo, exec_lo, s19
	s_barrier_signal -1
	s_barrier_wait -1
	s_and_saveexec_b32 s19, s103
	s_cbranch_execz .LBB170_250
; %bb.249:                              ;   in Loop: Header=BB170_3 Depth=1
	s_delay_alu instid0(VALU_DEP_1) | instskip(NEXT) | instid1(VALU_DEP_4)
	v_xor_b32_e32 v205, 0x80000000, v19
	v_xor_b32_e32 v203, 0x80000000, v17
	s_delay_alu instid0(VALU_DEP_3)
	v_dual_mov_b32 v202, v16 :: v_dual_mov_b32 v204, v18
	ds_store_b128 v70, v[202:205]
.LBB170_250:                            ;   in Loop: Header=BB170_3 Depth=1
	s_or_b32 exec_lo, exec_lo, s19
	s_wait_dscnt 0x0
	s_barrier_signal -1
	s_barrier_wait -1
	s_and_saveexec_b32 s19, s104
	s_cbranch_execz .LBB170_252
; %bb.251:                              ;   in Loop: Header=BB170_3 Depth=1
	ds_load_b128 v[202:205], v70
	ds_load_b128 v[206:209], v71 offset:3584
	s_wait_dscnt 0x0
	v_mul_f64_e32 v[2:3], v[204:205], v[208:209]
	s_delay_alu instid0(VALU_DEP_1) | instskip(SKIP_1) | instid1(VALU_DEP_2)
	v_fma_f64 v[2:3], v[202:203], v[206:207], -v[2:3]
	v_mul_f64_e32 v[202:203], v[202:203], v[208:209]
	v_add_f64_e64 v[16:17], v[16:17], -v[2:3]
	s_delay_alu instid0(VALU_DEP_2) | instskip(NEXT) | instid1(VALU_DEP_1)
	v_fmac_f64_e32 v[202:203], v[204:205], v[206:207]
	v_add_f64_e64 v[18:19], v[18:19], -v[202:203]
.LBB170_252:                            ;   in Loop: Header=BB170_3 Depth=1
	s_or_b32 exec_lo, exec_lo, s19
	s_barrier_signal -1
	s_barrier_wait -1
	s_and_saveexec_b32 s19, vcc_hi
	s_cbranch_execz .LBB170_254
; %bb.253:                              ;   in Loop: Header=BB170_3 Depth=1
	s_delay_alu instid0(VALU_DEP_1) | instskip(NEXT) | instid1(VALU_DEP_4)
	v_xor_b32_e32 v205, 0x80000000, v19
	v_xor_b32_e32 v203, 0x80000000, v17
	s_delay_alu instid0(VALU_DEP_3)
	v_dual_mov_b32 v202, v16 :: v_dual_mov_b32 v204, v18
	ds_store_b128 v70, v[202:205]
.LBB170_254:                            ;   in Loop: Header=BB170_3 Depth=1
	s_or_b32 exec_lo, exec_lo, s19
	s_wait_dscnt 0x0
	s_barrier_signal -1
	s_barrier_wait -1
	s_and_saveexec_b32 s19, s20
	s_cbranch_execz .LBB170_256
; %bb.255:                              ;   in Loop: Header=BB170_3 Depth=1
	ds_load_b128 v[202:205], v70
	ds_load_b128 v[206:209], v71 offset:3072
	s_wait_dscnt 0x0
	v_mul_f64_e32 v[2:3], v[204:205], v[208:209]
	s_delay_alu instid0(VALU_DEP_1) | instskip(SKIP_1) | instid1(VALU_DEP_2)
	v_fma_f64 v[2:3], v[202:203], v[206:207], -v[2:3]
	v_mul_f64_e32 v[202:203], v[202:203], v[208:209]
	v_add_f64_e64 v[16:17], v[16:17], -v[2:3]
	s_delay_alu instid0(VALU_DEP_2) | instskip(NEXT) | instid1(VALU_DEP_1)
	v_fmac_f64_e32 v[202:203], v[204:205], v[206:207]
	v_add_f64_e64 v[18:19], v[18:19], -v[202:203]
.LBB170_256:                            ;   in Loop: Header=BB170_3 Depth=1
	s_or_b32 exec_lo, exec_lo, s19
	s_barrier_signal -1
	s_barrier_wait -1
	s_and_saveexec_b32 s19, s21
	s_cbranch_execz .LBB170_258
; %bb.257:                              ;   in Loop: Header=BB170_3 Depth=1
	s_delay_alu instid0(VALU_DEP_1) | instskip(NEXT) | instid1(VALU_DEP_4)
	v_xor_b32_e32 v205, 0x80000000, v19
	v_xor_b32_e32 v203, 0x80000000, v17
	s_delay_alu instid0(VALU_DEP_3)
	v_dual_mov_b32 v202, v16 :: v_dual_mov_b32 v204, v18
	ds_store_b128 v70, v[202:205]
.LBB170_258:                            ;   in Loop: Header=BB170_3 Depth=1
	s_or_b32 exec_lo, exec_lo, s19
	s_wait_dscnt 0x0
	s_barrier_signal -1
	s_barrier_wait -1
	s_and_saveexec_b32 s19, s22
	s_cbranch_execz .LBB170_260
; %bb.259:                              ;   in Loop: Header=BB170_3 Depth=1
	ds_load_b128 v[202:205], v70
	ds_load_b128 v[206:209], v71 offset:2560
	s_wait_dscnt 0x0
	v_mul_f64_e32 v[2:3], v[204:205], v[208:209]
	s_delay_alu instid0(VALU_DEP_1) | instskip(SKIP_1) | instid1(VALU_DEP_2)
	v_fma_f64 v[2:3], v[202:203], v[206:207], -v[2:3]
	v_mul_f64_e32 v[202:203], v[202:203], v[208:209]
	v_add_f64_e64 v[16:17], v[16:17], -v[2:3]
	s_delay_alu instid0(VALU_DEP_2) | instskip(NEXT) | instid1(VALU_DEP_1)
	v_fmac_f64_e32 v[202:203], v[204:205], v[206:207]
	v_add_f64_e64 v[18:19], v[18:19], -v[202:203]
.LBB170_260:                            ;   in Loop: Header=BB170_3 Depth=1
	s_or_b32 exec_lo, exec_lo, s19
	s_barrier_signal -1
	s_barrier_wait -1
	s_and_saveexec_b32 s19, s23
	;; [unrolled: 32-line block ×6, first 2 shown]
	s_cbranch_execz .LBB170_278
; %bb.277:                              ;   in Loop: Header=BB170_3 Depth=1
	s_delay_alu instid0(VALU_DEP_1) | instskip(NEXT) | instid1(VALU_DEP_4)
	v_xor_b32_e32 v205, 0x80000000, v19
	v_xor_b32_e32 v203, 0x80000000, v17
	s_delay_alu instid0(VALU_DEP_3)
	v_dual_mov_b32 v202, v16 :: v_dual_mov_b32 v204, v18
	ds_store_b128 v70, v[202:205]
.LBB170_278:                            ;   in Loop: Header=BB170_3 Depth=1
	s_or_b32 exec_lo, exec_lo, s19
	s_wait_dscnt 0x0
	s_barrier_signal -1
	s_barrier_wait -1
	s_barrier_signal -1
	s_barrier_wait -1
	s_and_saveexec_b32 s19, s8
; %bb.279:                              ;   in Loop: Header=BB170_3 Depth=1
	ds_store_b128 v73, v[16:19] offset:15872
; %bb.280:                              ;   in Loop: Header=BB170_3 Depth=1
	s_or_b32 exec_lo, exec_lo, s19
	s_wait_dscnt 0x0
	s_barrier_signal -1
	s_barrier_wait -1
	s_barrier_signal -1
	s_barrier_wait -1
	s_and_saveexec_b32 s33, s91
	s_cbranch_execz .LBB170_282
; %bb.281:                              ;   in Loop: Header=BB170_3 Depth=1
	ds_load_b128 v[16:19], v74
	s_wait_dscnt 0x0
	ds_store_b128 v160, v[16:19]
	ds_load_b128 v[16:19], v75
	s_wait_dscnt 0x0
	ds_store_b128 v161, v[16:19]
	;; [unrolled: 3-line block ×16, first 2 shown]
.LBB170_282:                            ;   in Loop: Header=BB170_3 Depth=1
	s_or_b32 exec_lo, exec_lo, s33
	s_wait_dscnt 0x0
	s_barrier_signal -1
	s_barrier_wait -1
	s_and_saveexec_b32 s33, s27
	s_cbranch_execz .LBB170_284
; %bb.283:                              ;   in Loop: Header=BB170_3 Depth=1
	s_mov_b32 s48, s35
	s_mov_b32 s50, s35
	;; [unrolled: 1-line block ×3, first 2 shown]
	v_mov_b64_e32 v[16:17], s[48:49]
	v_mov_b64_e32 v[18:19], s[50:51]
	ds_store_b128 v1, v[16:19] offset:7392
	ds_store_b128 v1, v[16:19] offset:7920
	ds_load_b128 v[16:19], v1 offset:7904
	s_wait_dscnt 0x0
	ds_store_b128 v1, v[16:19] offset:7408
.LBB170_284:                            ;   in Loop: Header=BB170_3 Depth=1
	s_or_b32 exec_lo, exec_lo, s33
	v_mov_b64_e32 v[16:17], 0
	v_mov_b64_e32 v[18:19], 0
	s_wait_dscnt 0x0
	s_barrier_signal -1
	s_barrier_wait -1
	global_wb scope:SCOPE_DEV
	s_wait_storecnt 0x0
	global_inv scope:SCOPE_DEV
	s_and_saveexec_b32 s33, s1
	s_cbranch_execz .LBB170_288
; %bb.285:                              ;   in Loop: Header=BB170_3 Depth=1
	ds_load_b128 v[16:19], v48 offset:7904
	ds_load_b128 v[202:205], v47 offset:7360
	s_wait_dscnt 0x0
	v_mul_f64_e32 v[2:3], v[18:19], v[204:205]
	v_mul_f64_e32 v[204:205], v[16:17], v[204:205]
	s_delay_alu instid0(VALU_DEP_2) | instskip(NEXT) | instid1(VALU_DEP_2)
	v_fma_f64 v[2:3], v[16:17], v[202:203], -v[2:3]
	v_fmac_f64_e32 v[204:205], v[18:19], v[202:203]
	s_delay_alu instid0(VALU_DEP_2) | instskip(NEXT) | instid1(VALU_DEP_2)
	v_add_f64_e32 v[16:17], 0, v[2:3]
	v_add_f64_e32 v[18:19], 0, v[204:205]
	s_and_saveexec_b32 s19, s2
	s_cbranch_execz .LBB170_287
; %bb.286:                              ;   in Loop: Header=BB170_3 Depth=1
	ds_load_b128 v[202:205], v1 offset:7920
	ds_load_b128 v[206:209], v49 offset:7872
	s_wait_dscnt 0x0
	v_mul_f64_e32 v[2:3], v[204:205], v[208:209]
	s_delay_alu instid0(VALU_DEP_1) | instskip(SKIP_1) | instid1(VALU_DEP_2)
	v_fma_f64 v[2:3], v[202:203], v[206:207], -v[2:3]
	v_mul_f64_e32 v[202:203], v[202:203], v[208:209]
	v_add_f64_e32 v[16:17], v[16:17], v[2:3]
	s_delay_alu instid0(VALU_DEP_2) | instskip(NEXT) | instid1(VALU_DEP_1)
	v_fmac_f64_e32 v[202:203], v[204:205], v[206:207]
	v_add_f64_e32 v[18:19], v[18:19], v[202:203]
.LBB170_287:                            ;   in Loop: Header=BB170_3 Depth=1
	s_or_b32 exec_lo, exec_lo, s19
.LBB170_288:                            ;   in Loop: Header=BB170_3 Depth=1
	s_delay_alu instid0(SALU_CYCLE_1)
	s_or_b32 exec_lo, exec_lo, s33
	s_and_saveexec_b32 s19, s62
	s_cbranch_execz .LBB170_290
; %bb.289:                              ;   in Loop: Header=BB170_3 Depth=1
	s_delay_alu instid0(VALU_DEP_2) | instskip(NEXT) | instid1(VALU_DEP_2)
	v_xor_b32_e32 v203, 0x80000000, v17
	v_xor_b32_e32 v205, 0x80000000, v19
	s_delay_alu instid0(VALU_DEP_3)
	v_dual_mov_b32 v202, v16 :: v_dual_mov_b32 v204, v18
	ds_store_b128 v46, v[202:205]
.LBB170_290:                            ;   in Loop: Header=BB170_3 Depth=1
	s_or_b32 exec_lo, exec_lo, s19
	s_wait_loadcnt_dscnt 0x0
	s_barrier_signal -1
	s_barrier_wait -1
	s_and_saveexec_b32 s19, s63
	s_cbranch_execz .LBB170_292
; %bb.291:                              ;   in Loop: Header=BB170_3 Depth=1
	ds_load_b128 v[202:205], v46
	ds_load_b128 v[206:209], v1 offset:6848
	s_wait_dscnt 0x0
	v_mul_f64_e32 v[2:3], v[202:203], v[206:207]
	v_mul_f64_e32 v[202:203], v[202:203], v[208:209]
	s_delay_alu instid0(VALU_DEP_2) | instskip(NEXT) | instid1(VALU_DEP_2)
	v_fma_f64 v[2:3], v[204:205], v[208:209], -v[2:3]
	v_fmac_f64_e32 v[202:203], v[204:205], v[206:207]
	s_delay_alu instid0(VALU_DEP_2) | instskip(NEXT) | instid1(VALU_DEP_2)
	v_add_f64_e32 v[16:17], v[16:17], v[2:3]
	v_add_f64_e64 v[18:19], v[18:19], -v[202:203]
.LBB170_292:                            ;   in Loop: Header=BB170_3 Depth=1
	s_or_b32 exec_lo, exec_lo, s19
	s_barrier_signal -1
	s_barrier_wait -1
	s_and_saveexec_b32 s19, s63
	s_cbranch_execz .LBB170_294
; %bb.293:                              ;   in Loop: Header=BB170_3 Depth=1
	s_delay_alu instid0(VALU_DEP_2) | instskip(NEXT) | instid1(VALU_DEP_2)
	v_xor_b32_e32 v203, 0x80000000, v17
	v_xor_b32_e32 v205, 0x80000000, v19
	s_delay_alu instid0(VALU_DEP_3)
	v_dual_mov_b32 v202, v16 :: v_dual_mov_b32 v204, v18
	ds_store_b128 v46, v[202:205]
.LBB170_294:                            ;   in Loop: Header=BB170_3 Depth=1
	s_or_b32 exec_lo, exec_lo, s19
	s_wait_dscnt 0x0
	s_barrier_signal -1
	s_barrier_wait -1
	s_barrier_signal -1
	s_barrier_wait -1
	s_and_saveexec_b32 s19, s1
; %bb.295:                              ;   in Loop: Header=BB170_3 Depth=1
	ds_store_b128 v50, v[16:19] offset:7872
; %bb.296:                              ;   in Loop: Header=BB170_3 Depth=1
	s_or_b32 exec_lo, exec_lo, s19
	s_wait_dscnt 0x0
	s_barrier_signal -1
	s_barrier_wait -1
	s_barrier_signal -1
	s_barrier_wait -1
	s_and_saveexec_b32 s19, s64
	s_cbranch_execz .LBB170_298
; %bb.297:                              ;   in Loop: Header=BB170_3 Depth=1
	ds_load_b128 v[16:19], v90
	s_wait_dscnt 0x0
	ds_store_b128 v176, v[16:19]
	ds_load_b128 v[16:19], v91
	s_wait_dscnt 0x0
	ds_store_b128 v177, v[16:19]
.LBB170_298:                            ;   in Loop: Header=BB170_3 Depth=1
	s_or_b32 exec_lo, exec_lo, s19
	s_wait_dscnt 0x0
	s_barrier_signal -1
	s_barrier_wait -1
	s_and_saveexec_b32 s33, s27
	s_cbranch_execz .LBB170_300
; %bb.299:                              ;   in Loop: Header=BB170_3 Depth=1
	s_mov_b32 s48, s35
	s_mov_b32 s50, s35
	;; [unrolled: 1-line block ×3, first 2 shown]
	v_mov_b64_e32 v[16:17], s[48:49]
	v_mov_b64_e32 v[18:19], s[50:51]
	ds_store_b128 v1, v[16:19] offset:6336
	ds_store_b128 v1, v[16:19] offset:6864
	ds_load_b128 v[16:19], v1 offset:6848
	s_wait_dscnt 0x0
	ds_store_b128 v1, v[16:19] offset:6352
.LBB170_300:                            ;   in Loop: Header=BB170_3 Depth=1
	s_or_b32 exec_lo, exec_lo, s33
	v_mov_b64_e32 v[18:19], 0
	v_mov_b64_e32 v[16:17], 0
	s_wait_dscnt 0x0
	s_barrier_signal -1
	s_barrier_wait -1
	global_wb scope:SCOPE_DEV
	s_wait_storecnt 0x0
	global_inv scope:SCOPE_DEV
	s_and_saveexec_b32 s33, s4
	s_cbranch_execz .LBB170_306
; %bb.301:                              ;   in Loop: Header=BB170_3 Depth=1
	ds_load_b128 v[16:19], v56 offset:7872
	ds_load_b128 v[202:205], v55 offset:6272
	s_wait_dscnt 0x0
	v_mul_f64_e32 v[2:3], v[18:19], v[204:205]
	v_mul_f64_e32 v[204:205], v[16:17], v[204:205]
	s_delay_alu instid0(VALU_DEP_2) | instskip(NEXT) | instid1(VALU_DEP_2)
	v_fma_f64 v[2:3], v[16:17], v[202:203], -v[2:3]
	v_fmac_f64_e32 v[204:205], v[18:19], v[202:203]
	s_delay_alu instid0(VALU_DEP_2) | instskip(NEXT) | instid1(VALU_DEP_2)
	v_add_f64_e32 v[16:17], 0, v[2:3]
	v_add_f64_e32 v[18:19], 0, v[204:205]
	s_and_saveexec_b32 s19, s5
	s_cbranch_execnz .LBB170_532
; %bb.302:                              ;   in Loop: Header=BB170_3 Depth=1
	s_or_b32 exec_lo, exec_lo, s19
	s_and_saveexec_b32 s19, s6
	s_cbranch_execnz .LBB170_533
.LBB170_303:                            ;   in Loop: Header=BB170_3 Depth=1
	s_or_b32 exec_lo, exec_lo, s19
	s_and_saveexec_b32 s19, s1
	s_cbranch_execz .LBB170_305
.LBB170_304:                            ;   in Loop: Header=BB170_3 Depth=1
	ds_load_b128 v[202:205], v1 offset:7920
	ds_load_b128 v[206:209], v53 offset:7808
	s_wait_dscnt 0x0
	v_mul_f64_e32 v[2:3], v[204:205], v[208:209]
	s_delay_alu instid0(VALU_DEP_1) | instskip(SKIP_1) | instid1(VALU_DEP_2)
	v_fma_f64 v[2:3], v[202:203], v[206:207], -v[2:3]
	v_mul_f64_e32 v[202:203], v[202:203], v[208:209]
	v_add_f64_e32 v[16:17], v[16:17], v[2:3]
	s_delay_alu instid0(VALU_DEP_2) | instskip(NEXT) | instid1(VALU_DEP_1)
	v_fmac_f64_e32 v[202:203], v[204:205], v[206:207]
	v_add_f64_e32 v[18:19], v[18:19], v[202:203]
.LBB170_305:                            ;   in Loop: Header=BB170_3 Depth=1
	s_or_b32 exec_lo, exec_lo, s19
.LBB170_306:                            ;   in Loop: Header=BB170_3 Depth=1
	s_delay_alu instid0(SALU_CYCLE_1)
	s_or_b32 exec_lo, exec_lo, s33
	s_and_saveexec_b32 s19, s65
	s_cbranch_execz .LBB170_308
; %bb.307:                              ;   in Loop: Header=BB170_3 Depth=1
	s_delay_alu instid0(VALU_DEP_1) | instskip(NEXT) | instid1(VALU_DEP_3)
	v_xor_b32_e32 v205, 0x80000000, v19
	v_xor_b32_e32 v203, 0x80000000, v17
	s_delay_alu instid0(VALU_DEP_3)
	v_dual_mov_b32 v202, v16 :: v_dual_mov_b32 v204, v18
	ds_store_b128 v54, v[202:205]
.LBB170_308:                            ;   in Loop: Header=BB170_3 Depth=1
	s_or_b32 exec_lo, exec_lo, s19
	s_wait_loadcnt_dscnt 0x0
	s_barrier_signal -1
	s_barrier_wait -1
	s_and_saveexec_b32 s19, s66
	s_cbranch_execz .LBB170_310
; %bb.309:                              ;   in Loop: Header=BB170_3 Depth=1
	ds_load_b128 v[202:205], v54
	ds_load_b128 v[206:209], v55 offset:5760
	s_wait_dscnt 0x0
	v_mul_f64_e32 v[2:3], v[204:205], v[208:209]
	s_delay_alu instid0(VALU_DEP_1) | instskip(SKIP_1) | instid1(VALU_DEP_2)
	v_fma_f64 v[2:3], v[202:203], v[206:207], -v[2:3]
	v_mul_f64_e32 v[202:203], v[202:203], v[208:209]
	v_add_f64_e64 v[16:17], v[16:17], -v[2:3]
	s_delay_alu instid0(VALU_DEP_2) | instskip(NEXT) | instid1(VALU_DEP_1)
	v_fmac_f64_e32 v[202:203], v[204:205], v[206:207]
	v_add_f64_e64 v[18:19], v[18:19], -v[202:203]
.LBB170_310:                            ;   in Loop: Header=BB170_3 Depth=1
	s_or_b32 exec_lo, exec_lo, s19
	s_barrier_signal -1
	s_barrier_wait -1
	s_and_saveexec_b32 s19, s67
	s_cbranch_execz .LBB170_312
; %bb.311:                              ;   in Loop: Header=BB170_3 Depth=1
	s_delay_alu instid0(VALU_DEP_1) | instskip(NEXT) | instid1(VALU_DEP_3)
	v_xor_b32_e32 v205, 0x80000000, v19
	v_xor_b32_e32 v203, 0x80000000, v17
	s_delay_alu instid0(VALU_DEP_3)
	v_dual_mov_b32 v202, v16 :: v_dual_mov_b32 v204, v18
	ds_store_b128 v54, v[202:205]
.LBB170_312:                            ;   in Loop: Header=BB170_3 Depth=1
	s_or_b32 exec_lo, exec_lo, s19
	s_wait_dscnt 0x0
	s_barrier_signal -1
	s_barrier_wait -1
	s_and_saveexec_b32 s19, s68
	s_cbranch_execz .LBB170_314
; %bb.313:                              ;   in Loop: Header=BB170_3 Depth=1
	ds_load_b128 v[202:205], v54
	ds_load_b128 v[206:209], v55 offset:5248
	s_wait_dscnt 0x0
	v_mul_f64_e32 v[2:3], v[204:205], v[208:209]
	s_delay_alu instid0(VALU_DEP_1) | instskip(SKIP_1) | instid1(VALU_DEP_2)
	v_fma_f64 v[2:3], v[202:203], v[206:207], -v[2:3]
	v_mul_f64_e32 v[202:203], v[202:203], v[208:209]
	v_add_f64_e64 v[16:17], v[16:17], -v[2:3]
	s_delay_alu instid0(VALU_DEP_2) | instskip(NEXT) | instid1(VALU_DEP_1)
	v_fmac_f64_e32 v[202:203], v[204:205], v[206:207]
	v_add_f64_e64 v[18:19], v[18:19], -v[202:203]
.LBB170_314:                            ;   in Loop: Header=BB170_3 Depth=1
	s_or_b32 exec_lo, exec_lo, s19
	s_barrier_signal -1
	s_barrier_wait -1
	s_and_saveexec_b32 s19, s69
	s_cbranch_execz .LBB170_316
; %bb.315:                              ;   in Loop: Header=BB170_3 Depth=1
	s_delay_alu instid0(VALU_DEP_1) | instskip(NEXT) | instid1(VALU_DEP_3)
	v_xor_b32_e32 v205, 0x80000000, v19
	v_xor_b32_e32 v203, 0x80000000, v17
	s_delay_alu instid0(VALU_DEP_3)
	v_dual_mov_b32 v202, v16 :: v_dual_mov_b32 v204, v18
	ds_store_b128 v54, v[202:205]
.LBB170_316:                            ;   in Loop: Header=BB170_3 Depth=1
	s_or_b32 exec_lo, exec_lo, s19
	s_wait_dscnt 0x0
	;; [unrolled: 32-line block ×3, first 2 shown]
	s_barrier_signal -1
	s_barrier_wait -1
	s_barrier_signal -1
	s_barrier_wait -1
	s_and_saveexec_b32 s19, s4
; %bb.321:                              ;   in Loop: Header=BB170_3 Depth=1
	ds_store_b128 v57, v[16:19] offset:7808
; %bb.322:                              ;   in Loop: Header=BB170_3 Depth=1
	s_or_b32 exec_lo, exec_lo, s19
	s_wait_dscnt 0x0
	s_barrier_signal -1
	s_barrier_wait -1
	s_barrier_signal -1
	s_barrier_wait -1
	s_and_saveexec_b32 s19, s71
	s_cbranch_execz .LBB170_324
; %bb.323:                              ;   in Loop: Header=BB170_3 Depth=1
	ds_load_b128 v[16:19], v107
	s_wait_dscnt 0x0
	ds_store_b128 v178, v[16:19]
	ds_load_b128 v[16:19], v110
	s_wait_dscnt 0x0
	ds_store_b128 v181, v[16:19]
	;; [unrolled: 3-line block ×4, first 2 shown]
.LBB170_324:                            ;   in Loop: Header=BB170_3 Depth=1
	s_or_b32 exec_lo, exec_lo, s19
	s_wait_dscnt 0x0
	s_barrier_signal -1
	s_barrier_wait -1
	s_and_saveexec_b32 s33, s27
	s_cbranch_execz .LBB170_326
; %bb.325:                              ;   in Loop: Header=BB170_3 Depth=1
	s_mov_b32 s48, s35
	s_mov_b32 s50, s35
	;; [unrolled: 1-line block ×3, first 2 shown]
	v_mov_b64_e32 v[16:17], s[48:49]
	v_mov_b64_e32 v[18:19], s[50:51]
	ds_store_b128 v1, v[16:19] offset:5280
	ds_store_b128 v1, v[16:19] offset:5808
	ds_load_b128 v[16:19], v1 offset:5792
	s_wait_dscnt 0x0
	ds_store_b128 v1, v[16:19] offset:5296
.LBB170_326:                            ;   in Loop: Header=BB170_3 Depth=1
	s_or_b32 exec_lo, exec_lo, s33
	v_mov_b64_e32 v[16:17], 0
	v_mov_b64_e32 v[18:19], 0
	s_wait_dscnt 0x0
	s_barrier_signal -1
	s_barrier_wait -1
	global_wb scope:SCOPE_DEV
	s_wait_storecnt 0x0
	global_inv scope:SCOPE_DEV
	s_and_saveexec_b32 s33, s1
	s_cbranch_execz .LBB170_330
; %bb.327:                              ;   in Loop: Header=BB170_3 Depth=1
	ds_load_b128 v[16:19], v48 offset:5792
	ds_load_b128 v[202:205], v47 offset:5248
	s_wait_dscnt 0x0
	v_mul_f64_e32 v[2:3], v[18:19], v[204:205]
	v_mul_f64_e32 v[204:205], v[16:17], v[204:205]
	s_delay_alu instid0(VALU_DEP_2) | instskip(NEXT) | instid1(VALU_DEP_2)
	v_fma_f64 v[2:3], v[16:17], v[202:203], -v[2:3]
	v_fmac_f64_e32 v[204:205], v[18:19], v[202:203]
	s_delay_alu instid0(VALU_DEP_2) | instskip(NEXT) | instid1(VALU_DEP_2)
	v_add_f64_e32 v[16:17], 0, v[2:3]
	v_add_f64_e32 v[18:19], 0, v[204:205]
	s_and_saveexec_b32 s19, s2
	s_cbranch_execz .LBB170_329
; %bb.328:                              ;   in Loop: Header=BB170_3 Depth=1
	ds_load_b128 v[202:205], v1 offset:5808
	ds_load_b128 v[206:209], v104 offset:5760
	s_wait_dscnt 0x0
	v_mul_f64_e32 v[2:3], v[204:205], v[208:209]
	s_delay_alu instid0(VALU_DEP_1) | instskip(SKIP_1) | instid1(VALU_DEP_2)
	v_fma_f64 v[2:3], v[202:203], v[206:207], -v[2:3]
	v_mul_f64_e32 v[202:203], v[202:203], v[208:209]
	v_add_f64_e32 v[16:17], v[16:17], v[2:3]
	s_delay_alu instid0(VALU_DEP_2) | instskip(NEXT) | instid1(VALU_DEP_1)
	v_fmac_f64_e32 v[202:203], v[204:205], v[206:207]
	v_add_f64_e32 v[18:19], v[18:19], v[202:203]
.LBB170_329:                            ;   in Loop: Header=BB170_3 Depth=1
	s_or_b32 exec_lo, exec_lo, s19
.LBB170_330:                            ;   in Loop: Header=BB170_3 Depth=1
	s_delay_alu instid0(SALU_CYCLE_1)
	s_or_b32 exec_lo, exec_lo, s33
	s_and_saveexec_b32 s19, s62
	s_cbranch_execz .LBB170_332
; %bb.331:                              ;   in Loop: Header=BB170_3 Depth=1
	s_delay_alu instid0(VALU_DEP_2) | instskip(NEXT) | instid1(VALU_DEP_2)
	v_xor_b32_e32 v203, 0x80000000, v17
	v_xor_b32_e32 v205, 0x80000000, v19
	s_delay_alu instid0(VALU_DEP_3)
	v_dual_mov_b32 v202, v16 :: v_dual_mov_b32 v204, v18
	ds_store_b128 v46, v[202:205]
.LBB170_332:                            ;   in Loop: Header=BB170_3 Depth=1
	s_or_b32 exec_lo, exec_lo, s19
	s_wait_loadcnt_dscnt 0x0
	s_barrier_signal -1
	s_barrier_wait -1
	s_and_saveexec_b32 s19, s63
	s_cbranch_execz .LBB170_334
; %bb.333:                              ;   in Loop: Header=BB170_3 Depth=1
	ds_load_b128 v[202:205], v46
	ds_load_b128 v[206:209], v1 offset:4736
	s_wait_dscnt 0x0
	v_mul_f64_e32 v[2:3], v[202:203], v[206:207]
	v_mul_f64_e32 v[202:203], v[202:203], v[208:209]
	s_delay_alu instid0(VALU_DEP_2) | instskip(NEXT) | instid1(VALU_DEP_2)
	v_fma_f64 v[2:3], v[204:205], v[208:209], -v[2:3]
	v_fmac_f64_e32 v[202:203], v[204:205], v[206:207]
	s_delay_alu instid0(VALU_DEP_2) | instskip(NEXT) | instid1(VALU_DEP_2)
	v_add_f64_e32 v[16:17], v[16:17], v[2:3]
	v_add_f64_e64 v[18:19], v[18:19], -v[202:203]
.LBB170_334:                            ;   in Loop: Header=BB170_3 Depth=1
	s_or_b32 exec_lo, exec_lo, s19
	s_barrier_signal -1
	s_barrier_wait -1
	s_and_saveexec_b32 s19, s63
	s_cbranch_execz .LBB170_336
; %bb.335:                              ;   in Loop: Header=BB170_3 Depth=1
	s_delay_alu instid0(VALU_DEP_2) | instskip(NEXT) | instid1(VALU_DEP_2)
	v_xor_b32_e32 v203, 0x80000000, v17
	v_xor_b32_e32 v205, 0x80000000, v19
	s_delay_alu instid0(VALU_DEP_3)
	v_dual_mov_b32 v202, v16 :: v_dual_mov_b32 v204, v18
	ds_store_b128 v46, v[202:205]
.LBB170_336:                            ;   in Loop: Header=BB170_3 Depth=1
	s_or_b32 exec_lo, exec_lo, s19
	s_wait_dscnt 0x0
	s_barrier_signal -1
	s_barrier_wait -1
	s_barrier_signal -1
	s_barrier_wait -1
	s_and_saveexec_b32 s19, s1
; %bb.337:                              ;   in Loop: Header=BB170_3 Depth=1
	ds_store_b128 v50, v[16:19] offset:5760
; %bb.338:                              ;   in Loop: Header=BB170_3 Depth=1
	s_or_b32 exec_lo, exec_lo, s19
	s_wait_dscnt 0x0
	s_barrier_signal -1
	s_barrier_wait -1
	s_barrier_signal -1
	s_barrier_wait -1
	s_and_saveexec_b32 s19, s64
	s_cbranch_execz .LBB170_340
; %bb.339:                              ;   in Loop: Header=BB170_3 Depth=1
	ds_load_b128 v[16:19], v120
	s_wait_dscnt 0x0
	ds_store_b128 v182, v[16:19]
	ds_load_b128 v[16:19], v121
	s_wait_dscnt 0x0
	ds_store_b128 v183, v[16:19]
.LBB170_340:                            ;   in Loop: Header=BB170_3 Depth=1
	s_or_b32 exec_lo, exec_lo, s19
	s_wait_dscnt 0x0
	s_barrier_signal -1
	s_barrier_wait -1
	s_and_saveexec_b32 s33, s27
	s_cbranch_execz .LBB170_342
; %bb.341:                              ;   in Loop: Header=BB170_3 Depth=1
	s_mov_b32 s48, s35
	s_mov_b32 s50, s35
	;; [unrolled: 1-line block ×3, first 2 shown]
	v_mov_b64_e32 v[16:17], s[48:49]
	v_mov_b64_e32 v[18:19], s[50:51]
	ds_store_b128 v1, v[16:19] offset:4224
	ds_store_b128 v1, v[16:19] offset:4752
	ds_load_b128 v[16:19], v1 offset:4736
	s_wait_dscnt 0x0
	ds_store_b128 v1, v[16:19] offset:4240
.LBB170_342:                            ;   in Loop: Header=BB170_3 Depth=1
	s_or_b32 exec_lo, exec_lo, s33
	v_mov_b64_e32 v[18:19], 0
	v_mov_b64_e32 v[16:17], 0
	s_wait_dscnt 0x0
	s_barrier_signal -1
	s_barrier_wait -1
	global_wb scope:SCOPE_DEV
	s_wait_storecnt 0x0
	global_inv scope:SCOPE_DEV
	s_and_saveexec_b32 s33, s7
	s_cbranch_execz .LBB170_352
; %bb.343:                              ;   in Loop: Header=BB170_3 Depth=1
	ds_load_b128 v[16:19], v60 offset:7808
	ds_load_b128 v[202:205], v59 offset:4096
	s_wait_dscnt 0x0
	v_mul_f64_e32 v[2:3], v[18:19], v[204:205]
	v_mul_f64_e32 v[204:205], v[16:17], v[204:205]
	s_delay_alu instid0(VALU_DEP_2) | instskip(NEXT) | instid1(VALU_DEP_2)
	v_fma_f64 v[2:3], v[16:17], v[202:203], -v[2:3]
	v_fmac_f64_e32 v[204:205], v[18:19], v[202:203]
	s_delay_alu instid0(VALU_DEP_2) | instskip(NEXT) | instid1(VALU_DEP_2)
	v_add_f64_e32 v[16:17], 0, v[2:3]
	v_add_f64_e32 v[18:19], 0, v[204:205]
	s_and_saveexec_b32 s19, s11
	s_cbranch_execnz .LBB170_534
; %bb.344:                              ;   in Loop: Header=BB170_3 Depth=1
	s_or_b32 exec_lo, exec_lo, s19
	s_and_saveexec_b32 s19, s12
	s_cbranch_execnz .LBB170_535
.LBB170_345:                            ;   in Loop: Header=BB170_3 Depth=1
	s_or_b32 exec_lo, exec_lo, s19
	s_and_saveexec_b32 s19, s13
	s_cbranch_execnz .LBB170_536
.LBB170_346:                            ;   in Loop: Header=BB170_3 Depth=1
	s_or_b32 exec_lo, exec_lo, s19
	s_and_saveexec_b32 s19, s14
	s_cbranch_execnz .LBB170_537
.LBB170_347:                            ;   in Loop: Header=BB170_3 Depth=1
	s_or_b32 exec_lo, exec_lo, s19
	s_and_saveexec_b32 s19, s15
	s_cbranch_execnz .LBB170_538
.LBB170_348:                            ;   in Loop: Header=BB170_3 Depth=1
	s_or_b32 exec_lo, exec_lo, s19
	s_and_saveexec_b32 s19, s4
	s_cbranch_execnz .LBB170_539
.LBB170_349:                            ;   in Loop: Header=BB170_3 Depth=1
	s_or_b32 exec_lo, exec_lo, s19
	s_and_saveexec_b32 s19, s6
	s_cbranch_execz .LBB170_351
.LBB170_350:                            ;   in Loop: Header=BB170_3 Depth=1
	ds_load_b128 v[202:205], v1 offset:7920
	ds_load_b128 v[206:209], v49 offset:7680
	s_wait_dscnt 0x0
	v_mul_f64_e32 v[2:3], v[204:205], v[208:209]
	s_delay_alu instid0(VALU_DEP_1) | instskip(SKIP_1) | instid1(VALU_DEP_2)
	v_fma_f64 v[2:3], v[202:203], v[206:207], -v[2:3]
	v_mul_f64_e32 v[202:203], v[202:203], v[208:209]
	v_add_f64_e32 v[16:17], v[16:17], v[2:3]
	s_delay_alu instid0(VALU_DEP_2) | instskip(NEXT) | instid1(VALU_DEP_1)
	v_fmac_f64_e32 v[202:203], v[204:205], v[206:207]
	v_add_f64_e32 v[18:19], v[18:19], v[202:203]
.LBB170_351:                            ;   in Loop: Header=BB170_3 Depth=1
	s_or_b32 exec_lo, exec_lo, s19
.LBB170_352:                            ;   in Loop: Header=BB170_3 Depth=1
	s_delay_alu instid0(SALU_CYCLE_1)
	s_or_b32 exec_lo, exec_lo, s33
	s_and_saveexec_b32 s19, s72
	s_cbranch_execz .LBB170_354
; %bb.353:                              ;   in Loop: Header=BB170_3 Depth=1
	s_delay_alu instid0(VALU_DEP_2) | instskip(NEXT) | instid1(VALU_DEP_2)
	v_xor_b32_e32 v203, 0x80000000, v17
	v_xor_b32_e32 v205, 0x80000000, v19
	s_delay_alu instid0(VALU_DEP_3)
	v_dual_mov_b32 v202, v16 :: v_dual_mov_b32 v204, v18
	ds_store_b128 v58, v[202:205]
.LBB170_354:                            ;   in Loop: Header=BB170_3 Depth=1
	s_or_b32 exec_lo, exec_lo, s19
	s_wait_loadcnt_dscnt 0x0
	s_barrier_signal -1
	s_barrier_wait -1
	s_and_saveexec_b32 s19, s73
	s_cbranch_execz .LBB170_356
; %bb.355:                              ;   in Loop: Header=BB170_3 Depth=1
	ds_load_b128 v[202:205], v58
	ds_load_b128 v[206:209], v59 offset:3584
	s_wait_dscnt 0x0
	v_mul_f64_e32 v[2:3], v[204:205], v[208:209]
	s_delay_alu instid0(VALU_DEP_1) | instskip(SKIP_1) | instid1(VALU_DEP_2)
	v_fma_f64 v[2:3], v[202:203], v[206:207], -v[2:3]
	v_mul_f64_e32 v[202:203], v[202:203], v[208:209]
	v_add_f64_e64 v[16:17], v[16:17], -v[2:3]
	s_delay_alu instid0(VALU_DEP_2) | instskip(NEXT) | instid1(VALU_DEP_1)
	v_fmac_f64_e32 v[202:203], v[204:205], v[206:207]
	v_add_f64_e64 v[18:19], v[18:19], -v[202:203]
.LBB170_356:                            ;   in Loop: Header=BB170_3 Depth=1
	s_or_b32 exec_lo, exec_lo, s19
	s_barrier_signal -1
	s_barrier_wait -1
	s_and_saveexec_b32 s19, s74
	s_cbranch_execz .LBB170_358
; %bb.357:                              ;   in Loop: Header=BB170_3 Depth=1
	s_delay_alu instid0(VALU_DEP_2) | instskip(NEXT) | instid1(VALU_DEP_2)
	v_xor_b32_e32 v203, 0x80000000, v17
	v_xor_b32_e32 v205, 0x80000000, v19
	s_delay_alu instid0(VALU_DEP_3)
	v_dual_mov_b32 v202, v16 :: v_dual_mov_b32 v204, v18
	ds_store_b128 v58, v[202:205]
.LBB170_358:                            ;   in Loop: Header=BB170_3 Depth=1
	s_or_b32 exec_lo, exec_lo, s19
	s_wait_dscnt 0x0
	s_barrier_signal -1
	s_barrier_wait -1
	s_and_saveexec_b32 s19, s75
	s_cbranch_execz .LBB170_360
; %bb.359:                              ;   in Loop: Header=BB170_3 Depth=1
	ds_load_b128 v[202:205], v58
	ds_load_b128 v[206:209], v59 offset:3072
	s_wait_dscnt 0x0
	v_mul_f64_e32 v[2:3], v[204:205], v[208:209]
	s_delay_alu instid0(VALU_DEP_1) | instskip(SKIP_1) | instid1(VALU_DEP_2)
	v_fma_f64 v[2:3], v[202:203], v[206:207], -v[2:3]
	v_mul_f64_e32 v[202:203], v[202:203], v[208:209]
	v_add_f64_e64 v[16:17], v[16:17], -v[2:3]
	s_delay_alu instid0(VALU_DEP_2) | instskip(NEXT) | instid1(VALU_DEP_1)
	v_fmac_f64_e32 v[202:203], v[204:205], v[206:207]
	v_add_f64_e64 v[18:19], v[18:19], -v[202:203]
.LBB170_360:                            ;   in Loop: Header=BB170_3 Depth=1
	s_or_b32 exec_lo, exec_lo, s19
	s_barrier_signal -1
	s_barrier_wait -1
	s_and_saveexec_b32 s19, s76
	s_cbranch_execz .LBB170_362
; %bb.361:                              ;   in Loop: Header=BB170_3 Depth=1
	s_delay_alu instid0(VALU_DEP_2) | instskip(NEXT) | instid1(VALU_DEP_2)
	v_xor_b32_e32 v203, 0x80000000, v17
	v_xor_b32_e32 v205, 0x80000000, v19
	s_delay_alu instid0(VALU_DEP_3)
	v_dual_mov_b32 v202, v16 :: v_dual_mov_b32 v204, v18
	ds_store_b128 v58, v[202:205]
.LBB170_362:                            ;   in Loop: Header=BB170_3 Depth=1
	s_or_b32 exec_lo, exec_lo, s19
	s_wait_dscnt 0x0
	;; [unrolled: 32-line block ×7, first 2 shown]
	s_barrier_signal -1
	s_barrier_wait -1
	s_barrier_signal -1
	s_barrier_wait -1
	s_and_saveexec_b32 s19, s7
; %bb.383:                              ;   in Loop: Header=BB170_3 Depth=1
	ds_store_b128 v61, v[16:19] offset:7680
; %bb.384:                              ;   in Loop: Header=BB170_3 Depth=1
	s_or_b32 exec_lo, exec_lo, s19
	s_wait_dscnt 0x0
	s_barrier_signal -1
	s_barrier_wait -1
	s_barrier_signal -1
	s_barrier_wait -1
	s_and_saveexec_b32 s19, s86
	s_cbranch_execz .LBB170_386
; %bb.385:                              ;   in Loop: Header=BB170_3 Depth=1
	ds_load_b128 v[16:19], v92
	s_wait_dscnt 0x0
	ds_store_b128 v184, v[16:19]
	ds_load_b128 v[16:19], v93
	s_wait_dscnt 0x0
	ds_store_b128 v185, v[16:19]
	;; [unrolled: 3-line block ×8, first 2 shown]
.LBB170_386:                            ;   in Loop: Header=BB170_3 Depth=1
	s_or_b32 exec_lo, exec_lo, s19
	s_wait_dscnt 0x0
	s_barrier_signal -1
	s_barrier_wait -1
	s_and_saveexec_b32 s33, s27
	s_cbranch_execz .LBB170_388
; %bb.387:                              ;   in Loop: Header=BB170_3 Depth=1
	s_mov_b32 s48, s35
	s_mov_b32 s50, s35
	;; [unrolled: 1-line block ×3, first 2 shown]
	v_mov_b64_e32 v[16:17], s[48:49]
	v_mov_b64_e32 v[18:19], s[50:51]
	ds_store_b128 v1, v[16:19] offset:3168
	ds_store_b128 v1, v[16:19] offset:3696
	ds_load_b128 v[16:19], v1 offset:3680
	s_wait_dscnt 0x0
	ds_store_b128 v1, v[16:19] offset:3184
.LBB170_388:                            ;   in Loop: Header=BB170_3 Depth=1
	s_or_b32 exec_lo, exec_lo, s33
	v_mov_b64_e32 v[16:17], 0
	v_mov_b64_e32 v[18:19], 0
	s_wait_dscnt 0x0
	s_barrier_signal -1
	s_barrier_wait -1
	global_wb scope:SCOPE_DEV
	s_wait_storecnt 0x0
	global_inv scope:SCOPE_DEV
	s_and_saveexec_b32 s33, s1
	s_cbranch_execz .LBB170_392
; %bb.389:                              ;   in Loop: Header=BB170_3 Depth=1
	ds_load_b128 v[16:19], v48 offset:3680
	ds_load_b128 v[202:205], v47 offset:3136
	s_wait_dscnt 0x0
	v_mul_f64_e32 v[2:3], v[18:19], v[204:205]
	v_mul_f64_e32 v[204:205], v[16:17], v[204:205]
	s_delay_alu instid0(VALU_DEP_2) | instskip(NEXT) | instid1(VALU_DEP_2)
	v_fma_f64 v[2:3], v[16:17], v[202:203], -v[2:3]
	v_fmac_f64_e32 v[204:205], v[18:19], v[202:203]
	s_delay_alu instid0(VALU_DEP_2) | instskip(NEXT) | instid1(VALU_DEP_2)
	v_add_f64_e32 v[16:17], 0, v[2:3]
	v_add_f64_e32 v[18:19], 0, v[204:205]
	s_and_saveexec_b32 s19, s2
	s_cbranch_execz .LBB170_391
; %bb.390:                              ;   in Loop: Header=BB170_3 Depth=1
	ds_load_b128 v[202:205], v1 offset:3696
	ds_load_b128 v[206:209], v53 offset:3648
	s_wait_dscnt 0x0
	v_mul_f64_e32 v[2:3], v[204:205], v[208:209]
	s_delay_alu instid0(VALU_DEP_1) | instskip(SKIP_1) | instid1(VALU_DEP_2)
	v_fma_f64 v[2:3], v[202:203], v[206:207], -v[2:3]
	v_mul_f64_e32 v[202:203], v[202:203], v[208:209]
	v_add_f64_e32 v[16:17], v[16:17], v[2:3]
	s_delay_alu instid0(VALU_DEP_2) | instskip(NEXT) | instid1(VALU_DEP_1)
	v_fmac_f64_e32 v[202:203], v[204:205], v[206:207]
	v_add_f64_e32 v[18:19], v[18:19], v[202:203]
.LBB170_391:                            ;   in Loop: Header=BB170_3 Depth=1
	s_or_b32 exec_lo, exec_lo, s19
.LBB170_392:                            ;   in Loop: Header=BB170_3 Depth=1
	s_delay_alu instid0(SALU_CYCLE_1)
	s_or_b32 exec_lo, exec_lo, s33
	s_and_saveexec_b32 s19, s62
	s_cbranch_execz .LBB170_394
; %bb.393:                              ;   in Loop: Header=BB170_3 Depth=1
	s_delay_alu instid0(VALU_DEP_2) | instskip(NEXT) | instid1(VALU_DEP_2)
	v_xor_b32_e32 v203, 0x80000000, v17
	v_xor_b32_e32 v205, 0x80000000, v19
	s_delay_alu instid0(VALU_DEP_3)
	v_dual_mov_b32 v202, v16 :: v_dual_mov_b32 v204, v18
	ds_store_b128 v46, v[202:205]
.LBB170_394:                            ;   in Loop: Header=BB170_3 Depth=1
	s_or_b32 exec_lo, exec_lo, s19
	s_wait_loadcnt_dscnt 0x0
	s_barrier_signal -1
	s_barrier_wait -1
	s_and_saveexec_b32 s19, s63
	s_cbranch_execz .LBB170_396
; %bb.395:                              ;   in Loop: Header=BB170_3 Depth=1
	ds_load_b128 v[202:205], v46
	ds_load_b128 v[206:209], v1 offset:2624
	s_wait_dscnt 0x0
	v_mul_f64_e32 v[2:3], v[202:203], v[206:207]
	v_mul_f64_e32 v[202:203], v[202:203], v[208:209]
	s_delay_alu instid0(VALU_DEP_2) | instskip(NEXT) | instid1(VALU_DEP_2)
	v_fma_f64 v[2:3], v[204:205], v[208:209], -v[2:3]
	v_fmac_f64_e32 v[202:203], v[204:205], v[206:207]
	s_delay_alu instid0(VALU_DEP_2) | instskip(NEXT) | instid1(VALU_DEP_2)
	v_add_f64_e32 v[16:17], v[16:17], v[2:3]
	v_add_f64_e64 v[18:19], v[18:19], -v[202:203]
.LBB170_396:                            ;   in Loop: Header=BB170_3 Depth=1
	s_or_b32 exec_lo, exec_lo, s19
	s_barrier_signal -1
	s_barrier_wait -1
	s_and_saveexec_b32 s19, s63
	s_cbranch_execz .LBB170_398
; %bb.397:                              ;   in Loop: Header=BB170_3 Depth=1
	s_delay_alu instid0(VALU_DEP_2) | instskip(NEXT) | instid1(VALU_DEP_2)
	v_xor_b32_e32 v203, 0x80000000, v17
	v_xor_b32_e32 v205, 0x80000000, v19
	s_delay_alu instid0(VALU_DEP_3)
	v_dual_mov_b32 v202, v16 :: v_dual_mov_b32 v204, v18
	ds_store_b128 v46, v[202:205]
.LBB170_398:                            ;   in Loop: Header=BB170_3 Depth=1
	s_or_b32 exec_lo, exec_lo, s19
	s_wait_dscnt 0x0
	s_barrier_signal -1
	s_barrier_wait -1
	s_barrier_signal -1
	s_barrier_wait -1
	s_and_saveexec_b32 s19, s1
; %bb.399:                              ;   in Loop: Header=BB170_3 Depth=1
	ds_store_b128 v50, v[16:19] offset:3648
; %bb.400:                              ;   in Loop: Header=BB170_3 Depth=1
	s_or_b32 exec_lo, exec_lo, s19
	s_wait_dscnt 0x0
	s_barrier_signal -1
	s_barrier_wait -1
	s_barrier_signal -1
	s_barrier_wait -1
	s_and_saveexec_b32 s19, s64
	s_cbranch_execz .LBB170_402
; %bb.401:                              ;   in Loop: Header=BB170_3 Depth=1
	ds_load_b128 v[16:19], v111
	s_wait_dscnt 0x0
	ds_store_b128 v192, v[16:19]
	ds_load_b128 v[16:19], v112
	s_wait_dscnt 0x0
	ds_store_b128 v193, v[16:19]
.LBB170_402:                            ;   in Loop: Header=BB170_3 Depth=1
	s_or_b32 exec_lo, exec_lo, s19
	s_wait_dscnt 0x0
	s_barrier_signal -1
	s_barrier_wait -1
	s_and_saveexec_b32 s33, s27
	s_cbranch_execz .LBB170_404
; %bb.403:                              ;   in Loop: Header=BB170_3 Depth=1
	s_mov_b32 s48, s35
	s_mov_b32 s50, s35
	;; [unrolled: 1-line block ×3, first 2 shown]
	v_mov_b64_e32 v[16:17], s[48:49]
	v_mov_b64_e32 v[18:19], s[50:51]
	ds_store_b128 v1, v[16:19] offset:2112
	ds_store_b128 v1, v[16:19] offset:2640
	ds_load_b128 v[16:19], v1 offset:2624
	s_wait_dscnt 0x0
	ds_store_b128 v1, v[16:19] offset:2128
.LBB170_404:                            ;   in Loop: Header=BB170_3 Depth=1
	s_or_b32 exec_lo, exec_lo, s33
	v_mov_b64_e32 v[18:19], 0
	v_mov_b64_e32 v[16:17], 0
	s_wait_dscnt 0x0
	s_barrier_signal -1
	s_barrier_wait -1
	global_wb scope:SCOPE_DEV
	s_wait_storecnt 0x0
	global_inv scope:SCOPE_DEV
	s_and_saveexec_b32 s33, s4
	s_cbranch_execz .LBB170_410
; %bb.405:                              ;   in Loop: Header=BB170_3 Depth=1
	ds_load_b128 v[16:19], v56 offset:3648
	ds_load_b128 v[202:205], v55 offset:2048
	s_wait_dscnt 0x0
	v_mul_f64_e32 v[2:3], v[18:19], v[204:205]
	v_mul_f64_e32 v[204:205], v[16:17], v[204:205]
	s_delay_alu instid0(VALU_DEP_2) | instskip(NEXT) | instid1(VALU_DEP_2)
	v_fma_f64 v[2:3], v[16:17], v[202:203], -v[2:3]
	v_fmac_f64_e32 v[204:205], v[18:19], v[202:203]
	s_delay_alu instid0(VALU_DEP_2) | instskip(NEXT) | instid1(VALU_DEP_2)
	v_add_f64_e32 v[16:17], 0, v[2:3]
	v_add_f64_e32 v[18:19], 0, v[204:205]
	s_and_saveexec_b32 s19, s5
	s_cbranch_execnz .LBB170_540
; %bb.406:                              ;   in Loop: Header=BB170_3 Depth=1
	s_or_b32 exec_lo, exec_lo, s19
	s_and_saveexec_b32 s19, s6
	s_cbranch_execnz .LBB170_541
.LBB170_407:                            ;   in Loop: Header=BB170_3 Depth=1
	s_or_b32 exec_lo, exec_lo, s19
	s_and_saveexec_b32 s19, s1
	s_cbranch_execz .LBB170_409
.LBB170_408:                            ;   in Loop: Header=BB170_3 Depth=1
	ds_load_b128 v[202:205], v1 offset:3696
	ds_load_b128 v[206:209], v104 offset:3584
	s_wait_dscnt 0x0
	v_mul_f64_e32 v[2:3], v[204:205], v[208:209]
	s_delay_alu instid0(VALU_DEP_1) | instskip(SKIP_1) | instid1(VALU_DEP_2)
	v_fma_f64 v[2:3], v[202:203], v[206:207], -v[2:3]
	v_mul_f64_e32 v[202:203], v[202:203], v[208:209]
	v_add_f64_e32 v[16:17], v[16:17], v[2:3]
	s_delay_alu instid0(VALU_DEP_2) | instskip(NEXT) | instid1(VALU_DEP_1)
	v_fmac_f64_e32 v[202:203], v[204:205], v[206:207]
	v_add_f64_e32 v[18:19], v[18:19], v[202:203]
.LBB170_409:                            ;   in Loop: Header=BB170_3 Depth=1
	s_or_b32 exec_lo, exec_lo, s19
.LBB170_410:                            ;   in Loop: Header=BB170_3 Depth=1
	s_delay_alu instid0(SALU_CYCLE_1)
	s_or_b32 exec_lo, exec_lo, s33
	s_and_saveexec_b32 s19, s65
	s_cbranch_execz .LBB170_412
; %bb.411:                              ;   in Loop: Header=BB170_3 Depth=1
	s_delay_alu instid0(VALU_DEP_1) | instskip(NEXT) | instid1(VALU_DEP_3)
	v_xor_b32_e32 v205, 0x80000000, v19
	v_xor_b32_e32 v203, 0x80000000, v17
	s_delay_alu instid0(VALU_DEP_3)
	v_dual_mov_b32 v202, v16 :: v_dual_mov_b32 v204, v18
	ds_store_b128 v54, v[202:205]
.LBB170_412:                            ;   in Loop: Header=BB170_3 Depth=1
	s_or_b32 exec_lo, exec_lo, s19
	s_wait_loadcnt_dscnt 0x0
	s_barrier_signal -1
	s_barrier_wait -1
	s_and_saveexec_b32 s19, s66
	s_cbranch_execz .LBB170_414
; %bb.413:                              ;   in Loop: Header=BB170_3 Depth=1
	ds_load_b128 v[202:205], v54
	ds_load_b128 v[206:209], v55 offset:1536
	s_wait_dscnt 0x0
	v_mul_f64_e32 v[2:3], v[204:205], v[208:209]
	s_delay_alu instid0(VALU_DEP_1) | instskip(SKIP_1) | instid1(VALU_DEP_2)
	v_fma_f64 v[2:3], v[202:203], v[206:207], -v[2:3]
	v_mul_f64_e32 v[202:203], v[202:203], v[208:209]
	v_add_f64_e64 v[16:17], v[16:17], -v[2:3]
	s_delay_alu instid0(VALU_DEP_2) | instskip(NEXT) | instid1(VALU_DEP_1)
	v_fmac_f64_e32 v[202:203], v[204:205], v[206:207]
	v_add_f64_e64 v[18:19], v[18:19], -v[202:203]
.LBB170_414:                            ;   in Loop: Header=BB170_3 Depth=1
	s_or_b32 exec_lo, exec_lo, s19
	s_barrier_signal -1
	s_barrier_wait -1
	s_and_saveexec_b32 s19, s67
	s_cbranch_execz .LBB170_416
; %bb.415:                              ;   in Loop: Header=BB170_3 Depth=1
	s_delay_alu instid0(VALU_DEP_1) | instskip(NEXT) | instid1(VALU_DEP_3)
	v_xor_b32_e32 v205, 0x80000000, v19
	v_xor_b32_e32 v203, 0x80000000, v17
	s_delay_alu instid0(VALU_DEP_3)
	v_dual_mov_b32 v202, v16 :: v_dual_mov_b32 v204, v18
	ds_store_b128 v54, v[202:205]
.LBB170_416:                            ;   in Loop: Header=BB170_3 Depth=1
	s_or_b32 exec_lo, exec_lo, s19
	s_wait_dscnt 0x0
	s_barrier_signal -1
	s_barrier_wait -1
	s_and_saveexec_b32 s19, s68
	s_cbranch_execz .LBB170_418
; %bb.417:                              ;   in Loop: Header=BB170_3 Depth=1
	ds_load_b128 v[202:205], v54
	ds_load_b128 v[206:209], v55 offset:1024
	s_wait_dscnt 0x0
	v_mul_f64_e32 v[2:3], v[204:205], v[208:209]
	s_delay_alu instid0(VALU_DEP_1) | instskip(SKIP_1) | instid1(VALU_DEP_2)
	v_fma_f64 v[2:3], v[202:203], v[206:207], -v[2:3]
	v_mul_f64_e32 v[202:203], v[202:203], v[208:209]
	v_add_f64_e64 v[16:17], v[16:17], -v[2:3]
	s_delay_alu instid0(VALU_DEP_2) | instskip(NEXT) | instid1(VALU_DEP_1)
	v_fmac_f64_e32 v[202:203], v[204:205], v[206:207]
	v_add_f64_e64 v[18:19], v[18:19], -v[202:203]
.LBB170_418:                            ;   in Loop: Header=BB170_3 Depth=1
	s_or_b32 exec_lo, exec_lo, s19
	s_barrier_signal -1
	s_barrier_wait -1
	s_and_saveexec_b32 s19, s69
	s_cbranch_execz .LBB170_420
; %bb.419:                              ;   in Loop: Header=BB170_3 Depth=1
	s_delay_alu instid0(VALU_DEP_1) | instskip(NEXT) | instid1(VALU_DEP_3)
	v_xor_b32_e32 v205, 0x80000000, v19
	v_xor_b32_e32 v203, 0x80000000, v17
	s_delay_alu instid0(VALU_DEP_3)
	v_dual_mov_b32 v202, v16 :: v_dual_mov_b32 v204, v18
	ds_store_b128 v54, v[202:205]
.LBB170_420:                            ;   in Loop: Header=BB170_3 Depth=1
	s_or_b32 exec_lo, exec_lo, s19
	s_wait_dscnt 0x0
	;; [unrolled: 32-line block ×3, first 2 shown]
	s_barrier_signal -1
	s_barrier_wait -1
	s_barrier_signal -1
	s_barrier_wait -1
	s_and_saveexec_b32 s19, s4
; %bb.425:                              ;   in Loop: Header=BB170_3 Depth=1
	ds_store_b128 v57, v[16:19] offset:3584
; %bb.426:                              ;   in Loop: Header=BB170_3 Depth=1
	s_or_b32 exec_lo, exec_lo, s19
	s_wait_dscnt 0x0
	s_barrier_signal -1
	s_barrier_wait -1
	s_barrier_signal -1
	s_barrier_wait -1
	s_and_saveexec_b32 s19, s71
	s_cbranch_execz .LBB170_428
; %bb.427:                              ;   in Loop: Header=BB170_3 Depth=1
	ds_load_b128 v[16:19], v122
	s_wait_dscnt 0x0
	ds_store_b128 v194, v[16:19]
	ds_load_b128 v[16:19], v125
	s_wait_dscnt 0x0
	ds_store_b128 v21, v[16:19]
	;; [unrolled: 3-line block ×4, first 2 shown]
.LBB170_428:                            ;   in Loop: Header=BB170_3 Depth=1
	s_or_b32 exec_lo, exec_lo, s19
	s_wait_dscnt 0x0
	s_barrier_signal -1
	s_barrier_wait -1
	s_and_saveexec_b32 s33, s27
	s_cbranch_execz .LBB170_430
; %bb.429:                              ;   in Loop: Header=BB170_3 Depth=1
	s_mov_b32 s48, s35
	s_mov_b32 s50, s35
	;; [unrolled: 1-line block ×3, first 2 shown]
	v_mov_b64_e32 v[16:17], s[48:49]
	v_mov_b64_e32 v[18:19], s[50:51]
	ds_store_b128 v1, v[16:19] offset:1056
	ds_store_b128 v1, v[16:19] offset:1584
	ds_load_b128 v[16:19], v1 offset:1568
	s_wait_dscnt 0x0
	ds_store_b128 v1, v[16:19] offset:1072
.LBB170_430:                            ;   in Loop: Header=BB170_3 Depth=1
	s_or_b32 exec_lo, exec_lo, s33
	v_mov_b64_e32 v[16:17], 0
	v_mov_b64_e32 v[18:19], 0
	s_wait_dscnt 0x0
	s_barrier_signal -1
	s_barrier_wait -1
	global_wb scope:SCOPE_DEV
	s_wait_storecnt 0x0
	global_inv scope:SCOPE_DEV
	s_and_saveexec_b32 s33, s1
	s_cbranch_execz .LBB170_434
; %bb.431:                              ;   in Loop: Header=BB170_3 Depth=1
	ds_load_b128 v[16:19], v48 offset:1568
	ds_load_b128 v[202:205], v47 offset:1024
	s_wait_dscnt 0x0
	v_mul_f64_e32 v[2:3], v[18:19], v[204:205]
	v_mul_f64_e32 v[204:205], v[16:17], v[204:205]
	s_delay_alu instid0(VALU_DEP_2) | instskip(NEXT) | instid1(VALU_DEP_2)
	v_fma_f64 v[2:3], v[16:17], v[202:203], -v[2:3]
	v_fmac_f64_e32 v[204:205], v[18:19], v[202:203]
	s_delay_alu instid0(VALU_DEP_2) | instskip(NEXT) | instid1(VALU_DEP_2)
	v_add_f64_e32 v[16:17], 0, v[2:3]
	v_add_f64_e32 v[18:19], 0, v[204:205]
	s_and_saveexec_b32 s19, s2
	s_cbranch_execz .LBB170_433
; %bb.432:                              ;   in Loop: Header=BB170_3 Depth=1
	ds_load_b128 v[202:205], v1 offset:1584
	ds_load_b128 v[206:209], v115 offset:1536
	s_wait_dscnt 0x0
	v_mul_f64_e32 v[2:3], v[204:205], v[208:209]
	s_delay_alu instid0(VALU_DEP_1) | instskip(SKIP_1) | instid1(VALU_DEP_2)
	v_fma_f64 v[2:3], v[202:203], v[206:207], -v[2:3]
	v_mul_f64_e32 v[202:203], v[202:203], v[208:209]
	v_add_f64_e32 v[16:17], v[16:17], v[2:3]
	s_delay_alu instid0(VALU_DEP_2) | instskip(NEXT) | instid1(VALU_DEP_1)
	v_fmac_f64_e32 v[202:203], v[204:205], v[206:207]
	v_add_f64_e32 v[18:19], v[18:19], v[202:203]
.LBB170_433:                            ;   in Loop: Header=BB170_3 Depth=1
	s_or_b32 exec_lo, exec_lo, s19
.LBB170_434:                            ;   in Loop: Header=BB170_3 Depth=1
	s_delay_alu instid0(SALU_CYCLE_1)
	s_or_b32 exec_lo, exec_lo, s33
	s_and_saveexec_b32 s19, s62
	s_cbranch_execz .LBB170_436
; %bb.435:                              ;   in Loop: Header=BB170_3 Depth=1
	s_delay_alu instid0(VALU_DEP_2) | instskip(NEXT) | instid1(VALU_DEP_2)
	v_xor_b32_e32 v203, 0x80000000, v17
	v_xor_b32_e32 v205, 0x80000000, v19
	s_delay_alu instid0(VALU_DEP_3)
	v_dual_mov_b32 v202, v16 :: v_dual_mov_b32 v204, v18
	ds_store_b128 v46, v[202:205]
.LBB170_436:                            ;   in Loop: Header=BB170_3 Depth=1
	s_or_b32 exec_lo, exec_lo, s19
	s_wait_loadcnt_dscnt 0x0
	s_barrier_signal -1
	s_barrier_wait -1
	s_and_saveexec_b32 s19, s63
	s_cbranch_execz .LBB170_438
; %bb.437:                              ;   in Loop: Header=BB170_3 Depth=1
	ds_load_b128 v[202:205], v46
	ds_load_b128 v[206:209], v1 offset:512
	s_wait_dscnt 0x0
	v_mul_f64_e32 v[2:3], v[202:203], v[206:207]
	v_mul_f64_e32 v[202:203], v[202:203], v[208:209]
	s_delay_alu instid0(VALU_DEP_2) | instskip(NEXT) | instid1(VALU_DEP_2)
	v_fma_f64 v[2:3], v[204:205], v[208:209], -v[2:3]
	v_fmac_f64_e32 v[202:203], v[204:205], v[206:207]
	s_delay_alu instid0(VALU_DEP_2) | instskip(NEXT) | instid1(VALU_DEP_2)
	v_add_f64_e32 v[16:17], v[16:17], v[2:3]
	v_add_f64_e64 v[18:19], v[18:19], -v[202:203]
.LBB170_438:                            ;   in Loop: Header=BB170_3 Depth=1
	s_or_b32 exec_lo, exec_lo, s19
	s_barrier_signal -1
	s_barrier_wait -1
	s_and_saveexec_b32 s19, s63
	s_cbranch_execz .LBB170_440
; %bb.439:                              ;   in Loop: Header=BB170_3 Depth=1
	s_delay_alu instid0(VALU_DEP_2) | instskip(NEXT) | instid1(VALU_DEP_2)
	v_xor_b32_e32 v203, 0x80000000, v17
	v_xor_b32_e32 v205, 0x80000000, v19
	s_delay_alu instid0(VALU_DEP_3)
	v_dual_mov_b32 v202, v16 :: v_dual_mov_b32 v204, v18
	ds_store_b128 v46, v[202:205]
.LBB170_440:                            ;   in Loop: Header=BB170_3 Depth=1
	s_or_b32 exec_lo, exec_lo, s19
	s_wait_dscnt 0x0
	s_barrier_signal -1
	s_barrier_wait -1
	s_barrier_signal -1
	s_barrier_wait -1
	s_and_saveexec_b32 s19, s1
; %bb.441:                              ;   in Loop: Header=BB170_3 Depth=1
	ds_store_b128 v50, v[16:19] offset:1536
; %bb.442:                              ;   in Loop: Header=BB170_3 Depth=1
	s_or_b32 exec_lo, exec_lo, s19
	s_wait_dscnt 0x0
	s_barrier_signal -1
	s_barrier_wait -1
	s_barrier_signal -1
	s_barrier_wait -1
	s_and_saveexec_b32 s19, s64
	s_cbranch_execz .LBB170_444
; %bb.443:                              ;   in Loop: Header=BB170_3 Depth=1
	ds_load_b128 v[16:19], v128
	s_wait_dscnt 0x0
	ds_store_b128 v134, v[16:19]
	ds_load_b128 v[16:19], v129
	s_wait_dscnt 0x0
	ds_store_b128 v25, v[16:19]
.LBB170_444:                            ;   in Loop: Header=BB170_3 Depth=1
	s_or_b32 exec_lo, exec_lo, s19
	s_wait_dscnt 0x0
	s_barrier_signal -1
	s_barrier_wait -1
	s_and_saveexec_b32 s33, s27
	s_cbranch_execz .LBB170_446
; %bb.445:                              ;   in Loop: Header=BB170_3 Depth=1
	s_mov_b32 s48, s35
	s_mov_b32 s50, s35
	;; [unrolled: 1-line block ×3, first 2 shown]
	v_mov_b64_e32 v[16:17], s[48:49]
	v_mov_b64_e32 v[18:19], s[50:51]
	ds_store_b128 v1, v[16:19]
	ds_store_b128 v1, v[16:19] offset:528
	ds_load_b128 v[16:19], v1 offset:512
	s_wait_dscnt 0x0
	ds_store_b128 v1, v[16:19] offset:16
.LBB170_446:                            ;   in Loop: Header=BB170_3 Depth=1
	s_or_b32 exec_lo, exec_lo, s33
.LBB170_447:                            ;   in Loop: Header=BB170_3 Depth=1
	v_mov_b64_e32 v[16:17], 0
	v_add_nc_u64_e32 v[44:45], s[40:41], v[44:45]
	s_wait_dscnt 0x0
	s_barrier_signal -1
	s_barrier_wait -1
	s_delay_alu instid0(VALU_DEP_2)
	v_mov_b64_e32 v[18:19], v[16:17]
	s_wait_xcnt 0x0
	s_and_saveexec_b32 s19, s93
	s_cbranch_execz .LBB170_449
; %bb.448:                              ;   in Loop: Header=BB170_3 Depth=1
	v_lshl_add_u64 v[2:3], v[30:31], 4, v[44:45]
	flat_load_b128 v[202:205], v[2:3]
	s_wait_loadcnt_dscnt 0x0
	v_mul_f64_e32 v[2:3], v[12:13], v[202:203]
	s_delay_alu instid0(VALU_DEP_1) | instskip(SKIP_1) | instid1(VALU_DEP_1)
	v_fma_f64 v[16:17], v[14:15], v[204:205], -v[2:3]
	v_mul_f64_e32 v[2:3], v[12:13], v[204:205]
	v_fma_f64 v[18:19], v[202:203], -v[14:15], -v[2:3]
.LBB170_449:                            ;   in Loop: Header=BB170_3 Depth=1
	s_or_b32 exec_lo, exec_lo, s19
	s_delay_alu instid0(SALU_CYCLE_1)
	s_and_not1_b32 vcc_lo, exec_lo, s94
	s_cbranch_vccnz .LBB170_472
; %bb.450:                              ;   in Loop: Header=BB170_3 Depth=1
	v_mov_b32_e32 v41, -1
	s_lshl_b64 s[50:51], s[34:35], 2
	s_mov_b32 s48, 0
	s_add_nc_u64 s[50:51], s[52:53], s[50:51]
	s_branch .LBB170_453
.LBB170_451:                            ;   in Loop: Header=BB170_453 Depth=2
	ds_load_b128 v[202:205], v131 offset:256
	s_wait_loadcnt_dscnt 0x0
	v_mul_f64_e32 v[2:3], v[14:15], v[204:205]
	s_delay_alu instid0(VALU_DEP_1) | instskip(SKIP_1) | instid1(VALU_DEP_2)
	v_fma_f64 v[2:3], v[12:13], v[202:203], -v[2:3]
	v_mul_f64_e32 v[12:13], v[12:13], v[204:205]
	v_add_f64_e32 v[16:17], v[16:17], v[2:3]
	s_delay_alu instid0(VALU_DEP_2) | instskip(NEXT) | instid1(VALU_DEP_1)
	v_fmac_f64_e32 v[12:13], v[14:15], v[202:203]
	v_add_f64_e32 v[18:19], v[18:19], v[12:13]
.LBB170_452:                            ;   in Loop: Header=BB170_453 Depth=2
	s_or_b32 exec_lo, exec_lo, s33
	s_add_co_i32 s48, s48, 1
	s_delay_alu instid0(SALU_CYCLE_1)
	s_cmp_eq_u32 s48, s58
	s_cbranch_scc1 .LBB170_472
.LBB170_453:                            ;   Parent Loop BB170_3 Depth=1
                                        ; =>  This Loop Header: Depth=2
                                        ;       Child Loop BB170_455 Depth 3
	v_cmp_gt_i32_e32 vcc_lo, s48, v41
	s_and_b32 s33, s30, vcc_lo
	s_delay_alu instid0(SALU_CYCLE_1)
	s_and_saveexec_b32 s19, s33
	s_cbranch_execz .LBB170_456
; %bb.454:                              ;   in Loop: Header=BB170_453 Depth=2
	global_load_b32 v41, v1, s[50:51]
	s_wait_loadcnt 0x0
	v_cmp_le_i32_e32 vcc_lo, s48, v41
	s_cbranch_vccnz .LBB170_456
.LBB170_455:                            ;   Parent Loop BB170_3 Depth=1
                                        ;     Parent Loop BB170_453 Depth=2
                                        ; =>    This Inner Loop Header: Depth=3
	global_wb scope:SCOPE_DEV
	s_wait_storecnt 0x0
	global_inv scope:SCOPE_DEV
	global_load_b32 v41, v1, s[50:51]
	s_wait_loadcnt 0x0
	v_cmp_gt_i32_e32 vcc_lo, s48, v41
	s_cbranch_vccnz .LBB170_455
.LBB170_456:                            ;   in Loop: Header=BB170_453 Depth=2
	s_or_b32 exec_lo, exec_lo, s19
	s_lshl_b32 s33, s48, 5
	global_wb scope:SCOPE_DEV
	s_wait_storecnt 0x0
	global_inv scope:SCOPE_DEV
	s_wait_loadcnt 0x0
	s_barrier_signal -1
	s_barrier_wait -1
	s_and_saveexec_b32 s19, s31
	s_cbranch_execz .LBB170_461
; %bb.457:                              ;   in Loop: Header=BB170_453 Depth=2
	v_or_b32_e32 v0, s33, v24
	s_delay_alu instid0(VALU_DEP_1) | instskip(SKIP_1) | instid1(SALU_CYCLE_1)
	v_cmp_le_i32_e32 vcc_lo, s57, v0
	s_and_saveexec_b32 s18, vcc_lo
	s_xor_b32 vcc_lo, exec_lo, s18
; %bb.458:                              ;   in Loop: Header=BB170_453 Depth=2
	v_dual_mov_b32 v0, v1 :: v_dual_mov_b32 v2, v1
	v_mov_b32_e32 v3, v1
	ds_store_b128 v197, v[0:3]
; %bb.459:                              ;   in Loop: Header=BB170_453 Depth=2
	s_and_not1_saveexec_b32 s18, vcc_lo
	s_cbranch_execz .LBB170_461
; %bb.460:                              ;   in Loop: Header=BB170_453 Depth=2
	v_mul_u64_e32 v[2:3], s[42:43], v[0:1]
	s_delay_alu instid0(VALU_DEP_1)
	v_lshl_add_u64 v[2:3], v[2:3], 4, v[44:45]
	flat_load_b128 v[12:15], v[2:3]
	s_wait_loadcnt_dscnt 0x0
	ds_store_2addr_b64 v197, v[12:13], v[14:15] offset1:1
.LBB170_461:                            ;   in Loop: Header=BB170_453 Depth=2
	s_or_b32 exec_lo, exec_lo, s19
	v_add_nc_u32_e32 v0, s33, v20
	v_cmp_ne_u32_e32 vcc_lo, s48, v23
	s_wait_dscnt 0x0
	s_barrier_signal -1
	s_barrier_wait -1
	v_cmp_gt_i32_e64 s33, s57, v0
	v_lshl_add_u64 v[2:3], v[0:1], 4, v[42:43]
	v_cndmask_b32_e64 v201, 0, 1, vcc_lo
	s_and_b32 s18, s33, s0
	s_delay_alu instid0(SALU_CYCLE_1)
	s_and_saveexec_b32 s33, s18
	s_cbranch_execz .LBB170_467
; %bb.462:                              ;   in Loop: Header=BB170_453 Depth=2
	v_mov_b64_e32 v[12:13], v[4:5]
	s_and_not1_b32 vcc_lo, exec_lo, vcc_lo
	s_cbranch_vccnz .LBB170_464
; %bb.463:                              ;   in Loop: Header=BB170_453 Depth=2
	flat_load_b64 v[12:13], v[2:3]
.LBB170_464:                            ;   in Loop: Header=BB170_453 Depth=2
	v_cmp_ne_u32_e32 vcc_lo, 1, v201
	v_mov_b64_e32 v[14:15], v[6:7]
	s_cbranch_vccnz .LBB170_466
; %bb.465:                              ;   in Loop: Header=BB170_453 Depth=2
	flat_load_b64 v[14:15], v[2:3] offset:8
.LBB170_466:                            ;   in Loop: Header=BB170_453 Depth=2
	ds_load_b128 v[202:205], v131
	s_wait_loadcnt_dscnt 0x0
	v_mul_f64_e32 v[206:207], v[14:15], v[204:205]
	s_delay_alu instid0(VALU_DEP_1) | instskip(SKIP_1) | instid1(VALU_DEP_2)
	v_fma_f64 v[206:207], v[12:13], v[202:203], -v[206:207]
	v_mul_f64_e32 v[12:13], v[12:13], v[204:205]
	v_add_f64_e32 v[16:17], v[16:17], v[206:207]
	s_delay_alu instid0(VALU_DEP_2) | instskip(NEXT) | instid1(VALU_DEP_1)
	v_fmac_f64_e32 v[12:13], v[14:15], v[202:203]
	v_add_f64_e32 v[18:19], v[18:19], v[12:13]
.LBB170_467:                            ;   in Loop: Header=BB170_453 Depth=2
	s_or_b32 exec_lo, exec_lo, s33
	v_add_nc_u32_e32 v0, 16, v0
	s_delay_alu instid0(VALU_DEP_1) | instskip(SKIP_1) | instid1(SALU_CYCLE_1)
	v_cmp_gt_i32_e32 vcc_lo, s57, v0
	s_and_b32 s18, vcc_lo, s0
	s_and_saveexec_b32 s33, s18
	s_cbranch_execz .LBB170_452
; %bb.468:                              ;   in Loop: Header=BB170_453 Depth=2
	v_cmp_ne_u32_e32 vcc_lo, 1, v201
	v_mov_b64_e32 v[12:13], v[8:9]
	s_cbranch_vccnz .LBB170_470
; %bb.469:                              ;   in Loop: Header=BB170_453 Depth=2
	flat_load_b64 v[12:13], v[2:3] offset:256
.LBB170_470:                            ;   in Loop: Header=BB170_453 Depth=2
	v_cmp_ne_u32_e32 vcc_lo, 1, v201
	v_mov_b64_e32 v[14:15], v[10:11]
	s_cbranch_vccnz .LBB170_451
; %bb.471:                              ;   in Loop: Header=BB170_453 Depth=2
	flat_load_b64 v[14:15], v[2:3] offset:264
	s_branch .LBB170_451
.LBB170_472:                            ;   in Loop: Header=BB170_3 Depth=1
	ds_store_b128 v198, v[16:19]
	s_wait_dscnt 0x0
	s_barrier_signal -1
	s_barrier_wait -1
	s_and_saveexec_b32 s33, s3
	s_cbranch_execz .LBB170_474
; %bb.473:                              ;   in Loop: Header=BB170_3 Depth=1
	ds_load_b128 v[12:15], v199 offset:512
	s_wait_dscnt 0x0
	v_add_f64_e32 v[2:3], v[16:17], v[12:13]
	v_add_f64_e32 v[16:17], v[18:19], v[14:15]
	ds_load_b128 v[12:15], v199 offset:1024
	s_wait_dscnt 0x0
	v_add_f64_e32 v[2:3], v[2:3], v[12:13]
	v_add_f64_e32 v[16:17], v[16:17], v[14:15]
	;; [unrolled: 4-line block ×15, first 2 shown]
	s_delay_alu instid0(VALU_DEP_2) | instskip(NEXT) | instid1(VALU_DEP_2)
	v_xor_b32_e32 v0, 0x80000000, v3
	v_xor_b32_e32 v3, 0x80000000, v13
	s_delay_alu instid0(VALU_DEP_4) | instskip(NEXT) | instid1(VALU_DEP_4)
	v_cndmask_b32_e64 v16, v2, 0, s92
	v_cndmask_b32_e64 v18, v12, 0, s92
	s_delay_alu instid0(VALU_DEP_4) | instskip(NEXT) | instid1(VALU_DEP_4)
	v_cndmask_b32_e64 v17, v0, 0, s92
	v_cndmask_b32_e64 v19, v3, 0, s92
.LBB170_474:                            ;   in Loop: Header=BB170_3 Depth=1
	s_or_b32 exec_lo, exec_lo, s33
	s_delay_alu instid0(SALU_CYCLE_1)
	s_and_not1_b32 vcc_lo, exec_lo, s61
	s_cbranch_vccnz .LBB170_483
; %bb.475:                              ;   in Loop: Header=BB170_3 Depth=1
	s_and_saveexec_b32 s19, s3
; %bb.476:                              ;   in Loop: Header=BB170_3 Depth=1
	ds_store_b128 v200, v[16:19]
; %bb.477:                              ;   in Loop: Header=BB170_3 Depth=1
	s_or_b32 exec_lo, exec_lo, s19
	v_mov_b64_e32 v[12:13], 0
	v_mov_b64_e32 v[14:15], 0
	s_wait_dscnt 0x0
	s_barrier_signal -1
	s_barrier_wait -1
	s_and_saveexec_b32 s19, s9
	s_cbranch_execz .LBB170_479
; %bb.478:                              ;   in Loop: Header=BB170_3 Depth=1
	ds_load_b128 v[12:15], v131
	ds_load_b128 v[202:205], v135
	s_wait_dscnt 0x0
	v_mul_f64_e32 v[2:3], v[14:15], v[204:205]
	v_mul_f64_e32 v[42:43], v[12:13], v[204:205]
	s_delay_alu instid0(VALU_DEP_2) | instskip(NEXT) | instid1(VALU_DEP_2)
	v_fma_f64 v[2:3], v[12:13], v[202:203], -v[2:3]
	v_fmac_f64_e32 v[42:43], v[14:15], v[202:203]
	s_delay_alu instid0(VALU_DEP_2) | instskip(NEXT) | instid1(VALU_DEP_2)
	v_add_f64_e32 v[12:13], 0, v[2:3]
	v_add_f64_e32 v[14:15], 0, v[42:43]
.LBB170_479:                            ;   in Loop: Header=BB170_3 Depth=1
	s_or_b32 exec_lo, exec_lo, s19
	s_and_saveexec_b32 s19, s10
	s_cbranch_execz .LBB170_481
; %bb.480:                              ;   in Loop: Header=BB170_3 Depth=1
	ds_load_b128 v[202:205], v131 offset:256
	ds_load_b128 v[206:209], v135 offset:8192
	s_wait_dscnt 0x0
	v_mul_f64_e32 v[2:3], v[204:205], v[208:209]
	v_mul_f64_e32 v[42:43], v[202:203], v[208:209]
	s_delay_alu instid0(VALU_DEP_2) | instskip(NEXT) | instid1(VALU_DEP_2)
	v_fma_f64 v[2:3], v[202:203], v[206:207], -v[2:3]
	v_fmac_f64_e32 v[42:43], v[204:205], v[206:207]
	s_delay_alu instid0(VALU_DEP_2) | instskip(NEXT) | instid1(VALU_DEP_2)
	v_add_f64_e32 v[12:13], v[12:13], v[2:3]
	v_add_f64_e32 v[14:15], v[14:15], v[42:43]
.LBB170_481:                            ;   in Loop: Header=BB170_3 Depth=1
	s_or_b32 exec_lo, exec_lo, s19
	s_mov_b32 s48, 0
	s_mov_b32 s33, 0
	ds_store_b128 v198, v[12:15]
	s_wait_dscnt 0x0
	s_barrier_signal -1
	s_barrier_wait -1
                                        ; implicit-def: $vgpr2_vgpr3
                                        ; implicit-def: $vgpr42_vgpr43
	s_and_saveexec_b32 s50, s3
	s_cbranch_execz .LBB170_513
; %bb.482:                              ;   in Loop: Header=BB170_3 Depth=1
	ds_load_b128 v[202:205], v199 offset:512
	s_mov_b32 s33, exec_lo
	s_wait_dscnt 0x0
	v_add_f64_e32 v[2:3], v[12:13], v[202:203]
	v_add_f64_e32 v[42:43], v[14:15], v[204:205]
	ds_load_b128 v[12:15], v199 offset:1024
	s_wait_dscnt 0x0
	v_add_f64_e32 v[2:3], v[2:3], v[12:13]
	v_add_f64_e32 v[42:43], v[42:43], v[14:15]
	ds_load_b128 v[12:15], v199 offset:1536
	;; [unrolled: 4-line block ×14, first 2 shown]
	s_wait_dscnt 0x0
	v_add_f64_e32 v[42:43], v[2:3], v[12:13]
	v_add_f64_e32 v[2:3], v[202:203], v[14:15]
	s_or_b32 exec_lo, exec_lo, s50
	s_delay_alu instid0(SALU_CYCLE_1)
	s_and_b32 vcc_lo, exec_lo, s48
	s_cbranch_vccnz .LBB170_484
	s_branch .LBB170_514
.LBB170_483:                            ;   in Loop: Header=BB170_3 Depth=1
	s_mov_b32 s33, 0
                                        ; implicit-def: $vgpr2_vgpr3
                                        ; implicit-def: $vgpr42_vgpr43
	s_cbranch_execz .LBB170_514
.LBB170_484:                            ;   in Loop: Header=BB170_3 Depth=1
	v_dual_mov_b32 v0, v22 :: v_dual_mov_b32 v2, v49
	s_mov_b32 s48, 0
	s_branch .LBB170_486
.LBB170_485:                            ;   in Loop: Header=BB170_486 Depth=2
	s_or_b32 exec_lo, exec_lo, s19
	v_add_nc_u32_e32 v2, 0x400, v2
	v_add_nc_u32_e32 v0, -2, v0
	s_add_co_i32 s48, s48, 2
	s_delay_alu instid0(SALU_CYCLE_1)
	s_cmp_lg_u32 s48, 32
	s_barrier_signal -1
	s_barrier_wait -1
	s_cbranch_scc0 .LBB170_494
.LBB170_486:                            ;   Parent Loop BB170_3 Depth=1
                                        ; =>  This Inner Loop Header: Depth=2
	s_delay_alu instid0(VALU_DEP_1) | instskip(SKIP_1) | instid1(SALU_CYCLE_1)
	v_cmp_eq_u32_e32 vcc_lo, 0, v0
	s_and_b32 s18, s3, vcc_lo
	s_and_saveexec_b32 s19, s18
; %bb.487:                              ;   in Loop: Header=BB170_486 Depth=2
	ds_store_b128 v1, v[16:19] offset:25088
; %bb.488:                              ;   in Loop: Header=BB170_486 Depth=2
	s_or_b32 exec_lo, exec_lo, s19
	v_cmp_lt_u32_e32 vcc_lo, s48, v22
	s_wait_dscnt 0x0
	s_barrier_signal -1
	s_barrier_wait -1
	s_and_b32 s18, s3, vcc_lo
	s_delay_alu instid0(SALU_CYCLE_1)
	s_and_saveexec_b32 s19, s18
	s_cbranch_execz .LBB170_490
; %bb.489:                              ;   in Loop: Header=BB170_486 Depth=2
	ds_load_b128 v[12:15], v1 offset:25088
	ds_load_b128 v[202:205], v2
	s_wait_dscnt 0x0
	v_mul_f64_e32 v[42:43], v[14:15], v[204:205]
	s_delay_alu instid0(VALU_DEP_1) | instskip(SKIP_1) | instid1(VALU_DEP_2)
	v_fma_f64 v[42:43], v[12:13], v[202:203], -v[42:43]
	v_mul_f64_e32 v[12:13], v[12:13], v[204:205]
	v_add_f64_e32 v[16:17], v[16:17], v[42:43]
	s_delay_alu instid0(VALU_DEP_2) | instskip(NEXT) | instid1(VALU_DEP_1)
	v_fmac_f64_e32 v[12:13], v[14:15], v[202:203]
	v_add_f64_e32 v[18:19], v[18:19], v[12:13]
.LBB170_490:                            ;   in Loop: Header=BB170_486 Depth=2
	s_or_b32 exec_lo, exec_lo, s19
	s_or_b32 s19, s48, 1
	s_delay_alu instid0(SALU_CYCLE_1) | instskip(SKIP_3) | instid1(SALU_CYCLE_1)
	v_cmp_eq_u32_e32 vcc_lo, s19, v22
	s_barrier_signal -1
	s_barrier_wait -1
	s_and_b32 s18, s3, vcc_lo
	s_and_saveexec_b32 s50, s18
; %bb.491:                              ;   in Loop: Header=BB170_486 Depth=2
	ds_store_b128 v1, v[16:19] offset:25088
; %bb.492:                              ;   in Loop: Header=BB170_486 Depth=2
	s_or_b32 exec_lo, exec_lo, s50
	v_cmp_lt_u32_e32 vcc_lo, s19, v22
	s_wait_dscnt 0x0
	s_barrier_signal -1
	s_barrier_wait -1
	s_and_b32 s18, s3, vcc_lo
	s_delay_alu instid0(SALU_CYCLE_1)
	s_and_saveexec_b32 s19, s18
	s_cbranch_execz .LBB170_485
; %bb.493:                              ;   in Loop: Header=BB170_486 Depth=2
	ds_load_b128 v[12:15], v1 offset:25088
	ds_load_b128 v[202:205], v2 offset:512
	s_wait_dscnt 0x0
	v_mul_f64_e32 v[42:43], v[14:15], v[204:205]
	s_delay_alu instid0(VALU_DEP_1) | instskip(SKIP_1) | instid1(VALU_DEP_2)
	v_fma_f64 v[42:43], v[12:13], v[202:203], -v[42:43]
	v_mul_f64_e32 v[12:13], v[12:13], v[204:205]
	v_add_f64_e32 v[16:17], v[16:17], v[42:43]
	s_delay_alu instid0(VALU_DEP_2) | instskip(NEXT) | instid1(VALU_DEP_1)
	v_fmac_f64_e32 v[12:13], v[14:15], v[202:203]
	v_add_f64_e32 v[18:19], v[18:19], v[12:13]
	s_branch .LBB170_485
.LBB170_494:                            ;   in Loop: Header=BB170_3 Depth=1
	s_and_b32 vcc_lo, exec_lo, s60
	s_mov_b32 s19, -1
	s_cbranch_vccz .LBB170_496
; %bb.495:                              ;   in Loop: Header=BB170_3 Depth=1
	s_and_not1_b32 s18, s33, exec_lo
	s_and_b32 s33, s3, exec_lo
	s_mov_b32 s19, 0
	s_or_b32 s33, s18, s33
.LBB170_496:                            ;   in Loop: Header=BB170_3 Depth=1
	s_and_not1_b32 vcc_lo, exec_lo, s19
	s_cbranch_vccnz .LBB170_498
; %bb.497:                              ;   in Loop: Header=BB170_3 Depth=1
	v_readlane_b32 s19, v210, 11
	s_and_not1_b32 s18, s33, exec_lo
	s_and_b32 s19, s19, exec_lo
	s_delay_alu instid0(SALU_CYCLE_1)
	s_or_b32 s33, s18, s19
.LBB170_498:                            ;   in Loop: Header=BB170_3 Depth=1
	v_mov_b64_e32 v[2:3], v[32:33]
	s_and_saveexec_b32 s19, s33
	s_cbranch_execnz .LBB170_515
	s_branch .LBB170_516
.LBB170_499:                            ;   in Loop: Header=BB170_3 Depth=1
	s_and_saveexec_b32 s33, s28
; %bb.500:                              ;   in Loop: Header=BB170_3 Depth=1
	v_dual_mov_b32 v0, v1 :: v_dual_mov_b32 v2, v1
	v_mov_b32_e32 v3, v1
	ds_store_b128 v136, v[0:3]
; %bb.501:                              ;   in Loop: Header=BB170_3 Depth=1
	s_or_b32 exec_lo, exec_lo, s33
	s_and_not1_saveexec_b32 s19, s19
	s_cbranch_execz .LBB170_12
.LBB170_502:                            ;   in Loop: Header=BB170_3 Depth=1
	v_lshl_add_u64 v[2:3], v[38:39], 4, v[16:17]
	flat_load_b128 v[202:205], v[2:3]
	s_wait_loadcnt_dscnt 0x0
	v_xor_b32_e32 v203, 0x80000000, v203
	v_xor_b32_e32 v205, 0x80000000, v205
	ds_store_b128 v136, v[202:205]
	s_or_b32 exec_lo, exec_lo, s19
	s_and_saveexec_b32 s19, s10
	s_delay_alu instid0(SALU_CYCLE_1)
	s_xor_b32 s19, exec_lo, s19
	s_cbranch_execz .LBB170_13
.LBB170_503:                            ;   in Loop: Header=BB170_3 Depth=1
	s_and_saveexec_b32 s33, s29
; %bb.504:                              ;   in Loop: Header=BB170_3 Depth=1
	v_dual_mov_b32 v0, v1 :: v_dual_mov_b32 v2, v1
	v_mov_b32_e32 v3, v1
	ds_store_b128 v137, v[0:3]
; %bb.505:                              ;   in Loop: Header=BB170_3 Depth=1
	s_or_b32 exec_lo, exec_lo, s33
	s_and_not1_saveexec_b32 s19, s19
	s_cbranch_execnz .LBB170_14
	s_branch .LBB170_15
.LBB170_506:                            ;   in Loop: Header=BB170_3 Depth=1
	s_and_saveexec_b32 s33, s28
; %bb.507:                              ;   in Loop: Header=BB170_3 Depth=1
	v_dual_mov_b32 v0, v1 :: v_dual_mov_b32 v2, v1
	v_mov_b32_e32 v3, v1
	ds_store_b128 v130, v[0:3]
; %bb.508:                              ;   in Loop: Header=BB170_3 Depth=1
	s_or_b32 exec_lo, exec_lo, s33
	s_and_not1_saveexec_b32 s19, s19
	s_cbranch_execz .LBB170_19
.LBB170_509:                            ;   in Loop: Header=BB170_3 Depth=1
	v_lshl_add_u64 v[2:3], v[38:39], 4, v[16:17]
	flat_load_b128 v[202:205], v[2:3]
	s_wait_loadcnt_dscnt 0x0
	v_xor_b32_e32 v203, 0x80000000, v203
	v_xor_b32_e32 v205, 0x80000000, v205
	ds_store_b128 v130, v[202:205]
	s_or_b32 exec_lo, exec_lo, s19
	s_and_saveexec_b32 s19, s96
	s_delay_alu instid0(SALU_CYCLE_1)
	s_xor_b32 s19, exec_lo, s19
	s_cbranch_execz .LBB170_20
.LBB170_510:                            ;   in Loop: Header=BB170_3 Depth=1
	s_and_saveexec_b32 s33, s29
; %bb.511:                              ;   in Loop: Header=BB170_3 Depth=1
	v_dual_mov_b32 v0, v1 :: v_dual_mov_b32 v2, v1
	v_mov_b32_e32 v3, v1
	ds_store_b128 v137, v[0:3]
; %bb.512:                              ;   in Loop: Header=BB170_3 Depth=1
	s_or_b32 exec_lo, exec_lo, s33
                                        ; implicit-def: $vgpr16_vgpr17
	s_and_not1_saveexec_b32 s19, s19
	s_cbranch_execnz .LBB170_21
	s_branch .LBB170_22
.LBB170_513:                            ;   in Loop: Header=BB170_3 Depth=1
	s_or_b32 exec_lo, exec_lo, s50
	s_delay_alu instid0(SALU_CYCLE_1)
	s_and_b32 vcc_lo, exec_lo, s48
	s_cbranch_vccnz .LBB170_484
.LBB170_514:                            ;   in Loop: Header=BB170_3 Depth=1
	s_delay_alu instid0(VALU_DEP_1) | instskip(NEXT) | instid1(VALU_DEP_3)
	v_mov_b64_e32 v[18:19], v[2:3]
	v_mov_b64_e32 v[16:17], v[42:43]
	;; [unrolled: 1-line block ×3, first 2 shown]
	s_and_saveexec_b32 s19, s33
	s_cbranch_execz .LBB170_516
.LBB170_515:                            ;   in Loop: Header=BB170_3 Depth=1
	s_delay_alu instid0(VALU_DEP_1)
	v_lshl_add_u64 v[2:3], v[2:3], 4, v[44:45]
	flat_store_b128 v[2:3], v[16:19]
.LBB170_516:                            ;   in Loop: Header=BB170_3 Depth=1
	s_wait_xcnt 0x0
	s_or_b32 exec_lo, exec_lo, s19
	global_wb scope:SCOPE_DEV
	s_wait_storecnt_dscnt 0x0
	global_inv scope:SCOPE_DEV
	s_wait_loadcnt 0x0
	s_barrier_signal -1
	s_barrier_wait -1
	s_and_saveexec_b32 s19, s30
	s_cbranch_execz .LBB170_2
; %bb.517:                              ;   in Loop: Header=BB170_3 Depth=1
	s_lshl_b64 s[50:51], s[34:35], 2
	s_delay_alu instid0(SALU_CYCLE_1)
	s_add_nc_u64 s[50:51], s[52:53], s[50:51]
	global_load_b32 v0, v1, s[50:51]
	s_wait_loadcnt 0x0
	v_add_nc_u32_e32 v0, 1, v0
	global_store_b32 v1, v0, s[50:51]
	s_branch .LBB170_2
.LBB170_518:                            ;   in Loop: Header=BB170_3 Depth=1
	ds_load_b128 v[202:205], v56 offset:16336
	ds_load_b128 v[206:209], v55 offset:15232
	s_wait_dscnt 0x0
	v_mul_f64_e32 v[2:3], v[204:205], v[208:209]
	s_delay_alu instid0(VALU_DEP_1) | instskip(SKIP_1) | instid1(VALU_DEP_2)
	v_fma_f64 v[2:3], v[202:203], v[206:207], -v[2:3]
	v_mul_f64_e32 v[202:203], v[202:203], v[208:209]
	v_add_f64_e32 v[16:17], v[16:17], v[2:3]
	s_delay_alu instid0(VALU_DEP_2) | instskip(NEXT) | instid1(VALU_DEP_1)
	v_fmac_f64_e32 v[202:203], v[204:205], v[206:207]
	v_add_f64_e32 v[18:19], v[18:19], v[202:203]
	s_or_b32 exec_lo, exec_lo, s19
	s_and_saveexec_b32 s19, s6
	s_cbranch_execz .LBB170_45
.LBB170_519:                            ;   in Loop: Header=BB170_3 Depth=1
	ds_load_b128 v[202:205], v56 offset:16352
	ds_load_b128 v[206:209], v55 offset:15744
	s_wait_dscnt 0x0
	v_mul_f64_e32 v[2:3], v[204:205], v[208:209]
	s_delay_alu instid0(VALU_DEP_1) | instskip(SKIP_1) | instid1(VALU_DEP_2)
	v_fma_f64 v[2:3], v[202:203], v[206:207], -v[2:3]
	v_mul_f64_e32 v[202:203], v[202:203], v[208:209]
	v_add_f64_e32 v[16:17], v[16:17], v[2:3]
	s_delay_alu instid0(VALU_DEP_2) | instskip(NEXT) | instid1(VALU_DEP_1)
	v_fmac_f64_e32 v[202:203], v[204:205], v[206:207]
	v_add_f64_e32 v[18:19], v[18:19], v[202:203]
	s_or_b32 exec_lo, exec_lo, s19
	s_and_saveexec_b32 s19, s1
	s_cbranch_execnz .LBB170_46
	s_branch .LBB170_47
.LBB170_520:                            ;   in Loop: Header=BB170_3 Depth=1
	ds_load_b128 v[202:205], v60 offset:16272
	ds_load_b128 v[206:209], v59 offset:13056
	s_wait_dscnt 0x0
	v_mul_f64_e32 v[2:3], v[204:205], v[208:209]
	s_delay_alu instid0(VALU_DEP_1) | instskip(SKIP_1) | instid1(VALU_DEP_2)
	v_fma_f64 v[2:3], v[202:203], v[206:207], -v[2:3]
	v_mul_f64_e32 v[202:203], v[202:203], v[208:209]
	v_add_f64_e32 v[16:17], v[16:17], v[2:3]
	s_delay_alu instid0(VALU_DEP_2) | instskip(NEXT) | instid1(VALU_DEP_1)
	v_fmac_f64_e32 v[202:203], v[204:205], v[206:207]
	v_add_f64_e32 v[18:19], v[18:19], v[202:203]
	s_or_b32 exec_lo, exec_lo, s19
	s_and_saveexec_b32 s19, s12
	s_cbranch_execz .LBB170_87
.LBB170_521:                            ;   in Loop: Header=BB170_3 Depth=1
	ds_load_b128 v[202:205], v60 offset:16288
	ds_load_b128 v[206:209], v59 offset:13568
	s_wait_dscnt 0x0
	v_mul_f64_e32 v[2:3], v[204:205], v[208:209]
	s_delay_alu instid0(VALU_DEP_1) | instskip(SKIP_1) | instid1(VALU_DEP_2)
	v_fma_f64 v[2:3], v[202:203], v[206:207], -v[2:3]
	v_mul_f64_e32 v[202:203], v[202:203], v[208:209]
	v_add_f64_e32 v[16:17], v[16:17], v[2:3]
	s_delay_alu instid0(VALU_DEP_2) | instskip(NEXT) | instid1(VALU_DEP_1)
	v_fmac_f64_e32 v[202:203], v[204:205], v[206:207]
	v_add_f64_e32 v[18:19], v[18:19], v[202:203]
	s_or_b32 exec_lo, exec_lo, s19
	s_and_saveexec_b32 s19, s13
	s_cbranch_execz .LBB170_88
.LBB170_522:                            ;   in Loop: Header=BB170_3 Depth=1
	ds_load_b128 v[202:205], v60 offset:16304
	ds_load_b128 v[206:209], v59 offset:14080
	s_wait_dscnt 0x0
	v_mul_f64_e32 v[2:3], v[204:205], v[208:209]
	s_delay_alu instid0(VALU_DEP_1) | instskip(SKIP_1) | instid1(VALU_DEP_2)
	v_fma_f64 v[2:3], v[202:203], v[206:207], -v[2:3]
	v_mul_f64_e32 v[202:203], v[202:203], v[208:209]
	v_add_f64_e32 v[16:17], v[16:17], v[2:3]
	s_delay_alu instid0(VALU_DEP_2) | instskip(NEXT) | instid1(VALU_DEP_1)
	v_fmac_f64_e32 v[202:203], v[204:205], v[206:207]
	v_add_f64_e32 v[18:19], v[18:19], v[202:203]
	s_or_b32 exec_lo, exec_lo, s19
	s_and_saveexec_b32 s19, s14
	s_cbranch_execz .LBB170_89
.LBB170_523:                            ;   in Loop: Header=BB170_3 Depth=1
	ds_load_b128 v[202:205], v60 offset:16320
	ds_load_b128 v[206:209], v59 offset:14592
	s_wait_dscnt 0x0
	v_mul_f64_e32 v[2:3], v[204:205], v[208:209]
	s_delay_alu instid0(VALU_DEP_1) | instskip(SKIP_1) | instid1(VALU_DEP_2)
	v_fma_f64 v[2:3], v[202:203], v[206:207], -v[2:3]
	v_mul_f64_e32 v[202:203], v[202:203], v[208:209]
	v_add_f64_e32 v[16:17], v[16:17], v[2:3]
	s_delay_alu instid0(VALU_DEP_2) | instskip(NEXT) | instid1(VALU_DEP_1)
	v_fmac_f64_e32 v[202:203], v[204:205], v[206:207]
	v_add_f64_e32 v[18:19], v[18:19], v[202:203]
	s_or_b32 exec_lo, exec_lo, s19
	s_and_saveexec_b32 s19, s15
	s_cbranch_execz .LBB170_90
.LBB170_524:                            ;   in Loop: Header=BB170_3 Depth=1
	ds_load_b128 v[202:205], v60 offset:16336
	ds_load_b128 v[206:209], v59 offset:15104
	s_wait_dscnt 0x0
	v_mul_f64_e32 v[2:3], v[204:205], v[208:209]
	s_delay_alu instid0(VALU_DEP_1) | instskip(SKIP_1) | instid1(VALU_DEP_2)
	v_fma_f64 v[2:3], v[202:203], v[206:207], -v[2:3]
	v_mul_f64_e32 v[202:203], v[202:203], v[208:209]
	v_add_f64_e32 v[16:17], v[16:17], v[2:3]
	s_delay_alu instid0(VALU_DEP_2) | instskip(NEXT) | instid1(VALU_DEP_1)
	v_fmac_f64_e32 v[202:203], v[204:205], v[206:207]
	v_add_f64_e32 v[18:19], v[18:19], v[202:203]
	s_or_b32 exec_lo, exec_lo, s19
	s_and_saveexec_b32 s19, s4
	s_cbranch_execz .LBB170_91
.LBB170_525:                            ;   in Loop: Header=BB170_3 Depth=1
	ds_load_b128 v[202:205], v60 offset:16352
	ds_load_b128 v[206:209], v59 offset:15616
	s_wait_dscnt 0x0
	v_mul_f64_e32 v[2:3], v[204:205], v[208:209]
	s_delay_alu instid0(VALU_DEP_1) | instskip(SKIP_1) | instid1(VALU_DEP_2)
	v_fma_f64 v[2:3], v[202:203], v[206:207], -v[2:3]
	v_mul_f64_e32 v[202:203], v[202:203], v[208:209]
	v_add_f64_e32 v[16:17], v[16:17], v[2:3]
	s_delay_alu instid0(VALU_DEP_2) | instskip(NEXT) | instid1(VALU_DEP_1)
	v_fmac_f64_e32 v[202:203], v[204:205], v[206:207]
	v_add_f64_e32 v[18:19], v[18:19], v[202:203]
	s_or_b32 exec_lo, exec_lo, s19
	s_and_saveexec_b32 s19, s6
	s_cbranch_execnz .LBB170_92
	s_branch .LBB170_93
.LBB170_526:                            ;   in Loop: Header=BB170_3 Depth=1
	ds_load_b128 v[202:205], v56 offset:12112
	ds_load_b128 v[206:209], v55 offset:11008
	s_wait_dscnt 0x0
	v_mul_f64_e32 v[2:3], v[204:205], v[208:209]
	s_delay_alu instid0(VALU_DEP_1) | instskip(SKIP_1) | instid1(VALU_DEP_2)
	v_fma_f64 v[2:3], v[202:203], v[206:207], -v[2:3]
	v_mul_f64_e32 v[202:203], v[202:203], v[208:209]
	v_add_f64_e32 v[16:17], v[16:17], v[2:3]
	s_delay_alu instid0(VALU_DEP_2) | instskip(NEXT) | instid1(VALU_DEP_1)
	v_fmac_f64_e32 v[202:203], v[204:205], v[206:207]
	v_add_f64_e32 v[18:19], v[18:19], v[202:203]
	s_or_b32 exec_lo, exec_lo, s19
	s_and_saveexec_b32 s19, s6
	s_cbranch_execz .LBB170_149
.LBB170_527:                            ;   in Loop: Header=BB170_3 Depth=1
	ds_load_b128 v[202:205], v56 offset:12128
	ds_load_b128 v[206:209], v55 offset:11520
	s_wait_dscnt 0x0
	v_mul_f64_e32 v[2:3], v[204:205], v[208:209]
	s_delay_alu instid0(VALU_DEP_1) | instskip(SKIP_1) | instid1(VALU_DEP_2)
	v_fma_f64 v[2:3], v[202:203], v[206:207], -v[2:3]
	v_mul_f64_e32 v[202:203], v[202:203], v[208:209]
	v_add_f64_e32 v[16:17], v[16:17], v[2:3]
	s_delay_alu instid0(VALU_DEP_2) | instskip(NEXT) | instid1(VALU_DEP_1)
	v_fmac_f64_e32 v[202:203], v[204:205], v[206:207]
	v_add_f64_e32 v[18:19], v[18:19], v[202:203]
	s_or_b32 exec_lo, exec_lo, s19
	s_and_saveexec_b32 s19, s1
	s_cbranch_execnz .LBB170_150
	s_branch .LBB170_151
.LBB170_528:                            ;   in Loop: Header=BB170_3 Depth=1
	ds_load_b128 v[202:205], v72 offset:16304
	ds_load_b128 v[206:209], v71 offset:13824
	s_wait_dscnt 0x0
	v_mul_f64_e32 v[2:3], v[204:205], v[208:209]
	s_delay_alu instid0(VALU_DEP_1) | instskip(SKIP_1) | instid1(VALU_DEP_2)
	v_fma_f64 v[2:3], v[202:203], v[206:207], -v[2:3]
	v_mul_f64_e32 v[202:203], v[202:203], v[208:209]
	v_add_f64_e32 v[16:17], v[16:17], v[2:3]
	s_delay_alu instid0(VALU_DEP_2) | instskip(NEXT) | instid1(VALU_DEP_1)
	v_fmac_f64_e32 v[202:203], v[204:205], v[206:207]
	v_add_f64_e32 v[18:19], v[18:19], v[202:203]
	s_or_b32 exec_lo, exec_lo, s19
	s_and_saveexec_b32 s19, s7
	s_cbranch_execz .LBB170_211
.LBB170_529:                            ;   in Loop: Header=BB170_3 Depth=1
	ds_load_b128 v[202:205], v72 offset:16320
	ds_load_b128 v[206:209], v71 offset:14336
	s_wait_dscnt 0x0
	v_mul_f64_e32 v[2:3], v[204:205], v[208:209]
	s_delay_alu instid0(VALU_DEP_1) | instskip(SKIP_1) | instid1(VALU_DEP_2)
	v_fma_f64 v[2:3], v[202:203], v[206:207], -v[2:3]
	v_mul_f64_e32 v[202:203], v[202:203], v[208:209]
	v_add_f64_e32 v[16:17], v[16:17], v[2:3]
	s_delay_alu instid0(VALU_DEP_2) | instskip(NEXT) | instid1(VALU_DEP_1)
	v_fmac_f64_e32 v[202:203], v[204:205], v[206:207]
	v_add_f64_e32 v[18:19], v[18:19], v[202:203]
	s_or_b32 exec_lo, exec_lo, s19
	s_and_saveexec_b32 s19, s12
	s_cbranch_execz .LBB170_212
.LBB170_530:                            ;   in Loop: Header=BB170_3 Depth=1
	ds_load_b128 v[202:205], v72 offset:16336
	ds_load_b128 v[206:209], v71 offset:14848
	s_wait_dscnt 0x0
	v_mul_f64_e32 v[2:3], v[204:205], v[208:209]
	s_delay_alu instid0(VALU_DEP_1) | instskip(SKIP_1) | instid1(VALU_DEP_2)
	v_fma_f64 v[2:3], v[202:203], v[206:207], -v[2:3]
	v_mul_f64_e32 v[202:203], v[202:203], v[208:209]
	v_add_f64_e32 v[16:17], v[16:17], v[2:3]
	s_delay_alu instid0(VALU_DEP_2) | instskip(NEXT) | instid1(VALU_DEP_1)
	v_fmac_f64_e32 v[202:203], v[204:205], v[206:207]
	v_add_f64_e32 v[18:19], v[18:19], v[202:203]
	s_or_b32 exec_lo, exec_lo, s19
	s_and_saveexec_b32 s19, s14
	s_cbranch_execz .LBB170_213
.LBB170_531:                            ;   in Loop: Header=BB170_3 Depth=1
	ds_load_b128 v[202:205], v72 offset:16352
	ds_load_b128 v[206:209], v71 offset:15360
	s_wait_dscnt 0x0
	v_mul_f64_e32 v[2:3], v[204:205], v[208:209]
	s_delay_alu instid0(VALU_DEP_1) | instskip(SKIP_1) | instid1(VALU_DEP_2)
	v_fma_f64 v[2:3], v[202:203], v[206:207], -v[2:3]
	v_mul_f64_e32 v[202:203], v[202:203], v[208:209]
	v_add_f64_e32 v[16:17], v[16:17], v[2:3]
	s_delay_alu instid0(VALU_DEP_2) | instskip(NEXT) | instid1(VALU_DEP_1)
	v_fmac_f64_e32 v[202:203], v[204:205], v[206:207]
	v_add_f64_e32 v[18:19], v[18:19], v[202:203]
	s_or_b32 exec_lo, exec_lo, s19
	s_and_saveexec_b32 s19, s4
	s_cbranch_execnz .LBB170_214
	s_branch .LBB170_215
.LBB170_532:                            ;   in Loop: Header=BB170_3 Depth=1
	ds_load_b128 v[202:205], v56 offset:7888
	ds_load_b128 v[206:209], v55 offset:6784
	s_wait_dscnt 0x0
	v_mul_f64_e32 v[2:3], v[204:205], v[208:209]
	s_delay_alu instid0(VALU_DEP_1) | instskip(SKIP_1) | instid1(VALU_DEP_2)
	v_fma_f64 v[2:3], v[202:203], v[206:207], -v[2:3]
	v_mul_f64_e32 v[202:203], v[202:203], v[208:209]
	v_add_f64_e32 v[16:17], v[16:17], v[2:3]
	s_delay_alu instid0(VALU_DEP_2) | instskip(NEXT) | instid1(VALU_DEP_1)
	v_fmac_f64_e32 v[202:203], v[204:205], v[206:207]
	v_add_f64_e32 v[18:19], v[18:19], v[202:203]
	s_or_b32 exec_lo, exec_lo, s19
	s_and_saveexec_b32 s19, s6
	s_cbranch_execz .LBB170_303
.LBB170_533:                            ;   in Loop: Header=BB170_3 Depth=1
	ds_load_b128 v[202:205], v56 offset:7904
	ds_load_b128 v[206:209], v55 offset:7296
	s_wait_dscnt 0x0
	v_mul_f64_e32 v[2:3], v[204:205], v[208:209]
	s_delay_alu instid0(VALU_DEP_1) | instskip(SKIP_1) | instid1(VALU_DEP_2)
	v_fma_f64 v[2:3], v[202:203], v[206:207], -v[2:3]
	v_mul_f64_e32 v[202:203], v[202:203], v[208:209]
	v_add_f64_e32 v[16:17], v[16:17], v[2:3]
	s_delay_alu instid0(VALU_DEP_2) | instskip(NEXT) | instid1(VALU_DEP_1)
	v_fmac_f64_e32 v[202:203], v[204:205], v[206:207]
	v_add_f64_e32 v[18:19], v[18:19], v[202:203]
	s_or_b32 exec_lo, exec_lo, s19
	s_and_saveexec_b32 s19, s1
	s_cbranch_execnz .LBB170_304
	s_branch .LBB170_305
.LBB170_534:                            ;   in Loop: Header=BB170_3 Depth=1
	ds_load_b128 v[202:205], v60 offset:7824
	ds_load_b128 v[206:209], v59 offset:4608
	s_wait_dscnt 0x0
	v_mul_f64_e32 v[2:3], v[204:205], v[208:209]
	s_delay_alu instid0(VALU_DEP_1) | instskip(SKIP_1) | instid1(VALU_DEP_2)
	v_fma_f64 v[2:3], v[202:203], v[206:207], -v[2:3]
	v_mul_f64_e32 v[202:203], v[202:203], v[208:209]
	v_add_f64_e32 v[16:17], v[16:17], v[2:3]
	s_delay_alu instid0(VALU_DEP_2) | instskip(NEXT) | instid1(VALU_DEP_1)
	v_fmac_f64_e32 v[202:203], v[204:205], v[206:207]
	v_add_f64_e32 v[18:19], v[18:19], v[202:203]
	s_or_b32 exec_lo, exec_lo, s19
	s_and_saveexec_b32 s19, s12
	s_cbranch_execz .LBB170_345
.LBB170_535:                            ;   in Loop: Header=BB170_3 Depth=1
	ds_load_b128 v[202:205], v60 offset:7840
	ds_load_b128 v[206:209], v59 offset:5120
	s_wait_dscnt 0x0
	v_mul_f64_e32 v[2:3], v[204:205], v[208:209]
	s_delay_alu instid0(VALU_DEP_1) | instskip(SKIP_1) | instid1(VALU_DEP_2)
	v_fma_f64 v[2:3], v[202:203], v[206:207], -v[2:3]
	v_mul_f64_e32 v[202:203], v[202:203], v[208:209]
	v_add_f64_e32 v[16:17], v[16:17], v[2:3]
	s_delay_alu instid0(VALU_DEP_2) | instskip(NEXT) | instid1(VALU_DEP_1)
	v_fmac_f64_e32 v[202:203], v[204:205], v[206:207]
	v_add_f64_e32 v[18:19], v[18:19], v[202:203]
	s_or_b32 exec_lo, exec_lo, s19
	s_and_saveexec_b32 s19, s13
	s_cbranch_execz .LBB170_346
.LBB170_536:                            ;   in Loop: Header=BB170_3 Depth=1
	ds_load_b128 v[202:205], v60 offset:7856
	ds_load_b128 v[206:209], v59 offset:5632
	s_wait_dscnt 0x0
	v_mul_f64_e32 v[2:3], v[204:205], v[208:209]
	s_delay_alu instid0(VALU_DEP_1) | instskip(SKIP_1) | instid1(VALU_DEP_2)
	v_fma_f64 v[2:3], v[202:203], v[206:207], -v[2:3]
	v_mul_f64_e32 v[202:203], v[202:203], v[208:209]
	v_add_f64_e32 v[16:17], v[16:17], v[2:3]
	s_delay_alu instid0(VALU_DEP_2) | instskip(NEXT) | instid1(VALU_DEP_1)
	v_fmac_f64_e32 v[202:203], v[204:205], v[206:207]
	v_add_f64_e32 v[18:19], v[18:19], v[202:203]
	s_or_b32 exec_lo, exec_lo, s19
	s_and_saveexec_b32 s19, s14
	s_cbranch_execz .LBB170_347
.LBB170_537:                            ;   in Loop: Header=BB170_3 Depth=1
	ds_load_b128 v[202:205], v60 offset:7872
	ds_load_b128 v[206:209], v59 offset:6144
	s_wait_dscnt 0x0
	v_mul_f64_e32 v[2:3], v[204:205], v[208:209]
	s_delay_alu instid0(VALU_DEP_1) | instskip(SKIP_1) | instid1(VALU_DEP_2)
	v_fma_f64 v[2:3], v[202:203], v[206:207], -v[2:3]
	v_mul_f64_e32 v[202:203], v[202:203], v[208:209]
	v_add_f64_e32 v[16:17], v[16:17], v[2:3]
	s_delay_alu instid0(VALU_DEP_2) | instskip(NEXT) | instid1(VALU_DEP_1)
	v_fmac_f64_e32 v[202:203], v[204:205], v[206:207]
	v_add_f64_e32 v[18:19], v[18:19], v[202:203]
	s_or_b32 exec_lo, exec_lo, s19
	s_and_saveexec_b32 s19, s15
	s_cbranch_execz .LBB170_348
.LBB170_538:                            ;   in Loop: Header=BB170_3 Depth=1
	ds_load_b128 v[202:205], v60 offset:7888
	ds_load_b128 v[206:209], v59 offset:6656
	s_wait_dscnt 0x0
	v_mul_f64_e32 v[2:3], v[204:205], v[208:209]
	s_delay_alu instid0(VALU_DEP_1) | instskip(SKIP_1) | instid1(VALU_DEP_2)
	v_fma_f64 v[2:3], v[202:203], v[206:207], -v[2:3]
	v_mul_f64_e32 v[202:203], v[202:203], v[208:209]
	v_add_f64_e32 v[16:17], v[16:17], v[2:3]
	s_delay_alu instid0(VALU_DEP_2) | instskip(NEXT) | instid1(VALU_DEP_1)
	v_fmac_f64_e32 v[202:203], v[204:205], v[206:207]
	v_add_f64_e32 v[18:19], v[18:19], v[202:203]
	s_or_b32 exec_lo, exec_lo, s19
	s_and_saveexec_b32 s19, s4
	s_cbranch_execz .LBB170_349
.LBB170_539:                            ;   in Loop: Header=BB170_3 Depth=1
	ds_load_b128 v[202:205], v60 offset:7904
	ds_load_b128 v[206:209], v59 offset:7168
	s_wait_dscnt 0x0
	v_mul_f64_e32 v[2:3], v[204:205], v[208:209]
	s_delay_alu instid0(VALU_DEP_1) | instskip(SKIP_1) | instid1(VALU_DEP_2)
	v_fma_f64 v[2:3], v[202:203], v[206:207], -v[2:3]
	v_mul_f64_e32 v[202:203], v[202:203], v[208:209]
	v_add_f64_e32 v[16:17], v[16:17], v[2:3]
	s_delay_alu instid0(VALU_DEP_2) | instskip(NEXT) | instid1(VALU_DEP_1)
	v_fmac_f64_e32 v[202:203], v[204:205], v[206:207]
	v_add_f64_e32 v[18:19], v[18:19], v[202:203]
	s_or_b32 exec_lo, exec_lo, s19
	s_and_saveexec_b32 s19, s6
	s_cbranch_execnz .LBB170_350
	s_branch .LBB170_351
.LBB170_540:                            ;   in Loop: Header=BB170_3 Depth=1
	ds_load_b128 v[202:205], v56 offset:3664
	ds_load_b128 v[206:209], v55 offset:2560
	s_wait_dscnt 0x0
	v_mul_f64_e32 v[2:3], v[204:205], v[208:209]
	s_delay_alu instid0(VALU_DEP_1) | instskip(SKIP_1) | instid1(VALU_DEP_2)
	v_fma_f64 v[2:3], v[202:203], v[206:207], -v[2:3]
	v_mul_f64_e32 v[202:203], v[202:203], v[208:209]
	v_add_f64_e32 v[16:17], v[16:17], v[2:3]
	s_delay_alu instid0(VALU_DEP_2) | instskip(NEXT) | instid1(VALU_DEP_1)
	v_fmac_f64_e32 v[202:203], v[204:205], v[206:207]
	v_add_f64_e32 v[18:19], v[18:19], v[202:203]
	s_or_b32 exec_lo, exec_lo, s19
	s_and_saveexec_b32 s19, s6
	s_cbranch_execz .LBB170_407
.LBB170_541:                            ;   in Loop: Header=BB170_3 Depth=1
	ds_load_b128 v[202:205], v56 offset:3680
	ds_load_b128 v[206:209], v55 offset:3072
	s_wait_dscnt 0x0
	v_mul_f64_e32 v[2:3], v[204:205], v[208:209]
	s_delay_alu instid0(VALU_DEP_1) | instskip(SKIP_1) | instid1(VALU_DEP_2)
	v_fma_f64 v[2:3], v[202:203], v[206:207], -v[2:3]
	v_mul_f64_e32 v[202:203], v[202:203], v[208:209]
	v_add_f64_e32 v[16:17], v[16:17], v[2:3]
	s_delay_alu instid0(VALU_DEP_2) | instskip(NEXT) | instid1(VALU_DEP_1)
	v_fmac_f64_e32 v[202:203], v[204:205], v[206:207]
	v_add_f64_e32 v[18:19], v[18:19], v[202:203]
	s_or_b32 exec_lo, exec_lo, s19
	s_and_saveexec_b32 s19, s1
	s_cbranch_execnz .LBB170_408
	s_branch .LBB170_409
.LBB170_542:
	s_endpgm
	.section	.rodata,"a",@progbits
	.p2align	6, 0x0
	.amdhsa_kernel _ZL19rocblas_trsv_deviceILi32ELi16ELb0ELb1ELb0ELb1E19rocblas_complex_numIdEPKS1_PKS3_PKPS1_EviT7_lllT6_T8_lllPii
		.amdhsa_group_segment_fixed_size 25104
		.amdhsa_private_segment_fixed_size 0
		.amdhsa_kernarg_size 352
		.amdhsa_user_sgpr_count 2
		.amdhsa_user_sgpr_dispatch_ptr 0
		.amdhsa_user_sgpr_queue_ptr 0
		.amdhsa_user_sgpr_kernarg_segment_ptr 1
		.amdhsa_user_sgpr_dispatch_id 0
		.amdhsa_user_sgpr_kernarg_preload_length 0
		.amdhsa_user_sgpr_kernarg_preload_offset 0
		.amdhsa_user_sgpr_private_segment_size 0
		.amdhsa_wavefront_size32 1
		.amdhsa_uses_dynamic_stack 0
		.amdhsa_enable_private_segment 0
		.amdhsa_system_sgpr_workgroup_id_x 1
		.amdhsa_system_sgpr_workgroup_id_y 0
		.amdhsa_system_sgpr_workgroup_id_z 1
		.amdhsa_system_sgpr_workgroup_info 0
		.amdhsa_system_vgpr_workitem_id 1
		.amdhsa_next_free_vgpr 211
		.amdhsa_next_free_sgpr 105
		.amdhsa_named_barrier_count 0
		.amdhsa_reserve_vcc 1
		.amdhsa_float_round_mode_32 0
		.amdhsa_float_round_mode_16_64 0
		.amdhsa_float_denorm_mode_32 3
		.amdhsa_float_denorm_mode_16_64 3
		.amdhsa_fp16_overflow 0
		.amdhsa_memory_ordered 1
		.amdhsa_forward_progress 1
		.amdhsa_inst_pref_size 184
		.amdhsa_round_robin_scheduling 0
		.amdhsa_exception_fp_ieee_invalid_op 0
		.amdhsa_exception_fp_denorm_src 0
		.amdhsa_exception_fp_ieee_div_zero 0
		.amdhsa_exception_fp_ieee_overflow 0
		.amdhsa_exception_fp_ieee_underflow 0
		.amdhsa_exception_fp_ieee_inexact 0
		.amdhsa_exception_int_div_zero 0
	.end_amdhsa_kernel
	.section	.text._ZL19rocblas_trsv_deviceILi32ELi16ELb0ELb1ELb0ELb1E19rocblas_complex_numIdEPKS1_PKS3_PKPS1_EviT7_lllT6_T8_lllPii,"axG",@progbits,_ZL19rocblas_trsv_deviceILi32ELi16ELb0ELb1ELb0ELb1E19rocblas_complex_numIdEPKS1_PKS3_PKPS1_EviT7_lllT6_T8_lllPii,comdat
.Lfunc_end170:
	.size	_ZL19rocblas_trsv_deviceILi32ELi16ELb0ELb1ELb0ELb1E19rocblas_complex_numIdEPKS1_PKS3_PKPS1_EviT7_lllT6_T8_lllPii, .Lfunc_end170-_ZL19rocblas_trsv_deviceILi32ELi16ELb0ELb1ELb0ELb1E19rocblas_complex_numIdEPKS1_PKS3_PKPS1_EviT7_lllT6_T8_lllPii
                                        ; -- End function
	.set _ZL19rocblas_trsv_deviceILi32ELi16ELb0ELb1ELb0ELb1E19rocblas_complex_numIdEPKS1_PKS3_PKPS1_EviT7_lllT6_T8_lllPii.num_vgpr, 211
	.set _ZL19rocblas_trsv_deviceILi32ELi16ELb0ELb1ELb0ELb1E19rocblas_complex_numIdEPKS1_PKS3_PKPS1_EviT7_lllT6_T8_lllPii.num_agpr, 0
	.set _ZL19rocblas_trsv_deviceILi32ELi16ELb0ELb1ELb0ELb1E19rocblas_complex_numIdEPKS1_PKS3_PKPS1_EviT7_lllT6_T8_lllPii.numbered_sgpr, 105
	.set _ZL19rocblas_trsv_deviceILi32ELi16ELb0ELb1ELb0ELb1E19rocblas_complex_numIdEPKS1_PKS3_PKPS1_EviT7_lllT6_T8_lllPii.num_named_barrier, 0
	.set _ZL19rocblas_trsv_deviceILi32ELi16ELb0ELb1ELb0ELb1E19rocblas_complex_numIdEPKS1_PKS3_PKPS1_EviT7_lllT6_T8_lllPii.private_seg_size, 0
	.set _ZL19rocblas_trsv_deviceILi32ELi16ELb0ELb1ELb0ELb1E19rocblas_complex_numIdEPKS1_PKS3_PKPS1_EviT7_lllT6_T8_lllPii.uses_vcc, 1
	.set _ZL19rocblas_trsv_deviceILi32ELi16ELb0ELb1ELb0ELb1E19rocblas_complex_numIdEPKS1_PKS3_PKPS1_EviT7_lllT6_T8_lllPii.uses_flat_scratch, 0
	.set _ZL19rocblas_trsv_deviceILi32ELi16ELb0ELb1ELb0ELb1E19rocblas_complex_numIdEPKS1_PKS3_PKPS1_EviT7_lllT6_T8_lllPii.has_dyn_sized_stack, 0
	.set _ZL19rocblas_trsv_deviceILi32ELi16ELb0ELb1ELb0ELb1E19rocblas_complex_numIdEPKS1_PKS3_PKPS1_EviT7_lllT6_T8_lllPii.has_recursion, 0
	.set _ZL19rocblas_trsv_deviceILi32ELi16ELb0ELb1ELb0ELb1E19rocblas_complex_numIdEPKS1_PKS3_PKPS1_EviT7_lllT6_T8_lllPii.has_indirect_call, 0
	.section	.AMDGPU.csdata,"",@progbits
; Kernel info:
; codeLenInByte = 23544
; TotalNumSgprs: 107
; NumVgprs: 211
; ScratchSize: 0
; MemoryBound: 1
; FloatMode: 240
; IeeeMode: 1
; LDSByteSize: 25104 bytes/workgroup (compile time only)
; SGPRBlocks: 0
; VGPRBlocks: 13
; NumSGPRsForWavesPerEU: 107
; NumVGPRsForWavesPerEU: 211
; NamedBarCnt: 0
; Occupancy: 4
; WaveLimiterHint : 1
; COMPUTE_PGM_RSRC2:SCRATCH_EN: 0
; COMPUTE_PGM_RSRC2:USER_SGPR: 2
; COMPUTE_PGM_RSRC2:TRAP_HANDLER: 0
; COMPUTE_PGM_RSRC2:TGID_X_EN: 1
; COMPUTE_PGM_RSRC2:TGID_Y_EN: 0
; COMPUTE_PGM_RSRC2:TGID_Z_EN: 1
; COMPUTE_PGM_RSRC2:TIDIG_COMP_CNT: 1
	.section	.text._ZL19rocblas_trsv_deviceILi32ELi16ELb0ELb1ELb1ELb1E19rocblas_complex_numIdEPKS1_PKS3_PKPS1_EviT7_lllT6_T8_lllPii,"axG",@progbits,_ZL19rocblas_trsv_deviceILi32ELi16ELb0ELb1ELb1ELb1E19rocblas_complex_numIdEPKS1_PKS3_PKPS1_EviT7_lllT6_T8_lllPii,comdat
	.globl	_ZL19rocblas_trsv_deviceILi32ELi16ELb0ELb1ELb1ELb1E19rocblas_complex_numIdEPKS1_PKS3_PKPS1_EviT7_lllT6_T8_lllPii ; -- Begin function _ZL19rocblas_trsv_deviceILi32ELi16ELb0ELb1ELb1ELb1E19rocblas_complex_numIdEPKS1_PKS3_PKPS1_EviT7_lllT6_T8_lllPii
	.p2align	8
	.type	_ZL19rocblas_trsv_deviceILi32ELi16ELb0ELb1ELb1ELb1E19rocblas_complex_numIdEPKS1_PKS3_PKPS1_EviT7_lllT6_T8_lllPii,@function
_ZL19rocblas_trsv_deviceILi32ELi16ELb0ELb1ELb1ELb1E19rocblas_complex_numIdEPKS1_PKS3_PKPS1_EviT7_lllT6_T8_lllPii: ; @_ZL19rocblas_trsv_deviceILi32ELi16ELb0ELb1ELb1ELb1E19rocblas_complex_numIdEPKS1_PKS3_PKPS1_EviT7_lllT6_T8_lllPii
; %bb.0:
	s_load_b32 s56, s[0:1], 0x58
	s_bfe_u32 s2, ttmp6, 0x40014
	s_lshr_b32 s3, ttmp7, 16
	s_add_co_i32 s2, s2, 1
	s_bfe_u32 s5, ttmp6, 0x40008
	s_mul_i32 s4, s3, s2
	s_getreg_b32 s2, hwreg(HW_REG_IB_STS2, 6, 4)
	s_add_co_i32 s5, s5, s4
	s_cmp_eq_u32 s2, 0
	s_mov_b32 s35, 0
	s_cselect_b32 s34, s3, s5
	s_wait_kmcnt 0x0
	s_cmp_ge_u32 s34, s56
	s_cbranch_scc1 .LBB171_542
; %bb.1:
	s_clause 0x3
	s_load_b32 s3, s[0:1], 0x6c
	s_load_b32 s57, s[0:1], 0x0
	s_load_b64 s[14:15], s[0:1], 0x18
	s_load_b256 s[36:43], s[0:1], 0x28
	s_bfe_u32 s5, ttmp6, 0x4000c
	s_and_b32 s4, ttmp6, 15
	s_add_co_i32 s5, s5, 1
	s_clause 0x1
	s_load_b64 s[52:53], s[0:1], 0x50
	s_load_b128 s[44:47], s[0:1], 0x8
	s_wait_xcnt 0x0
	s_mul_i32 s0, ttmp9, s5
	v_and_b32_e32 v22, 0x3ff, v0
	s_add_co_i32 s4, s4, s0
	s_cmp_eq_u32 s2, 0
	v_mov_b32_e32 v1, 0
	s_cselect_b32 s58, ttmp9, s4
	v_bfe_u32 v20, v0, 10, 10
	v_lshlrev_b32_e32 v3, 5, v22
                                        ; implicit-def: $vgpr210 : SGPR spill to VGPR lane
	v_cmp_gt_u32_e64 s5, 2, v22
	v_dual_mov_b32 v25, v1 :: v_dual_lshlrev_b32 v40, 4, v22
	s_wait_kmcnt 0x0
	s_and_b32 s0, s3, 0xffff
	s_add_co_i32 s1, s57, -1
	s_ashr_i32 s2, s57, 31
	s_ashr_i32 s3, s1, 31
	s_lshr_b32 s2, s2, 27
	s_lshr_b32 s3, s3, 27
	s_add_co_i32 s2, s57, s2
	s_add_co_i32 s1, s1, s3
	s_and_not1_b32 s2, s2, 31
	s_ashr_i32 s1, s1, 5
	s_sub_co_i32 s13, s57, s2
	s_cmp_eq_u32 s1, s58
	v_add_nc_u32_e32 v2, 16, v20
	s_cselect_b32 s1, -1, 0
	s_cmp_lg_u32 s13, 0
	v_sub_co_u32 v23, s3, s58, 1
	s_cselect_b32 s2, -1, 0
	v_lshl_add_u32 v6, v20, 5, v22
	s_and_b32 s27, s2, s1
	s_lshl_b32 s16, s58, 5
	s_delay_alu instid0(SALU_CYCLE_1)
	v_dual_add_nc_u32 v7, v20, v3 :: v_dual_add_nc_u32 v8, s16, v20
	s_xor_b32 s59, s3, -1
	s_xor_b32 s60, s27, -1
	s_cmp_lt_i32 s58, 5
	v_dual_add_nc_u32 v4, s16, v22 :: v_dual_add_nc_u32 v3, v2, v3
	v_lshl_add_u32 v9, v2, 5, v22
	s_cselect_b32 vcc_lo, -1, 0
	v_dual_cndmask_b32 v7, v6, v7 :: v_dual_lshrrev_b32 v10, 1, v6
	s_or_b32 vcc_lo, vcc_lo, s27
	s_delay_alu instid0(VALU_DEP_2) | instid1(SALU_CYCLE_1)
	v_dual_cndmask_b32 v9, v9, v3, vcc_lo :: v_dual_bitop2_b32 v11, 1, v0 bitop3:0x40
	v_lshrrev_b32_e32 v3, 10, v0
	s_add_nc_u64 s[2:3], s[14:15], 1
	s_ashr_i32 s17, s16, 31
	v_cmp_gt_u32_e64 s1, 4, v6
	s_mul_u64 s[18:19], s[2:3], s[16:17]
	v_bitop3_b32 v12, v0, v3, 0x3ff bitop3:0xa8
	v_dual_lshlrev_b32 v3, 9, v10 :: v_dual_lshlrev_b32 v47, 4, v11
	v_lshlrev_b32_e32 v49, 4, v22
	v_cmp_eq_u32_e64 s3, 1, v11
	v_cmp_eq_u32_e64 s4, 0, v11
	s_delay_alu instid0(VALU_DEP_4)
	v_dual_sub_nc_u32 v48, 0, v3 :: v_dual_sub_nc_u32 v50, v47, v3
	v_dual_lshrrev_b32 v3, 2, v6 :: v_dual_bitop2_b32 v11, 3, v0 bitop3:0x40
	s_and_b32 s63, s4, s1
	v_cmp_gt_u32_e64 s4, 16, v6
	s_and_b32 s62, s3, s1
	v_lshlrev_b32_e32 v13, 9, v3
	v_cmp_eq_u32_e64 s7, 3, v11
	v_lshl_add_u32 v54, v3, 4, 0x4000
	v_cmp_ne_u32_e64 s8, 3, v11
	v_dual_lshrrev_b32 v3, 3, v6 :: v_dual_lshlrev_b32 v55, 4, v11
	v_sub_nc_u32_e32 v56, 0, v13
	s_and_b32 s65, s7, s4
	v_cmp_gt_u32_e64 s7, 2, v11
	v_cmp_eq_u32_e64 s3, 0, v20
	v_cmp_eq_u32_e64 s9, 2, v11
	;; [unrolled: 1-line block ×3, first 2 shown]
	s_and_b32 s66, s8, s4
	v_cmp_eq_u32_e64 s8, 0, v11
	s_and_b32 s68, s7, s4
	v_cmp_gt_u32_e64 s7, 4, v22
	v_dual_sub_nc_u32 v57, v55, v13 :: v_dual_bitop2_b32 v11, 7, v0 bitop3:0x40
	s_and_b32 s70, s8, s4
	s_and_b32 s67, s9, s4
	;; [unrolled: 1-line block ×3, first 2 shown]
	v_cmp_gt_u32_e64 s7, 64, v6
	v_cmp_eq_u32_e64 s8, 7, v11
	v_cmp_ne_u32_e64 s9, 7, v11
	s_and_b32 s69, s10, s4
	v_lshlrev_b32_e32 v13, 9, v3
	v_lshl_add_u32 v58, v3, 4, 0x4000
	s_and_b32 s72, s8, s7
	v_cmp_eq_u32_e64 s8, 5, v11
	s_and_b32 s73, s9, s7
	v_cmp_gt_u32_e64 s9, 5, v11
	v_cmp_eq_u32_e64 s10, 6, v11
	v_lshlrev_b32_e32 v3, 5, v6
	s_and_b32 s76, s8, s7
	v_cmp_eq_u32_e64 s8, 4, v11
	v_dual_lshlrev_b32 v59, 4, v11 :: v_dual_sub_nc_u32 v60, 0, v13
	s_and_b32 s77, s9, s7
	v_cmp_gt_u32_e64 s9, 3, v11
	s_and_b32 s78, s8, s7
	v_cmp_eq_u32_e64 s8, 2, v11
	s_and_b32 s74, s10, s7
	v_cmp_gt_u32_e64 s10, 4, v11
	s_and_b32 s81, s9, s7
	v_cmp_gt_u32_e64 s9, 2, v11
	;; [unrolled: 2-line block ×3, first 2 shown]
	v_dual_sub_nc_u32 v61, v59, v13 :: v_dual_bitop2_b32 v0, 15, v0 bitop3:0x40
	v_cmp_gt_u32_e64 s11, 6, v11
	s_and_b32 s79, s10, s7
	v_cmp_eq_u32_e64 s10, 1, v11
	s_and_b32 s83, s9, s7
	s_and_b32 s86, s3, s8
	v_cmp_gt_u32_e64 s8, 0x100, v6
	v_cmp_eq_u32_e64 s9, 15, v0
	s_and_b32 s75, s11, s7
	v_cmp_eq_u32_e64 s11, 3, v11
	s_and_b32 s84, s10, s7
	v_cmp_ne_u32_e64 s10, 15, v0
	s_and_b32 s9, s9, s8
	v_cmp_eq_u32_e64 s12, 13, v0
	v_writelane_b32 v210, s9, 0
	s_and_b32 s80, s11, s7
	v_cmp_eq_u32_e64 s11, 0, v11
	v_cmp_eq_u32_e64 s9, 14, v0
	s_and_b32 s10, s10, s8
	v_lshl_add_u32 v46, v10, 4, 0x4000
	v_writelane_b32 v210, s10, 1
	s_and_b32 s85, s11, s7
	v_cmp_gt_u32_e64 s11, 14, v0
	s_and_b32 s9, s9, s8
	v_cmp_gt_u32_e64 s10, 13, v0
	v_writelane_b32 v210, s9, 2
	v_mad_u32_u24 v10, 0x1f0, v22, v49
	s_and_b32 s9, s11, s8
	v_cmp_eq_u32_e64 s11, 11, v0
	s_and_b32 s10, s10, s8
	v_writelane_b32 v210, s9, 3
	s_and_b32 s9, s12, s8
	v_cmp_gt_u32_e64 s12, 11, v0
	v_mad_i32_i24 v53, 0xfffffe10, v22, v10
	v_dual_lshlrev_b32 v71, 4, v0 :: v_dual_bitop2_b32 v11, -16, v6 bitop3:0x40
	v_writelane_b32 v210, s9, 4
	v_cmp_eq_u32_e64 s9, 12, v0
	v_and_b32_e32 v3, 0xfffffe00, v3
	v_mad_u32_u24 v24, v20, s0, v22
	v_subrev_nc_u32_e32 v26, 32, v8
	v_writelane_b32 v210, s10, 5
	v_cmp_gt_u32_e64 s10, 12, v0
	s_and_b32 s9, s9, s8
	v_dual_sub_nc_u32 v72, 0, v3 :: v_dual_sub_nc_u32 v73, v71, v3
	v_writelane_b32 v210, s9, 6
	s_and_b32 s10, s10, s8
	v_cmp_eq_u32_e64 s9, 10, v0
	v_dual_ashrrev_i32 v5, 31, v4 :: v_dual_ashrrev_i32 v27, 31, v26
	v_writelane_b32 v210, s10, 7
	s_and_b32 s10, s11, s8
	s_and_b32 s9, s9, s8
	v_cmp_gt_u32_e64 s11, 9, v0
	s_xor_b32 s61, vcc_lo, -1
	v_writelane_b32 v210, s10, 8
	s_and_b32 s10, s12, s8
	v_cmp_eq_u32_e64 s12, 8, v0
	s_and_b32 s100, s11, s8
	v_cmp_eq_u32_e64 s11, 6, v0
	v_writelane_b32 v210, s10, 9
	v_cmp_gt_u32_e64 s10, 10, v0
	s_and_b32 s101, s12, s8
	v_cmp_gt_u32_e64 s12, 6, v0
	s_and_b32 vcc_hi, s11, s8
	v_writelane_b32 v210, s9, 10
	v_cmp_eq_u32_e64 s9, 9, v0
	s_and_b32 s98, s10, s8
	v_cmp_gt_u32_e64 s10, 8, v0
	s_and_b32 s20, s12, s8
	v_cmp_gt_u32_e64 s11, 4, v0
	s_and_b32 s99, s9, s8
	v_cmp_eq_u32_e64 s9, 7, v0
	s_and_b32 s102, s10, s8
	v_cmp_gt_u32_e64 s10, 7, v0
	v_cmp_eq_u32_e64 s12, 3, v0
	s_and_b32 s24, s11, s8
	s_and_b32 s103, s9, s8
	v_cmp_eq_u32_e64 s9, 5, v0
	s_and_b32 s104, s10, s8
	v_cmp_gt_u32_e64 s10, 5, v0
	s_and_b32 s25, s12, s8
	v_cmp_eq_u32_e64 s11, 1, v0
	s_and_b32 s21, s9, s8
	v_cmp_eq_u32_e64 s9, 4, v0
	s_and_b32 s22, s10, s8
	v_cmp_gt_u32_e64 s10, 3, v0
	v_cmp_eq_u32_e64 s12, 0, v0
	s_and_b32 s89, s11, s8
	s_and_b32 s23, s9, s8
	v_cmp_eq_u32_e64 s9, 2, v0
	s_and_b32 s26, s10, s8
	v_cmp_gt_u32_e64 s10, 2, v0
	v_add_nc_u32_e32 v0, -16, v8
	v_cmp_gt_i32_e32 vcc_lo, s13, v22
	s_and_b32 s87, s9, s8
	v_cmp_gt_u32_e64 s9, 16, v22
	s_and_b32 s88, s10, s8
	v_cmp_gt_i32_e64 s11, s57, v0
	v_mad_u32_u24 v0, 0x1f0, v22, v53
	v_cmp_le_i32_e64 s10, s13, v22
	s_and_b32 s91, s3, s9
	s_and_b32 s64, s3, s5
	;; [unrolled: 1-line block ×3, first 2 shown]
	v_mad_i32_i24 v104, 0xfffffe10, v22, v0
	s_and_b32 s92, s10, s27
	v_add_nc_u32_e32 v100, 0x3980, v0
	v_add_nc_u32_e32 v101, 0x39b0, v0
	;; [unrolled: 1-line block ×3, first 2 shown]
	v_mad_u32_u24 v3, 0x1f0, v22, v104
	v_add_nc_u32_e32 v103, 0x3990, v0
	v_add_nc_u32_e32 v105, 0x2d40, v0
	;; [unrolled: 1-line block ×4, first 2 shown]
	v_mad_i32_i24 v115, 0xfffffe10, v22, v3
	v_add_nc_u32_e32 v108, 0x18b0, v0
	v_add_nc_u32_e32 v109, 0x18a0, v0
	;; [unrolled: 1-line block ×5, first 2 shown]
	s_xor_b32 s9, s92, -1
	v_add_nc_u32_e32 v113, 0x3580, v3
	v_add_nc_u32_e32 v114, 0x3590, v3
	;; [unrolled: 1-line block ×12, first 2 shown]
	v_mad_u32_u24 v0, 0x1f0, v22, v115
	v_dual_lshlrev_b32 v3, 4, v20 :: v_dual_lshlrev_b32 v136, 4, v7
	s_and_b32 s93, s3, s9
	s_cmp_gt_i32 s58, 0
	v_cmp_gt_i32_e64 s0, s57, v4
	v_mul_u64_e32 v[28:29], s[14:15], v[4:5]
	v_mul_u64_e32 v[30:31], s[42:43], v[4:5]
	s_cselect_b32 s94, -1, 0
	v_add_nc_u32_e32 v126, 0x2500, v0
	v_add_nc_u32_e32 v127, 0x2510, v0
	v_mad_i32_i24 v8, 0xfffffe10, v22, v0
	v_add_nc_u32_e32 v128, 0x400, v0
	v_add_nc_u32_e32 v129, 0x410, v0
	v_dual_add_nc_u32 v130, v0, v3 :: v_dual_add_nc_u32 v0, s16, v24
	v_add_nc_u64_e32 v[4:5], s[16:17], v[24:25]
	s_and_b32 s16, s3, vcc_lo
	s_lshl_b64 s[54:55], s[18:19], 4
	v_writelane_b32 v210, s16, 11
	v_cmp_gt_u32_e64 s18, 0xf0, v6
	v_add_nc_u32_e32 v52, 0x3dd0, v10
	v_dual_mov_b32 v21, v1 :: v_dual_add_nc_u32 v62, 0x3100, v10
	v_add_nc_u32_e32 v131, 0x6000, v3
	s_delay_alu instid0(VALU_DEP_4)
	v_writelane_b32 v210, s18, 12
	v_cmp_gt_u32_e64 s18, 0xe0, v6
	v_mov_b32_e32 v3, v1
	v_mul_u64_e32 v[32:33], s[42:43], v[4:5]
	v_mul_u64_e32 v[36:37], s[42:43], v[0:1]
	;; [unrolled: 1-line block ×3, first 2 shown]
	v_writelane_b32 v210, s18, 13
	v_cmp_gt_u32_e64 s18, 0xd0, v6
	v_mul_u64_e32 v[34:35], s[14:15], v[2:3]
	v_cmp_le_i32_e64 s12, s13, v20
	v_cmp_le_i32_e64 s13, s13, v2
	v_cmp_ge_u32_e64 s9, v22, v20
	v_writelane_b32 v210, s18, 14
	v_cmp_gt_u32_e64 s18, 0xc0, v6
	s_or_b32 s27, s12, s10
	s_or_b32 s13, s13, s10
	v_cmp_gt_i32_e64 s12, s57, v26
	v_cmp_ge_u32_e64 s10, v22, v2
	v_writelane_b32 v210, s18, 15
	v_cmp_gt_u32_e64 s18, 0xb0, v6
	v_dual_lshlrev_b32 v137, 4, v9 :: v_dual_bitop2_b32 v7, v2, v22 bitop3:0x54
	v_cmp_gt_u32_e64 s2, 2, v6
	v_add_nc_u32_e32 v51, 0x3dc0, v10
	s_delay_alu instid0(VALU_DEP_4)
	v_writelane_b32 v210, s18, 16
	v_cmp_gt_u32_e64 s18, 0xa0, v6
	v_cmp_gt_u32_e64 s5, 12, v6
	;; [unrolled: 1-line block ×3, first 2 shown]
	v_add_nc_u32_e32 v63, 0x3110, v10
	v_add_nc_u32_e32 v64, 0x3120, v10
	v_writelane_b32 v210, s18, 17
	v_cmp_gt_u32_e64 s18, 0x90, v6
	v_add_nc_u32_e32 v65, 0x3130, v10
	v_add_nc_u32_e32 v66, 0x3140, v10
	v_add_nc_u32_e32 v67, 0x3150, v10
	v_add_nc_u32_e32 v68, 0x3160, v10
	v_writelane_b32 v210, s18, 18
	v_cmp_gt_u32_e64 s18, 0x80, v6
	v_add_nc_u32_e32 v69, 0x3170, v10
	v_add_nc_u32_e32 v70, 0x4000, v11
	;; [unrolled: 6-line block ×4, first 2 shown]
	v_add_nc_u32_e32 v82, 0x2080, v10
	v_add_nc_u32_e32 v83, 0x2090, v10
	;; [unrolled: 1-line block ×22, first 2 shown]
	v_lshl_add_u32 v135, v20, 9, v8
	s_and_b32 s16, s12, s0
	s_and_b32 s17, s11, s0
	s_or_b32 s95, s27, s9
	s_or_b32 s96, s13, s10
	v_add_nc_u32_e32 v138, 0x39e0, v53
	v_add_nc_u32_e32 v139, 0x3be0, v53
	;; [unrolled: 1-line block ×56, first 2 shown]
	v_dual_add_nc_u32 v194, 64, v104 :: v_dual_add_nc_u32 v200, v131, v49
	v_add_nc_u32_e32 v195, 0x640, v104
	v_add_nc_u32_e32 v196, 0x440, v104
	;; [unrolled: 1-line block ×3, first 2 shown]
	v_lshl_add_u32 v197, v24, 4, 0x6000
	v_lshl_add_u32 v198, v6, 4, 0x4000
	v_add_nc_u32_e32 v199, 0x4000, v49
	v_cmp_gt_u32_e64 s11, 56, v6
	v_cmp_gt_u32_e64 s12, 48, v6
	;; [unrolled: 1-line block ×5, first 2 shown]
	v_writelane_b32 v210, s18, 21
	v_cmp_gt_u32_e64 s18, 0x50, v6
	v_cmp_eq_u32_e64 s27, 0, v12
	v_cmp_gt_u32_e64 s28, 32, v12
	v_cmp_gt_u32_e64 s29, 32, v7
	v_cmp_eq_u32_e64 s30, 0, v24
	v_cmp_gt_u32_e64 s31, 32, v24
	s_lshl_b64 s[46:47], s[46:47], 4
	s_lshl_b64 s[40:41], s[40:41], 4
	s_mov_b32 s49, 0x3ff00000
                                        ; implicit-def: $vgpr4_vgpr5
                                        ; implicit-def: $vgpr8_vgpr9
	v_writelane_b32 v210, s18, 22
	s_branch .LBB171_3
.LBB171_2:                              ;   in Loop: Header=BB171_3 Depth=1
	s_wait_xcnt 0x0
	s_or_b32 exec_lo, exec_lo, s19
	s_add_co_i32 s34, s34, 0x10000
	global_wb scope:SCOPE_DEV
	s_wait_storecnt 0x0
	global_inv scope:SCOPE_DEV
	s_cmp_lt_u32 s34, s56
	s_cbranch_scc0 .LBB171_542
.LBB171_3:                              ; =>This Loop Header: Depth=1
                                        ;     Child Loop BB171_453 Depth 2
                                        ;       Child Loop BB171_455 Depth 3
                                        ;     Child Loop BB171_486 Depth 2
	v_mov_b32_e32 v0, s34
	s_and_not1_b32 vcc_lo, exec_lo, s59
	s_clause 0x1
	global_load_b64 v[2:3], v0, s[44:45] scale_offset
	global_load_b64 v[44:45], v0, s[38:39] scale_offset
	global_load_b128 v[12:15], v1, s[36:37]
	s_wait_loadcnt 0x2
	v_add_nc_u64_e32 v[2:3], s[46:47], v[2:3]
	s_delay_alu instid0(VALU_DEP_1)
	v_lshl_add_u64 v[42:43], v[28:29], 4, v[2:3]
	s_cbranch_vccnz .LBB171_9
; %bb.4:                                ;   in Loop: Header=BB171_3 Depth=1
	v_mov_b64_e32 v[10:11], 0
	v_mov_b64_e32 v[4:5], 0
	;; [unrolled: 1-line block ×3, first 2 shown]
	v_lshl_add_u64 v[16:17], v[26:27], 4, v[42:43]
	s_wait_loadcnt 0x0
	s_barrier_signal -1
	s_barrier_wait -1
	s_wait_xcnt 0x0
	s_and_saveexec_b32 s19, s16
	s_cbranch_execz .LBB171_6
; %bb.5:                                ;   in Loop: Header=BB171_3 Depth=1
	flat_load_b128 v[4:7], v[16:17]
.LBB171_6:                              ;   in Loop: Header=BB171_3 Depth=1
	s_wait_xcnt 0x0
	s_or_b32 exec_lo, exec_lo, s19
	v_mov_b64_e32 v[8:9], 0
	s_wait_loadcnt_dscnt 0x0
	s_barrier_signal -1
	s_barrier_wait -1
	s_and_saveexec_b32 s19, s17
	s_cbranch_execz .LBB171_8
; %bb.7:                                ;   in Loop: Header=BB171_3 Depth=1
	flat_load_b128 v[8:11], v[16:17] offset:256
.LBB171_8:                              ;   in Loop: Header=BB171_3 Depth=1
	s_wait_xcnt 0x0
	s_or_b32 exec_lo, exec_lo, s19
.LBB171_9:                              ;   in Loop: Header=BB171_3 Depth=1
	v_add_nc_u64_e32 v[2:3], s[54:55], v[2:3]
	v_mov_b32_e32 v41, v1
	s_and_not1_b32 vcc_lo, exec_lo, s60
	s_mov_b32 s19, -1
	s_delay_alu instid0(VALU_DEP_1)
	v_add_nc_u64_e32 v[16:17], v[2:3], v[40:41]
	s_cbranch_vccnz .LBB171_16
; %bb.10:                               ;   in Loop: Header=BB171_3 Depth=1
	s_wait_xcnt 0x0
	s_and_saveexec_b32 s19, s9
	s_delay_alu instid0(SALU_CYCLE_1)
	s_xor_b32 s19, exec_lo, s19
	s_cbranch_execnz .LBB171_499
; %bb.11:                               ;   in Loop: Header=BB171_3 Depth=1
	s_and_not1_saveexec_b32 s19, s19
	s_cbranch_execnz .LBB171_502
.LBB171_12:                             ;   in Loop: Header=BB171_3 Depth=1
	s_or_b32 exec_lo, exec_lo, s19
	s_and_saveexec_b32 s19, s10
	s_delay_alu instid0(SALU_CYCLE_1)
	s_xor_b32 s19, exec_lo, s19
	s_cbranch_execnz .LBB171_503
.LBB171_13:                             ;   in Loop: Header=BB171_3 Depth=1
	s_and_not1_saveexec_b32 s19, s19
	s_cbranch_execz .LBB171_15
.LBB171_14:                             ;   in Loop: Header=BB171_3 Depth=1
	v_lshl_add_u64 v[2:3], v[34:35], 4, v[16:17]
	flat_load_b128 v[202:205], v[2:3]
	s_wait_loadcnt_dscnt 0x0
	v_xor_b32_e32 v203, 0x80000000, v203
	ds_store_b128 v137, v[202:205]
.LBB171_15:                             ;   in Loop: Header=BB171_3 Depth=1
	s_or_b32 exec_lo, exec_lo, s19
	s_mov_b32 s19, 0
.LBB171_16:                             ;   in Loop: Header=BB171_3 Depth=1
	s_delay_alu instid0(SALU_CYCLE_1)
	s_and_b32 vcc_lo, exec_lo, s19
	s_cbranch_vccz .LBB171_23
; %bb.17:                               ;   in Loop: Header=BB171_3 Depth=1
	s_wait_xcnt 0x0
	s_and_saveexec_b32 s19, s95
	s_delay_alu instid0(SALU_CYCLE_1)
	s_xor_b32 s19, exec_lo, s19
	s_cbranch_execnz .LBB171_506
; %bb.18:                               ;   in Loop: Header=BB171_3 Depth=1
	s_and_not1_saveexec_b32 s19, s19
	s_cbranch_execnz .LBB171_509
.LBB171_19:                             ;   in Loop: Header=BB171_3 Depth=1
	s_or_b32 exec_lo, exec_lo, s19
	s_and_saveexec_b32 s19, s96
	s_delay_alu instid0(SALU_CYCLE_1)
	s_xor_b32 s19, exec_lo, s19
	s_cbranch_execnz .LBB171_510
.LBB171_20:                             ;   in Loop: Header=BB171_3 Depth=1
	s_and_not1_saveexec_b32 s19, s19
	s_cbranch_execz .LBB171_22
.LBB171_21:                             ;   in Loop: Header=BB171_3 Depth=1
	v_lshl_add_u64 v[2:3], v[34:35], 4, v[16:17]
	flat_load_b128 v[16:19], v[2:3]
	s_wait_loadcnt_dscnt 0x0
	v_xor_b32_e32 v17, 0x80000000, v17
	ds_store_b128 v137, v[16:19]
.LBB171_22:                             ;   in Loop: Header=BB171_3 Depth=1
	s_or_b32 exec_lo, exec_lo, s19
.LBB171_23:                             ;   in Loop: Header=BB171_3 Depth=1
	s_delay_alu instid0(SALU_CYCLE_1)
	s_and_not1_b32 vcc_lo, exec_lo, s61
	s_wait_loadcnt_dscnt 0x0
	s_barrier_signal -1
	s_barrier_wait -1
	s_cbranch_vccnz .LBB171_447
; %bb.24:                               ;   in Loop: Header=BB171_3 Depth=1
	s_wait_xcnt 0x0
	s_and_saveexec_b32 s33, s27
	s_cbranch_execz .LBB171_26
; %bb.25:                               ;   in Loop: Header=BB171_3 Depth=1
	s_mov_b32 s48, s35
	s_mov_b32 s50, s35
	s_mov_b32 s51, s35
	v_mov_b64_e32 v[16:17], s[48:49]
	v_mov_b64_e32 v[18:19], s[50:51]
	ds_store_b128 v1, v[16:19] offset:15840
	ds_store_b128 v1, v[16:19] offset:16368
	ds_load_b128 v[16:19], v1 offset:16352
	s_wait_dscnt 0x0
	ds_store_b128 v1, v[16:19] offset:15856
.LBB171_26:                             ;   in Loop: Header=BB171_3 Depth=1
	s_or_b32 exec_lo, exec_lo, s33
	v_mov_b64_e32 v[16:17], 0
	v_mov_b64_e32 v[18:19], 0
	s_wait_dscnt 0x0
	s_barrier_signal -1
	s_barrier_wait -1
	global_wb scope:SCOPE_DEV
	s_wait_storecnt 0x0
	global_inv scope:SCOPE_DEV
	s_and_saveexec_b32 s33, s1
	s_cbranch_execz .LBB171_30
; %bb.27:                               ;   in Loop: Header=BB171_3 Depth=1
	ds_load_b128 v[16:19], v48 offset:16352
	ds_load_b128 v[202:205], v47 offset:15808
	s_wait_dscnt 0x0
	v_mul_f64_e32 v[2:3], v[18:19], v[204:205]
	v_mul_f64_e32 v[204:205], v[16:17], v[204:205]
	s_delay_alu instid0(VALU_DEP_2) | instskip(NEXT) | instid1(VALU_DEP_2)
	v_fma_f64 v[2:3], v[16:17], v[202:203], -v[2:3]
	v_fmac_f64_e32 v[204:205], v[18:19], v[202:203]
	s_delay_alu instid0(VALU_DEP_2) | instskip(NEXT) | instid1(VALU_DEP_2)
	v_add_f64_e32 v[16:17], 0, v[2:3]
	v_add_f64_e32 v[18:19], 0, v[204:205]
	s_and_saveexec_b32 s19, s2
	s_cbranch_execz .LBB171_29
; %bb.28:                               ;   in Loop: Header=BB171_3 Depth=1
	ds_load_b128 v[202:205], v1 offset:16368
	ds_load_b128 v[206:209], v49 offset:16320
	s_wait_dscnt 0x0
	v_mul_f64_e32 v[2:3], v[204:205], v[208:209]
	s_delay_alu instid0(VALU_DEP_1) | instskip(SKIP_1) | instid1(VALU_DEP_2)
	v_fma_f64 v[2:3], v[202:203], v[206:207], -v[2:3]
	v_mul_f64_e32 v[202:203], v[202:203], v[208:209]
	v_add_f64_e32 v[16:17], v[16:17], v[2:3]
	s_delay_alu instid0(VALU_DEP_2) | instskip(NEXT) | instid1(VALU_DEP_1)
	v_fmac_f64_e32 v[202:203], v[204:205], v[206:207]
	v_add_f64_e32 v[18:19], v[18:19], v[202:203]
.LBB171_29:                             ;   in Loop: Header=BB171_3 Depth=1
	s_or_b32 exec_lo, exec_lo, s19
.LBB171_30:                             ;   in Loop: Header=BB171_3 Depth=1
	s_delay_alu instid0(SALU_CYCLE_1)
	s_or_b32 exec_lo, exec_lo, s33
	s_and_saveexec_b32 s19, s62
	s_cbranch_execz .LBB171_32
; %bb.31:                               ;   in Loop: Header=BB171_3 Depth=1
	s_delay_alu instid0(VALU_DEP_2) | instskip(NEXT) | instid1(VALU_DEP_2)
	v_xor_b32_e32 v203, 0x80000000, v17
	v_xor_b32_e32 v205, 0x80000000, v19
	s_delay_alu instid0(VALU_DEP_3)
	v_dual_mov_b32 v202, v16 :: v_dual_mov_b32 v204, v18
	ds_store_b128 v46, v[202:205]
.LBB171_32:                             ;   in Loop: Header=BB171_3 Depth=1
	s_or_b32 exec_lo, exec_lo, s19
	s_wait_loadcnt_dscnt 0x0
	s_barrier_signal -1
	s_barrier_wait -1
	s_and_saveexec_b32 s19, s63
	s_cbranch_execz .LBB171_34
; %bb.33:                               ;   in Loop: Header=BB171_3 Depth=1
	ds_load_b128 v[202:205], v46
	ds_load_b128 v[206:209], v1 offset:15296
	s_wait_dscnt 0x0
	v_mul_f64_e32 v[2:3], v[202:203], v[206:207]
	v_mul_f64_e32 v[202:203], v[202:203], v[208:209]
	s_delay_alu instid0(VALU_DEP_2) | instskip(NEXT) | instid1(VALU_DEP_2)
	v_fma_f64 v[2:3], v[204:205], v[208:209], -v[2:3]
	v_fmac_f64_e32 v[202:203], v[204:205], v[206:207]
	s_delay_alu instid0(VALU_DEP_2) | instskip(NEXT) | instid1(VALU_DEP_2)
	v_add_f64_e32 v[16:17], v[16:17], v[2:3]
	v_add_f64_e64 v[18:19], v[18:19], -v[202:203]
.LBB171_34:                             ;   in Loop: Header=BB171_3 Depth=1
	s_or_b32 exec_lo, exec_lo, s19
	s_barrier_signal -1
	s_barrier_wait -1
	s_and_saveexec_b32 s19, s63
	s_cbranch_execz .LBB171_36
; %bb.35:                               ;   in Loop: Header=BB171_3 Depth=1
	s_delay_alu instid0(VALU_DEP_2) | instskip(NEXT) | instid1(VALU_DEP_2)
	v_xor_b32_e32 v203, 0x80000000, v17
	v_xor_b32_e32 v205, 0x80000000, v19
	s_delay_alu instid0(VALU_DEP_3)
	v_dual_mov_b32 v202, v16 :: v_dual_mov_b32 v204, v18
	ds_store_b128 v46, v[202:205]
.LBB171_36:                             ;   in Loop: Header=BB171_3 Depth=1
	s_or_b32 exec_lo, exec_lo, s19
	s_wait_dscnt 0x0
	s_barrier_signal -1
	s_barrier_wait -1
	s_barrier_signal -1
	s_barrier_wait -1
	s_and_saveexec_b32 s19, s1
; %bb.37:                               ;   in Loop: Header=BB171_3 Depth=1
	ds_store_b128 v50, v[16:19] offset:16320
; %bb.38:                               ;   in Loop: Header=BB171_3 Depth=1
	s_or_b32 exec_lo, exec_lo, s19
	s_wait_dscnt 0x0
	s_barrier_signal -1
	s_barrier_wait -1
	s_barrier_signal -1
	s_barrier_wait -1
	s_and_saveexec_b32 s19, s64
	s_cbranch_execz .LBB171_40
; %bb.39:                               ;   in Loop: Header=BB171_3 Depth=1
	ds_load_b128 v[16:19], v51
	s_wait_dscnt 0x0
	ds_store_b128 v138, v[16:19]
	ds_load_b128 v[16:19], v52
	s_wait_dscnt 0x0
	ds_store_b128 v139, v[16:19]
.LBB171_40:                             ;   in Loop: Header=BB171_3 Depth=1
	s_or_b32 exec_lo, exec_lo, s19
	s_wait_dscnt 0x0
	s_barrier_signal -1
	s_barrier_wait -1
	s_and_saveexec_b32 s33, s27
	s_cbranch_execz .LBB171_42
; %bb.41:                               ;   in Loop: Header=BB171_3 Depth=1
	s_mov_b32 s48, s35
	s_mov_b32 s50, s35
	;; [unrolled: 1-line block ×3, first 2 shown]
	v_mov_b64_e32 v[16:17], s[48:49]
	v_mov_b64_e32 v[18:19], s[50:51]
	ds_store_b128 v1, v[16:19] offset:14784
	ds_store_b128 v1, v[16:19] offset:15312
	ds_load_b128 v[16:19], v1 offset:15296
	s_wait_dscnt 0x0
	ds_store_b128 v1, v[16:19] offset:14800
.LBB171_42:                             ;   in Loop: Header=BB171_3 Depth=1
	s_or_b32 exec_lo, exec_lo, s33
	v_mov_b64_e32 v[18:19], 0
	v_mov_b64_e32 v[16:17], 0
	s_wait_dscnt 0x0
	s_barrier_signal -1
	s_barrier_wait -1
	global_wb scope:SCOPE_DEV
	s_wait_storecnt 0x0
	global_inv scope:SCOPE_DEV
	s_and_saveexec_b32 s33, s4
	s_cbranch_execz .LBB171_48
; %bb.43:                               ;   in Loop: Header=BB171_3 Depth=1
	ds_load_b128 v[16:19], v56 offset:16320
	ds_load_b128 v[202:205], v55 offset:14720
	s_wait_dscnt 0x0
	v_mul_f64_e32 v[2:3], v[18:19], v[204:205]
	v_mul_f64_e32 v[204:205], v[16:17], v[204:205]
	s_delay_alu instid0(VALU_DEP_2) | instskip(NEXT) | instid1(VALU_DEP_2)
	v_fma_f64 v[2:3], v[16:17], v[202:203], -v[2:3]
	v_fmac_f64_e32 v[204:205], v[18:19], v[202:203]
	s_delay_alu instid0(VALU_DEP_2) | instskip(NEXT) | instid1(VALU_DEP_2)
	v_add_f64_e32 v[16:17], 0, v[2:3]
	v_add_f64_e32 v[18:19], 0, v[204:205]
	s_and_saveexec_b32 s19, s5
	s_cbranch_execnz .LBB171_518
; %bb.44:                               ;   in Loop: Header=BB171_3 Depth=1
	s_or_b32 exec_lo, exec_lo, s19
	s_and_saveexec_b32 s19, s6
	s_cbranch_execnz .LBB171_519
.LBB171_45:                             ;   in Loop: Header=BB171_3 Depth=1
	s_or_b32 exec_lo, exec_lo, s19
	s_and_saveexec_b32 s19, s1
	s_cbranch_execz .LBB171_47
.LBB171_46:                             ;   in Loop: Header=BB171_3 Depth=1
	ds_load_b128 v[202:205], v1 offset:16368
	ds_load_b128 v[206:209], v53 offset:16256
	s_wait_dscnt 0x0
	v_mul_f64_e32 v[2:3], v[204:205], v[208:209]
	s_delay_alu instid0(VALU_DEP_1) | instskip(SKIP_1) | instid1(VALU_DEP_2)
	v_fma_f64 v[2:3], v[202:203], v[206:207], -v[2:3]
	v_mul_f64_e32 v[202:203], v[202:203], v[208:209]
	v_add_f64_e32 v[16:17], v[16:17], v[2:3]
	s_delay_alu instid0(VALU_DEP_2) | instskip(NEXT) | instid1(VALU_DEP_1)
	v_fmac_f64_e32 v[202:203], v[204:205], v[206:207]
	v_add_f64_e32 v[18:19], v[18:19], v[202:203]
.LBB171_47:                             ;   in Loop: Header=BB171_3 Depth=1
	s_or_b32 exec_lo, exec_lo, s19
.LBB171_48:                             ;   in Loop: Header=BB171_3 Depth=1
	s_delay_alu instid0(SALU_CYCLE_1)
	s_or_b32 exec_lo, exec_lo, s33
	s_and_saveexec_b32 s19, s65
	s_cbranch_execz .LBB171_50
; %bb.49:                               ;   in Loop: Header=BB171_3 Depth=1
	s_delay_alu instid0(VALU_DEP_1) | instskip(NEXT) | instid1(VALU_DEP_3)
	v_xor_b32_e32 v205, 0x80000000, v19
	v_xor_b32_e32 v203, 0x80000000, v17
	s_delay_alu instid0(VALU_DEP_3)
	v_dual_mov_b32 v202, v16 :: v_dual_mov_b32 v204, v18
	ds_store_b128 v54, v[202:205]
.LBB171_50:                             ;   in Loop: Header=BB171_3 Depth=1
	s_or_b32 exec_lo, exec_lo, s19
	s_wait_loadcnt_dscnt 0x0
	s_barrier_signal -1
	s_barrier_wait -1
	s_and_saveexec_b32 s19, s66
	s_cbranch_execz .LBB171_52
; %bb.51:                               ;   in Loop: Header=BB171_3 Depth=1
	ds_load_b128 v[202:205], v54
	ds_load_b128 v[206:209], v55 offset:14208
	s_wait_dscnt 0x0
	v_mul_f64_e32 v[2:3], v[204:205], v[208:209]
	s_delay_alu instid0(VALU_DEP_1) | instskip(SKIP_1) | instid1(VALU_DEP_2)
	v_fma_f64 v[2:3], v[202:203], v[206:207], -v[2:3]
	v_mul_f64_e32 v[202:203], v[202:203], v[208:209]
	v_add_f64_e64 v[16:17], v[16:17], -v[2:3]
	s_delay_alu instid0(VALU_DEP_2) | instskip(NEXT) | instid1(VALU_DEP_1)
	v_fmac_f64_e32 v[202:203], v[204:205], v[206:207]
	v_add_f64_e64 v[18:19], v[18:19], -v[202:203]
.LBB171_52:                             ;   in Loop: Header=BB171_3 Depth=1
	s_or_b32 exec_lo, exec_lo, s19
	s_barrier_signal -1
	s_barrier_wait -1
	s_and_saveexec_b32 s19, s67
	s_cbranch_execz .LBB171_54
; %bb.53:                               ;   in Loop: Header=BB171_3 Depth=1
	s_delay_alu instid0(VALU_DEP_1) | instskip(NEXT) | instid1(VALU_DEP_3)
	v_xor_b32_e32 v205, 0x80000000, v19
	v_xor_b32_e32 v203, 0x80000000, v17
	s_delay_alu instid0(VALU_DEP_3)
	v_dual_mov_b32 v202, v16 :: v_dual_mov_b32 v204, v18
	ds_store_b128 v54, v[202:205]
.LBB171_54:                             ;   in Loop: Header=BB171_3 Depth=1
	s_or_b32 exec_lo, exec_lo, s19
	s_wait_dscnt 0x0
	s_barrier_signal -1
	s_barrier_wait -1
	s_and_saveexec_b32 s19, s68
	s_cbranch_execz .LBB171_56
; %bb.55:                               ;   in Loop: Header=BB171_3 Depth=1
	ds_load_b128 v[202:205], v54
	ds_load_b128 v[206:209], v55 offset:13696
	s_wait_dscnt 0x0
	v_mul_f64_e32 v[2:3], v[204:205], v[208:209]
	s_delay_alu instid0(VALU_DEP_1) | instskip(SKIP_1) | instid1(VALU_DEP_2)
	v_fma_f64 v[2:3], v[202:203], v[206:207], -v[2:3]
	v_mul_f64_e32 v[202:203], v[202:203], v[208:209]
	v_add_f64_e64 v[16:17], v[16:17], -v[2:3]
	s_delay_alu instid0(VALU_DEP_2) | instskip(NEXT) | instid1(VALU_DEP_1)
	v_fmac_f64_e32 v[202:203], v[204:205], v[206:207]
	v_add_f64_e64 v[18:19], v[18:19], -v[202:203]
.LBB171_56:                             ;   in Loop: Header=BB171_3 Depth=1
	s_or_b32 exec_lo, exec_lo, s19
	s_barrier_signal -1
	s_barrier_wait -1
	s_and_saveexec_b32 s19, s69
	s_cbranch_execz .LBB171_58
; %bb.57:                               ;   in Loop: Header=BB171_3 Depth=1
	s_delay_alu instid0(VALU_DEP_1) | instskip(NEXT) | instid1(VALU_DEP_3)
	v_xor_b32_e32 v205, 0x80000000, v19
	v_xor_b32_e32 v203, 0x80000000, v17
	s_delay_alu instid0(VALU_DEP_3)
	v_dual_mov_b32 v202, v16 :: v_dual_mov_b32 v204, v18
	ds_store_b128 v54, v[202:205]
.LBB171_58:                             ;   in Loop: Header=BB171_3 Depth=1
	s_or_b32 exec_lo, exec_lo, s19
	s_wait_dscnt 0x0
	;; [unrolled: 32-line block ×3, first 2 shown]
	s_barrier_signal -1
	s_barrier_wait -1
	s_barrier_signal -1
	s_barrier_wait -1
	s_and_saveexec_b32 s19, s4
; %bb.63:                               ;   in Loop: Header=BB171_3 Depth=1
	ds_store_b128 v57, v[16:19] offset:16256
; %bb.64:                               ;   in Loop: Header=BB171_3 Depth=1
	s_or_b32 exec_lo, exec_lo, s19
	s_wait_dscnt 0x0
	s_barrier_signal -1
	s_barrier_wait -1
	s_barrier_signal -1
	s_barrier_wait -1
	s_and_saveexec_b32 s19, s71
	s_cbranch_execz .LBB171_66
; %bb.65:                               ;   in Loop: Header=BB171_3 Depth=1
	ds_load_b128 v[16:19], v100
	s_wait_dscnt 0x0
	ds_store_b128 v140, v[16:19]
	ds_load_b128 v[16:19], v103
	s_wait_dscnt 0x0
	ds_store_b128 v143, v[16:19]
	ds_load_b128 v[16:19], v102
	s_wait_dscnt 0x0
	ds_store_b128 v142, v[16:19]
	ds_load_b128 v[16:19], v101
	s_wait_dscnt 0x0
	ds_store_b128 v141, v[16:19]
.LBB171_66:                             ;   in Loop: Header=BB171_3 Depth=1
	s_or_b32 exec_lo, exec_lo, s19
	s_wait_dscnt 0x0
	s_barrier_signal -1
	s_barrier_wait -1
	s_and_saveexec_b32 s33, s27
	s_cbranch_execz .LBB171_68
; %bb.67:                               ;   in Loop: Header=BB171_3 Depth=1
	s_mov_b32 s48, s35
	s_mov_b32 s50, s35
	;; [unrolled: 1-line block ×3, first 2 shown]
	v_mov_b64_e32 v[16:17], s[48:49]
	v_mov_b64_e32 v[18:19], s[50:51]
	ds_store_b128 v1, v[16:19] offset:13728
	ds_store_b128 v1, v[16:19] offset:14256
	ds_load_b128 v[16:19], v1 offset:14240
	s_wait_dscnt 0x0
	ds_store_b128 v1, v[16:19] offset:13744
.LBB171_68:                             ;   in Loop: Header=BB171_3 Depth=1
	s_or_b32 exec_lo, exec_lo, s33
	v_mov_b64_e32 v[16:17], 0
	v_mov_b64_e32 v[18:19], 0
	s_wait_dscnt 0x0
	s_barrier_signal -1
	s_barrier_wait -1
	global_wb scope:SCOPE_DEV
	s_wait_storecnt 0x0
	global_inv scope:SCOPE_DEV
	s_and_saveexec_b32 s33, s1
	s_cbranch_execz .LBB171_72
; %bb.69:                               ;   in Loop: Header=BB171_3 Depth=1
	ds_load_b128 v[16:19], v48 offset:14240
	ds_load_b128 v[202:205], v47 offset:13696
	s_wait_dscnt 0x0
	v_mul_f64_e32 v[2:3], v[18:19], v[204:205]
	v_mul_f64_e32 v[204:205], v[16:17], v[204:205]
	s_delay_alu instid0(VALU_DEP_2) | instskip(NEXT) | instid1(VALU_DEP_2)
	v_fma_f64 v[2:3], v[16:17], v[202:203], -v[2:3]
	v_fmac_f64_e32 v[204:205], v[18:19], v[202:203]
	s_delay_alu instid0(VALU_DEP_2) | instskip(NEXT) | instid1(VALU_DEP_2)
	v_add_f64_e32 v[16:17], 0, v[2:3]
	v_add_f64_e32 v[18:19], 0, v[204:205]
	s_and_saveexec_b32 s19, s2
	s_cbranch_execz .LBB171_71
; %bb.70:                               ;   in Loop: Header=BB171_3 Depth=1
	ds_load_b128 v[202:205], v1 offset:14256
	ds_load_b128 v[206:209], v104 offset:14208
	s_wait_dscnt 0x0
	v_mul_f64_e32 v[2:3], v[204:205], v[208:209]
	s_delay_alu instid0(VALU_DEP_1) | instskip(SKIP_1) | instid1(VALU_DEP_2)
	v_fma_f64 v[2:3], v[202:203], v[206:207], -v[2:3]
	v_mul_f64_e32 v[202:203], v[202:203], v[208:209]
	v_add_f64_e32 v[16:17], v[16:17], v[2:3]
	s_delay_alu instid0(VALU_DEP_2) | instskip(NEXT) | instid1(VALU_DEP_1)
	v_fmac_f64_e32 v[202:203], v[204:205], v[206:207]
	v_add_f64_e32 v[18:19], v[18:19], v[202:203]
.LBB171_71:                             ;   in Loop: Header=BB171_3 Depth=1
	s_or_b32 exec_lo, exec_lo, s19
.LBB171_72:                             ;   in Loop: Header=BB171_3 Depth=1
	s_delay_alu instid0(SALU_CYCLE_1)
	s_or_b32 exec_lo, exec_lo, s33
	s_and_saveexec_b32 s19, s62
	s_cbranch_execz .LBB171_74
; %bb.73:                               ;   in Loop: Header=BB171_3 Depth=1
	s_delay_alu instid0(VALU_DEP_2) | instskip(NEXT) | instid1(VALU_DEP_2)
	v_xor_b32_e32 v203, 0x80000000, v17
	v_xor_b32_e32 v205, 0x80000000, v19
	s_delay_alu instid0(VALU_DEP_3)
	v_dual_mov_b32 v202, v16 :: v_dual_mov_b32 v204, v18
	ds_store_b128 v46, v[202:205]
.LBB171_74:                             ;   in Loop: Header=BB171_3 Depth=1
	s_or_b32 exec_lo, exec_lo, s19
	s_wait_loadcnt_dscnt 0x0
	s_barrier_signal -1
	s_barrier_wait -1
	s_and_saveexec_b32 s19, s63
	s_cbranch_execz .LBB171_76
; %bb.75:                               ;   in Loop: Header=BB171_3 Depth=1
	ds_load_b128 v[202:205], v46
	ds_load_b128 v[206:209], v1 offset:13184
	s_wait_dscnt 0x0
	v_mul_f64_e32 v[2:3], v[202:203], v[206:207]
	v_mul_f64_e32 v[202:203], v[202:203], v[208:209]
	s_delay_alu instid0(VALU_DEP_2) | instskip(NEXT) | instid1(VALU_DEP_2)
	v_fma_f64 v[2:3], v[204:205], v[208:209], -v[2:3]
	v_fmac_f64_e32 v[202:203], v[204:205], v[206:207]
	s_delay_alu instid0(VALU_DEP_2) | instskip(NEXT) | instid1(VALU_DEP_2)
	v_add_f64_e32 v[16:17], v[16:17], v[2:3]
	v_add_f64_e64 v[18:19], v[18:19], -v[202:203]
.LBB171_76:                             ;   in Loop: Header=BB171_3 Depth=1
	s_or_b32 exec_lo, exec_lo, s19
	s_barrier_signal -1
	s_barrier_wait -1
	s_and_saveexec_b32 s19, s63
	s_cbranch_execz .LBB171_78
; %bb.77:                               ;   in Loop: Header=BB171_3 Depth=1
	s_delay_alu instid0(VALU_DEP_2) | instskip(NEXT) | instid1(VALU_DEP_2)
	v_xor_b32_e32 v203, 0x80000000, v17
	v_xor_b32_e32 v205, 0x80000000, v19
	s_delay_alu instid0(VALU_DEP_3)
	v_dual_mov_b32 v202, v16 :: v_dual_mov_b32 v204, v18
	ds_store_b128 v46, v[202:205]
.LBB171_78:                             ;   in Loop: Header=BB171_3 Depth=1
	s_or_b32 exec_lo, exec_lo, s19
	s_wait_dscnt 0x0
	s_barrier_signal -1
	s_barrier_wait -1
	s_barrier_signal -1
	s_barrier_wait -1
	s_and_saveexec_b32 s19, s1
; %bb.79:                               ;   in Loop: Header=BB171_3 Depth=1
	ds_store_b128 v50, v[16:19] offset:14208
; %bb.80:                               ;   in Loop: Header=BB171_3 Depth=1
	s_or_b32 exec_lo, exec_lo, s19
	s_wait_dscnt 0x0
	s_barrier_signal -1
	s_barrier_wait -1
	s_barrier_signal -1
	s_barrier_wait -1
	s_and_saveexec_b32 s19, s64
	s_cbranch_execz .LBB171_82
; %bb.81:                               ;   in Loop: Header=BB171_3 Depth=1
	ds_load_b128 v[16:19], v113
	s_wait_dscnt 0x0
	ds_store_b128 v144, v[16:19]
	ds_load_b128 v[16:19], v114
	s_wait_dscnt 0x0
	ds_store_b128 v145, v[16:19]
.LBB171_82:                             ;   in Loop: Header=BB171_3 Depth=1
	s_or_b32 exec_lo, exec_lo, s19
	s_wait_dscnt 0x0
	s_barrier_signal -1
	s_barrier_wait -1
	s_and_saveexec_b32 s33, s27
	s_cbranch_execz .LBB171_84
; %bb.83:                               ;   in Loop: Header=BB171_3 Depth=1
	s_mov_b32 s48, s35
	s_mov_b32 s50, s35
	;; [unrolled: 1-line block ×3, first 2 shown]
	v_mov_b64_e32 v[16:17], s[48:49]
	v_mov_b64_e32 v[18:19], s[50:51]
	ds_store_b128 v1, v[16:19] offset:12672
	ds_store_b128 v1, v[16:19] offset:13200
	ds_load_b128 v[16:19], v1 offset:13184
	s_wait_dscnt 0x0
	ds_store_b128 v1, v[16:19] offset:12688
.LBB171_84:                             ;   in Loop: Header=BB171_3 Depth=1
	s_or_b32 exec_lo, exec_lo, s33
	v_mov_b64_e32 v[18:19], 0
	v_mov_b64_e32 v[16:17], 0
	s_wait_dscnt 0x0
	s_barrier_signal -1
	s_barrier_wait -1
	global_wb scope:SCOPE_DEV
	s_wait_storecnt 0x0
	global_inv scope:SCOPE_DEV
	s_and_saveexec_b32 s33, s7
	s_cbranch_execz .LBB171_94
; %bb.85:                               ;   in Loop: Header=BB171_3 Depth=1
	ds_load_b128 v[16:19], v60 offset:16256
	ds_load_b128 v[202:205], v59 offset:12544
	s_wait_dscnt 0x0
	v_mul_f64_e32 v[2:3], v[18:19], v[204:205]
	v_mul_f64_e32 v[204:205], v[16:17], v[204:205]
	s_delay_alu instid0(VALU_DEP_2) | instskip(NEXT) | instid1(VALU_DEP_2)
	v_fma_f64 v[2:3], v[16:17], v[202:203], -v[2:3]
	v_fmac_f64_e32 v[204:205], v[18:19], v[202:203]
	s_delay_alu instid0(VALU_DEP_2) | instskip(NEXT) | instid1(VALU_DEP_2)
	v_add_f64_e32 v[16:17], 0, v[2:3]
	v_add_f64_e32 v[18:19], 0, v[204:205]
	s_and_saveexec_b32 s19, s11
	s_cbranch_execnz .LBB171_520
; %bb.86:                               ;   in Loop: Header=BB171_3 Depth=1
	s_or_b32 exec_lo, exec_lo, s19
	s_and_saveexec_b32 s19, s12
	s_cbranch_execnz .LBB171_521
.LBB171_87:                             ;   in Loop: Header=BB171_3 Depth=1
	s_or_b32 exec_lo, exec_lo, s19
	s_and_saveexec_b32 s19, s13
	s_cbranch_execnz .LBB171_522
.LBB171_88:                             ;   in Loop: Header=BB171_3 Depth=1
	s_or_b32 exec_lo, exec_lo, s19
	s_and_saveexec_b32 s19, s14
	s_cbranch_execnz .LBB171_523
.LBB171_89:                             ;   in Loop: Header=BB171_3 Depth=1
	s_or_b32 exec_lo, exec_lo, s19
	s_and_saveexec_b32 s19, s15
	s_cbranch_execnz .LBB171_524
.LBB171_90:                             ;   in Loop: Header=BB171_3 Depth=1
	s_or_b32 exec_lo, exec_lo, s19
	s_and_saveexec_b32 s19, s4
	s_cbranch_execnz .LBB171_525
.LBB171_91:                             ;   in Loop: Header=BB171_3 Depth=1
	s_or_b32 exec_lo, exec_lo, s19
	s_and_saveexec_b32 s19, s6
	s_cbranch_execz .LBB171_93
.LBB171_92:                             ;   in Loop: Header=BB171_3 Depth=1
	ds_load_b128 v[202:205], v1 offset:16368
	ds_load_b128 v[206:209], v49 offset:16128
	s_wait_dscnt 0x0
	v_mul_f64_e32 v[2:3], v[204:205], v[208:209]
	s_delay_alu instid0(VALU_DEP_1) | instskip(SKIP_1) | instid1(VALU_DEP_2)
	v_fma_f64 v[2:3], v[202:203], v[206:207], -v[2:3]
	v_mul_f64_e32 v[202:203], v[202:203], v[208:209]
	v_add_f64_e32 v[16:17], v[16:17], v[2:3]
	s_delay_alu instid0(VALU_DEP_2) | instskip(NEXT) | instid1(VALU_DEP_1)
	v_fmac_f64_e32 v[202:203], v[204:205], v[206:207]
	v_add_f64_e32 v[18:19], v[18:19], v[202:203]
.LBB171_93:                             ;   in Loop: Header=BB171_3 Depth=1
	s_or_b32 exec_lo, exec_lo, s19
.LBB171_94:                             ;   in Loop: Header=BB171_3 Depth=1
	s_delay_alu instid0(SALU_CYCLE_1)
	s_or_b32 exec_lo, exec_lo, s33
	s_and_saveexec_b32 s19, s72
	s_cbranch_execz .LBB171_96
; %bb.95:                               ;   in Loop: Header=BB171_3 Depth=1
	s_delay_alu instid0(VALU_DEP_2) | instskip(NEXT) | instid1(VALU_DEP_2)
	v_xor_b32_e32 v203, 0x80000000, v17
	v_xor_b32_e32 v205, 0x80000000, v19
	s_delay_alu instid0(VALU_DEP_3)
	v_dual_mov_b32 v202, v16 :: v_dual_mov_b32 v204, v18
	ds_store_b128 v58, v[202:205]
.LBB171_96:                             ;   in Loop: Header=BB171_3 Depth=1
	s_or_b32 exec_lo, exec_lo, s19
	s_wait_loadcnt_dscnt 0x0
	s_barrier_signal -1
	s_barrier_wait -1
	s_and_saveexec_b32 s19, s73
	s_cbranch_execz .LBB171_98
; %bb.97:                               ;   in Loop: Header=BB171_3 Depth=1
	ds_load_b128 v[202:205], v58
	ds_load_b128 v[206:209], v59 offset:12032
	s_wait_dscnt 0x0
	v_mul_f64_e32 v[2:3], v[204:205], v[208:209]
	s_delay_alu instid0(VALU_DEP_1) | instskip(SKIP_1) | instid1(VALU_DEP_2)
	v_fma_f64 v[2:3], v[202:203], v[206:207], -v[2:3]
	v_mul_f64_e32 v[202:203], v[202:203], v[208:209]
	v_add_f64_e64 v[16:17], v[16:17], -v[2:3]
	s_delay_alu instid0(VALU_DEP_2) | instskip(NEXT) | instid1(VALU_DEP_1)
	v_fmac_f64_e32 v[202:203], v[204:205], v[206:207]
	v_add_f64_e64 v[18:19], v[18:19], -v[202:203]
.LBB171_98:                             ;   in Loop: Header=BB171_3 Depth=1
	s_or_b32 exec_lo, exec_lo, s19
	s_barrier_signal -1
	s_barrier_wait -1
	s_and_saveexec_b32 s19, s74
	s_cbranch_execz .LBB171_100
; %bb.99:                               ;   in Loop: Header=BB171_3 Depth=1
	s_delay_alu instid0(VALU_DEP_2) | instskip(NEXT) | instid1(VALU_DEP_2)
	v_xor_b32_e32 v203, 0x80000000, v17
	v_xor_b32_e32 v205, 0x80000000, v19
	s_delay_alu instid0(VALU_DEP_3)
	v_dual_mov_b32 v202, v16 :: v_dual_mov_b32 v204, v18
	ds_store_b128 v58, v[202:205]
.LBB171_100:                            ;   in Loop: Header=BB171_3 Depth=1
	s_or_b32 exec_lo, exec_lo, s19
	s_wait_dscnt 0x0
	s_barrier_signal -1
	s_barrier_wait -1
	s_and_saveexec_b32 s19, s75
	s_cbranch_execz .LBB171_102
; %bb.101:                              ;   in Loop: Header=BB171_3 Depth=1
	ds_load_b128 v[202:205], v58
	ds_load_b128 v[206:209], v59 offset:11520
	s_wait_dscnt 0x0
	v_mul_f64_e32 v[2:3], v[204:205], v[208:209]
	s_delay_alu instid0(VALU_DEP_1) | instskip(SKIP_1) | instid1(VALU_DEP_2)
	v_fma_f64 v[2:3], v[202:203], v[206:207], -v[2:3]
	v_mul_f64_e32 v[202:203], v[202:203], v[208:209]
	v_add_f64_e64 v[16:17], v[16:17], -v[2:3]
	s_delay_alu instid0(VALU_DEP_2) | instskip(NEXT) | instid1(VALU_DEP_1)
	v_fmac_f64_e32 v[202:203], v[204:205], v[206:207]
	v_add_f64_e64 v[18:19], v[18:19], -v[202:203]
.LBB171_102:                            ;   in Loop: Header=BB171_3 Depth=1
	s_or_b32 exec_lo, exec_lo, s19
	s_barrier_signal -1
	s_barrier_wait -1
	s_and_saveexec_b32 s19, s76
	s_cbranch_execz .LBB171_104
; %bb.103:                              ;   in Loop: Header=BB171_3 Depth=1
	s_delay_alu instid0(VALU_DEP_2) | instskip(NEXT) | instid1(VALU_DEP_2)
	v_xor_b32_e32 v203, 0x80000000, v17
	v_xor_b32_e32 v205, 0x80000000, v19
	s_delay_alu instid0(VALU_DEP_3)
	v_dual_mov_b32 v202, v16 :: v_dual_mov_b32 v204, v18
	ds_store_b128 v58, v[202:205]
.LBB171_104:                            ;   in Loop: Header=BB171_3 Depth=1
	s_or_b32 exec_lo, exec_lo, s19
	s_wait_dscnt 0x0
	s_barrier_signal -1
	s_barrier_wait -1
	s_and_saveexec_b32 s19, s77
	s_cbranch_execz .LBB171_106
; %bb.105:                              ;   in Loop: Header=BB171_3 Depth=1
	ds_load_b128 v[202:205], v58
	ds_load_b128 v[206:209], v59 offset:11008
	s_wait_dscnt 0x0
	v_mul_f64_e32 v[2:3], v[204:205], v[208:209]
	s_delay_alu instid0(VALU_DEP_1) | instskip(SKIP_1) | instid1(VALU_DEP_2)
	v_fma_f64 v[2:3], v[202:203], v[206:207], -v[2:3]
	v_mul_f64_e32 v[202:203], v[202:203], v[208:209]
	v_add_f64_e64 v[16:17], v[16:17], -v[2:3]
	s_delay_alu instid0(VALU_DEP_2) | instskip(NEXT) | instid1(VALU_DEP_1)
	v_fmac_f64_e32 v[202:203], v[204:205], v[206:207]
	v_add_f64_e64 v[18:19], v[18:19], -v[202:203]
.LBB171_106:                            ;   in Loop: Header=BB171_3 Depth=1
	s_or_b32 exec_lo, exec_lo, s19
	s_barrier_signal -1
	s_barrier_wait -1
	s_and_saveexec_b32 s19, s78
	s_cbranch_execz .LBB171_108
; %bb.107:                              ;   in Loop: Header=BB171_3 Depth=1
	s_delay_alu instid0(VALU_DEP_2) | instskip(NEXT) | instid1(VALU_DEP_2)
	v_xor_b32_e32 v203, 0x80000000, v17
	v_xor_b32_e32 v205, 0x80000000, v19
	s_delay_alu instid0(VALU_DEP_3)
	v_dual_mov_b32 v202, v16 :: v_dual_mov_b32 v204, v18
	ds_store_b128 v58, v[202:205]
.LBB171_108:                            ;   in Loop: Header=BB171_3 Depth=1
	;; [unrolled: 32-line block ×6, first 2 shown]
	s_or_b32 exec_lo, exec_lo, s19
	s_wait_dscnt 0x0
	s_barrier_signal -1
	s_barrier_wait -1
	s_barrier_signal -1
	s_barrier_wait -1
	s_and_saveexec_b32 s19, s7
; %bb.125:                              ;   in Loop: Header=BB171_3 Depth=1
	ds_store_b128 v61, v[16:19] offset:16128
; %bb.126:                              ;   in Loop: Header=BB171_3 Depth=1
	s_or_b32 exec_lo, exec_lo, s19
	s_wait_dscnt 0x0
	s_barrier_signal -1
	s_barrier_wait -1
	s_barrier_signal -1
	s_barrier_wait -1
	s_and_saveexec_b32 s19, s86
	s_cbranch_execz .LBB171_128
; %bb.127:                              ;   in Loop: Header=BB171_3 Depth=1
	ds_load_b128 v[16:19], v62
	s_wait_dscnt 0x0
	ds_store_b128 v146, v[16:19]
	ds_load_b128 v[16:19], v63
	s_wait_dscnt 0x0
	ds_store_b128 v147, v[16:19]
	;; [unrolled: 3-line block ×8, first 2 shown]
.LBB171_128:                            ;   in Loop: Header=BB171_3 Depth=1
	s_or_b32 exec_lo, exec_lo, s19
	s_wait_dscnt 0x0
	s_barrier_signal -1
	s_barrier_wait -1
	s_and_saveexec_b32 s33, s27
	s_cbranch_execz .LBB171_130
; %bb.129:                              ;   in Loop: Header=BB171_3 Depth=1
	s_mov_b32 s48, s35
	s_mov_b32 s50, s35
	s_mov_b32 s51, s35
	v_mov_b64_e32 v[16:17], s[48:49]
	v_mov_b64_e32 v[18:19], s[50:51]
	ds_store_b128 v1, v[16:19] offset:11616
	ds_store_b128 v1, v[16:19] offset:12144
	ds_load_b128 v[16:19], v1 offset:12128
	s_wait_dscnt 0x0
	ds_store_b128 v1, v[16:19] offset:11632
.LBB171_130:                            ;   in Loop: Header=BB171_3 Depth=1
	s_or_b32 exec_lo, exec_lo, s33
	v_mov_b64_e32 v[16:17], 0
	v_mov_b64_e32 v[18:19], 0
	s_wait_dscnt 0x0
	s_barrier_signal -1
	s_barrier_wait -1
	global_wb scope:SCOPE_DEV
	s_wait_storecnt 0x0
	global_inv scope:SCOPE_DEV
	s_and_saveexec_b32 s33, s1
	s_cbranch_execz .LBB171_134
; %bb.131:                              ;   in Loop: Header=BB171_3 Depth=1
	ds_load_b128 v[16:19], v48 offset:12128
	ds_load_b128 v[202:205], v47 offset:11584
	s_wait_dscnt 0x0
	v_mul_f64_e32 v[2:3], v[18:19], v[204:205]
	v_mul_f64_e32 v[204:205], v[16:17], v[204:205]
	s_delay_alu instid0(VALU_DEP_2) | instskip(NEXT) | instid1(VALU_DEP_2)
	v_fma_f64 v[2:3], v[16:17], v[202:203], -v[2:3]
	v_fmac_f64_e32 v[204:205], v[18:19], v[202:203]
	s_delay_alu instid0(VALU_DEP_2) | instskip(NEXT) | instid1(VALU_DEP_2)
	v_add_f64_e32 v[16:17], 0, v[2:3]
	v_add_f64_e32 v[18:19], 0, v[204:205]
	s_and_saveexec_b32 s19, s2
	s_cbranch_execz .LBB171_133
; %bb.132:                              ;   in Loop: Header=BB171_3 Depth=1
	ds_load_b128 v[202:205], v1 offset:12144
	ds_load_b128 v[206:209], v53 offset:12096
	s_wait_dscnt 0x0
	v_mul_f64_e32 v[2:3], v[204:205], v[208:209]
	s_delay_alu instid0(VALU_DEP_1) | instskip(SKIP_1) | instid1(VALU_DEP_2)
	v_fma_f64 v[2:3], v[202:203], v[206:207], -v[2:3]
	v_mul_f64_e32 v[202:203], v[202:203], v[208:209]
	v_add_f64_e32 v[16:17], v[16:17], v[2:3]
	s_delay_alu instid0(VALU_DEP_2) | instskip(NEXT) | instid1(VALU_DEP_1)
	v_fmac_f64_e32 v[202:203], v[204:205], v[206:207]
	v_add_f64_e32 v[18:19], v[18:19], v[202:203]
.LBB171_133:                            ;   in Loop: Header=BB171_3 Depth=1
	s_or_b32 exec_lo, exec_lo, s19
.LBB171_134:                            ;   in Loop: Header=BB171_3 Depth=1
	s_delay_alu instid0(SALU_CYCLE_1)
	s_or_b32 exec_lo, exec_lo, s33
	s_and_saveexec_b32 s19, s62
	s_cbranch_execz .LBB171_136
; %bb.135:                              ;   in Loop: Header=BB171_3 Depth=1
	s_delay_alu instid0(VALU_DEP_2) | instskip(NEXT) | instid1(VALU_DEP_2)
	v_xor_b32_e32 v203, 0x80000000, v17
	v_xor_b32_e32 v205, 0x80000000, v19
	s_delay_alu instid0(VALU_DEP_3)
	v_dual_mov_b32 v202, v16 :: v_dual_mov_b32 v204, v18
	ds_store_b128 v46, v[202:205]
.LBB171_136:                            ;   in Loop: Header=BB171_3 Depth=1
	s_or_b32 exec_lo, exec_lo, s19
	s_wait_loadcnt_dscnt 0x0
	s_barrier_signal -1
	s_barrier_wait -1
	s_and_saveexec_b32 s19, s63
	s_cbranch_execz .LBB171_138
; %bb.137:                              ;   in Loop: Header=BB171_3 Depth=1
	ds_load_b128 v[202:205], v46
	ds_load_b128 v[206:209], v1 offset:11072
	s_wait_dscnt 0x0
	v_mul_f64_e32 v[2:3], v[202:203], v[206:207]
	v_mul_f64_e32 v[202:203], v[202:203], v[208:209]
	s_delay_alu instid0(VALU_DEP_2) | instskip(NEXT) | instid1(VALU_DEP_2)
	v_fma_f64 v[2:3], v[204:205], v[208:209], -v[2:3]
	v_fmac_f64_e32 v[202:203], v[204:205], v[206:207]
	s_delay_alu instid0(VALU_DEP_2) | instskip(NEXT) | instid1(VALU_DEP_2)
	v_add_f64_e32 v[16:17], v[16:17], v[2:3]
	v_add_f64_e64 v[18:19], v[18:19], -v[202:203]
.LBB171_138:                            ;   in Loop: Header=BB171_3 Depth=1
	s_or_b32 exec_lo, exec_lo, s19
	s_barrier_signal -1
	s_barrier_wait -1
	s_and_saveexec_b32 s19, s63
	s_cbranch_execz .LBB171_140
; %bb.139:                              ;   in Loop: Header=BB171_3 Depth=1
	s_delay_alu instid0(VALU_DEP_2) | instskip(NEXT) | instid1(VALU_DEP_2)
	v_xor_b32_e32 v203, 0x80000000, v17
	v_xor_b32_e32 v205, 0x80000000, v19
	s_delay_alu instid0(VALU_DEP_3)
	v_dual_mov_b32 v202, v16 :: v_dual_mov_b32 v204, v18
	ds_store_b128 v46, v[202:205]
.LBB171_140:                            ;   in Loop: Header=BB171_3 Depth=1
	s_or_b32 exec_lo, exec_lo, s19
	s_wait_dscnt 0x0
	s_barrier_signal -1
	s_barrier_wait -1
	s_barrier_signal -1
	s_barrier_wait -1
	s_and_saveexec_b32 s19, s1
; %bb.141:                              ;   in Loop: Header=BB171_3 Depth=1
	ds_store_b128 v50, v[16:19] offset:12096
; %bb.142:                              ;   in Loop: Header=BB171_3 Depth=1
	s_or_b32 exec_lo, exec_lo, s19
	s_wait_dscnt 0x0
	s_barrier_signal -1
	s_barrier_wait -1
	s_barrier_signal -1
	s_barrier_wait -1
	s_and_saveexec_b32 s19, s64
	s_cbranch_execz .LBB171_144
; %bb.143:                              ;   in Loop: Header=BB171_3 Depth=1
	ds_load_b128 v[16:19], v105
	s_wait_dscnt 0x0
	ds_store_b128 v154, v[16:19]
	ds_load_b128 v[16:19], v106
	s_wait_dscnt 0x0
	ds_store_b128 v155, v[16:19]
.LBB171_144:                            ;   in Loop: Header=BB171_3 Depth=1
	s_or_b32 exec_lo, exec_lo, s19
	s_wait_dscnt 0x0
	s_barrier_signal -1
	s_barrier_wait -1
	s_and_saveexec_b32 s33, s27
	s_cbranch_execz .LBB171_146
; %bb.145:                              ;   in Loop: Header=BB171_3 Depth=1
	s_mov_b32 s48, s35
	s_mov_b32 s50, s35
	;; [unrolled: 1-line block ×3, first 2 shown]
	v_mov_b64_e32 v[16:17], s[48:49]
	v_mov_b64_e32 v[18:19], s[50:51]
	ds_store_b128 v1, v[16:19] offset:10560
	ds_store_b128 v1, v[16:19] offset:11088
	ds_load_b128 v[16:19], v1 offset:11072
	s_wait_dscnt 0x0
	ds_store_b128 v1, v[16:19] offset:10576
.LBB171_146:                            ;   in Loop: Header=BB171_3 Depth=1
	s_or_b32 exec_lo, exec_lo, s33
	v_mov_b64_e32 v[18:19], 0
	v_mov_b64_e32 v[16:17], 0
	s_wait_dscnt 0x0
	s_barrier_signal -1
	s_barrier_wait -1
	global_wb scope:SCOPE_DEV
	s_wait_storecnt 0x0
	global_inv scope:SCOPE_DEV
	s_and_saveexec_b32 s33, s4
	s_cbranch_execz .LBB171_152
; %bb.147:                              ;   in Loop: Header=BB171_3 Depth=1
	ds_load_b128 v[16:19], v56 offset:12096
	ds_load_b128 v[202:205], v55 offset:10496
	s_wait_dscnt 0x0
	v_mul_f64_e32 v[2:3], v[18:19], v[204:205]
	v_mul_f64_e32 v[204:205], v[16:17], v[204:205]
	s_delay_alu instid0(VALU_DEP_2) | instskip(NEXT) | instid1(VALU_DEP_2)
	v_fma_f64 v[2:3], v[16:17], v[202:203], -v[2:3]
	v_fmac_f64_e32 v[204:205], v[18:19], v[202:203]
	s_delay_alu instid0(VALU_DEP_2) | instskip(NEXT) | instid1(VALU_DEP_2)
	v_add_f64_e32 v[16:17], 0, v[2:3]
	v_add_f64_e32 v[18:19], 0, v[204:205]
	s_and_saveexec_b32 s19, s5
	s_cbranch_execnz .LBB171_526
; %bb.148:                              ;   in Loop: Header=BB171_3 Depth=1
	s_or_b32 exec_lo, exec_lo, s19
	s_and_saveexec_b32 s19, s6
	s_cbranch_execnz .LBB171_527
.LBB171_149:                            ;   in Loop: Header=BB171_3 Depth=1
	s_or_b32 exec_lo, exec_lo, s19
	s_and_saveexec_b32 s19, s1
	s_cbranch_execz .LBB171_151
.LBB171_150:                            ;   in Loop: Header=BB171_3 Depth=1
	ds_load_b128 v[202:205], v1 offset:12144
	ds_load_b128 v[206:209], v104 offset:12032
	s_wait_dscnt 0x0
	v_mul_f64_e32 v[2:3], v[204:205], v[208:209]
	s_delay_alu instid0(VALU_DEP_1) | instskip(SKIP_1) | instid1(VALU_DEP_2)
	v_fma_f64 v[2:3], v[202:203], v[206:207], -v[2:3]
	v_mul_f64_e32 v[202:203], v[202:203], v[208:209]
	v_add_f64_e32 v[16:17], v[16:17], v[2:3]
	s_delay_alu instid0(VALU_DEP_2) | instskip(NEXT) | instid1(VALU_DEP_1)
	v_fmac_f64_e32 v[202:203], v[204:205], v[206:207]
	v_add_f64_e32 v[18:19], v[18:19], v[202:203]
.LBB171_151:                            ;   in Loop: Header=BB171_3 Depth=1
	s_or_b32 exec_lo, exec_lo, s19
.LBB171_152:                            ;   in Loop: Header=BB171_3 Depth=1
	s_delay_alu instid0(SALU_CYCLE_1)
	s_or_b32 exec_lo, exec_lo, s33
	s_and_saveexec_b32 s19, s65
	s_cbranch_execz .LBB171_154
; %bb.153:                              ;   in Loop: Header=BB171_3 Depth=1
	s_delay_alu instid0(VALU_DEP_1) | instskip(NEXT) | instid1(VALU_DEP_3)
	v_xor_b32_e32 v205, 0x80000000, v19
	v_xor_b32_e32 v203, 0x80000000, v17
	s_delay_alu instid0(VALU_DEP_3)
	v_dual_mov_b32 v202, v16 :: v_dual_mov_b32 v204, v18
	ds_store_b128 v54, v[202:205]
.LBB171_154:                            ;   in Loop: Header=BB171_3 Depth=1
	s_or_b32 exec_lo, exec_lo, s19
	s_wait_loadcnt_dscnt 0x0
	s_barrier_signal -1
	s_barrier_wait -1
	s_and_saveexec_b32 s19, s66
	s_cbranch_execz .LBB171_156
; %bb.155:                              ;   in Loop: Header=BB171_3 Depth=1
	ds_load_b128 v[202:205], v54
	ds_load_b128 v[206:209], v55 offset:9984
	s_wait_dscnt 0x0
	v_mul_f64_e32 v[2:3], v[204:205], v[208:209]
	s_delay_alu instid0(VALU_DEP_1) | instskip(SKIP_1) | instid1(VALU_DEP_2)
	v_fma_f64 v[2:3], v[202:203], v[206:207], -v[2:3]
	v_mul_f64_e32 v[202:203], v[202:203], v[208:209]
	v_add_f64_e64 v[16:17], v[16:17], -v[2:3]
	s_delay_alu instid0(VALU_DEP_2) | instskip(NEXT) | instid1(VALU_DEP_1)
	v_fmac_f64_e32 v[202:203], v[204:205], v[206:207]
	v_add_f64_e64 v[18:19], v[18:19], -v[202:203]
.LBB171_156:                            ;   in Loop: Header=BB171_3 Depth=1
	s_or_b32 exec_lo, exec_lo, s19
	s_barrier_signal -1
	s_barrier_wait -1
	s_and_saveexec_b32 s19, s67
	s_cbranch_execz .LBB171_158
; %bb.157:                              ;   in Loop: Header=BB171_3 Depth=1
	s_delay_alu instid0(VALU_DEP_1) | instskip(NEXT) | instid1(VALU_DEP_3)
	v_xor_b32_e32 v205, 0x80000000, v19
	v_xor_b32_e32 v203, 0x80000000, v17
	s_delay_alu instid0(VALU_DEP_3)
	v_dual_mov_b32 v202, v16 :: v_dual_mov_b32 v204, v18
	ds_store_b128 v54, v[202:205]
.LBB171_158:                            ;   in Loop: Header=BB171_3 Depth=1
	s_or_b32 exec_lo, exec_lo, s19
	s_wait_dscnt 0x0
	s_barrier_signal -1
	s_barrier_wait -1
	s_and_saveexec_b32 s19, s68
	s_cbranch_execz .LBB171_160
; %bb.159:                              ;   in Loop: Header=BB171_3 Depth=1
	ds_load_b128 v[202:205], v54
	ds_load_b128 v[206:209], v55 offset:9472
	s_wait_dscnt 0x0
	v_mul_f64_e32 v[2:3], v[204:205], v[208:209]
	s_delay_alu instid0(VALU_DEP_1) | instskip(SKIP_1) | instid1(VALU_DEP_2)
	v_fma_f64 v[2:3], v[202:203], v[206:207], -v[2:3]
	v_mul_f64_e32 v[202:203], v[202:203], v[208:209]
	v_add_f64_e64 v[16:17], v[16:17], -v[2:3]
	s_delay_alu instid0(VALU_DEP_2) | instskip(NEXT) | instid1(VALU_DEP_1)
	v_fmac_f64_e32 v[202:203], v[204:205], v[206:207]
	v_add_f64_e64 v[18:19], v[18:19], -v[202:203]
.LBB171_160:                            ;   in Loop: Header=BB171_3 Depth=1
	s_or_b32 exec_lo, exec_lo, s19
	s_barrier_signal -1
	s_barrier_wait -1
	s_and_saveexec_b32 s19, s69
	s_cbranch_execz .LBB171_162
; %bb.161:                              ;   in Loop: Header=BB171_3 Depth=1
	s_delay_alu instid0(VALU_DEP_1) | instskip(NEXT) | instid1(VALU_DEP_3)
	v_xor_b32_e32 v205, 0x80000000, v19
	v_xor_b32_e32 v203, 0x80000000, v17
	s_delay_alu instid0(VALU_DEP_3)
	v_dual_mov_b32 v202, v16 :: v_dual_mov_b32 v204, v18
	ds_store_b128 v54, v[202:205]
.LBB171_162:                            ;   in Loop: Header=BB171_3 Depth=1
	s_or_b32 exec_lo, exec_lo, s19
	s_wait_dscnt 0x0
	;; [unrolled: 32-line block ×3, first 2 shown]
	s_barrier_signal -1
	s_barrier_wait -1
	s_barrier_signal -1
	s_barrier_wait -1
	s_and_saveexec_b32 s19, s4
; %bb.167:                              ;   in Loop: Header=BB171_3 Depth=1
	ds_store_b128 v57, v[16:19] offset:12032
; %bb.168:                              ;   in Loop: Header=BB171_3 Depth=1
	s_or_b32 exec_lo, exec_lo, s19
	s_wait_dscnt 0x0
	s_barrier_signal -1
	s_barrier_wait -1
	s_barrier_signal -1
	s_barrier_wait -1
	s_and_saveexec_b32 s19, s71
	s_cbranch_execz .LBB171_170
; %bb.169:                              ;   in Loop: Header=BB171_3 Depth=1
	ds_load_b128 v[16:19], v116
	s_wait_dscnt 0x0
	ds_store_b128 v156, v[16:19]
	ds_load_b128 v[16:19], v119
	s_wait_dscnt 0x0
	ds_store_b128 v159, v[16:19]
	;; [unrolled: 3-line block ×4, first 2 shown]
.LBB171_170:                            ;   in Loop: Header=BB171_3 Depth=1
	s_or_b32 exec_lo, exec_lo, s19
	s_wait_dscnt 0x0
	s_barrier_signal -1
	s_barrier_wait -1
	s_and_saveexec_b32 s33, s27
	s_cbranch_execz .LBB171_172
; %bb.171:                              ;   in Loop: Header=BB171_3 Depth=1
	s_mov_b32 s48, s35
	s_mov_b32 s50, s35
	;; [unrolled: 1-line block ×3, first 2 shown]
	v_mov_b64_e32 v[16:17], s[48:49]
	v_mov_b64_e32 v[18:19], s[50:51]
	ds_store_b128 v1, v[16:19] offset:9504
	ds_store_b128 v1, v[16:19] offset:10032
	ds_load_b128 v[16:19], v1 offset:10016
	s_wait_dscnt 0x0
	ds_store_b128 v1, v[16:19] offset:9520
.LBB171_172:                            ;   in Loop: Header=BB171_3 Depth=1
	s_or_b32 exec_lo, exec_lo, s33
	v_mov_b64_e32 v[16:17], 0
	v_mov_b64_e32 v[18:19], 0
	s_wait_dscnt 0x0
	s_barrier_signal -1
	s_barrier_wait -1
	global_wb scope:SCOPE_DEV
	s_wait_storecnt 0x0
	global_inv scope:SCOPE_DEV
	s_and_saveexec_b32 s33, s1
	s_cbranch_execz .LBB171_176
; %bb.173:                              ;   in Loop: Header=BB171_3 Depth=1
	ds_load_b128 v[16:19], v48 offset:10016
	ds_load_b128 v[202:205], v47 offset:9472
	s_wait_dscnt 0x0
	v_mul_f64_e32 v[2:3], v[18:19], v[204:205]
	v_mul_f64_e32 v[204:205], v[16:17], v[204:205]
	s_delay_alu instid0(VALU_DEP_2) | instskip(NEXT) | instid1(VALU_DEP_2)
	v_fma_f64 v[2:3], v[16:17], v[202:203], -v[2:3]
	v_fmac_f64_e32 v[204:205], v[18:19], v[202:203]
	s_delay_alu instid0(VALU_DEP_2) | instskip(NEXT) | instid1(VALU_DEP_2)
	v_add_f64_e32 v[16:17], 0, v[2:3]
	v_add_f64_e32 v[18:19], 0, v[204:205]
	s_and_saveexec_b32 s19, s2
	s_cbranch_execz .LBB171_175
; %bb.174:                              ;   in Loop: Header=BB171_3 Depth=1
	ds_load_b128 v[202:205], v1 offset:10032
	ds_load_b128 v[206:209], v115 offset:9984
	s_wait_dscnt 0x0
	v_mul_f64_e32 v[2:3], v[204:205], v[208:209]
	s_delay_alu instid0(VALU_DEP_1) | instskip(SKIP_1) | instid1(VALU_DEP_2)
	v_fma_f64 v[2:3], v[202:203], v[206:207], -v[2:3]
	v_mul_f64_e32 v[202:203], v[202:203], v[208:209]
	v_add_f64_e32 v[16:17], v[16:17], v[2:3]
	s_delay_alu instid0(VALU_DEP_2) | instskip(NEXT) | instid1(VALU_DEP_1)
	v_fmac_f64_e32 v[202:203], v[204:205], v[206:207]
	v_add_f64_e32 v[18:19], v[18:19], v[202:203]
.LBB171_175:                            ;   in Loop: Header=BB171_3 Depth=1
	s_or_b32 exec_lo, exec_lo, s19
.LBB171_176:                            ;   in Loop: Header=BB171_3 Depth=1
	s_delay_alu instid0(SALU_CYCLE_1)
	s_or_b32 exec_lo, exec_lo, s33
	s_and_saveexec_b32 s19, s62
	s_cbranch_execz .LBB171_178
; %bb.177:                              ;   in Loop: Header=BB171_3 Depth=1
	s_delay_alu instid0(VALU_DEP_2) | instskip(NEXT) | instid1(VALU_DEP_2)
	v_xor_b32_e32 v203, 0x80000000, v17
	v_xor_b32_e32 v205, 0x80000000, v19
	s_delay_alu instid0(VALU_DEP_3)
	v_dual_mov_b32 v202, v16 :: v_dual_mov_b32 v204, v18
	ds_store_b128 v46, v[202:205]
.LBB171_178:                            ;   in Loop: Header=BB171_3 Depth=1
	s_or_b32 exec_lo, exec_lo, s19
	s_wait_loadcnt_dscnt 0x0
	s_barrier_signal -1
	s_barrier_wait -1
	s_and_saveexec_b32 s19, s63
	s_cbranch_execz .LBB171_180
; %bb.179:                              ;   in Loop: Header=BB171_3 Depth=1
	ds_load_b128 v[202:205], v46
	ds_load_b128 v[206:209], v1 offset:8960
	s_wait_dscnt 0x0
	v_mul_f64_e32 v[2:3], v[202:203], v[206:207]
	v_mul_f64_e32 v[202:203], v[202:203], v[208:209]
	s_delay_alu instid0(VALU_DEP_2) | instskip(NEXT) | instid1(VALU_DEP_2)
	v_fma_f64 v[2:3], v[204:205], v[208:209], -v[2:3]
	v_fmac_f64_e32 v[202:203], v[204:205], v[206:207]
	s_delay_alu instid0(VALU_DEP_2) | instskip(NEXT) | instid1(VALU_DEP_2)
	v_add_f64_e32 v[16:17], v[16:17], v[2:3]
	v_add_f64_e64 v[18:19], v[18:19], -v[202:203]
.LBB171_180:                            ;   in Loop: Header=BB171_3 Depth=1
	s_or_b32 exec_lo, exec_lo, s19
	s_barrier_signal -1
	s_barrier_wait -1
	s_and_saveexec_b32 s19, s63
	s_cbranch_execz .LBB171_182
; %bb.181:                              ;   in Loop: Header=BB171_3 Depth=1
	s_delay_alu instid0(VALU_DEP_2) | instskip(NEXT) | instid1(VALU_DEP_2)
	v_xor_b32_e32 v203, 0x80000000, v17
	v_xor_b32_e32 v205, 0x80000000, v19
	s_delay_alu instid0(VALU_DEP_3)
	v_dual_mov_b32 v202, v16 :: v_dual_mov_b32 v204, v18
	ds_store_b128 v46, v[202:205]
.LBB171_182:                            ;   in Loop: Header=BB171_3 Depth=1
	s_or_b32 exec_lo, exec_lo, s19
	s_wait_dscnt 0x0
	s_barrier_signal -1
	s_barrier_wait -1
	s_barrier_signal -1
	s_barrier_wait -1
	s_and_saveexec_b32 s19, s1
; %bb.183:                              ;   in Loop: Header=BB171_3 Depth=1
	ds_store_b128 v50, v[16:19] offset:9984
; %bb.184:                              ;   in Loop: Header=BB171_3 Depth=1
	s_or_b32 exec_lo, exec_lo, s19
	s_wait_dscnt 0x0
	s_barrier_signal -1
	s_barrier_wait -1
	s_barrier_signal -1
	s_barrier_wait -1
	s_and_saveexec_b32 s19, s64
	s_cbranch_execz .LBB171_186
; %bb.185:                              ;   in Loop: Header=BB171_3 Depth=1
	ds_load_b128 v[16:19], v126
	s_wait_dscnt 0x0
	ds_store_b128 v132, v[16:19]
	ds_load_b128 v[16:19], v127
	s_wait_dscnt 0x0
	ds_store_b128 v133, v[16:19]
.LBB171_186:                            ;   in Loop: Header=BB171_3 Depth=1
	s_or_b32 exec_lo, exec_lo, s19
	s_wait_dscnt 0x0
	s_barrier_signal -1
	s_barrier_wait -1
	s_and_saveexec_b32 s33, s27
	s_cbranch_execz .LBB171_188
; %bb.187:                              ;   in Loop: Header=BB171_3 Depth=1
	s_mov_b32 s48, s35
	s_mov_b32 s50, s35
	;; [unrolled: 1-line block ×3, first 2 shown]
	v_mov_b64_e32 v[16:17], s[48:49]
	v_mov_b64_e32 v[18:19], s[50:51]
	ds_store_b128 v1, v[16:19] offset:8448
	ds_store_b128 v1, v[16:19] offset:8976
	ds_load_b128 v[16:19], v1 offset:8960
	s_wait_dscnt 0x0
	ds_store_b128 v1, v[16:19] offset:8464
.LBB171_188:                            ;   in Loop: Header=BB171_3 Depth=1
	s_or_b32 exec_lo, exec_lo, s33
	v_mov_b64_e32 v[18:19], 0
	v_mov_b64_e32 v[16:17], 0
	s_wait_dscnt 0x0
	s_barrier_signal -1
	s_barrier_wait -1
	global_wb scope:SCOPE_DEV
	s_wait_storecnt 0x0
	global_inv scope:SCOPE_DEV
	s_and_saveexec_b32 s33, s8
	s_cbranch_execz .LBB171_216
; %bb.189:                              ;   in Loop: Header=BB171_3 Depth=1
	ds_load_b128 v[16:19], v72 offset:16128
	ds_load_b128 v[202:205], v71 offset:8192
	v_readlane_b32 s18, v210, 12
	s_wait_dscnt 0x0
	v_mul_f64_e32 v[2:3], v[18:19], v[204:205]
	v_mul_f64_e32 v[204:205], v[16:17], v[204:205]
	s_delay_alu instid0(VALU_DEP_2) | instskip(NEXT) | instid1(VALU_DEP_2)
	v_fma_f64 v[2:3], v[16:17], v[202:203], -v[2:3]
	v_fmac_f64_e32 v[204:205], v[18:19], v[202:203]
	s_delay_alu instid0(VALU_DEP_2) | instskip(NEXT) | instid1(VALU_DEP_2)
	v_add_f64_e32 v[16:17], 0, v[2:3]
	v_add_f64_e32 v[18:19], 0, v[204:205]
	s_and_saveexec_b32 s19, s18
	s_cbranch_execz .LBB171_191
; %bb.190:                              ;   in Loop: Header=BB171_3 Depth=1
	ds_load_b128 v[202:205], v72 offset:16144
	ds_load_b128 v[206:209], v71 offset:8704
	s_wait_dscnt 0x0
	v_mul_f64_e32 v[2:3], v[204:205], v[208:209]
	s_delay_alu instid0(VALU_DEP_1) | instskip(SKIP_1) | instid1(VALU_DEP_2)
	v_fma_f64 v[2:3], v[202:203], v[206:207], -v[2:3]
	v_mul_f64_e32 v[202:203], v[202:203], v[208:209]
	v_add_f64_e32 v[16:17], v[16:17], v[2:3]
	s_delay_alu instid0(VALU_DEP_2) | instskip(NEXT) | instid1(VALU_DEP_1)
	v_fmac_f64_e32 v[202:203], v[204:205], v[206:207]
	v_add_f64_e32 v[18:19], v[18:19], v[202:203]
.LBB171_191:                            ;   in Loop: Header=BB171_3 Depth=1
	s_or_b32 exec_lo, exec_lo, s19
	v_readlane_b32 s18, v210, 13
	s_and_saveexec_b32 s19, s18
	s_cbranch_execz .LBB171_193
; %bb.192:                              ;   in Loop: Header=BB171_3 Depth=1
	ds_load_b128 v[202:205], v72 offset:16160
	ds_load_b128 v[206:209], v71 offset:9216
	s_wait_dscnt 0x0
	v_mul_f64_e32 v[2:3], v[204:205], v[208:209]
	s_delay_alu instid0(VALU_DEP_1) | instskip(SKIP_1) | instid1(VALU_DEP_2)
	v_fma_f64 v[2:3], v[202:203], v[206:207], -v[2:3]
	v_mul_f64_e32 v[202:203], v[202:203], v[208:209]
	v_add_f64_e32 v[16:17], v[16:17], v[2:3]
	s_delay_alu instid0(VALU_DEP_2) | instskip(NEXT) | instid1(VALU_DEP_1)
	v_fmac_f64_e32 v[202:203], v[204:205], v[206:207]
	v_add_f64_e32 v[18:19], v[18:19], v[202:203]
.LBB171_193:                            ;   in Loop: Header=BB171_3 Depth=1
	s_or_b32 exec_lo, exec_lo, s19
	v_readlane_b32 s18, v210, 14
	;; [unrolled: 17-line block ×10, first 2 shown]
	s_and_saveexec_b32 s19, s18
	s_cbranch_execnz .LBB171_528
; %bb.210:                              ;   in Loop: Header=BB171_3 Depth=1
	s_or_b32 exec_lo, exec_lo, s19
	s_and_saveexec_b32 s19, s7
	s_cbranch_execnz .LBB171_529
.LBB171_211:                            ;   in Loop: Header=BB171_3 Depth=1
	s_or_b32 exec_lo, exec_lo, s19
	s_and_saveexec_b32 s19, s12
	s_cbranch_execnz .LBB171_530
.LBB171_212:                            ;   in Loop: Header=BB171_3 Depth=1
	s_or_b32 exec_lo, exec_lo, s19
	s_and_saveexec_b32 s19, s14
	s_cbranch_execnz .LBB171_531
.LBB171_213:                            ;   in Loop: Header=BB171_3 Depth=1
	s_or_b32 exec_lo, exec_lo, s19
	s_and_saveexec_b32 s19, s4
	s_cbranch_execz .LBB171_215
.LBB171_214:                            ;   in Loop: Header=BB171_3 Depth=1
	ds_load_b128 v[202:205], v1 offset:16368
	ds_load_b128 v[206:209], v49 offset:15872
	s_wait_dscnt 0x0
	v_mul_f64_e32 v[2:3], v[204:205], v[208:209]
	s_delay_alu instid0(VALU_DEP_1) | instskip(SKIP_1) | instid1(VALU_DEP_2)
	v_fma_f64 v[2:3], v[202:203], v[206:207], -v[2:3]
	v_mul_f64_e32 v[202:203], v[202:203], v[208:209]
	v_add_f64_e32 v[16:17], v[16:17], v[2:3]
	s_delay_alu instid0(VALU_DEP_2) | instskip(NEXT) | instid1(VALU_DEP_1)
	v_fmac_f64_e32 v[202:203], v[204:205], v[206:207]
	v_add_f64_e32 v[18:19], v[18:19], v[202:203]
.LBB171_215:                            ;   in Loop: Header=BB171_3 Depth=1
	s_or_b32 exec_lo, exec_lo, s19
.LBB171_216:                            ;   in Loop: Header=BB171_3 Depth=1
	s_delay_alu instid0(SALU_CYCLE_1)
	s_or_b32 exec_lo, exec_lo, s33
	v_readlane_b32 s18, v210, 0
	s_and_saveexec_b32 s19, s18
	s_cbranch_execz .LBB171_218
; %bb.217:                              ;   in Loop: Header=BB171_3 Depth=1
	v_xor_b32_e32 v205, 0x80000000, v19
	v_xor_b32_e32 v203, 0x80000000, v17
	v_dual_mov_b32 v202, v16 :: v_dual_mov_b32 v204, v18
	ds_store_b128 v70, v[202:205]
.LBB171_218:                            ;   in Loop: Header=BB171_3 Depth=1
	s_or_b32 exec_lo, exec_lo, s19
	v_readlane_b32 s18, v210, 1
	s_wait_loadcnt_dscnt 0x0
	s_barrier_signal -1
	s_barrier_wait -1
	s_and_saveexec_b32 s19, s18
	s_cbranch_execz .LBB171_220
; %bb.219:                              ;   in Loop: Header=BB171_3 Depth=1
	ds_load_b128 v[202:205], v70
	ds_load_b128 v[206:209], v71 offset:7680
	s_wait_dscnt 0x0
	v_mul_f64_e32 v[2:3], v[204:205], v[208:209]
	s_delay_alu instid0(VALU_DEP_1) | instskip(SKIP_1) | instid1(VALU_DEP_2)
	v_fma_f64 v[2:3], v[202:203], v[206:207], -v[2:3]
	v_mul_f64_e32 v[202:203], v[202:203], v[208:209]
	v_add_f64_e64 v[16:17], v[16:17], -v[2:3]
	s_delay_alu instid0(VALU_DEP_2) | instskip(NEXT) | instid1(VALU_DEP_1)
	v_fmac_f64_e32 v[202:203], v[204:205], v[206:207]
	v_add_f64_e64 v[18:19], v[18:19], -v[202:203]
.LBB171_220:                            ;   in Loop: Header=BB171_3 Depth=1
	s_or_b32 exec_lo, exec_lo, s19
	v_readlane_b32 s18, v210, 2
	s_barrier_signal -1
	s_barrier_wait -1
	s_and_saveexec_b32 s19, s18
	s_cbranch_execz .LBB171_222
; %bb.221:                              ;   in Loop: Header=BB171_3 Depth=1
	v_xor_b32_e32 v205, 0x80000000, v19
	v_xor_b32_e32 v203, 0x80000000, v17
	v_dual_mov_b32 v202, v16 :: v_dual_mov_b32 v204, v18
	ds_store_b128 v70, v[202:205]
.LBB171_222:                            ;   in Loop: Header=BB171_3 Depth=1
	s_or_b32 exec_lo, exec_lo, s19
	v_readlane_b32 s18, v210, 3
	s_wait_dscnt 0x0
	s_barrier_signal -1
	s_barrier_wait -1
	s_and_saveexec_b32 s19, s18
	s_cbranch_execz .LBB171_224
; %bb.223:                              ;   in Loop: Header=BB171_3 Depth=1
	ds_load_b128 v[202:205], v70
	ds_load_b128 v[206:209], v71 offset:7168
	s_wait_dscnt 0x0
	v_mul_f64_e32 v[2:3], v[204:205], v[208:209]
	s_delay_alu instid0(VALU_DEP_1) | instskip(SKIP_1) | instid1(VALU_DEP_2)
	v_fma_f64 v[2:3], v[202:203], v[206:207], -v[2:3]
	v_mul_f64_e32 v[202:203], v[202:203], v[208:209]
	v_add_f64_e64 v[16:17], v[16:17], -v[2:3]
	s_delay_alu instid0(VALU_DEP_2) | instskip(NEXT) | instid1(VALU_DEP_1)
	v_fmac_f64_e32 v[202:203], v[204:205], v[206:207]
	v_add_f64_e64 v[18:19], v[18:19], -v[202:203]
.LBB171_224:                            ;   in Loop: Header=BB171_3 Depth=1
	s_or_b32 exec_lo, exec_lo, s19
	v_readlane_b32 s18, v210, 4
	s_barrier_signal -1
	s_barrier_wait -1
	s_and_saveexec_b32 s19, s18
	s_cbranch_execz .LBB171_226
; %bb.225:                              ;   in Loop: Header=BB171_3 Depth=1
	v_xor_b32_e32 v205, 0x80000000, v19
	v_xor_b32_e32 v203, 0x80000000, v17
	v_dual_mov_b32 v202, v16 :: v_dual_mov_b32 v204, v18
	ds_store_b128 v70, v[202:205]
.LBB171_226:                            ;   in Loop: Header=BB171_3 Depth=1
	s_or_b32 exec_lo, exec_lo, s19
	v_readlane_b32 s18, v210, 5
	s_wait_dscnt 0x0
	;; [unrolled: 32-line block ×4, first 2 shown]
	s_barrier_signal -1
	s_barrier_wait -1
	s_and_saveexec_b32 s19, s18
	s_cbranch_execz .LBB171_236
; %bb.235:                              ;   in Loop: Header=BB171_3 Depth=1
	ds_load_b128 v[202:205], v70
	ds_load_b128 v[206:209], v71 offset:5632
	s_wait_dscnt 0x0
	v_mul_f64_e32 v[2:3], v[204:205], v[208:209]
	s_delay_alu instid0(VALU_DEP_1) | instskip(SKIP_1) | instid1(VALU_DEP_2)
	v_fma_f64 v[2:3], v[202:203], v[206:207], -v[2:3]
	v_mul_f64_e32 v[202:203], v[202:203], v[208:209]
	v_add_f64_e64 v[16:17], v[16:17], -v[2:3]
	s_delay_alu instid0(VALU_DEP_2) | instskip(NEXT) | instid1(VALU_DEP_1)
	v_fmac_f64_e32 v[202:203], v[204:205], v[206:207]
	v_add_f64_e64 v[18:19], v[18:19], -v[202:203]
.LBB171_236:                            ;   in Loop: Header=BB171_3 Depth=1
	s_or_b32 exec_lo, exec_lo, s19
	v_readlane_b32 s18, v210, 10
	s_barrier_signal -1
	s_barrier_wait -1
	s_and_saveexec_b32 s19, s18
	s_cbranch_execz .LBB171_238
; %bb.237:                              ;   in Loop: Header=BB171_3 Depth=1
	v_xor_b32_e32 v205, 0x80000000, v19
	v_xor_b32_e32 v203, 0x80000000, v17
	v_dual_mov_b32 v202, v16 :: v_dual_mov_b32 v204, v18
	ds_store_b128 v70, v[202:205]
.LBB171_238:                            ;   in Loop: Header=BB171_3 Depth=1
	s_or_b32 exec_lo, exec_lo, s19
	s_wait_dscnt 0x0
	s_barrier_signal -1
	s_barrier_wait -1
	s_and_saveexec_b32 s19, s98
	s_cbranch_execz .LBB171_240
; %bb.239:                              ;   in Loop: Header=BB171_3 Depth=1
	ds_load_b128 v[202:205], v70
	ds_load_b128 v[206:209], v71 offset:5120
	s_wait_dscnt 0x0
	v_mul_f64_e32 v[2:3], v[204:205], v[208:209]
	s_delay_alu instid0(VALU_DEP_1) | instskip(SKIP_1) | instid1(VALU_DEP_2)
	v_fma_f64 v[2:3], v[202:203], v[206:207], -v[2:3]
	v_mul_f64_e32 v[202:203], v[202:203], v[208:209]
	v_add_f64_e64 v[16:17], v[16:17], -v[2:3]
	s_delay_alu instid0(VALU_DEP_2) | instskip(NEXT) | instid1(VALU_DEP_1)
	v_fmac_f64_e32 v[202:203], v[204:205], v[206:207]
	v_add_f64_e64 v[18:19], v[18:19], -v[202:203]
.LBB171_240:                            ;   in Loop: Header=BB171_3 Depth=1
	s_or_b32 exec_lo, exec_lo, s19
	s_barrier_signal -1
	s_barrier_wait -1
	s_and_saveexec_b32 s19, s99
	s_cbranch_execz .LBB171_242
; %bb.241:                              ;   in Loop: Header=BB171_3 Depth=1
	s_delay_alu instid0(VALU_DEP_1) | instskip(NEXT) | instid1(VALU_DEP_4)
	v_xor_b32_e32 v205, 0x80000000, v19
	v_xor_b32_e32 v203, 0x80000000, v17
	s_delay_alu instid0(VALU_DEP_3)
	v_dual_mov_b32 v202, v16 :: v_dual_mov_b32 v204, v18
	ds_store_b128 v70, v[202:205]
.LBB171_242:                            ;   in Loop: Header=BB171_3 Depth=1
	s_or_b32 exec_lo, exec_lo, s19
	s_wait_dscnt 0x0
	s_barrier_signal -1
	s_barrier_wait -1
	s_and_saveexec_b32 s19, s100
	s_cbranch_execz .LBB171_244
; %bb.243:                              ;   in Loop: Header=BB171_3 Depth=1
	ds_load_b128 v[202:205], v70
	ds_load_b128 v[206:209], v71 offset:4608
	s_wait_dscnt 0x0
	v_mul_f64_e32 v[2:3], v[204:205], v[208:209]
	s_delay_alu instid0(VALU_DEP_1) | instskip(SKIP_1) | instid1(VALU_DEP_2)
	v_fma_f64 v[2:3], v[202:203], v[206:207], -v[2:3]
	v_mul_f64_e32 v[202:203], v[202:203], v[208:209]
	v_add_f64_e64 v[16:17], v[16:17], -v[2:3]
	s_delay_alu instid0(VALU_DEP_2) | instskip(NEXT) | instid1(VALU_DEP_1)
	v_fmac_f64_e32 v[202:203], v[204:205], v[206:207]
	v_add_f64_e64 v[18:19], v[18:19], -v[202:203]
.LBB171_244:                            ;   in Loop: Header=BB171_3 Depth=1
	s_or_b32 exec_lo, exec_lo, s19
	s_barrier_signal -1
	s_barrier_wait -1
	s_and_saveexec_b32 s19, s101
	s_cbranch_execz .LBB171_246
; %bb.245:                              ;   in Loop: Header=BB171_3 Depth=1
	s_delay_alu instid0(VALU_DEP_1) | instskip(NEXT) | instid1(VALU_DEP_4)
	v_xor_b32_e32 v205, 0x80000000, v19
	v_xor_b32_e32 v203, 0x80000000, v17
	s_delay_alu instid0(VALU_DEP_3)
	v_dual_mov_b32 v202, v16 :: v_dual_mov_b32 v204, v18
	ds_store_b128 v70, v[202:205]
.LBB171_246:                            ;   in Loop: Header=BB171_3 Depth=1
	;; [unrolled: 32-line block ×3, first 2 shown]
	s_or_b32 exec_lo, exec_lo, s19
	s_wait_dscnt 0x0
	s_barrier_signal -1
	s_barrier_wait -1
	s_and_saveexec_b32 s19, s104
	s_cbranch_execz .LBB171_252
; %bb.251:                              ;   in Loop: Header=BB171_3 Depth=1
	ds_load_b128 v[202:205], v70
	ds_load_b128 v[206:209], v71 offset:3584
	s_wait_dscnt 0x0
	v_mul_f64_e32 v[2:3], v[204:205], v[208:209]
	s_delay_alu instid0(VALU_DEP_1) | instskip(SKIP_1) | instid1(VALU_DEP_2)
	v_fma_f64 v[2:3], v[202:203], v[206:207], -v[2:3]
	v_mul_f64_e32 v[202:203], v[202:203], v[208:209]
	v_add_f64_e64 v[16:17], v[16:17], -v[2:3]
	s_delay_alu instid0(VALU_DEP_2) | instskip(NEXT) | instid1(VALU_DEP_1)
	v_fmac_f64_e32 v[202:203], v[204:205], v[206:207]
	v_add_f64_e64 v[18:19], v[18:19], -v[202:203]
.LBB171_252:                            ;   in Loop: Header=BB171_3 Depth=1
	s_or_b32 exec_lo, exec_lo, s19
	s_barrier_signal -1
	s_barrier_wait -1
	s_and_saveexec_b32 s19, vcc_hi
	s_cbranch_execz .LBB171_254
; %bb.253:                              ;   in Loop: Header=BB171_3 Depth=1
	s_delay_alu instid0(VALU_DEP_1) | instskip(NEXT) | instid1(VALU_DEP_4)
	v_xor_b32_e32 v205, 0x80000000, v19
	v_xor_b32_e32 v203, 0x80000000, v17
	s_delay_alu instid0(VALU_DEP_3)
	v_dual_mov_b32 v202, v16 :: v_dual_mov_b32 v204, v18
	ds_store_b128 v70, v[202:205]
.LBB171_254:                            ;   in Loop: Header=BB171_3 Depth=1
	s_or_b32 exec_lo, exec_lo, s19
	s_wait_dscnt 0x0
	s_barrier_signal -1
	s_barrier_wait -1
	s_and_saveexec_b32 s19, s20
	s_cbranch_execz .LBB171_256
; %bb.255:                              ;   in Loop: Header=BB171_3 Depth=1
	ds_load_b128 v[202:205], v70
	ds_load_b128 v[206:209], v71 offset:3072
	s_wait_dscnt 0x0
	v_mul_f64_e32 v[2:3], v[204:205], v[208:209]
	s_delay_alu instid0(VALU_DEP_1) | instskip(SKIP_1) | instid1(VALU_DEP_2)
	v_fma_f64 v[2:3], v[202:203], v[206:207], -v[2:3]
	v_mul_f64_e32 v[202:203], v[202:203], v[208:209]
	v_add_f64_e64 v[16:17], v[16:17], -v[2:3]
	s_delay_alu instid0(VALU_DEP_2) | instskip(NEXT) | instid1(VALU_DEP_1)
	v_fmac_f64_e32 v[202:203], v[204:205], v[206:207]
	v_add_f64_e64 v[18:19], v[18:19], -v[202:203]
.LBB171_256:                            ;   in Loop: Header=BB171_3 Depth=1
	s_or_b32 exec_lo, exec_lo, s19
	s_barrier_signal -1
	s_barrier_wait -1
	s_and_saveexec_b32 s19, s21
	s_cbranch_execz .LBB171_258
; %bb.257:                              ;   in Loop: Header=BB171_3 Depth=1
	s_delay_alu instid0(VALU_DEP_1) | instskip(NEXT) | instid1(VALU_DEP_4)
	v_xor_b32_e32 v205, 0x80000000, v19
	v_xor_b32_e32 v203, 0x80000000, v17
	s_delay_alu instid0(VALU_DEP_3)
	v_dual_mov_b32 v202, v16 :: v_dual_mov_b32 v204, v18
	ds_store_b128 v70, v[202:205]
.LBB171_258:                            ;   in Loop: Header=BB171_3 Depth=1
	s_or_b32 exec_lo, exec_lo, s19
	s_wait_dscnt 0x0
	s_barrier_signal -1
	s_barrier_wait -1
	s_and_saveexec_b32 s19, s22
	s_cbranch_execz .LBB171_260
; %bb.259:                              ;   in Loop: Header=BB171_3 Depth=1
	ds_load_b128 v[202:205], v70
	ds_load_b128 v[206:209], v71 offset:2560
	s_wait_dscnt 0x0
	v_mul_f64_e32 v[2:3], v[204:205], v[208:209]
	s_delay_alu instid0(VALU_DEP_1) | instskip(SKIP_1) | instid1(VALU_DEP_2)
	v_fma_f64 v[2:3], v[202:203], v[206:207], -v[2:3]
	v_mul_f64_e32 v[202:203], v[202:203], v[208:209]
	v_add_f64_e64 v[16:17], v[16:17], -v[2:3]
	s_delay_alu instid0(VALU_DEP_2) | instskip(NEXT) | instid1(VALU_DEP_1)
	v_fmac_f64_e32 v[202:203], v[204:205], v[206:207]
	v_add_f64_e64 v[18:19], v[18:19], -v[202:203]
.LBB171_260:                            ;   in Loop: Header=BB171_3 Depth=1
	s_or_b32 exec_lo, exec_lo, s19
	s_barrier_signal -1
	s_barrier_wait -1
	s_and_saveexec_b32 s19, s23
	;; [unrolled: 32-line block ×6, first 2 shown]
	s_cbranch_execz .LBB171_278
; %bb.277:                              ;   in Loop: Header=BB171_3 Depth=1
	s_delay_alu instid0(VALU_DEP_1) | instskip(NEXT) | instid1(VALU_DEP_4)
	v_xor_b32_e32 v205, 0x80000000, v19
	v_xor_b32_e32 v203, 0x80000000, v17
	s_delay_alu instid0(VALU_DEP_3)
	v_dual_mov_b32 v202, v16 :: v_dual_mov_b32 v204, v18
	ds_store_b128 v70, v[202:205]
.LBB171_278:                            ;   in Loop: Header=BB171_3 Depth=1
	s_or_b32 exec_lo, exec_lo, s19
	s_wait_dscnt 0x0
	s_barrier_signal -1
	s_barrier_wait -1
	s_barrier_signal -1
	s_barrier_wait -1
	s_and_saveexec_b32 s19, s8
; %bb.279:                              ;   in Loop: Header=BB171_3 Depth=1
	ds_store_b128 v73, v[16:19] offset:15872
; %bb.280:                              ;   in Loop: Header=BB171_3 Depth=1
	s_or_b32 exec_lo, exec_lo, s19
	s_wait_dscnt 0x0
	s_barrier_signal -1
	s_barrier_wait -1
	s_barrier_signal -1
	s_barrier_wait -1
	s_and_saveexec_b32 s33, s91
	s_cbranch_execz .LBB171_282
; %bb.281:                              ;   in Loop: Header=BB171_3 Depth=1
	ds_load_b128 v[16:19], v74
	s_wait_dscnt 0x0
	ds_store_b128 v160, v[16:19]
	ds_load_b128 v[16:19], v75
	s_wait_dscnt 0x0
	ds_store_b128 v161, v[16:19]
	;; [unrolled: 3-line block ×16, first 2 shown]
.LBB171_282:                            ;   in Loop: Header=BB171_3 Depth=1
	s_or_b32 exec_lo, exec_lo, s33
	s_wait_dscnt 0x0
	s_barrier_signal -1
	s_barrier_wait -1
	s_and_saveexec_b32 s33, s27
	s_cbranch_execz .LBB171_284
; %bb.283:                              ;   in Loop: Header=BB171_3 Depth=1
	s_mov_b32 s48, s35
	s_mov_b32 s50, s35
	;; [unrolled: 1-line block ×3, first 2 shown]
	v_mov_b64_e32 v[16:17], s[48:49]
	v_mov_b64_e32 v[18:19], s[50:51]
	ds_store_b128 v1, v[16:19] offset:7392
	ds_store_b128 v1, v[16:19] offset:7920
	ds_load_b128 v[16:19], v1 offset:7904
	s_wait_dscnt 0x0
	ds_store_b128 v1, v[16:19] offset:7408
.LBB171_284:                            ;   in Loop: Header=BB171_3 Depth=1
	s_or_b32 exec_lo, exec_lo, s33
	v_mov_b64_e32 v[16:17], 0
	v_mov_b64_e32 v[18:19], 0
	s_wait_dscnt 0x0
	s_barrier_signal -1
	s_barrier_wait -1
	global_wb scope:SCOPE_DEV
	s_wait_storecnt 0x0
	global_inv scope:SCOPE_DEV
	s_and_saveexec_b32 s33, s1
	s_cbranch_execz .LBB171_288
; %bb.285:                              ;   in Loop: Header=BB171_3 Depth=1
	ds_load_b128 v[16:19], v48 offset:7904
	ds_load_b128 v[202:205], v47 offset:7360
	s_wait_dscnt 0x0
	v_mul_f64_e32 v[2:3], v[18:19], v[204:205]
	v_mul_f64_e32 v[204:205], v[16:17], v[204:205]
	s_delay_alu instid0(VALU_DEP_2) | instskip(NEXT) | instid1(VALU_DEP_2)
	v_fma_f64 v[2:3], v[16:17], v[202:203], -v[2:3]
	v_fmac_f64_e32 v[204:205], v[18:19], v[202:203]
	s_delay_alu instid0(VALU_DEP_2) | instskip(NEXT) | instid1(VALU_DEP_2)
	v_add_f64_e32 v[16:17], 0, v[2:3]
	v_add_f64_e32 v[18:19], 0, v[204:205]
	s_and_saveexec_b32 s19, s2
	s_cbranch_execz .LBB171_287
; %bb.286:                              ;   in Loop: Header=BB171_3 Depth=1
	ds_load_b128 v[202:205], v1 offset:7920
	ds_load_b128 v[206:209], v49 offset:7872
	s_wait_dscnt 0x0
	v_mul_f64_e32 v[2:3], v[204:205], v[208:209]
	s_delay_alu instid0(VALU_DEP_1) | instskip(SKIP_1) | instid1(VALU_DEP_2)
	v_fma_f64 v[2:3], v[202:203], v[206:207], -v[2:3]
	v_mul_f64_e32 v[202:203], v[202:203], v[208:209]
	v_add_f64_e32 v[16:17], v[16:17], v[2:3]
	s_delay_alu instid0(VALU_DEP_2) | instskip(NEXT) | instid1(VALU_DEP_1)
	v_fmac_f64_e32 v[202:203], v[204:205], v[206:207]
	v_add_f64_e32 v[18:19], v[18:19], v[202:203]
.LBB171_287:                            ;   in Loop: Header=BB171_3 Depth=1
	s_or_b32 exec_lo, exec_lo, s19
.LBB171_288:                            ;   in Loop: Header=BB171_3 Depth=1
	s_delay_alu instid0(SALU_CYCLE_1)
	s_or_b32 exec_lo, exec_lo, s33
	s_and_saveexec_b32 s19, s62
	s_cbranch_execz .LBB171_290
; %bb.289:                              ;   in Loop: Header=BB171_3 Depth=1
	s_delay_alu instid0(VALU_DEP_2) | instskip(NEXT) | instid1(VALU_DEP_2)
	v_xor_b32_e32 v203, 0x80000000, v17
	v_xor_b32_e32 v205, 0x80000000, v19
	s_delay_alu instid0(VALU_DEP_3)
	v_dual_mov_b32 v202, v16 :: v_dual_mov_b32 v204, v18
	ds_store_b128 v46, v[202:205]
.LBB171_290:                            ;   in Loop: Header=BB171_3 Depth=1
	s_or_b32 exec_lo, exec_lo, s19
	s_wait_loadcnt_dscnt 0x0
	s_barrier_signal -1
	s_barrier_wait -1
	s_and_saveexec_b32 s19, s63
	s_cbranch_execz .LBB171_292
; %bb.291:                              ;   in Loop: Header=BB171_3 Depth=1
	ds_load_b128 v[202:205], v46
	ds_load_b128 v[206:209], v1 offset:6848
	s_wait_dscnt 0x0
	v_mul_f64_e32 v[2:3], v[202:203], v[206:207]
	v_mul_f64_e32 v[202:203], v[202:203], v[208:209]
	s_delay_alu instid0(VALU_DEP_2) | instskip(NEXT) | instid1(VALU_DEP_2)
	v_fma_f64 v[2:3], v[204:205], v[208:209], -v[2:3]
	v_fmac_f64_e32 v[202:203], v[204:205], v[206:207]
	s_delay_alu instid0(VALU_DEP_2) | instskip(NEXT) | instid1(VALU_DEP_2)
	v_add_f64_e32 v[16:17], v[16:17], v[2:3]
	v_add_f64_e64 v[18:19], v[18:19], -v[202:203]
.LBB171_292:                            ;   in Loop: Header=BB171_3 Depth=1
	s_or_b32 exec_lo, exec_lo, s19
	s_barrier_signal -1
	s_barrier_wait -1
	s_and_saveexec_b32 s19, s63
	s_cbranch_execz .LBB171_294
; %bb.293:                              ;   in Loop: Header=BB171_3 Depth=1
	s_delay_alu instid0(VALU_DEP_2) | instskip(NEXT) | instid1(VALU_DEP_2)
	v_xor_b32_e32 v203, 0x80000000, v17
	v_xor_b32_e32 v205, 0x80000000, v19
	s_delay_alu instid0(VALU_DEP_3)
	v_dual_mov_b32 v202, v16 :: v_dual_mov_b32 v204, v18
	ds_store_b128 v46, v[202:205]
.LBB171_294:                            ;   in Loop: Header=BB171_3 Depth=1
	s_or_b32 exec_lo, exec_lo, s19
	s_wait_dscnt 0x0
	s_barrier_signal -1
	s_barrier_wait -1
	s_barrier_signal -1
	s_barrier_wait -1
	s_and_saveexec_b32 s19, s1
; %bb.295:                              ;   in Loop: Header=BB171_3 Depth=1
	ds_store_b128 v50, v[16:19] offset:7872
; %bb.296:                              ;   in Loop: Header=BB171_3 Depth=1
	s_or_b32 exec_lo, exec_lo, s19
	s_wait_dscnt 0x0
	s_barrier_signal -1
	s_barrier_wait -1
	s_barrier_signal -1
	s_barrier_wait -1
	s_and_saveexec_b32 s19, s64
	s_cbranch_execz .LBB171_298
; %bb.297:                              ;   in Loop: Header=BB171_3 Depth=1
	ds_load_b128 v[16:19], v90
	s_wait_dscnt 0x0
	ds_store_b128 v176, v[16:19]
	ds_load_b128 v[16:19], v91
	s_wait_dscnt 0x0
	ds_store_b128 v177, v[16:19]
.LBB171_298:                            ;   in Loop: Header=BB171_3 Depth=1
	s_or_b32 exec_lo, exec_lo, s19
	s_wait_dscnt 0x0
	s_barrier_signal -1
	s_barrier_wait -1
	s_and_saveexec_b32 s33, s27
	s_cbranch_execz .LBB171_300
; %bb.299:                              ;   in Loop: Header=BB171_3 Depth=1
	s_mov_b32 s48, s35
	s_mov_b32 s50, s35
	;; [unrolled: 1-line block ×3, first 2 shown]
	v_mov_b64_e32 v[16:17], s[48:49]
	v_mov_b64_e32 v[18:19], s[50:51]
	ds_store_b128 v1, v[16:19] offset:6336
	ds_store_b128 v1, v[16:19] offset:6864
	ds_load_b128 v[16:19], v1 offset:6848
	s_wait_dscnt 0x0
	ds_store_b128 v1, v[16:19] offset:6352
.LBB171_300:                            ;   in Loop: Header=BB171_3 Depth=1
	s_or_b32 exec_lo, exec_lo, s33
	v_mov_b64_e32 v[18:19], 0
	v_mov_b64_e32 v[16:17], 0
	s_wait_dscnt 0x0
	s_barrier_signal -1
	s_barrier_wait -1
	global_wb scope:SCOPE_DEV
	s_wait_storecnt 0x0
	global_inv scope:SCOPE_DEV
	s_and_saveexec_b32 s33, s4
	s_cbranch_execz .LBB171_306
; %bb.301:                              ;   in Loop: Header=BB171_3 Depth=1
	ds_load_b128 v[16:19], v56 offset:7872
	ds_load_b128 v[202:205], v55 offset:6272
	s_wait_dscnt 0x0
	v_mul_f64_e32 v[2:3], v[18:19], v[204:205]
	v_mul_f64_e32 v[204:205], v[16:17], v[204:205]
	s_delay_alu instid0(VALU_DEP_2) | instskip(NEXT) | instid1(VALU_DEP_2)
	v_fma_f64 v[2:3], v[16:17], v[202:203], -v[2:3]
	v_fmac_f64_e32 v[204:205], v[18:19], v[202:203]
	s_delay_alu instid0(VALU_DEP_2) | instskip(NEXT) | instid1(VALU_DEP_2)
	v_add_f64_e32 v[16:17], 0, v[2:3]
	v_add_f64_e32 v[18:19], 0, v[204:205]
	s_and_saveexec_b32 s19, s5
	s_cbranch_execnz .LBB171_532
; %bb.302:                              ;   in Loop: Header=BB171_3 Depth=1
	s_or_b32 exec_lo, exec_lo, s19
	s_and_saveexec_b32 s19, s6
	s_cbranch_execnz .LBB171_533
.LBB171_303:                            ;   in Loop: Header=BB171_3 Depth=1
	s_or_b32 exec_lo, exec_lo, s19
	s_and_saveexec_b32 s19, s1
	s_cbranch_execz .LBB171_305
.LBB171_304:                            ;   in Loop: Header=BB171_3 Depth=1
	ds_load_b128 v[202:205], v1 offset:7920
	ds_load_b128 v[206:209], v53 offset:7808
	s_wait_dscnt 0x0
	v_mul_f64_e32 v[2:3], v[204:205], v[208:209]
	s_delay_alu instid0(VALU_DEP_1) | instskip(SKIP_1) | instid1(VALU_DEP_2)
	v_fma_f64 v[2:3], v[202:203], v[206:207], -v[2:3]
	v_mul_f64_e32 v[202:203], v[202:203], v[208:209]
	v_add_f64_e32 v[16:17], v[16:17], v[2:3]
	s_delay_alu instid0(VALU_DEP_2) | instskip(NEXT) | instid1(VALU_DEP_1)
	v_fmac_f64_e32 v[202:203], v[204:205], v[206:207]
	v_add_f64_e32 v[18:19], v[18:19], v[202:203]
.LBB171_305:                            ;   in Loop: Header=BB171_3 Depth=1
	s_or_b32 exec_lo, exec_lo, s19
.LBB171_306:                            ;   in Loop: Header=BB171_3 Depth=1
	s_delay_alu instid0(SALU_CYCLE_1)
	s_or_b32 exec_lo, exec_lo, s33
	s_and_saveexec_b32 s19, s65
	s_cbranch_execz .LBB171_308
; %bb.307:                              ;   in Loop: Header=BB171_3 Depth=1
	s_delay_alu instid0(VALU_DEP_1) | instskip(NEXT) | instid1(VALU_DEP_3)
	v_xor_b32_e32 v205, 0x80000000, v19
	v_xor_b32_e32 v203, 0x80000000, v17
	s_delay_alu instid0(VALU_DEP_3)
	v_dual_mov_b32 v202, v16 :: v_dual_mov_b32 v204, v18
	ds_store_b128 v54, v[202:205]
.LBB171_308:                            ;   in Loop: Header=BB171_3 Depth=1
	s_or_b32 exec_lo, exec_lo, s19
	s_wait_loadcnt_dscnt 0x0
	s_barrier_signal -1
	s_barrier_wait -1
	s_and_saveexec_b32 s19, s66
	s_cbranch_execz .LBB171_310
; %bb.309:                              ;   in Loop: Header=BB171_3 Depth=1
	ds_load_b128 v[202:205], v54
	ds_load_b128 v[206:209], v55 offset:5760
	s_wait_dscnt 0x0
	v_mul_f64_e32 v[2:3], v[204:205], v[208:209]
	s_delay_alu instid0(VALU_DEP_1) | instskip(SKIP_1) | instid1(VALU_DEP_2)
	v_fma_f64 v[2:3], v[202:203], v[206:207], -v[2:3]
	v_mul_f64_e32 v[202:203], v[202:203], v[208:209]
	v_add_f64_e64 v[16:17], v[16:17], -v[2:3]
	s_delay_alu instid0(VALU_DEP_2) | instskip(NEXT) | instid1(VALU_DEP_1)
	v_fmac_f64_e32 v[202:203], v[204:205], v[206:207]
	v_add_f64_e64 v[18:19], v[18:19], -v[202:203]
.LBB171_310:                            ;   in Loop: Header=BB171_3 Depth=1
	s_or_b32 exec_lo, exec_lo, s19
	s_barrier_signal -1
	s_barrier_wait -1
	s_and_saveexec_b32 s19, s67
	s_cbranch_execz .LBB171_312
; %bb.311:                              ;   in Loop: Header=BB171_3 Depth=1
	s_delay_alu instid0(VALU_DEP_1) | instskip(NEXT) | instid1(VALU_DEP_3)
	v_xor_b32_e32 v205, 0x80000000, v19
	v_xor_b32_e32 v203, 0x80000000, v17
	s_delay_alu instid0(VALU_DEP_3)
	v_dual_mov_b32 v202, v16 :: v_dual_mov_b32 v204, v18
	ds_store_b128 v54, v[202:205]
.LBB171_312:                            ;   in Loop: Header=BB171_3 Depth=1
	s_or_b32 exec_lo, exec_lo, s19
	s_wait_dscnt 0x0
	s_barrier_signal -1
	s_barrier_wait -1
	s_and_saveexec_b32 s19, s68
	s_cbranch_execz .LBB171_314
; %bb.313:                              ;   in Loop: Header=BB171_3 Depth=1
	ds_load_b128 v[202:205], v54
	ds_load_b128 v[206:209], v55 offset:5248
	s_wait_dscnt 0x0
	v_mul_f64_e32 v[2:3], v[204:205], v[208:209]
	s_delay_alu instid0(VALU_DEP_1) | instskip(SKIP_1) | instid1(VALU_DEP_2)
	v_fma_f64 v[2:3], v[202:203], v[206:207], -v[2:3]
	v_mul_f64_e32 v[202:203], v[202:203], v[208:209]
	v_add_f64_e64 v[16:17], v[16:17], -v[2:3]
	s_delay_alu instid0(VALU_DEP_2) | instskip(NEXT) | instid1(VALU_DEP_1)
	v_fmac_f64_e32 v[202:203], v[204:205], v[206:207]
	v_add_f64_e64 v[18:19], v[18:19], -v[202:203]
.LBB171_314:                            ;   in Loop: Header=BB171_3 Depth=1
	s_or_b32 exec_lo, exec_lo, s19
	s_barrier_signal -1
	s_barrier_wait -1
	s_and_saveexec_b32 s19, s69
	s_cbranch_execz .LBB171_316
; %bb.315:                              ;   in Loop: Header=BB171_3 Depth=1
	s_delay_alu instid0(VALU_DEP_1) | instskip(NEXT) | instid1(VALU_DEP_3)
	v_xor_b32_e32 v205, 0x80000000, v19
	v_xor_b32_e32 v203, 0x80000000, v17
	s_delay_alu instid0(VALU_DEP_3)
	v_dual_mov_b32 v202, v16 :: v_dual_mov_b32 v204, v18
	ds_store_b128 v54, v[202:205]
.LBB171_316:                            ;   in Loop: Header=BB171_3 Depth=1
	s_or_b32 exec_lo, exec_lo, s19
	s_wait_dscnt 0x0
	;; [unrolled: 32-line block ×3, first 2 shown]
	s_barrier_signal -1
	s_barrier_wait -1
	s_barrier_signal -1
	s_barrier_wait -1
	s_and_saveexec_b32 s19, s4
; %bb.321:                              ;   in Loop: Header=BB171_3 Depth=1
	ds_store_b128 v57, v[16:19] offset:7808
; %bb.322:                              ;   in Loop: Header=BB171_3 Depth=1
	s_or_b32 exec_lo, exec_lo, s19
	s_wait_dscnt 0x0
	s_barrier_signal -1
	s_barrier_wait -1
	s_barrier_signal -1
	s_barrier_wait -1
	s_and_saveexec_b32 s19, s71
	s_cbranch_execz .LBB171_324
; %bb.323:                              ;   in Loop: Header=BB171_3 Depth=1
	ds_load_b128 v[16:19], v107
	s_wait_dscnt 0x0
	ds_store_b128 v178, v[16:19]
	ds_load_b128 v[16:19], v110
	s_wait_dscnt 0x0
	ds_store_b128 v181, v[16:19]
	;; [unrolled: 3-line block ×4, first 2 shown]
.LBB171_324:                            ;   in Loop: Header=BB171_3 Depth=1
	s_or_b32 exec_lo, exec_lo, s19
	s_wait_dscnt 0x0
	s_barrier_signal -1
	s_barrier_wait -1
	s_and_saveexec_b32 s33, s27
	s_cbranch_execz .LBB171_326
; %bb.325:                              ;   in Loop: Header=BB171_3 Depth=1
	s_mov_b32 s48, s35
	s_mov_b32 s50, s35
	;; [unrolled: 1-line block ×3, first 2 shown]
	v_mov_b64_e32 v[16:17], s[48:49]
	v_mov_b64_e32 v[18:19], s[50:51]
	ds_store_b128 v1, v[16:19] offset:5280
	ds_store_b128 v1, v[16:19] offset:5808
	ds_load_b128 v[16:19], v1 offset:5792
	s_wait_dscnt 0x0
	ds_store_b128 v1, v[16:19] offset:5296
.LBB171_326:                            ;   in Loop: Header=BB171_3 Depth=1
	s_or_b32 exec_lo, exec_lo, s33
	v_mov_b64_e32 v[16:17], 0
	v_mov_b64_e32 v[18:19], 0
	s_wait_dscnt 0x0
	s_barrier_signal -1
	s_barrier_wait -1
	global_wb scope:SCOPE_DEV
	s_wait_storecnt 0x0
	global_inv scope:SCOPE_DEV
	s_and_saveexec_b32 s33, s1
	s_cbranch_execz .LBB171_330
; %bb.327:                              ;   in Loop: Header=BB171_3 Depth=1
	ds_load_b128 v[16:19], v48 offset:5792
	ds_load_b128 v[202:205], v47 offset:5248
	s_wait_dscnt 0x0
	v_mul_f64_e32 v[2:3], v[18:19], v[204:205]
	v_mul_f64_e32 v[204:205], v[16:17], v[204:205]
	s_delay_alu instid0(VALU_DEP_2) | instskip(NEXT) | instid1(VALU_DEP_2)
	v_fma_f64 v[2:3], v[16:17], v[202:203], -v[2:3]
	v_fmac_f64_e32 v[204:205], v[18:19], v[202:203]
	s_delay_alu instid0(VALU_DEP_2) | instskip(NEXT) | instid1(VALU_DEP_2)
	v_add_f64_e32 v[16:17], 0, v[2:3]
	v_add_f64_e32 v[18:19], 0, v[204:205]
	s_and_saveexec_b32 s19, s2
	s_cbranch_execz .LBB171_329
; %bb.328:                              ;   in Loop: Header=BB171_3 Depth=1
	ds_load_b128 v[202:205], v1 offset:5808
	ds_load_b128 v[206:209], v104 offset:5760
	s_wait_dscnt 0x0
	v_mul_f64_e32 v[2:3], v[204:205], v[208:209]
	s_delay_alu instid0(VALU_DEP_1) | instskip(SKIP_1) | instid1(VALU_DEP_2)
	v_fma_f64 v[2:3], v[202:203], v[206:207], -v[2:3]
	v_mul_f64_e32 v[202:203], v[202:203], v[208:209]
	v_add_f64_e32 v[16:17], v[16:17], v[2:3]
	s_delay_alu instid0(VALU_DEP_2) | instskip(NEXT) | instid1(VALU_DEP_1)
	v_fmac_f64_e32 v[202:203], v[204:205], v[206:207]
	v_add_f64_e32 v[18:19], v[18:19], v[202:203]
.LBB171_329:                            ;   in Loop: Header=BB171_3 Depth=1
	s_or_b32 exec_lo, exec_lo, s19
.LBB171_330:                            ;   in Loop: Header=BB171_3 Depth=1
	s_delay_alu instid0(SALU_CYCLE_1)
	s_or_b32 exec_lo, exec_lo, s33
	s_and_saveexec_b32 s19, s62
	s_cbranch_execz .LBB171_332
; %bb.331:                              ;   in Loop: Header=BB171_3 Depth=1
	s_delay_alu instid0(VALU_DEP_2) | instskip(NEXT) | instid1(VALU_DEP_2)
	v_xor_b32_e32 v203, 0x80000000, v17
	v_xor_b32_e32 v205, 0x80000000, v19
	s_delay_alu instid0(VALU_DEP_3)
	v_dual_mov_b32 v202, v16 :: v_dual_mov_b32 v204, v18
	ds_store_b128 v46, v[202:205]
.LBB171_332:                            ;   in Loop: Header=BB171_3 Depth=1
	s_or_b32 exec_lo, exec_lo, s19
	s_wait_loadcnt_dscnt 0x0
	s_barrier_signal -1
	s_barrier_wait -1
	s_and_saveexec_b32 s19, s63
	s_cbranch_execz .LBB171_334
; %bb.333:                              ;   in Loop: Header=BB171_3 Depth=1
	ds_load_b128 v[202:205], v46
	ds_load_b128 v[206:209], v1 offset:4736
	s_wait_dscnt 0x0
	v_mul_f64_e32 v[2:3], v[202:203], v[206:207]
	v_mul_f64_e32 v[202:203], v[202:203], v[208:209]
	s_delay_alu instid0(VALU_DEP_2) | instskip(NEXT) | instid1(VALU_DEP_2)
	v_fma_f64 v[2:3], v[204:205], v[208:209], -v[2:3]
	v_fmac_f64_e32 v[202:203], v[204:205], v[206:207]
	s_delay_alu instid0(VALU_DEP_2) | instskip(NEXT) | instid1(VALU_DEP_2)
	v_add_f64_e32 v[16:17], v[16:17], v[2:3]
	v_add_f64_e64 v[18:19], v[18:19], -v[202:203]
.LBB171_334:                            ;   in Loop: Header=BB171_3 Depth=1
	s_or_b32 exec_lo, exec_lo, s19
	s_barrier_signal -1
	s_barrier_wait -1
	s_and_saveexec_b32 s19, s63
	s_cbranch_execz .LBB171_336
; %bb.335:                              ;   in Loop: Header=BB171_3 Depth=1
	s_delay_alu instid0(VALU_DEP_2) | instskip(NEXT) | instid1(VALU_DEP_2)
	v_xor_b32_e32 v203, 0x80000000, v17
	v_xor_b32_e32 v205, 0x80000000, v19
	s_delay_alu instid0(VALU_DEP_3)
	v_dual_mov_b32 v202, v16 :: v_dual_mov_b32 v204, v18
	ds_store_b128 v46, v[202:205]
.LBB171_336:                            ;   in Loop: Header=BB171_3 Depth=1
	s_or_b32 exec_lo, exec_lo, s19
	s_wait_dscnt 0x0
	s_barrier_signal -1
	s_barrier_wait -1
	s_barrier_signal -1
	s_barrier_wait -1
	s_and_saveexec_b32 s19, s1
; %bb.337:                              ;   in Loop: Header=BB171_3 Depth=1
	ds_store_b128 v50, v[16:19] offset:5760
; %bb.338:                              ;   in Loop: Header=BB171_3 Depth=1
	s_or_b32 exec_lo, exec_lo, s19
	s_wait_dscnt 0x0
	s_barrier_signal -1
	s_barrier_wait -1
	s_barrier_signal -1
	s_barrier_wait -1
	s_and_saveexec_b32 s19, s64
	s_cbranch_execz .LBB171_340
; %bb.339:                              ;   in Loop: Header=BB171_3 Depth=1
	ds_load_b128 v[16:19], v120
	s_wait_dscnt 0x0
	ds_store_b128 v182, v[16:19]
	ds_load_b128 v[16:19], v121
	s_wait_dscnt 0x0
	ds_store_b128 v183, v[16:19]
.LBB171_340:                            ;   in Loop: Header=BB171_3 Depth=1
	s_or_b32 exec_lo, exec_lo, s19
	s_wait_dscnt 0x0
	s_barrier_signal -1
	s_barrier_wait -1
	s_and_saveexec_b32 s33, s27
	s_cbranch_execz .LBB171_342
; %bb.341:                              ;   in Loop: Header=BB171_3 Depth=1
	s_mov_b32 s48, s35
	s_mov_b32 s50, s35
	;; [unrolled: 1-line block ×3, first 2 shown]
	v_mov_b64_e32 v[16:17], s[48:49]
	v_mov_b64_e32 v[18:19], s[50:51]
	ds_store_b128 v1, v[16:19] offset:4224
	ds_store_b128 v1, v[16:19] offset:4752
	ds_load_b128 v[16:19], v1 offset:4736
	s_wait_dscnt 0x0
	ds_store_b128 v1, v[16:19] offset:4240
.LBB171_342:                            ;   in Loop: Header=BB171_3 Depth=1
	s_or_b32 exec_lo, exec_lo, s33
	v_mov_b64_e32 v[18:19], 0
	v_mov_b64_e32 v[16:17], 0
	s_wait_dscnt 0x0
	s_barrier_signal -1
	s_barrier_wait -1
	global_wb scope:SCOPE_DEV
	s_wait_storecnt 0x0
	global_inv scope:SCOPE_DEV
	s_and_saveexec_b32 s33, s7
	s_cbranch_execz .LBB171_352
; %bb.343:                              ;   in Loop: Header=BB171_3 Depth=1
	ds_load_b128 v[16:19], v60 offset:7808
	ds_load_b128 v[202:205], v59 offset:4096
	s_wait_dscnt 0x0
	v_mul_f64_e32 v[2:3], v[18:19], v[204:205]
	v_mul_f64_e32 v[204:205], v[16:17], v[204:205]
	s_delay_alu instid0(VALU_DEP_2) | instskip(NEXT) | instid1(VALU_DEP_2)
	v_fma_f64 v[2:3], v[16:17], v[202:203], -v[2:3]
	v_fmac_f64_e32 v[204:205], v[18:19], v[202:203]
	s_delay_alu instid0(VALU_DEP_2) | instskip(NEXT) | instid1(VALU_DEP_2)
	v_add_f64_e32 v[16:17], 0, v[2:3]
	v_add_f64_e32 v[18:19], 0, v[204:205]
	s_and_saveexec_b32 s19, s11
	s_cbranch_execnz .LBB171_534
; %bb.344:                              ;   in Loop: Header=BB171_3 Depth=1
	s_or_b32 exec_lo, exec_lo, s19
	s_and_saveexec_b32 s19, s12
	s_cbranch_execnz .LBB171_535
.LBB171_345:                            ;   in Loop: Header=BB171_3 Depth=1
	s_or_b32 exec_lo, exec_lo, s19
	s_and_saveexec_b32 s19, s13
	s_cbranch_execnz .LBB171_536
.LBB171_346:                            ;   in Loop: Header=BB171_3 Depth=1
	s_or_b32 exec_lo, exec_lo, s19
	s_and_saveexec_b32 s19, s14
	s_cbranch_execnz .LBB171_537
.LBB171_347:                            ;   in Loop: Header=BB171_3 Depth=1
	s_or_b32 exec_lo, exec_lo, s19
	s_and_saveexec_b32 s19, s15
	s_cbranch_execnz .LBB171_538
.LBB171_348:                            ;   in Loop: Header=BB171_3 Depth=1
	s_or_b32 exec_lo, exec_lo, s19
	s_and_saveexec_b32 s19, s4
	s_cbranch_execnz .LBB171_539
.LBB171_349:                            ;   in Loop: Header=BB171_3 Depth=1
	s_or_b32 exec_lo, exec_lo, s19
	s_and_saveexec_b32 s19, s6
	s_cbranch_execz .LBB171_351
.LBB171_350:                            ;   in Loop: Header=BB171_3 Depth=1
	ds_load_b128 v[202:205], v1 offset:7920
	ds_load_b128 v[206:209], v49 offset:7680
	s_wait_dscnt 0x0
	v_mul_f64_e32 v[2:3], v[204:205], v[208:209]
	s_delay_alu instid0(VALU_DEP_1) | instskip(SKIP_1) | instid1(VALU_DEP_2)
	v_fma_f64 v[2:3], v[202:203], v[206:207], -v[2:3]
	v_mul_f64_e32 v[202:203], v[202:203], v[208:209]
	v_add_f64_e32 v[16:17], v[16:17], v[2:3]
	s_delay_alu instid0(VALU_DEP_2) | instskip(NEXT) | instid1(VALU_DEP_1)
	v_fmac_f64_e32 v[202:203], v[204:205], v[206:207]
	v_add_f64_e32 v[18:19], v[18:19], v[202:203]
.LBB171_351:                            ;   in Loop: Header=BB171_3 Depth=1
	s_or_b32 exec_lo, exec_lo, s19
.LBB171_352:                            ;   in Loop: Header=BB171_3 Depth=1
	s_delay_alu instid0(SALU_CYCLE_1)
	s_or_b32 exec_lo, exec_lo, s33
	s_and_saveexec_b32 s19, s72
	s_cbranch_execz .LBB171_354
; %bb.353:                              ;   in Loop: Header=BB171_3 Depth=1
	s_delay_alu instid0(VALU_DEP_2) | instskip(NEXT) | instid1(VALU_DEP_2)
	v_xor_b32_e32 v203, 0x80000000, v17
	v_xor_b32_e32 v205, 0x80000000, v19
	s_delay_alu instid0(VALU_DEP_3)
	v_dual_mov_b32 v202, v16 :: v_dual_mov_b32 v204, v18
	ds_store_b128 v58, v[202:205]
.LBB171_354:                            ;   in Loop: Header=BB171_3 Depth=1
	s_or_b32 exec_lo, exec_lo, s19
	s_wait_loadcnt_dscnt 0x0
	s_barrier_signal -1
	s_barrier_wait -1
	s_and_saveexec_b32 s19, s73
	s_cbranch_execz .LBB171_356
; %bb.355:                              ;   in Loop: Header=BB171_3 Depth=1
	ds_load_b128 v[202:205], v58
	ds_load_b128 v[206:209], v59 offset:3584
	s_wait_dscnt 0x0
	v_mul_f64_e32 v[2:3], v[204:205], v[208:209]
	s_delay_alu instid0(VALU_DEP_1) | instskip(SKIP_1) | instid1(VALU_DEP_2)
	v_fma_f64 v[2:3], v[202:203], v[206:207], -v[2:3]
	v_mul_f64_e32 v[202:203], v[202:203], v[208:209]
	v_add_f64_e64 v[16:17], v[16:17], -v[2:3]
	s_delay_alu instid0(VALU_DEP_2) | instskip(NEXT) | instid1(VALU_DEP_1)
	v_fmac_f64_e32 v[202:203], v[204:205], v[206:207]
	v_add_f64_e64 v[18:19], v[18:19], -v[202:203]
.LBB171_356:                            ;   in Loop: Header=BB171_3 Depth=1
	s_or_b32 exec_lo, exec_lo, s19
	s_barrier_signal -1
	s_barrier_wait -1
	s_and_saveexec_b32 s19, s74
	s_cbranch_execz .LBB171_358
; %bb.357:                              ;   in Loop: Header=BB171_3 Depth=1
	s_delay_alu instid0(VALU_DEP_2) | instskip(NEXT) | instid1(VALU_DEP_2)
	v_xor_b32_e32 v203, 0x80000000, v17
	v_xor_b32_e32 v205, 0x80000000, v19
	s_delay_alu instid0(VALU_DEP_3)
	v_dual_mov_b32 v202, v16 :: v_dual_mov_b32 v204, v18
	ds_store_b128 v58, v[202:205]
.LBB171_358:                            ;   in Loop: Header=BB171_3 Depth=1
	s_or_b32 exec_lo, exec_lo, s19
	s_wait_dscnt 0x0
	s_barrier_signal -1
	s_barrier_wait -1
	s_and_saveexec_b32 s19, s75
	s_cbranch_execz .LBB171_360
; %bb.359:                              ;   in Loop: Header=BB171_3 Depth=1
	ds_load_b128 v[202:205], v58
	ds_load_b128 v[206:209], v59 offset:3072
	s_wait_dscnt 0x0
	v_mul_f64_e32 v[2:3], v[204:205], v[208:209]
	s_delay_alu instid0(VALU_DEP_1) | instskip(SKIP_1) | instid1(VALU_DEP_2)
	v_fma_f64 v[2:3], v[202:203], v[206:207], -v[2:3]
	v_mul_f64_e32 v[202:203], v[202:203], v[208:209]
	v_add_f64_e64 v[16:17], v[16:17], -v[2:3]
	s_delay_alu instid0(VALU_DEP_2) | instskip(NEXT) | instid1(VALU_DEP_1)
	v_fmac_f64_e32 v[202:203], v[204:205], v[206:207]
	v_add_f64_e64 v[18:19], v[18:19], -v[202:203]
.LBB171_360:                            ;   in Loop: Header=BB171_3 Depth=1
	s_or_b32 exec_lo, exec_lo, s19
	s_barrier_signal -1
	s_barrier_wait -1
	s_and_saveexec_b32 s19, s76
	s_cbranch_execz .LBB171_362
; %bb.361:                              ;   in Loop: Header=BB171_3 Depth=1
	s_delay_alu instid0(VALU_DEP_2) | instskip(NEXT) | instid1(VALU_DEP_2)
	v_xor_b32_e32 v203, 0x80000000, v17
	v_xor_b32_e32 v205, 0x80000000, v19
	s_delay_alu instid0(VALU_DEP_3)
	v_dual_mov_b32 v202, v16 :: v_dual_mov_b32 v204, v18
	ds_store_b128 v58, v[202:205]
.LBB171_362:                            ;   in Loop: Header=BB171_3 Depth=1
	s_or_b32 exec_lo, exec_lo, s19
	s_wait_dscnt 0x0
	;; [unrolled: 32-line block ×7, first 2 shown]
	s_barrier_signal -1
	s_barrier_wait -1
	s_barrier_signal -1
	s_barrier_wait -1
	s_and_saveexec_b32 s19, s7
; %bb.383:                              ;   in Loop: Header=BB171_3 Depth=1
	ds_store_b128 v61, v[16:19] offset:7680
; %bb.384:                              ;   in Loop: Header=BB171_3 Depth=1
	s_or_b32 exec_lo, exec_lo, s19
	s_wait_dscnt 0x0
	s_barrier_signal -1
	s_barrier_wait -1
	s_barrier_signal -1
	s_barrier_wait -1
	s_and_saveexec_b32 s19, s86
	s_cbranch_execz .LBB171_386
; %bb.385:                              ;   in Loop: Header=BB171_3 Depth=1
	ds_load_b128 v[16:19], v92
	s_wait_dscnt 0x0
	ds_store_b128 v184, v[16:19]
	ds_load_b128 v[16:19], v93
	s_wait_dscnt 0x0
	ds_store_b128 v185, v[16:19]
	;; [unrolled: 3-line block ×8, first 2 shown]
.LBB171_386:                            ;   in Loop: Header=BB171_3 Depth=1
	s_or_b32 exec_lo, exec_lo, s19
	s_wait_dscnt 0x0
	s_barrier_signal -1
	s_barrier_wait -1
	s_and_saveexec_b32 s33, s27
	s_cbranch_execz .LBB171_388
; %bb.387:                              ;   in Loop: Header=BB171_3 Depth=1
	s_mov_b32 s48, s35
	s_mov_b32 s50, s35
	;; [unrolled: 1-line block ×3, first 2 shown]
	v_mov_b64_e32 v[16:17], s[48:49]
	v_mov_b64_e32 v[18:19], s[50:51]
	ds_store_b128 v1, v[16:19] offset:3168
	ds_store_b128 v1, v[16:19] offset:3696
	ds_load_b128 v[16:19], v1 offset:3680
	s_wait_dscnt 0x0
	ds_store_b128 v1, v[16:19] offset:3184
.LBB171_388:                            ;   in Loop: Header=BB171_3 Depth=1
	s_or_b32 exec_lo, exec_lo, s33
	v_mov_b64_e32 v[16:17], 0
	v_mov_b64_e32 v[18:19], 0
	s_wait_dscnt 0x0
	s_barrier_signal -1
	s_barrier_wait -1
	global_wb scope:SCOPE_DEV
	s_wait_storecnt 0x0
	global_inv scope:SCOPE_DEV
	s_and_saveexec_b32 s33, s1
	s_cbranch_execz .LBB171_392
; %bb.389:                              ;   in Loop: Header=BB171_3 Depth=1
	ds_load_b128 v[16:19], v48 offset:3680
	ds_load_b128 v[202:205], v47 offset:3136
	s_wait_dscnt 0x0
	v_mul_f64_e32 v[2:3], v[18:19], v[204:205]
	v_mul_f64_e32 v[204:205], v[16:17], v[204:205]
	s_delay_alu instid0(VALU_DEP_2) | instskip(NEXT) | instid1(VALU_DEP_2)
	v_fma_f64 v[2:3], v[16:17], v[202:203], -v[2:3]
	v_fmac_f64_e32 v[204:205], v[18:19], v[202:203]
	s_delay_alu instid0(VALU_DEP_2) | instskip(NEXT) | instid1(VALU_DEP_2)
	v_add_f64_e32 v[16:17], 0, v[2:3]
	v_add_f64_e32 v[18:19], 0, v[204:205]
	s_and_saveexec_b32 s19, s2
	s_cbranch_execz .LBB171_391
; %bb.390:                              ;   in Loop: Header=BB171_3 Depth=1
	ds_load_b128 v[202:205], v1 offset:3696
	ds_load_b128 v[206:209], v53 offset:3648
	s_wait_dscnt 0x0
	v_mul_f64_e32 v[2:3], v[204:205], v[208:209]
	s_delay_alu instid0(VALU_DEP_1) | instskip(SKIP_1) | instid1(VALU_DEP_2)
	v_fma_f64 v[2:3], v[202:203], v[206:207], -v[2:3]
	v_mul_f64_e32 v[202:203], v[202:203], v[208:209]
	v_add_f64_e32 v[16:17], v[16:17], v[2:3]
	s_delay_alu instid0(VALU_DEP_2) | instskip(NEXT) | instid1(VALU_DEP_1)
	v_fmac_f64_e32 v[202:203], v[204:205], v[206:207]
	v_add_f64_e32 v[18:19], v[18:19], v[202:203]
.LBB171_391:                            ;   in Loop: Header=BB171_3 Depth=1
	s_or_b32 exec_lo, exec_lo, s19
.LBB171_392:                            ;   in Loop: Header=BB171_3 Depth=1
	s_delay_alu instid0(SALU_CYCLE_1)
	s_or_b32 exec_lo, exec_lo, s33
	s_and_saveexec_b32 s19, s62
	s_cbranch_execz .LBB171_394
; %bb.393:                              ;   in Loop: Header=BB171_3 Depth=1
	s_delay_alu instid0(VALU_DEP_2) | instskip(NEXT) | instid1(VALU_DEP_2)
	v_xor_b32_e32 v203, 0x80000000, v17
	v_xor_b32_e32 v205, 0x80000000, v19
	s_delay_alu instid0(VALU_DEP_3)
	v_dual_mov_b32 v202, v16 :: v_dual_mov_b32 v204, v18
	ds_store_b128 v46, v[202:205]
.LBB171_394:                            ;   in Loop: Header=BB171_3 Depth=1
	s_or_b32 exec_lo, exec_lo, s19
	s_wait_loadcnt_dscnt 0x0
	s_barrier_signal -1
	s_barrier_wait -1
	s_and_saveexec_b32 s19, s63
	s_cbranch_execz .LBB171_396
; %bb.395:                              ;   in Loop: Header=BB171_3 Depth=1
	ds_load_b128 v[202:205], v46
	ds_load_b128 v[206:209], v1 offset:2624
	s_wait_dscnt 0x0
	v_mul_f64_e32 v[2:3], v[202:203], v[206:207]
	v_mul_f64_e32 v[202:203], v[202:203], v[208:209]
	s_delay_alu instid0(VALU_DEP_2) | instskip(NEXT) | instid1(VALU_DEP_2)
	v_fma_f64 v[2:3], v[204:205], v[208:209], -v[2:3]
	v_fmac_f64_e32 v[202:203], v[204:205], v[206:207]
	s_delay_alu instid0(VALU_DEP_2) | instskip(NEXT) | instid1(VALU_DEP_2)
	v_add_f64_e32 v[16:17], v[16:17], v[2:3]
	v_add_f64_e64 v[18:19], v[18:19], -v[202:203]
.LBB171_396:                            ;   in Loop: Header=BB171_3 Depth=1
	s_or_b32 exec_lo, exec_lo, s19
	s_barrier_signal -1
	s_barrier_wait -1
	s_and_saveexec_b32 s19, s63
	s_cbranch_execz .LBB171_398
; %bb.397:                              ;   in Loop: Header=BB171_3 Depth=1
	s_delay_alu instid0(VALU_DEP_2) | instskip(NEXT) | instid1(VALU_DEP_2)
	v_xor_b32_e32 v203, 0x80000000, v17
	v_xor_b32_e32 v205, 0x80000000, v19
	s_delay_alu instid0(VALU_DEP_3)
	v_dual_mov_b32 v202, v16 :: v_dual_mov_b32 v204, v18
	ds_store_b128 v46, v[202:205]
.LBB171_398:                            ;   in Loop: Header=BB171_3 Depth=1
	s_or_b32 exec_lo, exec_lo, s19
	s_wait_dscnt 0x0
	s_barrier_signal -1
	s_barrier_wait -1
	s_barrier_signal -1
	s_barrier_wait -1
	s_and_saveexec_b32 s19, s1
; %bb.399:                              ;   in Loop: Header=BB171_3 Depth=1
	ds_store_b128 v50, v[16:19] offset:3648
; %bb.400:                              ;   in Loop: Header=BB171_3 Depth=1
	s_or_b32 exec_lo, exec_lo, s19
	s_wait_dscnt 0x0
	s_barrier_signal -1
	s_barrier_wait -1
	s_barrier_signal -1
	s_barrier_wait -1
	s_and_saveexec_b32 s19, s64
	s_cbranch_execz .LBB171_402
; %bb.401:                              ;   in Loop: Header=BB171_3 Depth=1
	ds_load_b128 v[16:19], v111
	s_wait_dscnt 0x0
	ds_store_b128 v192, v[16:19]
	ds_load_b128 v[16:19], v112
	s_wait_dscnt 0x0
	ds_store_b128 v193, v[16:19]
.LBB171_402:                            ;   in Loop: Header=BB171_3 Depth=1
	s_or_b32 exec_lo, exec_lo, s19
	s_wait_dscnt 0x0
	s_barrier_signal -1
	s_barrier_wait -1
	s_and_saveexec_b32 s33, s27
	s_cbranch_execz .LBB171_404
; %bb.403:                              ;   in Loop: Header=BB171_3 Depth=1
	s_mov_b32 s48, s35
	s_mov_b32 s50, s35
	s_mov_b32 s51, s35
	v_mov_b64_e32 v[16:17], s[48:49]
	v_mov_b64_e32 v[18:19], s[50:51]
	ds_store_b128 v1, v[16:19] offset:2112
	ds_store_b128 v1, v[16:19] offset:2640
	ds_load_b128 v[16:19], v1 offset:2624
	s_wait_dscnt 0x0
	ds_store_b128 v1, v[16:19] offset:2128
.LBB171_404:                            ;   in Loop: Header=BB171_3 Depth=1
	s_or_b32 exec_lo, exec_lo, s33
	v_mov_b64_e32 v[18:19], 0
	v_mov_b64_e32 v[16:17], 0
	s_wait_dscnt 0x0
	s_barrier_signal -1
	s_barrier_wait -1
	global_wb scope:SCOPE_DEV
	s_wait_storecnt 0x0
	global_inv scope:SCOPE_DEV
	s_and_saveexec_b32 s33, s4
	s_cbranch_execz .LBB171_410
; %bb.405:                              ;   in Loop: Header=BB171_3 Depth=1
	ds_load_b128 v[16:19], v56 offset:3648
	ds_load_b128 v[202:205], v55 offset:2048
	s_wait_dscnt 0x0
	v_mul_f64_e32 v[2:3], v[18:19], v[204:205]
	v_mul_f64_e32 v[204:205], v[16:17], v[204:205]
	s_delay_alu instid0(VALU_DEP_2) | instskip(NEXT) | instid1(VALU_DEP_2)
	v_fma_f64 v[2:3], v[16:17], v[202:203], -v[2:3]
	v_fmac_f64_e32 v[204:205], v[18:19], v[202:203]
	s_delay_alu instid0(VALU_DEP_2) | instskip(NEXT) | instid1(VALU_DEP_2)
	v_add_f64_e32 v[16:17], 0, v[2:3]
	v_add_f64_e32 v[18:19], 0, v[204:205]
	s_and_saveexec_b32 s19, s5
	s_cbranch_execnz .LBB171_540
; %bb.406:                              ;   in Loop: Header=BB171_3 Depth=1
	s_or_b32 exec_lo, exec_lo, s19
	s_and_saveexec_b32 s19, s6
	s_cbranch_execnz .LBB171_541
.LBB171_407:                            ;   in Loop: Header=BB171_3 Depth=1
	s_or_b32 exec_lo, exec_lo, s19
	s_and_saveexec_b32 s19, s1
	s_cbranch_execz .LBB171_409
.LBB171_408:                            ;   in Loop: Header=BB171_3 Depth=1
	ds_load_b128 v[202:205], v1 offset:3696
	ds_load_b128 v[206:209], v104 offset:3584
	s_wait_dscnt 0x0
	v_mul_f64_e32 v[2:3], v[204:205], v[208:209]
	s_delay_alu instid0(VALU_DEP_1) | instskip(SKIP_1) | instid1(VALU_DEP_2)
	v_fma_f64 v[2:3], v[202:203], v[206:207], -v[2:3]
	v_mul_f64_e32 v[202:203], v[202:203], v[208:209]
	v_add_f64_e32 v[16:17], v[16:17], v[2:3]
	s_delay_alu instid0(VALU_DEP_2) | instskip(NEXT) | instid1(VALU_DEP_1)
	v_fmac_f64_e32 v[202:203], v[204:205], v[206:207]
	v_add_f64_e32 v[18:19], v[18:19], v[202:203]
.LBB171_409:                            ;   in Loop: Header=BB171_3 Depth=1
	s_or_b32 exec_lo, exec_lo, s19
.LBB171_410:                            ;   in Loop: Header=BB171_3 Depth=1
	s_delay_alu instid0(SALU_CYCLE_1)
	s_or_b32 exec_lo, exec_lo, s33
	s_and_saveexec_b32 s19, s65
	s_cbranch_execz .LBB171_412
; %bb.411:                              ;   in Loop: Header=BB171_3 Depth=1
	s_delay_alu instid0(VALU_DEP_1) | instskip(NEXT) | instid1(VALU_DEP_3)
	v_xor_b32_e32 v205, 0x80000000, v19
	v_xor_b32_e32 v203, 0x80000000, v17
	s_delay_alu instid0(VALU_DEP_3)
	v_dual_mov_b32 v202, v16 :: v_dual_mov_b32 v204, v18
	ds_store_b128 v54, v[202:205]
.LBB171_412:                            ;   in Loop: Header=BB171_3 Depth=1
	s_or_b32 exec_lo, exec_lo, s19
	s_wait_loadcnt_dscnt 0x0
	s_barrier_signal -1
	s_barrier_wait -1
	s_and_saveexec_b32 s19, s66
	s_cbranch_execz .LBB171_414
; %bb.413:                              ;   in Loop: Header=BB171_3 Depth=1
	ds_load_b128 v[202:205], v54
	ds_load_b128 v[206:209], v55 offset:1536
	s_wait_dscnt 0x0
	v_mul_f64_e32 v[2:3], v[204:205], v[208:209]
	s_delay_alu instid0(VALU_DEP_1) | instskip(SKIP_1) | instid1(VALU_DEP_2)
	v_fma_f64 v[2:3], v[202:203], v[206:207], -v[2:3]
	v_mul_f64_e32 v[202:203], v[202:203], v[208:209]
	v_add_f64_e64 v[16:17], v[16:17], -v[2:3]
	s_delay_alu instid0(VALU_DEP_2) | instskip(NEXT) | instid1(VALU_DEP_1)
	v_fmac_f64_e32 v[202:203], v[204:205], v[206:207]
	v_add_f64_e64 v[18:19], v[18:19], -v[202:203]
.LBB171_414:                            ;   in Loop: Header=BB171_3 Depth=1
	s_or_b32 exec_lo, exec_lo, s19
	s_barrier_signal -1
	s_barrier_wait -1
	s_and_saveexec_b32 s19, s67
	s_cbranch_execz .LBB171_416
; %bb.415:                              ;   in Loop: Header=BB171_3 Depth=1
	s_delay_alu instid0(VALU_DEP_1) | instskip(NEXT) | instid1(VALU_DEP_3)
	v_xor_b32_e32 v205, 0x80000000, v19
	v_xor_b32_e32 v203, 0x80000000, v17
	s_delay_alu instid0(VALU_DEP_3)
	v_dual_mov_b32 v202, v16 :: v_dual_mov_b32 v204, v18
	ds_store_b128 v54, v[202:205]
.LBB171_416:                            ;   in Loop: Header=BB171_3 Depth=1
	s_or_b32 exec_lo, exec_lo, s19
	s_wait_dscnt 0x0
	s_barrier_signal -1
	s_barrier_wait -1
	s_and_saveexec_b32 s19, s68
	s_cbranch_execz .LBB171_418
; %bb.417:                              ;   in Loop: Header=BB171_3 Depth=1
	ds_load_b128 v[202:205], v54
	ds_load_b128 v[206:209], v55 offset:1024
	s_wait_dscnt 0x0
	v_mul_f64_e32 v[2:3], v[204:205], v[208:209]
	s_delay_alu instid0(VALU_DEP_1) | instskip(SKIP_1) | instid1(VALU_DEP_2)
	v_fma_f64 v[2:3], v[202:203], v[206:207], -v[2:3]
	v_mul_f64_e32 v[202:203], v[202:203], v[208:209]
	v_add_f64_e64 v[16:17], v[16:17], -v[2:3]
	s_delay_alu instid0(VALU_DEP_2) | instskip(NEXT) | instid1(VALU_DEP_1)
	v_fmac_f64_e32 v[202:203], v[204:205], v[206:207]
	v_add_f64_e64 v[18:19], v[18:19], -v[202:203]
.LBB171_418:                            ;   in Loop: Header=BB171_3 Depth=1
	s_or_b32 exec_lo, exec_lo, s19
	s_barrier_signal -1
	s_barrier_wait -1
	s_and_saveexec_b32 s19, s69
	s_cbranch_execz .LBB171_420
; %bb.419:                              ;   in Loop: Header=BB171_3 Depth=1
	s_delay_alu instid0(VALU_DEP_1) | instskip(NEXT) | instid1(VALU_DEP_3)
	v_xor_b32_e32 v205, 0x80000000, v19
	v_xor_b32_e32 v203, 0x80000000, v17
	s_delay_alu instid0(VALU_DEP_3)
	v_dual_mov_b32 v202, v16 :: v_dual_mov_b32 v204, v18
	ds_store_b128 v54, v[202:205]
.LBB171_420:                            ;   in Loop: Header=BB171_3 Depth=1
	s_or_b32 exec_lo, exec_lo, s19
	s_wait_dscnt 0x0
	;; [unrolled: 32-line block ×3, first 2 shown]
	s_barrier_signal -1
	s_barrier_wait -1
	s_barrier_signal -1
	s_barrier_wait -1
	s_and_saveexec_b32 s19, s4
; %bb.425:                              ;   in Loop: Header=BB171_3 Depth=1
	ds_store_b128 v57, v[16:19] offset:3584
; %bb.426:                              ;   in Loop: Header=BB171_3 Depth=1
	s_or_b32 exec_lo, exec_lo, s19
	s_wait_dscnt 0x0
	s_barrier_signal -1
	s_barrier_wait -1
	s_barrier_signal -1
	s_barrier_wait -1
	s_and_saveexec_b32 s19, s71
	s_cbranch_execz .LBB171_428
; %bb.427:                              ;   in Loop: Header=BB171_3 Depth=1
	ds_load_b128 v[16:19], v122
	s_wait_dscnt 0x0
	ds_store_b128 v194, v[16:19]
	ds_load_b128 v[16:19], v125
	s_wait_dscnt 0x0
	ds_store_b128 v21, v[16:19]
	;; [unrolled: 3-line block ×4, first 2 shown]
.LBB171_428:                            ;   in Loop: Header=BB171_3 Depth=1
	s_or_b32 exec_lo, exec_lo, s19
	s_wait_dscnt 0x0
	s_barrier_signal -1
	s_barrier_wait -1
	s_and_saveexec_b32 s33, s27
	s_cbranch_execz .LBB171_430
; %bb.429:                              ;   in Loop: Header=BB171_3 Depth=1
	s_mov_b32 s48, s35
	s_mov_b32 s50, s35
	;; [unrolled: 1-line block ×3, first 2 shown]
	v_mov_b64_e32 v[16:17], s[48:49]
	v_mov_b64_e32 v[18:19], s[50:51]
	ds_store_b128 v1, v[16:19] offset:1056
	ds_store_b128 v1, v[16:19] offset:1584
	ds_load_b128 v[16:19], v1 offset:1568
	s_wait_dscnt 0x0
	ds_store_b128 v1, v[16:19] offset:1072
.LBB171_430:                            ;   in Loop: Header=BB171_3 Depth=1
	s_or_b32 exec_lo, exec_lo, s33
	v_mov_b64_e32 v[16:17], 0
	v_mov_b64_e32 v[18:19], 0
	s_wait_dscnt 0x0
	s_barrier_signal -1
	s_barrier_wait -1
	global_wb scope:SCOPE_DEV
	s_wait_storecnt 0x0
	global_inv scope:SCOPE_DEV
	s_and_saveexec_b32 s33, s1
	s_cbranch_execz .LBB171_434
; %bb.431:                              ;   in Loop: Header=BB171_3 Depth=1
	ds_load_b128 v[16:19], v48 offset:1568
	ds_load_b128 v[202:205], v47 offset:1024
	s_wait_dscnt 0x0
	v_mul_f64_e32 v[2:3], v[18:19], v[204:205]
	v_mul_f64_e32 v[204:205], v[16:17], v[204:205]
	s_delay_alu instid0(VALU_DEP_2) | instskip(NEXT) | instid1(VALU_DEP_2)
	v_fma_f64 v[2:3], v[16:17], v[202:203], -v[2:3]
	v_fmac_f64_e32 v[204:205], v[18:19], v[202:203]
	s_delay_alu instid0(VALU_DEP_2) | instskip(NEXT) | instid1(VALU_DEP_2)
	v_add_f64_e32 v[16:17], 0, v[2:3]
	v_add_f64_e32 v[18:19], 0, v[204:205]
	s_and_saveexec_b32 s19, s2
	s_cbranch_execz .LBB171_433
; %bb.432:                              ;   in Loop: Header=BB171_3 Depth=1
	ds_load_b128 v[202:205], v1 offset:1584
	ds_load_b128 v[206:209], v115 offset:1536
	s_wait_dscnt 0x0
	v_mul_f64_e32 v[2:3], v[204:205], v[208:209]
	s_delay_alu instid0(VALU_DEP_1) | instskip(SKIP_1) | instid1(VALU_DEP_2)
	v_fma_f64 v[2:3], v[202:203], v[206:207], -v[2:3]
	v_mul_f64_e32 v[202:203], v[202:203], v[208:209]
	v_add_f64_e32 v[16:17], v[16:17], v[2:3]
	s_delay_alu instid0(VALU_DEP_2) | instskip(NEXT) | instid1(VALU_DEP_1)
	v_fmac_f64_e32 v[202:203], v[204:205], v[206:207]
	v_add_f64_e32 v[18:19], v[18:19], v[202:203]
.LBB171_433:                            ;   in Loop: Header=BB171_3 Depth=1
	s_or_b32 exec_lo, exec_lo, s19
.LBB171_434:                            ;   in Loop: Header=BB171_3 Depth=1
	s_delay_alu instid0(SALU_CYCLE_1)
	s_or_b32 exec_lo, exec_lo, s33
	s_and_saveexec_b32 s19, s62
	s_cbranch_execz .LBB171_436
; %bb.435:                              ;   in Loop: Header=BB171_3 Depth=1
	s_delay_alu instid0(VALU_DEP_2) | instskip(NEXT) | instid1(VALU_DEP_2)
	v_xor_b32_e32 v203, 0x80000000, v17
	v_xor_b32_e32 v205, 0x80000000, v19
	s_delay_alu instid0(VALU_DEP_3)
	v_dual_mov_b32 v202, v16 :: v_dual_mov_b32 v204, v18
	ds_store_b128 v46, v[202:205]
.LBB171_436:                            ;   in Loop: Header=BB171_3 Depth=1
	s_or_b32 exec_lo, exec_lo, s19
	s_wait_loadcnt_dscnt 0x0
	s_barrier_signal -1
	s_barrier_wait -1
	s_and_saveexec_b32 s19, s63
	s_cbranch_execz .LBB171_438
; %bb.437:                              ;   in Loop: Header=BB171_3 Depth=1
	ds_load_b128 v[202:205], v46
	ds_load_b128 v[206:209], v1 offset:512
	s_wait_dscnt 0x0
	v_mul_f64_e32 v[2:3], v[202:203], v[206:207]
	v_mul_f64_e32 v[202:203], v[202:203], v[208:209]
	s_delay_alu instid0(VALU_DEP_2) | instskip(NEXT) | instid1(VALU_DEP_2)
	v_fma_f64 v[2:3], v[204:205], v[208:209], -v[2:3]
	v_fmac_f64_e32 v[202:203], v[204:205], v[206:207]
	s_delay_alu instid0(VALU_DEP_2) | instskip(NEXT) | instid1(VALU_DEP_2)
	v_add_f64_e32 v[16:17], v[16:17], v[2:3]
	v_add_f64_e64 v[18:19], v[18:19], -v[202:203]
.LBB171_438:                            ;   in Loop: Header=BB171_3 Depth=1
	s_or_b32 exec_lo, exec_lo, s19
	s_barrier_signal -1
	s_barrier_wait -1
	s_and_saveexec_b32 s19, s63
	s_cbranch_execz .LBB171_440
; %bb.439:                              ;   in Loop: Header=BB171_3 Depth=1
	s_delay_alu instid0(VALU_DEP_2) | instskip(NEXT) | instid1(VALU_DEP_2)
	v_xor_b32_e32 v203, 0x80000000, v17
	v_xor_b32_e32 v205, 0x80000000, v19
	s_delay_alu instid0(VALU_DEP_3)
	v_dual_mov_b32 v202, v16 :: v_dual_mov_b32 v204, v18
	ds_store_b128 v46, v[202:205]
.LBB171_440:                            ;   in Loop: Header=BB171_3 Depth=1
	s_or_b32 exec_lo, exec_lo, s19
	s_wait_dscnt 0x0
	s_barrier_signal -1
	s_barrier_wait -1
	s_barrier_signal -1
	s_barrier_wait -1
	s_and_saveexec_b32 s19, s1
; %bb.441:                              ;   in Loop: Header=BB171_3 Depth=1
	ds_store_b128 v50, v[16:19] offset:1536
; %bb.442:                              ;   in Loop: Header=BB171_3 Depth=1
	s_or_b32 exec_lo, exec_lo, s19
	s_wait_dscnt 0x0
	s_barrier_signal -1
	s_barrier_wait -1
	s_barrier_signal -1
	s_barrier_wait -1
	s_and_saveexec_b32 s19, s64
	s_cbranch_execz .LBB171_444
; %bb.443:                              ;   in Loop: Header=BB171_3 Depth=1
	ds_load_b128 v[16:19], v128
	s_wait_dscnt 0x0
	ds_store_b128 v134, v[16:19]
	ds_load_b128 v[16:19], v129
	s_wait_dscnt 0x0
	ds_store_b128 v25, v[16:19]
.LBB171_444:                            ;   in Loop: Header=BB171_3 Depth=1
	s_or_b32 exec_lo, exec_lo, s19
	s_wait_dscnt 0x0
	s_barrier_signal -1
	s_barrier_wait -1
	s_and_saveexec_b32 s33, s27
	s_cbranch_execz .LBB171_446
; %bb.445:                              ;   in Loop: Header=BB171_3 Depth=1
	s_mov_b32 s48, s35
	s_mov_b32 s50, s35
	;; [unrolled: 1-line block ×3, first 2 shown]
	v_mov_b64_e32 v[16:17], s[48:49]
	v_mov_b64_e32 v[18:19], s[50:51]
	ds_store_b128 v1, v[16:19]
	ds_store_b128 v1, v[16:19] offset:528
	ds_load_b128 v[16:19], v1 offset:512
	s_wait_dscnt 0x0
	ds_store_b128 v1, v[16:19] offset:16
.LBB171_446:                            ;   in Loop: Header=BB171_3 Depth=1
	s_or_b32 exec_lo, exec_lo, s33
.LBB171_447:                            ;   in Loop: Header=BB171_3 Depth=1
	v_mov_b64_e32 v[16:17], 0
	v_add_nc_u64_e32 v[44:45], s[40:41], v[44:45]
	s_wait_dscnt 0x0
	s_barrier_signal -1
	s_barrier_wait -1
	s_delay_alu instid0(VALU_DEP_2)
	v_mov_b64_e32 v[18:19], v[16:17]
	s_wait_xcnt 0x0
	s_and_saveexec_b32 s19, s93
	s_cbranch_execz .LBB171_449
; %bb.448:                              ;   in Loop: Header=BB171_3 Depth=1
	v_lshl_add_u64 v[2:3], v[30:31], 4, v[44:45]
	flat_load_b128 v[202:205], v[2:3]
	s_wait_loadcnt_dscnt 0x0
	v_mul_f64_e32 v[2:3], v[12:13], v[202:203]
	s_delay_alu instid0(VALU_DEP_1) | instskip(SKIP_1) | instid1(VALU_DEP_1)
	v_fma_f64 v[16:17], v[14:15], v[204:205], -v[2:3]
	v_mul_f64_e32 v[2:3], v[12:13], v[204:205]
	v_fma_f64 v[18:19], v[202:203], -v[14:15], -v[2:3]
.LBB171_449:                            ;   in Loop: Header=BB171_3 Depth=1
	s_or_b32 exec_lo, exec_lo, s19
	s_delay_alu instid0(SALU_CYCLE_1)
	s_and_not1_b32 vcc_lo, exec_lo, s94
	s_cbranch_vccnz .LBB171_472
; %bb.450:                              ;   in Loop: Header=BB171_3 Depth=1
	v_mov_b32_e32 v41, -1
	s_lshl_b64 s[50:51], s[34:35], 2
	s_mov_b32 s48, 0
	s_add_nc_u64 s[50:51], s[52:53], s[50:51]
	s_branch .LBB171_453
.LBB171_451:                            ;   in Loop: Header=BB171_453 Depth=2
	ds_load_b128 v[202:205], v131 offset:256
	s_wait_loadcnt_dscnt 0x0
	v_mul_f64_e32 v[2:3], v[14:15], v[204:205]
	v_mul_f64_e32 v[14:15], v[14:15], v[202:203]
	s_delay_alu instid0(VALU_DEP_2) | instskip(NEXT) | instid1(VALU_DEP_2)
	v_fmac_f64_e32 v[2:3], v[12:13], v[202:203]
	v_fma_f64 v[12:13], v[12:13], v[204:205], -v[14:15]
	s_delay_alu instid0(VALU_DEP_2) | instskip(NEXT) | instid1(VALU_DEP_2)
	v_add_f64_e32 v[16:17], v[16:17], v[2:3]
	v_add_f64_e32 v[18:19], v[18:19], v[12:13]
.LBB171_452:                            ;   in Loop: Header=BB171_453 Depth=2
	s_or_b32 exec_lo, exec_lo, s33
	s_add_co_i32 s48, s48, 1
	s_delay_alu instid0(SALU_CYCLE_1)
	s_cmp_eq_u32 s48, s58
	s_cbranch_scc1 .LBB171_472
.LBB171_453:                            ;   Parent Loop BB171_3 Depth=1
                                        ; =>  This Loop Header: Depth=2
                                        ;       Child Loop BB171_455 Depth 3
	v_cmp_gt_i32_e32 vcc_lo, s48, v41
	s_and_b32 s33, s30, vcc_lo
	s_delay_alu instid0(SALU_CYCLE_1)
	s_and_saveexec_b32 s19, s33
	s_cbranch_execz .LBB171_456
; %bb.454:                              ;   in Loop: Header=BB171_453 Depth=2
	global_load_b32 v41, v1, s[50:51]
	s_wait_loadcnt 0x0
	v_cmp_le_i32_e32 vcc_lo, s48, v41
	s_cbranch_vccnz .LBB171_456
.LBB171_455:                            ;   Parent Loop BB171_3 Depth=1
                                        ;     Parent Loop BB171_453 Depth=2
                                        ; =>    This Inner Loop Header: Depth=3
	global_wb scope:SCOPE_DEV
	s_wait_storecnt 0x0
	global_inv scope:SCOPE_DEV
	global_load_b32 v41, v1, s[50:51]
	s_wait_loadcnt 0x0
	v_cmp_gt_i32_e32 vcc_lo, s48, v41
	s_cbranch_vccnz .LBB171_455
.LBB171_456:                            ;   in Loop: Header=BB171_453 Depth=2
	s_or_b32 exec_lo, exec_lo, s19
	s_lshl_b32 s33, s48, 5
	global_wb scope:SCOPE_DEV
	s_wait_storecnt 0x0
	global_inv scope:SCOPE_DEV
	s_wait_loadcnt 0x0
	s_barrier_signal -1
	s_barrier_wait -1
	s_and_saveexec_b32 s19, s31
	s_cbranch_execz .LBB171_461
; %bb.457:                              ;   in Loop: Header=BB171_453 Depth=2
	v_or_b32_e32 v0, s33, v24
	s_delay_alu instid0(VALU_DEP_1) | instskip(SKIP_1) | instid1(SALU_CYCLE_1)
	v_cmp_le_i32_e32 vcc_lo, s57, v0
	s_and_saveexec_b32 s18, vcc_lo
	s_xor_b32 vcc_lo, exec_lo, s18
; %bb.458:                              ;   in Loop: Header=BB171_453 Depth=2
	v_dual_mov_b32 v0, v1 :: v_dual_mov_b32 v2, v1
	v_mov_b32_e32 v3, v1
	ds_store_b128 v197, v[0:3]
; %bb.459:                              ;   in Loop: Header=BB171_453 Depth=2
	s_and_not1_saveexec_b32 s18, vcc_lo
	s_cbranch_execz .LBB171_461
; %bb.460:                              ;   in Loop: Header=BB171_453 Depth=2
	v_mul_u64_e32 v[2:3], s[42:43], v[0:1]
	s_delay_alu instid0(VALU_DEP_1)
	v_lshl_add_u64 v[2:3], v[2:3], 4, v[44:45]
	flat_load_b128 v[12:15], v[2:3]
	s_wait_loadcnt_dscnt 0x0
	ds_store_2addr_b64 v197, v[12:13], v[14:15] offset1:1
.LBB171_461:                            ;   in Loop: Header=BB171_453 Depth=2
	s_or_b32 exec_lo, exec_lo, s19
	v_add_nc_u32_e32 v0, s33, v20
	v_cmp_ne_u32_e32 vcc_lo, s48, v23
	s_wait_dscnt 0x0
	s_barrier_signal -1
	s_barrier_wait -1
	v_cmp_gt_i32_e64 s33, s57, v0
	v_lshl_add_u64 v[2:3], v[0:1], 4, v[42:43]
	v_cndmask_b32_e64 v201, 0, 1, vcc_lo
	s_and_b32 s18, s33, s0
	s_delay_alu instid0(SALU_CYCLE_1)
	s_and_saveexec_b32 s33, s18
	s_cbranch_execz .LBB171_467
; %bb.462:                              ;   in Loop: Header=BB171_453 Depth=2
	v_mov_b64_e32 v[12:13], v[4:5]
	s_and_not1_b32 vcc_lo, exec_lo, vcc_lo
	s_cbranch_vccnz .LBB171_464
; %bb.463:                              ;   in Loop: Header=BB171_453 Depth=2
	flat_load_b64 v[12:13], v[2:3]
.LBB171_464:                            ;   in Loop: Header=BB171_453 Depth=2
	v_cmp_ne_u32_e32 vcc_lo, 1, v201
	v_mov_b64_e32 v[14:15], v[6:7]
	s_cbranch_vccnz .LBB171_466
; %bb.465:                              ;   in Loop: Header=BB171_453 Depth=2
	flat_load_b64 v[14:15], v[2:3] offset:8
.LBB171_466:                            ;   in Loop: Header=BB171_453 Depth=2
	ds_load_b128 v[202:205], v131
	s_wait_loadcnt_dscnt 0x0
	v_mul_f64_e32 v[206:207], v[14:15], v[204:205]
	v_mul_f64_e32 v[14:15], v[14:15], v[202:203]
	s_delay_alu instid0(VALU_DEP_2) | instskip(NEXT) | instid1(VALU_DEP_2)
	v_fmac_f64_e32 v[206:207], v[12:13], v[202:203]
	v_fma_f64 v[12:13], v[12:13], v[204:205], -v[14:15]
	s_delay_alu instid0(VALU_DEP_2) | instskip(NEXT) | instid1(VALU_DEP_2)
	v_add_f64_e32 v[16:17], v[16:17], v[206:207]
	v_add_f64_e32 v[18:19], v[18:19], v[12:13]
.LBB171_467:                            ;   in Loop: Header=BB171_453 Depth=2
	s_or_b32 exec_lo, exec_lo, s33
	v_add_nc_u32_e32 v0, 16, v0
	s_delay_alu instid0(VALU_DEP_1) | instskip(SKIP_1) | instid1(SALU_CYCLE_1)
	v_cmp_gt_i32_e32 vcc_lo, s57, v0
	s_and_b32 s18, vcc_lo, s0
	s_and_saveexec_b32 s33, s18
	s_cbranch_execz .LBB171_452
; %bb.468:                              ;   in Loop: Header=BB171_453 Depth=2
	v_cmp_ne_u32_e32 vcc_lo, 1, v201
	v_mov_b64_e32 v[12:13], v[8:9]
	s_cbranch_vccnz .LBB171_470
; %bb.469:                              ;   in Loop: Header=BB171_453 Depth=2
	flat_load_b64 v[12:13], v[2:3] offset:256
.LBB171_470:                            ;   in Loop: Header=BB171_453 Depth=2
	v_cmp_ne_u32_e32 vcc_lo, 1, v201
	v_mov_b64_e32 v[14:15], v[10:11]
	s_cbranch_vccnz .LBB171_451
; %bb.471:                              ;   in Loop: Header=BB171_453 Depth=2
	flat_load_b64 v[14:15], v[2:3] offset:264
	s_branch .LBB171_451
.LBB171_472:                            ;   in Loop: Header=BB171_3 Depth=1
	ds_store_b128 v198, v[16:19]
	s_wait_dscnt 0x0
	s_barrier_signal -1
	s_barrier_wait -1
	s_and_saveexec_b32 s33, s3
	s_cbranch_execz .LBB171_474
; %bb.473:                              ;   in Loop: Header=BB171_3 Depth=1
	ds_load_b128 v[12:15], v199 offset:512
	s_wait_dscnt 0x0
	v_add_f64_e32 v[2:3], v[16:17], v[12:13]
	v_add_f64_e32 v[16:17], v[18:19], v[14:15]
	ds_load_b128 v[12:15], v199 offset:1024
	s_wait_dscnt 0x0
	v_add_f64_e32 v[2:3], v[2:3], v[12:13]
	v_add_f64_e32 v[16:17], v[16:17], v[14:15]
	;; [unrolled: 4-line block ×15, first 2 shown]
	s_delay_alu instid0(VALU_DEP_2) | instskip(NEXT) | instid1(VALU_DEP_2)
	v_xor_b32_e32 v0, 0x80000000, v3
	v_xor_b32_e32 v3, 0x80000000, v13
	s_delay_alu instid0(VALU_DEP_4) | instskip(NEXT) | instid1(VALU_DEP_4)
	v_cndmask_b32_e64 v16, v2, 0, s92
	v_cndmask_b32_e64 v18, v12, 0, s92
	s_delay_alu instid0(VALU_DEP_4) | instskip(NEXT) | instid1(VALU_DEP_4)
	v_cndmask_b32_e64 v17, v0, 0, s92
	v_cndmask_b32_e64 v19, v3, 0, s92
.LBB171_474:                            ;   in Loop: Header=BB171_3 Depth=1
	s_or_b32 exec_lo, exec_lo, s33
	s_delay_alu instid0(SALU_CYCLE_1)
	s_and_not1_b32 vcc_lo, exec_lo, s61
	s_cbranch_vccnz .LBB171_483
; %bb.475:                              ;   in Loop: Header=BB171_3 Depth=1
	s_and_saveexec_b32 s19, s3
; %bb.476:                              ;   in Loop: Header=BB171_3 Depth=1
	ds_store_b128 v200, v[16:19]
; %bb.477:                              ;   in Loop: Header=BB171_3 Depth=1
	s_or_b32 exec_lo, exec_lo, s19
	v_mov_b64_e32 v[12:13], 0
	v_mov_b64_e32 v[14:15], 0
	s_wait_dscnt 0x0
	s_barrier_signal -1
	s_barrier_wait -1
	s_and_saveexec_b32 s19, s9
	s_cbranch_execz .LBB171_479
; %bb.478:                              ;   in Loop: Header=BB171_3 Depth=1
	ds_load_b128 v[12:15], v131
	ds_load_b128 v[202:205], v135
	s_wait_dscnt 0x0
	v_mul_f64_e32 v[2:3], v[14:15], v[204:205]
	v_mul_f64_e32 v[42:43], v[12:13], v[204:205]
	s_delay_alu instid0(VALU_DEP_2) | instskip(NEXT) | instid1(VALU_DEP_2)
	v_fma_f64 v[2:3], v[12:13], v[202:203], -v[2:3]
	v_fmac_f64_e32 v[42:43], v[14:15], v[202:203]
	s_delay_alu instid0(VALU_DEP_2) | instskip(NEXT) | instid1(VALU_DEP_2)
	v_add_f64_e32 v[12:13], 0, v[2:3]
	v_add_f64_e32 v[14:15], 0, v[42:43]
.LBB171_479:                            ;   in Loop: Header=BB171_3 Depth=1
	s_or_b32 exec_lo, exec_lo, s19
	s_and_saveexec_b32 s19, s10
	s_cbranch_execz .LBB171_481
; %bb.480:                              ;   in Loop: Header=BB171_3 Depth=1
	ds_load_b128 v[202:205], v131 offset:256
	ds_load_b128 v[206:209], v135 offset:8192
	s_wait_dscnt 0x0
	v_mul_f64_e32 v[2:3], v[204:205], v[208:209]
	v_mul_f64_e32 v[42:43], v[202:203], v[208:209]
	s_delay_alu instid0(VALU_DEP_2) | instskip(NEXT) | instid1(VALU_DEP_2)
	v_fma_f64 v[2:3], v[202:203], v[206:207], -v[2:3]
	v_fmac_f64_e32 v[42:43], v[204:205], v[206:207]
	s_delay_alu instid0(VALU_DEP_2) | instskip(NEXT) | instid1(VALU_DEP_2)
	v_add_f64_e32 v[12:13], v[12:13], v[2:3]
	v_add_f64_e32 v[14:15], v[14:15], v[42:43]
.LBB171_481:                            ;   in Loop: Header=BB171_3 Depth=1
	s_or_b32 exec_lo, exec_lo, s19
	s_mov_b32 s48, 0
	s_mov_b32 s33, 0
	ds_store_b128 v198, v[12:15]
	s_wait_dscnt 0x0
	s_barrier_signal -1
	s_barrier_wait -1
                                        ; implicit-def: $vgpr2_vgpr3
                                        ; implicit-def: $vgpr42_vgpr43
	s_and_saveexec_b32 s50, s3
	s_cbranch_execz .LBB171_513
; %bb.482:                              ;   in Loop: Header=BB171_3 Depth=1
	ds_load_b128 v[202:205], v199 offset:512
	s_mov_b32 s33, exec_lo
	s_wait_dscnt 0x0
	v_add_f64_e32 v[2:3], v[12:13], v[202:203]
	v_add_f64_e32 v[42:43], v[14:15], v[204:205]
	ds_load_b128 v[12:15], v199 offset:1024
	s_wait_dscnt 0x0
	v_add_f64_e32 v[2:3], v[2:3], v[12:13]
	v_add_f64_e32 v[42:43], v[42:43], v[14:15]
	ds_load_b128 v[12:15], v199 offset:1536
	;; [unrolled: 4-line block ×14, first 2 shown]
	s_wait_dscnt 0x0
	v_add_f64_e32 v[42:43], v[2:3], v[12:13]
	v_add_f64_e32 v[2:3], v[202:203], v[14:15]
	s_or_b32 exec_lo, exec_lo, s50
	s_delay_alu instid0(SALU_CYCLE_1)
	s_and_b32 vcc_lo, exec_lo, s48
	s_cbranch_vccnz .LBB171_484
	s_branch .LBB171_514
.LBB171_483:                            ;   in Loop: Header=BB171_3 Depth=1
	s_mov_b32 s33, 0
                                        ; implicit-def: $vgpr2_vgpr3
                                        ; implicit-def: $vgpr42_vgpr43
	s_cbranch_execz .LBB171_514
.LBB171_484:                            ;   in Loop: Header=BB171_3 Depth=1
	v_dual_mov_b32 v0, v22 :: v_dual_mov_b32 v2, v49
	s_mov_b32 s48, 0
	s_branch .LBB171_486
.LBB171_485:                            ;   in Loop: Header=BB171_486 Depth=2
	s_or_b32 exec_lo, exec_lo, s19
	v_add_nc_u32_e32 v2, 0x400, v2
	v_add_nc_u32_e32 v0, -2, v0
	s_add_co_i32 s48, s48, 2
	s_delay_alu instid0(SALU_CYCLE_1)
	s_cmp_lg_u32 s48, 32
	s_barrier_signal -1
	s_barrier_wait -1
	s_cbranch_scc0 .LBB171_494
.LBB171_486:                            ;   Parent Loop BB171_3 Depth=1
                                        ; =>  This Inner Loop Header: Depth=2
	s_delay_alu instid0(VALU_DEP_1) | instskip(SKIP_1) | instid1(SALU_CYCLE_1)
	v_cmp_eq_u32_e32 vcc_lo, 0, v0
	s_and_b32 s18, s3, vcc_lo
	s_and_saveexec_b32 s19, s18
; %bb.487:                              ;   in Loop: Header=BB171_486 Depth=2
	ds_store_b128 v1, v[16:19] offset:25088
; %bb.488:                              ;   in Loop: Header=BB171_486 Depth=2
	s_or_b32 exec_lo, exec_lo, s19
	v_cmp_lt_u32_e32 vcc_lo, s48, v22
	s_wait_dscnt 0x0
	s_barrier_signal -1
	s_barrier_wait -1
	s_and_b32 s18, s3, vcc_lo
	s_delay_alu instid0(SALU_CYCLE_1)
	s_and_saveexec_b32 s19, s18
	s_cbranch_execz .LBB171_490
; %bb.489:                              ;   in Loop: Header=BB171_486 Depth=2
	ds_load_b128 v[12:15], v1 offset:25088
	ds_load_b128 v[202:205], v2
	s_wait_dscnt 0x0
	v_mul_f64_e32 v[42:43], v[14:15], v[204:205]
	s_delay_alu instid0(VALU_DEP_1) | instskip(SKIP_1) | instid1(VALU_DEP_2)
	v_fma_f64 v[42:43], v[12:13], v[202:203], -v[42:43]
	v_mul_f64_e32 v[12:13], v[12:13], v[204:205]
	v_add_f64_e32 v[16:17], v[16:17], v[42:43]
	s_delay_alu instid0(VALU_DEP_2) | instskip(NEXT) | instid1(VALU_DEP_1)
	v_fmac_f64_e32 v[12:13], v[14:15], v[202:203]
	v_add_f64_e32 v[18:19], v[18:19], v[12:13]
.LBB171_490:                            ;   in Loop: Header=BB171_486 Depth=2
	s_or_b32 exec_lo, exec_lo, s19
	s_or_b32 s19, s48, 1
	s_delay_alu instid0(SALU_CYCLE_1) | instskip(SKIP_3) | instid1(SALU_CYCLE_1)
	v_cmp_eq_u32_e32 vcc_lo, s19, v22
	s_barrier_signal -1
	s_barrier_wait -1
	s_and_b32 s18, s3, vcc_lo
	s_and_saveexec_b32 s50, s18
; %bb.491:                              ;   in Loop: Header=BB171_486 Depth=2
	ds_store_b128 v1, v[16:19] offset:25088
; %bb.492:                              ;   in Loop: Header=BB171_486 Depth=2
	s_or_b32 exec_lo, exec_lo, s50
	v_cmp_lt_u32_e32 vcc_lo, s19, v22
	s_wait_dscnt 0x0
	s_barrier_signal -1
	s_barrier_wait -1
	s_and_b32 s18, s3, vcc_lo
	s_delay_alu instid0(SALU_CYCLE_1)
	s_and_saveexec_b32 s19, s18
	s_cbranch_execz .LBB171_485
; %bb.493:                              ;   in Loop: Header=BB171_486 Depth=2
	ds_load_b128 v[12:15], v1 offset:25088
	ds_load_b128 v[202:205], v2 offset:512
	s_wait_dscnt 0x0
	v_mul_f64_e32 v[42:43], v[14:15], v[204:205]
	s_delay_alu instid0(VALU_DEP_1) | instskip(SKIP_1) | instid1(VALU_DEP_2)
	v_fma_f64 v[42:43], v[12:13], v[202:203], -v[42:43]
	v_mul_f64_e32 v[12:13], v[12:13], v[204:205]
	v_add_f64_e32 v[16:17], v[16:17], v[42:43]
	s_delay_alu instid0(VALU_DEP_2) | instskip(NEXT) | instid1(VALU_DEP_1)
	v_fmac_f64_e32 v[12:13], v[14:15], v[202:203]
	v_add_f64_e32 v[18:19], v[18:19], v[12:13]
	s_branch .LBB171_485
.LBB171_494:                            ;   in Loop: Header=BB171_3 Depth=1
	s_and_b32 vcc_lo, exec_lo, s60
	s_mov_b32 s19, -1
	s_cbranch_vccz .LBB171_496
; %bb.495:                              ;   in Loop: Header=BB171_3 Depth=1
	s_and_not1_b32 s18, s33, exec_lo
	s_and_b32 s33, s3, exec_lo
	s_mov_b32 s19, 0
	s_or_b32 s33, s18, s33
.LBB171_496:                            ;   in Loop: Header=BB171_3 Depth=1
	s_and_not1_b32 vcc_lo, exec_lo, s19
	s_cbranch_vccnz .LBB171_498
; %bb.497:                              ;   in Loop: Header=BB171_3 Depth=1
	v_readlane_b32 s19, v210, 11
	s_and_not1_b32 s18, s33, exec_lo
	s_and_b32 s19, s19, exec_lo
	s_delay_alu instid0(SALU_CYCLE_1)
	s_or_b32 s33, s18, s19
.LBB171_498:                            ;   in Loop: Header=BB171_3 Depth=1
	v_mov_b64_e32 v[2:3], v[32:33]
	s_and_saveexec_b32 s19, s33
	s_cbranch_execnz .LBB171_515
	s_branch .LBB171_516
.LBB171_499:                            ;   in Loop: Header=BB171_3 Depth=1
	s_and_saveexec_b32 s33, s28
; %bb.500:                              ;   in Loop: Header=BB171_3 Depth=1
	v_dual_mov_b32 v0, v1 :: v_dual_mov_b32 v2, v1
	v_mov_b32_e32 v3, v1
	ds_store_b128 v136, v[0:3]
; %bb.501:                              ;   in Loop: Header=BB171_3 Depth=1
	s_or_b32 exec_lo, exec_lo, s33
	s_and_not1_saveexec_b32 s19, s19
	s_cbranch_execz .LBB171_12
.LBB171_502:                            ;   in Loop: Header=BB171_3 Depth=1
	v_lshl_add_u64 v[2:3], v[38:39], 4, v[16:17]
	flat_load_b128 v[202:205], v[2:3]
	s_wait_loadcnt_dscnt 0x0
	v_xor_b32_e32 v203, 0x80000000, v203
	ds_store_b128 v136, v[202:205]
	s_or_b32 exec_lo, exec_lo, s19
	s_and_saveexec_b32 s19, s10
	s_delay_alu instid0(SALU_CYCLE_1)
	s_xor_b32 s19, exec_lo, s19
	s_cbranch_execz .LBB171_13
.LBB171_503:                            ;   in Loop: Header=BB171_3 Depth=1
	s_and_saveexec_b32 s33, s29
; %bb.504:                              ;   in Loop: Header=BB171_3 Depth=1
	v_dual_mov_b32 v0, v1 :: v_dual_mov_b32 v2, v1
	v_mov_b32_e32 v3, v1
	ds_store_b128 v137, v[0:3]
; %bb.505:                              ;   in Loop: Header=BB171_3 Depth=1
	s_or_b32 exec_lo, exec_lo, s33
	s_and_not1_saveexec_b32 s19, s19
	s_cbranch_execnz .LBB171_14
	s_branch .LBB171_15
.LBB171_506:                            ;   in Loop: Header=BB171_3 Depth=1
	s_and_saveexec_b32 s33, s28
; %bb.507:                              ;   in Loop: Header=BB171_3 Depth=1
	v_dual_mov_b32 v0, v1 :: v_dual_mov_b32 v2, v1
	v_mov_b32_e32 v3, v1
	ds_store_b128 v130, v[0:3]
; %bb.508:                              ;   in Loop: Header=BB171_3 Depth=1
	s_or_b32 exec_lo, exec_lo, s33
	s_and_not1_saveexec_b32 s19, s19
	s_cbranch_execz .LBB171_19
.LBB171_509:                            ;   in Loop: Header=BB171_3 Depth=1
	v_lshl_add_u64 v[2:3], v[38:39], 4, v[16:17]
	flat_load_b128 v[202:205], v[2:3]
	s_wait_loadcnt_dscnt 0x0
	v_xor_b32_e32 v203, 0x80000000, v203
	ds_store_b128 v130, v[202:205]
	s_or_b32 exec_lo, exec_lo, s19
	s_and_saveexec_b32 s19, s96
	s_delay_alu instid0(SALU_CYCLE_1)
	s_xor_b32 s19, exec_lo, s19
	s_cbranch_execz .LBB171_20
.LBB171_510:                            ;   in Loop: Header=BB171_3 Depth=1
	s_and_saveexec_b32 s33, s29
; %bb.511:                              ;   in Loop: Header=BB171_3 Depth=1
	v_dual_mov_b32 v0, v1 :: v_dual_mov_b32 v2, v1
	v_mov_b32_e32 v3, v1
	ds_store_b128 v137, v[0:3]
; %bb.512:                              ;   in Loop: Header=BB171_3 Depth=1
	s_or_b32 exec_lo, exec_lo, s33
                                        ; implicit-def: $vgpr16_vgpr17
	s_and_not1_saveexec_b32 s19, s19
	s_cbranch_execnz .LBB171_21
	s_branch .LBB171_22
.LBB171_513:                            ;   in Loop: Header=BB171_3 Depth=1
	s_or_b32 exec_lo, exec_lo, s50
	s_delay_alu instid0(SALU_CYCLE_1)
	s_and_b32 vcc_lo, exec_lo, s48
	s_cbranch_vccnz .LBB171_484
.LBB171_514:                            ;   in Loop: Header=BB171_3 Depth=1
	s_delay_alu instid0(VALU_DEP_1) | instskip(NEXT) | instid1(VALU_DEP_3)
	v_mov_b64_e32 v[18:19], v[2:3]
	v_mov_b64_e32 v[16:17], v[42:43]
	;; [unrolled: 1-line block ×3, first 2 shown]
	s_and_saveexec_b32 s19, s33
	s_cbranch_execz .LBB171_516
.LBB171_515:                            ;   in Loop: Header=BB171_3 Depth=1
	s_delay_alu instid0(VALU_DEP_1)
	v_lshl_add_u64 v[2:3], v[2:3], 4, v[44:45]
	flat_store_b128 v[2:3], v[16:19]
.LBB171_516:                            ;   in Loop: Header=BB171_3 Depth=1
	s_wait_xcnt 0x0
	s_or_b32 exec_lo, exec_lo, s19
	global_wb scope:SCOPE_DEV
	s_wait_storecnt_dscnt 0x0
	global_inv scope:SCOPE_DEV
	s_wait_loadcnt 0x0
	s_barrier_signal -1
	s_barrier_wait -1
	s_and_saveexec_b32 s19, s30
	s_cbranch_execz .LBB171_2
; %bb.517:                              ;   in Loop: Header=BB171_3 Depth=1
	s_lshl_b64 s[50:51], s[34:35], 2
	s_delay_alu instid0(SALU_CYCLE_1)
	s_add_nc_u64 s[50:51], s[52:53], s[50:51]
	global_load_b32 v0, v1, s[50:51]
	s_wait_loadcnt 0x0
	v_add_nc_u32_e32 v0, 1, v0
	global_store_b32 v1, v0, s[50:51]
	s_branch .LBB171_2
.LBB171_518:                            ;   in Loop: Header=BB171_3 Depth=1
	ds_load_b128 v[202:205], v56 offset:16336
	ds_load_b128 v[206:209], v55 offset:15232
	s_wait_dscnt 0x0
	v_mul_f64_e32 v[2:3], v[204:205], v[208:209]
	s_delay_alu instid0(VALU_DEP_1) | instskip(SKIP_1) | instid1(VALU_DEP_2)
	v_fma_f64 v[2:3], v[202:203], v[206:207], -v[2:3]
	v_mul_f64_e32 v[202:203], v[202:203], v[208:209]
	v_add_f64_e32 v[16:17], v[16:17], v[2:3]
	s_delay_alu instid0(VALU_DEP_2) | instskip(NEXT) | instid1(VALU_DEP_1)
	v_fmac_f64_e32 v[202:203], v[204:205], v[206:207]
	v_add_f64_e32 v[18:19], v[18:19], v[202:203]
	s_or_b32 exec_lo, exec_lo, s19
	s_and_saveexec_b32 s19, s6
	s_cbranch_execz .LBB171_45
.LBB171_519:                            ;   in Loop: Header=BB171_3 Depth=1
	ds_load_b128 v[202:205], v56 offset:16352
	ds_load_b128 v[206:209], v55 offset:15744
	s_wait_dscnt 0x0
	v_mul_f64_e32 v[2:3], v[204:205], v[208:209]
	s_delay_alu instid0(VALU_DEP_1) | instskip(SKIP_1) | instid1(VALU_DEP_2)
	v_fma_f64 v[2:3], v[202:203], v[206:207], -v[2:3]
	v_mul_f64_e32 v[202:203], v[202:203], v[208:209]
	v_add_f64_e32 v[16:17], v[16:17], v[2:3]
	s_delay_alu instid0(VALU_DEP_2) | instskip(NEXT) | instid1(VALU_DEP_1)
	v_fmac_f64_e32 v[202:203], v[204:205], v[206:207]
	v_add_f64_e32 v[18:19], v[18:19], v[202:203]
	s_or_b32 exec_lo, exec_lo, s19
	s_and_saveexec_b32 s19, s1
	s_cbranch_execnz .LBB171_46
	s_branch .LBB171_47
.LBB171_520:                            ;   in Loop: Header=BB171_3 Depth=1
	ds_load_b128 v[202:205], v60 offset:16272
	ds_load_b128 v[206:209], v59 offset:13056
	s_wait_dscnt 0x0
	v_mul_f64_e32 v[2:3], v[204:205], v[208:209]
	s_delay_alu instid0(VALU_DEP_1) | instskip(SKIP_1) | instid1(VALU_DEP_2)
	v_fma_f64 v[2:3], v[202:203], v[206:207], -v[2:3]
	v_mul_f64_e32 v[202:203], v[202:203], v[208:209]
	v_add_f64_e32 v[16:17], v[16:17], v[2:3]
	s_delay_alu instid0(VALU_DEP_2) | instskip(NEXT) | instid1(VALU_DEP_1)
	v_fmac_f64_e32 v[202:203], v[204:205], v[206:207]
	v_add_f64_e32 v[18:19], v[18:19], v[202:203]
	s_or_b32 exec_lo, exec_lo, s19
	s_and_saveexec_b32 s19, s12
	s_cbranch_execz .LBB171_87
.LBB171_521:                            ;   in Loop: Header=BB171_3 Depth=1
	ds_load_b128 v[202:205], v60 offset:16288
	ds_load_b128 v[206:209], v59 offset:13568
	s_wait_dscnt 0x0
	v_mul_f64_e32 v[2:3], v[204:205], v[208:209]
	s_delay_alu instid0(VALU_DEP_1) | instskip(SKIP_1) | instid1(VALU_DEP_2)
	v_fma_f64 v[2:3], v[202:203], v[206:207], -v[2:3]
	v_mul_f64_e32 v[202:203], v[202:203], v[208:209]
	v_add_f64_e32 v[16:17], v[16:17], v[2:3]
	s_delay_alu instid0(VALU_DEP_2) | instskip(NEXT) | instid1(VALU_DEP_1)
	v_fmac_f64_e32 v[202:203], v[204:205], v[206:207]
	v_add_f64_e32 v[18:19], v[18:19], v[202:203]
	s_or_b32 exec_lo, exec_lo, s19
	s_and_saveexec_b32 s19, s13
	s_cbranch_execz .LBB171_88
.LBB171_522:                            ;   in Loop: Header=BB171_3 Depth=1
	ds_load_b128 v[202:205], v60 offset:16304
	ds_load_b128 v[206:209], v59 offset:14080
	s_wait_dscnt 0x0
	v_mul_f64_e32 v[2:3], v[204:205], v[208:209]
	s_delay_alu instid0(VALU_DEP_1) | instskip(SKIP_1) | instid1(VALU_DEP_2)
	v_fma_f64 v[2:3], v[202:203], v[206:207], -v[2:3]
	v_mul_f64_e32 v[202:203], v[202:203], v[208:209]
	v_add_f64_e32 v[16:17], v[16:17], v[2:3]
	s_delay_alu instid0(VALU_DEP_2) | instskip(NEXT) | instid1(VALU_DEP_1)
	v_fmac_f64_e32 v[202:203], v[204:205], v[206:207]
	v_add_f64_e32 v[18:19], v[18:19], v[202:203]
	s_or_b32 exec_lo, exec_lo, s19
	s_and_saveexec_b32 s19, s14
	s_cbranch_execz .LBB171_89
.LBB171_523:                            ;   in Loop: Header=BB171_3 Depth=1
	ds_load_b128 v[202:205], v60 offset:16320
	ds_load_b128 v[206:209], v59 offset:14592
	s_wait_dscnt 0x0
	v_mul_f64_e32 v[2:3], v[204:205], v[208:209]
	s_delay_alu instid0(VALU_DEP_1) | instskip(SKIP_1) | instid1(VALU_DEP_2)
	v_fma_f64 v[2:3], v[202:203], v[206:207], -v[2:3]
	v_mul_f64_e32 v[202:203], v[202:203], v[208:209]
	v_add_f64_e32 v[16:17], v[16:17], v[2:3]
	s_delay_alu instid0(VALU_DEP_2) | instskip(NEXT) | instid1(VALU_DEP_1)
	v_fmac_f64_e32 v[202:203], v[204:205], v[206:207]
	v_add_f64_e32 v[18:19], v[18:19], v[202:203]
	s_or_b32 exec_lo, exec_lo, s19
	s_and_saveexec_b32 s19, s15
	s_cbranch_execz .LBB171_90
.LBB171_524:                            ;   in Loop: Header=BB171_3 Depth=1
	ds_load_b128 v[202:205], v60 offset:16336
	ds_load_b128 v[206:209], v59 offset:15104
	s_wait_dscnt 0x0
	v_mul_f64_e32 v[2:3], v[204:205], v[208:209]
	s_delay_alu instid0(VALU_DEP_1) | instskip(SKIP_1) | instid1(VALU_DEP_2)
	v_fma_f64 v[2:3], v[202:203], v[206:207], -v[2:3]
	v_mul_f64_e32 v[202:203], v[202:203], v[208:209]
	v_add_f64_e32 v[16:17], v[16:17], v[2:3]
	s_delay_alu instid0(VALU_DEP_2) | instskip(NEXT) | instid1(VALU_DEP_1)
	v_fmac_f64_e32 v[202:203], v[204:205], v[206:207]
	v_add_f64_e32 v[18:19], v[18:19], v[202:203]
	s_or_b32 exec_lo, exec_lo, s19
	s_and_saveexec_b32 s19, s4
	s_cbranch_execz .LBB171_91
.LBB171_525:                            ;   in Loop: Header=BB171_3 Depth=1
	ds_load_b128 v[202:205], v60 offset:16352
	ds_load_b128 v[206:209], v59 offset:15616
	s_wait_dscnt 0x0
	v_mul_f64_e32 v[2:3], v[204:205], v[208:209]
	s_delay_alu instid0(VALU_DEP_1) | instskip(SKIP_1) | instid1(VALU_DEP_2)
	v_fma_f64 v[2:3], v[202:203], v[206:207], -v[2:3]
	v_mul_f64_e32 v[202:203], v[202:203], v[208:209]
	v_add_f64_e32 v[16:17], v[16:17], v[2:3]
	s_delay_alu instid0(VALU_DEP_2) | instskip(NEXT) | instid1(VALU_DEP_1)
	v_fmac_f64_e32 v[202:203], v[204:205], v[206:207]
	v_add_f64_e32 v[18:19], v[18:19], v[202:203]
	s_or_b32 exec_lo, exec_lo, s19
	s_and_saveexec_b32 s19, s6
	s_cbranch_execnz .LBB171_92
	s_branch .LBB171_93
.LBB171_526:                            ;   in Loop: Header=BB171_3 Depth=1
	ds_load_b128 v[202:205], v56 offset:12112
	ds_load_b128 v[206:209], v55 offset:11008
	s_wait_dscnt 0x0
	v_mul_f64_e32 v[2:3], v[204:205], v[208:209]
	s_delay_alu instid0(VALU_DEP_1) | instskip(SKIP_1) | instid1(VALU_DEP_2)
	v_fma_f64 v[2:3], v[202:203], v[206:207], -v[2:3]
	v_mul_f64_e32 v[202:203], v[202:203], v[208:209]
	v_add_f64_e32 v[16:17], v[16:17], v[2:3]
	s_delay_alu instid0(VALU_DEP_2) | instskip(NEXT) | instid1(VALU_DEP_1)
	v_fmac_f64_e32 v[202:203], v[204:205], v[206:207]
	v_add_f64_e32 v[18:19], v[18:19], v[202:203]
	s_or_b32 exec_lo, exec_lo, s19
	s_and_saveexec_b32 s19, s6
	s_cbranch_execz .LBB171_149
.LBB171_527:                            ;   in Loop: Header=BB171_3 Depth=1
	ds_load_b128 v[202:205], v56 offset:12128
	ds_load_b128 v[206:209], v55 offset:11520
	s_wait_dscnt 0x0
	v_mul_f64_e32 v[2:3], v[204:205], v[208:209]
	s_delay_alu instid0(VALU_DEP_1) | instskip(SKIP_1) | instid1(VALU_DEP_2)
	v_fma_f64 v[2:3], v[202:203], v[206:207], -v[2:3]
	v_mul_f64_e32 v[202:203], v[202:203], v[208:209]
	v_add_f64_e32 v[16:17], v[16:17], v[2:3]
	s_delay_alu instid0(VALU_DEP_2) | instskip(NEXT) | instid1(VALU_DEP_1)
	v_fmac_f64_e32 v[202:203], v[204:205], v[206:207]
	v_add_f64_e32 v[18:19], v[18:19], v[202:203]
	s_or_b32 exec_lo, exec_lo, s19
	s_and_saveexec_b32 s19, s1
	s_cbranch_execnz .LBB171_150
	s_branch .LBB171_151
.LBB171_528:                            ;   in Loop: Header=BB171_3 Depth=1
	ds_load_b128 v[202:205], v72 offset:16304
	ds_load_b128 v[206:209], v71 offset:13824
	s_wait_dscnt 0x0
	v_mul_f64_e32 v[2:3], v[204:205], v[208:209]
	s_delay_alu instid0(VALU_DEP_1) | instskip(SKIP_1) | instid1(VALU_DEP_2)
	v_fma_f64 v[2:3], v[202:203], v[206:207], -v[2:3]
	v_mul_f64_e32 v[202:203], v[202:203], v[208:209]
	v_add_f64_e32 v[16:17], v[16:17], v[2:3]
	s_delay_alu instid0(VALU_DEP_2) | instskip(NEXT) | instid1(VALU_DEP_1)
	v_fmac_f64_e32 v[202:203], v[204:205], v[206:207]
	v_add_f64_e32 v[18:19], v[18:19], v[202:203]
	s_or_b32 exec_lo, exec_lo, s19
	s_and_saveexec_b32 s19, s7
	s_cbranch_execz .LBB171_211
.LBB171_529:                            ;   in Loop: Header=BB171_3 Depth=1
	ds_load_b128 v[202:205], v72 offset:16320
	ds_load_b128 v[206:209], v71 offset:14336
	s_wait_dscnt 0x0
	v_mul_f64_e32 v[2:3], v[204:205], v[208:209]
	s_delay_alu instid0(VALU_DEP_1) | instskip(SKIP_1) | instid1(VALU_DEP_2)
	v_fma_f64 v[2:3], v[202:203], v[206:207], -v[2:3]
	v_mul_f64_e32 v[202:203], v[202:203], v[208:209]
	v_add_f64_e32 v[16:17], v[16:17], v[2:3]
	s_delay_alu instid0(VALU_DEP_2) | instskip(NEXT) | instid1(VALU_DEP_1)
	v_fmac_f64_e32 v[202:203], v[204:205], v[206:207]
	v_add_f64_e32 v[18:19], v[18:19], v[202:203]
	s_or_b32 exec_lo, exec_lo, s19
	s_and_saveexec_b32 s19, s12
	s_cbranch_execz .LBB171_212
.LBB171_530:                            ;   in Loop: Header=BB171_3 Depth=1
	ds_load_b128 v[202:205], v72 offset:16336
	ds_load_b128 v[206:209], v71 offset:14848
	s_wait_dscnt 0x0
	v_mul_f64_e32 v[2:3], v[204:205], v[208:209]
	s_delay_alu instid0(VALU_DEP_1) | instskip(SKIP_1) | instid1(VALU_DEP_2)
	v_fma_f64 v[2:3], v[202:203], v[206:207], -v[2:3]
	v_mul_f64_e32 v[202:203], v[202:203], v[208:209]
	v_add_f64_e32 v[16:17], v[16:17], v[2:3]
	s_delay_alu instid0(VALU_DEP_2) | instskip(NEXT) | instid1(VALU_DEP_1)
	v_fmac_f64_e32 v[202:203], v[204:205], v[206:207]
	v_add_f64_e32 v[18:19], v[18:19], v[202:203]
	s_or_b32 exec_lo, exec_lo, s19
	s_and_saveexec_b32 s19, s14
	s_cbranch_execz .LBB171_213
.LBB171_531:                            ;   in Loop: Header=BB171_3 Depth=1
	ds_load_b128 v[202:205], v72 offset:16352
	ds_load_b128 v[206:209], v71 offset:15360
	s_wait_dscnt 0x0
	v_mul_f64_e32 v[2:3], v[204:205], v[208:209]
	s_delay_alu instid0(VALU_DEP_1) | instskip(SKIP_1) | instid1(VALU_DEP_2)
	v_fma_f64 v[2:3], v[202:203], v[206:207], -v[2:3]
	v_mul_f64_e32 v[202:203], v[202:203], v[208:209]
	v_add_f64_e32 v[16:17], v[16:17], v[2:3]
	s_delay_alu instid0(VALU_DEP_2) | instskip(NEXT) | instid1(VALU_DEP_1)
	v_fmac_f64_e32 v[202:203], v[204:205], v[206:207]
	v_add_f64_e32 v[18:19], v[18:19], v[202:203]
	s_or_b32 exec_lo, exec_lo, s19
	s_and_saveexec_b32 s19, s4
	s_cbranch_execnz .LBB171_214
	s_branch .LBB171_215
.LBB171_532:                            ;   in Loop: Header=BB171_3 Depth=1
	ds_load_b128 v[202:205], v56 offset:7888
	ds_load_b128 v[206:209], v55 offset:6784
	s_wait_dscnt 0x0
	v_mul_f64_e32 v[2:3], v[204:205], v[208:209]
	s_delay_alu instid0(VALU_DEP_1) | instskip(SKIP_1) | instid1(VALU_DEP_2)
	v_fma_f64 v[2:3], v[202:203], v[206:207], -v[2:3]
	v_mul_f64_e32 v[202:203], v[202:203], v[208:209]
	v_add_f64_e32 v[16:17], v[16:17], v[2:3]
	s_delay_alu instid0(VALU_DEP_2) | instskip(NEXT) | instid1(VALU_DEP_1)
	v_fmac_f64_e32 v[202:203], v[204:205], v[206:207]
	v_add_f64_e32 v[18:19], v[18:19], v[202:203]
	s_or_b32 exec_lo, exec_lo, s19
	s_and_saveexec_b32 s19, s6
	s_cbranch_execz .LBB171_303
.LBB171_533:                            ;   in Loop: Header=BB171_3 Depth=1
	ds_load_b128 v[202:205], v56 offset:7904
	ds_load_b128 v[206:209], v55 offset:7296
	s_wait_dscnt 0x0
	v_mul_f64_e32 v[2:3], v[204:205], v[208:209]
	s_delay_alu instid0(VALU_DEP_1) | instskip(SKIP_1) | instid1(VALU_DEP_2)
	v_fma_f64 v[2:3], v[202:203], v[206:207], -v[2:3]
	v_mul_f64_e32 v[202:203], v[202:203], v[208:209]
	v_add_f64_e32 v[16:17], v[16:17], v[2:3]
	s_delay_alu instid0(VALU_DEP_2) | instskip(NEXT) | instid1(VALU_DEP_1)
	v_fmac_f64_e32 v[202:203], v[204:205], v[206:207]
	v_add_f64_e32 v[18:19], v[18:19], v[202:203]
	s_or_b32 exec_lo, exec_lo, s19
	s_and_saveexec_b32 s19, s1
	s_cbranch_execnz .LBB171_304
	s_branch .LBB171_305
.LBB171_534:                            ;   in Loop: Header=BB171_3 Depth=1
	ds_load_b128 v[202:205], v60 offset:7824
	ds_load_b128 v[206:209], v59 offset:4608
	s_wait_dscnt 0x0
	v_mul_f64_e32 v[2:3], v[204:205], v[208:209]
	s_delay_alu instid0(VALU_DEP_1) | instskip(SKIP_1) | instid1(VALU_DEP_2)
	v_fma_f64 v[2:3], v[202:203], v[206:207], -v[2:3]
	v_mul_f64_e32 v[202:203], v[202:203], v[208:209]
	v_add_f64_e32 v[16:17], v[16:17], v[2:3]
	s_delay_alu instid0(VALU_DEP_2) | instskip(NEXT) | instid1(VALU_DEP_1)
	v_fmac_f64_e32 v[202:203], v[204:205], v[206:207]
	v_add_f64_e32 v[18:19], v[18:19], v[202:203]
	s_or_b32 exec_lo, exec_lo, s19
	s_and_saveexec_b32 s19, s12
	s_cbranch_execz .LBB171_345
.LBB171_535:                            ;   in Loop: Header=BB171_3 Depth=1
	ds_load_b128 v[202:205], v60 offset:7840
	ds_load_b128 v[206:209], v59 offset:5120
	s_wait_dscnt 0x0
	v_mul_f64_e32 v[2:3], v[204:205], v[208:209]
	s_delay_alu instid0(VALU_DEP_1) | instskip(SKIP_1) | instid1(VALU_DEP_2)
	v_fma_f64 v[2:3], v[202:203], v[206:207], -v[2:3]
	v_mul_f64_e32 v[202:203], v[202:203], v[208:209]
	v_add_f64_e32 v[16:17], v[16:17], v[2:3]
	s_delay_alu instid0(VALU_DEP_2) | instskip(NEXT) | instid1(VALU_DEP_1)
	v_fmac_f64_e32 v[202:203], v[204:205], v[206:207]
	v_add_f64_e32 v[18:19], v[18:19], v[202:203]
	s_or_b32 exec_lo, exec_lo, s19
	s_and_saveexec_b32 s19, s13
	s_cbranch_execz .LBB171_346
.LBB171_536:                            ;   in Loop: Header=BB171_3 Depth=1
	ds_load_b128 v[202:205], v60 offset:7856
	ds_load_b128 v[206:209], v59 offset:5632
	s_wait_dscnt 0x0
	v_mul_f64_e32 v[2:3], v[204:205], v[208:209]
	s_delay_alu instid0(VALU_DEP_1) | instskip(SKIP_1) | instid1(VALU_DEP_2)
	v_fma_f64 v[2:3], v[202:203], v[206:207], -v[2:3]
	v_mul_f64_e32 v[202:203], v[202:203], v[208:209]
	v_add_f64_e32 v[16:17], v[16:17], v[2:3]
	s_delay_alu instid0(VALU_DEP_2) | instskip(NEXT) | instid1(VALU_DEP_1)
	v_fmac_f64_e32 v[202:203], v[204:205], v[206:207]
	v_add_f64_e32 v[18:19], v[18:19], v[202:203]
	s_or_b32 exec_lo, exec_lo, s19
	s_and_saveexec_b32 s19, s14
	s_cbranch_execz .LBB171_347
.LBB171_537:                            ;   in Loop: Header=BB171_3 Depth=1
	ds_load_b128 v[202:205], v60 offset:7872
	ds_load_b128 v[206:209], v59 offset:6144
	s_wait_dscnt 0x0
	v_mul_f64_e32 v[2:3], v[204:205], v[208:209]
	s_delay_alu instid0(VALU_DEP_1) | instskip(SKIP_1) | instid1(VALU_DEP_2)
	v_fma_f64 v[2:3], v[202:203], v[206:207], -v[2:3]
	v_mul_f64_e32 v[202:203], v[202:203], v[208:209]
	v_add_f64_e32 v[16:17], v[16:17], v[2:3]
	s_delay_alu instid0(VALU_DEP_2) | instskip(NEXT) | instid1(VALU_DEP_1)
	v_fmac_f64_e32 v[202:203], v[204:205], v[206:207]
	v_add_f64_e32 v[18:19], v[18:19], v[202:203]
	s_or_b32 exec_lo, exec_lo, s19
	s_and_saveexec_b32 s19, s15
	s_cbranch_execz .LBB171_348
.LBB171_538:                            ;   in Loop: Header=BB171_3 Depth=1
	ds_load_b128 v[202:205], v60 offset:7888
	ds_load_b128 v[206:209], v59 offset:6656
	s_wait_dscnt 0x0
	v_mul_f64_e32 v[2:3], v[204:205], v[208:209]
	s_delay_alu instid0(VALU_DEP_1) | instskip(SKIP_1) | instid1(VALU_DEP_2)
	v_fma_f64 v[2:3], v[202:203], v[206:207], -v[2:3]
	v_mul_f64_e32 v[202:203], v[202:203], v[208:209]
	v_add_f64_e32 v[16:17], v[16:17], v[2:3]
	s_delay_alu instid0(VALU_DEP_2) | instskip(NEXT) | instid1(VALU_DEP_1)
	v_fmac_f64_e32 v[202:203], v[204:205], v[206:207]
	v_add_f64_e32 v[18:19], v[18:19], v[202:203]
	s_or_b32 exec_lo, exec_lo, s19
	s_and_saveexec_b32 s19, s4
	s_cbranch_execz .LBB171_349
.LBB171_539:                            ;   in Loop: Header=BB171_3 Depth=1
	ds_load_b128 v[202:205], v60 offset:7904
	ds_load_b128 v[206:209], v59 offset:7168
	s_wait_dscnt 0x0
	v_mul_f64_e32 v[2:3], v[204:205], v[208:209]
	s_delay_alu instid0(VALU_DEP_1) | instskip(SKIP_1) | instid1(VALU_DEP_2)
	v_fma_f64 v[2:3], v[202:203], v[206:207], -v[2:3]
	v_mul_f64_e32 v[202:203], v[202:203], v[208:209]
	v_add_f64_e32 v[16:17], v[16:17], v[2:3]
	s_delay_alu instid0(VALU_DEP_2) | instskip(NEXT) | instid1(VALU_DEP_1)
	v_fmac_f64_e32 v[202:203], v[204:205], v[206:207]
	v_add_f64_e32 v[18:19], v[18:19], v[202:203]
	s_or_b32 exec_lo, exec_lo, s19
	s_and_saveexec_b32 s19, s6
	s_cbranch_execnz .LBB171_350
	s_branch .LBB171_351
.LBB171_540:                            ;   in Loop: Header=BB171_3 Depth=1
	ds_load_b128 v[202:205], v56 offset:3664
	ds_load_b128 v[206:209], v55 offset:2560
	s_wait_dscnt 0x0
	v_mul_f64_e32 v[2:3], v[204:205], v[208:209]
	s_delay_alu instid0(VALU_DEP_1) | instskip(SKIP_1) | instid1(VALU_DEP_2)
	v_fma_f64 v[2:3], v[202:203], v[206:207], -v[2:3]
	v_mul_f64_e32 v[202:203], v[202:203], v[208:209]
	v_add_f64_e32 v[16:17], v[16:17], v[2:3]
	s_delay_alu instid0(VALU_DEP_2) | instskip(NEXT) | instid1(VALU_DEP_1)
	v_fmac_f64_e32 v[202:203], v[204:205], v[206:207]
	v_add_f64_e32 v[18:19], v[18:19], v[202:203]
	s_or_b32 exec_lo, exec_lo, s19
	s_and_saveexec_b32 s19, s6
	s_cbranch_execz .LBB171_407
.LBB171_541:                            ;   in Loop: Header=BB171_3 Depth=1
	ds_load_b128 v[202:205], v56 offset:3680
	ds_load_b128 v[206:209], v55 offset:3072
	s_wait_dscnt 0x0
	v_mul_f64_e32 v[2:3], v[204:205], v[208:209]
	s_delay_alu instid0(VALU_DEP_1) | instskip(SKIP_1) | instid1(VALU_DEP_2)
	v_fma_f64 v[2:3], v[202:203], v[206:207], -v[2:3]
	v_mul_f64_e32 v[202:203], v[202:203], v[208:209]
	v_add_f64_e32 v[16:17], v[16:17], v[2:3]
	s_delay_alu instid0(VALU_DEP_2) | instskip(NEXT) | instid1(VALU_DEP_1)
	v_fmac_f64_e32 v[202:203], v[204:205], v[206:207]
	v_add_f64_e32 v[18:19], v[18:19], v[202:203]
	s_or_b32 exec_lo, exec_lo, s19
	s_and_saveexec_b32 s19, s1
	s_cbranch_execnz .LBB171_408
	s_branch .LBB171_409
.LBB171_542:
	s_endpgm
	.section	.rodata,"a",@progbits
	.p2align	6, 0x0
	.amdhsa_kernel _ZL19rocblas_trsv_deviceILi32ELi16ELb0ELb1ELb1ELb1E19rocblas_complex_numIdEPKS1_PKS3_PKPS1_EviT7_lllT6_T8_lllPii
		.amdhsa_group_segment_fixed_size 25104
		.amdhsa_private_segment_fixed_size 0
		.amdhsa_kernarg_size 352
		.amdhsa_user_sgpr_count 2
		.amdhsa_user_sgpr_dispatch_ptr 0
		.amdhsa_user_sgpr_queue_ptr 0
		.amdhsa_user_sgpr_kernarg_segment_ptr 1
		.amdhsa_user_sgpr_dispatch_id 0
		.amdhsa_user_sgpr_kernarg_preload_length 0
		.amdhsa_user_sgpr_kernarg_preload_offset 0
		.amdhsa_user_sgpr_private_segment_size 0
		.amdhsa_wavefront_size32 1
		.amdhsa_uses_dynamic_stack 0
		.amdhsa_enable_private_segment 0
		.amdhsa_system_sgpr_workgroup_id_x 1
		.amdhsa_system_sgpr_workgroup_id_y 0
		.amdhsa_system_sgpr_workgroup_id_z 1
		.amdhsa_system_sgpr_workgroup_info 0
		.amdhsa_system_vgpr_workitem_id 1
		.amdhsa_next_free_vgpr 211
		.amdhsa_next_free_sgpr 105
		.amdhsa_named_barrier_count 0
		.amdhsa_reserve_vcc 1
		.amdhsa_float_round_mode_32 0
		.amdhsa_float_round_mode_16_64 0
		.amdhsa_float_denorm_mode_32 3
		.amdhsa_float_denorm_mode_16_64 3
		.amdhsa_fp16_overflow 0
		.amdhsa_memory_ordered 1
		.amdhsa_forward_progress 1
		.amdhsa_inst_pref_size 184
		.amdhsa_round_robin_scheduling 0
		.amdhsa_exception_fp_ieee_invalid_op 0
		.amdhsa_exception_fp_denorm_src 0
		.amdhsa_exception_fp_ieee_div_zero 0
		.amdhsa_exception_fp_ieee_overflow 0
		.amdhsa_exception_fp_ieee_underflow 0
		.amdhsa_exception_fp_ieee_inexact 0
		.amdhsa_exception_int_div_zero 0
	.end_amdhsa_kernel
	.section	.text._ZL19rocblas_trsv_deviceILi32ELi16ELb0ELb1ELb1ELb1E19rocblas_complex_numIdEPKS1_PKS3_PKPS1_EviT7_lllT6_T8_lllPii,"axG",@progbits,_ZL19rocblas_trsv_deviceILi32ELi16ELb0ELb1ELb1ELb1E19rocblas_complex_numIdEPKS1_PKS3_PKPS1_EviT7_lllT6_T8_lllPii,comdat
.Lfunc_end171:
	.size	_ZL19rocblas_trsv_deviceILi32ELi16ELb0ELb1ELb1ELb1E19rocblas_complex_numIdEPKS1_PKS3_PKPS1_EviT7_lllT6_T8_lllPii, .Lfunc_end171-_ZL19rocblas_trsv_deviceILi32ELi16ELb0ELb1ELb1ELb1E19rocblas_complex_numIdEPKS1_PKS3_PKPS1_EviT7_lllT6_T8_lllPii
                                        ; -- End function
	.set _ZL19rocblas_trsv_deviceILi32ELi16ELb0ELb1ELb1ELb1E19rocblas_complex_numIdEPKS1_PKS3_PKPS1_EviT7_lllT6_T8_lllPii.num_vgpr, 211
	.set _ZL19rocblas_trsv_deviceILi32ELi16ELb0ELb1ELb1ELb1E19rocblas_complex_numIdEPKS1_PKS3_PKPS1_EviT7_lllT6_T8_lllPii.num_agpr, 0
	.set _ZL19rocblas_trsv_deviceILi32ELi16ELb0ELb1ELb1ELb1E19rocblas_complex_numIdEPKS1_PKS3_PKPS1_EviT7_lllT6_T8_lllPii.numbered_sgpr, 105
	.set _ZL19rocblas_trsv_deviceILi32ELi16ELb0ELb1ELb1ELb1E19rocblas_complex_numIdEPKS1_PKS3_PKPS1_EviT7_lllT6_T8_lllPii.num_named_barrier, 0
	.set _ZL19rocblas_trsv_deviceILi32ELi16ELb0ELb1ELb1ELb1E19rocblas_complex_numIdEPKS1_PKS3_PKPS1_EviT7_lllT6_T8_lllPii.private_seg_size, 0
	.set _ZL19rocblas_trsv_deviceILi32ELi16ELb0ELb1ELb1ELb1E19rocblas_complex_numIdEPKS1_PKS3_PKPS1_EviT7_lllT6_T8_lllPii.uses_vcc, 1
	.set _ZL19rocblas_trsv_deviceILi32ELi16ELb0ELb1ELb1ELb1E19rocblas_complex_numIdEPKS1_PKS3_PKPS1_EviT7_lllT6_T8_lllPii.uses_flat_scratch, 0
	.set _ZL19rocblas_trsv_deviceILi32ELi16ELb0ELb1ELb1ELb1E19rocblas_complex_numIdEPKS1_PKS3_PKPS1_EviT7_lllT6_T8_lllPii.has_dyn_sized_stack, 0
	.set _ZL19rocblas_trsv_deviceILi32ELi16ELb0ELb1ELb1ELb1E19rocblas_complex_numIdEPKS1_PKS3_PKPS1_EviT7_lllT6_T8_lllPii.has_recursion, 0
	.set _ZL19rocblas_trsv_deviceILi32ELi16ELb0ELb1ELb1ELb1E19rocblas_complex_numIdEPKS1_PKS3_PKPS1_EviT7_lllT6_T8_lllPii.has_indirect_call, 0
	.section	.AMDGPU.csdata,"",@progbits
; Kernel info:
; codeLenInByte = 23512
; TotalNumSgprs: 107
; NumVgprs: 211
; ScratchSize: 0
; MemoryBound: 1
; FloatMode: 240
; IeeeMode: 1
; LDSByteSize: 25104 bytes/workgroup (compile time only)
; SGPRBlocks: 0
; VGPRBlocks: 13
; NumSGPRsForWavesPerEU: 107
; NumVGPRsForWavesPerEU: 211
; NamedBarCnt: 0
; Occupancy: 4
; WaveLimiterHint : 1
; COMPUTE_PGM_RSRC2:SCRATCH_EN: 0
; COMPUTE_PGM_RSRC2:USER_SGPR: 2
; COMPUTE_PGM_RSRC2:TRAP_HANDLER: 0
; COMPUTE_PGM_RSRC2:TGID_X_EN: 1
; COMPUTE_PGM_RSRC2:TGID_Y_EN: 0
; COMPUTE_PGM_RSRC2:TGID_Z_EN: 1
; COMPUTE_PGM_RSRC2:TIDIG_COMP_CNT: 1
	.section	.text._ZL19rocblas_trsv_deviceILi32ELi16ELb0ELb0ELb0ELb0E19rocblas_complex_numIdEPKS1_PKS3_PKPS1_EviT7_lllT6_T8_lllPii,"axG",@progbits,_ZL19rocblas_trsv_deviceILi32ELi16ELb0ELb0ELb0ELb0E19rocblas_complex_numIdEPKS1_PKS3_PKPS1_EviT7_lllT6_T8_lllPii,comdat
	.globl	_ZL19rocblas_trsv_deviceILi32ELi16ELb0ELb0ELb0ELb0E19rocblas_complex_numIdEPKS1_PKS3_PKPS1_EviT7_lllT6_T8_lllPii ; -- Begin function _ZL19rocblas_trsv_deviceILi32ELi16ELb0ELb0ELb0ELb0E19rocblas_complex_numIdEPKS1_PKS3_PKPS1_EviT7_lllT6_T8_lllPii
	.p2align	8
	.type	_ZL19rocblas_trsv_deviceILi32ELi16ELb0ELb0ELb0ELb0E19rocblas_complex_numIdEPKS1_PKS3_PKPS1_EviT7_lllT6_T8_lllPii,@function
_ZL19rocblas_trsv_deviceILi32ELi16ELb0ELb0ELb0ELb0E19rocblas_complex_numIdEPKS1_PKS3_PKPS1_EviT7_lllT6_T8_lllPii: ; @_ZL19rocblas_trsv_deviceILi32ELi16ELb0ELb0ELb0ELb0E19rocblas_complex_numIdEPKS1_PKS3_PKPS1_EviT7_lllT6_T8_lllPii
; %bb.0:
	s_load_b32 s37, s[0:1], 0x58
	s_bfe_u32 s2, ttmp6, 0x40014
	s_lshr_b32 s3, ttmp7, 16
	s_add_co_i32 s2, s2, 1
	s_bfe_u32 s5, ttmp6, 0x40008
	s_mul_i32 s4, s3, s2
	s_getreg_b32 s2, hwreg(HW_REG_IB_STS2, 6, 4)
	s_add_co_i32 s5, s5, s4
	s_cmp_eq_u32 s2, 0
	s_mov_b32 s39, 0
	s_cselect_b32 s38, s3, s5
	s_wait_kmcnt 0x0
	s_cmp_ge_u32 s38, s37
	s_cbranch_scc1 .LBB172_544
; %bb.1:
	s_clause 0x2
	s_load_b32 s3, s[0:1], 0x6c
	s_load_b32 s63, s[0:1], 0x60
	;; [unrolled: 1-line block ×3, first 2 shown]
	s_bfe_u32 s5, ttmp6, 0x4000c
	s_and_b32 s4, ttmp6, 15
	s_add_co_i32 s5, s5, 1
	s_clause 0x1
	s_load_b64 s[54:55], s[0:1], 0x18
	s_load_b128 s[48:51], s[0:1], 0x8
	s_mul_i32 s5, ttmp9, s5
	s_load_b256 s[40:47], s[0:1], 0x28
	s_add_co_i32 s4, s4, s5
	s_cmp_eq_u32 s2, 0
	s_load_b64 s[56:57], s[0:1], 0x50
	s_cselect_b32 s62, ttmp9, s4
	v_bfe_u32 v44, v0, 10, 10
	v_and_b32_e32 v26, 0x3ff, v0
	v_dual_mov_b32 v2, 0 :: v_dual_lshrrev_b32 v1, 10, v0
                                        ; implicit-def: $vgpr76 : SGPR spill to VGPR lane
	s_delay_alu instid0(VALU_DEP_3)
	v_lshl_add_u32 v62, v44, 4, 0x6000
	s_wait_kmcnt 0x0
	s_and_b32 s2, s3, 0xffff
	s_add_co_i32 s63, s63, -1
	s_add_co_i32 s0, s52, -1
	s_ashr_i32 s53, s52, 31
	s_ashr_i32 s1, s0, 31
	s_lshr_b32 s3, s53, 27
	s_lshr_b32 s1, s1, 27
	s_add_co_i32 s3, s52, s3
	s_add_co_i32 s0, s0, s1
	s_and_not1_b32 s3, s3, 31
	s_sub_co_i32 s91, s63, s62
	s_ashr_i32 s0, s0, 5
	s_sub_co_i32 s13, s52, s3
	s_cmp_eq_u32 s0, s91
	v_lshl_add_u32 v3, v44, 5, v26
	s_cselect_b32 s0, -1, 0
	s_cmp_lg_u32 s13, 0
	v_dual_mov_b32 v29, v2 :: v_dual_mov_b32 v27, v2
	s_cselect_b32 s1, -1, 0
	v_bitop3_b32 v12, v0, v1, 0x3ff bitop3:0xa8
	s_and_b32 s11, s1, s0
	s_add_nc_u64 s[0:1], s[54:55], 1
	s_xor_b32 s64, s11, -1
	s_cmp_lg_u32 s62, 0
	v_and_b32_e32 v1, 1, v0
	s_cselect_b32 s65, -1, 0
	s_lshl_b32 s14, s91, 5
	s_delay_alu instid0(SALU_CYCLE_1)
	v_dual_lshrrev_b32 v8, 1, v3 :: v_dual_add_nc_u32 v10, s14, v44
	v_mad_nc_u64_u32 v[4:5], s0, s14, v[26:27]
	v_add_nc_u32_e32 v30, s14, v26
	s_ashr_i32 s15, s14, 31
	v_mad_u32_u24 v28, v44, s2, v26
	v_add_nc_u32_e32 v6, 32, v10
	s_mul_i32 s1, s1, s14
	s_mul_i32 s2, s0, s15
	v_lshl_add_u32 v27, v8, 4, 0x4000
	s_delay_alu instid0(VALU_DEP_2)
	v_dual_lshlrev_b32 v45, 4, v1 :: v_dual_ashrrev_i32 v7, 31, v6
	v_cmp_eq_u32_e64 s4, 1, v1
	v_add3_u32 v5, s2, s1, v5
	v_cmp_gt_u32_e64 s2, 4, v3
	v_cmp_eq_u32_e64 s5, 0, v1
	v_mul_u64_e32 v[32:33], s[54:55], v[6:7]
	v_dual_lshlrev_b32 v7, 9, v8 :: v_dual_lshlrev_b32 v47, 4, v26
	v_dual_lshrrev_b32 v1, 2, v3 :: v_dual_bitop2_b32 v8, 3, v0 bitop3:0x40
	s_cmp_gt_i32 s62, 4
	s_delay_alu instid0(VALU_DEP_2)
	v_dual_ashrrev_i32 v31, 31, v30 :: v_dual_sub_nc_u32 v46, 0, v7
	s_cselect_b32 s3, -1, 0
	s_and_b32 s67, s4, s2
	s_and_b32 s68, s5, s2
	v_dual_sub_nc_u32 v48, v45, v7 :: v_dual_lshlrev_b32 v7, 9, v1
	v_lshlrev_b32_e32 v50, 4, v8
	v_cmp_gt_u32_e64 s4, 16, v3
	v_cmp_eq_u32_e64 s5, 3, v8
	v_cmp_ne_u32_e64 s6, 3, v8
	v_sub_nc_u32_e32 v51, 0, v7
	v_cmp_eq_u32_e64 s7, 1, v8
	v_cmp_eq_u32_e64 s8, 0, v8
	s_and_b32 s69, s5, s4
	v_cmp_eq_u32_e64 s5, 2, v8
	s_and_b32 s70, s6, s4
	v_cmp_gt_u32_e64 s6, 2, v8
	v_and_b32_e32 v8, 7, v0
	s_and_b32 s73, s7, s4
	s_and_b32 s71, s5, s4
	v_cmp_gt_u32_e64 s5, 64, v3
	s_and_b32 s72, s6, s4
	v_cmp_eq_u32_e64 s6, 7, v8
	v_cmp_ne_u32_e64 s7, 7, v8
	v_lshl_add_u32 v49, v1, 4, 0x4000
	v_dual_lshrrev_b32 v1, 3, v3 :: v_dual_lshlrev_b32 v54, 4, v8
	s_and_b32 s74, s8, s4
	v_cmp_eq_u32_e64 s8, 6, v8
	s_and_b32 s75, s6, s5
	s_and_b32 s76, s7, s5
	v_cmp_eq_u32_e64 s6, 5, v8
	v_cmp_gt_u32_e64 s7, 5, v8
	v_dual_lshlrev_b32 v9, 9, v1 :: v_dual_sub_nc_u32 v52, v50, v7
	s_and_b32 s77, s8, s5
	v_cmp_eq_u32_e64 s8, 4, v8
	s_and_b32 s79, s6, s5
	s_and_b32 s80, s7, s5
	v_cmp_gt_u32_e64 s6, 3, v8
	v_cmp_eq_u32_e64 s7, 2, v8
	v_dual_sub_nc_u32 v56, v54, v9 :: v_dual_bitop2_b32 v0, 15, v0 bitop3:0x40
	v_cmp_gt_u32_e64 s9, 6, v8
	s_and_b32 s81, s8, s5
	v_cmp_gt_u32_e64 s8, 2, v8
	s_and_b32 s84, s6, s5
	s_and_b32 s85, s7, s5
	v_cmp_gt_u32_e64 s6, 0x100, v3
	v_cmp_eq_u32_e64 s7, 15, v0
	s_and_b32 s78, s9, s5
	v_cmp_gt_u32_e64 s9, 4, v8
	s_and_b32 s86, s8, s5
	v_cmp_ne_u32_e64 s8, 15, v0
	s_and_b32 s7, s7, s6
	v_cmp_eq_u32_e64 s10, 3, v8
	v_writelane_b32 v76, s7, 0
	s_and_b32 s82, s9, s5
	v_cmp_eq_u32_e64 s9, 1, v8
	v_cmp_eq_u32_e64 s7, 14, v0
	s_and_b32 s8, s8, s6
	s_and_b32 s83, s10, s5
	v_writelane_b32 v76, s8, 1
	s_and_b32 s87, s9, s5
	v_cmp_gt_u32_e64 s9, 14, v0
	s_and_b32 s7, s7, s6
	v_cmp_eq_u32_e64 s10, 0, v8
	v_writelane_b32 v76, s7, 2
	v_cmp_eq_u32_e64 s8, 13, v0
	s_and_b32 s7, s9, s6
	v_cmp_eq_u32_e64 s9, 11, v0
	s_and_b32 s88, s10, s5
	v_writelane_b32 v76, s7, 3
	v_cmp_gt_u32_e64 s10, 13, v0
	s_and_b32 s8, s8, s6
	v_cmp_eq_u32_e64 s7, 12, v0
	v_cmp_le_i32_e64 s12, s13, v26
	v_writelane_b32 v76, s8, 4
	s_and_b32 s8, s10, s6
	v_cmp_eq_u32_e64 s10, 10, v0
	s_and_b32 s7, s7, s6
	s_and_b32 s36, s12, s11
	v_writelane_b32 v76, s8, 5
	v_cmp_gt_u32_e64 s8, 12, v0
	v_cmp_gt_i32_e32 vcc_lo, s13, v26
	s_and_b32 s66, s3, s64
	v_lshl_add_u32 v53, v1, 4, 0x4000
	v_writelane_b32 v76, s7, 6
	s_and_b32 s8, s8, s6
	v_cmp_gt_u32_e64 s7, 11, v0
	v_dual_sub_nc_u32 v55, 0, v9 :: v_dual_lshlrev_b32 v1, 5, v3
	v_writelane_b32 v76, s8, 7
	s_and_b32 s8, s9, s6
	s_and_b32 s7, s7, s6
	v_cmp_gt_u32_e64 s9, 9, v0
	v_cmp_gt_i32_e64 s0, s52, v30
	v_writelane_b32 v76, s8, 8
	v_cmp_gt_u32_e64 s8, 10, v0
	v_and_b32_e32 v1, 0xfffffe00, v1
	s_and_b32 s102, s9, s6
	v_cmp_eq_u32_e64 s9, 6, v0
	v_writelane_b32 v76, s7, 9
	s_and_b32 s7, s10, s6
	s_and_b32 s8, s8, s6
	v_cmp_gt_u32_e64 s10, 8, v0
	s_and_b32 s20, s9, s6
	v_writelane_b32 v76, s7, 10
	v_cmp_eq_u32_e64 s7, 9, v0
	v_cmp_gt_u32_e64 s9, 4, v0
	s_and_b32 s104, s10, s6
	v_cmp_eq_u32_e64 s10, 5, v0
	v_writelane_b32 v76, s8, 11
	v_cmp_eq_u32_e64 s8, 8, v0
	s_and_b32 s101, s7, s6
	v_cmp_eq_u32_e64 s7, 7, v0
	s_and_b32 s22, s10, s6
	v_cmp_gt_u32_e64 s10, 3, v0
	s_and_b32 s103, s8, s6
	v_cmp_gt_u32_e64 s8, 7, v0
	s_and_b32 vcc_hi, s7, s6
	v_cmp_gt_u32_e64 s7, 6, v0
	s_and_b32 s25, s9, s6
	s_and_b32 s27, s10, s6
	;; [unrolled: 1-line block ×3, first 2 shown]
	v_cmp_gt_u32_e64 s8, 5, v0
	s_and_b32 s21, s7, s6
	v_cmp_eq_u32_e64 s7, 4, v0
	v_cmp_eq_u32_e64 s9, 1, v0
	;; [unrolled: 1-line block ×3, first 2 shown]
	s_and_b32 s23, s8, s6
	v_cmp_eq_u32_e64 s8, 3, v0
	s_and_b32 s24, s7, s6
	v_cmp_eq_u32_e64 s7, 2, v0
	s_and_b32 s35, s9, s6
	s_and_b32 s11, s10, s6
	;; [unrolled: 1-line block ×3, first 2 shown]
	v_cmp_gt_u32_e64 s8, 2, v0
	s_and_b32 s28, s7, s6
	v_cmp_eq_u32_e64 s7, 0, v44
	v_dual_lshlrev_b32 v58, 4, v0 :: v_dual_sub_nc_u32 v59, 0, v1
	s_and_b32 s29, s8, s6
	s_xor_b32 s8, s36, -1
	v_add_nc_u64_e32 v[8:9], s[14:15], v[28:29]
	s_and_b32 s89, s7, s8
	s_cmp_gt_i32 s62, 0
	v_cmp_gt_i32_e64 s8, s52, v6
	s_cselect_b32 s90, -1, 0
	s_and_b32 s10, s7, vcc_lo
	v_cmp_ne_u32_e64 s15, v26, v44
	v_writelane_b32 v76, s10, 12
	v_cmp_le_i32_e32 vcc_lo, s13, v44
	s_and_b32 s92, s0, s8
	v_cmp_le_u32_e64 s8, v44, v26
	s_movk_i32 s14, 0x3c00
	v_dual_sub_nc_u32 v60, v58, v1 :: v_dual_add_nc_u32 v13, 16, v44
	v_writelane_b32 v76, s15, 13
	v_mad_u32_u24 v68, 0x210, v26, s14
	s_or_b32 s14, vcc_lo, s12
	v_cmp_gt_u32_e64 s30, 0xf0, v3
	s_or_b32 s93, s14, s8
	s_or_b32 s14, s12, s15
	v_cmp_ne_u32_e64 s16, v26, v13
	v_writelane_b32 v76, s14, 14
	v_cmp_le_i32_e64 s13, s13, v13
	v_mul_u64_e32 v[0:1], s[46:47], v[30:31]
	v_mul_u64_e32 v[34:35], s[46:47], v[8:9]
	v_mad_nc_u64_u32 v[36:37], s54, v44, v[4:5]
	v_writelane_b32 v76, s16, 15
	s_or_b32 s13, s13, s12
	s_or_b32 s12, s12, s16
	v_lshlrev_b32_e32 v8, 9, v26
	v_mul_u32_u24_e32 v66, 0x210, v26
	v_writelane_b32 v76, s12, 16
	v_mad_nc_u64_u32 v[38:39], s54, v13, v[4:5]
	v_and_b32_e32 v7, 0x7ff0, v3
	v_add_nc_u32_e32 v65, v62, v47
	v_sub_nc_u32_e32 v4, v66, v8
	v_writelane_b32 v76, s30, 17
	v_cmp_gt_u32_e64 s30, 0xe0, v3
	v_add_nc_u32_e32 v57, 0x4000, v7
	v_add_nc_u32_e32 v7, 48, v10
	v_lshl_add_u32 v69, v13, 9, v4
	v_or_b32_e32 v4, v13, v26
	v_writelane_b32 v76, s30, 18
	v_cmp_gt_u32_e64 s30, 0xd0, v3
	v_cmp_gt_u32_e64 s58, 32, v12
	v_mad_u32 v37, s55, v44, v37
	v_mad_u32 v39, s55, v13, v39
	v_cmp_le_u32_e64 s10, v13, v26
	v_writelane_b32 v76, s30, 19
	v_cmp_gt_u32_e64 s30, 0xc0, v3
	v_cmp_gt_i32_e64 s9, s52, v7
	v_cmp_eq_u32_e64 s1, 0, v12
	v_cmp_gt_u32_e64 s3, 2, v3
	v_lshl_add_u32 v61, v28, 4, 0x6000
	v_writelane_b32 v76, s30, 20
	v_cmp_gt_u32_e64 s30, 0xb0, v3
	v_lshl_add_u32 v29, v3, 4, 0x4000
	v_add_nc_u32_e32 v63, 0x4000, v47
	v_lshl_add_u32 v64, v44, 9, v47
	v_sub_nc_u32_e32 v67, 0, v8
	v_writelane_b32 v76, s30, 21
	v_cmp_gt_u32_e64 s30, 0xa0, v3
	s_or_b32 s94, s13, s10
	v_cmp_gt_u32_e64 s12, 12, v3
	v_cmp_gt_u32_e64 s13, 8, v3
	;; [unrolled: 1-line block ×3, first 2 shown]
	v_writelane_b32 v76, s30, 22
	v_cmp_gt_u32_e64 s30, 0x90, v3
	v_cmp_gt_u32_e64 s15, 48, v3
	;; [unrolled: 1-line block ×5, first 2 shown]
	v_writelane_b32 v76, s30, 23
	v_cmp_gt_u32_e64 s30, 0x80, v3
	v_cmp_gt_u32_e64 s31, 32, v28
	v_cmp_le_u32_e64 s33, v26, v44
	v_cmp_le_u32_e64 s34, v26, v13
	s_add_co_i32 s91, s91, 1
	v_writelane_b32 v76, s30, 24
	v_cmp_gt_u32_e64 s30, 0x70, v3
	s_and_b32 s9, s0, s9
	s_lshl_b64 s[50:51], s[50:51], 4
	s_lshl_b64 s[44:45], s[44:45], 4
                                        ; implicit-def: $vgpr6_vgpr7
                                        ; implicit-def: $vgpr10_vgpr11
	v_writelane_b32 v76, s30, 25
	v_cmp_gt_u32_e64 s30, 0x60, v3
	s_delay_alu instid0(VALU_DEP_1) | instskip(SKIP_1) | instid1(VALU_DEP_1)
	v_writelane_b32 v76, s30, 26
	v_cmp_gt_u32_e64 s30, 0x50, v3
	v_writelane_b32 v76, s30, 27
	v_cmp_eq_u32_e64 s30, 0, v28
	v_writelane_b32 v76, s58, 28
	v_cmp_gt_u32_e64 s58, 32, v4
	s_delay_alu instid0(VALU_DEP_1)
	v_writelane_b32 v76, s58, 29
	s_lshl_b64 s[58:59], s[54:55], 8
	s_branch .LBB172_3
.LBB172_2:                              ;   in Loop: Header=BB172_3 Depth=1
	s_wait_xcnt 0x0
	s_or_b32 exec_lo, exec_lo, s60
	s_add_co_i32 s38, s38, 0x10000
	global_wb scope:SCOPE_DEV
	s_wait_storecnt 0x0
	global_inv scope:SCOPE_DEV
	s_cmp_lt_u32 s38, s37
	s_cbranch_scc0 .LBB172_544
.LBB172_3:                              ; =>This Loop Header: Depth=1
                                        ;     Child Loop BB172_425 Depth 2
                                        ;       Child Loop BB172_427 Depth 3
                                        ;     Child Loop BB172_458 Depth 2
	v_mov_b32_e32 v3, s38
	s_and_not1_b32 vcc_lo, exec_lo, s65
	s_clause 0x1
	global_load_b64 v[4:5], v3, s[48:49] scale_offset
	global_load_b64 v[42:43], v3, s[42:43] scale_offset
	global_load_b128 v[14:17], v2, s[40:41]
	s_wait_loadcnt 0x2
	v_add_nc_u64_e32 v[40:41], s[50:51], v[4:5]
	s_cbranch_vccnz .LBB172_9
; %bb.4:                                ;   in Loop: Header=BB172_3 Depth=1
	s_delay_alu instid0(VALU_DEP_1)
	v_lshl_add_u64 v[4:5], v[32:33], 4, v[40:41]
	v_mov_b64_e32 v[12:13], 0
	v_mov_b64_e32 v[6:7], 0
	v_mov_b64_e32 v[8:9], 0
	s_wait_loadcnt 0x0
	v_lshl_add_u64 v[4:5], v[30:31], 4, v[4:5]
	s_barrier_signal -1
	s_barrier_wait -1
	s_wait_xcnt 0x0
	s_and_saveexec_b32 s60, s92
	s_cbranch_execz .LBB172_6
; %bb.5:                                ;   in Loop: Header=BB172_3 Depth=1
	flat_load_b128 v[6:9], v[4:5]
.LBB172_6:                              ;   in Loop: Header=BB172_3 Depth=1
	s_wait_xcnt 0x0
	s_or_b32 exec_lo, exec_lo, s60
	v_mov_b64_e32 v[10:11], 0
	s_wait_loadcnt_dscnt 0x0
	s_barrier_signal -1
	s_barrier_wait -1
	s_and_saveexec_b32 s60, s9
	s_cbranch_execz .LBB172_8
; %bb.7:                                ;   in Loop: Header=BB172_3 Depth=1
	v_add_nc_u64_e32 v[4:5], s[58:59], v[4:5]
	flat_load_b128 v[10:13], v[4:5]
.LBB172_8:                              ;   in Loop: Header=BB172_3 Depth=1
	s_wait_xcnt 0x0
	s_or_b32 exec_lo, exec_lo, s60
.LBB172_9:                              ;   in Loop: Header=BB172_3 Depth=1
	s_delay_alu instid0(SALU_CYCLE_1)
	s_and_not1_b32 vcc_lo, exec_lo, s64
	s_mov_b32 s60, -1
	s_cbranch_vccnz .LBB172_17
; %bb.10:                               ;   in Loop: Header=BB172_3 Depth=1
	s_mov_b32 s61, 0
                                        ; implicit-def: $vgpr20_vgpr21
	s_wait_xcnt 0x0
	s_and_saveexec_b32 s60, s8
	s_delay_alu instid0(SALU_CYCLE_1)
	s_xor_b32 s60, exec_lo, s60
	s_cbranch_execnz .LBB172_472
; %bb.11:                               ;   in Loop: Header=BB172_3 Depth=1
	s_and_not1_saveexec_b32 s60, s60
	s_cbranch_execnz .LBB172_481
.LBB172_12:                             ;   in Loop: Header=BB172_3 Depth=1
	s_or_b32 exec_lo, exec_lo, s60
	s_and_saveexec_b32 s60, s61
	s_cbranch_execnz .LBB172_482
.LBB172_13:                             ;   in Loop: Header=BB172_3 Depth=1
	s_or_b32 exec_lo, exec_lo, s60
	s_and_saveexec_b32 s60, s10
	s_delay_alu instid0(SALU_CYCLE_1)
	s_xor_b32 s60, exec_lo, s60
	s_cbranch_execnz .LBB172_483
.LBB172_14:                             ;   in Loop: Header=BB172_3 Depth=1
	s_and_not1_saveexec_b32 s60, s60
	s_cbranch_execz .LBB172_16
.LBB172_15:                             ;   in Loop: Header=BB172_3 Depth=1
	v_lshl_add_u64 v[4:5], v[38:39], 4, v[40:41]
	flat_load_b128 v[18:21], v[4:5]
	s_wait_loadcnt_dscnt 0x0
	v_xor_b32_e32 v19, 0x80000000, v19
	v_xor_b32_e32 v21, 0x80000000, v21
	ds_store_b128 v69, v[18:21]
.LBB172_16:                             ;   in Loop: Header=BB172_3 Depth=1
	s_or_b32 exec_lo, exec_lo, s60
	s_mov_b32 s60, 0
.LBB172_17:                             ;   in Loop: Header=BB172_3 Depth=1
	s_delay_alu instid0(SALU_CYCLE_1)
	s_and_b32 vcc_lo, exec_lo, s60
	s_cbranch_vccz .LBB172_25
; %bb.18:                               ;   in Loop: Header=BB172_3 Depth=1
	s_mov_b32 s61, 0
                                        ; implicit-def: $vgpr20_vgpr21
	s_wait_xcnt 0x0
	s_and_saveexec_b32 s60, s93
	s_delay_alu instid0(SALU_CYCLE_1)
	s_xor_b32 s60, exec_lo, s60
	s_cbranch_execnz .LBB172_494
; %bb.19:                               ;   in Loop: Header=BB172_3 Depth=1
	s_and_not1_saveexec_b32 s60, s60
	s_cbranch_execnz .LBB172_503
.LBB172_20:                             ;   in Loop: Header=BB172_3 Depth=1
	s_or_b32 exec_lo, exec_lo, s60
	s_and_saveexec_b32 s60, s61
	s_cbranch_execnz .LBB172_504
.LBB172_21:                             ;   in Loop: Header=BB172_3 Depth=1
	s_or_b32 exec_lo, exec_lo, s60
	s_and_saveexec_b32 s60, s94
	s_delay_alu instid0(SALU_CYCLE_1)
	s_xor_b32 s60, exec_lo, s60
	s_cbranch_execnz .LBB172_505
.LBB172_22:                             ;   in Loop: Header=BB172_3 Depth=1
	s_and_not1_saveexec_b32 s60, s60
	s_cbranch_execz .LBB172_24
.LBB172_23:                             ;   in Loop: Header=BB172_3 Depth=1
	v_lshl_add_u64 v[4:5], v[38:39], 4, v[40:41]
	flat_load_b128 v[18:21], v[4:5]
	s_wait_loadcnt_dscnt 0x0
	v_xor_b32_e32 v19, 0x80000000, v19
	v_xor_b32_e32 v21, 0x80000000, v21
	ds_store_b128 v69, v[18:21]
.LBB172_24:                             ;   in Loop: Header=BB172_3 Depth=1
	s_or_b32 exec_lo, exec_lo, s60
.LBB172_25:                             ;   in Loop: Header=BB172_3 Depth=1
	s_delay_alu instid0(SALU_CYCLE_1)
	s_and_not1_b32 vcc_lo, exec_lo, s66
	s_wait_loadcnt_dscnt 0x0
	s_barrier_signal -1
	s_barrier_wait -1
	s_cbranch_vccnz .LBB172_419
; %bb.26:                               ;   in Loop: Header=BB172_3 Depth=1
	s_wait_xcnt 0x0
	s_and_saveexec_b32 s60, s1
	s_cbranch_execz .LBB172_28
; %bb.27:                               ;   in Loop: Header=BB172_3 Depth=1
	ds_load_b128 v[18:21], v2 offset:16368
	ds_load_b128 v[22:25], v2 offset:15840
	;; [unrolled: 1-line block ×3, first 2 shown]
	s_wait_dscnt 0x1
	v_mul_f64_e32 v[4:5], v[18:19], v[24:25]
	v_mul_f64_e32 v[24:25], v[20:21], v[24:25]
	s_delay_alu instid0(VALU_DEP_2) | instskip(NEXT) | instid1(VALU_DEP_2)
	v_fmac_f64_e32 v[4:5], v[20:21], v[22:23]
	v_fma_f64 v[18:19], v[18:19], v[22:23], -v[24:25]
	s_wait_dscnt 0x0
	s_delay_alu instid0(VALU_DEP_2) | instskip(NEXT) | instid1(VALU_DEP_2)
	v_mul_f64_e32 v[22:23], v[4:5], v[72:73]
	v_mul_f64_e32 v[20:21], v[18:19], v[72:73]
	s_delay_alu instid0(VALU_DEP_2) | instskip(NEXT) | instid1(VALU_DEP_2)
	v_fma_f64 v[18:19], v[70:71], v[18:19], -v[22:23]
	v_fmac_f64_e32 v[20:21], v[70:71], v[4:5]
	ds_store_b128 v2, v[18:21] offset:16352
.LBB172_28:                             ;   in Loop: Header=BB172_3 Depth=1
	s_or_b32 exec_lo, exec_lo, s60
	v_mov_b64_e32 v[18:19], 0
	v_mov_b64_e32 v[20:21], 0
	s_wait_dscnt 0x0
	s_barrier_signal -1
	s_barrier_wait -1
	global_wb scope:SCOPE_DEV
	s_wait_storecnt 0x0
	global_inv scope:SCOPE_DEV
	s_and_saveexec_b32 s60, s2
	s_cbranch_execz .LBB172_32
; %bb.29:                               ;   in Loop: Header=BB172_3 Depth=1
	ds_load_b128 v[18:21], v46 offset:16352
	ds_load_b128 v[22:25], v45 offset:15808
	s_wait_dscnt 0x0
	v_mul_f64_e32 v[4:5], v[20:21], v[24:25]
	v_mul_f64_e32 v[24:25], v[18:19], v[24:25]
	s_delay_alu instid0(VALU_DEP_2) | instskip(NEXT) | instid1(VALU_DEP_2)
	v_fma_f64 v[4:5], v[18:19], v[22:23], -v[4:5]
	v_fmac_f64_e32 v[24:25], v[20:21], v[22:23]
	s_delay_alu instid0(VALU_DEP_2) | instskip(NEXT) | instid1(VALU_DEP_2)
	v_add_f64_e32 v[18:19], 0, v[4:5]
	v_add_f64_e32 v[20:21], 0, v[24:25]
	s_and_saveexec_b32 s61, s3
	s_cbranch_execz .LBB172_31
; %bb.30:                               ;   in Loop: Header=BB172_3 Depth=1
	ds_load_b128 v[22:25], v2 offset:16368
	ds_load_b128 v[70:73], v47 offset:16320
	s_wait_dscnt 0x0
	v_mul_f64_e32 v[4:5], v[24:25], v[72:73]
	v_mul_f64_e32 v[72:73], v[22:23], v[72:73]
	s_delay_alu instid0(VALU_DEP_2) | instskip(NEXT) | instid1(VALU_DEP_2)
	v_fma_f64 v[4:5], v[22:23], v[70:71], -v[4:5]
	v_fmac_f64_e32 v[72:73], v[24:25], v[70:71]
	s_delay_alu instid0(VALU_DEP_2) | instskip(NEXT) | instid1(VALU_DEP_2)
	v_add_f64_e32 v[18:19], v[18:19], v[4:5]
	v_add_f64_e32 v[20:21], v[20:21], v[72:73]
.LBB172_31:                             ;   in Loop: Header=BB172_3 Depth=1
	s_or_b32 exec_lo, exec_lo, s61
.LBB172_32:                             ;   in Loop: Header=BB172_3 Depth=1
	s_delay_alu instid0(SALU_CYCLE_1)
	s_or_b32 exec_lo, exec_lo, s60
	s_and_saveexec_b32 s60, s67
	s_cbranch_execz .LBB172_34
; %bb.33:                               ;   in Loop: Header=BB172_3 Depth=1
	ds_load_b128 v[22:25], v2 offset:15312
	s_wait_dscnt 0x0
	v_mul_f64_e32 v[70:71], v[18:19], v[24:25]
	s_delay_alu instid0(VALU_DEP_1) | instskip(NEXT) | instid1(VALU_DEP_1)
	v_fmac_f64_e32 v[70:71], v[20:21], v[22:23]
	v_dual_mul_f64 v[4:5], v[20:21], v[24:25] :: v_dual_mov_b32 v24, v70
	s_delay_alu instid0(VALU_DEP_1) | instskip(NEXT) | instid1(VALU_DEP_3)
	v_fma_f64 v[4:5], v[18:19], v[22:23], -v[4:5]
	v_mov_b64_e32 v[20:21], v[70:71]
	v_xor_b32_e32 v25, 0x80000000, v71
	s_delay_alu instid0(VALU_DEP_3)
	v_mov_b64_e32 v[18:19], v[4:5]
	v_xor_b32_e32 v23, 0x80000000, v5
	v_mov_b32_e32 v22, v4
	ds_store_b128 v27, v[22:25]
.LBB172_34:                             ;   in Loop: Header=BB172_3 Depth=1
	s_or_b32 exec_lo, exec_lo, s60
	s_wait_loadcnt_dscnt 0x0
	s_barrier_signal -1
	s_barrier_wait -1
	s_and_saveexec_b32 s60, s68
	s_cbranch_execz .LBB172_36
; %bb.35:                               ;   in Loop: Header=BB172_3 Depth=1
	ds_load_b128 v[22:25], v27
	ds_load_b128 v[70:73], v2 offset:15296
	s_wait_dscnt 0x0
	v_mul_f64_e32 v[4:5], v[24:25], v[72:73]
	v_mul_f64_e32 v[72:73], v[22:23], v[72:73]
	s_delay_alu instid0(VALU_DEP_2) | instskip(NEXT) | instid1(VALU_DEP_2)
	v_fma_f64 v[4:5], v[22:23], v[70:71], -v[4:5]
	v_fmac_f64_e32 v[72:73], v[24:25], v[70:71]
	s_delay_alu instid0(VALU_DEP_2) | instskip(NEXT) | instid1(VALU_DEP_2)
	v_add_f64_e64 v[18:19], v[18:19], -v[4:5]
	v_add_f64_e64 v[20:21], v[20:21], -v[72:73]
.LBB172_36:                             ;   in Loop: Header=BB172_3 Depth=1
	s_or_b32 exec_lo, exec_lo, s60
	s_barrier_signal -1
	s_barrier_wait -1
	s_and_saveexec_b32 s60, s68
	s_cbranch_execz .LBB172_38
; %bb.37:                               ;   in Loop: Header=BB172_3 Depth=1
	ds_load_b128 v[22:25], v2 offset:14784
	s_wait_dscnt 0x0
	v_mul_f64_e32 v[70:71], v[18:19], v[24:25]
	s_delay_alu instid0(VALU_DEP_1) | instskip(NEXT) | instid1(VALU_DEP_1)
	v_fmac_f64_e32 v[70:71], v[20:21], v[22:23]
	v_dual_mul_f64 v[4:5], v[20:21], v[24:25] :: v_dual_mov_b32 v24, v70
	s_delay_alu instid0(VALU_DEP_1) | instskip(NEXT) | instid1(VALU_DEP_3)
	v_fma_f64 v[4:5], v[18:19], v[22:23], -v[4:5]
	v_mov_b64_e32 v[20:21], v[70:71]
	v_xor_b32_e32 v25, 0x80000000, v71
	s_delay_alu instid0(VALU_DEP_3)
	v_mov_b64_e32 v[18:19], v[4:5]
	v_xor_b32_e32 v23, 0x80000000, v5
	v_mov_b32_e32 v22, v4
	ds_store_b128 v27, v[22:25]
.LBB172_38:                             ;   in Loop: Header=BB172_3 Depth=1
	s_or_b32 exec_lo, exec_lo, s60
	s_wait_dscnt 0x0
	s_barrier_signal -1
	s_barrier_wait -1
	s_barrier_signal -1
	s_barrier_wait -1
	s_and_saveexec_b32 s60, s2
; %bb.39:                               ;   in Loop: Header=BB172_3 Depth=1
	ds_store_b128 v48, v[18:21] offset:16320
; %bb.40:                               ;   in Loop: Header=BB172_3 Depth=1
	s_or_b32 exec_lo, exec_lo, s60
	s_wait_dscnt 0x0
	s_barrier_signal -1
	s_barrier_wait -1
	s_barrier_signal -1
	s_barrier_wait -1
	s_and_saveexec_b32 s60, s1
	s_cbranch_execz .LBB172_42
; %bb.41:                               ;   in Loop: Header=BB172_3 Depth=1
	ds_load_b128 v[18:21], v2 offset:15312
	ds_load_b128 v[22:25], v2 offset:14784
	;; [unrolled: 1-line block ×3, first 2 shown]
	s_wait_dscnt 0x1
	v_mul_f64_e32 v[4:5], v[18:19], v[24:25]
	v_mul_f64_e32 v[24:25], v[20:21], v[24:25]
	s_delay_alu instid0(VALU_DEP_2) | instskip(NEXT) | instid1(VALU_DEP_2)
	v_fmac_f64_e32 v[4:5], v[20:21], v[22:23]
	v_fma_f64 v[18:19], v[18:19], v[22:23], -v[24:25]
	s_wait_dscnt 0x0
	s_delay_alu instid0(VALU_DEP_2) | instskip(NEXT) | instid1(VALU_DEP_2)
	v_mul_f64_e32 v[22:23], v[4:5], v[72:73]
	v_mul_f64_e32 v[20:21], v[18:19], v[72:73]
	s_delay_alu instid0(VALU_DEP_2) | instskip(NEXT) | instid1(VALU_DEP_2)
	v_fma_f64 v[18:19], v[70:71], v[18:19], -v[22:23]
	v_fmac_f64_e32 v[20:21], v[70:71], v[4:5]
	ds_store_b128 v2, v[18:21] offset:15296
.LBB172_42:                             ;   in Loop: Header=BB172_3 Depth=1
	s_or_b32 exec_lo, exec_lo, s60
	v_mov_b64_e32 v[20:21], 0
	v_mov_b64_e32 v[18:19], 0
	s_wait_dscnt 0x0
	s_barrier_signal -1
	s_barrier_wait -1
	global_wb scope:SCOPE_DEV
	s_wait_storecnt 0x0
	global_inv scope:SCOPE_DEV
	s_and_saveexec_b32 s60, s4
	s_cbranch_execz .LBB172_48
; %bb.43:                               ;   in Loop: Header=BB172_3 Depth=1
	ds_load_b128 v[18:21], v51 offset:16320
	ds_load_b128 v[22:25], v50 offset:14720
	s_wait_dscnt 0x0
	v_mul_f64_e32 v[4:5], v[20:21], v[24:25]
	v_mul_f64_e32 v[24:25], v[18:19], v[24:25]
	s_delay_alu instid0(VALU_DEP_2) | instskip(NEXT) | instid1(VALU_DEP_2)
	v_fma_f64 v[4:5], v[18:19], v[22:23], -v[4:5]
	v_fmac_f64_e32 v[24:25], v[20:21], v[22:23]
	s_delay_alu instid0(VALU_DEP_2) | instskip(NEXT) | instid1(VALU_DEP_2)
	v_add_f64_e32 v[18:19], 0, v[4:5]
	v_add_f64_e32 v[20:21], 0, v[24:25]
	s_and_saveexec_b32 s61, s12
	s_cbranch_execnz .LBB172_520
; %bb.44:                               ;   in Loop: Header=BB172_3 Depth=1
	s_or_b32 exec_lo, exec_lo, s61
	s_and_saveexec_b32 s61, s13
	s_cbranch_execnz .LBB172_521
.LBB172_45:                             ;   in Loop: Header=BB172_3 Depth=1
	s_or_b32 exec_lo, exec_lo, s61
	s_and_saveexec_b32 s61, s2
	s_cbranch_execz .LBB172_47
.LBB172_46:                             ;   in Loop: Header=BB172_3 Depth=1
	ds_load_b128 v[22:25], v2 offset:16368
	ds_load_b128 v[70:73], v47 offset:16256
	s_wait_dscnt 0x0
	v_mul_f64_e32 v[4:5], v[24:25], v[72:73]
	v_mul_f64_e32 v[72:73], v[22:23], v[72:73]
	s_delay_alu instid0(VALU_DEP_2) | instskip(NEXT) | instid1(VALU_DEP_2)
	v_fma_f64 v[4:5], v[22:23], v[70:71], -v[4:5]
	v_fmac_f64_e32 v[72:73], v[24:25], v[70:71]
	s_delay_alu instid0(VALU_DEP_2) | instskip(NEXT) | instid1(VALU_DEP_2)
	v_add_f64_e32 v[18:19], v[18:19], v[4:5]
	v_add_f64_e32 v[20:21], v[20:21], v[72:73]
.LBB172_47:                             ;   in Loop: Header=BB172_3 Depth=1
	s_or_b32 exec_lo, exec_lo, s61
.LBB172_48:                             ;   in Loop: Header=BB172_3 Depth=1
	s_delay_alu instid0(SALU_CYCLE_1)
	s_or_b32 exec_lo, exec_lo, s60
	s_and_saveexec_b32 s60, s69
	s_cbranch_execz .LBB172_50
; %bb.49:                               ;   in Loop: Header=BB172_3 Depth=1
	ds_load_b128 v[22:25], v2 offset:14256
	s_wait_dscnt 0x0
	v_mul_f64_e32 v[70:71], v[18:19], v[24:25]
	s_delay_alu instid0(VALU_DEP_1) | instskip(NEXT) | instid1(VALU_DEP_1)
	v_fmac_f64_e32 v[70:71], v[20:21], v[22:23]
	v_dual_mul_f64 v[4:5], v[20:21], v[24:25] :: v_dual_mov_b32 v24, v70
	s_delay_alu instid0(VALU_DEP_1) | instskip(NEXT) | instid1(VALU_DEP_3)
	v_fma_f64 v[4:5], v[18:19], v[22:23], -v[4:5]
	v_mov_b64_e32 v[20:21], v[70:71]
	v_xor_b32_e32 v25, 0x80000000, v71
	s_delay_alu instid0(VALU_DEP_3)
	v_mov_b64_e32 v[18:19], v[4:5]
	v_xor_b32_e32 v23, 0x80000000, v5
	v_mov_b32_e32 v22, v4
	ds_store_b128 v49, v[22:25]
.LBB172_50:                             ;   in Loop: Header=BB172_3 Depth=1
	s_or_b32 exec_lo, exec_lo, s60
	s_wait_loadcnt_dscnt 0x0
	s_barrier_signal -1
	s_barrier_wait -1
	s_and_saveexec_b32 s60, s70
	s_cbranch_execz .LBB172_52
; %bb.51:                               ;   in Loop: Header=BB172_3 Depth=1
	ds_load_b128 v[22:25], v49
	ds_load_b128 v[70:73], v50 offset:14208
	s_wait_dscnt 0x0
	v_mul_f64_e32 v[4:5], v[24:25], v[72:73]
	v_mul_f64_e32 v[72:73], v[22:23], v[72:73]
	s_delay_alu instid0(VALU_DEP_2) | instskip(NEXT) | instid1(VALU_DEP_2)
	v_fma_f64 v[4:5], v[22:23], v[70:71], -v[4:5]
	v_fmac_f64_e32 v[72:73], v[24:25], v[70:71]
	s_delay_alu instid0(VALU_DEP_2) | instskip(NEXT) | instid1(VALU_DEP_2)
	v_add_f64_e64 v[18:19], v[18:19], -v[4:5]
	v_add_f64_e64 v[20:21], v[20:21], -v[72:73]
.LBB172_52:                             ;   in Loop: Header=BB172_3 Depth=1
	s_or_b32 exec_lo, exec_lo, s60
	s_barrier_signal -1
	s_barrier_wait -1
	s_and_saveexec_b32 s60, s71
	s_cbranch_execz .LBB172_54
; %bb.53:                               ;   in Loop: Header=BB172_3 Depth=1
	ds_load_b128 v[22:25], v2 offset:13728
	s_wait_dscnt 0x0
	v_mul_f64_e32 v[70:71], v[18:19], v[24:25]
	s_delay_alu instid0(VALU_DEP_1) | instskip(NEXT) | instid1(VALU_DEP_1)
	v_fmac_f64_e32 v[70:71], v[20:21], v[22:23]
	v_dual_mul_f64 v[4:5], v[20:21], v[24:25] :: v_dual_mov_b32 v24, v70
	s_delay_alu instid0(VALU_DEP_1) | instskip(NEXT) | instid1(VALU_DEP_3)
	v_fma_f64 v[4:5], v[18:19], v[22:23], -v[4:5]
	v_mov_b64_e32 v[20:21], v[70:71]
	v_xor_b32_e32 v25, 0x80000000, v71
	s_delay_alu instid0(VALU_DEP_3)
	v_mov_b64_e32 v[18:19], v[4:5]
	v_xor_b32_e32 v23, 0x80000000, v5
	v_mov_b32_e32 v22, v4
	ds_store_b128 v49, v[22:25]
.LBB172_54:                             ;   in Loop: Header=BB172_3 Depth=1
	s_or_b32 exec_lo, exec_lo, s60
	s_wait_dscnt 0x0
	s_barrier_signal -1
	s_barrier_wait -1
	s_and_saveexec_b32 s60, s72
	s_cbranch_execz .LBB172_56
; %bb.55:                               ;   in Loop: Header=BB172_3 Depth=1
	ds_load_b128 v[22:25], v49
	ds_load_b128 v[70:73], v50 offset:13696
	s_wait_dscnt 0x0
	v_mul_f64_e32 v[4:5], v[24:25], v[72:73]
	v_mul_f64_e32 v[72:73], v[22:23], v[72:73]
	s_delay_alu instid0(VALU_DEP_2) | instskip(NEXT) | instid1(VALU_DEP_2)
	v_fma_f64 v[4:5], v[22:23], v[70:71], -v[4:5]
	v_fmac_f64_e32 v[72:73], v[24:25], v[70:71]
	s_delay_alu instid0(VALU_DEP_2) | instskip(NEXT) | instid1(VALU_DEP_2)
	v_add_f64_e64 v[18:19], v[18:19], -v[4:5]
	v_add_f64_e64 v[20:21], v[20:21], -v[72:73]
.LBB172_56:                             ;   in Loop: Header=BB172_3 Depth=1
	s_or_b32 exec_lo, exec_lo, s60
	s_barrier_signal -1
	s_barrier_wait -1
	s_and_saveexec_b32 s60, s73
	s_cbranch_execz .LBB172_58
; %bb.57:                               ;   in Loop: Header=BB172_3 Depth=1
	ds_load_b128 v[22:25], v2 offset:13200
	s_wait_dscnt 0x0
	v_mul_f64_e32 v[70:71], v[18:19], v[24:25]
	s_delay_alu instid0(VALU_DEP_1) | instskip(NEXT) | instid1(VALU_DEP_1)
	v_fmac_f64_e32 v[70:71], v[20:21], v[22:23]
	v_dual_mul_f64 v[4:5], v[20:21], v[24:25] :: v_dual_mov_b32 v24, v70
	s_delay_alu instid0(VALU_DEP_1) | instskip(NEXT) | instid1(VALU_DEP_3)
	v_fma_f64 v[4:5], v[18:19], v[22:23], -v[4:5]
	v_mov_b64_e32 v[20:21], v[70:71]
	v_xor_b32_e32 v25, 0x80000000, v71
	s_delay_alu instid0(VALU_DEP_3)
	v_mov_b64_e32 v[18:19], v[4:5]
	v_xor_b32_e32 v23, 0x80000000, v5
	v_mov_b32_e32 v22, v4
	ds_store_b128 v49, v[22:25]
.LBB172_58:                             ;   in Loop: Header=BB172_3 Depth=1
	s_or_b32 exec_lo, exec_lo, s60
	s_wait_dscnt 0x0
	;; [unrolled: 41-line block ×3, first 2 shown]
	s_barrier_signal -1
	s_barrier_wait -1
	s_barrier_signal -1
	s_barrier_wait -1
	s_and_saveexec_b32 s60, s4
; %bb.63:                               ;   in Loop: Header=BB172_3 Depth=1
	ds_store_b128 v52, v[18:21] offset:16256
; %bb.64:                               ;   in Loop: Header=BB172_3 Depth=1
	s_or_b32 exec_lo, exec_lo, s60
	s_wait_dscnt 0x0
	s_barrier_signal -1
	s_barrier_wait -1
	s_barrier_signal -1
	s_barrier_wait -1
	s_and_saveexec_b32 s60, s1
	s_cbranch_execz .LBB172_66
; %bb.65:                               ;   in Loop: Header=BB172_3 Depth=1
	ds_load_b128 v[18:21], v2 offset:14256
	ds_load_b128 v[22:25], v2 offset:13728
	;; [unrolled: 1-line block ×3, first 2 shown]
	s_wait_dscnt 0x1
	v_mul_f64_e32 v[4:5], v[18:19], v[24:25]
	v_mul_f64_e32 v[24:25], v[20:21], v[24:25]
	s_delay_alu instid0(VALU_DEP_2) | instskip(NEXT) | instid1(VALU_DEP_2)
	v_fmac_f64_e32 v[4:5], v[20:21], v[22:23]
	v_fma_f64 v[18:19], v[18:19], v[22:23], -v[24:25]
	s_wait_dscnt 0x0
	s_delay_alu instid0(VALU_DEP_2) | instskip(NEXT) | instid1(VALU_DEP_2)
	v_mul_f64_e32 v[22:23], v[4:5], v[72:73]
	v_mul_f64_e32 v[20:21], v[18:19], v[72:73]
	s_delay_alu instid0(VALU_DEP_2) | instskip(NEXT) | instid1(VALU_DEP_2)
	v_fma_f64 v[18:19], v[70:71], v[18:19], -v[22:23]
	v_fmac_f64_e32 v[20:21], v[70:71], v[4:5]
	ds_store_b128 v2, v[18:21] offset:14240
.LBB172_66:                             ;   in Loop: Header=BB172_3 Depth=1
	s_or_b32 exec_lo, exec_lo, s60
	v_mov_b64_e32 v[18:19], 0
	v_mov_b64_e32 v[20:21], 0
	s_wait_dscnt 0x0
	s_barrier_signal -1
	s_barrier_wait -1
	global_wb scope:SCOPE_DEV
	s_wait_storecnt 0x0
	global_inv scope:SCOPE_DEV
	s_and_saveexec_b32 s60, s2
	s_cbranch_execz .LBB172_70
; %bb.67:                               ;   in Loop: Header=BB172_3 Depth=1
	ds_load_b128 v[18:21], v46 offset:14240
	ds_load_b128 v[22:25], v45 offset:13696
	s_wait_dscnt 0x0
	v_mul_f64_e32 v[4:5], v[20:21], v[24:25]
	v_mul_f64_e32 v[24:25], v[18:19], v[24:25]
	s_delay_alu instid0(VALU_DEP_2) | instskip(NEXT) | instid1(VALU_DEP_2)
	v_fma_f64 v[4:5], v[18:19], v[22:23], -v[4:5]
	v_fmac_f64_e32 v[24:25], v[20:21], v[22:23]
	s_delay_alu instid0(VALU_DEP_2) | instskip(NEXT) | instid1(VALU_DEP_2)
	v_add_f64_e32 v[18:19], 0, v[4:5]
	v_add_f64_e32 v[20:21], 0, v[24:25]
	s_and_saveexec_b32 s61, s3
	s_cbranch_execz .LBB172_69
; %bb.68:                               ;   in Loop: Header=BB172_3 Depth=1
	ds_load_b128 v[22:25], v2 offset:14256
	ds_load_b128 v[70:73], v47 offset:14208
	s_wait_dscnt 0x0
	v_mul_f64_e32 v[4:5], v[24:25], v[72:73]
	v_mul_f64_e32 v[72:73], v[22:23], v[72:73]
	s_delay_alu instid0(VALU_DEP_2) | instskip(NEXT) | instid1(VALU_DEP_2)
	v_fma_f64 v[4:5], v[22:23], v[70:71], -v[4:5]
	v_fmac_f64_e32 v[72:73], v[24:25], v[70:71]
	s_delay_alu instid0(VALU_DEP_2) | instskip(NEXT) | instid1(VALU_DEP_2)
	v_add_f64_e32 v[18:19], v[18:19], v[4:5]
	v_add_f64_e32 v[20:21], v[20:21], v[72:73]
.LBB172_69:                             ;   in Loop: Header=BB172_3 Depth=1
	s_or_b32 exec_lo, exec_lo, s61
.LBB172_70:                             ;   in Loop: Header=BB172_3 Depth=1
	s_delay_alu instid0(SALU_CYCLE_1)
	s_or_b32 exec_lo, exec_lo, s60
	s_and_saveexec_b32 s60, s67
	s_cbranch_execz .LBB172_72
; %bb.71:                               ;   in Loop: Header=BB172_3 Depth=1
	ds_load_b128 v[22:25], v2 offset:13200
	s_wait_dscnt 0x0
	v_mul_f64_e32 v[70:71], v[18:19], v[24:25]
	s_delay_alu instid0(VALU_DEP_1) | instskip(NEXT) | instid1(VALU_DEP_1)
	v_fmac_f64_e32 v[70:71], v[20:21], v[22:23]
	v_dual_mul_f64 v[4:5], v[20:21], v[24:25] :: v_dual_mov_b32 v24, v70
	s_delay_alu instid0(VALU_DEP_1) | instskip(NEXT) | instid1(VALU_DEP_3)
	v_fma_f64 v[4:5], v[18:19], v[22:23], -v[4:5]
	v_mov_b64_e32 v[20:21], v[70:71]
	v_xor_b32_e32 v25, 0x80000000, v71
	s_delay_alu instid0(VALU_DEP_3)
	v_mov_b64_e32 v[18:19], v[4:5]
	v_xor_b32_e32 v23, 0x80000000, v5
	v_mov_b32_e32 v22, v4
	ds_store_b128 v27, v[22:25]
.LBB172_72:                             ;   in Loop: Header=BB172_3 Depth=1
	s_or_b32 exec_lo, exec_lo, s60
	s_wait_loadcnt_dscnt 0x0
	s_barrier_signal -1
	s_barrier_wait -1
	s_and_saveexec_b32 s60, s68
	s_cbranch_execz .LBB172_74
; %bb.73:                               ;   in Loop: Header=BB172_3 Depth=1
	ds_load_b128 v[22:25], v27
	ds_load_b128 v[70:73], v2 offset:13184
	s_wait_dscnt 0x0
	v_mul_f64_e32 v[4:5], v[24:25], v[72:73]
	v_mul_f64_e32 v[72:73], v[22:23], v[72:73]
	s_delay_alu instid0(VALU_DEP_2) | instskip(NEXT) | instid1(VALU_DEP_2)
	v_fma_f64 v[4:5], v[22:23], v[70:71], -v[4:5]
	v_fmac_f64_e32 v[72:73], v[24:25], v[70:71]
	s_delay_alu instid0(VALU_DEP_2) | instskip(NEXT) | instid1(VALU_DEP_2)
	v_add_f64_e64 v[18:19], v[18:19], -v[4:5]
	v_add_f64_e64 v[20:21], v[20:21], -v[72:73]
.LBB172_74:                             ;   in Loop: Header=BB172_3 Depth=1
	s_or_b32 exec_lo, exec_lo, s60
	s_barrier_signal -1
	s_barrier_wait -1
	s_and_saveexec_b32 s60, s68
	s_cbranch_execz .LBB172_76
; %bb.75:                               ;   in Loop: Header=BB172_3 Depth=1
	ds_load_b128 v[22:25], v2 offset:12672
	s_wait_dscnt 0x0
	v_mul_f64_e32 v[70:71], v[18:19], v[24:25]
	s_delay_alu instid0(VALU_DEP_1) | instskip(NEXT) | instid1(VALU_DEP_1)
	v_fmac_f64_e32 v[70:71], v[20:21], v[22:23]
	v_dual_mul_f64 v[4:5], v[20:21], v[24:25] :: v_dual_mov_b32 v24, v70
	s_delay_alu instid0(VALU_DEP_1) | instskip(NEXT) | instid1(VALU_DEP_3)
	v_fma_f64 v[4:5], v[18:19], v[22:23], -v[4:5]
	v_mov_b64_e32 v[20:21], v[70:71]
	v_xor_b32_e32 v25, 0x80000000, v71
	s_delay_alu instid0(VALU_DEP_3)
	v_mov_b64_e32 v[18:19], v[4:5]
	v_xor_b32_e32 v23, 0x80000000, v5
	v_mov_b32_e32 v22, v4
	ds_store_b128 v27, v[22:25]
.LBB172_76:                             ;   in Loop: Header=BB172_3 Depth=1
	s_or_b32 exec_lo, exec_lo, s60
	s_wait_dscnt 0x0
	s_barrier_signal -1
	s_barrier_wait -1
	s_barrier_signal -1
	s_barrier_wait -1
	s_and_saveexec_b32 s60, s2
; %bb.77:                               ;   in Loop: Header=BB172_3 Depth=1
	ds_store_b128 v48, v[18:21] offset:14208
; %bb.78:                               ;   in Loop: Header=BB172_3 Depth=1
	s_or_b32 exec_lo, exec_lo, s60
	s_wait_dscnt 0x0
	s_barrier_signal -1
	s_barrier_wait -1
	s_barrier_signal -1
	s_barrier_wait -1
	s_and_saveexec_b32 s60, s1
	s_cbranch_execz .LBB172_80
; %bb.79:                               ;   in Loop: Header=BB172_3 Depth=1
	ds_load_b128 v[18:21], v2 offset:13200
	ds_load_b128 v[22:25], v2 offset:12672
	;; [unrolled: 1-line block ×3, first 2 shown]
	s_wait_dscnt 0x1
	v_mul_f64_e32 v[4:5], v[18:19], v[24:25]
	v_mul_f64_e32 v[24:25], v[20:21], v[24:25]
	s_delay_alu instid0(VALU_DEP_2) | instskip(NEXT) | instid1(VALU_DEP_2)
	v_fmac_f64_e32 v[4:5], v[20:21], v[22:23]
	v_fma_f64 v[18:19], v[18:19], v[22:23], -v[24:25]
	s_wait_dscnt 0x0
	s_delay_alu instid0(VALU_DEP_2) | instskip(NEXT) | instid1(VALU_DEP_2)
	v_mul_f64_e32 v[22:23], v[4:5], v[72:73]
	v_mul_f64_e32 v[20:21], v[18:19], v[72:73]
	s_delay_alu instid0(VALU_DEP_2) | instskip(NEXT) | instid1(VALU_DEP_2)
	v_fma_f64 v[18:19], v[70:71], v[18:19], -v[22:23]
	v_fmac_f64_e32 v[20:21], v[70:71], v[4:5]
	ds_store_b128 v2, v[18:21] offset:13184
.LBB172_80:                             ;   in Loop: Header=BB172_3 Depth=1
	s_or_b32 exec_lo, exec_lo, s60
	v_mov_b64_e32 v[20:21], 0
	v_mov_b64_e32 v[18:19], 0
	s_wait_dscnt 0x0
	s_barrier_signal -1
	s_barrier_wait -1
	global_wb scope:SCOPE_DEV
	s_wait_storecnt 0x0
	global_inv scope:SCOPE_DEV
	s_and_saveexec_b32 s60, s5
	s_cbranch_execz .LBB172_90
; %bb.81:                               ;   in Loop: Header=BB172_3 Depth=1
	ds_load_b128 v[18:21], v55 offset:16256
	ds_load_b128 v[22:25], v54 offset:12544
	s_wait_dscnt 0x0
	v_mul_f64_e32 v[4:5], v[20:21], v[24:25]
	v_mul_f64_e32 v[24:25], v[18:19], v[24:25]
	s_delay_alu instid0(VALU_DEP_2) | instskip(NEXT) | instid1(VALU_DEP_2)
	v_fma_f64 v[4:5], v[18:19], v[22:23], -v[4:5]
	v_fmac_f64_e32 v[24:25], v[20:21], v[22:23]
	s_delay_alu instid0(VALU_DEP_2) | instskip(NEXT) | instid1(VALU_DEP_2)
	v_add_f64_e32 v[18:19], 0, v[4:5]
	v_add_f64_e32 v[20:21], 0, v[24:25]
	s_and_saveexec_b32 s61, s14
	s_cbranch_execnz .LBB172_522
; %bb.82:                               ;   in Loop: Header=BB172_3 Depth=1
	s_or_b32 exec_lo, exec_lo, s61
	s_and_saveexec_b32 s61, s15
	s_cbranch_execnz .LBB172_523
.LBB172_83:                             ;   in Loop: Header=BB172_3 Depth=1
	s_or_b32 exec_lo, exec_lo, s61
	s_and_saveexec_b32 s61, s16
	s_cbranch_execnz .LBB172_524
.LBB172_84:                             ;   in Loop: Header=BB172_3 Depth=1
	s_or_b32 exec_lo, exec_lo, s61
	s_and_saveexec_b32 s61, s17
	s_cbranch_execnz .LBB172_525
.LBB172_85:                             ;   in Loop: Header=BB172_3 Depth=1
	s_or_b32 exec_lo, exec_lo, s61
	s_and_saveexec_b32 s61, s18
	s_cbranch_execnz .LBB172_526
.LBB172_86:                             ;   in Loop: Header=BB172_3 Depth=1
	s_or_b32 exec_lo, exec_lo, s61
	s_and_saveexec_b32 s61, s4
	s_cbranch_execnz .LBB172_527
.LBB172_87:                             ;   in Loop: Header=BB172_3 Depth=1
	s_or_b32 exec_lo, exec_lo, s61
	s_and_saveexec_b32 s61, s13
	s_cbranch_execz .LBB172_89
.LBB172_88:                             ;   in Loop: Header=BB172_3 Depth=1
	ds_load_b128 v[22:25], v2 offset:16368
	ds_load_b128 v[70:73], v47 offset:16128
	s_wait_dscnt 0x0
	v_mul_f64_e32 v[4:5], v[24:25], v[72:73]
	v_mul_f64_e32 v[72:73], v[22:23], v[72:73]
	s_delay_alu instid0(VALU_DEP_2) | instskip(NEXT) | instid1(VALU_DEP_2)
	v_fma_f64 v[4:5], v[22:23], v[70:71], -v[4:5]
	v_fmac_f64_e32 v[72:73], v[24:25], v[70:71]
	s_delay_alu instid0(VALU_DEP_2) | instskip(NEXT) | instid1(VALU_DEP_2)
	v_add_f64_e32 v[18:19], v[18:19], v[4:5]
	v_add_f64_e32 v[20:21], v[20:21], v[72:73]
.LBB172_89:                             ;   in Loop: Header=BB172_3 Depth=1
	s_or_b32 exec_lo, exec_lo, s61
.LBB172_90:                             ;   in Loop: Header=BB172_3 Depth=1
	s_delay_alu instid0(SALU_CYCLE_1)
	s_or_b32 exec_lo, exec_lo, s60
	s_and_saveexec_b32 s60, s75
	s_cbranch_execz .LBB172_92
; %bb.91:                               ;   in Loop: Header=BB172_3 Depth=1
	ds_load_b128 v[22:25], v2 offset:12144
	s_wait_dscnt 0x0
	v_mul_f64_e32 v[70:71], v[18:19], v[24:25]
	s_delay_alu instid0(VALU_DEP_1) | instskip(NEXT) | instid1(VALU_DEP_1)
	v_fmac_f64_e32 v[70:71], v[20:21], v[22:23]
	v_dual_mul_f64 v[4:5], v[20:21], v[24:25] :: v_dual_mov_b32 v24, v70
	s_delay_alu instid0(VALU_DEP_1) | instskip(NEXT) | instid1(VALU_DEP_3)
	v_fma_f64 v[4:5], v[18:19], v[22:23], -v[4:5]
	v_mov_b64_e32 v[20:21], v[70:71]
	v_xor_b32_e32 v25, 0x80000000, v71
	s_delay_alu instid0(VALU_DEP_3)
	v_mov_b64_e32 v[18:19], v[4:5]
	v_xor_b32_e32 v23, 0x80000000, v5
	v_mov_b32_e32 v22, v4
	ds_store_b128 v53, v[22:25]
.LBB172_92:                             ;   in Loop: Header=BB172_3 Depth=1
	s_or_b32 exec_lo, exec_lo, s60
	s_wait_loadcnt_dscnt 0x0
	s_barrier_signal -1
	s_barrier_wait -1
	s_and_saveexec_b32 s60, s76
	s_cbranch_execz .LBB172_94
; %bb.93:                               ;   in Loop: Header=BB172_3 Depth=1
	ds_load_b128 v[22:25], v53
	ds_load_b128 v[70:73], v54 offset:12032
	s_wait_dscnt 0x0
	v_mul_f64_e32 v[4:5], v[24:25], v[72:73]
	v_mul_f64_e32 v[72:73], v[22:23], v[72:73]
	s_delay_alu instid0(VALU_DEP_2) | instskip(NEXT) | instid1(VALU_DEP_2)
	v_fma_f64 v[4:5], v[22:23], v[70:71], -v[4:5]
	v_fmac_f64_e32 v[72:73], v[24:25], v[70:71]
	s_delay_alu instid0(VALU_DEP_2) | instskip(NEXT) | instid1(VALU_DEP_2)
	v_add_f64_e64 v[18:19], v[18:19], -v[4:5]
	v_add_f64_e64 v[20:21], v[20:21], -v[72:73]
.LBB172_94:                             ;   in Loop: Header=BB172_3 Depth=1
	s_or_b32 exec_lo, exec_lo, s60
	s_barrier_signal -1
	s_barrier_wait -1
	s_and_saveexec_b32 s60, s77
	s_cbranch_execz .LBB172_96
; %bb.95:                               ;   in Loop: Header=BB172_3 Depth=1
	ds_load_b128 v[22:25], v2 offset:11616
	s_wait_dscnt 0x0
	v_mul_f64_e32 v[70:71], v[18:19], v[24:25]
	s_delay_alu instid0(VALU_DEP_1) | instskip(NEXT) | instid1(VALU_DEP_1)
	v_fmac_f64_e32 v[70:71], v[20:21], v[22:23]
	v_dual_mul_f64 v[4:5], v[20:21], v[24:25] :: v_dual_mov_b32 v24, v70
	s_delay_alu instid0(VALU_DEP_1) | instskip(NEXT) | instid1(VALU_DEP_3)
	v_fma_f64 v[4:5], v[18:19], v[22:23], -v[4:5]
	v_mov_b64_e32 v[20:21], v[70:71]
	v_xor_b32_e32 v25, 0x80000000, v71
	s_delay_alu instid0(VALU_DEP_3)
	v_mov_b64_e32 v[18:19], v[4:5]
	v_xor_b32_e32 v23, 0x80000000, v5
	v_mov_b32_e32 v22, v4
	ds_store_b128 v53, v[22:25]
.LBB172_96:                             ;   in Loop: Header=BB172_3 Depth=1
	s_or_b32 exec_lo, exec_lo, s60
	s_wait_dscnt 0x0
	s_barrier_signal -1
	s_barrier_wait -1
	s_and_saveexec_b32 s60, s78
	s_cbranch_execz .LBB172_98
; %bb.97:                               ;   in Loop: Header=BB172_3 Depth=1
	ds_load_b128 v[22:25], v53
	ds_load_b128 v[70:73], v54 offset:11520
	s_wait_dscnt 0x0
	v_mul_f64_e32 v[4:5], v[24:25], v[72:73]
	v_mul_f64_e32 v[72:73], v[22:23], v[72:73]
	s_delay_alu instid0(VALU_DEP_2) | instskip(NEXT) | instid1(VALU_DEP_2)
	v_fma_f64 v[4:5], v[22:23], v[70:71], -v[4:5]
	v_fmac_f64_e32 v[72:73], v[24:25], v[70:71]
	s_delay_alu instid0(VALU_DEP_2) | instskip(NEXT) | instid1(VALU_DEP_2)
	v_add_f64_e64 v[18:19], v[18:19], -v[4:5]
	v_add_f64_e64 v[20:21], v[20:21], -v[72:73]
.LBB172_98:                             ;   in Loop: Header=BB172_3 Depth=1
	s_or_b32 exec_lo, exec_lo, s60
	s_barrier_signal -1
	s_barrier_wait -1
	s_and_saveexec_b32 s60, s79
	s_cbranch_execz .LBB172_100
; %bb.99:                               ;   in Loop: Header=BB172_3 Depth=1
	ds_load_b128 v[22:25], v2 offset:11088
	s_wait_dscnt 0x0
	v_mul_f64_e32 v[70:71], v[18:19], v[24:25]
	s_delay_alu instid0(VALU_DEP_1) | instskip(NEXT) | instid1(VALU_DEP_1)
	v_fmac_f64_e32 v[70:71], v[20:21], v[22:23]
	v_dual_mul_f64 v[4:5], v[20:21], v[24:25] :: v_dual_mov_b32 v24, v70
	s_delay_alu instid0(VALU_DEP_1) | instskip(NEXT) | instid1(VALU_DEP_3)
	v_fma_f64 v[4:5], v[18:19], v[22:23], -v[4:5]
	v_mov_b64_e32 v[20:21], v[70:71]
	v_xor_b32_e32 v25, 0x80000000, v71
	s_delay_alu instid0(VALU_DEP_3)
	v_mov_b64_e32 v[18:19], v[4:5]
	v_xor_b32_e32 v23, 0x80000000, v5
	v_mov_b32_e32 v22, v4
	ds_store_b128 v53, v[22:25]
.LBB172_100:                            ;   in Loop: Header=BB172_3 Depth=1
	s_or_b32 exec_lo, exec_lo, s60
	s_wait_dscnt 0x0
	s_barrier_signal -1
	s_barrier_wait -1
	s_and_saveexec_b32 s60, s80
	s_cbranch_execz .LBB172_102
; %bb.101:                              ;   in Loop: Header=BB172_3 Depth=1
	ds_load_b128 v[22:25], v53
	ds_load_b128 v[70:73], v54 offset:11008
	s_wait_dscnt 0x0
	v_mul_f64_e32 v[4:5], v[24:25], v[72:73]
	v_mul_f64_e32 v[72:73], v[22:23], v[72:73]
	s_delay_alu instid0(VALU_DEP_2) | instskip(NEXT) | instid1(VALU_DEP_2)
	v_fma_f64 v[4:5], v[22:23], v[70:71], -v[4:5]
	v_fmac_f64_e32 v[72:73], v[24:25], v[70:71]
	s_delay_alu instid0(VALU_DEP_2) | instskip(NEXT) | instid1(VALU_DEP_2)
	v_add_f64_e64 v[18:19], v[18:19], -v[4:5]
	v_add_f64_e64 v[20:21], v[20:21], -v[72:73]
.LBB172_102:                            ;   in Loop: Header=BB172_3 Depth=1
	s_or_b32 exec_lo, exec_lo, s60
	s_barrier_signal -1
	s_barrier_wait -1
	s_and_saveexec_b32 s60, s81
	s_cbranch_execz .LBB172_104
; %bb.103:                              ;   in Loop: Header=BB172_3 Depth=1
	ds_load_b128 v[22:25], v2 offset:10560
	s_wait_dscnt 0x0
	v_mul_f64_e32 v[70:71], v[18:19], v[24:25]
	s_delay_alu instid0(VALU_DEP_1) | instskip(NEXT) | instid1(VALU_DEP_1)
	v_fmac_f64_e32 v[70:71], v[20:21], v[22:23]
	v_dual_mul_f64 v[4:5], v[20:21], v[24:25] :: v_dual_mov_b32 v24, v70
	s_delay_alu instid0(VALU_DEP_1) | instskip(NEXT) | instid1(VALU_DEP_3)
	v_fma_f64 v[4:5], v[18:19], v[22:23], -v[4:5]
	v_mov_b64_e32 v[20:21], v[70:71]
	v_xor_b32_e32 v25, 0x80000000, v71
	s_delay_alu instid0(VALU_DEP_3)
	v_mov_b64_e32 v[18:19], v[4:5]
	v_xor_b32_e32 v23, 0x80000000, v5
	v_mov_b32_e32 v22, v4
	ds_store_b128 v53, v[22:25]
.LBB172_104:                            ;   in Loop: Header=BB172_3 Depth=1
	s_or_b32 exec_lo, exec_lo, s60
	s_wait_dscnt 0x0
	s_barrier_signal -1
	s_barrier_wait -1
	s_and_saveexec_b32 s60, s82
	s_cbranch_execz .LBB172_106
; %bb.105:                              ;   in Loop: Header=BB172_3 Depth=1
	ds_load_b128 v[22:25], v53
	ds_load_b128 v[70:73], v54 offset:10496
	s_wait_dscnt 0x0
	v_mul_f64_e32 v[4:5], v[24:25], v[72:73]
	v_mul_f64_e32 v[72:73], v[22:23], v[72:73]
	s_delay_alu instid0(VALU_DEP_2) | instskip(NEXT) | instid1(VALU_DEP_2)
	v_fma_f64 v[4:5], v[22:23], v[70:71], -v[4:5]
	v_fmac_f64_e32 v[72:73], v[24:25], v[70:71]
	s_delay_alu instid0(VALU_DEP_2) | instskip(NEXT) | instid1(VALU_DEP_2)
	v_add_f64_e64 v[18:19], v[18:19], -v[4:5]
	v_add_f64_e64 v[20:21], v[20:21], -v[72:73]
.LBB172_106:                            ;   in Loop: Header=BB172_3 Depth=1
	s_or_b32 exec_lo, exec_lo, s60
	s_barrier_signal -1
	s_barrier_wait -1
	s_and_saveexec_b32 s60, s83
	s_cbranch_execz .LBB172_108
; %bb.107:                              ;   in Loop: Header=BB172_3 Depth=1
	ds_load_b128 v[22:25], v2 offset:10032
	s_wait_dscnt 0x0
	v_mul_f64_e32 v[70:71], v[18:19], v[24:25]
	s_delay_alu instid0(VALU_DEP_1) | instskip(NEXT) | instid1(VALU_DEP_1)
	v_fmac_f64_e32 v[70:71], v[20:21], v[22:23]
	v_dual_mul_f64 v[4:5], v[20:21], v[24:25] :: v_dual_mov_b32 v24, v70
	s_delay_alu instid0(VALU_DEP_1) | instskip(NEXT) | instid1(VALU_DEP_3)
	v_fma_f64 v[4:5], v[18:19], v[22:23], -v[4:5]
	v_mov_b64_e32 v[20:21], v[70:71]
	v_xor_b32_e32 v25, 0x80000000, v71
	s_delay_alu instid0(VALU_DEP_3)
	v_mov_b64_e32 v[18:19], v[4:5]
	v_xor_b32_e32 v23, 0x80000000, v5
	v_mov_b32_e32 v22, v4
	ds_store_b128 v53, v[22:25]
.LBB172_108:                            ;   in Loop: Header=BB172_3 Depth=1
	;; [unrolled: 41-line block ×5, first 2 shown]
	s_or_b32 exec_lo, exec_lo, s60
	s_wait_dscnt 0x0
	s_barrier_signal -1
	s_barrier_wait -1
	s_barrier_signal -1
	s_barrier_wait -1
	s_and_saveexec_b32 s60, s5
; %bb.121:                              ;   in Loop: Header=BB172_3 Depth=1
	ds_store_b128 v56, v[18:21] offset:16128
; %bb.122:                              ;   in Loop: Header=BB172_3 Depth=1
	s_or_b32 exec_lo, exec_lo, s60
	s_wait_dscnt 0x0
	s_barrier_signal -1
	s_barrier_wait -1
	s_barrier_signal -1
	s_barrier_wait -1
	s_and_saveexec_b32 s60, s1
	s_cbranch_execz .LBB172_124
; %bb.123:                              ;   in Loop: Header=BB172_3 Depth=1
	ds_load_b128 v[18:21], v2 offset:12144
	ds_load_b128 v[22:25], v2 offset:11616
	;; [unrolled: 1-line block ×3, first 2 shown]
	s_wait_dscnt 0x1
	v_mul_f64_e32 v[4:5], v[18:19], v[24:25]
	v_mul_f64_e32 v[24:25], v[20:21], v[24:25]
	s_delay_alu instid0(VALU_DEP_2) | instskip(NEXT) | instid1(VALU_DEP_2)
	v_fmac_f64_e32 v[4:5], v[20:21], v[22:23]
	v_fma_f64 v[18:19], v[18:19], v[22:23], -v[24:25]
	s_wait_dscnt 0x0
	s_delay_alu instid0(VALU_DEP_2) | instskip(NEXT) | instid1(VALU_DEP_2)
	v_mul_f64_e32 v[22:23], v[4:5], v[72:73]
	v_mul_f64_e32 v[20:21], v[18:19], v[72:73]
	s_delay_alu instid0(VALU_DEP_2) | instskip(NEXT) | instid1(VALU_DEP_2)
	v_fma_f64 v[18:19], v[70:71], v[18:19], -v[22:23]
	v_fmac_f64_e32 v[20:21], v[70:71], v[4:5]
	ds_store_b128 v2, v[18:21] offset:12128
.LBB172_124:                            ;   in Loop: Header=BB172_3 Depth=1
	s_or_b32 exec_lo, exec_lo, s60
	v_mov_b64_e32 v[18:19], 0
	v_mov_b64_e32 v[20:21], 0
	s_wait_dscnt 0x0
	s_barrier_signal -1
	s_barrier_wait -1
	global_wb scope:SCOPE_DEV
	s_wait_storecnt 0x0
	global_inv scope:SCOPE_DEV
	s_and_saveexec_b32 s60, s2
	s_cbranch_execz .LBB172_128
; %bb.125:                              ;   in Loop: Header=BB172_3 Depth=1
	ds_load_b128 v[18:21], v46 offset:12128
	ds_load_b128 v[22:25], v45 offset:11584
	s_wait_dscnt 0x0
	v_mul_f64_e32 v[4:5], v[20:21], v[24:25]
	v_mul_f64_e32 v[24:25], v[18:19], v[24:25]
	s_delay_alu instid0(VALU_DEP_2) | instskip(NEXT) | instid1(VALU_DEP_2)
	v_fma_f64 v[4:5], v[18:19], v[22:23], -v[4:5]
	v_fmac_f64_e32 v[24:25], v[20:21], v[22:23]
	s_delay_alu instid0(VALU_DEP_2) | instskip(NEXT) | instid1(VALU_DEP_2)
	v_add_f64_e32 v[18:19], 0, v[4:5]
	v_add_f64_e32 v[20:21], 0, v[24:25]
	s_and_saveexec_b32 s61, s3
	s_cbranch_execz .LBB172_127
; %bb.126:                              ;   in Loop: Header=BB172_3 Depth=1
	ds_load_b128 v[22:25], v2 offset:12144
	ds_load_b128 v[70:73], v47 offset:12096
	s_wait_dscnt 0x0
	v_mul_f64_e32 v[4:5], v[24:25], v[72:73]
	v_mul_f64_e32 v[72:73], v[22:23], v[72:73]
	s_delay_alu instid0(VALU_DEP_2) | instskip(NEXT) | instid1(VALU_DEP_2)
	v_fma_f64 v[4:5], v[22:23], v[70:71], -v[4:5]
	v_fmac_f64_e32 v[72:73], v[24:25], v[70:71]
	s_delay_alu instid0(VALU_DEP_2) | instskip(NEXT) | instid1(VALU_DEP_2)
	v_add_f64_e32 v[18:19], v[18:19], v[4:5]
	v_add_f64_e32 v[20:21], v[20:21], v[72:73]
.LBB172_127:                            ;   in Loop: Header=BB172_3 Depth=1
	s_or_b32 exec_lo, exec_lo, s61
.LBB172_128:                            ;   in Loop: Header=BB172_3 Depth=1
	s_delay_alu instid0(SALU_CYCLE_1)
	s_or_b32 exec_lo, exec_lo, s60
	s_and_saveexec_b32 s60, s67
	s_cbranch_execz .LBB172_130
; %bb.129:                              ;   in Loop: Header=BB172_3 Depth=1
	ds_load_b128 v[22:25], v2 offset:11088
	s_wait_dscnt 0x0
	v_mul_f64_e32 v[70:71], v[18:19], v[24:25]
	s_delay_alu instid0(VALU_DEP_1) | instskip(NEXT) | instid1(VALU_DEP_1)
	v_fmac_f64_e32 v[70:71], v[20:21], v[22:23]
	v_dual_mul_f64 v[4:5], v[20:21], v[24:25] :: v_dual_mov_b32 v24, v70
	s_delay_alu instid0(VALU_DEP_1) | instskip(NEXT) | instid1(VALU_DEP_3)
	v_fma_f64 v[4:5], v[18:19], v[22:23], -v[4:5]
	v_mov_b64_e32 v[20:21], v[70:71]
	v_xor_b32_e32 v25, 0x80000000, v71
	s_delay_alu instid0(VALU_DEP_3)
	v_mov_b64_e32 v[18:19], v[4:5]
	v_xor_b32_e32 v23, 0x80000000, v5
	v_mov_b32_e32 v22, v4
	ds_store_b128 v27, v[22:25]
.LBB172_130:                            ;   in Loop: Header=BB172_3 Depth=1
	s_or_b32 exec_lo, exec_lo, s60
	s_wait_loadcnt_dscnt 0x0
	s_barrier_signal -1
	s_barrier_wait -1
	s_and_saveexec_b32 s60, s68
	s_cbranch_execz .LBB172_132
; %bb.131:                              ;   in Loop: Header=BB172_3 Depth=1
	ds_load_b128 v[22:25], v27
	ds_load_b128 v[70:73], v2 offset:11072
	s_wait_dscnt 0x0
	v_mul_f64_e32 v[4:5], v[24:25], v[72:73]
	v_mul_f64_e32 v[72:73], v[22:23], v[72:73]
	s_delay_alu instid0(VALU_DEP_2) | instskip(NEXT) | instid1(VALU_DEP_2)
	v_fma_f64 v[4:5], v[22:23], v[70:71], -v[4:5]
	v_fmac_f64_e32 v[72:73], v[24:25], v[70:71]
	s_delay_alu instid0(VALU_DEP_2) | instskip(NEXT) | instid1(VALU_DEP_2)
	v_add_f64_e64 v[18:19], v[18:19], -v[4:5]
	v_add_f64_e64 v[20:21], v[20:21], -v[72:73]
.LBB172_132:                            ;   in Loop: Header=BB172_3 Depth=1
	s_or_b32 exec_lo, exec_lo, s60
	s_barrier_signal -1
	s_barrier_wait -1
	s_and_saveexec_b32 s60, s68
	s_cbranch_execz .LBB172_134
; %bb.133:                              ;   in Loop: Header=BB172_3 Depth=1
	ds_load_b128 v[22:25], v2 offset:10560
	s_wait_dscnt 0x0
	v_mul_f64_e32 v[70:71], v[18:19], v[24:25]
	s_delay_alu instid0(VALU_DEP_1) | instskip(NEXT) | instid1(VALU_DEP_1)
	v_fmac_f64_e32 v[70:71], v[20:21], v[22:23]
	v_dual_mul_f64 v[4:5], v[20:21], v[24:25] :: v_dual_mov_b32 v24, v70
	s_delay_alu instid0(VALU_DEP_1) | instskip(NEXT) | instid1(VALU_DEP_3)
	v_fma_f64 v[4:5], v[18:19], v[22:23], -v[4:5]
	v_mov_b64_e32 v[20:21], v[70:71]
	v_xor_b32_e32 v25, 0x80000000, v71
	s_delay_alu instid0(VALU_DEP_3)
	v_mov_b64_e32 v[18:19], v[4:5]
	v_xor_b32_e32 v23, 0x80000000, v5
	v_mov_b32_e32 v22, v4
	ds_store_b128 v27, v[22:25]
.LBB172_134:                            ;   in Loop: Header=BB172_3 Depth=1
	s_or_b32 exec_lo, exec_lo, s60
	s_wait_dscnt 0x0
	s_barrier_signal -1
	s_barrier_wait -1
	s_barrier_signal -1
	s_barrier_wait -1
	s_and_saveexec_b32 s60, s2
; %bb.135:                              ;   in Loop: Header=BB172_3 Depth=1
	ds_store_b128 v48, v[18:21] offset:12096
; %bb.136:                              ;   in Loop: Header=BB172_3 Depth=1
	s_or_b32 exec_lo, exec_lo, s60
	s_wait_dscnt 0x0
	s_barrier_signal -1
	s_barrier_wait -1
	s_barrier_signal -1
	s_barrier_wait -1
	s_and_saveexec_b32 s60, s1
	s_cbranch_execz .LBB172_138
; %bb.137:                              ;   in Loop: Header=BB172_3 Depth=1
	ds_load_b128 v[18:21], v2 offset:11088
	ds_load_b128 v[22:25], v2 offset:10560
	;; [unrolled: 1-line block ×3, first 2 shown]
	s_wait_dscnt 0x1
	v_mul_f64_e32 v[4:5], v[18:19], v[24:25]
	v_mul_f64_e32 v[24:25], v[20:21], v[24:25]
	s_delay_alu instid0(VALU_DEP_2) | instskip(NEXT) | instid1(VALU_DEP_2)
	v_fmac_f64_e32 v[4:5], v[20:21], v[22:23]
	v_fma_f64 v[18:19], v[18:19], v[22:23], -v[24:25]
	s_wait_dscnt 0x0
	s_delay_alu instid0(VALU_DEP_2) | instskip(NEXT) | instid1(VALU_DEP_2)
	v_mul_f64_e32 v[22:23], v[4:5], v[72:73]
	v_mul_f64_e32 v[20:21], v[18:19], v[72:73]
	s_delay_alu instid0(VALU_DEP_2) | instskip(NEXT) | instid1(VALU_DEP_2)
	v_fma_f64 v[18:19], v[70:71], v[18:19], -v[22:23]
	v_fmac_f64_e32 v[20:21], v[70:71], v[4:5]
	ds_store_b128 v2, v[18:21] offset:11072
.LBB172_138:                            ;   in Loop: Header=BB172_3 Depth=1
	s_or_b32 exec_lo, exec_lo, s60
	v_mov_b64_e32 v[20:21], 0
	v_mov_b64_e32 v[18:19], 0
	s_wait_dscnt 0x0
	s_barrier_signal -1
	s_barrier_wait -1
	global_wb scope:SCOPE_DEV
	s_wait_storecnt 0x0
	global_inv scope:SCOPE_DEV
	s_and_saveexec_b32 s60, s4
	s_cbranch_execz .LBB172_144
; %bb.139:                              ;   in Loop: Header=BB172_3 Depth=1
	ds_load_b128 v[18:21], v51 offset:12096
	ds_load_b128 v[22:25], v50 offset:10496
	s_wait_dscnt 0x0
	v_mul_f64_e32 v[4:5], v[20:21], v[24:25]
	v_mul_f64_e32 v[24:25], v[18:19], v[24:25]
	s_delay_alu instid0(VALU_DEP_2) | instskip(NEXT) | instid1(VALU_DEP_2)
	v_fma_f64 v[4:5], v[18:19], v[22:23], -v[4:5]
	v_fmac_f64_e32 v[24:25], v[20:21], v[22:23]
	s_delay_alu instid0(VALU_DEP_2) | instskip(NEXT) | instid1(VALU_DEP_2)
	v_add_f64_e32 v[18:19], 0, v[4:5]
	v_add_f64_e32 v[20:21], 0, v[24:25]
	s_and_saveexec_b32 s61, s12
	s_cbranch_execnz .LBB172_528
; %bb.140:                              ;   in Loop: Header=BB172_3 Depth=1
	s_or_b32 exec_lo, exec_lo, s61
	s_and_saveexec_b32 s61, s13
	s_cbranch_execnz .LBB172_529
.LBB172_141:                            ;   in Loop: Header=BB172_3 Depth=1
	s_or_b32 exec_lo, exec_lo, s61
	s_and_saveexec_b32 s61, s2
	s_cbranch_execz .LBB172_143
.LBB172_142:                            ;   in Loop: Header=BB172_3 Depth=1
	ds_load_b128 v[22:25], v2 offset:12144
	ds_load_b128 v[70:73], v47 offset:12032
	s_wait_dscnt 0x0
	v_mul_f64_e32 v[4:5], v[24:25], v[72:73]
	v_mul_f64_e32 v[72:73], v[22:23], v[72:73]
	s_delay_alu instid0(VALU_DEP_2) | instskip(NEXT) | instid1(VALU_DEP_2)
	v_fma_f64 v[4:5], v[22:23], v[70:71], -v[4:5]
	v_fmac_f64_e32 v[72:73], v[24:25], v[70:71]
	s_delay_alu instid0(VALU_DEP_2) | instskip(NEXT) | instid1(VALU_DEP_2)
	v_add_f64_e32 v[18:19], v[18:19], v[4:5]
	v_add_f64_e32 v[20:21], v[20:21], v[72:73]
.LBB172_143:                            ;   in Loop: Header=BB172_3 Depth=1
	s_or_b32 exec_lo, exec_lo, s61
.LBB172_144:                            ;   in Loop: Header=BB172_3 Depth=1
	s_delay_alu instid0(SALU_CYCLE_1)
	s_or_b32 exec_lo, exec_lo, s60
	s_and_saveexec_b32 s60, s69
	s_cbranch_execz .LBB172_146
; %bb.145:                              ;   in Loop: Header=BB172_3 Depth=1
	ds_load_b128 v[22:25], v2 offset:10032
	s_wait_dscnt 0x0
	v_mul_f64_e32 v[70:71], v[18:19], v[24:25]
	s_delay_alu instid0(VALU_DEP_1) | instskip(NEXT) | instid1(VALU_DEP_1)
	v_fmac_f64_e32 v[70:71], v[20:21], v[22:23]
	v_dual_mul_f64 v[4:5], v[20:21], v[24:25] :: v_dual_mov_b32 v24, v70
	s_delay_alu instid0(VALU_DEP_1) | instskip(NEXT) | instid1(VALU_DEP_3)
	v_fma_f64 v[4:5], v[18:19], v[22:23], -v[4:5]
	v_mov_b64_e32 v[20:21], v[70:71]
	v_xor_b32_e32 v25, 0x80000000, v71
	s_delay_alu instid0(VALU_DEP_3)
	v_mov_b64_e32 v[18:19], v[4:5]
	v_xor_b32_e32 v23, 0x80000000, v5
	v_mov_b32_e32 v22, v4
	ds_store_b128 v49, v[22:25]
.LBB172_146:                            ;   in Loop: Header=BB172_3 Depth=1
	s_or_b32 exec_lo, exec_lo, s60
	s_wait_loadcnt_dscnt 0x0
	s_barrier_signal -1
	s_barrier_wait -1
	s_and_saveexec_b32 s60, s70
	s_cbranch_execz .LBB172_148
; %bb.147:                              ;   in Loop: Header=BB172_3 Depth=1
	ds_load_b128 v[22:25], v49
	ds_load_b128 v[70:73], v50 offset:9984
	s_wait_dscnt 0x0
	v_mul_f64_e32 v[4:5], v[24:25], v[72:73]
	v_mul_f64_e32 v[72:73], v[22:23], v[72:73]
	s_delay_alu instid0(VALU_DEP_2) | instskip(NEXT) | instid1(VALU_DEP_2)
	v_fma_f64 v[4:5], v[22:23], v[70:71], -v[4:5]
	v_fmac_f64_e32 v[72:73], v[24:25], v[70:71]
	s_delay_alu instid0(VALU_DEP_2) | instskip(NEXT) | instid1(VALU_DEP_2)
	v_add_f64_e64 v[18:19], v[18:19], -v[4:5]
	v_add_f64_e64 v[20:21], v[20:21], -v[72:73]
.LBB172_148:                            ;   in Loop: Header=BB172_3 Depth=1
	s_or_b32 exec_lo, exec_lo, s60
	s_barrier_signal -1
	s_barrier_wait -1
	s_and_saveexec_b32 s60, s71
	s_cbranch_execz .LBB172_150
; %bb.149:                              ;   in Loop: Header=BB172_3 Depth=1
	ds_load_b128 v[22:25], v2 offset:9504
	s_wait_dscnt 0x0
	v_mul_f64_e32 v[70:71], v[18:19], v[24:25]
	s_delay_alu instid0(VALU_DEP_1) | instskip(NEXT) | instid1(VALU_DEP_1)
	v_fmac_f64_e32 v[70:71], v[20:21], v[22:23]
	v_dual_mul_f64 v[4:5], v[20:21], v[24:25] :: v_dual_mov_b32 v24, v70
	s_delay_alu instid0(VALU_DEP_1) | instskip(NEXT) | instid1(VALU_DEP_3)
	v_fma_f64 v[4:5], v[18:19], v[22:23], -v[4:5]
	v_mov_b64_e32 v[20:21], v[70:71]
	v_xor_b32_e32 v25, 0x80000000, v71
	s_delay_alu instid0(VALU_DEP_3)
	v_mov_b64_e32 v[18:19], v[4:5]
	v_xor_b32_e32 v23, 0x80000000, v5
	v_mov_b32_e32 v22, v4
	ds_store_b128 v49, v[22:25]
.LBB172_150:                            ;   in Loop: Header=BB172_3 Depth=1
	s_or_b32 exec_lo, exec_lo, s60
	s_wait_dscnt 0x0
	s_barrier_signal -1
	s_barrier_wait -1
	s_and_saveexec_b32 s60, s72
	s_cbranch_execz .LBB172_152
; %bb.151:                              ;   in Loop: Header=BB172_3 Depth=1
	ds_load_b128 v[22:25], v49
	ds_load_b128 v[70:73], v50 offset:9472
	s_wait_dscnt 0x0
	v_mul_f64_e32 v[4:5], v[24:25], v[72:73]
	v_mul_f64_e32 v[72:73], v[22:23], v[72:73]
	s_delay_alu instid0(VALU_DEP_2) | instskip(NEXT) | instid1(VALU_DEP_2)
	v_fma_f64 v[4:5], v[22:23], v[70:71], -v[4:5]
	v_fmac_f64_e32 v[72:73], v[24:25], v[70:71]
	s_delay_alu instid0(VALU_DEP_2) | instskip(NEXT) | instid1(VALU_DEP_2)
	v_add_f64_e64 v[18:19], v[18:19], -v[4:5]
	v_add_f64_e64 v[20:21], v[20:21], -v[72:73]
.LBB172_152:                            ;   in Loop: Header=BB172_3 Depth=1
	s_or_b32 exec_lo, exec_lo, s60
	s_barrier_signal -1
	s_barrier_wait -1
	s_and_saveexec_b32 s60, s73
	s_cbranch_execz .LBB172_154
; %bb.153:                              ;   in Loop: Header=BB172_3 Depth=1
	ds_load_b128 v[22:25], v2 offset:8976
	s_wait_dscnt 0x0
	v_mul_f64_e32 v[70:71], v[18:19], v[24:25]
	s_delay_alu instid0(VALU_DEP_1) | instskip(NEXT) | instid1(VALU_DEP_1)
	v_fmac_f64_e32 v[70:71], v[20:21], v[22:23]
	v_dual_mul_f64 v[4:5], v[20:21], v[24:25] :: v_dual_mov_b32 v24, v70
	s_delay_alu instid0(VALU_DEP_1) | instskip(NEXT) | instid1(VALU_DEP_3)
	v_fma_f64 v[4:5], v[18:19], v[22:23], -v[4:5]
	v_mov_b64_e32 v[20:21], v[70:71]
	v_xor_b32_e32 v25, 0x80000000, v71
	s_delay_alu instid0(VALU_DEP_3)
	v_mov_b64_e32 v[18:19], v[4:5]
	v_xor_b32_e32 v23, 0x80000000, v5
	v_mov_b32_e32 v22, v4
	ds_store_b128 v49, v[22:25]
.LBB172_154:                            ;   in Loop: Header=BB172_3 Depth=1
	s_or_b32 exec_lo, exec_lo, s60
	s_wait_dscnt 0x0
	;; [unrolled: 41-line block ×3, first 2 shown]
	s_barrier_signal -1
	s_barrier_wait -1
	s_barrier_signal -1
	s_barrier_wait -1
	s_and_saveexec_b32 s60, s4
; %bb.159:                              ;   in Loop: Header=BB172_3 Depth=1
	ds_store_b128 v52, v[18:21] offset:12032
; %bb.160:                              ;   in Loop: Header=BB172_3 Depth=1
	s_or_b32 exec_lo, exec_lo, s60
	s_wait_dscnt 0x0
	s_barrier_signal -1
	s_barrier_wait -1
	s_barrier_signal -1
	s_barrier_wait -1
	s_and_saveexec_b32 s60, s1
	s_cbranch_execz .LBB172_162
; %bb.161:                              ;   in Loop: Header=BB172_3 Depth=1
	ds_load_b128 v[18:21], v2 offset:10032
	ds_load_b128 v[22:25], v2 offset:9504
	;; [unrolled: 1-line block ×3, first 2 shown]
	s_wait_dscnt 0x1
	v_mul_f64_e32 v[4:5], v[18:19], v[24:25]
	v_mul_f64_e32 v[24:25], v[20:21], v[24:25]
	s_delay_alu instid0(VALU_DEP_2) | instskip(NEXT) | instid1(VALU_DEP_2)
	v_fmac_f64_e32 v[4:5], v[20:21], v[22:23]
	v_fma_f64 v[18:19], v[18:19], v[22:23], -v[24:25]
	s_wait_dscnt 0x0
	s_delay_alu instid0(VALU_DEP_2) | instskip(NEXT) | instid1(VALU_DEP_2)
	v_mul_f64_e32 v[22:23], v[4:5], v[72:73]
	v_mul_f64_e32 v[20:21], v[18:19], v[72:73]
	s_delay_alu instid0(VALU_DEP_2) | instskip(NEXT) | instid1(VALU_DEP_2)
	v_fma_f64 v[18:19], v[70:71], v[18:19], -v[22:23]
	v_fmac_f64_e32 v[20:21], v[70:71], v[4:5]
	ds_store_b128 v2, v[18:21] offset:10016
.LBB172_162:                            ;   in Loop: Header=BB172_3 Depth=1
	s_or_b32 exec_lo, exec_lo, s60
	v_mov_b64_e32 v[18:19], 0
	v_mov_b64_e32 v[20:21], 0
	s_wait_dscnt 0x0
	s_barrier_signal -1
	s_barrier_wait -1
	global_wb scope:SCOPE_DEV
	s_wait_storecnt 0x0
	global_inv scope:SCOPE_DEV
	s_and_saveexec_b32 s60, s2
	s_cbranch_execz .LBB172_166
; %bb.163:                              ;   in Loop: Header=BB172_3 Depth=1
	ds_load_b128 v[18:21], v46 offset:10016
	ds_load_b128 v[22:25], v45 offset:9472
	s_wait_dscnt 0x0
	v_mul_f64_e32 v[4:5], v[20:21], v[24:25]
	v_mul_f64_e32 v[24:25], v[18:19], v[24:25]
	s_delay_alu instid0(VALU_DEP_2) | instskip(NEXT) | instid1(VALU_DEP_2)
	v_fma_f64 v[4:5], v[18:19], v[22:23], -v[4:5]
	v_fmac_f64_e32 v[24:25], v[20:21], v[22:23]
	s_delay_alu instid0(VALU_DEP_2) | instskip(NEXT) | instid1(VALU_DEP_2)
	v_add_f64_e32 v[18:19], 0, v[4:5]
	v_add_f64_e32 v[20:21], 0, v[24:25]
	s_and_saveexec_b32 s61, s3
	s_cbranch_execz .LBB172_165
; %bb.164:                              ;   in Loop: Header=BB172_3 Depth=1
	ds_load_b128 v[22:25], v2 offset:10032
	ds_load_b128 v[70:73], v47 offset:9984
	s_wait_dscnt 0x0
	v_mul_f64_e32 v[4:5], v[24:25], v[72:73]
	v_mul_f64_e32 v[72:73], v[22:23], v[72:73]
	s_delay_alu instid0(VALU_DEP_2) | instskip(NEXT) | instid1(VALU_DEP_2)
	v_fma_f64 v[4:5], v[22:23], v[70:71], -v[4:5]
	v_fmac_f64_e32 v[72:73], v[24:25], v[70:71]
	s_delay_alu instid0(VALU_DEP_2) | instskip(NEXT) | instid1(VALU_DEP_2)
	v_add_f64_e32 v[18:19], v[18:19], v[4:5]
	v_add_f64_e32 v[20:21], v[20:21], v[72:73]
.LBB172_165:                            ;   in Loop: Header=BB172_3 Depth=1
	s_or_b32 exec_lo, exec_lo, s61
.LBB172_166:                            ;   in Loop: Header=BB172_3 Depth=1
	s_delay_alu instid0(SALU_CYCLE_1)
	s_or_b32 exec_lo, exec_lo, s60
	s_and_saveexec_b32 s60, s67
	s_cbranch_execz .LBB172_168
; %bb.167:                              ;   in Loop: Header=BB172_3 Depth=1
	ds_load_b128 v[22:25], v2 offset:8976
	s_wait_dscnt 0x0
	v_mul_f64_e32 v[70:71], v[18:19], v[24:25]
	s_delay_alu instid0(VALU_DEP_1) | instskip(NEXT) | instid1(VALU_DEP_1)
	v_fmac_f64_e32 v[70:71], v[20:21], v[22:23]
	v_dual_mul_f64 v[4:5], v[20:21], v[24:25] :: v_dual_mov_b32 v24, v70
	s_delay_alu instid0(VALU_DEP_1) | instskip(NEXT) | instid1(VALU_DEP_3)
	v_fma_f64 v[4:5], v[18:19], v[22:23], -v[4:5]
	v_mov_b64_e32 v[20:21], v[70:71]
	v_xor_b32_e32 v25, 0x80000000, v71
	s_delay_alu instid0(VALU_DEP_3)
	v_mov_b64_e32 v[18:19], v[4:5]
	v_xor_b32_e32 v23, 0x80000000, v5
	v_mov_b32_e32 v22, v4
	ds_store_b128 v27, v[22:25]
.LBB172_168:                            ;   in Loop: Header=BB172_3 Depth=1
	s_or_b32 exec_lo, exec_lo, s60
	s_wait_loadcnt_dscnt 0x0
	s_barrier_signal -1
	s_barrier_wait -1
	s_and_saveexec_b32 s60, s68
	s_cbranch_execz .LBB172_170
; %bb.169:                              ;   in Loop: Header=BB172_3 Depth=1
	ds_load_b128 v[22:25], v27
	ds_load_b128 v[70:73], v2 offset:8960
	s_wait_dscnt 0x0
	v_mul_f64_e32 v[4:5], v[24:25], v[72:73]
	v_mul_f64_e32 v[72:73], v[22:23], v[72:73]
	s_delay_alu instid0(VALU_DEP_2) | instskip(NEXT) | instid1(VALU_DEP_2)
	v_fma_f64 v[4:5], v[22:23], v[70:71], -v[4:5]
	v_fmac_f64_e32 v[72:73], v[24:25], v[70:71]
	s_delay_alu instid0(VALU_DEP_2) | instskip(NEXT) | instid1(VALU_DEP_2)
	v_add_f64_e64 v[18:19], v[18:19], -v[4:5]
	v_add_f64_e64 v[20:21], v[20:21], -v[72:73]
.LBB172_170:                            ;   in Loop: Header=BB172_3 Depth=1
	s_or_b32 exec_lo, exec_lo, s60
	s_barrier_signal -1
	s_barrier_wait -1
	s_and_saveexec_b32 s60, s68
	s_cbranch_execz .LBB172_172
; %bb.171:                              ;   in Loop: Header=BB172_3 Depth=1
	ds_load_b128 v[22:25], v2 offset:8448
	s_wait_dscnt 0x0
	v_mul_f64_e32 v[70:71], v[18:19], v[24:25]
	s_delay_alu instid0(VALU_DEP_1) | instskip(NEXT) | instid1(VALU_DEP_1)
	v_fmac_f64_e32 v[70:71], v[20:21], v[22:23]
	v_dual_mul_f64 v[4:5], v[20:21], v[24:25] :: v_dual_mov_b32 v24, v70
	s_delay_alu instid0(VALU_DEP_1) | instskip(NEXT) | instid1(VALU_DEP_3)
	v_fma_f64 v[4:5], v[18:19], v[22:23], -v[4:5]
	v_mov_b64_e32 v[20:21], v[70:71]
	v_xor_b32_e32 v25, 0x80000000, v71
	s_delay_alu instid0(VALU_DEP_3)
	v_mov_b64_e32 v[18:19], v[4:5]
	v_xor_b32_e32 v23, 0x80000000, v5
	v_mov_b32_e32 v22, v4
	ds_store_b128 v27, v[22:25]
.LBB172_172:                            ;   in Loop: Header=BB172_3 Depth=1
	s_or_b32 exec_lo, exec_lo, s60
	s_wait_dscnt 0x0
	s_barrier_signal -1
	s_barrier_wait -1
	s_barrier_signal -1
	s_barrier_wait -1
	s_and_saveexec_b32 s60, s2
; %bb.173:                              ;   in Loop: Header=BB172_3 Depth=1
	ds_store_b128 v48, v[18:21] offset:9984
; %bb.174:                              ;   in Loop: Header=BB172_3 Depth=1
	s_or_b32 exec_lo, exec_lo, s60
	s_wait_dscnt 0x0
	s_barrier_signal -1
	s_barrier_wait -1
	s_barrier_signal -1
	s_barrier_wait -1
	s_and_saveexec_b32 s60, s1
	s_cbranch_execz .LBB172_176
; %bb.175:                              ;   in Loop: Header=BB172_3 Depth=1
	ds_load_b128 v[18:21], v2 offset:8976
	ds_load_b128 v[22:25], v2 offset:8448
	;; [unrolled: 1-line block ×3, first 2 shown]
	s_wait_dscnt 0x1
	v_mul_f64_e32 v[4:5], v[18:19], v[24:25]
	v_mul_f64_e32 v[24:25], v[20:21], v[24:25]
	s_delay_alu instid0(VALU_DEP_2) | instskip(NEXT) | instid1(VALU_DEP_2)
	v_fmac_f64_e32 v[4:5], v[20:21], v[22:23]
	v_fma_f64 v[18:19], v[18:19], v[22:23], -v[24:25]
	s_wait_dscnt 0x0
	s_delay_alu instid0(VALU_DEP_2) | instskip(NEXT) | instid1(VALU_DEP_2)
	v_mul_f64_e32 v[22:23], v[4:5], v[72:73]
	v_mul_f64_e32 v[20:21], v[18:19], v[72:73]
	s_delay_alu instid0(VALU_DEP_2) | instskip(NEXT) | instid1(VALU_DEP_2)
	v_fma_f64 v[18:19], v[70:71], v[18:19], -v[22:23]
	v_fmac_f64_e32 v[20:21], v[70:71], v[4:5]
	ds_store_b128 v2, v[18:21] offset:8960
.LBB172_176:                            ;   in Loop: Header=BB172_3 Depth=1
	s_or_b32 exec_lo, exec_lo, s60
	v_mov_b64_e32 v[20:21], 0
	v_mov_b64_e32 v[18:19], 0
	s_wait_dscnt 0x0
	s_barrier_signal -1
	s_barrier_wait -1
	global_wb scope:SCOPE_DEV
	s_wait_storecnt 0x0
	global_inv scope:SCOPE_DEV
	s_and_saveexec_b32 s60, s6
	s_cbranch_execz .LBB172_204
; %bb.177:                              ;   in Loop: Header=BB172_3 Depth=1
	ds_load_b128 v[18:21], v59 offset:16128
	ds_load_b128 v[22:25], v58 offset:8192
	s_wait_dscnt 0x0
	v_mul_f64_e32 v[4:5], v[20:21], v[24:25]
	v_mul_f64_e32 v[24:25], v[18:19], v[24:25]
	s_delay_alu instid0(VALU_DEP_2) | instskip(NEXT) | instid1(VALU_DEP_2)
	v_fma_f64 v[4:5], v[18:19], v[22:23], -v[4:5]
	v_fmac_f64_e32 v[24:25], v[20:21], v[22:23]
	s_delay_alu instid0(VALU_DEP_2) | instskip(NEXT) | instid1(VALU_DEP_2)
	v_add_f64_e32 v[18:19], 0, v[4:5]
	v_add_f64_e32 v[20:21], 0, v[24:25]
	s_mov_b32 s61, exec_lo
	v_readlane_b32 s95, v76, 17
	s_and_b32 s95, s61, s95
	s_delay_alu instid0(SALU_CYCLE_1)
	s_mov_b32 exec_lo, s95
	s_cbranch_execz .LBB172_179
; %bb.178:                              ;   in Loop: Header=BB172_3 Depth=1
	ds_load_b128 v[22:25], v59 offset:16144
	ds_load_b128 v[70:73], v58 offset:8704
	s_wait_dscnt 0x0
	v_mul_f64_e32 v[4:5], v[24:25], v[72:73]
	v_mul_f64_e32 v[72:73], v[22:23], v[72:73]
	s_delay_alu instid0(VALU_DEP_2) | instskip(NEXT) | instid1(VALU_DEP_2)
	v_fma_f64 v[4:5], v[22:23], v[70:71], -v[4:5]
	v_fmac_f64_e32 v[72:73], v[24:25], v[70:71]
	s_delay_alu instid0(VALU_DEP_2) | instskip(NEXT) | instid1(VALU_DEP_2)
	v_add_f64_e32 v[18:19], v[18:19], v[4:5]
	v_add_f64_e32 v[20:21], v[20:21], v[72:73]
.LBB172_179:                            ;   in Loop: Header=BB172_3 Depth=1
	s_or_b32 exec_lo, exec_lo, s61
	s_delay_alu instid0(SALU_CYCLE_1) | instskip(SKIP_2) | instid1(SALU_CYCLE_1)
	s_mov_b32 s61, exec_lo
	v_readlane_b32 s95, v76, 18
	s_and_b32 s95, s61, s95
	s_mov_b32 exec_lo, s95
	s_cbranch_execz .LBB172_181
; %bb.180:                              ;   in Loop: Header=BB172_3 Depth=1
	ds_load_b128 v[22:25], v59 offset:16160
	ds_load_b128 v[70:73], v58 offset:9216
	s_wait_dscnt 0x0
	v_mul_f64_e32 v[4:5], v[24:25], v[72:73]
	v_mul_f64_e32 v[72:73], v[22:23], v[72:73]
	s_delay_alu instid0(VALU_DEP_2) | instskip(NEXT) | instid1(VALU_DEP_2)
	v_fma_f64 v[4:5], v[22:23], v[70:71], -v[4:5]
	v_fmac_f64_e32 v[72:73], v[24:25], v[70:71]
	s_delay_alu instid0(VALU_DEP_2) | instskip(NEXT) | instid1(VALU_DEP_2)
	v_add_f64_e32 v[18:19], v[18:19], v[4:5]
	v_add_f64_e32 v[20:21], v[20:21], v[72:73]
.LBB172_181:                            ;   in Loop: Header=BB172_3 Depth=1
	s_or_b32 exec_lo, exec_lo, s61
	s_delay_alu instid0(SALU_CYCLE_1) | instskip(SKIP_2) | instid1(SALU_CYCLE_1)
	s_mov_b32 s61, exec_lo
	v_readlane_b32 s95, v76, 19
	s_and_b32 s95, s61, s95
	;; [unrolled: 20-line block ×10, first 2 shown]
	s_mov_b32 exec_lo, s95
	s_cbranch_execnz .LBB172_530
; %bb.198:                              ;   in Loop: Header=BB172_3 Depth=1
	s_or_b32 exec_lo, exec_lo, s61
	s_and_saveexec_b32 s61, s5
	s_cbranch_execnz .LBB172_531
.LBB172_199:                            ;   in Loop: Header=BB172_3 Depth=1
	s_or_b32 exec_lo, exec_lo, s61
	s_and_saveexec_b32 s61, s15
	s_cbranch_execnz .LBB172_532
.LBB172_200:                            ;   in Loop: Header=BB172_3 Depth=1
	s_or_b32 exec_lo, exec_lo, s61
	s_and_saveexec_b32 s61, s17
	s_cbranch_execnz .LBB172_533
.LBB172_201:                            ;   in Loop: Header=BB172_3 Depth=1
	s_or_b32 exec_lo, exec_lo, s61
	s_and_saveexec_b32 s61, s4
	s_cbranch_execz .LBB172_203
.LBB172_202:                            ;   in Loop: Header=BB172_3 Depth=1
	ds_load_b128 v[22:25], v2 offset:16368
	ds_load_b128 v[70:73], v47 offset:15872
	s_wait_dscnt 0x0
	v_mul_f64_e32 v[4:5], v[24:25], v[72:73]
	v_mul_f64_e32 v[72:73], v[22:23], v[72:73]
	s_delay_alu instid0(VALU_DEP_2) | instskip(NEXT) | instid1(VALU_DEP_2)
	v_fma_f64 v[4:5], v[22:23], v[70:71], -v[4:5]
	v_fmac_f64_e32 v[72:73], v[24:25], v[70:71]
	s_delay_alu instid0(VALU_DEP_2) | instskip(NEXT) | instid1(VALU_DEP_2)
	v_add_f64_e32 v[18:19], v[18:19], v[4:5]
	v_add_f64_e32 v[20:21], v[20:21], v[72:73]
.LBB172_203:                            ;   in Loop: Header=BB172_3 Depth=1
	s_or_b32 exec_lo, exec_lo, s61
.LBB172_204:                            ;   in Loop: Header=BB172_3 Depth=1
	s_delay_alu instid0(SALU_CYCLE_1) | instskip(NEXT) | instid1(SALU_CYCLE_1)
	s_or_b32 exec_lo, exec_lo, s60
	s_mov_b32 s60, exec_lo
	v_readlane_b32 s61, v76, 0
	s_and_b32 s61, s60, s61
	s_delay_alu instid0(SALU_CYCLE_1)
	s_mov_b32 exec_lo, s61
	s_cbranch_execz .LBB172_206
; %bb.205:                              ;   in Loop: Header=BB172_3 Depth=1
	ds_load_b128 v[22:25], v2 offset:7920
	s_wait_dscnt 0x0
	v_mul_f64_e32 v[70:71], v[18:19], v[24:25]
	s_delay_alu instid0(VALU_DEP_1) | instskip(NEXT) | instid1(VALU_DEP_1)
	v_fmac_f64_e32 v[70:71], v[20:21], v[22:23]
	v_dual_mul_f64 v[4:5], v[20:21], v[24:25] :: v_dual_mov_b32 v24, v70
	s_delay_alu instid0(VALU_DEP_1) | instskip(NEXT) | instid1(VALU_DEP_3)
	v_fma_f64 v[4:5], v[18:19], v[22:23], -v[4:5]
	v_mov_b64_e32 v[20:21], v[70:71]
	v_xor_b32_e32 v25, 0x80000000, v71
	s_delay_alu instid0(VALU_DEP_3)
	v_mov_b64_e32 v[18:19], v[4:5]
	v_xor_b32_e32 v23, 0x80000000, v5
	v_mov_b32_e32 v22, v4
	ds_store_b128 v57, v[22:25]
.LBB172_206:                            ;   in Loop: Header=BB172_3 Depth=1
	s_or_b32 exec_lo, exec_lo, s60
	s_wait_loadcnt_dscnt 0x0
	s_barrier_signal -1
	s_barrier_wait -1
	s_mov_b32 s60, exec_lo
	v_readlane_b32 s61, v76, 1
	s_and_b32 s61, s60, s61
	s_delay_alu instid0(SALU_CYCLE_1)
	s_mov_b32 exec_lo, s61
	s_cbranch_execz .LBB172_208
; %bb.207:                              ;   in Loop: Header=BB172_3 Depth=1
	ds_load_b128 v[22:25], v57
	ds_load_b128 v[70:73], v58 offset:7680
	s_wait_dscnt 0x0
	v_mul_f64_e32 v[4:5], v[24:25], v[72:73]
	v_mul_f64_e32 v[72:73], v[22:23], v[72:73]
	s_delay_alu instid0(VALU_DEP_2) | instskip(NEXT) | instid1(VALU_DEP_2)
	v_fma_f64 v[4:5], v[22:23], v[70:71], -v[4:5]
	v_fmac_f64_e32 v[72:73], v[24:25], v[70:71]
	s_delay_alu instid0(VALU_DEP_2) | instskip(NEXT) | instid1(VALU_DEP_2)
	v_add_f64_e64 v[18:19], v[18:19], -v[4:5]
	v_add_f64_e64 v[20:21], v[20:21], -v[72:73]
.LBB172_208:                            ;   in Loop: Header=BB172_3 Depth=1
	s_or_b32 exec_lo, exec_lo, s60
	s_barrier_signal -1
	s_barrier_wait -1
	s_mov_b32 s60, exec_lo
	v_readlane_b32 s61, v76, 2
	s_and_b32 s61, s60, s61
	s_delay_alu instid0(SALU_CYCLE_1)
	s_mov_b32 exec_lo, s61
	s_cbranch_execz .LBB172_210
; %bb.209:                              ;   in Loop: Header=BB172_3 Depth=1
	ds_load_b128 v[22:25], v2 offset:7392
	s_wait_dscnt 0x0
	v_mul_f64_e32 v[70:71], v[18:19], v[24:25]
	s_delay_alu instid0(VALU_DEP_1) | instskip(NEXT) | instid1(VALU_DEP_1)
	v_fmac_f64_e32 v[70:71], v[20:21], v[22:23]
	v_dual_mul_f64 v[4:5], v[20:21], v[24:25] :: v_dual_mov_b32 v24, v70
	s_delay_alu instid0(VALU_DEP_1) | instskip(NEXT) | instid1(VALU_DEP_3)
	v_fma_f64 v[4:5], v[18:19], v[22:23], -v[4:5]
	v_mov_b64_e32 v[20:21], v[70:71]
	v_xor_b32_e32 v25, 0x80000000, v71
	s_delay_alu instid0(VALU_DEP_3)
	v_mov_b64_e32 v[18:19], v[4:5]
	v_xor_b32_e32 v23, 0x80000000, v5
	v_mov_b32_e32 v22, v4
	ds_store_b128 v57, v[22:25]
.LBB172_210:                            ;   in Loop: Header=BB172_3 Depth=1
	s_or_b32 exec_lo, exec_lo, s60
	s_wait_dscnt 0x0
	s_barrier_signal -1
	s_barrier_wait -1
	s_mov_b32 s60, exec_lo
	v_readlane_b32 s61, v76, 3
	s_and_b32 s61, s60, s61
	s_delay_alu instid0(SALU_CYCLE_1)
	s_mov_b32 exec_lo, s61
	s_cbranch_execz .LBB172_212
; %bb.211:                              ;   in Loop: Header=BB172_3 Depth=1
	ds_load_b128 v[22:25], v57
	ds_load_b128 v[70:73], v58 offset:7168
	s_wait_dscnt 0x0
	v_mul_f64_e32 v[4:5], v[24:25], v[72:73]
	v_mul_f64_e32 v[72:73], v[22:23], v[72:73]
	s_delay_alu instid0(VALU_DEP_2) | instskip(NEXT) | instid1(VALU_DEP_2)
	v_fma_f64 v[4:5], v[22:23], v[70:71], -v[4:5]
	v_fmac_f64_e32 v[72:73], v[24:25], v[70:71]
	s_delay_alu instid0(VALU_DEP_2) | instskip(NEXT) | instid1(VALU_DEP_2)
	v_add_f64_e64 v[18:19], v[18:19], -v[4:5]
	v_add_f64_e64 v[20:21], v[20:21], -v[72:73]
.LBB172_212:                            ;   in Loop: Header=BB172_3 Depth=1
	s_or_b32 exec_lo, exec_lo, s60
	s_barrier_signal -1
	s_barrier_wait -1
	s_mov_b32 s60, exec_lo
	v_readlane_b32 s61, v76, 4
	s_and_b32 s61, s60, s61
	s_delay_alu instid0(SALU_CYCLE_1)
	s_mov_b32 exec_lo, s61
	s_cbranch_execz .LBB172_214
; %bb.213:                              ;   in Loop: Header=BB172_3 Depth=1
	ds_load_b128 v[22:25], v2 offset:6864
	s_wait_dscnt 0x0
	v_mul_f64_e32 v[70:71], v[18:19], v[24:25]
	s_delay_alu instid0(VALU_DEP_1) | instskip(NEXT) | instid1(VALU_DEP_1)
	v_fmac_f64_e32 v[70:71], v[20:21], v[22:23]
	v_dual_mul_f64 v[4:5], v[20:21], v[24:25] :: v_dual_mov_b32 v24, v70
	s_delay_alu instid0(VALU_DEP_1) | instskip(NEXT) | instid1(VALU_DEP_3)
	v_fma_f64 v[4:5], v[18:19], v[22:23], -v[4:5]
	v_mov_b64_e32 v[20:21], v[70:71]
	v_xor_b32_e32 v25, 0x80000000, v71
	s_delay_alu instid0(VALU_DEP_3)
	v_mov_b64_e32 v[18:19], v[4:5]
	v_xor_b32_e32 v23, 0x80000000, v5
	v_mov_b32_e32 v22, v4
	ds_store_b128 v57, v[22:25]
.LBB172_214:                            ;   in Loop: Header=BB172_3 Depth=1
	s_or_b32 exec_lo, exec_lo, s60
	s_wait_dscnt 0x0
	;; [unrolled: 49-line block ×5, first 2 shown]
	s_barrier_signal -1
	s_barrier_wait -1
	s_mov_b32 s60, exec_lo
	v_readlane_b32 s61, v76, 11
	s_and_b32 s61, s60, s61
	s_delay_alu instid0(SALU_CYCLE_1)
	s_mov_b32 exec_lo, s61
	s_cbranch_execz .LBB172_228
; %bb.227:                              ;   in Loop: Header=BB172_3 Depth=1
	ds_load_b128 v[22:25], v57
	ds_load_b128 v[70:73], v58 offset:5120
	s_wait_dscnt 0x0
	v_mul_f64_e32 v[4:5], v[24:25], v[72:73]
	v_mul_f64_e32 v[72:73], v[22:23], v[72:73]
	s_delay_alu instid0(VALU_DEP_2) | instskip(NEXT) | instid1(VALU_DEP_2)
	v_fma_f64 v[4:5], v[22:23], v[70:71], -v[4:5]
	v_fmac_f64_e32 v[72:73], v[24:25], v[70:71]
	s_delay_alu instid0(VALU_DEP_2) | instskip(NEXT) | instid1(VALU_DEP_2)
	v_add_f64_e64 v[18:19], v[18:19], -v[4:5]
	v_add_f64_e64 v[20:21], v[20:21], -v[72:73]
.LBB172_228:                            ;   in Loop: Header=BB172_3 Depth=1
	s_or_b32 exec_lo, exec_lo, s60
	s_barrier_signal -1
	s_barrier_wait -1
	s_and_saveexec_b32 s60, s101
	s_cbranch_execz .LBB172_230
; %bb.229:                              ;   in Loop: Header=BB172_3 Depth=1
	ds_load_b128 v[22:25], v2 offset:4752
	s_wait_dscnt 0x0
	v_mul_f64_e32 v[70:71], v[18:19], v[24:25]
	s_delay_alu instid0(VALU_DEP_1) | instskip(NEXT) | instid1(VALU_DEP_1)
	v_fmac_f64_e32 v[70:71], v[20:21], v[22:23]
	v_dual_mul_f64 v[4:5], v[20:21], v[24:25] :: v_dual_mov_b32 v24, v70
	s_delay_alu instid0(VALU_DEP_1) | instskip(NEXT) | instid1(VALU_DEP_3)
	v_fma_f64 v[4:5], v[18:19], v[22:23], -v[4:5]
	v_mov_b64_e32 v[20:21], v[70:71]
	v_xor_b32_e32 v25, 0x80000000, v71
	s_delay_alu instid0(VALU_DEP_3)
	v_mov_b64_e32 v[18:19], v[4:5]
	v_xor_b32_e32 v23, 0x80000000, v5
	v_mov_b32_e32 v22, v4
	ds_store_b128 v57, v[22:25]
.LBB172_230:                            ;   in Loop: Header=BB172_3 Depth=1
	s_or_b32 exec_lo, exec_lo, s60
	s_wait_dscnt 0x0
	s_barrier_signal -1
	s_barrier_wait -1
	s_and_saveexec_b32 s60, s102
	s_cbranch_execz .LBB172_232
; %bb.231:                              ;   in Loop: Header=BB172_3 Depth=1
	ds_load_b128 v[22:25], v57
	ds_load_b128 v[70:73], v58 offset:4608
	s_wait_dscnt 0x0
	v_mul_f64_e32 v[4:5], v[24:25], v[72:73]
	v_mul_f64_e32 v[72:73], v[22:23], v[72:73]
	s_delay_alu instid0(VALU_DEP_2) | instskip(NEXT) | instid1(VALU_DEP_2)
	v_fma_f64 v[4:5], v[22:23], v[70:71], -v[4:5]
	v_fmac_f64_e32 v[72:73], v[24:25], v[70:71]
	s_delay_alu instid0(VALU_DEP_2) | instskip(NEXT) | instid1(VALU_DEP_2)
	v_add_f64_e64 v[18:19], v[18:19], -v[4:5]
	v_add_f64_e64 v[20:21], v[20:21], -v[72:73]
.LBB172_232:                            ;   in Loop: Header=BB172_3 Depth=1
	s_or_b32 exec_lo, exec_lo, s60
	s_barrier_signal -1
	s_barrier_wait -1
	s_and_saveexec_b32 s60, s103
	s_cbranch_execz .LBB172_234
; %bb.233:                              ;   in Loop: Header=BB172_3 Depth=1
	ds_load_b128 v[22:25], v2 offset:4224
	s_wait_dscnt 0x0
	v_mul_f64_e32 v[70:71], v[18:19], v[24:25]
	s_delay_alu instid0(VALU_DEP_1) | instskip(NEXT) | instid1(VALU_DEP_1)
	v_fmac_f64_e32 v[70:71], v[20:21], v[22:23]
	v_dual_mul_f64 v[4:5], v[20:21], v[24:25] :: v_dual_mov_b32 v24, v70
	s_delay_alu instid0(VALU_DEP_1) | instskip(NEXT) | instid1(VALU_DEP_3)
	v_fma_f64 v[4:5], v[18:19], v[22:23], -v[4:5]
	v_mov_b64_e32 v[20:21], v[70:71]
	v_xor_b32_e32 v25, 0x80000000, v71
	s_delay_alu instid0(VALU_DEP_3)
	v_mov_b64_e32 v[18:19], v[4:5]
	v_xor_b32_e32 v23, 0x80000000, v5
	v_mov_b32_e32 v22, v4
	ds_store_b128 v57, v[22:25]
.LBB172_234:                            ;   in Loop: Header=BB172_3 Depth=1
	s_or_b32 exec_lo, exec_lo, s60
	s_wait_dscnt 0x0
	s_barrier_signal -1
	s_barrier_wait -1
	s_and_saveexec_b32 s60, s104
	s_cbranch_execz .LBB172_236
; %bb.235:                              ;   in Loop: Header=BB172_3 Depth=1
	ds_load_b128 v[22:25], v57
	ds_load_b128 v[70:73], v58 offset:4096
	s_wait_dscnt 0x0
	v_mul_f64_e32 v[4:5], v[24:25], v[72:73]
	v_mul_f64_e32 v[72:73], v[22:23], v[72:73]
	s_delay_alu instid0(VALU_DEP_2) | instskip(NEXT) | instid1(VALU_DEP_2)
	v_fma_f64 v[4:5], v[22:23], v[70:71], -v[4:5]
	v_fmac_f64_e32 v[72:73], v[24:25], v[70:71]
	s_delay_alu instid0(VALU_DEP_2) | instskip(NEXT) | instid1(VALU_DEP_2)
	v_add_f64_e64 v[18:19], v[18:19], -v[4:5]
	v_add_f64_e64 v[20:21], v[20:21], -v[72:73]
.LBB172_236:                            ;   in Loop: Header=BB172_3 Depth=1
	s_or_b32 exec_lo, exec_lo, s60
	s_barrier_signal -1
	s_barrier_wait -1
	s_and_saveexec_b32 s60, vcc_hi
	s_cbranch_execz .LBB172_238
; %bb.237:                              ;   in Loop: Header=BB172_3 Depth=1
	ds_load_b128 v[22:25], v2 offset:3696
	s_wait_dscnt 0x0
	v_mul_f64_e32 v[70:71], v[18:19], v[24:25]
	s_delay_alu instid0(VALU_DEP_1) | instskip(NEXT) | instid1(VALU_DEP_1)
	v_fmac_f64_e32 v[70:71], v[20:21], v[22:23]
	v_dual_mul_f64 v[4:5], v[20:21], v[24:25] :: v_dual_mov_b32 v24, v70
	s_delay_alu instid0(VALU_DEP_1) | instskip(NEXT) | instid1(VALU_DEP_3)
	v_fma_f64 v[4:5], v[18:19], v[22:23], -v[4:5]
	v_mov_b64_e32 v[20:21], v[70:71]
	v_xor_b32_e32 v25, 0x80000000, v71
	s_delay_alu instid0(VALU_DEP_3)
	v_mov_b64_e32 v[18:19], v[4:5]
	v_xor_b32_e32 v23, 0x80000000, v5
	v_mov_b32_e32 v22, v4
	ds_store_b128 v57, v[22:25]
.LBB172_238:                            ;   in Loop: Header=BB172_3 Depth=1
	s_or_b32 exec_lo, exec_lo, s60
	s_wait_dscnt 0x0
	s_barrier_signal -1
	s_barrier_wait -1
	s_and_saveexec_b32 s60, s19
	s_cbranch_execz .LBB172_240
; %bb.239:                              ;   in Loop: Header=BB172_3 Depth=1
	ds_load_b128 v[22:25], v57
	ds_load_b128 v[70:73], v58 offset:3584
	s_wait_dscnt 0x0
	v_mul_f64_e32 v[4:5], v[24:25], v[72:73]
	v_mul_f64_e32 v[72:73], v[22:23], v[72:73]
	s_delay_alu instid0(VALU_DEP_2) | instskip(NEXT) | instid1(VALU_DEP_2)
	v_fma_f64 v[4:5], v[22:23], v[70:71], -v[4:5]
	v_fmac_f64_e32 v[72:73], v[24:25], v[70:71]
	s_delay_alu instid0(VALU_DEP_2) | instskip(NEXT) | instid1(VALU_DEP_2)
	v_add_f64_e64 v[18:19], v[18:19], -v[4:5]
	v_add_f64_e64 v[20:21], v[20:21], -v[72:73]
.LBB172_240:                            ;   in Loop: Header=BB172_3 Depth=1
	s_or_b32 exec_lo, exec_lo, s60
	s_barrier_signal -1
	s_barrier_wait -1
	s_and_saveexec_b32 s60, s20
	s_cbranch_execz .LBB172_242
; %bb.241:                              ;   in Loop: Header=BB172_3 Depth=1
	ds_load_b128 v[22:25], v2 offset:3168
	s_wait_dscnt 0x0
	v_mul_f64_e32 v[70:71], v[18:19], v[24:25]
	s_delay_alu instid0(VALU_DEP_1) | instskip(NEXT) | instid1(VALU_DEP_1)
	v_fmac_f64_e32 v[70:71], v[20:21], v[22:23]
	v_dual_mul_f64 v[4:5], v[20:21], v[24:25] :: v_dual_mov_b32 v24, v70
	s_delay_alu instid0(VALU_DEP_1) | instskip(NEXT) | instid1(VALU_DEP_3)
	v_fma_f64 v[4:5], v[18:19], v[22:23], -v[4:5]
	v_mov_b64_e32 v[20:21], v[70:71]
	v_xor_b32_e32 v25, 0x80000000, v71
	s_delay_alu instid0(VALU_DEP_3)
	v_mov_b64_e32 v[18:19], v[4:5]
	v_xor_b32_e32 v23, 0x80000000, v5
	v_mov_b32_e32 v22, v4
	ds_store_b128 v57, v[22:25]
.LBB172_242:                            ;   in Loop: Header=BB172_3 Depth=1
	s_or_b32 exec_lo, exec_lo, s60
	s_wait_dscnt 0x0
	s_barrier_signal -1
	s_barrier_wait -1
	s_and_saveexec_b32 s60, s21
	s_cbranch_execz .LBB172_244
; %bb.243:                              ;   in Loop: Header=BB172_3 Depth=1
	ds_load_b128 v[22:25], v57
	ds_load_b128 v[70:73], v58 offset:3072
	s_wait_dscnt 0x0
	v_mul_f64_e32 v[4:5], v[24:25], v[72:73]
	v_mul_f64_e32 v[72:73], v[22:23], v[72:73]
	s_delay_alu instid0(VALU_DEP_2) | instskip(NEXT) | instid1(VALU_DEP_2)
	v_fma_f64 v[4:5], v[22:23], v[70:71], -v[4:5]
	v_fmac_f64_e32 v[72:73], v[24:25], v[70:71]
	s_delay_alu instid0(VALU_DEP_2) | instskip(NEXT) | instid1(VALU_DEP_2)
	v_add_f64_e64 v[18:19], v[18:19], -v[4:5]
	v_add_f64_e64 v[20:21], v[20:21], -v[72:73]
.LBB172_244:                            ;   in Loop: Header=BB172_3 Depth=1
	s_or_b32 exec_lo, exec_lo, s60
	s_barrier_signal -1
	s_barrier_wait -1
	s_and_saveexec_b32 s60, s22
	;; [unrolled: 41-line block ×7, first 2 shown]
	s_cbranch_execz .LBB172_266
; %bb.265:                              ;   in Loop: Header=BB172_3 Depth=1
	ds_load_b128 v[22:25], v2
	s_wait_dscnt 0x0
	v_mul_f64_e32 v[70:71], v[18:19], v[24:25]
	s_delay_alu instid0(VALU_DEP_1) | instskip(NEXT) | instid1(VALU_DEP_1)
	v_fmac_f64_e32 v[70:71], v[20:21], v[22:23]
	v_dual_mul_f64 v[4:5], v[20:21], v[24:25] :: v_dual_mov_b32 v24, v70
	s_delay_alu instid0(VALU_DEP_1) | instskip(NEXT) | instid1(VALU_DEP_3)
	v_fma_f64 v[4:5], v[18:19], v[22:23], -v[4:5]
	v_mov_b64_e32 v[20:21], v[70:71]
	v_xor_b32_e32 v25, 0x80000000, v71
	s_delay_alu instid0(VALU_DEP_3)
	v_mov_b64_e32 v[18:19], v[4:5]
	v_xor_b32_e32 v23, 0x80000000, v5
	v_mov_b32_e32 v22, v4
	ds_store_b128 v57, v[22:25]
.LBB172_266:                            ;   in Loop: Header=BB172_3 Depth=1
	s_or_b32 exec_lo, exec_lo, s60
	s_wait_dscnt 0x0
	s_barrier_signal -1
	s_barrier_wait -1
	s_barrier_signal -1
	s_barrier_wait -1
	s_and_saveexec_b32 s60, s6
; %bb.267:                              ;   in Loop: Header=BB172_3 Depth=1
	ds_store_b128 v60, v[18:21] offset:15872
; %bb.268:                              ;   in Loop: Header=BB172_3 Depth=1
	s_or_b32 exec_lo, exec_lo, s60
	s_wait_dscnt 0x0
	s_barrier_signal -1
	s_barrier_wait -1
	s_barrier_signal -1
	s_barrier_wait -1
	s_and_saveexec_b32 s60, s1
	s_cbranch_execz .LBB172_270
; %bb.269:                              ;   in Loop: Header=BB172_3 Depth=1
	ds_load_b128 v[18:21], v2 offset:7920
	ds_load_b128 v[22:25], v2 offset:7392
	;; [unrolled: 1-line block ×3, first 2 shown]
	s_wait_dscnt 0x1
	v_mul_f64_e32 v[4:5], v[18:19], v[24:25]
	v_mul_f64_e32 v[24:25], v[20:21], v[24:25]
	s_delay_alu instid0(VALU_DEP_2) | instskip(NEXT) | instid1(VALU_DEP_2)
	v_fmac_f64_e32 v[4:5], v[20:21], v[22:23]
	v_fma_f64 v[18:19], v[18:19], v[22:23], -v[24:25]
	s_wait_dscnt 0x0
	s_delay_alu instid0(VALU_DEP_2) | instskip(NEXT) | instid1(VALU_DEP_2)
	v_mul_f64_e32 v[22:23], v[4:5], v[72:73]
	v_mul_f64_e32 v[20:21], v[18:19], v[72:73]
	s_delay_alu instid0(VALU_DEP_2) | instskip(NEXT) | instid1(VALU_DEP_2)
	v_fma_f64 v[18:19], v[70:71], v[18:19], -v[22:23]
	v_fmac_f64_e32 v[20:21], v[70:71], v[4:5]
	ds_store_b128 v2, v[18:21] offset:7904
.LBB172_270:                            ;   in Loop: Header=BB172_3 Depth=1
	s_or_b32 exec_lo, exec_lo, s60
	v_mov_b64_e32 v[18:19], 0
	v_mov_b64_e32 v[20:21], 0
	s_wait_dscnt 0x0
	s_barrier_signal -1
	s_barrier_wait -1
	global_wb scope:SCOPE_DEV
	s_wait_storecnt 0x0
	global_inv scope:SCOPE_DEV
	s_and_saveexec_b32 s60, s2
	s_cbranch_execz .LBB172_274
; %bb.271:                              ;   in Loop: Header=BB172_3 Depth=1
	ds_load_b128 v[18:21], v46 offset:7904
	ds_load_b128 v[22:25], v45 offset:7360
	s_wait_dscnt 0x0
	v_mul_f64_e32 v[4:5], v[20:21], v[24:25]
	v_mul_f64_e32 v[24:25], v[18:19], v[24:25]
	s_delay_alu instid0(VALU_DEP_2) | instskip(NEXT) | instid1(VALU_DEP_2)
	v_fma_f64 v[4:5], v[18:19], v[22:23], -v[4:5]
	v_fmac_f64_e32 v[24:25], v[20:21], v[22:23]
	s_delay_alu instid0(VALU_DEP_2) | instskip(NEXT) | instid1(VALU_DEP_2)
	v_add_f64_e32 v[18:19], 0, v[4:5]
	v_add_f64_e32 v[20:21], 0, v[24:25]
	s_and_saveexec_b32 s61, s3
	s_cbranch_execz .LBB172_273
; %bb.272:                              ;   in Loop: Header=BB172_3 Depth=1
	ds_load_b128 v[22:25], v2 offset:7920
	ds_load_b128 v[70:73], v47 offset:7872
	s_wait_dscnt 0x0
	v_mul_f64_e32 v[4:5], v[24:25], v[72:73]
	v_mul_f64_e32 v[72:73], v[22:23], v[72:73]
	s_delay_alu instid0(VALU_DEP_2) | instskip(NEXT) | instid1(VALU_DEP_2)
	v_fma_f64 v[4:5], v[22:23], v[70:71], -v[4:5]
	v_fmac_f64_e32 v[72:73], v[24:25], v[70:71]
	s_delay_alu instid0(VALU_DEP_2) | instskip(NEXT) | instid1(VALU_DEP_2)
	v_add_f64_e32 v[18:19], v[18:19], v[4:5]
	v_add_f64_e32 v[20:21], v[20:21], v[72:73]
.LBB172_273:                            ;   in Loop: Header=BB172_3 Depth=1
	s_or_b32 exec_lo, exec_lo, s61
.LBB172_274:                            ;   in Loop: Header=BB172_3 Depth=1
	s_delay_alu instid0(SALU_CYCLE_1)
	s_or_b32 exec_lo, exec_lo, s60
	s_and_saveexec_b32 s60, s67
	s_cbranch_execz .LBB172_276
; %bb.275:                              ;   in Loop: Header=BB172_3 Depth=1
	ds_load_b128 v[22:25], v2 offset:6864
	s_wait_dscnt 0x0
	v_mul_f64_e32 v[70:71], v[18:19], v[24:25]
	s_delay_alu instid0(VALU_DEP_1) | instskip(NEXT) | instid1(VALU_DEP_1)
	v_fmac_f64_e32 v[70:71], v[20:21], v[22:23]
	v_dual_mul_f64 v[4:5], v[20:21], v[24:25] :: v_dual_mov_b32 v24, v70
	s_delay_alu instid0(VALU_DEP_1) | instskip(NEXT) | instid1(VALU_DEP_3)
	v_fma_f64 v[4:5], v[18:19], v[22:23], -v[4:5]
	v_mov_b64_e32 v[20:21], v[70:71]
	v_xor_b32_e32 v25, 0x80000000, v71
	s_delay_alu instid0(VALU_DEP_3)
	v_mov_b64_e32 v[18:19], v[4:5]
	v_xor_b32_e32 v23, 0x80000000, v5
	v_mov_b32_e32 v22, v4
	ds_store_b128 v27, v[22:25]
.LBB172_276:                            ;   in Loop: Header=BB172_3 Depth=1
	s_or_b32 exec_lo, exec_lo, s60
	s_wait_loadcnt_dscnt 0x0
	s_barrier_signal -1
	s_barrier_wait -1
	s_and_saveexec_b32 s60, s68
	s_cbranch_execz .LBB172_278
; %bb.277:                              ;   in Loop: Header=BB172_3 Depth=1
	ds_load_b128 v[22:25], v27
	ds_load_b128 v[70:73], v2 offset:6848
	s_wait_dscnt 0x0
	v_mul_f64_e32 v[4:5], v[24:25], v[72:73]
	v_mul_f64_e32 v[72:73], v[22:23], v[72:73]
	s_delay_alu instid0(VALU_DEP_2) | instskip(NEXT) | instid1(VALU_DEP_2)
	v_fma_f64 v[4:5], v[22:23], v[70:71], -v[4:5]
	v_fmac_f64_e32 v[72:73], v[24:25], v[70:71]
	s_delay_alu instid0(VALU_DEP_2) | instskip(NEXT) | instid1(VALU_DEP_2)
	v_add_f64_e64 v[18:19], v[18:19], -v[4:5]
	v_add_f64_e64 v[20:21], v[20:21], -v[72:73]
.LBB172_278:                            ;   in Loop: Header=BB172_3 Depth=1
	s_or_b32 exec_lo, exec_lo, s60
	s_barrier_signal -1
	s_barrier_wait -1
	s_and_saveexec_b32 s60, s68
	s_cbranch_execz .LBB172_280
; %bb.279:                              ;   in Loop: Header=BB172_3 Depth=1
	ds_load_b128 v[22:25], v2 offset:6336
	s_wait_dscnt 0x0
	v_mul_f64_e32 v[70:71], v[18:19], v[24:25]
	s_delay_alu instid0(VALU_DEP_1) | instskip(NEXT) | instid1(VALU_DEP_1)
	v_fmac_f64_e32 v[70:71], v[20:21], v[22:23]
	v_dual_mul_f64 v[4:5], v[20:21], v[24:25] :: v_dual_mov_b32 v24, v70
	s_delay_alu instid0(VALU_DEP_1) | instskip(NEXT) | instid1(VALU_DEP_3)
	v_fma_f64 v[4:5], v[18:19], v[22:23], -v[4:5]
	v_mov_b64_e32 v[20:21], v[70:71]
	v_xor_b32_e32 v25, 0x80000000, v71
	s_delay_alu instid0(VALU_DEP_3)
	v_mov_b64_e32 v[18:19], v[4:5]
	v_xor_b32_e32 v23, 0x80000000, v5
	v_mov_b32_e32 v22, v4
	ds_store_b128 v27, v[22:25]
.LBB172_280:                            ;   in Loop: Header=BB172_3 Depth=1
	s_or_b32 exec_lo, exec_lo, s60
	s_wait_dscnt 0x0
	s_barrier_signal -1
	s_barrier_wait -1
	s_barrier_signal -1
	s_barrier_wait -1
	s_and_saveexec_b32 s60, s2
; %bb.281:                              ;   in Loop: Header=BB172_3 Depth=1
	ds_store_b128 v48, v[18:21] offset:7872
; %bb.282:                              ;   in Loop: Header=BB172_3 Depth=1
	s_or_b32 exec_lo, exec_lo, s60
	s_wait_dscnt 0x0
	s_barrier_signal -1
	s_barrier_wait -1
	s_barrier_signal -1
	s_barrier_wait -1
	s_and_saveexec_b32 s60, s1
	s_cbranch_execz .LBB172_284
; %bb.283:                              ;   in Loop: Header=BB172_3 Depth=1
	ds_load_b128 v[18:21], v2 offset:6864
	ds_load_b128 v[22:25], v2 offset:6336
	;; [unrolled: 1-line block ×3, first 2 shown]
	s_wait_dscnt 0x1
	v_mul_f64_e32 v[4:5], v[18:19], v[24:25]
	v_mul_f64_e32 v[24:25], v[20:21], v[24:25]
	s_delay_alu instid0(VALU_DEP_2) | instskip(NEXT) | instid1(VALU_DEP_2)
	v_fmac_f64_e32 v[4:5], v[20:21], v[22:23]
	v_fma_f64 v[18:19], v[18:19], v[22:23], -v[24:25]
	s_wait_dscnt 0x0
	s_delay_alu instid0(VALU_DEP_2) | instskip(NEXT) | instid1(VALU_DEP_2)
	v_mul_f64_e32 v[22:23], v[4:5], v[72:73]
	v_mul_f64_e32 v[20:21], v[18:19], v[72:73]
	s_delay_alu instid0(VALU_DEP_2) | instskip(NEXT) | instid1(VALU_DEP_2)
	v_fma_f64 v[18:19], v[70:71], v[18:19], -v[22:23]
	v_fmac_f64_e32 v[20:21], v[70:71], v[4:5]
	ds_store_b128 v2, v[18:21] offset:6848
.LBB172_284:                            ;   in Loop: Header=BB172_3 Depth=1
	s_or_b32 exec_lo, exec_lo, s60
	v_mov_b64_e32 v[20:21], 0
	v_mov_b64_e32 v[18:19], 0
	s_wait_dscnt 0x0
	s_barrier_signal -1
	s_barrier_wait -1
	global_wb scope:SCOPE_DEV
	s_wait_storecnt 0x0
	global_inv scope:SCOPE_DEV
	s_and_saveexec_b32 s60, s4
	s_cbranch_execz .LBB172_290
; %bb.285:                              ;   in Loop: Header=BB172_3 Depth=1
	ds_load_b128 v[18:21], v51 offset:7872
	ds_load_b128 v[22:25], v50 offset:6272
	s_wait_dscnt 0x0
	v_mul_f64_e32 v[4:5], v[20:21], v[24:25]
	v_mul_f64_e32 v[24:25], v[18:19], v[24:25]
	s_delay_alu instid0(VALU_DEP_2) | instskip(NEXT) | instid1(VALU_DEP_2)
	v_fma_f64 v[4:5], v[18:19], v[22:23], -v[4:5]
	v_fmac_f64_e32 v[24:25], v[20:21], v[22:23]
	s_delay_alu instid0(VALU_DEP_2) | instskip(NEXT) | instid1(VALU_DEP_2)
	v_add_f64_e32 v[18:19], 0, v[4:5]
	v_add_f64_e32 v[20:21], 0, v[24:25]
	s_and_saveexec_b32 s61, s12
	s_cbranch_execnz .LBB172_534
; %bb.286:                              ;   in Loop: Header=BB172_3 Depth=1
	s_or_b32 exec_lo, exec_lo, s61
	s_and_saveexec_b32 s61, s13
	s_cbranch_execnz .LBB172_535
.LBB172_287:                            ;   in Loop: Header=BB172_3 Depth=1
	s_or_b32 exec_lo, exec_lo, s61
	s_and_saveexec_b32 s61, s2
	s_cbranch_execz .LBB172_289
.LBB172_288:                            ;   in Loop: Header=BB172_3 Depth=1
	ds_load_b128 v[22:25], v2 offset:7920
	ds_load_b128 v[70:73], v47 offset:7808
	s_wait_dscnt 0x0
	v_mul_f64_e32 v[4:5], v[24:25], v[72:73]
	v_mul_f64_e32 v[72:73], v[22:23], v[72:73]
	s_delay_alu instid0(VALU_DEP_2) | instskip(NEXT) | instid1(VALU_DEP_2)
	v_fma_f64 v[4:5], v[22:23], v[70:71], -v[4:5]
	v_fmac_f64_e32 v[72:73], v[24:25], v[70:71]
	s_delay_alu instid0(VALU_DEP_2) | instskip(NEXT) | instid1(VALU_DEP_2)
	v_add_f64_e32 v[18:19], v[18:19], v[4:5]
	v_add_f64_e32 v[20:21], v[20:21], v[72:73]
.LBB172_289:                            ;   in Loop: Header=BB172_3 Depth=1
	s_or_b32 exec_lo, exec_lo, s61
.LBB172_290:                            ;   in Loop: Header=BB172_3 Depth=1
	s_delay_alu instid0(SALU_CYCLE_1)
	s_or_b32 exec_lo, exec_lo, s60
	s_and_saveexec_b32 s60, s69
	s_cbranch_execz .LBB172_292
; %bb.291:                              ;   in Loop: Header=BB172_3 Depth=1
	ds_load_b128 v[22:25], v2 offset:5808
	s_wait_dscnt 0x0
	v_mul_f64_e32 v[70:71], v[18:19], v[24:25]
	s_delay_alu instid0(VALU_DEP_1) | instskip(NEXT) | instid1(VALU_DEP_1)
	v_fmac_f64_e32 v[70:71], v[20:21], v[22:23]
	v_dual_mul_f64 v[4:5], v[20:21], v[24:25] :: v_dual_mov_b32 v24, v70
	s_delay_alu instid0(VALU_DEP_1) | instskip(NEXT) | instid1(VALU_DEP_3)
	v_fma_f64 v[4:5], v[18:19], v[22:23], -v[4:5]
	v_mov_b64_e32 v[20:21], v[70:71]
	v_xor_b32_e32 v25, 0x80000000, v71
	s_delay_alu instid0(VALU_DEP_3)
	v_mov_b64_e32 v[18:19], v[4:5]
	v_xor_b32_e32 v23, 0x80000000, v5
	v_mov_b32_e32 v22, v4
	ds_store_b128 v49, v[22:25]
.LBB172_292:                            ;   in Loop: Header=BB172_3 Depth=1
	s_or_b32 exec_lo, exec_lo, s60
	s_wait_loadcnt_dscnt 0x0
	s_barrier_signal -1
	s_barrier_wait -1
	s_and_saveexec_b32 s60, s70
	s_cbranch_execz .LBB172_294
; %bb.293:                              ;   in Loop: Header=BB172_3 Depth=1
	ds_load_b128 v[22:25], v49
	ds_load_b128 v[70:73], v50 offset:5760
	s_wait_dscnt 0x0
	v_mul_f64_e32 v[4:5], v[24:25], v[72:73]
	v_mul_f64_e32 v[72:73], v[22:23], v[72:73]
	s_delay_alu instid0(VALU_DEP_2) | instskip(NEXT) | instid1(VALU_DEP_2)
	v_fma_f64 v[4:5], v[22:23], v[70:71], -v[4:5]
	v_fmac_f64_e32 v[72:73], v[24:25], v[70:71]
	s_delay_alu instid0(VALU_DEP_2) | instskip(NEXT) | instid1(VALU_DEP_2)
	v_add_f64_e64 v[18:19], v[18:19], -v[4:5]
	v_add_f64_e64 v[20:21], v[20:21], -v[72:73]
.LBB172_294:                            ;   in Loop: Header=BB172_3 Depth=1
	s_or_b32 exec_lo, exec_lo, s60
	s_barrier_signal -1
	s_barrier_wait -1
	s_and_saveexec_b32 s60, s71
	s_cbranch_execz .LBB172_296
; %bb.295:                              ;   in Loop: Header=BB172_3 Depth=1
	ds_load_b128 v[22:25], v2 offset:5280
	s_wait_dscnt 0x0
	v_mul_f64_e32 v[70:71], v[18:19], v[24:25]
	s_delay_alu instid0(VALU_DEP_1) | instskip(NEXT) | instid1(VALU_DEP_1)
	v_fmac_f64_e32 v[70:71], v[20:21], v[22:23]
	v_dual_mul_f64 v[4:5], v[20:21], v[24:25] :: v_dual_mov_b32 v24, v70
	s_delay_alu instid0(VALU_DEP_1) | instskip(NEXT) | instid1(VALU_DEP_3)
	v_fma_f64 v[4:5], v[18:19], v[22:23], -v[4:5]
	v_mov_b64_e32 v[20:21], v[70:71]
	v_xor_b32_e32 v25, 0x80000000, v71
	s_delay_alu instid0(VALU_DEP_3)
	v_mov_b64_e32 v[18:19], v[4:5]
	v_xor_b32_e32 v23, 0x80000000, v5
	v_mov_b32_e32 v22, v4
	ds_store_b128 v49, v[22:25]
.LBB172_296:                            ;   in Loop: Header=BB172_3 Depth=1
	s_or_b32 exec_lo, exec_lo, s60
	s_wait_dscnt 0x0
	s_barrier_signal -1
	s_barrier_wait -1
	s_and_saveexec_b32 s60, s72
	s_cbranch_execz .LBB172_298
; %bb.297:                              ;   in Loop: Header=BB172_3 Depth=1
	ds_load_b128 v[22:25], v49
	ds_load_b128 v[70:73], v50 offset:5248
	s_wait_dscnt 0x0
	v_mul_f64_e32 v[4:5], v[24:25], v[72:73]
	v_mul_f64_e32 v[72:73], v[22:23], v[72:73]
	s_delay_alu instid0(VALU_DEP_2) | instskip(NEXT) | instid1(VALU_DEP_2)
	v_fma_f64 v[4:5], v[22:23], v[70:71], -v[4:5]
	v_fmac_f64_e32 v[72:73], v[24:25], v[70:71]
	s_delay_alu instid0(VALU_DEP_2) | instskip(NEXT) | instid1(VALU_DEP_2)
	v_add_f64_e64 v[18:19], v[18:19], -v[4:5]
	v_add_f64_e64 v[20:21], v[20:21], -v[72:73]
.LBB172_298:                            ;   in Loop: Header=BB172_3 Depth=1
	s_or_b32 exec_lo, exec_lo, s60
	s_barrier_signal -1
	s_barrier_wait -1
	s_and_saveexec_b32 s60, s73
	s_cbranch_execz .LBB172_300
; %bb.299:                              ;   in Loop: Header=BB172_3 Depth=1
	ds_load_b128 v[22:25], v2 offset:4752
	s_wait_dscnt 0x0
	v_mul_f64_e32 v[70:71], v[18:19], v[24:25]
	s_delay_alu instid0(VALU_DEP_1) | instskip(NEXT) | instid1(VALU_DEP_1)
	v_fmac_f64_e32 v[70:71], v[20:21], v[22:23]
	v_dual_mul_f64 v[4:5], v[20:21], v[24:25] :: v_dual_mov_b32 v24, v70
	s_delay_alu instid0(VALU_DEP_1) | instskip(NEXT) | instid1(VALU_DEP_3)
	v_fma_f64 v[4:5], v[18:19], v[22:23], -v[4:5]
	v_mov_b64_e32 v[20:21], v[70:71]
	v_xor_b32_e32 v25, 0x80000000, v71
	s_delay_alu instid0(VALU_DEP_3)
	v_mov_b64_e32 v[18:19], v[4:5]
	v_xor_b32_e32 v23, 0x80000000, v5
	v_mov_b32_e32 v22, v4
	ds_store_b128 v49, v[22:25]
.LBB172_300:                            ;   in Loop: Header=BB172_3 Depth=1
	s_or_b32 exec_lo, exec_lo, s60
	s_wait_dscnt 0x0
	;; [unrolled: 41-line block ×3, first 2 shown]
	s_barrier_signal -1
	s_barrier_wait -1
	s_barrier_signal -1
	s_barrier_wait -1
	s_and_saveexec_b32 s60, s4
; %bb.305:                              ;   in Loop: Header=BB172_3 Depth=1
	ds_store_b128 v52, v[18:21] offset:7808
; %bb.306:                              ;   in Loop: Header=BB172_3 Depth=1
	s_or_b32 exec_lo, exec_lo, s60
	s_wait_dscnt 0x0
	s_barrier_signal -1
	s_barrier_wait -1
	s_barrier_signal -1
	s_barrier_wait -1
	s_and_saveexec_b32 s60, s1
	s_cbranch_execz .LBB172_308
; %bb.307:                              ;   in Loop: Header=BB172_3 Depth=1
	ds_load_b128 v[18:21], v2 offset:5808
	ds_load_b128 v[22:25], v2 offset:5280
	;; [unrolled: 1-line block ×3, first 2 shown]
	s_wait_dscnt 0x1
	v_mul_f64_e32 v[4:5], v[18:19], v[24:25]
	v_mul_f64_e32 v[24:25], v[20:21], v[24:25]
	s_delay_alu instid0(VALU_DEP_2) | instskip(NEXT) | instid1(VALU_DEP_2)
	v_fmac_f64_e32 v[4:5], v[20:21], v[22:23]
	v_fma_f64 v[18:19], v[18:19], v[22:23], -v[24:25]
	s_wait_dscnt 0x0
	s_delay_alu instid0(VALU_DEP_2) | instskip(NEXT) | instid1(VALU_DEP_2)
	v_mul_f64_e32 v[22:23], v[4:5], v[72:73]
	v_mul_f64_e32 v[20:21], v[18:19], v[72:73]
	s_delay_alu instid0(VALU_DEP_2) | instskip(NEXT) | instid1(VALU_DEP_2)
	v_fma_f64 v[18:19], v[70:71], v[18:19], -v[22:23]
	v_fmac_f64_e32 v[20:21], v[70:71], v[4:5]
	ds_store_b128 v2, v[18:21] offset:5792
.LBB172_308:                            ;   in Loop: Header=BB172_3 Depth=1
	s_or_b32 exec_lo, exec_lo, s60
	v_mov_b64_e32 v[18:19], 0
	v_mov_b64_e32 v[20:21], 0
	s_wait_dscnt 0x0
	s_barrier_signal -1
	s_barrier_wait -1
	global_wb scope:SCOPE_DEV
	s_wait_storecnt 0x0
	global_inv scope:SCOPE_DEV
	s_and_saveexec_b32 s60, s2
	s_cbranch_execz .LBB172_312
; %bb.309:                              ;   in Loop: Header=BB172_3 Depth=1
	ds_load_b128 v[18:21], v46 offset:5792
	ds_load_b128 v[22:25], v45 offset:5248
	s_wait_dscnt 0x0
	v_mul_f64_e32 v[4:5], v[20:21], v[24:25]
	v_mul_f64_e32 v[24:25], v[18:19], v[24:25]
	s_delay_alu instid0(VALU_DEP_2) | instskip(NEXT) | instid1(VALU_DEP_2)
	v_fma_f64 v[4:5], v[18:19], v[22:23], -v[4:5]
	v_fmac_f64_e32 v[24:25], v[20:21], v[22:23]
	s_delay_alu instid0(VALU_DEP_2) | instskip(NEXT) | instid1(VALU_DEP_2)
	v_add_f64_e32 v[18:19], 0, v[4:5]
	v_add_f64_e32 v[20:21], 0, v[24:25]
	s_and_saveexec_b32 s61, s3
	s_cbranch_execz .LBB172_311
; %bb.310:                              ;   in Loop: Header=BB172_3 Depth=1
	ds_load_b128 v[22:25], v2 offset:5808
	ds_load_b128 v[70:73], v47 offset:5760
	s_wait_dscnt 0x0
	v_mul_f64_e32 v[4:5], v[24:25], v[72:73]
	v_mul_f64_e32 v[72:73], v[22:23], v[72:73]
	s_delay_alu instid0(VALU_DEP_2) | instskip(NEXT) | instid1(VALU_DEP_2)
	v_fma_f64 v[4:5], v[22:23], v[70:71], -v[4:5]
	v_fmac_f64_e32 v[72:73], v[24:25], v[70:71]
	s_delay_alu instid0(VALU_DEP_2) | instskip(NEXT) | instid1(VALU_DEP_2)
	v_add_f64_e32 v[18:19], v[18:19], v[4:5]
	v_add_f64_e32 v[20:21], v[20:21], v[72:73]
.LBB172_311:                            ;   in Loop: Header=BB172_3 Depth=1
	s_or_b32 exec_lo, exec_lo, s61
.LBB172_312:                            ;   in Loop: Header=BB172_3 Depth=1
	s_delay_alu instid0(SALU_CYCLE_1)
	s_or_b32 exec_lo, exec_lo, s60
	s_and_saveexec_b32 s60, s67
	s_cbranch_execz .LBB172_314
; %bb.313:                              ;   in Loop: Header=BB172_3 Depth=1
	ds_load_b128 v[22:25], v2 offset:4752
	s_wait_dscnt 0x0
	v_mul_f64_e32 v[70:71], v[18:19], v[24:25]
	s_delay_alu instid0(VALU_DEP_1) | instskip(NEXT) | instid1(VALU_DEP_1)
	v_fmac_f64_e32 v[70:71], v[20:21], v[22:23]
	v_dual_mul_f64 v[4:5], v[20:21], v[24:25] :: v_dual_mov_b32 v24, v70
	s_delay_alu instid0(VALU_DEP_1) | instskip(NEXT) | instid1(VALU_DEP_3)
	v_fma_f64 v[4:5], v[18:19], v[22:23], -v[4:5]
	v_mov_b64_e32 v[20:21], v[70:71]
	v_xor_b32_e32 v25, 0x80000000, v71
	s_delay_alu instid0(VALU_DEP_3)
	v_mov_b64_e32 v[18:19], v[4:5]
	v_xor_b32_e32 v23, 0x80000000, v5
	v_mov_b32_e32 v22, v4
	ds_store_b128 v27, v[22:25]
.LBB172_314:                            ;   in Loop: Header=BB172_3 Depth=1
	s_or_b32 exec_lo, exec_lo, s60
	s_wait_loadcnt_dscnt 0x0
	s_barrier_signal -1
	s_barrier_wait -1
	s_and_saveexec_b32 s60, s68
	s_cbranch_execz .LBB172_316
; %bb.315:                              ;   in Loop: Header=BB172_3 Depth=1
	ds_load_b128 v[22:25], v27
	ds_load_b128 v[70:73], v2 offset:4736
	s_wait_dscnt 0x0
	v_mul_f64_e32 v[4:5], v[24:25], v[72:73]
	v_mul_f64_e32 v[72:73], v[22:23], v[72:73]
	s_delay_alu instid0(VALU_DEP_2) | instskip(NEXT) | instid1(VALU_DEP_2)
	v_fma_f64 v[4:5], v[22:23], v[70:71], -v[4:5]
	v_fmac_f64_e32 v[72:73], v[24:25], v[70:71]
	s_delay_alu instid0(VALU_DEP_2) | instskip(NEXT) | instid1(VALU_DEP_2)
	v_add_f64_e64 v[18:19], v[18:19], -v[4:5]
	v_add_f64_e64 v[20:21], v[20:21], -v[72:73]
.LBB172_316:                            ;   in Loop: Header=BB172_3 Depth=1
	s_or_b32 exec_lo, exec_lo, s60
	s_barrier_signal -1
	s_barrier_wait -1
	s_and_saveexec_b32 s60, s68
	s_cbranch_execz .LBB172_318
; %bb.317:                              ;   in Loop: Header=BB172_3 Depth=1
	ds_load_b128 v[22:25], v2 offset:4224
	s_wait_dscnt 0x0
	v_mul_f64_e32 v[70:71], v[18:19], v[24:25]
	s_delay_alu instid0(VALU_DEP_1) | instskip(NEXT) | instid1(VALU_DEP_1)
	v_fmac_f64_e32 v[70:71], v[20:21], v[22:23]
	v_dual_mul_f64 v[4:5], v[20:21], v[24:25] :: v_dual_mov_b32 v24, v70
	s_delay_alu instid0(VALU_DEP_1) | instskip(NEXT) | instid1(VALU_DEP_3)
	v_fma_f64 v[4:5], v[18:19], v[22:23], -v[4:5]
	v_mov_b64_e32 v[20:21], v[70:71]
	v_xor_b32_e32 v25, 0x80000000, v71
	s_delay_alu instid0(VALU_DEP_3)
	v_mov_b64_e32 v[18:19], v[4:5]
	v_xor_b32_e32 v23, 0x80000000, v5
	v_mov_b32_e32 v22, v4
	ds_store_b128 v27, v[22:25]
.LBB172_318:                            ;   in Loop: Header=BB172_3 Depth=1
	s_or_b32 exec_lo, exec_lo, s60
	s_wait_dscnt 0x0
	s_barrier_signal -1
	s_barrier_wait -1
	s_barrier_signal -1
	s_barrier_wait -1
	s_and_saveexec_b32 s60, s2
; %bb.319:                              ;   in Loop: Header=BB172_3 Depth=1
	ds_store_b128 v48, v[18:21] offset:5760
; %bb.320:                              ;   in Loop: Header=BB172_3 Depth=1
	s_or_b32 exec_lo, exec_lo, s60
	s_wait_dscnt 0x0
	s_barrier_signal -1
	s_barrier_wait -1
	s_barrier_signal -1
	s_barrier_wait -1
	s_and_saveexec_b32 s60, s1
	s_cbranch_execz .LBB172_322
; %bb.321:                              ;   in Loop: Header=BB172_3 Depth=1
	ds_load_b128 v[18:21], v2 offset:4752
	ds_load_b128 v[22:25], v2 offset:4224
	;; [unrolled: 1-line block ×3, first 2 shown]
	s_wait_dscnt 0x1
	v_mul_f64_e32 v[4:5], v[18:19], v[24:25]
	v_mul_f64_e32 v[24:25], v[20:21], v[24:25]
	s_delay_alu instid0(VALU_DEP_2) | instskip(NEXT) | instid1(VALU_DEP_2)
	v_fmac_f64_e32 v[4:5], v[20:21], v[22:23]
	v_fma_f64 v[18:19], v[18:19], v[22:23], -v[24:25]
	s_wait_dscnt 0x0
	s_delay_alu instid0(VALU_DEP_2) | instskip(NEXT) | instid1(VALU_DEP_2)
	v_mul_f64_e32 v[22:23], v[4:5], v[72:73]
	v_mul_f64_e32 v[20:21], v[18:19], v[72:73]
	s_delay_alu instid0(VALU_DEP_2) | instskip(NEXT) | instid1(VALU_DEP_2)
	v_fma_f64 v[18:19], v[70:71], v[18:19], -v[22:23]
	v_fmac_f64_e32 v[20:21], v[70:71], v[4:5]
	ds_store_b128 v2, v[18:21] offset:4736
.LBB172_322:                            ;   in Loop: Header=BB172_3 Depth=1
	s_or_b32 exec_lo, exec_lo, s60
	v_mov_b64_e32 v[20:21], 0
	v_mov_b64_e32 v[18:19], 0
	s_wait_dscnt 0x0
	s_barrier_signal -1
	s_barrier_wait -1
	global_wb scope:SCOPE_DEV
	s_wait_storecnt 0x0
	global_inv scope:SCOPE_DEV
	s_and_saveexec_b32 s60, s5
	s_cbranch_execz .LBB172_332
; %bb.323:                              ;   in Loop: Header=BB172_3 Depth=1
	ds_load_b128 v[18:21], v55 offset:7808
	ds_load_b128 v[22:25], v54 offset:4096
	s_wait_dscnt 0x0
	v_mul_f64_e32 v[4:5], v[20:21], v[24:25]
	v_mul_f64_e32 v[24:25], v[18:19], v[24:25]
	s_delay_alu instid0(VALU_DEP_2) | instskip(NEXT) | instid1(VALU_DEP_2)
	v_fma_f64 v[4:5], v[18:19], v[22:23], -v[4:5]
	v_fmac_f64_e32 v[24:25], v[20:21], v[22:23]
	s_delay_alu instid0(VALU_DEP_2) | instskip(NEXT) | instid1(VALU_DEP_2)
	v_add_f64_e32 v[18:19], 0, v[4:5]
	v_add_f64_e32 v[20:21], 0, v[24:25]
	s_and_saveexec_b32 s61, s14
	s_cbranch_execnz .LBB172_536
; %bb.324:                              ;   in Loop: Header=BB172_3 Depth=1
	s_or_b32 exec_lo, exec_lo, s61
	s_and_saveexec_b32 s61, s15
	s_cbranch_execnz .LBB172_537
.LBB172_325:                            ;   in Loop: Header=BB172_3 Depth=1
	s_or_b32 exec_lo, exec_lo, s61
	s_and_saveexec_b32 s61, s16
	s_cbranch_execnz .LBB172_538
.LBB172_326:                            ;   in Loop: Header=BB172_3 Depth=1
	s_or_b32 exec_lo, exec_lo, s61
	s_and_saveexec_b32 s61, s17
	s_cbranch_execnz .LBB172_539
.LBB172_327:                            ;   in Loop: Header=BB172_3 Depth=1
	s_or_b32 exec_lo, exec_lo, s61
	s_and_saveexec_b32 s61, s18
	s_cbranch_execnz .LBB172_540
.LBB172_328:                            ;   in Loop: Header=BB172_3 Depth=1
	s_or_b32 exec_lo, exec_lo, s61
	s_and_saveexec_b32 s61, s4
	s_cbranch_execnz .LBB172_541
.LBB172_329:                            ;   in Loop: Header=BB172_3 Depth=1
	s_or_b32 exec_lo, exec_lo, s61
	s_and_saveexec_b32 s61, s13
	s_cbranch_execz .LBB172_331
.LBB172_330:                            ;   in Loop: Header=BB172_3 Depth=1
	ds_load_b128 v[22:25], v2 offset:7920
	ds_load_b128 v[70:73], v47 offset:7680
	s_wait_dscnt 0x0
	v_mul_f64_e32 v[4:5], v[24:25], v[72:73]
	v_mul_f64_e32 v[72:73], v[22:23], v[72:73]
	s_delay_alu instid0(VALU_DEP_2) | instskip(NEXT) | instid1(VALU_DEP_2)
	v_fma_f64 v[4:5], v[22:23], v[70:71], -v[4:5]
	v_fmac_f64_e32 v[72:73], v[24:25], v[70:71]
	s_delay_alu instid0(VALU_DEP_2) | instskip(NEXT) | instid1(VALU_DEP_2)
	v_add_f64_e32 v[18:19], v[18:19], v[4:5]
	v_add_f64_e32 v[20:21], v[20:21], v[72:73]
.LBB172_331:                            ;   in Loop: Header=BB172_3 Depth=1
	s_or_b32 exec_lo, exec_lo, s61
.LBB172_332:                            ;   in Loop: Header=BB172_3 Depth=1
	s_delay_alu instid0(SALU_CYCLE_1)
	s_or_b32 exec_lo, exec_lo, s60
	s_and_saveexec_b32 s60, s75
	s_cbranch_execz .LBB172_334
; %bb.333:                              ;   in Loop: Header=BB172_3 Depth=1
	ds_load_b128 v[22:25], v2 offset:3696
	s_wait_dscnt 0x0
	v_mul_f64_e32 v[70:71], v[18:19], v[24:25]
	s_delay_alu instid0(VALU_DEP_1) | instskip(NEXT) | instid1(VALU_DEP_1)
	v_fmac_f64_e32 v[70:71], v[20:21], v[22:23]
	v_dual_mul_f64 v[4:5], v[20:21], v[24:25] :: v_dual_mov_b32 v24, v70
	s_delay_alu instid0(VALU_DEP_1) | instskip(NEXT) | instid1(VALU_DEP_3)
	v_fma_f64 v[4:5], v[18:19], v[22:23], -v[4:5]
	v_mov_b64_e32 v[20:21], v[70:71]
	v_xor_b32_e32 v25, 0x80000000, v71
	s_delay_alu instid0(VALU_DEP_3)
	v_mov_b64_e32 v[18:19], v[4:5]
	v_xor_b32_e32 v23, 0x80000000, v5
	v_mov_b32_e32 v22, v4
	ds_store_b128 v53, v[22:25]
.LBB172_334:                            ;   in Loop: Header=BB172_3 Depth=1
	s_or_b32 exec_lo, exec_lo, s60
	s_wait_loadcnt_dscnt 0x0
	s_barrier_signal -1
	s_barrier_wait -1
	s_and_saveexec_b32 s60, s76
	s_cbranch_execz .LBB172_336
; %bb.335:                              ;   in Loop: Header=BB172_3 Depth=1
	ds_load_b128 v[22:25], v53
	ds_load_b128 v[70:73], v54 offset:3584
	s_wait_dscnt 0x0
	v_mul_f64_e32 v[4:5], v[24:25], v[72:73]
	v_mul_f64_e32 v[72:73], v[22:23], v[72:73]
	s_delay_alu instid0(VALU_DEP_2) | instskip(NEXT) | instid1(VALU_DEP_2)
	v_fma_f64 v[4:5], v[22:23], v[70:71], -v[4:5]
	v_fmac_f64_e32 v[72:73], v[24:25], v[70:71]
	s_delay_alu instid0(VALU_DEP_2) | instskip(NEXT) | instid1(VALU_DEP_2)
	v_add_f64_e64 v[18:19], v[18:19], -v[4:5]
	v_add_f64_e64 v[20:21], v[20:21], -v[72:73]
.LBB172_336:                            ;   in Loop: Header=BB172_3 Depth=1
	s_or_b32 exec_lo, exec_lo, s60
	s_barrier_signal -1
	s_barrier_wait -1
	s_and_saveexec_b32 s60, s77
	s_cbranch_execz .LBB172_338
; %bb.337:                              ;   in Loop: Header=BB172_3 Depth=1
	ds_load_b128 v[22:25], v2 offset:3168
	s_wait_dscnt 0x0
	v_mul_f64_e32 v[70:71], v[18:19], v[24:25]
	s_delay_alu instid0(VALU_DEP_1) | instskip(NEXT) | instid1(VALU_DEP_1)
	v_fmac_f64_e32 v[70:71], v[20:21], v[22:23]
	v_dual_mul_f64 v[4:5], v[20:21], v[24:25] :: v_dual_mov_b32 v24, v70
	s_delay_alu instid0(VALU_DEP_1) | instskip(NEXT) | instid1(VALU_DEP_3)
	v_fma_f64 v[4:5], v[18:19], v[22:23], -v[4:5]
	v_mov_b64_e32 v[20:21], v[70:71]
	v_xor_b32_e32 v25, 0x80000000, v71
	s_delay_alu instid0(VALU_DEP_3)
	v_mov_b64_e32 v[18:19], v[4:5]
	v_xor_b32_e32 v23, 0x80000000, v5
	v_mov_b32_e32 v22, v4
	ds_store_b128 v53, v[22:25]
.LBB172_338:                            ;   in Loop: Header=BB172_3 Depth=1
	s_or_b32 exec_lo, exec_lo, s60
	s_wait_dscnt 0x0
	s_barrier_signal -1
	s_barrier_wait -1
	s_and_saveexec_b32 s60, s78
	s_cbranch_execz .LBB172_340
; %bb.339:                              ;   in Loop: Header=BB172_3 Depth=1
	ds_load_b128 v[22:25], v53
	ds_load_b128 v[70:73], v54 offset:3072
	s_wait_dscnt 0x0
	v_mul_f64_e32 v[4:5], v[24:25], v[72:73]
	v_mul_f64_e32 v[72:73], v[22:23], v[72:73]
	s_delay_alu instid0(VALU_DEP_2) | instskip(NEXT) | instid1(VALU_DEP_2)
	v_fma_f64 v[4:5], v[22:23], v[70:71], -v[4:5]
	v_fmac_f64_e32 v[72:73], v[24:25], v[70:71]
	s_delay_alu instid0(VALU_DEP_2) | instskip(NEXT) | instid1(VALU_DEP_2)
	v_add_f64_e64 v[18:19], v[18:19], -v[4:5]
	v_add_f64_e64 v[20:21], v[20:21], -v[72:73]
.LBB172_340:                            ;   in Loop: Header=BB172_3 Depth=1
	s_or_b32 exec_lo, exec_lo, s60
	s_barrier_signal -1
	s_barrier_wait -1
	s_and_saveexec_b32 s60, s79
	s_cbranch_execz .LBB172_342
; %bb.341:                              ;   in Loop: Header=BB172_3 Depth=1
	ds_load_b128 v[22:25], v2 offset:2640
	s_wait_dscnt 0x0
	v_mul_f64_e32 v[70:71], v[18:19], v[24:25]
	s_delay_alu instid0(VALU_DEP_1) | instskip(NEXT) | instid1(VALU_DEP_1)
	v_fmac_f64_e32 v[70:71], v[20:21], v[22:23]
	v_dual_mul_f64 v[4:5], v[20:21], v[24:25] :: v_dual_mov_b32 v24, v70
	s_delay_alu instid0(VALU_DEP_1) | instskip(NEXT) | instid1(VALU_DEP_3)
	v_fma_f64 v[4:5], v[18:19], v[22:23], -v[4:5]
	v_mov_b64_e32 v[20:21], v[70:71]
	v_xor_b32_e32 v25, 0x80000000, v71
	s_delay_alu instid0(VALU_DEP_3)
	v_mov_b64_e32 v[18:19], v[4:5]
	v_xor_b32_e32 v23, 0x80000000, v5
	v_mov_b32_e32 v22, v4
	ds_store_b128 v53, v[22:25]
.LBB172_342:                            ;   in Loop: Header=BB172_3 Depth=1
	s_or_b32 exec_lo, exec_lo, s60
	s_wait_dscnt 0x0
	;; [unrolled: 41-line block ×6, first 2 shown]
	s_barrier_signal -1
	s_barrier_wait -1
	s_and_saveexec_b32 s60, s88
	s_cbranch_execz .LBB172_360
; %bb.359:                              ;   in Loop: Header=BB172_3 Depth=1
	ds_load_b128 v[22:25], v53
	ds_load_b128 v[70:73], v2 offset:512
	s_wait_dscnt 0x0
	v_mul_f64_e32 v[4:5], v[24:25], v[72:73]
	v_mul_f64_e32 v[72:73], v[22:23], v[72:73]
	s_delay_alu instid0(VALU_DEP_2) | instskip(NEXT) | instid1(VALU_DEP_2)
	v_fma_f64 v[4:5], v[22:23], v[70:71], -v[4:5]
	v_fmac_f64_e32 v[72:73], v[24:25], v[70:71]
	s_delay_alu instid0(VALU_DEP_2) | instskip(NEXT) | instid1(VALU_DEP_2)
	v_add_f64_e64 v[18:19], v[18:19], -v[4:5]
	v_add_f64_e64 v[20:21], v[20:21], -v[72:73]
.LBB172_360:                            ;   in Loop: Header=BB172_3 Depth=1
	s_or_b32 exec_lo, exec_lo, s60
	s_barrier_signal -1
	s_barrier_wait -1
	s_and_saveexec_b32 s60, s88
	s_cbranch_execz .LBB172_362
; %bb.361:                              ;   in Loop: Header=BB172_3 Depth=1
	ds_load_b128 v[22:25], v2
	s_wait_dscnt 0x0
	v_mul_f64_e32 v[70:71], v[18:19], v[24:25]
	s_delay_alu instid0(VALU_DEP_1) | instskip(NEXT) | instid1(VALU_DEP_1)
	v_fmac_f64_e32 v[70:71], v[20:21], v[22:23]
	v_dual_mul_f64 v[4:5], v[20:21], v[24:25] :: v_dual_mov_b32 v24, v70
	s_delay_alu instid0(VALU_DEP_1) | instskip(NEXT) | instid1(VALU_DEP_3)
	v_fma_f64 v[4:5], v[18:19], v[22:23], -v[4:5]
	v_mov_b64_e32 v[20:21], v[70:71]
	v_xor_b32_e32 v25, 0x80000000, v71
	s_delay_alu instid0(VALU_DEP_3)
	v_mov_b64_e32 v[18:19], v[4:5]
	v_xor_b32_e32 v23, 0x80000000, v5
	v_mov_b32_e32 v22, v4
	ds_store_b128 v53, v[22:25]
.LBB172_362:                            ;   in Loop: Header=BB172_3 Depth=1
	s_or_b32 exec_lo, exec_lo, s60
	s_wait_dscnt 0x0
	s_barrier_signal -1
	s_barrier_wait -1
	s_barrier_signal -1
	s_barrier_wait -1
	s_and_saveexec_b32 s60, s5
; %bb.363:                              ;   in Loop: Header=BB172_3 Depth=1
	ds_store_b128 v56, v[18:21] offset:7680
; %bb.364:                              ;   in Loop: Header=BB172_3 Depth=1
	s_or_b32 exec_lo, exec_lo, s60
	s_wait_dscnt 0x0
	s_barrier_signal -1
	s_barrier_wait -1
	s_barrier_signal -1
	s_barrier_wait -1
	s_and_saveexec_b32 s60, s1
	s_cbranch_execz .LBB172_366
; %bb.365:                              ;   in Loop: Header=BB172_3 Depth=1
	ds_load_b128 v[18:21], v2 offset:3696
	ds_load_b128 v[22:25], v2 offset:3168
	;; [unrolled: 1-line block ×3, first 2 shown]
	s_wait_dscnt 0x1
	v_mul_f64_e32 v[4:5], v[18:19], v[24:25]
	v_mul_f64_e32 v[24:25], v[20:21], v[24:25]
	s_delay_alu instid0(VALU_DEP_2) | instskip(NEXT) | instid1(VALU_DEP_2)
	v_fmac_f64_e32 v[4:5], v[20:21], v[22:23]
	v_fma_f64 v[18:19], v[18:19], v[22:23], -v[24:25]
	s_wait_dscnt 0x0
	s_delay_alu instid0(VALU_DEP_2) | instskip(NEXT) | instid1(VALU_DEP_2)
	v_mul_f64_e32 v[22:23], v[4:5], v[72:73]
	v_mul_f64_e32 v[20:21], v[18:19], v[72:73]
	s_delay_alu instid0(VALU_DEP_2) | instskip(NEXT) | instid1(VALU_DEP_2)
	v_fma_f64 v[18:19], v[70:71], v[18:19], -v[22:23]
	v_fmac_f64_e32 v[20:21], v[70:71], v[4:5]
	ds_store_b128 v2, v[18:21] offset:3680
.LBB172_366:                            ;   in Loop: Header=BB172_3 Depth=1
	s_or_b32 exec_lo, exec_lo, s60
	v_mov_b64_e32 v[18:19], 0
	v_mov_b64_e32 v[20:21], 0
	s_wait_dscnt 0x0
	s_barrier_signal -1
	s_barrier_wait -1
	global_wb scope:SCOPE_DEV
	s_wait_storecnt 0x0
	global_inv scope:SCOPE_DEV
	s_and_saveexec_b32 s60, s2
	s_cbranch_execz .LBB172_370
; %bb.367:                              ;   in Loop: Header=BB172_3 Depth=1
	ds_load_b128 v[18:21], v46 offset:3680
	ds_load_b128 v[22:25], v45 offset:3136
	s_wait_dscnt 0x0
	v_mul_f64_e32 v[4:5], v[20:21], v[24:25]
	v_mul_f64_e32 v[24:25], v[18:19], v[24:25]
	s_delay_alu instid0(VALU_DEP_2) | instskip(NEXT) | instid1(VALU_DEP_2)
	v_fma_f64 v[4:5], v[18:19], v[22:23], -v[4:5]
	v_fmac_f64_e32 v[24:25], v[20:21], v[22:23]
	s_delay_alu instid0(VALU_DEP_2) | instskip(NEXT) | instid1(VALU_DEP_2)
	v_add_f64_e32 v[18:19], 0, v[4:5]
	v_add_f64_e32 v[20:21], 0, v[24:25]
	s_and_saveexec_b32 s61, s3
	s_cbranch_execz .LBB172_369
; %bb.368:                              ;   in Loop: Header=BB172_3 Depth=1
	ds_load_b128 v[22:25], v2 offset:3696
	ds_load_b128 v[70:73], v47 offset:3648
	s_wait_dscnt 0x0
	v_mul_f64_e32 v[4:5], v[24:25], v[72:73]
	v_mul_f64_e32 v[72:73], v[22:23], v[72:73]
	s_delay_alu instid0(VALU_DEP_2) | instskip(NEXT) | instid1(VALU_DEP_2)
	v_fma_f64 v[4:5], v[22:23], v[70:71], -v[4:5]
	v_fmac_f64_e32 v[72:73], v[24:25], v[70:71]
	s_delay_alu instid0(VALU_DEP_2) | instskip(NEXT) | instid1(VALU_DEP_2)
	v_add_f64_e32 v[18:19], v[18:19], v[4:5]
	v_add_f64_e32 v[20:21], v[20:21], v[72:73]
.LBB172_369:                            ;   in Loop: Header=BB172_3 Depth=1
	s_or_b32 exec_lo, exec_lo, s61
.LBB172_370:                            ;   in Loop: Header=BB172_3 Depth=1
	s_delay_alu instid0(SALU_CYCLE_1)
	s_or_b32 exec_lo, exec_lo, s60
	s_and_saveexec_b32 s60, s67
	s_cbranch_execz .LBB172_372
; %bb.371:                              ;   in Loop: Header=BB172_3 Depth=1
	ds_load_b128 v[22:25], v2 offset:2640
	s_wait_dscnt 0x0
	v_mul_f64_e32 v[70:71], v[18:19], v[24:25]
	s_delay_alu instid0(VALU_DEP_1) | instskip(NEXT) | instid1(VALU_DEP_1)
	v_fmac_f64_e32 v[70:71], v[20:21], v[22:23]
	v_dual_mul_f64 v[4:5], v[20:21], v[24:25] :: v_dual_mov_b32 v24, v70
	s_delay_alu instid0(VALU_DEP_1) | instskip(NEXT) | instid1(VALU_DEP_3)
	v_fma_f64 v[4:5], v[18:19], v[22:23], -v[4:5]
	v_mov_b64_e32 v[20:21], v[70:71]
	v_xor_b32_e32 v25, 0x80000000, v71
	s_delay_alu instid0(VALU_DEP_3)
	v_mov_b64_e32 v[18:19], v[4:5]
	v_xor_b32_e32 v23, 0x80000000, v5
	v_mov_b32_e32 v22, v4
	ds_store_b128 v27, v[22:25]
.LBB172_372:                            ;   in Loop: Header=BB172_3 Depth=1
	s_or_b32 exec_lo, exec_lo, s60
	s_wait_loadcnt_dscnt 0x0
	s_barrier_signal -1
	s_barrier_wait -1
	s_and_saveexec_b32 s60, s68
	s_cbranch_execz .LBB172_374
; %bb.373:                              ;   in Loop: Header=BB172_3 Depth=1
	ds_load_b128 v[22:25], v27
	ds_load_b128 v[70:73], v2 offset:2624
	s_wait_dscnt 0x0
	v_mul_f64_e32 v[4:5], v[24:25], v[72:73]
	v_mul_f64_e32 v[72:73], v[22:23], v[72:73]
	s_delay_alu instid0(VALU_DEP_2) | instskip(NEXT) | instid1(VALU_DEP_2)
	v_fma_f64 v[4:5], v[22:23], v[70:71], -v[4:5]
	v_fmac_f64_e32 v[72:73], v[24:25], v[70:71]
	s_delay_alu instid0(VALU_DEP_2) | instskip(NEXT) | instid1(VALU_DEP_2)
	v_add_f64_e64 v[18:19], v[18:19], -v[4:5]
	v_add_f64_e64 v[20:21], v[20:21], -v[72:73]
.LBB172_374:                            ;   in Loop: Header=BB172_3 Depth=1
	s_or_b32 exec_lo, exec_lo, s60
	s_barrier_signal -1
	s_barrier_wait -1
	s_and_saveexec_b32 s60, s68
	s_cbranch_execz .LBB172_376
; %bb.375:                              ;   in Loop: Header=BB172_3 Depth=1
	ds_load_b128 v[22:25], v2 offset:2112
	s_wait_dscnt 0x0
	v_mul_f64_e32 v[70:71], v[18:19], v[24:25]
	s_delay_alu instid0(VALU_DEP_1) | instskip(NEXT) | instid1(VALU_DEP_1)
	v_fmac_f64_e32 v[70:71], v[20:21], v[22:23]
	v_dual_mul_f64 v[4:5], v[20:21], v[24:25] :: v_dual_mov_b32 v24, v70
	s_delay_alu instid0(VALU_DEP_1) | instskip(NEXT) | instid1(VALU_DEP_3)
	v_fma_f64 v[4:5], v[18:19], v[22:23], -v[4:5]
	v_mov_b64_e32 v[20:21], v[70:71]
	v_xor_b32_e32 v25, 0x80000000, v71
	s_delay_alu instid0(VALU_DEP_3)
	v_mov_b64_e32 v[18:19], v[4:5]
	v_xor_b32_e32 v23, 0x80000000, v5
	v_mov_b32_e32 v22, v4
	ds_store_b128 v27, v[22:25]
.LBB172_376:                            ;   in Loop: Header=BB172_3 Depth=1
	s_or_b32 exec_lo, exec_lo, s60
	s_wait_dscnt 0x0
	s_barrier_signal -1
	s_barrier_wait -1
	s_barrier_signal -1
	s_barrier_wait -1
	s_and_saveexec_b32 s60, s2
; %bb.377:                              ;   in Loop: Header=BB172_3 Depth=1
	ds_store_b128 v48, v[18:21] offset:3648
; %bb.378:                              ;   in Loop: Header=BB172_3 Depth=1
	s_or_b32 exec_lo, exec_lo, s60
	s_wait_dscnt 0x0
	s_barrier_signal -1
	s_barrier_wait -1
	s_barrier_signal -1
	s_barrier_wait -1
	s_and_saveexec_b32 s60, s1
	s_cbranch_execz .LBB172_380
; %bb.379:                              ;   in Loop: Header=BB172_3 Depth=1
	ds_load_b128 v[18:21], v2 offset:2640
	ds_load_b128 v[22:25], v2 offset:2112
	;; [unrolled: 1-line block ×3, first 2 shown]
	s_wait_dscnt 0x1
	v_mul_f64_e32 v[4:5], v[18:19], v[24:25]
	v_mul_f64_e32 v[24:25], v[20:21], v[24:25]
	s_delay_alu instid0(VALU_DEP_2) | instskip(NEXT) | instid1(VALU_DEP_2)
	v_fmac_f64_e32 v[4:5], v[20:21], v[22:23]
	v_fma_f64 v[18:19], v[18:19], v[22:23], -v[24:25]
	s_wait_dscnt 0x0
	s_delay_alu instid0(VALU_DEP_2) | instskip(NEXT) | instid1(VALU_DEP_2)
	v_mul_f64_e32 v[22:23], v[4:5], v[72:73]
	v_mul_f64_e32 v[20:21], v[18:19], v[72:73]
	s_delay_alu instid0(VALU_DEP_2) | instskip(NEXT) | instid1(VALU_DEP_2)
	v_fma_f64 v[18:19], v[70:71], v[18:19], -v[22:23]
	v_fmac_f64_e32 v[20:21], v[70:71], v[4:5]
	ds_store_b128 v2, v[18:21] offset:2624
.LBB172_380:                            ;   in Loop: Header=BB172_3 Depth=1
	s_or_b32 exec_lo, exec_lo, s60
	v_mov_b64_e32 v[20:21], 0
	v_mov_b64_e32 v[18:19], 0
	s_wait_dscnt 0x0
	s_barrier_signal -1
	s_barrier_wait -1
	global_wb scope:SCOPE_DEV
	s_wait_storecnt 0x0
	global_inv scope:SCOPE_DEV
	s_and_saveexec_b32 s60, s4
	s_cbranch_execz .LBB172_386
; %bb.381:                              ;   in Loop: Header=BB172_3 Depth=1
	ds_load_b128 v[18:21], v51 offset:3648
	ds_load_b128 v[22:25], v50 offset:2048
	s_wait_dscnt 0x0
	v_mul_f64_e32 v[4:5], v[20:21], v[24:25]
	v_mul_f64_e32 v[24:25], v[18:19], v[24:25]
	s_delay_alu instid0(VALU_DEP_2) | instskip(NEXT) | instid1(VALU_DEP_2)
	v_fma_f64 v[4:5], v[18:19], v[22:23], -v[4:5]
	v_fmac_f64_e32 v[24:25], v[20:21], v[22:23]
	s_delay_alu instid0(VALU_DEP_2) | instskip(NEXT) | instid1(VALU_DEP_2)
	v_add_f64_e32 v[18:19], 0, v[4:5]
	v_add_f64_e32 v[20:21], 0, v[24:25]
	s_and_saveexec_b32 s61, s12
	s_cbranch_execnz .LBB172_542
; %bb.382:                              ;   in Loop: Header=BB172_3 Depth=1
	s_or_b32 exec_lo, exec_lo, s61
	s_and_saveexec_b32 s61, s13
	s_cbranch_execnz .LBB172_543
.LBB172_383:                            ;   in Loop: Header=BB172_3 Depth=1
	s_or_b32 exec_lo, exec_lo, s61
	s_and_saveexec_b32 s61, s2
	s_cbranch_execz .LBB172_385
.LBB172_384:                            ;   in Loop: Header=BB172_3 Depth=1
	ds_load_b128 v[22:25], v2 offset:3696
	ds_load_b128 v[70:73], v47 offset:3584
	s_wait_dscnt 0x0
	v_mul_f64_e32 v[4:5], v[24:25], v[72:73]
	v_mul_f64_e32 v[72:73], v[22:23], v[72:73]
	s_delay_alu instid0(VALU_DEP_2) | instskip(NEXT) | instid1(VALU_DEP_2)
	v_fma_f64 v[4:5], v[22:23], v[70:71], -v[4:5]
	v_fmac_f64_e32 v[72:73], v[24:25], v[70:71]
	s_delay_alu instid0(VALU_DEP_2) | instskip(NEXT) | instid1(VALU_DEP_2)
	v_add_f64_e32 v[18:19], v[18:19], v[4:5]
	v_add_f64_e32 v[20:21], v[20:21], v[72:73]
.LBB172_385:                            ;   in Loop: Header=BB172_3 Depth=1
	s_or_b32 exec_lo, exec_lo, s61
.LBB172_386:                            ;   in Loop: Header=BB172_3 Depth=1
	s_delay_alu instid0(SALU_CYCLE_1)
	s_or_b32 exec_lo, exec_lo, s60
	s_and_saveexec_b32 s60, s69
	s_cbranch_execz .LBB172_388
; %bb.387:                              ;   in Loop: Header=BB172_3 Depth=1
	ds_load_b128 v[22:25], v2 offset:1584
	s_wait_dscnt 0x0
	v_mul_f64_e32 v[70:71], v[18:19], v[24:25]
	s_delay_alu instid0(VALU_DEP_1) | instskip(NEXT) | instid1(VALU_DEP_1)
	v_fmac_f64_e32 v[70:71], v[20:21], v[22:23]
	v_dual_mul_f64 v[4:5], v[20:21], v[24:25] :: v_dual_mov_b32 v24, v70
	s_delay_alu instid0(VALU_DEP_1) | instskip(NEXT) | instid1(VALU_DEP_3)
	v_fma_f64 v[4:5], v[18:19], v[22:23], -v[4:5]
	v_mov_b64_e32 v[20:21], v[70:71]
	v_xor_b32_e32 v25, 0x80000000, v71
	s_delay_alu instid0(VALU_DEP_3)
	v_mov_b64_e32 v[18:19], v[4:5]
	v_xor_b32_e32 v23, 0x80000000, v5
	v_mov_b32_e32 v22, v4
	ds_store_b128 v49, v[22:25]
.LBB172_388:                            ;   in Loop: Header=BB172_3 Depth=1
	s_or_b32 exec_lo, exec_lo, s60
	s_wait_loadcnt_dscnt 0x0
	s_barrier_signal -1
	s_barrier_wait -1
	s_and_saveexec_b32 s60, s70
	s_cbranch_execz .LBB172_390
; %bb.389:                              ;   in Loop: Header=BB172_3 Depth=1
	ds_load_b128 v[22:25], v49
	ds_load_b128 v[70:73], v50 offset:1536
	s_wait_dscnt 0x0
	v_mul_f64_e32 v[4:5], v[24:25], v[72:73]
	v_mul_f64_e32 v[72:73], v[22:23], v[72:73]
	s_delay_alu instid0(VALU_DEP_2) | instskip(NEXT) | instid1(VALU_DEP_2)
	v_fma_f64 v[4:5], v[22:23], v[70:71], -v[4:5]
	v_fmac_f64_e32 v[72:73], v[24:25], v[70:71]
	s_delay_alu instid0(VALU_DEP_2) | instskip(NEXT) | instid1(VALU_DEP_2)
	v_add_f64_e64 v[18:19], v[18:19], -v[4:5]
	v_add_f64_e64 v[20:21], v[20:21], -v[72:73]
.LBB172_390:                            ;   in Loop: Header=BB172_3 Depth=1
	s_or_b32 exec_lo, exec_lo, s60
	s_barrier_signal -1
	s_barrier_wait -1
	s_and_saveexec_b32 s60, s71
	s_cbranch_execz .LBB172_392
; %bb.391:                              ;   in Loop: Header=BB172_3 Depth=1
	ds_load_b128 v[22:25], v2 offset:1056
	s_wait_dscnt 0x0
	v_mul_f64_e32 v[70:71], v[18:19], v[24:25]
	s_delay_alu instid0(VALU_DEP_1) | instskip(NEXT) | instid1(VALU_DEP_1)
	v_fmac_f64_e32 v[70:71], v[20:21], v[22:23]
	v_dual_mul_f64 v[4:5], v[20:21], v[24:25] :: v_dual_mov_b32 v24, v70
	s_delay_alu instid0(VALU_DEP_1) | instskip(NEXT) | instid1(VALU_DEP_3)
	v_fma_f64 v[4:5], v[18:19], v[22:23], -v[4:5]
	v_mov_b64_e32 v[20:21], v[70:71]
	v_xor_b32_e32 v25, 0x80000000, v71
	s_delay_alu instid0(VALU_DEP_3)
	v_mov_b64_e32 v[18:19], v[4:5]
	v_xor_b32_e32 v23, 0x80000000, v5
	v_mov_b32_e32 v22, v4
	ds_store_b128 v49, v[22:25]
.LBB172_392:                            ;   in Loop: Header=BB172_3 Depth=1
	s_or_b32 exec_lo, exec_lo, s60
	s_wait_dscnt 0x0
	s_barrier_signal -1
	s_barrier_wait -1
	s_and_saveexec_b32 s60, s72
	s_cbranch_execz .LBB172_394
; %bb.393:                              ;   in Loop: Header=BB172_3 Depth=1
	ds_load_b128 v[22:25], v49
	ds_load_b128 v[70:73], v50 offset:1024
	s_wait_dscnt 0x0
	v_mul_f64_e32 v[4:5], v[24:25], v[72:73]
	v_mul_f64_e32 v[72:73], v[22:23], v[72:73]
	s_delay_alu instid0(VALU_DEP_2) | instskip(NEXT) | instid1(VALU_DEP_2)
	v_fma_f64 v[4:5], v[22:23], v[70:71], -v[4:5]
	v_fmac_f64_e32 v[72:73], v[24:25], v[70:71]
	s_delay_alu instid0(VALU_DEP_2) | instskip(NEXT) | instid1(VALU_DEP_2)
	v_add_f64_e64 v[18:19], v[18:19], -v[4:5]
	v_add_f64_e64 v[20:21], v[20:21], -v[72:73]
.LBB172_394:                            ;   in Loop: Header=BB172_3 Depth=1
	s_or_b32 exec_lo, exec_lo, s60
	s_barrier_signal -1
	s_barrier_wait -1
	s_and_saveexec_b32 s60, s73
	s_cbranch_execz .LBB172_396
; %bb.395:                              ;   in Loop: Header=BB172_3 Depth=1
	ds_load_b128 v[22:25], v2 offset:528
	s_wait_dscnt 0x0
	v_mul_f64_e32 v[70:71], v[18:19], v[24:25]
	s_delay_alu instid0(VALU_DEP_1) | instskip(NEXT) | instid1(VALU_DEP_1)
	v_fmac_f64_e32 v[70:71], v[20:21], v[22:23]
	v_dual_mul_f64 v[4:5], v[20:21], v[24:25] :: v_dual_mov_b32 v24, v70
	s_delay_alu instid0(VALU_DEP_1) | instskip(NEXT) | instid1(VALU_DEP_3)
	v_fma_f64 v[4:5], v[18:19], v[22:23], -v[4:5]
	v_mov_b64_e32 v[20:21], v[70:71]
	v_xor_b32_e32 v25, 0x80000000, v71
	s_delay_alu instid0(VALU_DEP_3)
	v_mov_b64_e32 v[18:19], v[4:5]
	v_xor_b32_e32 v23, 0x80000000, v5
	v_mov_b32_e32 v22, v4
	ds_store_b128 v49, v[22:25]
.LBB172_396:                            ;   in Loop: Header=BB172_3 Depth=1
	s_or_b32 exec_lo, exec_lo, s60
	s_wait_dscnt 0x0
	s_barrier_signal -1
	s_barrier_wait -1
	s_and_saveexec_b32 s60, s74
	s_cbranch_execz .LBB172_398
; %bb.397:                              ;   in Loop: Header=BB172_3 Depth=1
	ds_load_b128 v[22:25], v49
	ds_load_b128 v[70:73], v2 offset:512
	s_wait_dscnt 0x0
	v_mul_f64_e32 v[4:5], v[24:25], v[72:73]
	v_mul_f64_e32 v[72:73], v[22:23], v[72:73]
	s_delay_alu instid0(VALU_DEP_2) | instskip(NEXT) | instid1(VALU_DEP_2)
	v_fma_f64 v[4:5], v[22:23], v[70:71], -v[4:5]
	v_fmac_f64_e32 v[72:73], v[24:25], v[70:71]
	s_delay_alu instid0(VALU_DEP_2) | instskip(NEXT) | instid1(VALU_DEP_2)
	v_add_f64_e64 v[18:19], v[18:19], -v[4:5]
	v_add_f64_e64 v[20:21], v[20:21], -v[72:73]
.LBB172_398:                            ;   in Loop: Header=BB172_3 Depth=1
	s_or_b32 exec_lo, exec_lo, s60
	s_barrier_signal -1
	s_barrier_wait -1
	s_and_saveexec_b32 s60, s74
	s_cbranch_execz .LBB172_400
; %bb.399:                              ;   in Loop: Header=BB172_3 Depth=1
	ds_load_b128 v[22:25], v2
	s_wait_dscnt 0x0
	v_mul_f64_e32 v[70:71], v[18:19], v[24:25]
	s_delay_alu instid0(VALU_DEP_1) | instskip(NEXT) | instid1(VALU_DEP_1)
	v_fmac_f64_e32 v[70:71], v[20:21], v[22:23]
	v_dual_mul_f64 v[4:5], v[20:21], v[24:25] :: v_dual_mov_b32 v24, v70
	s_delay_alu instid0(VALU_DEP_1) | instskip(NEXT) | instid1(VALU_DEP_3)
	v_fma_f64 v[4:5], v[18:19], v[22:23], -v[4:5]
	v_mov_b64_e32 v[20:21], v[70:71]
	v_xor_b32_e32 v25, 0x80000000, v71
	s_delay_alu instid0(VALU_DEP_3)
	v_mov_b64_e32 v[18:19], v[4:5]
	v_xor_b32_e32 v23, 0x80000000, v5
	v_mov_b32_e32 v22, v4
	ds_store_b128 v49, v[22:25]
.LBB172_400:                            ;   in Loop: Header=BB172_3 Depth=1
	s_or_b32 exec_lo, exec_lo, s60
	s_wait_dscnt 0x0
	s_barrier_signal -1
	s_barrier_wait -1
	s_barrier_signal -1
	s_barrier_wait -1
	s_and_saveexec_b32 s60, s4
; %bb.401:                              ;   in Loop: Header=BB172_3 Depth=1
	ds_store_b128 v52, v[18:21] offset:3584
; %bb.402:                              ;   in Loop: Header=BB172_3 Depth=1
	s_or_b32 exec_lo, exec_lo, s60
	s_wait_dscnt 0x0
	s_barrier_signal -1
	s_barrier_wait -1
	s_barrier_signal -1
	s_barrier_wait -1
	s_and_saveexec_b32 s60, s1
	s_cbranch_execz .LBB172_404
; %bb.403:                              ;   in Loop: Header=BB172_3 Depth=1
	ds_load_b128 v[18:21], v2 offset:1584
	ds_load_b128 v[22:25], v2 offset:1056
	;; [unrolled: 1-line block ×3, first 2 shown]
	s_wait_dscnt 0x1
	v_mul_f64_e32 v[4:5], v[18:19], v[24:25]
	v_mul_f64_e32 v[24:25], v[20:21], v[24:25]
	s_delay_alu instid0(VALU_DEP_2) | instskip(NEXT) | instid1(VALU_DEP_2)
	v_fmac_f64_e32 v[4:5], v[20:21], v[22:23]
	v_fma_f64 v[18:19], v[18:19], v[22:23], -v[24:25]
	s_wait_dscnt 0x0
	s_delay_alu instid0(VALU_DEP_2) | instskip(NEXT) | instid1(VALU_DEP_2)
	v_mul_f64_e32 v[22:23], v[4:5], v[72:73]
	v_mul_f64_e32 v[20:21], v[18:19], v[72:73]
	s_delay_alu instid0(VALU_DEP_2) | instskip(NEXT) | instid1(VALU_DEP_2)
	v_fma_f64 v[18:19], v[70:71], v[18:19], -v[22:23]
	v_fmac_f64_e32 v[20:21], v[70:71], v[4:5]
	ds_store_b128 v2, v[18:21] offset:1568
.LBB172_404:                            ;   in Loop: Header=BB172_3 Depth=1
	s_or_b32 exec_lo, exec_lo, s60
	v_mov_b64_e32 v[18:19], 0
	v_mov_b64_e32 v[20:21], 0
	s_wait_dscnt 0x0
	s_barrier_signal -1
	s_barrier_wait -1
	global_wb scope:SCOPE_DEV
	s_wait_storecnt 0x0
	global_inv scope:SCOPE_DEV
	s_and_saveexec_b32 s60, s2
	s_cbranch_execz .LBB172_408
; %bb.405:                              ;   in Loop: Header=BB172_3 Depth=1
	ds_load_b128 v[18:21], v46 offset:1568
	ds_load_b128 v[22:25], v45 offset:1024
	s_wait_dscnt 0x0
	v_mul_f64_e32 v[4:5], v[20:21], v[24:25]
	v_mul_f64_e32 v[24:25], v[18:19], v[24:25]
	s_delay_alu instid0(VALU_DEP_2) | instskip(NEXT) | instid1(VALU_DEP_2)
	v_fma_f64 v[4:5], v[18:19], v[22:23], -v[4:5]
	v_fmac_f64_e32 v[24:25], v[20:21], v[22:23]
	s_delay_alu instid0(VALU_DEP_2) | instskip(NEXT) | instid1(VALU_DEP_2)
	v_add_f64_e32 v[18:19], 0, v[4:5]
	v_add_f64_e32 v[20:21], 0, v[24:25]
	s_and_saveexec_b32 s61, s3
	s_cbranch_execz .LBB172_407
; %bb.406:                              ;   in Loop: Header=BB172_3 Depth=1
	ds_load_b128 v[22:25], v2 offset:1584
	ds_load_b128 v[70:73], v47 offset:1536
	s_wait_dscnt 0x0
	v_mul_f64_e32 v[4:5], v[24:25], v[72:73]
	v_mul_f64_e32 v[72:73], v[22:23], v[72:73]
	s_delay_alu instid0(VALU_DEP_2) | instskip(NEXT) | instid1(VALU_DEP_2)
	v_fma_f64 v[4:5], v[22:23], v[70:71], -v[4:5]
	v_fmac_f64_e32 v[72:73], v[24:25], v[70:71]
	s_delay_alu instid0(VALU_DEP_2) | instskip(NEXT) | instid1(VALU_DEP_2)
	v_add_f64_e32 v[18:19], v[18:19], v[4:5]
	v_add_f64_e32 v[20:21], v[20:21], v[72:73]
.LBB172_407:                            ;   in Loop: Header=BB172_3 Depth=1
	s_or_b32 exec_lo, exec_lo, s61
.LBB172_408:                            ;   in Loop: Header=BB172_3 Depth=1
	s_delay_alu instid0(SALU_CYCLE_1)
	s_or_b32 exec_lo, exec_lo, s60
	s_and_saveexec_b32 s60, s67
	s_cbranch_execz .LBB172_410
; %bb.409:                              ;   in Loop: Header=BB172_3 Depth=1
	ds_load_b128 v[22:25], v2 offset:528
	s_wait_dscnt 0x0
	v_mul_f64_e32 v[70:71], v[18:19], v[24:25]
	s_delay_alu instid0(VALU_DEP_1) | instskip(NEXT) | instid1(VALU_DEP_1)
	v_fmac_f64_e32 v[70:71], v[20:21], v[22:23]
	v_dual_mul_f64 v[4:5], v[20:21], v[24:25] :: v_dual_mov_b32 v24, v70
	s_delay_alu instid0(VALU_DEP_1) | instskip(NEXT) | instid1(VALU_DEP_3)
	v_fma_f64 v[4:5], v[18:19], v[22:23], -v[4:5]
	v_mov_b64_e32 v[20:21], v[70:71]
	v_xor_b32_e32 v25, 0x80000000, v71
	s_delay_alu instid0(VALU_DEP_3)
	v_mov_b64_e32 v[18:19], v[4:5]
	v_xor_b32_e32 v23, 0x80000000, v5
	v_mov_b32_e32 v22, v4
	ds_store_b128 v27, v[22:25]
.LBB172_410:                            ;   in Loop: Header=BB172_3 Depth=1
	s_or_b32 exec_lo, exec_lo, s60
	s_wait_loadcnt_dscnt 0x0
	s_barrier_signal -1
	s_barrier_wait -1
	s_and_saveexec_b32 s60, s68
	s_cbranch_execz .LBB172_412
; %bb.411:                              ;   in Loop: Header=BB172_3 Depth=1
	ds_load_b128 v[22:25], v27
	ds_load_b128 v[70:73], v2 offset:512
	s_wait_dscnt 0x0
	v_mul_f64_e32 v[4:5], v[24:25], v[72:73]
	v_mul_f64_e32 v[72:73], v[22:23], v[72:73]
	s_delay_alu instid0(VALU_DEP_2) | instskip(NEXT) | instid1(VALU_DEP_2)
	v_fma_f64 v[4:5], v[22:23], v[70:71], -v[4:5]
	v_fmac_f64_e32 v[72:73], v[24:25], v[70:71]
	s_delay_alu instid0(VALU_DEP_2) | instskip(NEXT) | instid1(VALU_DEP_2)
	v_add_f64_e64 v[18:19], v[18:19], -v[4:5]
	v_add_f64_e64 v[20:21], v[20:21], -v[72:73]
.LBB172_412:                            ;   in Loop: Header=BB172_3 Depth=1
	s_or_b32 exec_lo, exec_lo, s60
	s_barrier_signal -1
	s_barrier_wait -1
	s_and_saveexec_b32 s60, s68
	s_cbranch_execz .LBB172_414
; %bb.413:                              ;   in Loop: Header=BB172_3 Depth=1
	ds_load_b128 v[22:25], v2
	s_wait_dscnt 0x0
	v_mul_f64_e32 v[70:71], v[18:19], v[24:25]
	s_delay_alu instid0(VALU_DEP_1) | instskip(NEXT) | instid1(VALU_DEP_1)
	v_fmac_f64_e32 v[70:71], v[20:21], v[22:23]
	v_dual_mul_f64 v[4:5], v[20:21], v[24:25] :: v_dual_mov_b32 v24, v70
	s_delay_alu instid0(VALU_DEP_1) | instskip(NEXT) | instid1(VALU_DEP_3)
	v_fma_f64 v[4:5], v[18:19], v[22:23], -v[4:5]
	v_mov_b64_e32 v[20:21], v[70:71]
	v_xor_b32_e32 v25, 0x80000000, v71
	s_delay_alu instid0(VALU_DEP_3)
	v_mov_b64_e32 v[18:19], v[4:5]
	v_xor_b32_e32 v23, 0x80000000, v5
	v_mov_b32_e32 v22, v4
	ds_store_b128 v27, v[22:25]
.LBB172_414:                            ;   in Loop: Header=BB172_3 Depth=1
	s_or_b32 exec_lo, exec_lo, s60
	s_wait_dscnt 0x0
	s_barrier_signal -1
	s_barrier_wait -1
	s_barrier_signal -1
	s_barrier_wait -1
	s_and_saveexec_b32 s60, s2
; %bb.415:                              ;   in Loop: Header=BB172_3 Depth=1
	ds_store_b128 v48, v[18:21] offset:1536
; %bb.416:                              ;   in Loop: Header=BB172_3 Depth=1
	s_or_b32 exec_lo, exec_lo, s60
	s_wait_dscnt 0x0
	s_barrier_signal -1
	s_barrier_wait -1
	s_barrier_signal -1
	s_barrier_wait -1
	s_and_saveexec_b32 s60, s1
	s_cbranch_execz .LBB172_418
; %bb.417:                              ;   in Loop: Header=BB172_3 Depth=1
	ds_load_b128 v[18:21], v2 offset:528
	ds_load_b128 v[22:25], v2
	ds_load_b128 v[70:73], v2 offset:512
	s_wait_dscnt 0x1
	v_mul_f64_e32 v[4:5], v[18:19], v[24:25]
	v_mul_f64_e32 v[24:25], v[20:21], v[24:25]
	s_delay_alu instid0(VALU_DEP_2) | instskip(NEXT) | instid1(VALU_DEP_2)
	v_fmac_f64_e32 v[4:5], v[20:21], v[22:23]
	v_fma_f64 v[18:19], v[18:19], v[22:23], -v[24:25]
	s_wait_dscnt 0x0
	s_delay_alu instid0(VALU_DEP_2) | instskip(NEXT) | instid1(VALU_DEP_2)
	v_mul_f64_e32 v[22:23], v[4:5], v[72:73]
	v_mul_f64_e32 v[20:21], v[18:19], v[72:73]
	s_delay_alu instid0(VALU_DEP_2) | instskip(NEXT) | instid1(VALU_DEP_2)
	v_fma_f64 v[18:19], v[70:71], v[18:19], -v[22:23]
	v_fmac_f64_e32 v[20:21], v[70:71], v[4:5]
	ds_store_b128 v2, v[18:21] offset:512
.LBB172_418:                            ;   in Loop: Header=BB172_3 Depth=1
	s_or_b32 exec_lo, exec_lo, s60
.LBB172_419:                            ;   in Loop: Header=BB172_3 Depth=1
	v_add_nc_u64_e32 v[22:23], s[44:45], v[42:43]
	v_mov_b64_e32 v[18:19], 0
	v_mov_b64_e32 v[20:21], 0
	s_wait_dscnt 0x0
	s_barrier_signal -1
	s_barrier_wait -1
	s_wait_xcnt 0x0
	s_and_saveexec_b32 s60, s89
	s_cbranch_execz .LBB172_421
; %bb.420:                              ;   in Loop: Header=BB172_3 Depth=1
	v_lshl_add_u64 v[4:5], v[0:1], 4, v[22:23]
	flat_load_b128 v[70:73], v[4:5]
	s_wait_loadcnt_dscnt 0x0
	v_mul_f64_e32 v[4:5], v[14:15], v[70:71]
	v_mul_f64_e32 v[14:15], v[14:15], v[72:73]
	s_delay_alu instid0(VALU_DEP_2) | instskip(NEXT) | instid1(VALU_DEP_2)
	v_fma_f64 v[18:19], v[16:17], v[72:73], -v[4:5]
	v_fma_f64 v[20:21], v[70:71], -v[16:17], -v[14:15]
.LBB172_421:                            ;   in Loop: Header=BB172_3 Depth=1
	s_or_b32 exec_lo, exec_lo, s60
	s_delay_alu instid0(SALU_CYCLE_1)
	s_and_not1_b32 vcc_lo, exec_lo, s90
	s_cbranch_vccnz .LBB172_444
; %bb.422:                              ;   in Loop: Header=BB172_3 Depth=1
	v_lshl_add_u64 v[14:15], v[30:31], 4, v[40:41]
	v_mov_b32_e32 v42, -1
	s_lshl_b64 s[60:61], s[38:39], 2
	s_mov_b32 s95, 0
	s_add_nc_u64 s[60:61], s[56:57], s[60:61]
	s_branch .LBB172_425
.LBB172_423:                            ;   in Loop: Header=BB172_425 Depth=2
	ds_load_b128 v[70:73], v62 offset:256
	s_wait_loadcnt_dscnt 0x0
	v_mul_f64_e32 v[16:17], v[24:25], v[72:73]
	v_mul_f64_e32 v[40:41], v[4:5], v[72:73]
	s_delay_alu instid0(VALU_DEP_2) | instskip(NEXT) | instid1(VALU_DEP_2)
	v_fma_f64 v[4:5], v[4:5], v[70:71], -v[16:17]
	v_fmac_f64_e32 v[40:41], v[24:25], v[70:71]
	s_delay_alu instid0(VALU_DEP_2) | instskip(NEXT) | instid1(VALU_DEP_2)
	v_add_f64_e32 v[18:19], v[18:19], v[4:5]
	v_add_f64_e32 v[20:21], v[20:21], v[40:41]
.LBB172_424:                            ;   in Loop: Header=BB172_425 Depth=2
	s_or_b32 exec_lo, exec_lo, s96
	s_add_co_i32 s95, s95, 1
	s_delay_alu instid0(SALU_CYCLE_1)
	s_cmp_eq_u32 s95, s62
	s_cbranch_scc1 .LBB172_444
.LBB172_425:                            ;   Parent Loop BB172_3 Depth=1
                                        ; =>  This Loop Header: Depth=2
                                        ;       Child Loop BB172_427 Depth 3
	v_cmp_gt_i32_e32 vcc_lo, s95, v42
	s_and_b32 s97, s30, vcc_lo
	s_delay_alu instid0(SALU_CYCLE_1)
	s_and_saveexec_b32 s96, s97
	s_cbranch_execz .LBB172_428
; %bb.426:                              ;   in Loop: Header=BB172_425 Depth=2
	global_load_b32 v42, v2, s[60:61]
	s_wait_loadcnt 0x0
	v_cmp_le_i32_e32 vcc_lo, s95, v42
	s_cbranch_vccnz .LBB172_428
.LBB172_427:                            ;   Parent Loop BB172_3 Depth=1
                                        ;     Parent Loop BB172_425 Depth=2
                                        ; =>    This Inner Loop Header: Depth=3
	global_wb scope:SCOPE_DEV
	s_wait_storecnt 0x0
	global_inv scope:SCOPE_DEV
	global_load_b32 v42, v2, s[60:61]
	s_wait_loadcnt 0x0
	v_cmp_gt_i32_e32 vcc_lo, s95, v42
	s_cbranch_vccnz .LBB172_427
.LBB172_428:                            ;   in Loop: Header=BB172_425 Depth=2
	s_or_b32 exec_lo, exec_lo, s96
	s_sub_co_i32 s96, s63, s95
	global_wb scope:SCOPE_DEV
	s_wait_storecnt 0x0
	global_inv scope:SCOPE_DEV
	s_lshl_b32 s97, s96, 5
	s_wait_loadcnt 0x0
	s_barrier_signal -1
	s_barrier_wait -1
	s_and_saveexec_b32 s98, s31
	s_cbranch_execz .LBB172_433
; %bb.429:                              ;   in Loop: Header=BB172_425 Depth=2
	s_ashr_i32 vcc_lo, s97, 31
	s_delay_alu instid0(SALU_CYCLE_1) | instskip(NEXT) | instid1(VALU_DEP_1)
	v_dual_mov_b32 v5, vcc_lo :: v_dual_bitop2_b32 v4, s97, v28 bitop3:0x54
	v_cmp_le_i64_e32 vcc_lo, s[52:53], v[4:5]
	s_and_saveexec_b32 s99, vcc_lo
	s_delay_alu instid0(SALU_CYCLE_1)
	s_xor_b32 vcc_lo, exec_lo, s99
; %bb.430:                              ;   in Loop: Header=BB172_425 Depth=2
	v_dual_mov_b32 v3, v2 :: v_dual_mov_b32 v4, v2
	v_mov_b32_e32 v5, v2
	ds_store_b128 v61, v[2:5]
                                        ; implicit-def: $vgpr4_vgpr5
; %bb.431:                              ;   in Loop: Header=BB172_425 Depth=2
	s_and_not1_saveexec_b32 s99, vcc_lo
	s_cbranch_execz .LBB172_433
; %bb.432:                              ;   in Loop: Header=BB172_425 Depth=2
	v_mul_u64_e32 v[4:5], s[46:47], v[4:5]
	s_delay_alu instid0(VALU_DEP_1)
	v_lshl_add_u64 v[4:5], v[4:5], 4, v[22:23]
	flat_load_b128 v[70:73], v[4:5]
	s_wait_loadcnt_dscnt 0x0
	ds_store_2addr_b64 v61, v[70:71], v[72:73] offset1:1
.LBB172_433:                            ;   in Loop: Header=BB172_425 Depth=2
	s_or_b32 exec_lo, exec_lo, s98
	v_add_nc_u32_e32 v4, s97, v44
	s_cmp_lg_u32 s96, s91
	s_wait_dscnt 0x0
	s_cselect_b32 s97, -1, 0
	s_barrier_signal -1
	v_ashrrev_i32_e32 v5, 31, v4
	v_cmp_gt_i32_e32 vcc_lo, s52, v4
	v_cndmask_b32_e64 v3, 0, 1, s97
	s_barrier_wait -1
	s_delay_alu instid0(VALU_DEP_3) | instskip(SKIP_1) | instid1(VALU_DEP_1)
	v_mul_u64_e32 v[16:17], s[54:55], v[4:5]
	s_and_b32 s98, s0, vcc_lo
	v_lshl_add_u64 v[16:17], v[16:17], 4, v[14:15]
	s_and_saveexec_b32 s96, s98
	s_cbranch_execz .LBB172_439
; %bb.434:                              ;   in Loop: Header=BB172_425 Depth=2
	v_mov_b64_e32 v[24:25], v[6:7]
	s_and_not1_b32 vcc_lo, exec_lo, s97
	s_cbranch_vccnz .LBB172_436
; %bb.435:                              ;   in Loop: Header=BB172_425 Depth=2
	flat_load_b64 v[24:25], v[16:17]
.LBB172_436:                            ;   in Loop: Header=BB172_425 Depth=2
	v_cmp_ne_u32_e32 vcc_lo, 1, v3
	v_mov_b64_e32 v[40:41], v[8:9]
	s_cbranch_vccnz .LBB172_438
; %bb.437:                              ;   in Loop: Header=BB172_425 Depth=2
	flat_load_b64 v[40:41], v[16:17] offset:8
.LBB172_438:                            ;   in Loop: Header=BB172_425 Depth=2
	ds_load_b128 v[70:73], v62
	s_wait_loadcnt_dscnt 0x0
	v_mul_f64_e32 v[74:75], v[40:41], v[72:73]
	v_mul_f64_e32 v[72:73], v[24:25], v[72:73]
	s_delay_alu instid0(VALU_DEP_2) | instskip(NEXT) | instid1(VALU_DEP_2)
	v_fma_f64 v[24:25], v[24:25], v[70:71], -v[74:75]
	v_fmac_f64_e32 v[72:73], v[40:41], v[70:71]
	s_delay_alu instid0(VALU_DEP_2) | instskip(NEXT) | instid1(VALU_DEP_2)
	v_add_f64_e32 v[18:19], v[18:19], v[24:25]
	v_add_f64_e32 v[20:21], v[20:21], v[72:73]
.LBB172_439:                            ;   in Loop: Header=BB172_425 Depth=2
	s_or_b32 exec_lo, exec_lo, s96
	v_add_nc_u32_e32 v4, 16, v4
	s_delay_alu instid0(VALU_DEP_1) | instskip(SKIP_1) | instid1(SALU_CYCLE_1)
	v_cmp_gt_i32_e32 vcc_lo, s52, v4
	s_and_b32 s97, s0, vcc_lo
	s_and_saveexec_b32 s96, s97
	s_cbranch_execz .LBB172_424
; %bb.440:                              ;   in Loop: Header=BB172_425 Depth=2
	v_cmp_ne_u32_e32 vcc_lo, 1, v3
	v_add_nc_u64_e32 v[16:17], s[58:59], v[16:17]
	v_mov_b64_e32 v[4:5], v[10:11]
	s_cbranch_vccnz .LBB172_442
; %bb.441:                              ;   in Loop: Header=BB172_425 Depth=2
	flat_load_b64 v[4:5], v[16:17]
.LBB172_442:                            ;   in Loop: Header=BB172_425 Depth=2
	v_cmp_ne_u32_e32 vcc_lo, 1, v3
	v_mov_b64_e32 v[24:25], v[12:13]
	s_cbranch_vccnz .LBB172_423
; %bb.443:                              ;   in Loop: Header=BB172_425 Depth=2
	flat_load_b64 v[24:25], v[16:17] offset:8
	s_branch .LBB172_423
.LBB172_444:                            ;   in Loop: Header=BB172_3 Depth=1
	ds_store_b128 v29, v[18:21]
	s_wait_dscnt 0x0
	s_barrier_signal -1
	s_barrier_wait -1
	s_and_saveexec_b32 s60, s7
	s_cbranch_execz .LBB172_446
; %bb.445:                              ;   in Loop: Header=BB172_3 Depth=1
	ds_load_b128 v[14:17], v63 offset:512
	ds_load_b128 v[40:43], v63 offset:1024
	s_wait_dscnt 0x1
	v_add_f64_e32 v[4:5], v[18:19], v[14:15]
	v_add_f64_e32 v[14:15], v[20:21], v[16:17]
	s_wait_dscnt 0x0
	s_delay_alu instid0(VALU_DEP_2) | instskip(NEXT) | instid1(VALU_DEP_2)
	v_add_f64_e32 v[4:5], v[4:5], v[40:41]
	v_add_f64_e32 v[24:25], v[14:15], v[42:43]
	ds_load_b128 v[14:17], v63 offset:1536
	ds_load_b128 v[18:21], v63 offset:2048
	s_wait_dscnt 0x1
	v_add_f64_e32 v[4:5], v[4:5], v[14:15]
	v_add_f64_e32 v[14:15], v[24:25], v[16:17]
	s_wait_dscnt 0x0
	s_delay_alu instid0(VALU_DEP_2) | instskip(NEXT) | instid1(VALU_DEP_2)
	v_add_f64_e32 v[4:5], v[4:5], v[18:19]
	v_add_f64_e32 v[24:25], v[14:15], v[20:21]
	;; [unrolled: 9-line block ×7, first 2 shown]
	ds_load_b128 v[14:17], v63 offset:7680
	s_wait_dscnt 0x0
	v_add_f64_e32 v[4:5], v[4:5], v[14:15]
	v_add_f64_e32 v[14:15], v[18:19], v[16:17]
	s_delay_alu instid0(VALU_DEP_2) | instskip(NEXT) | instid1(VALU_DEP_2)
	v_xor_b32_e32 v3, 0x80000000, v5
	v_xor_b32_e32 v5, 0x80000000, v15
	s_delay_alu instid0(VALU_DEP_4) | instskip(NEXT) | instid1(VALU_DEP_4)
	v_cndmask_b32_e64 v18, v4, 0, s36
	v_cndmask_b32_e64 v20, v14, 0, s36
	s_delay_alu instid0(VALU_DEP_4) | instskip(NEXT) | instid1(VALU_DEP_4)
	v_cndmask_b32_e64 v19, v3, 0, s36
	v_cndmask_b32_e64 v21, v5, 0, s36
.LBB172_446:                            ;   in Loop: Header=BB172_3 Depth=1
	s_or_b32 exec_lo, exec_lo, s60
	s_delay_alu instid0(SALU_CYCLE_1)
	s_and_not1_b32 vcc_lo, exec_lo, s66
	s_cbranch_vccnz .LBB172_455
; %bb.447:                              ;   in Loop: Header=BB172_3 Depth=1
	s_and_saveexec_b32 s60, s7
; %bb.448:                              ;   in Loop: Header=BB172_3 Depth=1
	ds_store_b128 v65, v[18:21]
; %bb.449:                              ;   in Loop: Header=BB172_3 Depth=1
	s_or_b32 exec_lo, exec_lo, s60
	v_mov_b64_e32 v[14:15], 0
	v_mov_b64_e32 v[16:17], 0
	s_wait_dscnt 0x0
	s_barrier_signal -1
	s_barrier_wait -1
	s_and_saveexec_b32 s60, s33
	s_cbranch_execz .LBB172_451
; %bb.450:                              ;   in Loop: Header=BB172_3 Depth=1
	ds_load_b128 v[14:17], v62
	ds_load_b128 v[40:43], v64
	s_wait_dscnt 0x0
	v_mul_f64_e32 v[4:5], v[16:17], v[42:43]
	v_mul_f64_e32 v[24:25], v[14:15], v[42:43]
	s_delay_alu instid0(VALU_DEP_2) | instskip(NEXT) | instid1(VALU_DEP_2)
	v_fma_f64 v[4:5], v[14:15], v[40:41], -v[4:5]
	v_fmac_f64_e32 v[24:25], v[16:17], v[40:41]
	s_delay_alu instid0(VALU_DEP_2) | instskip(NEXT) | instid1(VALU_DEP_2)
	v_add_f64_e32 v[14:15], 0, v[4:5]
	v_add_f64_e32 v[16:17], 0, v[24:25]
.LBB172_451:                            ;   in Loop: Header=BB172_3 Depth=1
	s_or_b32 exec_lo, exec_lo, s60
	s_and_saveexec_b32 s60, s34
	s_cbranch_execz .LBB172_453
; %bb.452:                              ;   in Loop: Header=BB172_3 Depth=1
	ds_load_b128 v[40:43], v62 offset:256
	ds_load_b128 v[70:73], v64 offset:8192
	s_wait_dscnt 0x0
	v_mul_f64_e32 v[4:5], v[42:43], v[72:73]
	v_mul_f64_e32 v[24:25], v[40:41], v[72:73]
	s_delay_alu instid0(VALU_DEP_2) | instskip(NEXT) | instid1(VALU_DEP_2)
	v_fma_f64 v[4:5], v[40:41], v[70:71], -v[4:5]
	v_fmac_f64_e32 v[24:25], v[42:43], v[70:71]
	s_delay_alu instid0(VALU_DEP_2) | instskip(NEXT) | instid1(VALU_DEP_2)
	v_add_f64_e32 v[14:15], v[14:15], v[4:5]
	v_add_f64_e32 v[16:17], v[16:17], v[24:25]
.LBB172_453:                            ;   in Loop: Header=BB172_3 Depth=1
	s_or_b32 exec_lo, exec_lo, s60
	s_mov_b32 s61, 0
	s_mov_b32 s60, 0
	ds_store_b128 v29, v[14:17]
	s_wait_dscnt 0x0
	s_barrier_signal -1
	s_barrier_wait -1
                                        ; implicit-def: $vgpr4_vgpr5
                                        ; implicit-def: $vgpr24_vgpr25
	s_and_saveexec_b32 s95, s7
	s_cbranch_execz .LBB172_516
; %bb.454:                              ;   in Loop: Header=BB172_3 Depth=1
	ds_load_b128 v[40:43], v63 offset:512
	ds_load_b128 v[70:73], v63 offset:1024
	s_mov_b32 s60, exec_lo
	s_wait_dscnt 0x1
	v_add_f64_e32 v[4:5], v[14:15], v[40:41]
	v_add_f64_e32 v[14:15], v[16:17], v[42:43]
	s_wait_dscnt 0x0
	s_delay_alu instid0(VALU_DEP_2) | instskip(NEXT) | instid1(VALU_DEP_2)
	v_add_f64_e32 v[4:5], v[4:5], v[70:71]
	v_add_f64_e32 v[24:25], v[14:15], v[72:73]
	ds_load_b128 v[14:17], v63 offset:1536
	ds_load_b128 v[40:43], v63 offset:2048
	s_wait_dscnt 0x1
	v_add_f64_e32 v[4:5], v[4:5], v[14:15]
	v_add_f64_e32 v[14:15], v[24:25], v[16:17]
	s_wait_dscnt 0x0
	s_delay_alu instid0(VALU_DEP_2) | instskip(NEXT) | instid1(VALU_DEP_2)
	v_add_f64_e32 v[4:5], v[4:5], v[40:41]
	v_add_f64_e32 v[24:25], v[14:15], v[42:43]
	ds_load_b128 v[14:17], v63 offset:2560
	ds_load_b128 v[40:43], v63 offset:3072
	;; [unrolled: 9-line block ×6, first 2 shown]
	s_wait_dscnt 0x1
	v_add_f64_e32 v[4:5], v[4:5], v[14:15]
	v_add_f64_e32 v[14:15], v[24:25], v[16:17]
	s_wait_dscnt 0x0
	s_delay_alu instid0(VALU_DEP_2) | instskip(NEXT) | instid1(VALU_DEP_2)
	v_add_f64_e32 v[4:5], v[4:5], v[40:41]
	v_add_f64_e32 v[40:41], v[14:15], v[42:43]
	ds_load_b128 v[14:17], v63 offset:7680
	s_wait_dscnt 0x0
	v_add_f64_e32 v[24:25], v[4:5], v[14:15]
	v_add_f64_e32 v[4:5], v[40:41], v[16:17]
	s_or_b32 exec_lo, exec_lo, s95
	s_delay_alu instid0(SALU_CYCLE_1)
	s_and_b32 vcc_lo, exec_lo, s61
	s_cbranch_vccnz .LBB172_456
	s_branch .LBB172_517
.LBB172_455:                            ;   in Loop: Header=BB172_3 Depth=1
	s_mov_b32 s60, 0
                                        ; implicit-def: $vgpr4_vgpr5
                                        ; implicit-def: $vgpr24_vgpr25
	s_cbranch_execz .LBB172_517
.LBB172_456:                            ;   in Loop: Header=BB172_3 Depth=1
	v_mov_b32_e32 v3, v67
	s_mov_b32 s61, 31
	s_branch .LBB172_458
.LBB172_457:                            ;   in Loop: Header=BB172_458 Depth=2
	s_or_b32 exec_lo, exec_lo, s96
	v_add_nc_u32_e32 v3, 0xfffffc00, v3
	s_add_co_i32 s61, s61, -2
	s_cmp_lg_u32 s95, 0
	s_barrier_signal -1
	s_barrier_wait -1
	s_cbranch_scc0 .LBB172_466
.LBB172_458:                            ;   Parent Loop BB172_3 Depth=1
                                        ; =>  This Inner Loop Header: Depth=2
	s_delay_alu instid0(VALU_DEP_1) | instskip(SKIP_1) | instid1(SALU_CYCLE_1)
	v_cmp_eq_u32_e32 vcc_lo, 0xffffc200, v3
	s_and_b32 s96, s7, vcc_lo
	s_and_saveexec_b32 s95, s96
	s_cbranch_execz .LBB172_460
; %bb.459:                              ;   in Loop: Header=BB172_458 Depth=2
	ds_load_b128 v[14:17], v66
	s_wait_dscnt 0x0
	v_mul_f64_e32 v[4:5], v[20:21], v[16:17]
	v_mul_f64_e32 v[42:43], v[18:19], v[16:17]
	s_delay_alu instid0(VALU_DEP_2) | instskip(NEXT) | instid1(VALU_DEP_2)
	v_fma_f64 v[40:41], v[18:19], v[14:15], -v[4:5]
	v_fmac_f64_e32 v[42:43], v[20:21], v[14:15]
	s_delay_alu instid0(VALU_DEP_2) | instskip(NEXT) | instid1(VALU_DEP_2)
	v_mov_b64_e32 v[18:19], v[40:41]
	v_mov_b64_e32 v[20:21], v[42:43]
	ds_store_b128 v2, v[40:43] offset:25088
.LBB172_460:                            ;   in Loop: Header=BB172_458 Depth=2
	s_or_b32 exec_lo, exec_lo, s95
	v_cmp_gt_u32_e32 vcc_lo, s61, v26
	v_add_nc_u32_e32 v4, v68, v3
	s_wait_dscnt 0x0
	s_barrier_signal -1
	s_barrier_wait -1
	s_and_b32 s96, s7, vcc_lo
	s_delay_alu instid0(SALU_CYCLE_1)
	s_and_saveexec_b32 s95, s96
	s_cbranch_execz .LBB172_462
; %bb.461:                              ;   in Loop: Header=BB172_458 Depth=2
	ds_load_b128 v[14:17], v2 offset:25088
	ds_load_b128 v[40:43], v4 offset:512
	s_wait_dscnt 0x0
	v_mul_f64_e32 v[24:25], v[16:17], v[42:43]
	v_mul_f64_e32 v[42:43], v[14:15], v[42:43]
	s_delay_alu instid0(VALU_DEP_2) | instskip(NEXT) | instid1(VALU_DEP_2)
	v_fma_f64 v[14:15], v[14:15], v[40:41], -v[24:25]
	v_fmac_f64_e32 v[42:43], v[16:17], v[40:41]
	s_delay_alu instid0(VALU_DEP_2) | instskip(NEXT) | instid1(VALU_DEP_2)
	v_add_f64_e32 v[18:19], v[18:19], v[14:15]
	v_add_f64_e32 v[20:21], v[20:21], v[42:43]
.LBB172_462:                            ;   in Loop: Header=BB172_458 Depth=2
	s_or_b32 exec_lo, exec_lo, s95
	s_add_co_i32 s95, s61, -1
	s_delay_alu instid0(SALU_CYCLE_1) | instskip(SKIP_3) | instid1(SALU_CYCLE_1)
	v_cmp_eq_u32_e32 vcc_lo, s95, v26
	s_barrier_signal -1
	s_barrier_wait -1
	s_and_b32 s97, s7, vcc_lo
	s_and_saveexec_b32 s96, s97
	s_cbranch_execz .LBB172_464
; %bb.463:                              ;   in Loop: Header=BB172_458 Depth=2
	ds_load_b128 v[14:17], v66
	s_wait_dscnt 0x0
	v_mul_f64_e32 v[24:25], v[20:21], v[16:17]
	v_mul_f64_e32 v[42:43], v[18:19], v[16:17]
	s_delay_alu instid0(VALU_DEP_2) | instskip(NEXT) | instid1(VALU_DEP_2)
	v_fma_f64 v[40:41], v[18:19], v[14:15], -v[24:25]
	v_fmac_f64_e32 v[42:43], v[20:21], v[14:15]
	s_delay_alu instid0(VALU_DEP_2) | instskip(NEXT) | instid1(VALU_DEP_2)
	v_mov_b64_e32 v[18:19], v[40:41]
	v_mov_b64_e32 v[20:21], v[42:43]
	ds_store_b128 v2, v[40:43] offset:25088
.LBB172_464:                            ;   in Loop: Header=BB172_458 Depth=2
	s_or_b32 exec_lo, exec_lo, s96
	v_cmp_gt_u32_e32 vcc_lo, s95, v26
	s_wait_dscnt 0x0
	s_barrier_signal -1
	s_barrier_wait -1
	s_and_b32 s97, s7, vcc_lo
	s_delay_alu instid0(SALU_CYCLE_1)
	s_and_saveexec_b32 s96, s97
	s_cbranch_execz .LBB172_457
; %bb.465:                              ;   in Loop: Header=BB172_458 Depth=2
	ds_load_b128 v[14:17], v2 offset:25088
	ds_load_b128 v[40:43], v4
	s_wait_dscnt 0x0
	v_mul_f64_e32 v[4:5], v[16:17], v[42:43]
	v_mul_f64_e32 v[24:25], v[14:15], v[42:43]
	s_delay_alu instid0(VALU_DEP_2) | instskip(NEXT) | instid1(VALU_DEP_2)
	v_fma_f64 v[4:5], v[14:15], v[40:41], -v[4:5]
	v_fmac_f64_e32 v[24:25], v[16:17], v[40:41]
	s_delay_alu instid0(VALU_DEP_2) | instskip(NEXT) | instid1(VALU_DEP_2)
	v_add_f64_e32 v[18:19], v[18:19], v[4:5]
	v_add_f64_e32 v[20:21], v[20:21], v[24:25]
	s_branch .LBB172_457
.LBB172_466:                            ;   in Loop: Header=BB172_3 Depth=1
	s_and_b32 vcc_lo, exec_lo, s64
	s_mov_b32 s61, -1
	s_cbranch_vccnz .LBB172_518
; %bb.467:                              ;   in Loop: Header=BB172_3 Depth=1
	s_and_not1_b32 vcc_lo, exec_lo, s61
	s_cbranch_vccz .LBB172_519
.LBB172_468:                            ;   in Loop: Header=BB172_3 Depth=1
	s_and_saveexec_b32 s61, s60
	s_cbranch_execz .LBB172_470
.LBB172_469:                            ;   in Loop: Header=BB172_3 Depth=1
	v_lshl_add_u64 v[4:5], v[34:35], 4, v[22:23]
	flat_store_b128 v[4:5], v[18:21]
.LBB172_470:                            ;   in Loop: Header=BB172_3 Depth=1
	s_wait_xcnt 0x0
	s_or_b32 exec_lo, exec_lo, s61
	global_wb scope:SCOPE_DEV
	s_wait_storecnt_dscnt 0x0
	global_inv scope:SCOPE_DEV
	s_wait_loadcnt 0x0
	s_barrier_signal -1
	s_barrier_wait -1
	s_and_saveexec_b32 s60, s30
	s_cbranch_execz .LBB172_2
; %bb.471:                              ;   in Loop: Header=BB172_3 Depth=1
	s_lshl_b64 s[96:97], s[38:39], 2
	s_delay_alu instid0(SALU_CYCLE_1)
	s_add_nc_u64 s[96:97], s[56:57], s[96:97]
	global_load_b32 v3, v2, s[96:97]
	s_wait_loadcnt 0x0
	v_add_nc_u32_e32 v3, 1, v3
	global_store_b32 v2, v3, s[96:97]
	s_branch .LBB172_2
.LBB172_472:                            ;   in Loop: Header=BB172_3 Depth=1
	s_mov_b32 s95, exec_lo
	v_readlane_b32 s96, v76, 13
	s_and_b32 s96, s95, s96
	s_delay_alu instid0(SALU_CYCLE_1)
	s_xor_b32 s95, s96, s95
	s_mov_b32 exec_lo, s96
	s_cbranch_execz .LBB172_474
; %bb.473:                              ;   in Loop: Header=BB172_3 Depth=1
	v_readlane_b32 s61, v76, 28
	s_and_b32 s61, s61, exec_lo
.LBB172_474:                            ;   in Loop: Header=BB172_3 Depth=1
	s_or_saveexec_b32 s95, s95
	v_mov_b64_e32 v[20:21], 0
	v_mov_b64_e32 v[18:19], 0
	s_xor_b32 exec_lo, exec_lo, s95
	s_cbranch_execz .LBB172_480
; %bb.475:                              ;   in Loop: Header=BB172_3 Depth=1
	v_lshl_add_u64 v[4:5], v[36:37], 4, v[40:41]
                                        ; implicit-def: $vgpr20_vgpr21
	flat_load_b128 v[22:25], v[4:5]
	s_wait_loadcnt_dscnt 0x0
	v_cmp_ngt_f64_e64 s96, |v[22:23]|, |v[24:25]|
	s_and_saveexec_b32 s97, s96
	s_delay_alu instid0(SALU_CYCLE_1)
	s_xor_b32 s96, exec_lo, s97
	s_cbranch_execz .LBB172_477
; %bb.476:                              ;   in Loop: Header=BB172_3 Depth=1
	v_div_scale_f64 v[4:5], null, v[24:25], v[24:25], v[22:23]
	v_div_scale_f64 v[70:71], vcc_lo, v[22:23], v[24:25], v[22:23]
	s_delay_alu instid0(VALU_DEP_2) | instskip(SKIP_1) | instid1(TRANS32_DEP_1)
	v_rcp_f64_e32 v[18:19], v[4:5]
	v_nop
	v_fma_f64 v[20:21], -v[4:5], v[18:19], 1.0
	s_delay_alu instid0(VALU_DEP_1) | instskip(NEXT) | instid1(VALU_DEP_1)
	v_fmac_f64_e32 v[18:19], v[18:19], v[20:21]
	v_fma_f64 v[20:21], -v[4:5], v[18:19], 1.0
	s_delay_alu instid0(VALU_DEP_1) | instskip(NEXT) | instid1(VALU_DEP_1)
	v_fmac_f64_e32 v[18:19], v[18:19], v[20:21]
	v_mul_f64_e32 v[20:21], v[70:71], v[18:19]
	s_delay_alu instid0(VALU_DEP_1) | instskip(NEXT) | instid1(VALU_DEP_1)
	v_fma_f64 v[4:5], -v[4:5], v[20:21], v[70:71]
	v_div_fmas_f64 v[4:5], v[4:5], v[18:19], v[20:21]
	s_delay_alu instid0(VALU_DEP_1) | instskip(NEXT) | instid1(VALU_DEP_1)
	v_div_fixup_f64 v[4:5], v[4:5], v[24:25], v[22:23]
	v_fmac_f64_e32 v[24:25], v[22:23], v[4:5]
	s_delay_alu instid0(VALU_DEP_1) | instskip(NEXT) | instid1(VALU_DEP_1)
	v_div_scale_f64 v[18:19], null, v[24:25], v[24:25], 1.0
	v_rcp_f64_e32 v[20:21], v[18:19]
	v_nop
	s_delay_alu instid0(TRANS32_DEP_1) | instskip(NEXT) | instid1(VALU_DEP_1)
	v_fma_f64 v[22:23], -v[18:19], v[20:21], 1.0
	v_fmac_f64_e32 v[20:21], v[20:21], v[22:23]
	s_delay_alu instid0(VALU_DEP_1) | instskip(NEXT) | instid1(VALU_DEP_1)
	v_fma_f64 v[22:23], -v[18:19], v[20:21], 1.0
	v_fmac_f64_e32 v[20:21], v[20:21], v[22:23]
	v_div_scale_f64 v[22:23], vcc_lo, 1.0, v[24:25], 1.0
	s_delay_alu instid0(VALU_DEP_1) | instskip(NEXT) | instid1(VALU_DEP_1)
	v_mul_f64_e32 v[70:71], v[22:23], v[20:21]
	v_fma_f64 v[18:19], -v[18:19], v[70:71], v[22:23]
	s_delay_alu instid0(VALU_DEP_1) | instskip(NEXT) | instid1(VALU_DEP_1)
	v_div_fmas_f64 v[18:19], v[18:19], v[20:21], v[70:71]
	v_div_fixup_f64 v[20:21], v[18:19], v[24:25], 1.0
                                        ; implicit-def: $vgpr22_vgpr23
	s_delay_alu instid0(VALU_DEP_1)
	v_mul_f64_e32 v[18:19], v[4:5], v[20:21]
	v_xor_b32_e32 v21, 0x80000000, v21
.LBB172_477:                            ;   in Loop: Header=BB172_3 Depth=1
	s_and_not1_saveexec_b32 s96, s96
	s_cbranch_execz .LBB172_479
; %bb.478:                              ;   in Loop: Header=BB172_3 Depth=1
	v_div_scale_f64 v[4:5], null, v[22:23], v[22:23], v[24:25]
	v_div_scale_f64 v[70:71], vcc_lo, v[24:25], v[22:23], v[24:25]
	s_delay_alu instid0(VALU_DEP_2) | instskip(SKIP_1) | instid1(TRANS32_DEP_1)
	v_rcp_f64_e32 v[18:19], v[4:5]
	v_nop
	v_fma_f64 v[20:21], -v[4:5], v[18:19], 1.0
	s_delay_alu instid0(VALU_DEP_1) | instskip(NEXT) | instid1(VALU_DEP_1)
	v_fmac_f64_e32 v[18:19], v[18:19], v[20:21]
	v_fma_f64 v[20:21], -v[4:5], v[18:19], 1.0
	s_delay_alu instid0(VALU_DEP_1) | instskip(NEXT) | instid1(VALU_DEP_1)
	v_fmac_f64_e32 v[18:19], v[18:19], v[20:21]
	v_mul_f64_e32 v[20:21], v[70:71], v[18:19]
	s_delay_alu instid0(VALU_DEP_1) | instskip(NEXT) | instid1(VALU_DEP_1)
	v_fma_f64 v[4:5], -v[4:5], v[20:21], v[70:71]
	v_div_fmas_f64 v[4:5], v[4:5], v[18:19], v[20:21]
	s_delay_alu instid0(VALU_DEP_1) | instskip(NEXT) | instid1(VALU_DEP_1)
	v_div_fixup_f64 v[4:5], v[4:5], v[22:23], v[24:25]
	v_fmac_f64_e32 v[22:23], v[24:25], v[4:5]
	s_delay_alu instid0(VALU_DEP_1) | instskip(NEXT) | instid1(VALU_DEP_1)
	v_div_scale_f64 v[18:19], null, v[22:23], v[22:23], 1.0
	v_rcp_f64_e32 v[20:21], v[18:19]
	v_nop
	s_delay_alu instid0(TRANS32_DEP_1) | instskip(NEXT) | instid1(VALU_DEP_1)
	v_fma_f64 v[24:25], -v[18:19], v[20:21], 1.0
	v_fmac_f64_e32 v[20:21], v[20:21], v[24:25]
	s_delay_alu instid0(VALU_DEP_1) | instskip(NEXT) | instid1(VALU_DEP_1)
	v_fma_f64 v[24:25], -v[18:19], v[20:21], 1.0
	v_fmac_f64_e32 v[20:21], v[20:21], v[24:25]
	v_div_scale_f64 v[24:25], vcc_lo, 1.0, v[22:23], 1.0
	s_delay_alu instid0(VALU_DEP_1) | instskip(NEXT) | instid1(VALU_DEP_1)
	v_mul_f64_e32 v[70:71], v[24:25], v[20:21]
	v_fma_f64 v[18:19], -v[18:19], v[70:71], v[24:25]
	s_delay_alu instid0(VALU_DEP_1) | instskip(NEXT) | instid1(VALU_DEP_1)
	v_div_fmas_f64 v[18:19], v[18:19], v[20:21], v[70:71]
	v_div_fixup_f64 v[18:19], v[18:19], v[22:23], 1.0
	s_delay_alu instid0(VALU_DEP_1)
	v_mul_f64_e64 v[20:21], v[4:5], -v[18:19]
.LBB172_479:                            ;   in Loop: Header=BB172_3 Depth=1
	s_or_b32 exec_lo, exec_lo, s96
	s_delay_alu instid0(SALU_CYCLE_1)
	s_or_b32 s61, s61, exec_lo
.LBB172_480:                            ;   in Loop: Header=BB172_3 Depth=1
	s_or_b32 exec_lo, exec_lo, s95
	s_delay_alu instid0(SALU_CYCLE_1)
	s_and_b32 s61, s61, exec_lo
	s_and_not1_saveexec_b32 s60, s60
	s_cbranch_execz .LBB172_12
.LBB172_481:                            ;   in Loop: Header=BB172_3 Depth=1
	v_lshl_add_u64 v[4:5], v[36:37], 4, v[40:41]
	s_or_b32 s61, s61, exec_lo
	flat_load_b128 v[18:21], v[4:5]
	s_wait_loadcnt_dscnt 0x0
	v_xor_b32_e32 v19, 0x80000000, v19
	v_xor_b32_e32 v21, 0x80000000, v21
	s_or_b32 exec_lo, exec_lo, s60
	s_and_saveexec_b32 s60, s61
	s_cbranch_execz .LBB172_13
.LBB172_482:                            ;   in Loop: Header=BB172_3 Depth=1
	ds_store_b128 v64, v[18:21]
	s_or_b32 exec_lo, exec_lo, s60
	s_and_saveexec_b32 s60, s10
	s_delay_alu instid0(SALU_CYCLE_1)
	s_xor_b32 s60, exec_lo, s60
	s_cbranch_execz .LBB172_14
.LBB172_483:                            ;   in Loop: Header=BB172_3 Depth=1
	s_mov_b32 s61, exec_lo
	v_readlane_b32 s95, v76, 15
	s_and_b32 s95, s61, s95
	s_delay_alu instid0(SALU_CYCLE_1)
	s_xor_b32 s61, s95, s61
	s_mov_b32 exec_lo, s95
	s_cbranch_execz .LBB172_487
; %bb.484:                              ;   in Loop: Header=BB172_3 Depth=1
	s_mov_b32 s95, exec_lo
	v_readlane_b32 s96, v76, 29
	s_and_b32 s96, s95, s96
	s_delay_alu instid0(SALU_CYCLE_1)
	s_mov_b32 exec_lo, s96
; %bb.485:                              ;   in Loop: Header=BB172_3 Depth=1
	v_dual_mov_b32 v3, v2 :: v_dual_mov_b32 v4, v2
	v_mov_b32_e32 v5, v2
	ds_store_b128 v69, v[2:5]
; %bb.486:                              ;   in Loop: Header=BB172_3 Depth=1
	s_or_b32 exec_lo, exec_lo, s95
.LBB172_487:                            ;   in Loop: Header=BB172_3 Depth=1
	s_and_not1_saveexec_b32 s61, s61
	s_cbranch_execz .LBB172_493
; %bb.488:                              ;   in Loop: Header=BB172_3 Depth=1
	v_lshl_add_u64 v[4:5], v[38:39], 4, v[40:41]
                                        ; implicit-def: $vgpr22_vgpr23
	flat_load_b128 v[18:21], v[4:5]
	s_wait_loadcnt_dscnt 0x0
	v_cmp_ngt_f64_e64 s95, |v[18:19]|, |v[20:21]|
	s_and_saveexec_b32 s96, s95
	s_delay_alu instid0(SALU_CYCLE_1)
	s_xor_b32 s95, exec_lo, s96
	s_cbranch_execz .LBB172_490
; %bb.489:                              ;   in Loop: Header=BB172_3 Depth=1
	v_div_scale_f64 v[4:5], null, v[20:21], v[20:21], v[18:19]
	v_div_scale_f64 v[70:71], vcc_lo, v[18:19], v[20:21], v[18:19]
	s_delay_alu instid0(VALU_DEP_2) | instskip(SKIP_1) | instid1(TRANS32_DEP_1)
	v_rcp_f64_e32 v[22:23], v[4:5]
	v_nop
	v_fma_f64 v[24:25], -v[4:5], v[22:23], 1.0
	s_delay_alu instid0(VALU_DEP_1) | instskip(NEXT) | instid1(VALU_DEP_1)
	v_fmac_f64_e32 v[22:23], v[22:23], v[24:25]
	v_fma_f64 v[24:25], -v[4:5], v[22:23], 1.0
	s_delay_alu instid0(VALU_DEP_1) | instskip(NEXT) | instid1(VALU_DEP_1)
	v_fmac_f64_e32 v[22:23], v[22:23], v[24:25]
	v_mul_f64_e32 v[24:25], v[70:71], v[22:23]
	s_delay_alu instid0(VALU_DEP_1) | instskip(NEXT) | instid1(VALU_DEP_1)
	v_fma_f64 v[4:5], -v[4:5], v[24:25], v[70:71]
	v_div_fmas_f64 v[4:5], v[4:5], v[22:23], v[24:25]
	s_delay_alu instid0(VALU_DEP_1) | instskip(NEXT) | instid1(VALU_DEP_1)
	v_div_fixup_f64 v[4:5], v[4:5], v[20:21], v[18:19]
	v_fmac_f64_e32 v[20:21], v[18:19], v[4:5]
	s_delay_alu instid0(VALU_DEP_1) | instskip(NEXT) | instid1(VALU_DEP_1)
	v_div_scale_f64 v[18:19], null, v[20:21], v[20:21], 1.0
	v_rcp_f64_e32 v[22:23], v[18:19]
	v_nop
	s_delay_alu instid0(TRANS32_DEP_1) | instskip(NEXT) | instid1(VALU_DEP_1)
	v_fma_f64 v[24:25], -v[18:19], v[22:23], 1.0
	v_fmac_f64_e32 v[22:23], v[22:23], v[24:25]
	s_delay_alu instid0(VALU_DEP_1) | instskip(NEXT) | instid1(VALU_DEP_1)
	v_fma_f64 v[24:25], -v[18:19], v[22:23], 1.0
	v_fmac_f64_e32 v[22:23], v[22:23], v[24:25]
	v_div_scale_f64 v[24:25], vcc_lo, 1.0, v[20:21], 1.0
	s_delay_alu instid0(VALU_DEP_1) | instskip(NEXT) | instid1(VALU_DEP_1)
	v_mul_f64_e32 v[70:71], v[24:25], v[22:23]
	v_fma_f64 v[18:19], -v[18:19], v[70:71], v[24:25]
	s_delay_alu instid0(VALU_DEP_1) | instskip(NEXT) | instid1(VALU_DEP_1)
	v_div_fmas_f64 v[18:19], v[18:19], v[22:23], v[70:71]
	v_div_fixup_f64 v[24:25], v[18:19], v[20:21], 1.0
                                        ; implicit-def: $vgpr18_vgpr19
	s_delay_alu instid0(VALU_DEP_1)
	v_mul_f64_e32 v[22:23], v[4:5], v[24:25]
	v_xor_b32_e32 v25, 0x80000000, v25
.LBB172_490:                            ;   in Loop: Header=BB172_3 Depth=1
	s_and_not1_saveexec_b32 s95, s95
	s_cbranch_execz .LBB172_492
; %bb.491:                              ;   in Loop: Header=BB172_3 Depth=1
	v_div_scale_f64 v[4:5], null, v[18:19], v[18:19], v[20:21]
	v_div_scale_f64 v[70:71], vcc_lo, v[20:21], v[18:19], v[20:21]
	s_delay_alu instid0(VALU_DEP_2) | instskip(SKIP_1) | instid1(TRANS32_DEP_1)
	v_rcp_f64_e32 v[22:23], v[4:5]
	v_nop
	v_fma_f64 v[24:25], -v[4:5], v[22:23], 1.0
	s_delay_alu instid0(VALU_DEP_1) | instskip(NEXT) | instid1(VALU_DEP_1)
	v_fmac_f64_e32 v[22:23], v[22:23], v[24:25]
	v_fma_f64 v[24:25], -v[4:5], v[22:23], 1.0
	s_delay_alu instid0(VALU_DEP_1) | instskip(NEXT) | instid1(VALU_DEP_1)
	v_fmac_f64_e32 v[22:23], v[22:23], v[24:25]
	v_mul_f64_e32 v[24:25], v[70:71], v[22:23]
	s_delay_alu instid0(VALU_DEP_1) | instskip(NEXT) | instid1(VALU_DEP_1)
	v_fma_f64 v[4:5], -v[4:5], v[24:25], v[70:71]
	v_div_fmas_f64 v[4:5], v[4:5], v[22:23], v[24:25]
	s_delay_alu instid0(VALU_DEP_1) | instskip(NEXT) | instid1(VALU_DEP_1)
	v_div_fixup_f64 v[4:5], v[4:5], v[18:19], v[20:21]
	v_fmac_f64_e32 v[18:19], v[20:21], v[4:5]
	s_delay_alu instid0(VALU_DEP_1) | instskip(NEXT) | instid1(VALU_DEP_1)
	v_div_scale_f64 v[20:21], null, v[18:19], v[18:19], 1.0
	v_rcp_f64_e32 v[22:23], v[20:21]
	v_nop
	s_delay_alu instid0(TRANS32_DEP_1) | instskip(NEXT) | instid1(VALU_DEP_1)
	v_fma_f64 v[24:25], -v[20:21], v[22:23], 1.0
	v_fmac_f64_e32 v[22:23], v[22:23], v[24:25]
	s_delay_alu instid0(VALU_DEP_1) | instskip(NEXT) | instid1(VALU_DEP_1)
	v_fma_f64 v[24:25], -v[20:21], v[22:23], 1.0
	v_fmac_f64_e32 v[22:23], v[22:23], v[24:25]
	v_div_scale_f64 v[24:25], vcc_lo, 1.0, v[18:19], 1.0
	s_delay_alu instid0(VALU_DEP_1) | instskip(NEXT) | instid1(VALU_DEP_1)
	v_mul_f64_e32 v[70:71], v[24:25], v[22:23]
	v_fma_f64 v[20:21], -v[20:21], v[70:71], v[24:25]
	s_delay_alu instid0(VALU_DEP_1) | instskip(NEXT) | instid1(VALU_DEP_1)
	v_div_fmas_f64 v[20:21], v[20:21], v[22:23], v[70:71]
	v_div_fixup_f64 v[22:23], v[20:21], v[18:19], 1.0
	s_delay_alu instid0(VALU_DEP_1)
	v_mul_f64_e64 v[24:25], v[4:5], -v[22:23]
.LBB172_492:                            ;   in Loop: Header=BB172_3 Depth=1
	s_or_b32 exec_lo, exec_lo, s95
	ds_store_b128 v69, v[22:25]
.LBB172_493:                            ;   in Loop: Header=BB172_3 Depth=1
	s_or_b32 exec_lo, exec_lo, s61
	s_and_not1_saveexec_b32 s60, s60
	s_cbranch_execnz .LBB172_15
	s_branch .LBB172_16
.LBB172_494:                            ;   in Loop: Header=BB172_3 Depth=1
	s_mov_b32 s95, exec_lo
	v_readlane_b32 s96, v76, 14
	s_and_b32 s96, s95, s96
	s_delay_alu instid0(SALU_CYCLE_1)
	s_xor_b32 s95, s96, s95
	s_mov_b32 exec_lo, s96
	s_cbranch_execz .LBB172_496
; %bb.495:                              ;   in Loop: Header=BB172_3 Depth=1
	v_readlane_b32 s61, v76, 28
	s_and_b32 s61, s61, exec_lo
.LBB172_496:                            ;   in Loop: Header=BB172_3 Depth=1
	s_or_saveexec_b32 s95, s95
	v_mov_b64_e32 v[20:21], 0
	v_mov_b64_e32 v[18:19], 0
	s_xor_b32 exec_lo, exec_lo, s95
	s_cbranch_execz .LBB172_502
; %bb.497:                              ;   in Loop: Header=BB172_3 Depth=1
	v_lshl_add_u64 v[4:5], v[36:37], 4, v[40:41]
                                        ; implicit-def: $vgpr20_vgpr21
	flat_load_b128 v[22:25], v[4:5]
	s_wait_loadcnt_dscnt 0x0
	v_cmp_ngt_f64_e64 s96, |v[22:23]|, |v[24:25]|
	s_and_saveexec_b32 s97, s96
	s_delay_alu instid0(SALU_CYCLE_1)
	s_xor_b32 s96, exec_lo, s97
	s_cbranch_execz .LBB172_499
; %bb.498:                              ;   in Loop: Header=BB172_3 Depth=1
	v_div_scale_f64 v[4:5], null, v[24:25], v[24:25], v[22:23]
	v_div_scale_f64 v[70:71], vcc_lo, v[22:23], v[24:25], v[22:23]
	s_delay_alu instid0(VALU_DEP_2) | instskip(SKIP_1) | instid1(TRANS32_DEP_1)
	v_rcp_f64_e32 v[18:19], v[4:5]
	v_nop
	v_fma_f64 v[20:21], -v[4:5], v[18:19], 1.0
	s_delay_alu instid0(VALU_DEP_1) | instskip(NEXT) | instid1(VALU_DEP_1)
	v_fmac_f64_e32 v[18:19], v[18:19], v[20:21]
	v_fma_f64 v[20:21], -v[4:5], v[18:19], 1.0
	s_delay_alu instid0(VALU_DEP_1) | instskip(NEXT) | instid1(VALU_DEP_1)
	v_fmac_f64_e32 v[18:19], v[18:19], v[20:21]
	v_mul_f64_e32 v[20:21], v[70:71], v[18:19]
	s_delay_alu instid0(VALU_DEP_1) | instskip(NEXT) | instid1(VALU_DEP_1)
	v_fma_f64 v[4:5], -v[4:5], v[20:21], v[70:71]
	v_div_fmas_f64 v[4:5], v[4:5], v[18:19], v[20:21]
	s_delay_alu instid0(VALU_DEP_1) | instskip(NEXT) | instid1(VALU_DEP_1)
	v_div_fixup_f64 v[4:5], v[4:5], v[24:25], v[22:23]
	v_fmac_f64_e32 v[24:25], v[22:23], v[4:5]
	s_delay_alu instid0(VALU_DEP_1) | instskip(NEXT) | instid1(VALU_DEP_1)
	v_div_scale_f64 v[18:19], null, v[24:25], v[24:25], 1.0
	v_rcp_f64_e32 v[20:21], v[18:19]
	v_nop
	s_delay_alu instid0(TRANS32_DEP_1) | instskip(NEXT) | instid1(VALU_DEP_1)
	v_fma_f64 v[22:23], -v[18:19], v[20:21], 1.0
	v_fmac_f64_e32 v[20:21], v[20:21], v[22:23]
	s_delay_alu instid0(VALU_DEP_1) | instskip(NEXT) | instid1(VALU_DEP_1)
	v_fma_f64 v[22:23], -v[18:19], v[20:21], 1.0
	v_fmac_f64_e32 v[20:21], v[20:21], v[22:23]
	v_div_scale_f64 v[22:23], vcc_lo, 1.0, v[24:25], 1.0
	s_delay_alu instid0(VALU_DEP_1) | instskip(NEXT) | instid1(VALU_DEP_1)
	v_mul_f64_e32 v[70:71], v[22:23], v[20:21]
	v_fma_f64 v[18:19], -v[18:19], v[70:71], v[22:23]
	s_delay_alu instid0(VALU_DEP_1) | instskip(NEXT) | instid1(VALU_DEP_1)
	v_div_fmas_f64 v[18:19], v[18:19], v[20:21], v[70:71]
	v_div_fixup_f64 v[20:21], v[18:19], v[24:25], 1.0
                                        ; implicit-def: $vgpr22_vgpr23
	s_delay_alu instid0(VALU_DEP_1)
	v_mul_f64_e32 v[18:19], v[4:5], v[20:21]
	v_xor_b32_e32 v21, 0x80000000, v21
.LBB172_499:                            ;   in Loop: Header=BB172_3 Depth=1
	s_and_not1_saveexec_b32 s96, s96
	s_cbranch_execz .LBB172_501
; %bb.500:                              ;   in Loop: Header=BB172_3 Depth=1
	v_div_scale_f64 v[4:5], null, v[22:23], v[22:23], v[24:25]
	v_div_scale_f64 v[70:71], vcc_lo, v[24:25], v[22:23], v[24:25]
	s_delay_alu instid0(VALU_DEP_2) | instskip(SKIP_1) | instid1(TRANS32_DEP_1)
	v_rcp_f64_e32 v[18:19], v[4:5]
	v_nop
	v_fma_f64 v[20:21], -v[4:5], v[18:19], 1.0
	s_delay_alu instid0(VALU_DEP_1) | instskip(NEXT) | instid1(VALU_DEP_1)
	v_fmac_f64_e32 v[18:19], v[18:19], v[20:21]
	v_fma_f64 v[20:21], -v[4:5], v[18:19], 1.0
	s_delay_alu instid0(VALU_DEP_1) | instskip(NEXT) | instid1(VALU_DEP_1)
	v_fmac_f64_e32 v[18:19], v[18:19], v[20:21]
	v_mul_f64_e32 v[20:21], v[70:71], v[18:19]
	s_delay_alu instid0(VALU_DEP_1) | instskip(NEXT) | instid1(VALU_DEP_1)
	v_fma_f64 v[4:5], -v[4:5], v[20:21], v[70:71]
	v_div_fmas_f64 v[4:5], v[4:5], v[18:19], v[20:21]
	s_delay_alu instid0(VALU_DEP_1) | instskip(NEXT) | instid1(VALU_DEP_1)
	v_div_fixup_f64 v[4:5], v[4:5], v[22:23], v[24:25]
	v_fmac_f64_e32 v[22:23], v[24:25], v[4:5]
	s_delay_alu instid0(VALU_DEP_1) | instskip(NEXT) | instid1(VALU_DEP_1)
	v_div_scale_f64 v[18:19], null, v[22:23], v[22:23], 1.0
	v_rcp_f64_e32 v[20:21], v[18:19]
	v_nop
	s_delay_alu instid0(TRANS32_DEP_1) | instskip(NEXT) | instid1(VALU_DEP_1)
	v_fma_f64 v[24:25], -v[18:19], v[20:21], 1.0
	v_fmac_f64_e32 v[20:21], v[20:21], v[24:25]
	s_delay_alu instid0(VALU_DEP_1) | instskip(NEXT) | instid1(VALU_DEP_1)
	v_fma_f64 v[24:25], -v[18:19], v[20:21], 1.0
	v_fmac_f64_e32 v[20:21], v[20:21], v[24:25]
	v_div_scale_f64 v[24:25], vcc_lo, 1.0, v[22:23], 1.0
	s_delay_alu instid0(VALU_DEP_1) | instskip(NEXT) | instid1(VALU_DEP_1)
	v_mul_f64_e32 v[70:71], v[24:25], v[20:21]
	v_fma_f64 v[18:19], -v[18:19], v[70:71], v[24:25]
	s_delay_alu instid0(VALU_DEP_1) | instskip(NEXT) | instid1(VALU_DEP_1)
	v_div_fmas_f64 v[18:19], v[18:19], v[20:21], v[70:71]
	v_div_fixup_f64 v[18:19], v[18:19], v[22:23], 1.0
	s_delay_alu instid0(VALU_DEP_1)
	v_mul_f64_e64 v[20:21], v[4:5], -v[18:19]
.LBB172_501:                            ;   in Loop: Header=BB172_3 Depth=1
	s_or_b32 exec_lo, exec_lo, s96
	s_delay_alu instid0(SALU_CYCLE_1)
	s_or_b32 s61, s61, exec_lo
.LBB172_502:                            ;   in Loop: Header=BB172_3 Depth=1
	s_or_b32 exec_lo, exec_lo, s95
	s_delay_alu instid0(SALU_CYCLE_1)
	s_and_b32 s61, s61, exec_lo
	s_and_not1_saveexec_b32 s60, s60
	s_cbranch_execz .LBB172_20
.LBB172_503:                            ;   in Loop: Header=BB172_3 Depth=1
	v_lshl_add_u64 v[4:5], v[36:37], 4, v[40:41]
	s_or_b32 s61, s61, exec_lo
	flat_load_b128 v[18:21], v[4:5]
	s_wait_loadcnt_dscnt 0x0
	v_xor_b32_e32 v19, 0x80000000, v19
	v_xor_b32_e32 v21, 0x80000000, v21
	s_or_b32 exec_lo, exec_lo, s60
	s_and_saveexec_b32 s60, s61
	s_cbranch_execz .LBB172_21
.LBB172_504:                            ;   in Loop: Header=BB172_3 Depth=1
	ds_store_b128 v64, v[18:21]
	s_or_b32 exec_lo, exec_lo, s60
	s_and_saveexec_b32 s60, s94
	s_delay_alu instid0(SALU_CYCLE_1)
	s_xor_b32 s60, exec_lo, s60
	s_cbranch_execz .LBB172_22
.LBB172_505:                            ;   in Loop: Header=BB172_3 Depth=1
	s_mov_b32 s61, exec_lo
	v_readlane_b32 s95, v76, 16
	s_and_b32 s95, s61, s95
	s_delay_alu instid0(SALU_CYCLE_1)
	s_xor_b32 s61, s95, s61
	s_mov_b32 exec_lo, s95
	s_cbranch_execz .LBB172_509
; %bb.506:                              ;   in Loop: Header=BB172_3 Depth=1
	s_mov_b32 s95, exec_lo
	v_readlane_b32 s96, v76, 29
	s_and_b32 s96, s95, s96
	s_delay_alu instid0(SALU_CYCLE_1)
	s_mov_b32 exec_lo, s96
; %bb.507:                              ;   in Loop: Header=BB172_3 Depth=1
	v_dual_mov_b32 v3, v2 :: v_dual_mov_b32 v4, v2
	v_mov_b32_e32 v5, v2
	ds_store_b128 v69, v[2:5]
; %bb.508:                              ;   in Loop: Header=BB172_3 Depth=1
	s_or_b32 exec_lo, exec_lo, s95
.LBB172_509:                            ;   in Loop: Header=BB172_3 Depth=1
	s_and_not1_saveexec_b32 s61, s61
	s_cbranch_execz .LBB172_515
; %bb.510:                              ;   in Loop: Header=BB172_3 Depth=1
	v_lshl_add_u64 v[4:5], v[38:39], 4, v[40:41]
                                        ; implicit-def: $vgpr22_vgpr23
	flat_load_b128 v[18:21], v[4:5]
	s_wait_loadcnt_dscnt 0x0
	v_cmp_ngt_f64_e64 s95, |v[18:19]|, |v[20:21]|
	s_and_saveexec_b32 s96, s95
	s_delay_alu instid0(SALU_CYCLE_1)
	s_xor_b32 s95, exec_lo, s96
	s_cbranch_execz .LBB172_512
; %bb.511:                              ;   in Loop: Header=BB172_3 Depth=1
	v_div_scale_f64 v[4:5], null, v[20:21], v[20:21], v[18:19]
	v_div_scale_f64 v[70:71], vcc_lo, v[18:19], v[20:21], v[18:19]
	s_delay_alu instid0(VALU_DEP_2) | instskip(SKIP_1) | instid1(TRANS32_DEP_1)
	v_rcp_f64_e32 v[22:23], v[4:5]
	v_nop
	v_fma_f64 v[24:25], -v[4:5], v[22:23], 1.0
	s_delay_alu instid0(VALU_DEP_1) | instskip(NEXT) | instid1(VALU_DEP_1)
	v_fmac_f64_e32 v[22:23], v[22:23], v[24:25]
	v_fma_f64 v[24:25], -v[4:5], v[22:23], 1.0
	s_delay_alu instid0(VALU_DEP_1) | instskip(NEXT) | instid1(VALU_DEP_1)
	v_fmac_f64_e32 v[22:23], v[22:23], v[24:25]
	v_mul_f64_e32 v[24:25], v[70:71], v[22:23]
	s_delay_alu instid0(VALU_DEP_1) | instskip(NEXT) | instid1(VALU_DEP_1)
	v_fma_f64 v[4:5], -v[4:5], v[24:25], v[70:71]
	v_div_fmas_f64 v[4:5], v[4:5], v[22:23], v[24:25]
	s_delay_alu instid0(VALU_DEP_1) | instskip(NEXT) | instid1(VALU_DEP_1)
	v_div_fixup_f64 v[4:5], v[4:5], v[20:21], v[18:19]
	v_fmac_f64_e32 v[20:21], v[18:19], v[4:5]
	s_delay_alu instid0(VALU_DEP_1) | instskip(NEXT) | instid1(VALU_DEP_1)
	v_div_scale_f64 v[18:19], null, v[20:21], v[20:21], 1.0
	v_rcp_f64_e32 v[22:23], v[18:19]
	v_nop
	s_delay_alu instid0(TRANS32_DEP_1) | instskip(NEXT) | instid1(VALU_DEP_1)
	v_fma_f64 v[24:25], -v[18:19], v[22:23], 1.0
	v_fmac_f64_e32 v[22:23], v[22:23], v[24:25]
	s_delay_alu instid0(VALU_DEP_1) | instskip(NEXT) | instid1(VALU_DEP_1)
	v_fma_f64 v[24:25], -v[18:19], v[22:23], 1.0
	v_fmac_f64_e32 v[22:23], v[22:23], v[24:25]
	v_div_scale_f64 v[24:25], vcc_lo, 1.0, v[20:21], 1.0
	s_delay_alu instid0(VALU_DEP_1) | instskip(NEXT) | instid1(VALU_DEP_1)
	v_mul_f64_e32 v[70:71], v[24:25], v[22:23]
	v_fma_f64 v[18:19], -v[18:19], v[70:71], v[24:25]
	s_delay_alu instid0(VALU_DEP_1) | instskip(NEXT) | instid1(VALU_DEP_1)
	v_div_fmas_f64 v[18:19], v[18:19], v[22:23], v[70:71]
	v_div_fixup_f64 v[24:25], v[18:19], v[20:21], 1.0
                                        ; implicit-def: $vgpr18_vgpr19
	s_delay_alu instid0(VALU_DEP_1)
	v_mul_f64_e32 v[22:23], v[4:5], v[24:25]
	v_xor_b32_e32 v25, 0x80000000, v25
.LBB172_512:                            ;   in Loop: Header=BB172_3 Depth=1
	s_and_not1_saveexec_b32 s95, s95
	s_cbranch_execz .LBB172_514
; %bb.513:                              ;   in Loop: Header=BB172_3 Depth=1
	v_div_scale_f64 v[4:5], null, v[18:19], v[18:19], v[20:21]
	v_div_scale_f64 v[70:71], vcc_lo, v[20:21], v[18:19], v[20:21]
	s_delay_alu instid0(VALU_DEP_2) | instskip(SKIP_1) | instid1(TRANS32_DEP_1)
	v_rcp_f64_e32 v[22:23], v[4:5]
	v_nop
	v_fma_f64 v[24:25], -v[4:5], v[22:23], 1.0
	s_delay_alu instid0(VALU_DEP_1) | instskip(NEXT) | instid1(VALU_DEP_1)
	v_fmac_f64_e32 v[22:23], v[22:23], v[24:25]
	v_fma_f64 v[24:25], -v[4:5], v[22:23], 1.0
	s_delay_alu instid0(VALU_DEP_1) | instskip(NEXT) | instid1(VALU_DEP_1)
	v_fmac_f64_e32 v[22:23], v[22:23], v[24:25]
	v_mul_f64_e32 v[24:25], v[70:71], v[22:23]
	s_delay_alu instid0(VALU_DEP_1) | instskip(NEXT) | instid1(VALU_DEP_1)
	v_fma_f64 v[4:5], -v[4:5], v[24:25], v[70:71]
	v_div_fmas_f64 v[4:5], v[4:5], v[22:23], v[24:25]
	s_delay_alu instid0(VALU_DEP_1) | instskip(NEXT) | instid1(VALU_DEP_1)
	v_div_fixup_f64 v[4:5], v[4:5], v[18:19], v[20:21]
	v_fmac_f64_e32 v[18:19], v[20:21], v[4:5]
	s_delay_alu instid0(VALU_DEP_1) | instskip(NEXT) | instid1(VALU_DEP_1)
	v_div_scale_f64 v[20:21], null, v[18:19], v[18:19], 1.0
	v_rcp_f64_e32 v[22:23], v[20:21]
	v_nop
	s_delay_alu instid0(TRANS32_DEP_1) | instskip(NEXT) | instid1(VALU_DEP_1)
	v_fma_f64 v[24:25], -v[20:21], v[22:23], 1.0
	v_fmac_f64_e32 v[22:23], v[22:23], v[24:25]
	s_delay_alu instid0(VALU_DEP_1) | instskip(NEXT) | instid1(VALU_DEP_1)
	v_fma_f64 v[24:25], -v[20:21], v[22:23], 1.0
	v_fmac_f64_e32 v[22:23], v[22:23], v[24:25]
	v_div_scale_f64 v[24:25], vcc_lo, 1.0, v[18:19], 1.0
	s_delay_alu instid0(VALU_DEP_1) | instskip(NEXT) | instid1(VALU_DEP_1)
	v_mul_f64_e32 v[70:71], v[24:25], v[22:23]
	v_fma_f64 v[20:21], -v[20:21], v[70:71], v[24:25]
	s_delay_alu instid0(VALU_DEP_1) | instskip(NEXT) | instid1(VALU_DEP_1)
	v_div_fmas_f64 v[20:21], v[20:21], v[22:23], v[70:71]
	v_div_fixup_f64 v[22:23], v[20:21], v[18:19], 1.0
	s_delay_alu instid0(VALU_DEP_1)
	v_mul_f64_e64 v[24:25], v[4:5], -v[22:23]
.LBB172_514:                            ;   in Loop: Header=BB172_3 Depth=1
	s_or_b32 exec_lo, exec_lo, s95
	ds_store_b128 v69, v[22:25]
.LBB172_515:                            ;   in Loop: Header=BB172_3 Depth=1
	s_or_b32 exec_lo, exec_lo, s61
	s_and_not1_saveexec_b32 s60, s60
	s_cbranch_execnz .LBB172_23
	s_branch .LBB172_24
.LBB172_516:                            ;   in Loop: Header=BB172_3 Depth=1
	s_or_b32 exec_lo, exec_lo, s95
	s_delay_alu instid0(SALU_CYCLE_1)
	s_and_b32 vcc_lo, exec_lo, s61
	s_cbranch_vccnz .LBB172_456
.LBB172_517:                            ;   in Loop: Header=BB172_3 Depth=1
	s_delay_alu instid0(VALU_DEP_1) | instskip(NEXT) | instid1(VALU_DEP_3)
	v_mov_b64_e32 v[20:21], v[4:5]
	v_mov_b64_e32 v[18:19], v[24:25]
	s_and_saveexec_b32 s61, s60
	s_cbranch_execnz .LBB172_469
	s_branch .LBB172_470
.LBB172_518:                            ;   in Loop: Header=BB172_3 Depth=1
	s_and_not1_b32 s60, s60, exec_lo
	s_and_b32 s95, s7, exec_lo
	s_delay_alu instid0(SALU_CYCLE_1)
	s_or_b32 s60, s60, s95
	s_cbranch_execnz .LBB172_468
.LBB172_519:                            ;   in Loop: Header=BB172_3 Depth=1
	v_readlane_b32 s61, v76, 12
	s_and_not1_b32 s60, s60, exec_lo
	s_and_b32 s61, s61, exec_lo
	s_delay_alu instid0(SALU_CYCLE_1) | instskip(NEXT) | instid1(SALU_CYCLE_1)
	s_or_b32 s60, s60, s61
	s_and_saveexec_b32 s61, s60
	s_cbranch_execnz .LBB172_469
	s_branch .LBB172_470
.LBB172_520:                            ;   in Loop: Header=BB172_3 Depth=1
	ds_load_b128 v[22:25], v51 offset:16336
	ds_load_b128 v[70:73], v50 offset:15232
	s_wait_dscnt 0x0
	v_mul_f64_e32 v[4:5], v[24:25], v[72:73]
	v_mul_f64_e32 v[72:73], v[22:23], v[72:73]
	s_delay_alu instid0(VALU_DEP_2) | instskip(NEXT) | instid1(VALU_DEP_2)
	v_fma_f64 v[4:5], v[22:23], v[70:71], -v[4:5]
	v_fmac_f64_e32 v[72:73], v[24:25], v[70:71]
	s_delay_alu instid0(VALU_DEP_2) | instskip(NEXT) | instid1(VALU_DEP_2)
	v_add_f64_e32 v[18:19], v[18:19], v[4:5]
	v_add_f64_e32 v[20:21], v[20:21], v[72:73]
	s_or_b32 exec_lo, exec_lo, s61
	s_and_saveexec_b32 s61, s13
	s_cbranch_execz .LBB172_45
.LBB172_521:                            ;   in Loop: Header=BB172_3 Depth=1
	ds_load_b128 v[22:25], v51 offset:16352
	ds_load_b128 v[70:73], v50 offset:15744
	s_wait_dscnt 0x0
	v_mul_f64_e32 v[4:5], v[24:25], v[72:73]
	v_mul_f64_e32 v[72:73], v[22:23], v[72:73]
	s_delay_alu instid0(VALU_DEP_2) | instskip(NEXT) | instid1(VALU_DEP_2)
	v_fma_f64 v[4:5], v[22:23], v[70:71], -v[4:5]
	v_fmac_f64_e32 v[72:73], v[24:25], v[70:71]
	s_delay_alu instid0(VALU_DEP_2) | instskip(NEXT) | instid1(VALU_DEP_2)
	v_add_f64_e32 v[18:19], v[18:19], v[4:5]
	v_add_f64_e32 v[20:21], v[20:21], v[72:73]
	s_or_b32 exec_lo, exec_lo, s61
	s_and_saveexec_b32 s61, s2
	s_cbranch_execnz .LBB172_46
	s_branch .LBB172_47
.LBB172_522:                            ;   in Loop: Header=BB172_3 Depth=1
	ds_load_b128 v[22:25], v55 offset:16272
	ds_load_b128 v[70:73], v54 offset:13056
	s_wait_dscnt 0x0
	v_mul_f64_e32 v[4:5], v[24:25], v[72:73]
	v_mul_f64_e32 v[72:73], v[22:23], v[72:73]
	s_delay_alu instid0(VALU_DEP_2) | instskip(NEXT) | instid1(VALU_DEP_2)
	v_fma_f64 v[4:5], v[22:23], v[70:71], -v[4:5]
	v_fmac_f64_e32 v[72:73], v[24:25], v[70:71]
	s_delay_alu instid0(VALU_DEP_2) | instskip(NEXT) | instid1(VALU_DEP_2)
	v_add_f64_e32 v[18:19], v[18:19], v[4:5]
	v_add_f64_e32 v[20:21], v[20:21], v[72:73]
	s_or_b32 exec_lo, exec_lo, s61
	s_and_saveexec_b32 s61, s15
	s_cbranch_execz .LBB172_83
.LBB172_523:                            ;   in Loop: Header=BB172_3 Depth=1
	ds_load_b128 v[22:25], v55 offset:16288
	ds_load_b128 v[70:73], v54 offset:13568
	s_wait_dscnt 0x0
	v_mul_f64_e32 v[4:5], v[24:25], v[72:73]
	v_mul_f64_e32 v[72:73], v[22:23], v[72:73]
	s_delay_alu instid0(VALU_DEP_2) | instskip(NEXT) | instid1(VALU_DEP_2)
	v_fma_f64 v[4:5], v[22:23], v[70:71], -v[4:5]
	v_fmac_f64_e32 v[72:73], v[24:25], v[70:71]
	s_delay_alu instid0(VALU_DEP_2) | instskip(NEXT) | instid1(VALU_DEP_2)
	v_add_f64_e32 v[18:19], v[18:19], v[4:5]
	v_add_f64_e32 v[20:21], v[20:21], v[72:73]
	s_or_b32 exec_lo, exec_lo, s61
	s_and_saveexec_b32 s61, s16
	s_cbranch_execz .LBB172_84
.LBB172_524:                            ;   in Loop: Header=BB172_3 Depth=1
	ds_load_b128 v[22:25], v55 offset:16304
	ds_load_b128 v[70:73], v54 offset:14080
	s_wait_dscnt 0x0
	v_mul_f64_e32 v[4:5], v[24:25], v[72:73]
	v_mul_f64_e32 v[72:73], v[22:23], v[72:73]
	s_delay_alu instid0(VALU_DEP_2) | instskip(NEXT) | instid1(VALU_DEP_2)
	v_fma_f64 v[4:5], v[22:23], v[70:71], -v[4:5]
	v_fmac_f64_e32 v[72:73], v[24:25], v[70:71]
	s_delay_alu instid0(VALU_DEP_2) | instskip(NEXT) | instid1(VALU_DEP_2)
	v_add_f64_e32 v[18:19], v[18:19], v[4:5]
	v_add_f64_e32 v[20:21], v[20:21], v[72:73]
	s_or_b32 exec_lo, exec_lo, s61
	s_and_saveexec_b32 s61, s17
	s_cbranch_execz .LBB172_85
.LBB172_525:                            ;   in Loop: Header=BB172_3 Depth=1
	ds_load_b128 v[22:25], v55 offset:16320
	ds_load_b128 v[70:73], v54 offset:14592
	s_wait_dscnt 0x0
	v_mul_f64_e32 v[4:5], v[24:25], v[72:73]
	v_mul_f64_e32 v[72:73], v[22:23], v[72:73]
	s_delay_alu instid0(VALU_DEP_2) | instskip(NEXT) | instid1(VALU_DEP_2)
	v_fma_f64 v[4:5], v[22:23], v[70:71], -v[4:5]
	v_fmac_f64_e32 v[72:73], v[24:25], v[70:71]
	s_delay_alu instid0(VALU_DEP_2) | instskip(NEXT) | instid1(VALU_DEP_2)
	v_add_f64_e32 v[18:19], v[18:19], v[4:5]
	v_add_f64_e32 v[20:21], v[20:21], v[72:73]
	s_or_b32 exec_lo, exec_lo, s61
	s_and_saveexec_b32 s61, s18
	s_cbranch_execz .LBB172_86
.LBB172_526:                            ;   in Loop: Header=BB172_3 Depth=1
	ds_load_b128 v[22:25], v55 offset:16336
	ds_load_b128 v[70:73], v54 offset:15104
	s_wait_dscnt 0x0
	v_mul_f64_e32 v[4:5], v[24:25], v[72:73]
	v_mul_f64_e32 v[72:73], v[22:23], v[72:73]
	s_delay_alu instid0(VALU_DEP_2) | instskip(NEXT) | instid1(VALU_DEP_2)
	v_fma_f64 v[4:5], v[22:23], v[70:71], -v[4:5]
	v_fmac_f64_e32 v[72:73], v[24:25], v[70:71]
	s_delay_alu instid0(VALU_DEP_2) | instskip(NEXT) | instid1(VALU_DEP_2)
	v_add_f64_e32 v[18:19], v[18:19], v[4:5]
	v_add_f64_e32 v[20:21], v[20:21], v[72:73]
	s_or_b32 exec_lo, exec_lo, s61
	s_and_saveexec_b32 s61, s4
	s_cbranch_execz .LBB172_87
.LBB172_527:                            ;   in Loop: Header=BB172_3 Depth=1
	ds_load_b128 v[22:25], v55 offset:16352
	ds_load_b128 v[70:73], v54 offset:15616
	s_wait_dscnt 0x0
	v_mul_f64_e32 v[4:5], v[24:25], v[72:73]
	v_mul_f64_e32 v[72:73], v[22:23], v[72:73]
	s_delay_alu instid0(VALU_DEP_2) | instskip(NEXT) | instid1(VALU_DEP_2)
	v_fma_f64 v[4:5], v[22:23], v[70:71], -v[4:5]
	v_fmac_f64_e32 v[72:73], v[24:25], v[70:71]
	s_delay_alu instid0(VALU_DEP_2) | instskip(NEXT) | instid1(VALU_DEP_2)
	v_add_f64_e32 v[18:19], v[18:19], v[4:5]
	v_add_f64_e32 v[20:21], v[20:21], v[72:73]
	s_or_b32 exec_lo, exec_lo, s61
	s_and_saveexec_b32 s61, s13
	s_cbranch_execnz .LBB172_88
	s_branch .LBB172_89
.LBB172_528:                            ;   in Loop: Header=BB172_3 Depth=1
	ds_load_b128 v[22:25], v51 offset:12112
	ds_load_b128 v[70:73], v50 offset:11008
	s_wait_dscnt 0x0
	v_mul_f64_e32 v[4:5], v[24:25], v[72:73]
	v_mul_f64_e32 v[72:73], v[22:23], v[72:73]
	s_delay_alu instid0(VALU_DEP_2) | instskip(NEXT) | instid1(VALU_DEP_2)
	v_fma_f64 v[4:5], v[22:23], v[70:71], -v[4:5]
	v_fmac_f64_e32 v[72:73], v[24:25], v[70:71]
	s_delay_alu instid0(VALU_DEP_2) | instskip(NEXT) | instid1(VALU_DEP_2)
	v_add_f64_e32 v[18:19], v[18:19], v[4:5]
	v_add_f64_e32 v[20:21], v[20:21], v[72:73]
	s_or_b32 exec_lo, exec_lo, s61
	s_and_saveexec_b32 s61, s13
	s_cbranch_execz .LBB172_141
.LBB172_529:                            ;   in Loop: Header=BB172_3 Depth=1
	ds_load_b128 v[22:25], v51 offset:12128
	ds_load_b128 v[70:73], v50 offset:11520
	s_wait_dscnt 0x0
	v_mul_f64_e32 v[4:5], v[24:25], v[72:73]
	v_mul_f64_e32 v[72:73], v[22:23], v[72:73]
	s_delay_alu instid0(VALU_DEP_2) | instskip(NEXT) | instid1(VALU_DEP_2)
	v_fma_f64 v[4:5], v[22:23], v[70:71], -v[4:5]
	v_fmac_f64_e32 v[72:73], v[24:25], v[70:71]
	s_delay_alu instid0(VALU_DEP_2) | instskip(NEXT) | instid1(VALU_DEP_2)
	v_add_f64_e32 v[18:19], v[18:19], v[4:5]
	v_add_f64_e32 v[20:21], v[20:21], v[72:73]
	s_or_b32 exec_lo, exec_lo, s61
	s_and_saveexec_b32 s61, s2
	s_cbranch_execnz .LBB172_142
	s_branch .LBB172_143
.LBB172_530:                            ;   in Loop: Header=BB172_3 Depth=1
	ds_load_b128 v[22:25], v59 offset:16304
	ds_load_b128 v[70:73], v58 offset:13824
	s_wait_dscnt 0x0
	v_mul_f64_e32 v[4:5], v[24:25], v[72:73]
	v_mul_f64_e32 v[72:73], v[22:23], v[72:73]
	s_delay_alu instid0(VALU_DEP_2) | instskip(NEXT) | instid1(VALU_DEP_2)
	v_fma_f64 v[4:5], v[22:23], v[70:71], -v[4:5]
	v_fmac_f64_e32 v[72:73], v[24:25], v[70:71]
	s_delay_alu instid0(VALU_DEP_2) | instskip(NEXT) | instid1(VALU_DEP_2)
	v_add_f64_e32 v[18:19], v[18:19], v[4:5]
	v_add_f64_e32 v[20:21], v[20:21], v[72:73]
	s_or_b32 exec_lo, exec_lo, s61
	s_and_saveexec_b32 s61, s5
	s_cbranch_execz .LBB172_199
.LBB172_531:                            ;   in Loop: Header=BB172_3 Depth=1
	ds_load_b128 v[22:25], v59 offset:16320
	ds_load_b128 v[70:73], v58 offset:14336
	s_wait_dscnt 0x0
	v_mul_f64_e32 v[4:5], v[24:25], v[72:73]
	v_mul_f64_e32 v[72:73], v[22:23], v[72:73]
	s_delay_alu instid0(VALU_DEP_2) | instskip(NEXT) | instid1(VALU_DEP_2)
	v_fma_f64 v[4:5], v[22:23], v[70:71], -v[4:5]
	v_fmac_f64_e32 v[72:73], v[24:25], v[70:71]
	s_delay_alu instid0(VALU_DEP_2) | instskip(NEXT) | instid1(VALU_DEP_2)
	v_add_f64_e32 v[18:19], v[18:19], v[4:5]
	v_add_f64_e32 v[20:21], v[20:21], v[72:73]
	s_or_b32 exec_lo, exec_lo, s61
	s_and_saveexec_b32 s61, s15
	s_cbranch_execz .LBB172_200
.LBB172_532:                            ;   in Loop: Header=BB172_3 Depth=1
	ds_load_b128 v[22:25], v59 offset:16336
	ds_load_b128 v[70:73], v58 offset:14848
	s_wait_dscnt 0x0
	v_mul_f64_e32 v[4:5], v[24:25], v[72:73]
	v_mul_f64_e32 v[72:73], v[22:23], v[72:73]
	s_delay_alu instid0(VALU_DEP_2) | instskip(NEXT) | instid1(VALU_DEP_2)
	v_fma_f64 v[4:5], v[22:23], v[70:71], -v[4:5]
	v_fmac_f64_e32 v[72:73], v[24:25], v[70:71]
	s_delay_alu instid0(VALU_DEP_2) | instskip(NEXT) | instid1(VALU_DEP_2)
	v_add_f64_e32 v[18:19], v[18:19], v[4:5]
	v_add_f64_e32 v[20:21], v[20:21], v[72:73]
	s_or_b32 exec_lo, exec_lo, s61
	s_and_saveexec_b32 s61, s17
	s_cbranch_execz .LBB172_201
.LBB172_533:                            ;   in Loop: Header=BB172_3 Depth=1
	ds_load_b128 v[22:25], v59 offset:16352
	ds_load_b128 v[70:73], v58 offset:15360
	s_wait_dscnt 0x0
	v_mul_f64_e32 v[4:5], v[24:25], v[72:73]
	v_mul_f64_e32 v[72:73], v[22:23], v[72:73]
	s_delay_alu instid0(VALU_DEP_2) | instskip(NEXT) | instid1(VALU_DEP_2)
	v_fma_f64 v[4:5], v[22:23], v[70:71], -v[4:5]
	v_fmac_f64_e32 v[72:73], v[24:25], v[70:71]
	s_delay_alu instid0(VALU_DEP_2) | instskip(NEXT) | instid1(VALU_DEP_2)
	v_add_f64_e32 v[18:19], v[18:19], v[4:5]
	v_add_f64_e32 v[20:21], v[20:21], v[72:73]
	s_or_b32 exec_lo, exec_lo, s61
	s_and_saveexec_b32 s61, s4
	s_cbranch_execnz .LBB172_202
	s_branch .LBB172_203
.LBB172_534:                            ;   in Loop: Header=BB172_3 Depth=1
	ds_load_b128 v[22:25], v51 offset:7888
	ds_load_b128 v[70:73], v50 offset:6784
	s_wait_dscnt 0x0
	v_mul_f64_e32 v[4:5], v[24:25], v[72:73]
	v_mul_f64_e32 v[72:73], v[22:23], v[72:73]
	s_delay_alu instid0(VALU_DEP_2) | instskip(NEXT) | instid1(VALU_DEP_2)
	v_fma_f64 v[4:5], v[22:23], v[70:71], -v[4:5]
	v_fmac_f64_e32 v[72:73], v[24:25], v[70:71]
	s_delay_alu instid0(VALU_DEP_2) | instskip(NEXT) | instid1(VALU_DEP_2)
	v_add_f64_e32 v[18:19], v[18:19], v[4:5]
	v_add_f64_e32 v[20:21], v[20:21], v[72:73]
	s_or_b32 exec_lo, exec_lo, s61
	s_and_saveexec_b32 s61, s13
	s_cbranch_execz .LBB172_287
.LBB172_535:                            ;   in Loop: Header=BB172_3 Depth=1
	ds_load_b128 v[22:25], v51 offset:7904
	ds_load_b128 v[70:73], v50 offset:7296
	s_wait_dscnt 0x0
	v_mul_f64_e32 v[4:5], v[24:25], v[72:73]
	v_mul_f64_e32 v[72:73], v[22:23], v[72:73]
	s_delay_alu instid0(VALU_DEP_2) | instskip(NEXT) | instid1(VALU_DEP_2)
	v_fma_f64 v[4:5], v[22:23], v[70:71], -v[4:5]
	v_fmac_f64_e32 v[72:73], v[24:25], v[70:71]
	s_delay_alu instid0(VALU_DEP_2) | instskip(NEXT) | instid1(VALU_DEP_2)
	v_add_f64_e32 v[18:19], v[18:19], v[4:5]
	v_add_f64_e32 v[20:21], v[20:21], v[72:73]
	s_or_b32 exec_lo, exec_lo, s61
	s_and_saveexec_b32 s61, s2
	s_cbranch_execnz .LBB172_288
	s_branch .LBB172_289
.LBB172_536:                            ;   in Loop: Header=BB172_3 Depth=1
	ds_load_b128 v[22:25], v55 offset:7824
	ds_load_b128 v[70:73], v54 offset:4608
	s_wait_dscnt 0x0
	v_mul_f64_e32 v[4:5], v[24:25], v[72:73]
	v_mul_f64_e32 v[72:73], v[22:23], v[72:73]
	s_delay_alu instid0(VALU_DEP_2) | instskip(NEXT) | instid1(VALU_DEP_2)
	v_fma_f64 v[4:5], v[22:23], v[70:71], -v[4:5]
	v_fmac_f64_e32 v[72:73], v[24:25], v[70:71]
	s_delay_alu instid0(VALU_DEP_2) | instskip(NEXT) | instid1(VALU_DEP_2)
	v_add_f64_e32 v[18:19], v[18:19], v[4:5]
	v_add_f64_e32 v[20:21], v[20:21], v[72:73]
	s_or_b32 exec_lo, exec_lo, s61
	s_and_saveexec_b32 s61, s15
	s_cbranch_execz .LBB172_325
.LBB172_537:                            ;   in Loop: Header=BB172_3 Depth=1
	ds_load_b128 v[22:25], v55 offset:7840
	ds_load_b128 v[70:73], v54 offset:5120
	s_wait_dscnt 0x0
	v_mul_f64_e32 v[4:5], v[24:25], v[72:73]
	v_mul_f64_e32 v[72:73], v[22:23], v[72:73]
	s_delay_alu instid0(VALU_DEP_2) | instskip(NEXT) | instid1(VALU_DEP_2)
	v_fma_f64 v[4:5], v[22:23], v[70:71], -v[4:5]
	v_fmac_f64_e32 v[72:73], v[24:25], v[70:71]
	s_delay_alu instid0(VALU_DEP_2) | instskip(NEXT) | instid1(VALU_DEP_2)
	v_add_f64_e32 v[18:19], v[18:19], v[4:5]
	v_add_f64_e32 v[20:21], v[20:21], v[72:73]
	s_or_b32 exec_lo, exec_lo, s61
	s_and_saveexec_b32 s61, s16
	s_cbranch_execz .LBB172_326
.LBB172_538:                            ;   in Loop: Header=BB172_3 Depth=1
	ds_load_b128 v[22:25], v55 offset:7856
	ds_load_b128 v[70:73], v54 offset:5632
	s_wait_dscnt 0x0
	v_mul_f64_e32 v[4:5], v[24:25], v[72:73]
	v_mul_f64_e32 v[72:73], v[22:23], v[72:73]
	s_delay_alu instid0(VALU_DEP_2) | instskip(NEXT) | instid1(VALU_DEP_2)
	v_fma_f64 v[4:5], v[22:23], v[70:71], -v[4:5]
	v_fmac_f64_e32 v[72:73], v[24:25], v[70:71]
	s_delay_alu instid0(VALU_DEP_2) | instskip(NEXT) | instid1(VALU_DEP_2)
	v_add_f64_e32 v[18:19], v[18:19], v[4:5]
	v_add_f64_e32 v[20:21], v[20:21], v[72:73]
	s_or_b32 exec_lo, exec_lo, s61
	s_and_saveexec_b32 s61, s17
	s_cbranch_execz .LBB172_327
.LBB172_539:                            ;   in Loop: Header=BB172_3 Depth=1
	ds_load_b128 v[22:25], v55 offset:7872
	ds_load_b128 v[70:73], v54 offset:6144
	s_wait_dscnt 0x0
	v_mul_f64_e32 v[4:5], v[24:25], v[72:73]
	v_mul_f64_e32 v[72:73], v[22:23], v[72:73]
	s_delay_alu instid0(VALU_DEP_2) | instskip(NEXT) | instid1(VALU_DEP_2)
	v_fma_f64 v[4:5], v[22:23], v[70:71], -v[4:5]
	v_fmac_f64_e32 v[72:73], v[24:25], v[70:71]
	s_delay_alu instid0(VALU_DEP_2) | instskip(NEXT) | instid1(VALU_DEP_2)
	v_add_f64_e32 v[18:19], v[18:19], v[4:5]
	v_add_f64_e32 v[20:21], v[20:21], v[72:73]
	s_or_b32 exec_lo, exec_lo, s61
	s_and_saveexec_b32 s61, s18
	s_cbranch_execz .LBB172_328
.LBB172_540:                            ;   in Loop: Header=BB172_3 Depth=1
	ds_load_b128 v[22:25], v55 offset:7888
	ds_load_b128 v[70:73], v54 offset:6656
	s_wait_dscnt 0x0
	v_mul_f64_e32 v[4:5], v[24:25], v[72:73]
	v_mul_f64_e32 v[72:73], v[22:23], v[72:73]
	s_delay_alu instid0(VALU_DEP_2) | instskip(NEXT) | instid1(VALU_DEP_2)
	v_fma_f64 v[4:5], v[22:23], v[70:71], -v[4:5]
	v_fmac_f64_e32 v[72:73], v[24:25], v[70:71]
	s_delay_alu instid0(VALU_DEP_2) | instskip(NEXT) | instid1(VALU_DEP_2)
	v_add_f64_e32 v[18:19], v[18:19], v[4:5]
	v_add_f64_e32 v[20:21], v[20:21], v[72:73]
	s_or_b32 exec_lo, exec_lo, s61
	s_and_saveexec_b32 s61, s4
	s_cbranch_execz .LBB172_329
.LBB172_541:                            ;   in Loop: Header=BB172_3 Depth=1
	ds_load_b128 v[22:25], v55 offset:7904
	ds_load_b128 v[70:73], v54 offset:7168
	s_wait_dscnt 0x0
	v_mul_f64_e32 v[4:5], v[24:25], v[72:73]
	v_mul_f64_e32 v[72:73], v[22:23], v[72:73]
	s_delay_alu instid0(VALU_DEP_2) | instskip(NEXT) | instid1(VALU_DEP_2)
	v_fma_f64 v[4:5], v[22:23], v[70:71], -v[4:5]
	v_fmac_f64_e32 v[72:73], v[24:25], v[70:71]
	s_delay_alu instid0(VALU_DEP_2) | instskip(NEXT) | instid1(VALU_DEP_2)
	v_add_f64_e32 v[18:19], v[18:19], v[4:5]
	v_add_f64_e32 v[20:21], v[20:21], v[72:73]
	s_or_b32 exec_lo, exec_lo, s61
	s_and_saveexec_b32 s61, s13
	s_cbranch_execnz .LBB172_330
	s_branch .LBB172_331
.LBB172_542:                            ;   in Loop: Header=BB172_3 Depth=1
	ds_load_b128 v[22:25], v51 offset:3664
	ds_load_b128 v[70:73], v50 offset:2560
	s_wait_dscnt 0x0
	v_mul_f64_e32 v[4:5], v[24:25], v[72:73]
	v_mul_f64_e32 v[72:73], v[22:23], v[72:73]
	s_delay_alu instid0(VALU_DEP_2) | instskip(NEXT) | instid1(VALU_DEP_2)
	v_fma_f64 v[4:5], v[22:23], v[70:71], -v[4:5]
	v_fmac_f64_e32 v[72:73], v[24:25], v[70:71]
	s_delay_alu instid0(VALU_DEP_2) | instskip(NEXT) | instid1(VALU_DEP_2)
	v_add_f64_e32 v[18:19], v[18:19], v[4:5]
	v_add_f64_e32 v[20:21], v[20:21], v[72:73]
	s_or_b32 exec_lo, exec_lo, s61
	s_and_saveexec_b32 s61, s13
	s_cbranch_execz .LBB172_383
.LBB172_543:                            ;   in Loop: Header=BB172_3 Depth=1
	ds_load_b128 v[22:25], v51 offset:3680
	ds_load_b128 v[70:73], v50 offset:3072
	s_wait_dscnt 0x0
	v_mul_f64_e32 v[4:5], v[24:25], v[72:73]
	v_mul_f64_e32 v[72:73], v[22:23], v[72:73]
	s_delay_alu instid0(VALU_DEP_2) | instskip(NEXT) | instid1(VALU_DEP_2)
	v_fma_f64 v[4:5], v[22:23], v[70:71], -v[4:5]
	v_fmac_f64_e32 v[72:73], v[24:25], v[70:71]
	s_delay_alu instid0(VALU_DEP_2) | instskip(NEXT) | instid1(VALU_DEP_2)
	v_add_f64_e32 v[18:19], v[18:19], v[4:5]
	v_add_f64_e32 v[20:21], v[20:21], v[72:73]
	s_or_b32 exec_lo, exec_lo, s61
	s_and_saveexec_b32 s61, s2
	s_cbranch_execnz .LBB172_384
	s_branch .LBB172_385
.LBB172_544:
	s_endpgm
	.section	.rodata,"a",@progbits
	.p2align	6, 0x0
	.amdhsa_kernel _ZL19rocblas_trsv_deviceILi32ELi16ELb0ELb0ELb0ELb0E19rocblas_complex_numIdEPKS1_PKS3_PKPS1_EviT7_lllT6_T8_lllPii
		.amdhsa_group_segment_fixed_size 25104
		.amdhsa_private_segment_fixed_size 0
		.amdhsa_kernarg_size 352
		.amdhsa_user_sgpr_count 2
		.amdhsa_user_sgpr_dispatch_ptr 0
		.amdhsa_user_sgpr_queue_ptr 0
		.amdhsa_user_sgpr_kernarg_segment_ptr 1
		.amdhsa_user_sgpr_dispatch_id 0
		.amdhsa_user_sgpr_kernarg_preload_length 0
		.amdhsa_user_sgpr_kernarg_preload_offset 0
		.amdhsa_user_sgpr_private_segment_size 0
		.amdhsa_wavefront_size32 1
		.amdhsa_uses_dynamic_stack 0
		.amdhsa_enable_private_segment 0
		.amdhsa_system_sgpr_workgroup_id_x 1
		.amdhsa_system_sgpr_workgroup_id_y 0
		.amdhsa_system_sgpr_workgroup_id_z 1
		.amdhsa_system_sgpr_workgroup_info 0
		.amdhsa_system_vgpr_workitem_id 1
		.amdhsa_next_free_vgpr 77
		.amdhsa_next_free_sgpr 105
		.amdhsa_named_barrier_count 0
		.amdhsa_reserve_vcc 1
		.amdhsa_float_round_mode_32 0
		.amdhsa_float_round_mode_16_64 0
		.amdhsa_float_denorm_mode_32 3
		.amdhsa_float_denorm_mode_16_64 3
		.amdhsa_fp16_overflow 0
		.amdhsa_memory_ordered 1
		.amdhsa_forward_progress 1
		.amdhsa_inst_pref_size 212
		.amdhsa_round_robin_scheduling 0
		.amdhsa_exception_fp_ieee_invalid_op 0
		.amdhsa_exception_fp_denorm_src 0
		.amdhsa_exception_fp_ieee_div_zero 0
		.amdhsa_exception_fp_ieee_overflow 0
		.amdhsa_exception_fp_ieee_underflow 0
		.amdhsa_exception_fp_ieee_inexact 0
		.amdhsa_exception_int_div_zero 0
	.end_amdhsa_kernel
	.section	.text._ZL19rocblas_trsv_deviceILi32ELi16ELb0ELb0ELb0ELb0E19rocblas_complex_numIdEPKS1_PKS3_PKPS1_EviT7_lllT6_T8_lllPii,"axG",@progbits,_ZL19rocblas_trsv_deviceILi32ELi16ELb0ELb0ELb0ELb0E19rocblas_complex_numIdEPKS1_PKS3_PKPS1_EviT7_lllT6_T8_lllPii,comdat
.Lfunc_end172:
	.size	_ZL19rocblas_trsv_deviceILi32ELi16ELb0ELb0ELb0ELb0E19rocblas_complex_numIdEPKS1_PKS3_PKPS1_EviT7_lllT6_T8_lllPii, .Lfunc_end172-_ZL19rocblas_trsv_deviceILi32ELi16ELb0ELb0ELb0ELb0E19rocblas_complex_numIdEPKS1_PKS3_PKPS1_EviT7_lllT6_T8_lllPii
                                        ; -- End function
	.set _ZL19rocblas_trsv_deviceILi32ELi16ELb0ELb0ELb0ELb0E19rocblas_complex_numIdEPKS1_PKS3_PKPS1_EviT7_lllT6_T8_lllPii.num_vgpr, 77
	.set _ZL19rocblas_trsv_deviceILi32ELi16ELb0ELb0ELb0ELb0E19rocblas_complex_numIdEPKS1_PKS3_PKPS1_EviT7_lllT6_T8_lllPii.num_agpr, 0
	.set _ZL19rocblas_trsv_deviceILi32ELi16ELb0ELb0ELb0ELb0E19rocblas_complex_numIdEPKS1_PKS3_PKPS1_EviT7_lllT6_T8_lllPii.numbered_sgpr, 105
	.set _ZL19rocblas_trsv_deviceILi32ELi16ELb0ELb0ELb0ELb0E19rocblas_complex_numIdEPKS1_PKS3_PKPS1_EviT7_lllT6_T8_lllPii.num_named_barrier, 0
	.set _ZL19rocblas_trsv_deviceILi32ELi16ELb0ELb0ELb0ELb0E19rocblas_complex_numIdEPKS1_PKS3_PKPS1_EviT7_lllT6_T8_lllPii.private_seg_size, 0
	.set _ZL19rocblas_trsv_deviceILi32ELi16ELb0ELb0ELb0ELb0E19rocblas_complex_numIdEPKS1_PKS3_PKPS1_EviT7_lllT6_T8_lllPii.uses_vcc, 1
	.set _ZL19rocblas_trsv_deviceILi32ELi16ELb0ELb0ELb0ELb0E19rocblas_complex_numIdEPKS1_PKS3_PKPS1_EviT7_lllT6_T8_lllPii.uses_flat_scratch, 0
	.set _ZL19rocblas_trsv_deviceILi32ELi16ELb0ELb0ELb0ELb0E19rocblas_complex_numIdEPKS1_PKS3_PKPS1_EviT7_lllT6_T8_lllPii.has_dyn_sized_stack, 0
	.set _ZL19rocblas_trsv_deviceILi32ELi16ELb0ELb0ELb0ELb0E19rocblas_complex_numIdEPKS1_PKS3_PKPS1_EviT7_lllT6_T8_lllPii.has_recursion, 0
	.set _ZL19rocblas_trsv_deviceILi32ELi16ELb0ELb0ELb0ELb0E19rocblas_complex_numIdEPKS1_PKS3_PKPS1_EviT7_lllT6_T8_lllPii.has_indirect_call, 0
	.section	.AMDGPU.csdata,"",@progbits
; Kernel info:
; codeLenInByte = 27020
; TotalNumSgprs: 107
; NumVgprs: 77
; ScratchSize: 0
; MemoryBound: 1
; FloatMode: 240
; IeeeMode: 1
; LDSByteSize: 25104 bytes/workgroup (compile time only)
; SGPRBlocks: 0
; VGPRBlocks: 4
; NumSGPRsForWavesPerEU: 107
; NumVGPRsForWavesPerEU: 77
; NamedBarCnt: 0
; Occupancy: 12
; WaveLimiterHint : 1
; COMPUTE_PGM_RSRC2:SCRATCH_EN: 0
; COMPUTE_PGM_RSRC2:USER_SGPR: 2
; COMPUTE_PGM_RSRC2:TRAP_HANDLER: 0
; COMPUTE_PGM_RSRC2:TGID_X_EN: 1
; COMPUTE_PGM_RSRC2:TGID_Y_EN: 0
; COMPUTE_PGM_RSRC2:TGID_Z_EN: 1
; COMPUTE_PGM_RSRC2:TIDIG_COMP_CNT: 1
	.section	.text._ZL19rocblas_trsv_deviceILi32ELi16ELb0ELb1ELb0ELb0E19rocblas_complex_numIdEPKS1_PKS3_PKPS1_EviT7_lllT6_T8_lllPii,"axG",@progbits,_ZL19rocblas_trsv_deviceILi32ELi16ELb0ELb1ELb0ELb0E19rocblas_complex_numIdEPKS1_PKS3_PKPS1_EviT7_lllT6_T8_lllPii,comdat
	.globl	_ZL19rocblas_trsv_deviceILi32ELi16ELb0ELb1ELb0ELb0E19rocblas_complex_numIdEPKS1_PKS3_PKPS1_EviT7_lllT6_T8_lllPii ; -- Begin function _ZL19rocblas_trsv_deviceILi32ELi16ELb0ELb1ELb0ELb0E19rocblas_complex_numIdEPKS1_PKS3_PKPS1_EviT7_lllT6_T8_lllPii
	.p2align	8
	.type	_ZL19rocblas_trsv_deviceILi32ELi16ELb0ELb1ELb0ELb0E19rocblas_complex_numIdEPKS1_PKS3_PKPS1_EviT7_lllT6_T8_lllPii,@function
_ZL19rocblas_trsv_deviceILi32ELi16ELb0ELb1ELb0ELb0E19rocblas_complex_numIdEPKS1_PKS3_PKPS1_EviT7_lllT6_T8_lllPii: ; @_ZL19rocblas_trsv_deviceILi32ELi16ELb0ELb1ELb0ELb0E19rocblas_complex_numIdEPKS1_PKS3_PKPS1_EviT7_lllT6_T8_lllPii
; %bb.0:
	s_load_b32 s37, s[0:1], 0x58
	s_bfe_u32 s2, ttmp6, 0x40014
	s_lshr_b32 s3, ttmp7, 16
	s_add_co_i32 s2, s2, 1
	s_bfe_u32 s5, ttmp6, 0x40008
	s_mul_i32 s4, s3, s2
	s_getreg_b32 s2, hwreg(HW_REG_IB_STS2, 6, 4)
	s_add_co_i32 s5, s5, s4
	s_cmp_eq_u32 s2, 0
	s_mov_b32 s39, 0
	s_cselect_b32 s38, s3, s5
	s_wait_kmcnt 0x0
	s_cmp_ge_u32 s38, s37
	s_cbranch_scc1 .LBB173_574
; %bb.1:
	s_clause 0x3
	s_load_b32 s3, s[0:1], 0x6c
	s_load_b32 s56, s[0:1], 0x0
	s_load_b64 s[16:17], s[0:1], 0x18
	s_load_b256 s[40:47], s[0:1], 0x28
	s_bfe_u32 s4, ttmp6, 0x4000c
	s_and_b32 s5, ttmp6, 15
	s_add_co_i32 s4, s4, 1
	v_and_b32_e32 v24, 0x3ff, v0
	s_mul_i32 s4, ttmp9, s4
	v_mov_b32_e32 v1, 0
	s_add_co_i32 s5, s5, s4
	s_cmp_eq_u32 s2, 0
	v_bfe_u32 v48, v0, 10, 10
	s_cselect_b32 s57, ttmp9, s5
	v_dual_mov_b32 v27, v1 :: v_dual_lshlrev_b32 v6, 5, v24
	v_mov_b32_e32 v25, v1
	s_delay_alu instid0(VALU_DEP_3)
	v_lshl_add_u32 v10, v48, 5, v24
	v_sub_co_u32 v49, s7, s57, 1
	s_wait_kmcnt 0x0
	s_and_b32 s2, s3, 0xffff
	s_add_co_i32 s3, s56, -1
	s_ashr_i32 s4, s56, 31
	s_ashr_i32 s5, s3, 31
	s_lshr_b32 s4, s4, 27
	s_lshr_b32 s5, s5, 27
	s_add_co_i32 s4, s56, s4
	s_add_co_i32 s3, s3, s5
	s_and_not1_b32 s4, s4, 31
	s_ashr_i32 s3, s3, 5
	s_sub_co_i32 s15, s56, s4
	s_cmp_eq_u32 s3, s57
	s_add_nc_u64 s[4:5], s[16:17], 1
	s_cselect_b32 s3, -1, 0
	s_cmp_lg_u32 s15, 0
	v_dual_lshrrev_b32 v12, 1, v10 :: v_dual_bitop2_b32 v13, 1, v0 bitop3:0x40
	s_cselect_b32 s6, -1, 0
	s_lshl_b32 s18, s57, 5
	s_delay_alu instid0(SALU_CYCLE_1)
	v_dual_add_nc_u32 v7, 16, v48 :: v_dual_add_nc_u32 v8, s18, v48
	v_dual_add_nc_u32 v4, s18, v24 :: v_dual_add_nc_u32 v9, v48, v6
	s_and_b32 s31, s6, s3
	v_mad_nc_u64_u32 v[2:3], s4, s18, v[24:25]
	s_xor_b32 s58, s7, -1
	s_xor_b32 s59, s31, -1
	s_cmp_lt_i32 s57, 5
	v_dual_ashrrev_i32 v5, 31, v4 :: v_dual_add_nc_u32 v6, v7, v6
	v_lshl_add_u32 v11, v7, 5, v24
	s_cselect_b32 vcc_lo, -1, 0
	v_dual_lshlrev_b32 v14, 9, v12 :: v_dual_lshlrev_b32 v50, 4, v13
	s_ashr_i32 s19, s18, 31
	s_or_b32 s3, vcc_lo, s31
	v_cmp_eq_u32_e64 s6, 0, v13
	v_dual_cndmask_b32 v6, v11, v6, s3 :: v_dual_lshrrev_b32 v11, 10, v0
	s_xor_b32 s60, s3, -1
	s_mul_i32 s3, s4, s19
	s_mul_i32 s4, s5, s18
	v_dual_sub_nc_u32 v51, 0, v14 :: v_dual_lshlrev_b32 v52, 4, v24
	v_add3_u32 v3, s3, s4, v3
	v_cmp_gt_u32_e64 s3, 4, v10
	v_dual_sub_nc_u32 v53, v50, v14 :: v_dual_bitop2_b32 v14, 3, v0 bitop3:0x40
	v_cmp_eq_u32_e64 s5, 1, v13
	v_lshrrev_b32_e32 v13, 2, v10
	s_and_b32 s62, s6, s3
	v_cmp_gt_u32_e64 s6, 16, v10
	v_cmp_eq_u32_e64 s8, 3, v14
	v_cmp_ne_u32_e64 s9, 3, v14
	v_dual_lshlrev_b32 v15, 9, v13 :: v_dual_lshlrev_b32 v58, 4, v14
	s_and_b32 s61, s5, s3
	s_and_b32 s64, s8, s6
	v_cmp_gt_u32_e64 s8, 2, v14
	v_cmp_eq_u32_e64 s5, 0, v48
	v_sub_nc_u32_e32 v59, 0, v15
	v_lshl_add_u32 v57, v13, 4, 0x4000
	v_cmp_eq_u32_e64 s10, 2, v14
	v_cmp_eq_u32_e64 s11, 1, v14
	s_and_b32 s65, s9, s6
	v_cmp_eq_u32_e64 s9, 0, v14
	s_and_b32 s67, s8, s6
	v_dual_lshrrev_b32 v13, 3, v10 :: v_dual_sub_nc_u32 v60, v58, v15
	v_cmp_gt_u32_e64 s8, 4, v24
	v_and_b32_e32 v14, 7, v0
	s_and_b32 s69, s9, s6
	v_lshlrev_b32_e32 v15, 9, v13
	s_and_b32 s66, s10, s6
	s_and_b32 s70, s5, s8
	v_cmp_gt_u32_e64 s8, 64, v10
	v_cmp_eq_u32_e64 s9, 7, v14
	v_cmp_ne_u32_e64 s10, 7, v14
	v_dual_lshlrev_b32 v62, 4, v14 :: v_dual_sub_nc_u32 v63, 0, v15
	s_and_b32 s68, s11, s6
	s_and_b32 s71, s9, s8
	v_cmp_eq_u32_e64 s9, 5, v14
	s_and_b32 s72, s10, s8
	v_cmp_gt_u32_e64 s10, 5, v14
	v_lshl_add_u32 v61, v13, 4, 0x4000
	v_cmp_eq_u32_e64 s11, 6, v14
	s_and_b32 s75, s9, s8
	v_cmp_eq_u32_e64 s9, 4, v14
	s_and_b32 s76, s10, s8
	v_cmp_gt_u32_e64 s10, 3, v14
	v_dual_sub_nc_u32 v64, v62, v15 :: v_dual_lshlrev_b32 v13, 5, v10
	s_and_b32 s77, s9, s8
	v_cmp_eq_u32_e64 s9, 2, v14
	v_bitop3_b32 v11, v0, v11, 0x3ff bitop3:0xa8
	s_and_b32 s73, s11, s8
	v_cmp_gt_u32_e64 s11, 4, v14
	s_and_b32 s80, s10, s8
	v_cmp_gt_u32_e64 s10, 2, v14
	;; [unrolled: 2-line block ×3, first 2 shown]
	v_and_b32_e32 v13, 0xfffffe00, v13
	v_and_b32_e32 v0, 15, v0
	v_cmp_gt_u32_e64 s12, 6, v14
	s_and_b32 s78, s11, s8
	v_cmp_eq_u32_e64 s11, 1, v14
	s_and_b32 s82, s10, s8
	s_and_b32 s85, s5, s9
	v_cmp_gt_u32_e64 s9, 0x100, v10
	v_sub_nc_u32_e32 v75, 0, v13
	v_cmp_eq_u32_e64 s10, 15, v0
	s_and_b32 s74, s12, s8
	v_cmp_eq_u32_e64 s12, 3, v14
	s_and_b32 s83, s11, s8
	v_cmp_ne_u32_e64 s11, 15, v0
	s_and_b32 s10, s10, s9
                                        ; implicit-def: $vgpr207 : SGPR spill to VGPR lane
	v_cmp_eq_u32_e64 s13, 13, v0
	v_writelane_b32 v207, s10, 0
	s_and_b32 s79, s12, s8
	v_cmp_eq_u32_e64 s12, 0, v14
	v_cmp_eq_u32_e64 s10, 14, v0
	s_and_b32 s11, s11, s9
	v_lshl_add_u32 v25, v12, 4, 0x4000
	v_writelane_b32 v207, s11, 1
	s_and_b32 s84, s12, s8
	v_cmp_gt_u32_e64 s12, 14, v0
	s_and_b32 s10, s10, s9
	v_cmp_gt_u32_e64 s11, 13, v0
	v_writelane_b32 v207, s10, 2
	v_mad_u32_u24 v12, 0x1f0, v24, v52
	s_and_b32 s10, s12, s9
	v_cmp_eq_u32_e64 s12, 11, v0
	s_and_b32 s11, s11, s9
	v_writelane_b32 v207, s10, 3
	s_and_b32 s10, s13, s9
	v_cmp_gt_u32_e64 s13, 11, v0
	s_and_b32 s94, s12, s9
	v_cmp_gt_u32_e64 s12, 9, v0
	v_writelane_b32 v207, s10, 4
	v_cmp_eq_u32_e64 s10, 12, v0
	s_and_b32 s95, s13, s9
	v_cmp_eq_u32_e64 s13, 8, v0
	s_and_b32 s99, s12, s9
	v_writelane_b32 v207, s11, 5
	v_cmp_gt_u32_e64 s11, 12, v0
	s_and_b32 s92, s10, s9
	v_cmp_eq_u32_e64 s10, 10, v0
	s_and_b32 s100, s13, s9
	v_cmp_eq_u32_e64 s12, 6, v0
	s_and_b32 s93, s11, s9
	v_cmp_gt_u32_e64 s11, 10, v0
	s_and_b32 s96, s10, s9
	v_cmp_eq_u32_e64 s10, 9, v0
	v_cmp_gt_u32_e64 s13, 6, v0
	v_dual_lshlrev_b32 v74, 4, v0 :: v_dual_bitop2_b32 v14, -16, v10 bitop3:0x40
	s_and_b32 s97, s11, s9
	v_cmp_gt_u32_e64 s11, 8, v0
	s_and_b32 s98, s10, s9
	v_cmp_eq_u32_e64 s10, 7, v0
	s_and_b32 s104, s12, s9
	s_and_b32 vcc_hi, s13, s9
	s_and_b32 s101, s11, s9
	v_cmp_gt_u32_e64 s11, 7, v0
	s_and_b32 s102, s10, s9
	v_cmp_eq_u32_e64 s10, 5, v0
	v_cmp_gt_u32_e64 s12, 4, v0
	v_cmp_eq_u32_e64 s13, 3, v0
	s_and_b32 s103, s11, s9
	v_cmp_gt_u32_e64 s11, 5, v0
	s_and_b32 s20, s10, s9
	v_cmp_eq_u32_e64 s10, 4, v0
	v_mad_i32_i24 v56, 0xfffffe10, v24, v12
	s_and_b32 s23, s12, s9
	s_and_b32 s21, s11, s9
	v_cmp_gt_u32_e64 s11, 3, v0
	s_and_b32 s22, s10, s9
	s_and_b32 s24, s13, s9
	v_cmp_eq_u32_e64 s10, 2, v0
	v_cmp_eq_u32_e64 s12, 1, v0
	s_and_b32 s25, s11, s9
	v_cmp_gt_u32_e64 s11, 2, v0
	v_cmp_eq_u32_e64 s13, 0, v0
	v_dual_sub_nc_u32 v76, v74, v13 :: v_dual_add_nc_u32 v0, -16, v8
	s_and_b32 s28, s12, s9
	v_subrev_nc_u32_e32 v28, 32, v8
	v_cmp_le_i32_e64 s14, s15, v24
	s_and_b32 s26, s10, s9
	v_cmp_gt_i32_e64 s12, s56, v0
	v_mad_u32_u24 v0, 0x1f0, v24, v56
	v_cmp_gt_u32_e64 s10, 16, v24
	v_cmp_gt_u32_e64 s7, 2, v24
	s_and_b32 s33, s14, s31
	v_dual_ashrrev_i32 v29, 31, v28 :: v_dual_cndmask_b32 v9, v10, v9, vcc_lo
	v_mad_i32_i24 v107, 0xfffffe10, v24, v0
	v_add_nc_u32_e32 v103, 0x3980, v0
	v_add_nc_u32_e32 v104, 0x39b0, v0
	;; [unrolled: 1-line block ×4, first 2 shown]
	v_mad_u32_u24 v8, 0x1f0, v24, v107
	v_add_nc_u32_e32 v108, 0x2d40, v0
	v_add_nc_u32_e32 v109, 0x2d50, v0
	;; [unrolled: 1-line block ×4, first 2 shown]
	v_mad_i32_i24 v118, 0xfffffe10, v24, v8
	v_add_nc_u32_e32 v112, 0x18a0, v0
	v_add_nc_u32_e32 v113, 0x1890, v0
	;; [unrolled: 1-line block ×4, first 2 shown]
	v_mad_u32_u24 v0, 0x1f0, v24, v118
	v_cmp_gt_i32_e32 vcc_lo, s15, v24
	s_and_b32 s30, s5, s10
	s_xor_b32 s10, s33, -1
	v_mad_u32_u24 v26, v48, s2, v24
	v_cmp_gt_i32_e64 s2, s56, v4
	s_and_b32 s63, s5, s7
	s_and_b32 s27, s11, s9
	;; [unrolled: 1-line block ×4, first 2 shown]
	v_mul_u64_e32 v[30:31], s[16:17], v[4:5]
	v_mul_u64_e32 v[32:33], s[46:47], v[4:5]
	v_mad_i32_i24 v5, 0xfffffe10, v24, v0
	v_lshlrev_b32_e32 v4, 4, v48
	s_cmp_gt_i32 s57, 0
	v_mad_nc_u64_u32 v[34:35], s16, v48, v[2:3]
	s_cselect_b32 s86, -1, 0
	v_mad_nc_u64_u32 v[36:37], s16, v7, v[2:3]
	s_and_b32 s16, s5, vcc_lo
	v_add_nc_u32_e32 v129, 0x2500, v0
	v_add_nc_u32_e32 v130, 0x2510, v0
	;; [unrolled: 1-line block ×6, first 2 shown]
	v_dual_add_nc_u32 v137, 32, v5 :: v_dual_add_nc_u32 v133, v0, v4
	v_add_nc_u32_e32 v0, s18, v26
	v_add_nc_u32_e32 v134, 0x6000, v4
	;; [unrolled: 1-line block ×3, first 2 shown]
	v_lshl_add_u32 v139, v48, 9, v5
	v_add_nc_u64_e32 v[4:5], s[18:19], v[26:27]
	v_writelane_b32 v207, s16, 6
	v_cmp_ne_u32_e64 s18, v24, v48
	v_cmp_le_i32_e32 vcc_lo, s15, v48
	v_cmp_ge_u32_e64 s10, v24, v48
	v_mad_u32 v35, s17, v48, v35
	v_mad_u32 v37, s17, v7, v37
	v_writelane_b32 v207, s18, 7
	s_or_b32 s16, vcc_lo, s14
	v_cmp_ne_u32_e64 s17, v24, v7
	s_or_b32 s87, s16, s10
	s_or_b32 s16, s14, s18
	v_cmp_le_i32_e64 s15, s15, v7
	v_writelane_b32 v207, s16, 8
	v_cmp_gt_u32_e64 s31, 0xf0, v10
	v_mul_u64_e32 v[38:39], s[46:47], v[4:5]
	v_mul_u64_e32 v[40:41], s[46:47], v[0:1]
	s_or_b32 s15, s15, s14
	v_writelane_b32 v207, s17, 9
	s_or_b32 s14, s14, s17
	s_clause 0x1
	s_load_b64 s[52:53], s[0:1], 0x50
	s_load_b128 s[48:51], s[0:1], 0x8
	v_dual_add_nc_u32 v199, 64, v107 :: v_dual_bitop2_b32 v2, v7, v24 bitop3:0x54
	v_writelane_b32 v207, s14, 10
	v_cmp_gt_u32_e64 s35, 32, v11
	v_add_nc_u32_e32 v116, 0x3580, v8
	v_add_nc_u32_e32 v117, 0x3590, v8
	v_add_nc_u32_e32 v119, 0x2900, v8
	v_writelane_b32 v207, s31, 11
	v_cmp_gt_u32_e64 s31, 0xe0, v10
	v_add_nc_u32_e32 v120, 0x2930, v8
	v_add_nc_u32_e32 v121, 0x2920, v8
	v_add_nc_u32_e32 v122, 0x2910, v8
	v_add_nc_u32_e32 v123, 0x1480, v8
	v_writelane_b32 v207, s31, 12
	v_cmp_gt_u32_e64 s31, 0xd0, v10
	v_add_nc_u32_e32 v124, 0x1490, v8
	;; [unrolled: 6-line block ×3, first 2 shown]
	v_mul_u32_u24_e32 v140, 0x210, v24
	v_dual_lshlrev_b32 v8, 9, v24 :: v_dual_lshlrev_b32 v141, 4, v9
	s_delay_alu instid0(VALU_DEP_4)
	v_writelane_b32 v207, s31, 14
	v_cmp_gt_u32_e64 s31, 0xb0, v10
	v_cmp_ge_u32_e64 s11, v24, v7
	v_cmp_gt_i32_e64 s13, s56, v28
	v_cmp_gt_u32_e64 s4, 2, v10
	v_add_nc_u32_e32 v54, 0x3dc0, v12
	v_writelane_b32 v207, s31, 15
	v_cmp_gt_u32_e64 s31, 0xa0, v10
	v_add_nc_u32_e32 v55, 0x3dd0, v12
	v_cmp_gt_u32_e64 s7, 12, v10
	v_add_nc_u32_e32 v65, 0x3100, v12
	v_add_nc_u32_e32 v66, 0x3110, v12
	v_writelane_b32 v207, s31, 16
	v_cmp_gt_u32_e64 s31, 0x90, v10
	v_add_nc_u32_e32 v67, 0x3120, v12
	v_add_nc_u32_e32 v68, 0x3130, v12
	v_add_nc_u32_e32 v69, 0x3140, v12
	v_add_nc_u32_e32 v70, 0x3150, v12
	v_writelane_b32 v207, s31, 17
	v_cmp_gt_u32_e64 s31, 0x80, v10
	v_add_nc_u32_e32 v71, 0x3160, v12
	v_add_nc_u32_e32 v72, 0x3170, v12
	;; [unrolled: 6-line block ×5, first 2 shown]
	v_add_nc_u32_e32 v88, 0x20b0, v12
	v_add_nc_u32_e32 v89, 0x20c0, v12
	v_writelane_b32 v207, s31, 21
	v_add_nc_u32_e32 v90, 0x20d0, v12
	v_add_nc_u32_e32 v91, 0x20e0, v12
	v_add_nc_u32_e32 v92, 0x20f0, v12
	v_add_nc_u32_e32 v93, 0x1cc0, v12
	v_writelane_b32 v207, s35, 22
	v_cmp_gt_u32_e64 s35, 32, v2
	v_add_nc_u32_e32 v94, 0x1cd0, v12
	v_add_nc_u32_e32 v95, 0x1000, v12
	;; [unrolled: 1-line block ×9, first 2 shown]
	v_dual_sub_nc_u32 v27, v140, v8 :: v_dual_lshlrev_b32 v142, 4, v6
	s_or_b32 s88, s15, s11
	v_add_nc_u32_e32 v143, 0x39e0, v56
	v_add_nc_u32_e32 v144, 0x3be0, v56
	;; [unrolled: 1-line block ×59, first 2 shown]
	v_lshl_add_u32 v203, v26, 4, 0x6000
	v_lshl_add_u32 v204, v10, 4, 0x4000
	v_add_nc_u32_e32 v205, 0x4000, v52
	v_add_nc_u32_e32 v206, v134, v52
	v_cmp_gt_u32_e64 s14, 8, v10
	v_cmp_gt_u32_e64 s15, 56, v10
	v_cmp_gt_u32_e64 s16, 48, v10
	v_cmp_gt_u32_e64 s17, 40, v10
	v_cmp_gt_u32_e64 s18, 32, v10
	v_cmp_gt_u32_e64 s19, 24, v10
	v_cmp_eq_u32_e64 s31, 0, v11
	v_writelane_b32 v207, s35, 23
	v_cmp_eq_u32_e64 s35, 0, v26
	v_cmp_gt_u32_e64 s36, 32, v26
	s_and_b32 s13, s13, s2
	s_and_b32 s12, s12, s2
	s_wait_kmcnt 0x0
	s_lshl_b64 s[50:51], s[50:51], 4
	s_lshl_b64 s[44:45], s[44:45], 4
                                        ; implicit-def: $vgpr4_vgpr5
                                        ; implicit-def: $vgpr8_vgpr9
	s_branch .LBB173_3
.LBB173_2:                              ;   in Loop: Header=BB173_3 Depth=1
	s_wait_xcnt 0x0
	s_or_b32 exec_lo, exec_lo, s0
	s_add_co_i32 s38, s38, 0x10000
	global_wb scope:SCOPE_DEV
	s_wait_storecnt 0x0
	global_inv scope:SCOPE_DEV
	s_cmp_lt_u32 s38, s37
	s_cbranch_scc0 .LBB173_574
.LBB173_3:                              ; =>This Loop Header: Depth=1
                                        ;     Child Loop BB173_453 Depth 2
                                        ;       Child Loop BB173_455 Depth 3
                                        ;     Child Loop BB173_486 Depth 2
	v_mov_b32_e32 v0, s38
	s_and_not1_b32 vcc_lo, exec_lo, s58
	s_clause 0x1
	global_load_b64 v[2:3], v0, s[48:49] scale_offset
	global_load_b64 v[44:45], v0, s[42:43] scale_offset
	global_load_b128 v[12:15], v1, s[40:41]
	s_wait_loadcnt 0x2
	v_add_nc_u64_e32 v[46:47], s[50:51], v[2:3]
	s_delay_alu instid0(VALU_DEP_1)
	v_lshl_add_u64 v[42:43], v[30:31], 4, v[46:47]
	s_cbranch_vccz .LBB173_6
; %bb.4:                                ;   in Loop: Header=BB173_3 Depth=1
	s_and_not1_b32 vcc_lo, exec_lo, s59
	s_mov_b32 s0, -1
	s_cbranch_vccz .LBB173_11
.LBB173_5:                              ;   in Loop: Header=BB173_3 Depth=1
	s_and_b32 vcc_lo, exec_lo, s0
	s_cbranch_vccnz .LBB173_17
	s_branch .LBB173_23
.LBB173_6:                              ;   in Loop: Header=BB173_3 Depth=1
	v_mov_b64_e32 v[10:11], 0
	v_mov_b64_e32 v[4:5], 0
	;; [unrolled: 1-line block ×3, first 2 shown]
	v_lshl_add_u64 v[2:3], v[28:29], 4, v[42:43]
	s_wait_loadcnt 0x0
	s_barrier_signal -1
	s_barrier_wait -1
	s_wait_xcnt 0x0
	s_and_saveexec_b32 s0, s13
	s_cbranch_execz .LBB173_8
; %bb.7:                                ;   in Loop: Header=BB173_3 Depth=1
	flat_load_b128 v[4:7], v[2:3]
.LBB173_8:                              ;   in Loop: Header=BB173_3 Depth=1
	s_wait_xcnt 0x0
	s_or_b32 exec_lo, exec_lo, s0
	v_mov_b64_e32 v[8:9], 0
	s_wait_loadcnt_dscnt 0x0
	s_barrier_signal -1
	s_barrier_wait -1
	s_and_saveexec_b32 s0, s12
	s_cbranch_execz .LBB173_10
; %bb.9:                                ;   in Loop: Header=BB173_3 Depth=1
	flat_load_b128 v[8:11], v[2:3] offset:256
.LBB173_10:                             ;   in Loop: Header=BB173_3 Depth=1
	s_wait_xcnt 0x0
	s_or_b32 exec_lo, exec_lo, s0
	s_delay_alu instid0(SALU_CYCLE_1)
	s_and_not1_b32 vcc_lo, exec_lo, s59
	s_mov_b32 s0, -1
	s_cbranch_vccnz .LBB173_5
.LBB173_11:                             ;   in Loop: Header=BB173_3 Depth=1
	s_wait_xcnt 0x0
	s_and_saveexec_b32 s0, s10
	s_delay_alu instid0(SALU_CYCLE_1)
	s_xor_b32 s0, exec_lo, s0
	s_cbranch_execnz .LBB173_499
; %bb.12:                               ;   in Loop: Header=BB173_3 Depth=1
	s_and_not1_saveexec_b32 s0, s0
	s_cbranch_execnz .LBB173_510
.LBB173_13:                             ;   in Loop: Header=BB173_3 Depth=1
	s_or_b32 exec_lo, exec_lo, s0
	s_and_saveexec_b32 s0, s11
	s_delay_alu instid0(SALU_CYCLE_1)
	s_xor_b32 s0, exec_lo, s0
	s_cbranch_execnz .LBB173_511
.LBB173_14:                             ;   in Loop: Header=BB173_3 Depth=1
	s_and_not1_saveexec_b32 s0, s0
	s_cbranch_execz .LBB173_16
.LBB173_15:                             ;   in Loop: Header=BB173_3 Depth=1
	v_lshl_add_u64 v[2:3], v[36:37], 4, v[46:47]
	flat_load_b128 v[16:19], v[2:3]
	s_wait_loadcnt_dscnt 0x0
	v_xor_b32_e32 v17, 0x80000000, v17
	v_xor_b32_e32 v19, 0x80000000, v19
	ds_store_b128 v142, v[16:19]
.LBB173_16:                             ;   in Loop: Header=BB173_3 Depth=1
	s_or_b32 exec_lo, exec_lo, s0
	s_branch .LBB173_23
.LBB173_17:                             ;   in Loop: Header=BB173_3 Depth=1
	s_wait_xcnt 0x0
	s_and_saveexec_b32 s0, s87
	s_delay_alu instid0(SALU_CYCLE_1)
	s_xor_b32 s0, exec_lo, s0
	s_cbranch_execnz .LBB173_522
; %bb.18:                               ;   in Loop: Header=BB173_3 Depth=1
	s_and_not1_saveexec_b32 s0, s0
	s_cbranch_execnz .LBB173_533
.LBB173_19:                             ;   in Loop: Header=BB173_3 Depth=1
	s_or_b32 exec_lo, exec_lo, s0
	s_and_saveexec_b32 s0, s88
	s_delay_alu instid0(SALU_CYCLE_1)
	s_xor_b32 s0, exec_lo, s0
	s_cbranch_execnz .LBB173_534
.LBB173_20:                             ;   in Loop: Header=BB173_3 Depth=1
	s_and_not1_saveexec_b32 s0, s0
	s_cbranch_execz .LBB173_22
.LBB173_21:                             ;   in Loop: Header=BB173_3 Depth=1
	v_lshl_add_u64 v[2:3], v[36:37], 4, v[46:47]
	flat_load_b128 v[16:19], v[2:3]
	s_wait_loadcnt_dscnt 0x0
	v_xor_b32_e32 v17, 0x80000000, v17
	v_xor_b32_e32 v19, 0x80000000, v19
	ds_store_b128 v142, v[16:19]
.LBB173_22:                             ;   in Loop: Header=BB173_3 Depth=1
	s_or_b32 exec_lo, exec_lo, s0
.LBB173_23:                             ;   in Loop: Header=BB173_3 Depth=1
	s_delay_alu instid0(SALU_CYCLE_1)
	s_and_not1_b32 vcc_lo, exec_lo, s60
	s_wait_loadcnt_dscnt 0x0
	s_barrier_signal -1
	s_barrier_wait -1
	s_cbranch_vccnz .LBB173_447
; %bb.24:                               ;   in Loop: Header=BB173_3 Depth=1
	s_wait_xcnt 0x0
	s_and_saveexec_b32 s0, s31
	s_cbranch_execz .LBB173_26
; %bb.25:                               ;   in Loop: Header=BB173_3 Depth=1
	ds_load_b128 v[16:19], v1 offset:16368
	ds_load_b128 v[20:23], v1 offset:15840
	s_wait_dscnt 0x0
	v_mul_f64_e32 v[2:3], v[18:19], v[22:23]
	v_mul_f64_e32 v[46:47], v[16:17], v[22:23]
	s_delay_alu instid0(VALU_DEP_2) | instskip(NEXT) | instid1(VALU_DEP_2)
	v_fma_f64 v[2:3], v[16:17], v[20:21], -v[2:3]
	v_fmac_f64_e32 v[46:47], v[18:19], v[20:21]
	ds_load_b128 v[16:19], v1 offset:16352
	s_wait_dscnt 0x0
	v_mul_f64_e32 v[22:23], v[2:3], v[18:19]
	v_mul_f64_e32 v[20:21], v[46:47], v[18:19]
	s_delay_alu instid0(VALU_DEP_2) | instskip(NEXT) | instid1(VALU_DEP_2)
	v_fmac_f64_e32 v[22:23], v[16:17], v[46:47]
	v_fma_f64 v[20:21], v[16:17], v[2:3], -v[20:21]
	ds_store_b128 v1, v[20:23] offset:16352
	ds_store_b128 v1, v[20:23] offset:15856
.LBB173_26:                             ;   in Loop: Header=BB173_3 Depth=1
	s_or_b32 exec_lo, exec_lo, s0
	v_mov_b64_e32 v[16:17], 0
	v_mov_b64_e32 v[18:19], 0
	s_wait_dscnt 0x0
	s_barrier_signal -1
	s_barrier_wait -1
	global_wb scope:SCOPE_DEV
	s_wait_storecnt 0x0
	global_inv scope:SCOPE_DEV
	s_and_saveexec_b32 s0, s3
	s_cbranch_execz .LBB173_30
; %bb.27:                               ;   in Loop: Header=BB173_3 Depth=1
	ds_load_b128 v[16:19], v51 offset:16352
	ds_load_b128 v[20:23], v50 offset:15808
	s_wait_dscnt 0x0
	v_mul_f64_e32 v[2:3], v[18:19], v[22:23]
	v_mul_f64_e32 v[22:23], v[16:17], v[22:23]
	s_delay_alu instid0(VALU_DEP_2) | instskip(NEXT) | instid1(VALU_DEP_2)
	v_fma_f64 v[2:3], v[16:17], v[20:21], -v[2:3]
	v_fmac_f64_e32 v[22:23], v[18:19], v[20:21]
	s_delay_alu instid0(VALU_DEP_2) | instskip(NEXT) | instid1(VALU_DEP_2)
	v_add_f64_e32 v[16:17], 0, v[2:3]
	v_add_f64_e32 v[18:19], 0, v[22:23]
	s_and_saveexec_b32 s1, s4
	s_cbranch_execz .LBB173_29
; %bb.28:                               ;   in Loop: Header=BB173_3 Depth=1
	ds_load_b128 v[20:23], v1 offset:16368
	ds_load_b128 v[208:211], v52 offset:16320
	s_wait_dscnt 0x0
	v_mul_f64_e32 v[2:3], v[22:23], v[210:211]
	s_delay_alu instid0(VALU_DEP_1) | instskip(SKIP_1) | instid1(VALU_DEP_2)
	v_fma_f64 v[2:3], v[20:21], v[208:209], -v[2:3]
	v_mul_f64_e32 v[20:21], v[20:21], v[210:211]
	v_add_f64_e32 v[16:17], v[16:17], v[2:3]
	s_delay_alu instid0(VALU_DEP_2) | instskip(NEXT) | instid1(VALU_DEP_1)
	v_fmac_f64_e32 v[20:21], v[22:23], v[208:209]
	v_add_f64_e32 v[18:19], v[18:19], v[20:21]
.LBB173_29:                             ;   in Loop: Header=BB173_3 Depth=1
	s_or_b32 exec_lo, exec_lo, s1
.LBB173_30:                             ;   in Loop: Header=BB173_3 Depth=1
	s_delay_alu instid0(SALU_CYCLE_1)
	s_or_b32 exec_lo, exec_lo, s0
	s_and_saveexec_b32 s0, s61
	s_cbranch_execz .LBB173_32
; %bb.31:                               ;   in Loop: Header=BB173_3 Depth=1
	ds_load_b128 v[20:23], v1 offset:15312
	s_wait_dscnt 0x0
	v_mul_f64_e32 v[2:3], v[18:19], v[22:23]
	v_mul_f64_e32 v[22:23], v[16:17], v[22:23]
	s_delay_alu instid0(VALU_DEP_1) | instskip(NEXT) | instid1(VALU_DEP_1)
	v_fmac_f64_e32 v[22:23], v[18:19], v[20:21]
	v_dual_fma_f64 v[2:3], v[16:17], v[20:21], -v[2:3] :: v_dual_mov_b32 v18, v22
	s_delay_alu instid0(VALU_DEP_1) | instskip(NEXT) | instid1(VALU_DEP_3)
	v_xor_b32_e32 v17, 0x80000000, v3
	v_xor_b32_e32 v19, 0x80000000, v23
	s_delay_alu instid0(VALU_DEP_3)
	v_mov_b32_e32 v16, v2
	ds_store_b128 v25, v[16:19]
	v_mov_b64_e32 v[16:17], v[2:3]
	v_mov_b64_e32 v[18:19], v[22:23]
.LBB173_32:                             ;   in Loop: Header=BB173_3 Depth=1
	s_or_b32 exec_lo, exec_lo, s0
	s_wait_loadcnt_dscnt 0x0
	s_barrier_signal -1
	s_barrier_wait -1
	s_and_saveexec_b32 s0, s62
	s_cbranch_execz .LBB173_34
; %bb.33:                               ;   in Loop: Header=BB173_3 Depth=1
	ds_load_b128 v[20:23], v25
	ds_load_b128 v[208:211], v1 offset:15296
	s_wait_dscnt 0x0
	v_mul_f64_e32 v[2:3], v[22:23], v[210:211]
	s_delay_alu instid0(VALU_DEP_1) | instskip(SKIP_1) | instid1(VALU_DEP_2)
	v_fma_f64 v[2:3], v[20:21], v[208:209], -v[2:3]
	v_mul_f64_e32 v[20:21], v[20:21], v[210:211]
	v_add_f64_e64 v[16:17], v[16:17], -v[2:3]
	s_delay_alu instid0(VALU_DEP_2) | instskip(NEXT) | instid1(VALU_DEP_1)
	v_fmac_f64_e32 v[20:21], v[22:23], v[208:209]
	v_add_f64_e64 v[18:19], v[18:19], -v[20:21]
.LBB173_34:                             ;   in Loop: Header=BB173_3 Depth=1
	s_or_b32 exec_lo, exec_lo, s0
	s_barrier_signal -1
	s_barrier_wait -1
	s_and_saveexec_b32 s0, s62
	s_cbranch_execz .LBB173_36
; %bb.35:                               ;   in Loop: Header=BB173_3 Depth=1
	ds_load_b128 v[20:23], v1 offset:14784
	s_wait_dscnt 0x0
	v_mul_f64_e32 v[2:3], v[18:19], v[22:23]
	v_mul_f64_e32 v[22:23], v[16:17], v[22:23]
	s_delay_alu instid0(VALU_DEP_1) | instskip(NEXT) | instid1(VALU_DEP_1)
	v_fmac_f64_e32 v[22:23], v[18:19], v[20:21]
	v_dual_fma_f64 v[2:3], v[16:17], v[20:21], -v[2:3] :: v_dual_mov_b32 v18, v22
	s_delay_alu instid0(VALU_DEP_1) | instskip(NEXT) | instid1(VALU_DEP_3)
	v_xor_b32_e32 v17, 0x80000000, v3
	v_xor_b32_e32 v19, 0x80000000, v23
	s_delay_alu instid0(VALU_DEP_3)
	v_mov_b32_e32 v16, v2
	ds_store_b128 v25, v[16:19]
	v_mov_b64_e32 v[16:17], v[2:3]
	v_mov_b64_e32 v[18:19], v[22:23]
.LBB173_36:                             ;   in Loop: Header=BB173_3 Depth=1
	s_or_b32 exec_lo, exec_lo, s0
	s_wait_dscnt 0x0
	s_barrier_signal -1
	s_barrier_wait -1
	s_barrier_signal -1
	s_barrier_wait -1
	s_and_saveexec_b32 s0, s3
; %bb.37:                               ;   in Loop: Header=BB173_3 Depth=1
	ds_store_b128 v53, v[16:19] offset:16320
; %bb.38:                               ;   in Loop: Header=BB173_3 Depth=1
	s_or_b32 exec_lo, exec_lo, s0
	s_wait_dscnt 0x0
	s_barrier_signal -1
	s_barrier_wait -1
	s_barrier_signal -1
	s_barrier_wait -1
	s_and_saveexec_b32 s0, s63
	s_cbranch_execz .LBB173_40
; %bb.39:                               ;   in Loop: Header=BB173_3 Depth=1
	ds_load_b128 v[16:19], v54
	s_wait_dscnt 0x0
	ds_store_b128 v143, v[16:19]
	ds_load_b128 v[16:19], v55
	s_wait_dscnt 0x0
	ds_store_b128 v144, v[16:19]
.LBB173_40:                             ;   in Loop: Header=BB173_3 Depth=1
	s_or_b32 exec_lo, exec_lo, s0
	s_wait_dscnt 0x0
	s_barrier_signal -1
	s_barrier_wait -1
	s_and_saveexec_b32 s0, s31
	s_cbranch_execz .LBB173_42
; %bb.41:                               ;   in Loop: Header=BB173_3 Depth=1
	ds_load_b128 v[16:19], v1 offset:15312
	ds_load_b128 v[20:23], v1 offset:14784
	s_wait_dscnt 0x0
	v_mul_f64_e32 v[2:3], v[18:19], v[22:23]
	v_mul_f64_e32 v[46:47], v[16:17], v[22:23]
	s_delay_alu instid0(VALU_DEP_2) | instskip(NEXT) | instid1(VALU_DEP_2)
	v_fma_f64 v[2:3], v[16:17], v[20:21], -v[2:3]
	v_fmac_f64_e32 v[46:47], v[18:19], v[20:21]
	ds_load_b128 v[16:19], v1 offset:15296
	s_wait_dscnt 0x0
	v_mul_f64_e32 v[22:23], v[2:3], v[18:19]
	v_mul_f64_e32 v[20:21], v[46:47], v[18:19]
	s_delay_alu instid0(VALU_DEP_2) | instskip(NEXT) | instid1(VALU_DEP_2)
	v_fmac_f64_e32 v[22:23], v[16:17], v[46:47]
	v_fma_f64 v[20:21], v[16:17], v[2:3], -v[20:21]
	ds_store_b128 v1, v[20:23] offset:15296
	ds_store_b128 v1, v[20:23] offset:14800
.LBB173_42:                             ;   in Loop: Header=BB173_3 Depth=1
	s_or_b32 exec_lo, exec_lo, s0
	v_mov_b64_e32 v[18:19], 0
	v_mov_b64_e32 v[16:17], 0
	s_wait_dscnt 0x0
	s_barrier_signal -1
	s_barrier_wait -1
	global_wb scope:SCOPE_DEV
	s_wait_storecnt 0x0
	global_inv scope:SCOPE_DEV
	s_and_saveexec_b32 s0, s6
	s_cbranch_execz .LBB173_48
; %bb.43:                               ;   in Loop: Header=BB173_3 Depth=1
	ds_load_b128 v[16:19], v59 offset:16320
	ds_load_b128 v[20:23], v58 offset:14720
	s_wait_dscnt 0x0
	v_mul_f64_e32 v[2:3], v[18:19], v[22:23]
	v_mul_f64_e32 v[22:23], v[16:17], v[22:23]
	s_delay_alu instid0(VALU_DEP_2) | instskip(NEXT) | instid1(VALU_DEP_2)
	v_fma_f64 v[2:3], v[16:17], v[20:21], -v[2:3]
	v_fmac_f64_e32 v[22:23], v[18:19], v[20:21]
	s_delay_alu instid0(VALU_DEP_2) | instskip(NEXT) | instid1(VALU_DEP_2)
	v_add_f64_e32 v[16:17], 0, v[2:3]
	v_add_f64_e32 v[18:19], 0, v[22:23]
	s_and_saveexec_b32 s1, s7
	s_cbranch_execnz .LBB173_550
; %bb.44:                               ;   in Loop: Header=BB173_3 Depth=1
	s_or_b32 exec_lo, exec_lo, s1
	s_and_saveexec_b32 s1, s14
	s_cbranch_execnz .LBB173_551
.LBB173_45:                             ;   in Loop: Header=BB173_3 Depth=1
	s_or_b32 exec_lo, exec_lo, s1
	s_and_saveexec_b32 s1, s3
	s_cbranch_execz .LBB173_47
.LBB173_46:                             ;   in Loop: Header=BB173_3 Depth=1
	ds_load_b128 v[20:23], v1 offset:16368
	ds_load_b128 v[208:211], v56 offset:16256
	s_wait_dscnt 0x0
	v_mul_f64_e32 v[2:3], v[22:23], v[210:211]
	s_delay_alu instid0(VALU_DEP_1) | instskip(SKIP_1) | instid1(VALU_DEP_2)
	v_fma_f64 v[2:3], v[20:21], v[208:209], -v[2:3]
	v_mul_f64_e32 v[20:21], v[20:21], v[210:211]
	v_add_f64_e32 v[16:17], v[16:17], v[2:3]
	s_delay_alu instid0(VALU_DEP_2) | instskip(NEXT) | instid1(VALU_DEP_1)
	v_fmac_f64_e32 v[20:21], v[22:23], v[208:209]
	v_add_f64_e32 v[18:19], v[18:19], v[20:21]
.LBB173_47:                             ;   in Loop: Header=BB173_3 Depth=1
	s_or_b32 exec_lo, exec_lo, s1
.LBB173_48:                             ;   in Loop: Header=BB173_3 Depth=1
	s_delay_alu instid0(SALU_CYCLE_1)
	s_or_b32 exec_lo, exec_lo, s0
	s_and_saveexec_b32 s0, s64
	s_cbranch_execz .LBB173_50
; %bb.49:                               ;   in Loop: Header=BB173_3 Depth=1
	ds_load_b128 v[20:23], v1 offset:14256
	s_wait_dscnt 0x0
	v_mul_f64_e32 v[2:3], v[18:19], v[22:23]
	v_mul_f64_e32 v[22:23], v[16:17], v[22:23]
	s_delay_alu instid0(VALU_DEP_1) | instskip(NEXT) | instid1(VALU_DEP_1)
	v_fmac_f64_e32 v[22:23], v[18:19], v[20:21]
	v_dual_fma_f64 v[2:3], v[16:17], v[20:21], -v[2:3] :: v_dual_mov_b32 v18, v22
	s_delay_alu instid0(VALU_DEP_1) | instskip(NEXT) | instid1(VALU_DEP_3)
	v_xor_b32_e32 v17, 0x80000000, v3
	v_xor_b32_e32 v19, 0x80000000, v23
	s_delay_alu instid0(VALU_DEP_3)
	v_mov_b32_e32 v16, v2
	ds_store_b128 v57, v[16:19]
	v_mov_b64_e32 v[16:17], v[2:3]
	v_mov_b64_e32 v[18:19], v[22:23]
.LBB173_50:                             ;   in Loop: Header=BB173_3 Depth=1
	s_or_b32 exec_lo, exec_lo, s0
	s_wait_loadcnt_dscnt 0x0
	s_barrier_signal -1
	s_barrier_wait -1
	s_and_saveexec_b32 s0, s65
	s_cbranch_execz .LBB173_52
; %bb.51:                               ;   in Loop: Header=BB173_3 Depth=1
	ds_load_b128 v[20:23], v57
	ds_load_b128 v[208:211], v58 offset:14208
	s_wait_dscnt 0x0
	v_mul_f64_e32 v[2:3], v[22:23], v[210:211]
	s_delay_alu instid0(VALU_DEP_1) | instskip(SKIP_1) | instid1(VALU_DEP_2)
	v_fma_f64 v[2:3], v[20:21], v[208:209], -v[2:3]
	v_mul_f64_e32 v[20:21], v[20:21], v[210:211]
	v_add_f64_e64 v[16:17], v[16:17], -v[2:3]
	s_delay_alu instid0(VALU_DEP_2) | instskip(NEXT) | instid1(VALU_DEP_1)
	v_fmac_f64_e32 v[20:21], v[22:23], v[208:209]
	v_add_f64_e64 v[18:19], v[18:19], -v[20:21]
.LBB173_52:                             ;   in Loop: Header=BB173_3 Depth=1
	s_or_b32 exec_lo, exec_lo, s0
	s_barrier_signal -1
	s_barrier_wait -1
	s_and_saveexec_b32 s0, s66
	s_cbranch_execz .LBB173_54
; %bb.53:                               ;   in Loop: Header=BB173_3 Depth=1
	ds_load_b128 v[20:23], v1 offset:13728
	s_wait_dscnt 0x0
	v_mul_f64_e32 v[2:3], v[18:19], v[22:23]
	v_mul_f64_e32 v[22:23], v[16:17], v[22:23]
	s_delay_alu instid0(VALU_DEP_1) | instskip(NEXT) | instid1(VALU_DEP_1)
	v_fmac_f64_e32 v[22:23], v[18:19], v[20:21]
	v_dual_fma_f64 v[2:3], v[16:17], v[20:21], -v[2:3] :: v_dual_mov_b32 v18, v22
	s_delay_alu instid0(VALU_DEP_1) | instskip(NEXT) | instid1(VALU_DEP_3)
	v_xor_b32_e32 v17, 0x80000000, v3
	v_xor_b32_e32 v19, 0x80000000, v23
	s_delay_alu instid0(VALU_DEP_3)
	v_mov_b32_e32 v16, v2
	ds_store_b128 v57, v[16:19]
	v_mov_b64_e32 v[16:17], v[2:3]
	v_mov_b64_e32 v[18:19], v[22:23]
.LBB173_54:                             ;   in Loop: Header=BB173_3 Depth=1
	s_or_b32 exec_lo, exec_lo, s0
	s_wait_dscnt 0x0
	s_barrier_signal -1
	s_barrier_wait -1
	s_and_saveexec_b32 s0, s67
	s_cbranch_execz .LBB173_56
; %bb.55:                               ;   in Loop: Header=BB173_3 Depth=1
	ds_load_b128 v[20:23], v57
	ds_load_b128 v[208:211], v58 offset:13696
	s_wait_dscnt 0x0
	v_mul_f64_e32 v[2:3], v[22:23], v[210:211]
	s_delay_alu instid0(VALU_DEP_1) | instskip(SKIP_1) | instid1(VALU_DEP_2)
	v_fma_f64 v[2:3], v[20:21], v[208:209], -v[2:3]
	v_mul_f64_e32 v[20:21], v[20:21], v[210:211]
	v_add_f64_e64 v[16:17], v[16:17], -v[2:3]
	s_delay_alu instid0(VALU_DEP_2) | instskip(NEXT) | instid1(VALU_DEP_1)
	v_fmac_f64_e32 v[20:21], v[22:23], v[208:209]
	v_add_f64_e64 v[18:19], v[18:19], -v[20:21]
.LBB173_56:                             ;   in Loop: Header=BB173_3 Depth=1
	s_or_b32 exec_lo, exec_lo, s0
	s_barrier_signal -1
	s_barrier_wait -1
	s_and_saveexec_b32 s0, s68
	s_cbranch_execz .LBB173_58
; %bb.57:                               ;   in Loop: Header=BB173_3 Depth=1
	ds_load_b128 v[20:23], v1 offset:13200
	s_wait_dscnt 0x0
	v_mul_f64_e32 v[2:3], v[18:19], v[22:23]
	v_mul_f64_e32 v[22:23], v[16:17], v[22:23]
	s_delay_alu instid0(VALU_DEP_1) | instskip(NEXT) | instid1(VALU_DEP_1)
	v_fmac_f64_e32 v[22:23], v[18:19], v[20:21]
	v_dual_fma_f64 v[2:3], v[16:17], v[20:21], -v[2:3] :: v_dual_mov_b32 v18, v22
	s_delay_alu instid0(VALU_DEP_1) | instskip(NEXT) | instid1(VALU_DEP_3)
	v_xor_b32_e32 v17, 0x80000000, v3
	v_xor_b32_e32 v19, 0x80000000, v23
	s_delay_alu instid0(VALU_DEP_3)
	v_mov_b32_e32 v16, v2
	ds_store_b128 v57, v[16:19]
	v_mov_b64_e32 v[16:17], v[2:3]
	v_mov_b64_e32 v[18:19], v[22:23]
.LBB173_58:                             ;   in Loop: Header=BB173_3 Depth=1
	s_or_b32 exec_lo, exec_lo, s0
	s_wait_dscnt 0x0
	s_barrier_signal -1
	s_barrier_wait -1
	s_and_saveexec_b32 s0, s69
	s_cbranch_execz .LBB173_60
; %bb.59:                               ;   in Loop: Header=BB173_3 Depth=1
	ds_load_b128 v[20:23], v57
	ds_load_b128 v[208:211], v1 offset:13184
	s_wait_dscnt 0x0
	v_mul_f64_e32 v[2:3], v[22:23], v[210:211]
	s_delay_alu instid0(VALU_DEP_1) | instskip(SKIP_1) | instid1(VALU_DEP_2)
	v_fma_f64 v[2:3], v[20:21], v[208:209], -v[2:3]
	v_mul_f64_e32 v[20:21], v[20:21], v[210:211]
	v_add_f64_e64 v[16:17], v[16:17], -v[2:3]
	s_delay_alu instid0(VALU_DEP_2) | instskip(NEXT) | instid1(VALU_DEP_1)
	v_fmac_f64_e32 v[20:21], v[22:23], v[208:209]
	v_add_f64_e64 v[18:19], v[18:19], -v[20:21]
.LBB173_60:                             ;   in Loop: Header=BB173_3 Depth=1
	s_or_b32 exec_lo, exec_lo, s0
	s_barrier_signal -1
	s_barrier_wait -1
	s_and_saveexec_b32 s0, s69
	s_cbranch_execz .LBB173_62
; %bb.61:                               ;   in Loop: Header=BB173_3 Depth=1
	ds_load_b128 v[20:23], v1 offset:12672
	s_wait_dscnt 0x0
	v_mul_f64_e32 v[2:3], v[18:19], v[22:23]
	v_mul_f64_e32 v[22:23], v[16:17], v[22:23]
	s_delay_alu instid0(VALU_DEP_1) | instskip(NEXT) | instid1(VALU_DEP_1)
	v_fmac_f64_e32 v[22:23], v[18:19], v[20:21]
	v_dual_fma_f64 v[2:3], v[16:17], v[20:21], -v[2:3] :: v_dual_mov_b32 v18, v22
	s_delay_alu instid0(VALU_DEP_1) | instskip(NEXT) | instid1(VALU_DEP_3)
	v_xor_b32_e32 v17, 0x80000000, v3
	v_xor_b32_e32 v19, 0x80000000, v23
	s_delay_alu instid0(VALU_DEP_3)
	v_mov_b32_e32 v16, v2
	ds_store_b128 v57, v[16:19]
	v_mov_b64_e32 v[16:17], v[2:3]
	v_mov_b64_e32 v[18:19], v[22:23]
.LBB173_62:                             ;   in Loop: Header=BB173_3 Depth=1
	s_or_b32 exec_lo, exec_lo, s0
	s_wait_dscnt 0x0
	s_barrier_signal -1
	s_barrier_wait -1
	s_barrier_signal -1
	s_barrier_wait -1
	s_and_saveexec_b32 s0, s6
; %bb.63:                               ;   in Loop: Header=BB173_3 Depth=1
	ds_store_b128 v60, v[16:19] offset:16256
; %bb.64:                               ;   in Loop: Header=BB173_3 Depth=1
	s_or_b32 exec_lo, exec_lo, s0
	s_wait_dscnt 0x0
	s_barrier_signal -1
	s_barrier_wait -1
	s_barrier_signal -1
	s_barrier_wait -1
	s_and_saveexec_b32 s0, s70
	s_cbranch_execz .LBB173_66
; %bb.65:                               ;   in Loop: Header=BB173_3 Depth=1
	ds_load_b128 v[16:19], v103
	s_wait_dscnt 0x0
	ds_store_b128 v145, v[16:19]
	ds_load_b128 v[16:19], v106
	s_wait_dscnt 0x0
	ds_store_b128 v148, v[16:19]
	;; [unrolled: 3-line block ×4, first 2 shown]
.LBB173_66:                             ;   in Loop: Header=BB173_3 Depth=1
	s_or_b32 exec_lo, exec_lo, s0
	s_wait_dscnt 0x0
	s_barrier_signal -1
	s_barrier_wait -1
	s_and_saveexec_b32 s0, s31
	s_cbranch_execz .LBB173_68
; %bb.67:                               ;   in Loop: Header=BB173_3 Depth=1
	ds_load_b128 v[16:19], v1 offset:14256
	ds_load_b128 v[20:23], v1 offset:13728
	s_wait_dscnt 0x0
	v_mul_f64_e32 v[2:3], v[18:19], v[22:23]
	v_mul_f64_e32 v[46:47], v[16:17], v[22:23]
	s_delay_alu instid0(VALU_DEP_2) | instskip(NEXT) | instid1(VALU_DEP_2)
	v_fma_f64 v[2:3], v[16:17], v[20:21], -v[2:3]
	v_fmac_f64_e32 v[46:47], v[18:19], v[20:21]
	ds_load_b128 v[16:19], v1 offset:14240
	s_wait_dscnt 0x0
	v_mul_f64_e32 v[22:23], v[2:3], v[18:19]
	v_mul_f64_e32 v[20:21], v[46:47], v[18:19]
	s_delay_alu instid0(VALU_DEP_2) | instskip(NEXT) | instid1(VALU_DEP_2)
	v_fmac_f64_e32 v[22:23], v[16:17], v[46:47]
	v_fma_f64 v[20:21], v[16:17], v[2:3], -v[20:21]
	ds_store_b128 v1, v[20:23] offset:14240
	ds_store_b128 v1, v[20:23] offset:13744
.LBB173_68:                             ;   in Loop: Header=BB173_3 Depth=1
	s_or_b32 exec_lo, exec_lo, s0
	v_mov_b64_e32 v[16:17], 0
	v_mov_b64_e32 v[18:19], 0
	s_wait_dscnt 0x0
	s_barrier_signal -1
	s_barrier_wait -1
	global_wb scope:SCOPE_DEV
	s_wait_storecnt 0x0
	global_inv scope:SCOPE_DEV
	s_and_saveexec_b32 s0, s3
	s_cbranch_execz .LBB173_72
; %bb.69:                               ;   in Loop: Header=BB173_3 Depth=1
	ds_load_b128 v[16:19], v51 offset:14240
	ds_load_b128 v[20:23], v50 offset:13696
	s_wait_dscnt 0x0
	v_mul_f64_e32 v[2:3], v[18:19], v[22:23]
	v_mul_f64_e32 v[22:23], v[16:17], v[22:23]
	s_delay_alu instid0(VALU_DEP_2) | instskip(NEXT) | instid1(VALU_DEP_2)
	v_fma_f64 v[2:3], v[16:17], v[20:21], -v[2:3]
	v_fmac_f64_e32 v[22:23], v[18:19], v[20:21]
	s_delay_alu instid0(VALU_DEP_2) | instskip(NEXT) | instid1(VALU_DEP_2)
	v_add_f64_e32 v[16:17], 0, v[2:3]
	v_add_f64_e32 v[18:19], 0, v[22:23]
	s_and_saveexec_b32 s1, s4
	s_cbranch_execz .LBB173_71
; %bb.70:                               ;   in Loop: Header=BB173_3 Depth=1
	ds_load_b128 v[20:23], v1 offset:14256
	ds_load_b128 v[208:211], v107 offset:14208
	s_wait_dscnt 0x0
	v_mul_f64_e32 v[2:3], v[22:23], v[210:211]
	s_delay_alu instid0(VALU_DEP_1) | instskip(SKIP_1) | instid1(VALU_DEP_2)
	v_fma_f64 v[2:3], v[20:21], v[208:209], -v[2:3]
	v_mul_f64_e32 v[20:21], v[20:21], v[210:211]
	v_add_f64_e32 v[16:17], v[16:17], v[2:3]
	s_delay_alu instid0(VALU_DEP_2) | instskip(NEXT) | instid1(VALU_DEP_1)
	v_fmac_f64_e32 v[20:21], v[22:23], v[208:209]
	v_add_f64_e32 v[18:19], v[18:19], v[20:21]
.LBB173_71:                             ;   in Loop: Header=BB173_3 Depth=1
	s_or_b32 exec_lo, exec_lo, s1
.LBB173_72:                             ;   in Loop: Header=BB173_3 Depth=1
	s_delay_alu instid0(SALU_CYCLE_1)
	s_or_b32 exec_lo, exec_lo, s0
	s_and_saveexec_b32 s0, s61
	s_cbranch_execz .LBB173_74
; %bb.73:                               ;   in Loop: Header=BB173_3 Depth=1
	ds_load_b128 v[20:23], v1 offset:13200
	s_wait_dscnt 0x0
	v_mul_f64_e32 v[2:3], v[18:19], v[22:23]
	v_mul_f64_e32 v[22:23], v[16:17], v[22:23]
	s_delay_alu instid0(VALU_DEP_1) | instskip(NEXT) | instid1(VALU_DEP_1)
	v_fmac_f64_e32 v[22:23], v[18:19], v[20:21]
	v_dual_fma_f64 v[2:3], v[16:17], v[20:21], -v[2:3] :: v_dual_mov_b32 v18, v22
	s_delay_alu instid0(VALU_DEP_1) | instskip(NEXT) | instid1(VALU_DEP_3)
	v_xor_b32_e32 v17, 0x80000000, v3
	v_xor_b32_e32 v19, 0x80000000, v23
	s_delay_alu instid0(VALU_DEP_3)
	v_mov_b32_e32 v16, v2
	ds_store_b128 v25, v[16:19]
	v_mov_b64_e32 v[16:17], v[2:3]
	v_mov_b64_e32 v[18:19], v[22:23]
.LBB173_74:                             ;   in Loop: Header=BB173_3 Depth=1
	s_or_b32 exec_lo, exec_lo, s0
	s_wait_loadcnt_dscnt 0x0
	s_barrier_signal -1
	s_barrier_wait -1
	s_and_saveexec_b32 s0, s62
	s_cbranch_execz .LBB173_76
; %bb.75:                               ;   in Loop: Header=BB173_3 Depth=1
	ds_load_b128 v[20:23], v25
	ds_load_b128 v[208:211], v1 offset:13184
	s_wait_dscnt 0x0
	v_mul_f64_e32 v[2:3], v[22:23], v[210:211]
	s_delay_alu instid0(VALU_DEP_1) | instskip(SKIP_1) | instid1(VALU_DEP_2)
	v_fma_f64 v[2:3], v[20:21], v[208:209], -v[2:3]
	v_mul_f64_e32 v[20:21], v[20:21], v[210:211]
	v_add_f64_e64 v[16:17], v[16:17], -v[2:3]
	s_delay_alu instid0(VALU_DEP_2) | instskip(NEXT) | instid1(VALU_DEP_1)
	v_fmac_f64_e32 v[20:21], v[22:23], v[208:209]
	v_add_f64_e64 v[18:19], v[18:19], -v[20:21]
.LBB173_76:                             ;   in Loop: Header=BB173_3 Depth=1
	s_or_b32 exec_lo, exec_lo, s0
	s_barrier_signal -1
	s_barrier_wait -1
	s_and_saveexec_b32 s0, s62
	s_cbranch_execz .LBB173_78
; %bb.77:                               ;   in Loop: Header=BB173_3 Depth=1
	ds_load_b128 v[20:23], v1 offset:12672
	s_wait_dscnt 0x0
	v_mul_f64_e32 v[2:3], v[18:19], v[22:23]
	v_mul_f64_e32 v[22:23], v[16:17], v[22:23]
	s_delay_alu instid0(VALU_DEP_1) | instskip(NEXT) | instid1(VALU_DEP_1)
	v_fmac_f64_e32 v[22:23], v[18:19], v[20:21]
	v_dual_fma_f64 v[2:3], v[16:17], v[20:21], -v[2:3] :: v_dual_mov_b32 v18, v22
	s_delay_alu instid0(VALU_DEP_1) | instskip(NEXT) | instid1(VALU_DEP_3)
	v_xor_b32_e32 v17, 0x80000000, v3
	v_xor_b32_e32 v19, 0x80000000, v23
	s_delay_alu instid0(VALU_DEP_3)
	v_mov_b32_e32 v16, v2
	ds_store_b128 v25, v[16:19]
	v_mov_b64_e32 v[16:17], v[2:3]
	v_mov_b64_e32 v[18:19], v[22:23]
.LBB173_78:                             ;   in Loop: Header=BB173_3 Depth=1
	s_or_b32 exec_lo, exec_lo, s0
	s_wait_dscnt 0x0
	s_barrier_signal -1
	s_barrier_wait -1
	s_barrier_signal -1
	s_barrier_wait -1
	s_and_saveexec_b32 s0, s3
; %bb.79:                               ;   in Loop: Header=BB173_3 Depth=1
	ds_store_b128 v53, v[16:19] offset:14208
; %bb.80:                               ;   in Loop: Header=BB173_3 Depth=1
	s_or_b32 exec_lo, exec_lo, s0
	s_wait_dscnt 0x0
	s_barrier_signal -1
	s_barrier_wait -1
	s_barrier_signal -1
	s_barrier_wait -1
	s_and_saveexec_b32 s0, s63
	s_cbranch_execz .LBB173_82
; %bb.81:                               ;   in Loop: Header=BB173_3 Depth=1
	ds_load_b128 v[16:19], v116
	s_wait_dscnt 0x0
	ds_store_b128 v149, v[16:19]
	ds_load_b128 v[16:19], v117
	s_wait_dscnt 0x0
	ds_store_b128 v150, v[16:19]
.LBB173_82:                             ;   in Loop: Header=BB173_3 Depth=1
	s_or_b32 exec_lo, exec_lo, s0
	s_wait_dscnt 0x0
	s_barrier_signal -1
	s_barrier_wait -1
	s_and_saveexec_b32 s0, s31
	s_cbranch_execz .LBB173_84
; %bb.83:                               ;   in Loop: Header=BB173_3 Depth=1
	ds_load_b128 v[16:19], v1 offset:13200
	ds_load_b128 v[20:23], v1 offset:12672
	s_wait_dscnt 0x0
	v_mul_f64_e32 v[2:3], v[18:19], v[22:23]
	v_mul_f64_e32 v[46:47], v[16:17], v[22:23]
	s_delay_alu instid0(VALU_DEP_2) | instskip(NEXT) | instid1(VALU_DEP_2)
	v_fma_f64 v[2:3], v[16:17], v[20:21], -v[2:3]
	v_fmac_f64_e32 v[46:47], v[18:19], v[20:21]
	ds_load_b128 v[16:19], v1 offset:13184
	s_wait_dscnt 0x0
	v_mul_f64_e32 v[22:23], v[2:3], v[18:19]
	v_mul_f64_e32 v[20:21], v[46:47], v[18:19]
	s_delay_alu instid0(VALU_DEP_2) | instskip(NEXT) | instid1(VALU_DEP_2)
	v_fmac_f64_e32 v[22:23], v[16:17], v[46:47]
	v_fma_f64 v[20:21], v[16:17], v[2:3], -v[20:21]
	ds_store_b128 v1, v[20:23] offset:13184
	ds_store_b128 v1, v[20:23] offset:12688
.LBB173_84:                             ;   in Loop: Header=BB173_3 Depth=1
	s_or_b32 exec_lo, exec_lo, s0
	v_mov_b64_e32 v[18:19], 0
	v_mov_b64_e32 v[16:17], 0
	s_wait_dscnt 0x0
	s_barrier_signal -1
	s_barrier_wait -1
	global_wb scope:SCOPE_DEV
	s_wait_storecnt 0x0
	global_inv scope:SCOPE_DEV
	s_and_saveexec_b32 s0, s8
	s_cbranch_execz .LBB173_94
; %bb.85:                               ;   in Loop: Header=BB173_3 Depth=1
	ds_load_b128 v[16:19], v63 offset:16256
	ds_load_b128 v[20:23], v62 offset:12544
	s_wait_dscnt 0x0
	v_mul_f64_e32 v[2:3], v[18:19], v[22:23]
	v_mul_f64_e32 v[22:23], v[16:17], v[22:23]
	s_delay_alu instid0(VALU_DEP_2) | instskip(NEXT) | instid1(VALU_DEP_2)
	v_fma_f64 v[2:3], v[16:17], v[20:21], -v[2:3]
	v_fmac_f64_e32 v[22:23], v[18:19], v[20:21]
	s_delay_alu instid0(VALU_DEP_2) | instskip(NEXT) | instid1(VALU_DEP_2)
	v_add_f64_e32 v[16:17], 0, v[2:3]
	v_add_f64_e32 v[18:19], 0, v[22:23]
	s_and_saveexec_b32 s1, s15
	s_cbranch_execnz .LBB173_552
; %bb.86:                               ;   in Loop: Header=BB173_3 Depth=1
	s_or_b32 exec_lo, exec_lo, s1
	s_and_saveexec_b32 s1, s16
	s_cbranch_execnz .LBB173_553
.LBB173_87:                             ;   in Loop: Header=BB173_3 Depth=1
	s_or_b32 exec_lo, exec_lo, s1
	s_and_saveexec_b32 s1, s17
	s_cbranch_execnz .LBB173_554
.LBB173_88:                             ;   in Loop: Header=BB173_3 Depth=1
	s_or_b32 exec_lo, exec_lo, s1
	s_and_saveexec_b32 s1, s18
	s_cbranch_execnz .LBB173_555
.LBB173_89:                             ;   in Loop: Header=BB173_3 Depth=1
	s_or_b32 exec_lo, exec_lo, s1
	s_and_saveexec_b32 s1, s19
	s_cbranch_execnz .LBB173_556
.LBB173_90:                             ;   in Loop: Header=BB173_3 Depth=1
	s_or_b32 exec_lo, exec_lo, s1
	s_and_saveexec_b32 s1, s6
	s_cbranch_execnz .LBB173_557
.LBB173_91:                             ;   in Loop: Header=BB173_3 Depth=1
	s_or_b32 exec_lo, exec_lo, s1
	s_and_saveexec_b32 s1, s14
	s_cbranch_execz .LBB173_93
.LBB173_92:                             ;   in Loop: Header=BB173_3 Depth=1
	ds_load_b128 v[20:23], v1 offset:16368
	ds_load_b128 v[208:211], v52 offset:16128
	s_wait_dscnt 0x0
	v_mul_f64_e32 v[2:3], v[22:23], v[210:211]
	s_delay_alu instid0(VALU_DEP_1) | instskip(SKIP_1) | instid1(VALU_DEP_2)
	v_fma_f64 v[2:3], v[20:21], v[208:209], -v[2:3]
	v_mul_f64_e32 v[20:21], v[20:21], v[210:211]
	v_add_f64_e32 v[16:17], v[16:17], v[2:3]
	s_delay_alu instid0(VALU_DEP_2) | instskip(NEXT) | instid1(VALU_DEP_1)
	v_fmac_f64_e32 v[20:21], v[22:23], v[208:209]
	v_add_f64_e32 v[18:19], v[18:19], v[20:21]
.LBB173_93:                             ;   in Loop: Header=BB173_3 Depth=1
	s_or_b32 exec_lo, exec_lo, s1
.LBB173_94:                             ;   in Loop: Header=BB173_3 Depth=1
	s_delay_alu instid0(SALU_CYCLE_1)
	s_or_b32 exec_lo, exec_lo, s0
	s_and_saveexec_b32 s0, s71
	s_cbranch_execz .LBB173_96
; %bb.95:                               ;   in Loop: Header=BB173_3 Depth=1
	ds_load_b128 v[20:23], v1 offset:12144
	s_wait_dscnt 0x0
	v_mul_f64_e32 v[2:3], v[18:19], v[22:23]
	v_mul_f64_e32 v[22:23], v[16:17], v[22:23]
	s_delay_alu instid0(VALU_DEP_1) | instskip(NEXT) | instid1(VALU_DEP_1)
	v_fmac_f64_e32 v[22:23], v[18:19], v[20:21]
	v_dual_fma_f64 v[2:3], v[16:17], v[20:21], -v[2:3] :: v_dual_mov_b32 v18, v22
	s_delay_alu instid0(VALU_DEP_1) | instskip(NEXT) | instid1(VALU_DEP_3)
	v_xor_b32_e32 v17, 0x80000000, v3
	v_xor_b32_e32 v19, 0x80000000, v23
	s_delay_alu instid0(VALU_DEP_3)
	v_mov_b32_e32 v16, v2
	ds_store_b128 v61, v[16:19]
	v_mov_b64_e32 v[16:17], v[2:3]
	v_mov_b64_e32 v[18:19], v[22:23]
.LBB173_96:                             ;   in Loop: Header=BB173_3 Depth=1
	s_or_b32 exec_lo, exec_lo, s0
	s_wait_loadcnt_dscnt 0x0
	s_barrier_signal -1
	s_barrier_wait -1
	s_and_saveexec_b32 s0, s72
	s_cbranch_execz .LBB173_98
; %bb.97:                               ;   in Loop: Header=BB173_3 Depth=1
	ds_load_b128 v[20:23], v61
	ds_load_b128 v[208:211], v62 offset:12032
	s_wait_dscnt 0x0
	v_mul_f64_e32 v[2:3], v[22:23], v[210:211]
	s_delay_alu instid0(VALU_DEP_1) | instskip(SKIP_1) | instid1(VALU_DEP_2)
	v_fma_f64 v[2:3], v[20:21], v[208:209], -v[2:3]
	v_mul_f64_e32 v[20:21], v[20:21], v[210:211]
	v_add_f64_e64 v[16:17], v[16:17], -v[2:3]
	s_delay_alu instid0(VALU_DEP_2) | instskip(NEXT) | instid1(VALU_DEP_1)
	v_fmac_f64_e32 v[20:21], v[22:23], v[208:209]
	v_add_f64_e64 v[18:19], v[18:19], -v[20:21]
.LBB173_98:                             ;   in Loop: Header=BB173_3 Depth=1
	s_or_b32 exec_lo, exec_lo, s0
	s_barrier_signal -1
	s_barrier_wait -1
	s_and_saveexec_b32 s0, s73
	s_cbranch_execz .LBB173_100
; %bb.99:                               ;   in Loop: Header=BB173_3 Depth=1
	ds_load_b128 v[20:23], v1 offset:11616
	s_wait_dscnt 0x0
	v_mul_f64_e32 v[2:3], v[18:19], v[22:23]
	v_mul_f64_e32 v[22:23], v[16:17], v[22:23]
	s_delay_alu instid0(VALU_DEP_1) | instskip(NEXT) | instid1(VALU_DEP_1)
	v_fmac_f64_e32 v[22:23], v[18:19], v[20:21]
	v_dual_fma_f64 v[2:3], v[16:17], v[20:21], -v[2:3] :: v_dual_mov_b32 v18, v22
	s_delay_alu instid0(VALU_DEP_1) | instskip(NEXT) | instid1(VALU_DEP_3)
	v_xor_b32_e32 v17, 0x80000000, v3
	v_xor_b32_e32 v19, 0x80000000, v23
	s_delay_alu instid0(VALU_DEP_3)
	v_mov_b32_e32 v16, v2
	ds_store_b128 v61, v[16:19]
	v_mov_b64_e32 v[16:17], v[2:3]
	v_mov_b64_e32 v[18:19], v[22:23]
.LBB173_100:                            ;   in Loop: Header=BB173_3 Depth=1
	s_or_b32 exec_lo, exec_lo, s0
	s_wait_dscnt 0x0
	s_barrier_signal -1
	s_barrier_wait -1
	s_and_saveexec_b32 s0, s74
	s_cbranch_execz .LBB173_102
; %bb.101:                              ;   in Loop: Header=BB173_3 Depth=1
	ds_load_b128 v[20:23], v61
	ds_load_b128 v[208:211], v62 offset:11520
	s_wait_dscnt 0x0
	v_mul_f64_e32 v[2:3], v[22:23], v[210:211]
	s_delay_alu instid0(VALU_DEP_1) | instskip(SKIP_1) | instid1(VALU_DEP_2)
	v_fma_f64 v[2:3], v[20:21], v[208:209], -v[2:3]
	v_mul_f64_e32 v[20:21], v[20:21], v[210:211]
	v_add_f64_e64 v[16:17], v[16:17], -v[2:3]
	s_delay_alu instid0(VALU_DEP_2) | instskip(NEXT) | instid1(VALU_DEP_1)
	v_fmac_f64_e32 v[20:21], v[22:23], v[208:209]
	v_add_f64_e64 v[18:19], v[18:19], -v[20:21]
.LBB173_102:                            ;   in Loop: Header=BB173_3 Depth=1
	s_or_b32 exec_lo, exec_lo, s0
	s_barrier_signal -1
	s_barrier_wait -1
	s_and_saveexec_b32 s0, s75
	s_cbranch_execz .LBB173_104
; %bb.103:                              ;   in Loop: Header=BB173_3 Depth=1
	ds_load_b128 v[20:23], v1 offset:11088
	s_wait_dscnt 0x0
	v_mul_f64_e32 v[2:3], v[18:19], v[22:23]
	v_mul_f64_e32 v[22:23], v[16:17], v[22:23]
	s_delay_alu instid0(VALU_DEP_1) | instskip(NEXT) | instid1(VALU_DEP_1)
	v_fmac_f64_e32 v[22:23], v[18:19], v[20:21]
	v_dual_fma_f64 v[2:3], v[16:17], v[20:21], -v[2:3] :: v_dual_mov_b32 v18, v22
	s_delay_alu instid0(VALU_DEP_1) | instskip(NEXT) | instid1(VALU_DEP_3)
	v_xor_b32_e32 v17, 0x80000000, v3
	v_xor_b32_e32 v19, 0x80000000, v23
	s_delay_alu instid0(VALU_DEP_3)
	v_mov_b32_e32 v16, v2
	ds_store_b128 v61, v[16:19]
	v_mov_b64_e32 v[16:17], v[2:3]
	v_mov_b64_e32 v[18:19], v[22:23]
.LBB173_104:                            ;   in Loop: Header=BB173_3 Depth=1
	s_or_b32 exec_lo, exec_lo, s0
	s_wait_dscnt 0x0
	s_barrier_signal -1
	s_barrier_wait -1
	s_and_saveexec_b32 s0, s76
	s_cbranch_execz .LBB173_106
; %bb.105:                              ;   in Loop: Header=BB173_3 Depth=1
	ds_load_b128 v[20:23], v61
	ds_load_b128 v[208:211], v62 offset:11008
	s_wait_dscnt 0x0
	v_mul_f64_e32 v[2:3], v[22:23], v[210:211]
	s_delay_alu instid0(VALU_DEP_1) | instskip(SKIP_1) | instid1(VALU_DEP_2)
	v_fma_f64 v[2:3], v[20:21], v[208:209], -v[2:3]
	v_mul_f64_e32 v[20:21], v[20:21], v[210:211]
	v_add_f64_e64 v[16:17], v[16:17], -v[2:3]
	s_delay_alu instid0(VALU_DEP_2) | instskip(NEXT) | instid1(VALU_DEP_1)
	v_fmac_f64_e32 v[20:21], v[22:23], v[208:209]
	v_add_f64_e64 v[18:19], v[18:19], -v[20:21]
.LBB173_106:                            ;   in Loop: Header=BB173_3 Depth=1
	s_or_b32 exec_lo, exec_lo, s0
	s_barrier_signal -1
	s_barrier_wait -1
	s_and_saveexec_b32 s0, s77
	s_cbranch_execz .LBB173_108
; %bb.107:                              ;   in Loop: Header=BB173_3 Depth=1
	ds_load_b128 v[20:23], v1 offset:10560
	s_wait_dscnt 0x0
	v_mul_f64_e32 v[2:3], v[18:19], v[22:23]
	v_mul_f64_e32 v[22:23], v[16:17], v[22:23]
	s_delay_alu instid0(VALU_DEP_1) | instskip(NEXT) | instid1(VALU_DEP_1)
	v_fmac_f64_e32 v[22:23], v[18:19], v[20:21]
	v_dual_fma_f64 v[2:3], v[16:17], v[20:21], -v[2:3] :: v_dual_mov_b32 v18, v22
	s_delay_alu instid0(VALU_DEP_1) | instskip(NEXT) | instid1(VALU_DEP_3)
	v_xor_b32_e32 v17, 0x80000000, v3
	v_xor_b32_e32 v19, 0x80000000, v23
	s_delay_alu instid0(VALU_DEP_3)
	v_mov_b32_e32 v16, v2
	ds_store_b128 v61, v[16:19]
	v_mov_b64_e32 v[16:17], v[2:3]
	v_mov_b64_e32 v[18:19], v[22:23]
.LBB173_108:                            ;   in Loop: Header=BB173_3 Depth=1
	s_or_b32 exec_lo, exec_lo, s0
	s_wait_dscnt 0x0
	s_barrier_signal -1
	s_barrier_wait -1
	s_and_saveexec_b32 s0, s78
	s_cbranch_execz .LBB173_110
; %bb.109:                              ;   in Loop: Header=BB173_3 Depth=1
	ds_load_b128 v[20:23], v61
	ds_load_b128 v[208:211], v62 offset:10496
	s_wait_dscnt 0x0
	v_mul_f64_e32 v[2:3], v[22:23], v[210:211]
	s_delay_alu instid0(VALU_DEP_1) | instskip(SKIP_1) | instid1(VALU_DEP_2)
	v_fma_f64 v[2:3], v[20:21], v[208:209], -v[2:3]
	v_mul_f64_e32 v[20:21], v[20:21], v[210:211]
	v_add_f64_e64 v[16:17], v[16:17], -v[2:3]
	s_delay_alu instid0(VALU_DEP_2) | instskip(NEXT) | instid1(VALU_DEP_1)
	v_fmac_f64_e32 v[20:21], v[22:23], v[208:209]
	v_add_f64_e64 v[18:19], v[18:19], -v[20:21]
.LBB173_110:                            ;   in Loop: Header=BB173_3 Depth=1
	s_or_b32 exec_lo, exec_lo, s0
	s_barrier_signal -1
	s_barrier_wait -1
	s_and_saveexec_b32 s0, s79
	s_cbranch_execz .LBB173_112
; %bb.111:                              ;   in Loop: Header=BB173_3 Depth=1
	ds_load_b128 v[20:23], v1 offset:10032
	s_wait_dscnt 0x0
	v_mul_f64_e32 v[2:3], v[18:19], v[22:23]
	v_mul_f64_e32 v[22:23], v[16:17], v[22:23]
	s_delay_alu instid0(VALU_DEP_1) | instskip(NEXT) | instid1(VALU_DEP_1)
	v_fmac_f64_e32 v[22:23], v[18:19], v[20:21]
	v_dual_fma_f64 v[2:3], v[16:17], v[20:21], -v[2:3] :: v_dual_mov_b32 v18, v22
	s_delay_alu instid0(VALU_DEP_1) | instskip(NEXT) | instid1(VALU_DEP_3)
	v_xor_b32_e32 v17, 0x80000000, v3
	v_xor_b32_e32 v19, 0x80000000, v23
	s_delay_alu instid0(VALU_DEP_3)
	v_mov_b32_e32 v16, v2
	ds_store_b128 v61, v[16:19]
	v_mov_b64_e32 v[16:17], v[2:3]
	v_mov_b64_e32 v[18:19], v[22:23]
.LBB173_112:                            ;   in Loop: Header=BB173_3 Depth=1
	s_or_b32 exec_lo, exec_lo, s0
	s_wait_dscnt 0x0
	s_barrier_signal -1
	s_barrier_wait -1
	s_and_saveexec_b32 s0, s80
	s_cbranch_execz .LBB173_114
; %bb.113:                              ;   in Loop: Header=BB173_3 Depth=1
	ds_load_b128 v[20:23], v61
	ds_load_b128 v[208:211], v62 offset:9984
	s_wait_dscnt 0x0
	v_mul_f64_e32 v[2:3], v[22:23], v[210:211]
	s_delay_alu instid0(VALU_DEP_1) | instskip(SKIP_1) | instid1(VALU_DEP_2)
	v_fma_f64 v[2:3], v[20:21], v[208:209], -v[2:3]
	v_mul_f64_e32 v[20:21], v[20:21], v[210:211]
	v_add_f64_e64 v[16:17], v[16:17], -v[2:3]
	s_delay_alu instid0(VALU_DEP_2) | instskip(NEXT) | instid1(VALU_DEP_1)
	v_fmac_f64_e32 v[20:21], v[22:23], v[208:209]
	v_add_f64_e64 v[18:19], v[18:19], -v[20:21]
.LBB173_114:                            ;   in Loop: Header=BB173_3 Depth=1
	s_or_b32 exec_lo, exec_lo, s0
	s_barrier_signal -1
	s_barrier_wait -1
	s_and_saveexec_b32 s0, s81
	s_cbranch_execz .LBB173_116
; %bb.115:                              ;   in Loop: Header=BB173_3 Depth=1
	ds_load_b128 v[20:23], v1 offset:9504
	s_wait_dscnt 0x0
	v_mul_f64_e32 v[2:3], v[18:19], v[22:23]
	v_mul_f64_e32 v[22:23], v[16:17], v[22:23]
	s_delay_alu instid0(VALU_DEP_1) | instskip(NEXT) | instid1(VALU_DEP_1)
	v_fmac_f64_e32 v[22:23], v[18:19], v[20:21]
	v_dual_fma_f64 v[2:3], v[16:17], v[20:21], -v[2:3] :: v_dual_mov_b32 v18, v22
	s_delay_alu instid0(VALU_DEP_1) | instskip(NEXT) | instid1(VALU_DEP_3)
	v_xor_b32_e32 v17, 0x80000000, v3
	v_xor_b32_e32 v19, 0x80000000, v23
	s_delay_alu instid0(VALU_DEP_3)
	v_mov_b32_e32 v16, v2
	ds_store_b128 v61, v[16:19]
	v_mov_b64_e32 v[16:17], v[2:3]
	v_mov_b64_e32 v[18:19], v[22:23]
.LBB173_116:                            ;   in Loop: Header=BB173_3 Depth=1
	s_or_b32 exec_lo, exec_lo, s0
	s_wait_dscnt 0x0
	s_barrier_signal -1
	s_barrier_wait -1
	s_and_saveexec_b32 s0, s82
	s_cbranch_execz .LBB173_118
; %bb.117:                              ;   in Loop: Header=BB173_3 Depth=1
	ds_load_b128 v[20:23], v61
	ds_load_b128 v[208:211], v62 offset:9472
	s_wait_dscnt 0x0
	v_mul_f64_e32 v[2:3], v[22:23], v[210:211]
	s_delay_alu instid0(VALU_DEP_1) | instskip(SKIP_1) | instid1(VALU_DEP_2)
	v_fma_f64 v[2:3], v[20:21], v[208:209], -v[2:3]
	v_mul_f64_e32 v[20:21], v[20:21], v[210:211]
	v_add_f64_e64 v[16:17], v[16:17], -v[2:3]
	s_delay_alu instid0(VALU_DEP_2) | instskip(NEXT) | instid1(VALU_DEP_1)
	v_fmac_f64_e32 v[20:21], v[22:23], v[208:209]
	v_add_f64_e64 v[18:19], v[18:19], -v[20:21]
.LBB173_118:                            ;   in Loop: Header=BB173_3 Depth=1
	s_or_b32 exec_lo, exec_lo, s0
	s_barrier_signal -1
	s_barrier_wait -1
	s_and_saveexec_b32 s0, s83
	s_cbranch_execz .LBB173_120
; %bb.119:                              ;   in Loop: Header=BB173_3 Depth=1
	ds_load_b128 v[20:23], v1 offset:8976
	s_wait_dscnt 0x0
	v_mul_f64_e32 v[2:3], v[18:19], v[22:23]
	v_mul_f64_e32 v[22:23], v[16:17], v[22:23]
	s_delay_alu instid0(VALU_DEP_1) | instskip(NEXT) | instid1(VALU_DEP_1)
	v_fmac_f64_e32 v[22:23], v[18:19], v[20:21]
	v_dual_fma_f64 v[2:3], v[16:17], v[20:21], -v[2:3] :: v_dual_mov_b32 v18, v22
	s_delay_alu instid0(VALU_DEP_1) | instskip(NEXT) | instid1(VALU_DEP_3)
	v_xor_b32_e32 v17, 0x80000000, v3
	v_xor_b32_e32 v19, 0x80000000, v23
	s_delay_alu instid0(VALU_DEP_3)
	v_mov_b32_e32 v16, v2
	ds_store_b128 v61, v[16:19]
	v_mov_b64_e32 v[16:17], v[2:3]
	v_mov_b64_e32 v[18:19], v[22:23]
.LBB173_120:                            ;   in Loop: Header=BB173_3 Depth=1
	s_or_b32 exec_lo, exec_lo, s0
	s_wait_dscnt 0x0
	s_barrier_signal -1
	s_barrier_wait -1
	s_and_saveexec_b32 s0, s84
	s_cbranch_execz .LBB173_122
; %bb.121:                              ;   in Loop: Header=BB173_3 Depth=1
	ds_load_b128 v[20:23], v61
	ds_load_b128 v[208:211], v1 offset:8960
	s_wait_dscnt 0x0
	v_mul_f64_e32 v[2:3], v[22:23], v[210:211]
	s_delay_alu instid0(VALU_DEP_1) | instskip(SKIP_1) | instid1(VALU_DEP_2)
	v_fma_f64 v[2:3], v[20:21], v[208:209], -v[2:3]
	v_mul_f64_e32 v[20:21], v[20:21], v[210:211]
	v_add_f64_e64 v[16:17], v[16:17], -v[2:3]
	s_delay_alu instid0(VALU_DEP_2) | instskip(NEXT) | instid1(VALU_DEP_1)
	v_fmac_f64_e32 v[20:21], v[22:23], v[208:209]
	v_add_f64_e64 v[18:19], v[18:19], -v[20:21]
.LBB173_122:                            ;   in Loop: Header=BB173_3 Depth=1
	s_or_b32 exec_lo, exec_lo, s0
	s_barrier_signal -1
	s_barrier_wait -1
	s_and_saveexec_b32 s0, s84
	s_cbranch_execz .LBB173_124
; %bb.123:                              ;   in Loop: Header=BB173_3 Depth=1
	ds_load_b128 v[20:23], v1 offset:8448
	s_wait_dscnt 0x0
	v_mul_f64_e32 v[2:3], v[18:19], v[22:23]
	v_mul_f64_e32 v[22:23], v[16:17], v[22:23]
	s_delay_alu instid0(VALU_DEP_1) | instskip(NEXT) | instid1(VALU_DEP_1)
	v_fmac_f64_e32 v[22:23], v[18:19], v[20:21]
	v_dual_fma_f64 v[2:3], v[16:17], v[20:21], -v[2:3] :: v_dual_mov_b32 v18, v22
	s_delay_alu instid0(VALU_DEP_1) | instskip(NEXT) | instid1(VALU_DEP_3)
	v_xor_b32_e32 v17, 0x80000000, v3
	v_xor_b32_e32 v19, 0x80000000, v23
	s_delay_alu instid0(VALU_DEP_3)
	v_mov_b32_e32 v16, v2
	ds_store_b128 v61, v[16:19]
	v_mov_b64_e32 v[16:17], v[2:3]
	v_mov_b64_e32 v[18:19], v[22:23]
.LBB173_124:                            ;   in Loop: Header=BB173_3 Depth=1
	s_or_b32 exec_lo, exec_lo, s0
	s_wait_dscnt 0x0
	s_barrier_signal -1
	s_barrier_wait -1
	s_barrier_signal -1
	s_barrier_wait -1
	s_and_saveexec_b32 s0, s8
; %bb.125:                              ;   in Loop: Header=BB173_3 Depth=1
	ds_store_b128 v64, v[16:19] offset:16128
; %bb.126:                              ;   in Loop: Header=BB173_3 Depth=1
	s_or_b32 exec_lo, exec_lo, s0
	s_wait_dscnt 0x0
	s_barrier_signal -1
	s_barrier_wait -1
	s_barrier_signal -1
	s_barrier_wait -1
	s_and_saveexec_b32 s0, s85
	s_cbranch_execz .LBB173_128
; %bb.127:                              ;   in Loop: Header=BB173_3 Depth=1
	ds_load_b128 v[16:19], v65
	s_wait_dscnt 0x0
	ds_store_b128 v151, v[16:19]
	ds_load_b128 v[16:19], v66
	s_wait_dscnt 0x0
	ds_store_b128 v152, v[16:19]
	;; [unrolled: 3-line block ×8, first 2 shown]
.LBB173_128:                            ;   in Loop: Header=BB173_3 Depth=1
	s_or_b32 exec_lo, exec_lo, s0
	s_wait_dscnt 0x0
	s_barrier_signal -1
	s_barrier_wait -1
	s_and_saveexec_b32 s0, s31
	s_cbranch_execz .LBB173_130
; %bb.129:                              ;   in Loop: Header=BB173_3 Depth=1
	ds_load_b128 v[16:19], v1 offset:12144
	ds_load_b128 v[20:23], v1 offset:11616
	s_wait_dscnt 0x0
	v_mul_f64_e32 v[2:3], v[18:19], v[22:23]
	v_mul_f64_e32 v[46:47], v[16:17], v[22:23]
	s_delay_alu instid0(VALU_DEP_2) | instskip(NEXT) | instid1(VALU_DEP_2)
	v_fma_f64 v[2:3], v[16:17], v[20:21], -v[2:3]
	v_fmac_f64_e32 v[46:47], v[18:19], v[20:21]
	ds_load_b128 v[16:19], v1 offset:12128
	s_wait_dscnt 0x0
	v_mul_f64_e32 v[22:23], v[2:3], v[18:19]
	v_mul_f64_e32 v[20:21], v[46:47], v[18:19]
	s_delay_alu instid0(VALU_DEP_2) | instskip(NEXT) | instid1(VALU_DEP_2)
	v_fmac_f64_e32 v[22:23], v[16:17], v[46:47]
	v_fma_f64 v[20:21], v[16:17], v[2:3], -v[20:21]
	ds_store_b128 v1, v[20:23] offset:12128
	ds_store_b128 v1, v[20:23] offset:11632
.LBB173_130:                            ;   in Loop: Header=BB173_3 Depth=1
	s_or_b32 exec_lo, exec_lo, s0
	v_mov_b64_e32 v[16:17], 0
	v_mov_b64_e32 v[18:19], 0
	s_wait_dscnt 0x0
	s_barrier_signal -1
	s_barrier_wait -1
	global_wb scope:SCOPE_DEV
	s_wait_storecnt 0x0
	global_inv scope:SCOPE_DEV
	s_and_saveexec_b32 s0, s3
	s_cbranch_execz .LBB173_134
; %bb.131:                              ;   in Loop: Header=BB173_3 Depth=1
	ds_load_b128 v[16:19], v51 offset:12128
	ds_load_b128 v[20:23], v50 offset:11584
	s_wait_dscnt 0x0
	v_mul_f64_e32 v[2:3], v[18:19], v[22:23]
	v_mul_f64_e32 v[22:23], v[16:17], v[22:23]
	s_delay_alu instid0(VALU_DEP_2) | instskip(NEXT) | instid1(VALU_DEP_2)
	v_fma_f64 v[2:3], v[16:17], v[20:21], -v[2:3]
	v_fmac_f64_e32 v[22:23], v[18:19], v[20:21]
	s_delay_alu instid0(VALU_DEP_2) | instskip(NEXT) | instid1(VALU_DEP_2)
	v_add_f64_e32 v[16:17], 0, v[2:3]
	v_add_f64_e32 v[18:19], 0, v[22:23]
	s_and_saveexec_b32 s1, s4
	s_cbranch_execz .LBB173_133
; %bb.132:                              ;   in Loop: Header=BB173_3 Depth=1
	ds_load_b128 v[20:23], v1 offset:12144
	ds_load_b128 v[208:211], v56 offset:12096
	s_wait_dscnt 0x0
	v_mul_f64_e32 v[2:3], v[22:23], v[210:211]
	s_delay_alu instid0(VALU_DEP_1) | instskip(SKIP_1) | instid1(VALU_DEP_2)
	v_fma_f64 v[2:3], v[20:21], v[208:209], -v[2:3]
	v_mul_f64_e32 v[20:21], v[20:21], v[210:211]
	v_add_f64_e32 v[16:17], v[16:17], v[2:3]
	s_delay_alu instid0(VALU_DEP_2) | instskip(NEXT) | instid1(VALU_DEP_1)
	v_fmac_f64_e32 v[20:21], v[22:23], v[208:209]
	v_add_f64_e32 v[18:19], v[18:19], v[20:21]
.LBB173_133:                            ;   in Loop: Header=BB173_3 Depth=1
	s_or_b32 exec_lo, exec_lo, s1
.LBB173_134:                            ;   in Loop: Header=BB173_3 Depth=1
	s_delay_alu instid0(SALU_CYCLE_1)
	s_or_b32 exec_lo, exec_lo, s0
	s_and_saveexec_b32 s0, s61
	s_cbranch_execz .LBB173_136
; %bb.135:                              ;   in Loop: Header=BB173_3 Depth=1
	ds_load_b128 v[20:23], v1 offset:11088
	s_wait_dscnt 0x0
	v_mul_f64_e32 v[2:3], v[18:19], v[22:23]
	v_mul_f64_e32 v[22:23], v[16:17], v[22:23]
	s_delay_alu instid0(VALU_DEP_1) | instskip(NEXT) | instid1(VALU_DEP_1)
	v_fmac_f64_e32 v[22:23], v[18:19], v[20:21]
	v_dual_fma_f64 v[2:3], v[16:17], v[20:21], -v[2:3] :: v_dual_mov_b32 v18, v22
	s_delay_alu instid0(VALU_DEP_1) | instskip(NEXT) | instid1(VALU_DEP_3)
	v_xor_b32_e32 v17, 0x80000000, v3
	v_xor_b32_e32 v19, 0x80000000, v23
	s_delay_alu instid0(VALU_DEP_3)
	v_mov_b32_e32 v16, v2
	ds_store_b128 v25, v[16:19]
	v_mov_b64_e32 v[16:17], v[2:3]
	v_mov_b64_e32 v[18:19], v[22:23]
.LBB173_136:                            ;   in Loop: Header=BB173_3 Depth=1
	s_or_b32 exec_lo, exec_lo, s0
	s_wait_loadcnt_dscnt 0x0
	s_barrier_signal -1
	s_barrier_wait -1
	s_and_saveexec_b32 s0, s62
	s_cbranch_execz .LBB173_138
; %bb.137:                              ;   in Loop: Header=BB173_3 Depth=1
	ds_load_b128 v[20:23], v25
	ds_load_b128 v[208:211], v1 offset:11072
	s_wait_dscnt 0x0
	v_mul_f64_e32 v[2:3], v[22:23], v[210:211]
	s_delay_alu instid0(VALU_DEP_1) | instskip(SKIP_1) | instid1(VALU_DEP_2)
	v_fma_f64 v[2:3], v[20:21], v[208:209], -v[2:3]
	v_mul_f64_e32 v[20:21], v[20:21], v[210:211]
	v_add_f64_e64 v[16:17], v[16:17], -v[2:3]
	s_delay_alu instid0(VALU_DEP_2) | instskip(NEXT) | instid1(VALU_DEP_1)
	v_fmac_f64_e32 v[20:21], v[22:23], v[208:209]
	v_add_f64_e64 v[18:19], v[18:19], -v[20:21]
.LBB173_138:                            ;   in Loop: Header=BB173_3 Depth=1
	s_or_b32 exec_lo, exec_lo, s0
	s_barrier_signal -1
	s_barrier_wait -1
	s_and_saveexec_b32 s0, s62
	s_cbranch_execz .LBB173_140
; %bb.139:                              ;   in Loop: Header=BB173_3 Depth=1
	ds_load_b128 v[20:23], v1 offset:10560
	s_wait_dscnt 0x0
	v_mul_f64_e32 v[2:3], v[18:19], v[22:23]
	v_mul_f64_e32 v[22:23], v[16:17], v[22:23]
	s_delay_alu instid0(VALU_DEP_1) | instskip(NEXT) | instid1(VALU_DEP_1)
	v_fmac_f64_e32 v[22:23], v[18:19], v[20:21]
	v_dual_fma_f64 v[2:3], v[16:17], v[20:21], -v[2:3] :: v_dual_mov_b32 v18, v22
	s_delay_alu instid0(VALU_DEP_1) | instskip(NEXT) | instid1(VALU_DEP_3)
	v_xor_b32_e32 v17, 0x80000000, v3
	v_xor_b32_e32 v19, 0x80000000, v23
	s_delay_alu instid0(VALU_DEP_3)
	v_mov_b32_e32 v16, v2
	ds_store_b128 v25, v[16:19]
	v_mov_b64_e32 v[16:17], v[2:3]
	v_mov_b64_e32 v[18:19], v[22:23]
.LBB173_140:                            ;   in Loop: Header=BB173_3 Depth=1
	s_or_b32 exec_lo, exec_lo, s0
	s_wait_dscnt 0x0
	s_barrier_signal -1
	s_barrier_wait -1
	s_barrier_signal -1
	s_barrier_wait -1
	s_and_saveexec_b32 s0, s3
; %bb.141:                              ;   in Loop: Header=BB173_3 Depth=1
	ds_store_b128 v53, v[16:19] offset:12096
; %bb.142:                              ;   in Loop: Header=BB173_3 Depth=1
	s_or_b32 exec_lo, exec_lo, s0
	s_wait_dscnt 0x0
	s_barrier_signal -1
	s_barrier_wait -1
	s_barrier_signal -1
	s_barrier_wait -1
	s_and_saveexec_b32 s0, s63
	s_cbranch_execz .LBB173_144
; %bb.143:                              ;   in Loop: Header=BB173_3 Depth=1
	ds_load_b128 v[16:19], v108
	s_wait_dscnt 0x0
	ds_store_b128 v159, v[16:19]
	ds_load_b128 v[16:19], v109
	s_wait_dscnt 0x0
	ds_store_b128 v160, v[16:19]
.LBB173_144:                            ;   in Loop: Header=BB173_3 Depth=1
	s_or_b32 exec_lo, exec_lo, s0
	s_wait_dscnt 0x0
	s_barrier_signal -1
	s_barrier_wait -1
	s_and_saveexec_b32 s0, s31
	s_cbranch_execz .LBB173_146
; %bb.145:                              ;   in Loop: Header=BB173_3 Depth=1
	ds_load_b128 v[16:19], v1 offset:11088
	ds_load_b128 v[20:23], v1 offset:10560
	s_wait_dscnt 0x0
	v_mul_f64_e32 v[2:3], v[18:19], v[22:23]
	v_mul_f64_e32 v[46:47], v[16:17], v[22:23]
	s_delay_alu instid0(VALU_DEP_2) | instskip(NEXT) | instid1(VALU_DEP_2)
	v_fma_f64 v[2:3], v[16:17], v[20:21], -v[2:3]
	v_fmac_f64_e32 v[46:47], v[18:19], v[20:21]
	ds_load_b128 v[16:19], v1 offset:11072
	s_wait_dscnt 0x0
	v_mul_f64_e32 v[22:23], v[2:3], v[18:19]
	v_mul_f64_e32 v[20:21], v[46:47], v[18:19]
	s_delay_alu instid0(VALU_DEP_2) | instskip(NEXT) | instid1(VALU_DEP_2)
	v_fmac_f64_e32 v[22:23], v[16:17], v[46:47]
	v_fma_f64 v[20:21], v[16:17], v[2:3], -v[20:21]
	ds_store_b128 v1, v[20:23] offset:11072
	ds_store_b128 v1, v[20:23] offset:10576
.LBB173_146:                            ;   in Loop: Header=BB173_3 Depth=1
	s_or_b32 exec_lo, exec_lo, s0
	v_mov_b64_e32 v[18:19], 0
	v_mov_b64_e32 v[16:17], 0
	s_wait_dscnt 0x0
	s_barrier_signal -1
	s_barrier_wait -1
	global_wb scope:SCOPE_DEV
	s_wait_storecnt 0x0
	global_inv scope:SCOPE_DEV
	s_and_saveexec_b32 s0, s6
	s_cbranch_execz .LBB173_152
; %bb.147:                              ;   in Loop: Header=BB173_3 Depth=1
	ds_load_b128 v[16:19], v59 offset:12096
	ds_load_b128 v[20:23], v58 offset:10496
	s_wait_dscnt 0x0
	v_mul_f64_e32 v[2:3], v[18:19], v[22:23]
	v_mul_f64_e32 v[22:23], v[16:17], v[22:23]
	s_delay_alu instid0(VALU_DEP_2) | instskip(NEXT) | instid1(VALU_DEP_2)
	v_fma_f64 v[2:3], v[16:17], v[20:21], -v[2:3]
	v_fmac_f64_e32 v[22:23], v[18:19], v[20:21]
	s_delay_alu instid0(VALU_DEP_2) | instskip(NEXT) | instid1(VALU_DEP_2)
	v_add_f64_e32 v[16:17], 0, v[2:3]
	v_add_f64_e32 v[18:19], 0, v[22:23]
	s_and_saveexec_b32 s1, s7
	s_cbranch_execnz .LBB173_558
; %bb.148:                              ;   in Loop: Header=BB173_3 Depth=1
	s_or_b32 exec_lo, exec_lo, s1
	s_and_saveexec_b32 s1, s14
	s_cbranch_execnz .LBB173_559
.LBB173_149:                            ;   in Loop: Header=BB173_3 Depth=1
	s_or_b32 exec_lo, exec_lo, s1
	s_and_saveexec_b32 s1, s3
	s_cbranch_execz .LBB173_151
.LBB173_150:                            ;   in Loop: Header=BB173_3 Depth=1
	ds_load_b128 v[20:23], v1 offset:12144
	ds_load_b128 v[208:211], v107 offset:12032
	s_wait_dscnt 0x0
	v_mul_f64_e32 v[2:3], v[22:23], v[210:211]
	s_delay_alu instid0(VALU_DEP_1) | instskip(SKIP_1) | instid1(VALU_DEP_2)
	v_fma_f64 v[2:3], v[20:21], v[208:209], -v[2:3]
	v_mul_f64_e32 v[20:21], v[20:21], v[210:211]
	v_add_f64_e32 v[16:17], v[16:17], v[2:3]
	s_delay_alu instid0(VALU_DEP_2) | instskip(NEXT) | instid1(VALU_DEP_1)
	v_fmac_f64_e32 v[20:21], v[22:23], v[208:209]
	v_add_f64_e32 v[18:19], v[18:19], v[20:21]
.LBB173_151:                            ;   in Loop: Header=BB173_3 Depth=1
	s_or_b32 exec_lo, exec_lo, s1
.LBB173_152:                            ;   in Loop: Header=BB173_3 Depth=1
	s_delay_alu instid0(SALU_CYCLE_1)
	s_or_b32 exec_lo, exec_lo, s0
	s_and_saveexec_b32 s0, s64
	s_cbranch_execz .LBB173_154
; %bb.153:                              ;   in Loop: Header=BB173_3 Depth=1
	ds_load_b128 v[20:23], v1 offset:10032
	s_wait_dscnt 0x0
	v_mul_f64_e32 v[2:3], v[18:19], v[22:23]
	v_mul_f64_e32 v[22:23], v[16:17], v[22:23]
	s_delay_alu instid0(VALU_DEP_1) | instskip(NEXT) | instid1(VALU_DEP_1)
	v_fmac_f64_e32 v[22:23], v[18:19], v[20:21]
	v_dual_fma_f64 v[2:3], v[16:17], v[20:21], -v[2:3] :: v_dual_mov_b32 v18, v22
	s_delay_alu instid0(VALU_DEP_1) | instskip(NEXT) | instid1(VALU_DEP_3)
	v_xor_b32_e32 v17, 0x80000000, v3
	v_xor_b32_e32 v19, 0x80000000, v23
	s_delay_alu instid0(VALU_DEP_3)
	v_mov_b32_e32 v16, v2
	ds_store_b128 v57, v[16:19]
	v_mov_b64_e32 v[16:17], v[2:3]
	v_mov_b64_e32 v[18:19], v[22:23]
.LBB173_154:                            ;   in Loop: Header=BB173_3 Depth=1
	s_or_b32 exec_lo, exec_lo, s0
	s_wait_loadcnt_dscnt 0x0
	s_barrier_signal -1
	s_barrier_wait -1
	s_and_saveexec_b32 s0, s65
	s_cbranch_execz .LBB173_156
; %bb.155:                              ;   in Loop: Header=BB173_3 Depth=1
	ds_load_b128 v[20:23], v57
	ds_load_b128 v[208:211], v58 offset:9984
	s_wait_dscnt 0x0
	v_mul_f64_e32 v[2:3], v[22:23], v[210:211]
	s_delay_alu instid0(VALU_DEP_1) | instskip(SKIP_1) | instid1(VALU_DEP_2)
	v_fma_f64 v[2:3], v[20:21], v[208:209], -v[2:3]
	v_mul_f64_e32 v[20:21], v[20:21], v[210:211]
	v_add_f64_e64 v[16:17], v[16:17], -v[2:3]
	s_delay_alu instid0(VALU_DEP_2) | instskip(NEXT) | instid1(VALU_DEP_1)
	v_fmac_f64_e32 v[20:21], v[22:23], v[208:209]
	v_add_f64_e64 v[18:19], v[18:19], -v[20:21]
.LBB173_156:                            ;   in Loop: Header=BB173_3 Depth=1
	s_or_b32 exec_lo, exec_lo, s0
	s_barrier_signal -1
	s_barrier_wait -1
	s_and_saveexec_b32 s0, s66
	s_cbranch_execz .LBB173_158
; %bb.157:                              ;   in Loop: Header=BB173_3 Depth=1
	ds_load_b128 v[20:23], v1 offset:9504
	s_wait_dscnt 0x0
	v_mul_f64_e32 v[2:3], v[18:19], v[22:23]
	v_mul_f64_e32 v[22:23], v[16:17], v[22:23]
	s_delay_alu instid0(VALU_DEP_1) | instskip(NEXT) | instid1(VALU_DEP_1)
	v_fmac_f64_e32 v[22:23], v[18:19], v[20:21]
	v_dual_fma_f64 v[2:3], v[16:17], v[20:21], -v[2:3] :: v_dual_mov_b32 v18, v22
	s_delay_alu instid0(VALU_DEP_1) | instskip(NEXT) | instid1(VALU_DEP_3)
	v_xor_b32_e32 v17, 0x80000000, v3
	v_xor_b32_e32 v19, 0x80000000, v23
	s_delay_alu instid0(VALU_DEP_3)
	v_mov_b32_e32 v16, v2
	ds_store_b128 v57, v[16:19]
	v_mov_b64_e32 v[16:17], v[2:3]
	v_mov_b64_e32 v[18:19], v[22:23]
.LBB173_158:                            ;   in Loop: Header=BB173_3 Depth=1
	s_or_b32 exec_lo, exec_lo, s0
	s_wait_dscnt 0x0
	s_barrier_signal -1
	s_barrier_wait -1
	s_and_saveexec_b32 s0, s67
	s_cbranch_execz .LBB173_160
; %bb.159:                              ;   in Loop: Header=BB173_3 Depth=1
	ds_load_b128 v[20:23], v57
	ds_load_b128 v[208:211], v58 offset:9472
	s_wait_dscnt 0x0
	v_mul_f64_e32 v[2:3], v[22:23], v[210:211]
	s_delay_alu instid0(VALU_DEP_1) | instskip(SKIP_1) | instid1(VALU_DEP_2)
	v_fma_f64 v[2:3], v[20:21], v[208:209], -v[2:3]
	v_mul_f64_e32 v[20:21], v[20:21], v[210:211]
	v_add_f64_e64 v[16:17], v[16:17], -v[2:3]
	s_delay_alu instid0(VALU_DEP_2) | instskip(NEXT) | instid1(VALU_DEP_1)
	v_fmac_f64_e32 v[20:21], v[22:23], v[208:209]
	v_add_f64_e64 v[18:19], v[18:19], -v[20:21]
.LBB173_160:                            ;   in Loop: Header=BB173_3 Depth=1
	s_or_b32 exec_lo, exec_lo, s0
	s_barrier_signal -1
	s_barrier_wait -1
	s_and_saveexec_b32 s0, s68
	s_cbranch_execz .LBB173_162
; %bb.161:                              ;   in Loop: Header=BB173_3 Depth=1
	ds_load_b128 v[20:23], v1 offset:8976
	s_wait_dscnt 0x0
	v_mul_f64_e32 v[2:3], v[18:19], v[22:23]
	v_mul_f64_e32 v[22:23], v[16:17], v[22:23]
	s_delay_alu instid0(VALU_DEP_1) | instskip(NEXT) | instid1(VALU_DEP_1)
	v_fmac_f64_e32 v[22:23], v[18:19], v[20:21]
	v_dual_fma_f64 v[2:3], v[16:17], v[20:21], -v[2:3] :: v_dual_mov_b32 v18, v22
	s_delay_alu instid0(VALU_DEP_1) | instskip(NEXT) | instid1(VALU_DEP_3)
	v_xor_b32_e32 v17, 0x80000000, v3
	v_xor_b32_e32 v19, 0x80000000, v23
	s_delay_alu instid0(VALU_DEP_3)
	v_mov_b32_e32 v16, v2
	ds_store_b128 v57, v[16:19]
	v_mov_b64_e32 v[16:17], v[2:3]
	v_mov_b64_e32 v[18:19], v[22:23]
.LBB173_162:                            ;   in Loop: Header=BB173_3 Depth=1
	s_or_b32 exec_lo, exec_lo, s0
	s_wait_dscnt 0x0
	;; [unrolled: 41-line block ×3, first 2 shown]
	s_barrier_signal -1
	s_barrier_wait -1
	s_barrier_signal -1
	s_barrier_wait -1
	s_and_saveexec_b32 s0, s6
; %bb.167:                              ;   in Loop: Header=BB173_3 Depth=1
	ds_store_b128 v60, v[16:19] offset:12032
; %bb.168:                              ;   in Loop: Header=BB173_3 Depth=1
	s_or_b32 exec_lo, exec_lo, s0
	s_wait_dscnt 0x0
	s_barrier_signal -1
	s_barrier_wait -1
	s_barrier_signal -1
	s_barrier_wait -1
	s_and_saveexec_b32 s0, s70
	s_cbranch_execz .LBB173_170
; %bb.169:                              ;   in Loop: Header=BB173_3 Depth=1
	ds_load_b128 v[16:19], v119
	s_wait_dscnt 0x0
	ds_store_b128 v161, v[16:19]
	ds_load_b128 v[16:19], v122
	s_wait_dscnt 0x0
	ds_store_b128 v164, v[16:19]
	;; [unrolled: 3-line block ×4, first 2 shown]
.LBB173_170:                            ;   in Loop: Header=BB173_3 Depth=1
	s_or_b32 exec_lo, exec_lo, s0
	s_wait_dscnt 0x0
	s_barrier_signal -1
	s_barrier_wait -1
	s_and_saveexec_b32 s0, s31
	s_cbranch_execz .LBB173_172
; %bb.171:                              ;   in Loop: Header=BB173_3 Depth=1
	ds_load_b128 v[16:19], v1 offset:10032
	ds_load_b128 v[20:23], v1 offset:9504
	s_wait_dscnt 0x0
	v_mul_f64_e32 v[2:3], v[18:19], v[22:23]
	v_mul_f64_e32 v[46:47], v[16:17], v[22:23]
	s_delay_alu instid0(VALU_DEP_2) | instskip(NEXT) | instid1(VALU_DEP_2)
	v_fma_f64 v[2:3], v[16:17], v[20:21], -v[2:3]
	v_fmac_f64_e32 v[46:47], v[18:19], v[20:21]
	ds_load_b128 v[16:19], v1 offset:10016
	s_wait_dscnt 0x0
	v_mul_f64_e32 v[22:23], v[2:3], v[18:19]
	v_mul_f64_e32 v[20:21], v[46:47], v[18:19]
	s_delay_alu instid0(VALU_DEP_2) | instskip(NEXT) | instid1(VALU_DEP_2)
	v_fmac_f64_e32 v[22:23], v[16:17], v[46:47]
	v_fma_f64 v[20:21], v[16:17], v[2:3], -v[20:21]
	ds_store_b128 v1, v[20:23] offset:10016
	ds_store_b128 v1, v[20:23] offset:9520
.LBB173_172:                            ;   in Loop: Header=BB173_3 Depth=1
	s_or_b32 exec_lo, exec_lo, s0
	v_mov_b64_e32 v[16:17], 0
	v_mov_b64_e32 v[18:19], 0
	s_wait_dscnt 0x0
	s_barrier_signal -1
	s_barrier_wait -1
	global_wb scope:SCOPE_DEV
	s_wait_storecnt 0x0
	global_inv scope:SCOPE_DEV
	s_and_saveexec_b32 s0, s3
	s_cbranch_execz .LBB173_176
; %bb.173:                              ;   in Loop: Header=BB173_3 Depth=1
	ds_load_b128 v[16:19], v51 offset:10016
	ds_load_b128 v[20:23], v50 offset:9472
	s_wait_dscnt 0x0
	v_mul_f64_e32 v[2:3], v[18:19], v[22:23]
	v_mul_f64_e32 v[22:23], v[16:17], v[22:23]
	s_delay_alu instid0(VALU_DEP_2) | instskip(NEXT) | instid1(VALU_DEP_2)
	v_fma_f64 v[2:3], v[16:17], v[20:21], -v[2:3]
	v_fmac_f64_e32 v[22:23], v[18:19], v[20:21]
	s_delay_alu instid0(VALU_DEP_2) | instskip(NEXT) | instid1(VALU_DEP_2)
	v_add_f64_e32 v[16:17], 0, v[2:3]
	v_add_f64_e32 v[18:19], 0, v[22:23]
	s_and_saveexec_b32 s1, s4
	s_cbranch_execz .LBB173_175
; %bb.174:                              ;   in Loop: Header=BB173_3 Depth=1
	ds_load_b128 v[20:23], v1 offset:10032
	ds_load_b128 v[208:211], v118 offset:9984
	s_wait_dscnt 0x0
	v_mul_f64_e32 v[2:3], v[22:23], v[210:211]
	s_delay_alu instid0(VALU_DEP_1) | instskip(SKIP_1) | instid1(VALU_DEP_2)
	v_fma_f64 v[2:3], v[20:21], v[208:209], -v[2:3]
	v_mul_f64_e32 v[20:21], v[20:21], v[210:211]
	v_add_f64_e32 v[16:17], v[16:17], v[2:3]
	s_delay_alu instid0(VALU_DEP_2) | instskip(NEXT) | instid1(VALU_DEP_1)
	v_fmac_f64_e32 v[20:21], v[22:23], v[208:209]
	v_add_f64_e32 v[18:19], v[18:19], v[20:21]
.LBB173_175:                            ;   in Loop: Header=BB173_3 Depth=1
	s_or_b32 exec_lo, exec_lo, s1
.LBB173_176:                            ;   in Loop: Header=BB173_3 Depth=1
	s_delay_alu instid0(SALU_CYCLE_1)
	s_or_b32 exec_lo, exec_lo, s0
	s_and_saveexec_b32 s0, s61
	s_cbranch_execz .LBB173_178
; %bb.177:                              ;   in Loop: Header=BB173_3 Depth=1
	ds_load_b128 v[20:23], v1 offset:8976
	s_wait_dscnt 0x0
	v_mul_f64_e32 v[2:3], v[18:19], v[22:23]
	v_mul_f64_e32 v[22:23], v[16:17], v[22:23]
	s_delay_alu instid0(VALU_DEP_1) | instskip(NEXT) | instid1(VALU_DEP_1)
	v_fmac_f64_e32 v[22:23], v[18:19], v[20:21]
	v_dual_fma_f64 v[2:3], v[16:17], v[20:21], -v[2:3] :: v_dual_mov_b32 v18, v22
	s_delay_alu instid0(VALU_DEP_1) | instskip(NEXT) | instid1(VALU_DEP_3)
	v_xor_b32_e32 v17, 0x80000000, v3
	v_xor_b32_e32 v19, 0x80000000, v23
	s_delay_alu instid0(VALU_DEP_3)
	v_mov_b32_e32 v16, v2
	ds_store_b128 v25, v[16:19]
	v_mov_b64_e32 v[16:17], v[2:3]
	v_mov_b64_e32 v[18:19], v[22:23]
.LBB173_178:                            ;   in Loop: Header=BB173_3 Depth=1
	s_or_b32 exec_lo, exec_lo, s0
	s_wait_loadcnt_dscnt 0x0
	s_barrier_signal -1
	s_barrier_wait -1
	s_and_saveexec_b32 s0, s62
	s_cbranch_execz .LBB173_180
; %bb.179:                              ;   in Loop: Header=BB173_3 Depth=1
	ds_load_b128 v[20:23], v25
	ds_load_b128 v[208:211], v1 offset:8960
	s_wait_dscnt 0x0
	v_mul_f64_e32 v[2:3], v[22:23], v[210:211]
	s_delay_alu instid0(VALU_DEP_1) | instskip(SKIP_1) | instid1(VALU_DEP_2)
	v_fma_f64 v[2:3], v[20:21], v[208:209], -v[2:3]
	v_mul_f64_e32 v[20:21], v[20:21], v[210:211]
	v_add_f64_e64 v[16:17], v[16:17], -v[2:3]
	s_delay_alu instid0(VALU_DEP_2) | instskip(NEXT) | instid1(VALU_DEP_1)
	v_fmac_f64_e32 v[20:21], v[22:23], v[208:209]
	v_add_f64_e64 v[18:19], v[18:19], -v[20:21]
.LBB173_180:                            ;   in Loop: Header=BB173_3 Depth=1
	s_or_b32 exec_lo, exec_lo, s0
	s_barrier_signal -1
	s_barrier_wait -1
	s_and_saveexec_b32 s0, s62
	s_cbranch_execz .LBB173_182
; %bb.181:                              ;   in Loop: Header=BB173_3 Depth=1
	ds_load_b128 v[20:23], v1 offset:8448
	s_wait_dscnt 0x0
	v_mul_f64_e32 v[2:3], v[18:19], v[22:23]
	v_mul_f64_e32 v[22:23], v[16:17], v[22:23]
	s_delay_alu instid0(VALU_DEP_1) | instskip(NEXT) | instid1(VALU_DEP_1)
	v_fmac_f64_e32 v[22:23], v[18:19], v[20:21]
	v_dual_fma_f64 v[2:3], v[16:17], v[20:21], -v[2:3] :: v_dual_mov_b32 v18, v22
	s_delay_alu instid0(VALU_DEP_1) | instskip(NEXT) | instid1(VALU_DEP_3)
	v_xor_b32_e32 v17, 0x80000000, v3
	v_xor_b32_e32 v19, 0x80000000, v23
	s_delay_alu instid0(VALU_DEP_3)
	v_mov_b32_e32 v16, v2
	ds_store_b128 v25, v[16:19]
	v_mov_b64_e32 v[16:17], v[2:3]
	v_mov_b64_e32 v[18:19], v[22:23]
.LBB173_182:                            ;   in Loop: Header=BB173_3 Depth=1
	s_or_b32 exec_lo, exec_lo, s0
	s_wait_dscnt 0x0
	s_barrier_signal -1
	s_barrier_wait -1
	s_barrier_signal -1
	s_barrier_wait -1
	s_and_saveexec_b32 s0, s3
; %bb.183:                              ;   in Loop: Header=BB173_3 Depth=1
	ds_store_b128 v53, v[16:19] offset:9984
; %bb.184:                              ;   in Loop: Header=BB173_3 Depth=1
	s_or_b32 exec_lo, exec_lo, s0
	s_wait_dscnt 0x0
	s_barrier_signal -1
	s_barrier_wait -1
	s_barrier_signal -1
	s_barrier_wait -1
	s_and_saveexec_b32 s0, s63
	s_cbranch_execz .LBB173_186
; %bb.185:                              ;   in Loop: Header=BB173_3 Depth=1
	ds_load_b128 v[16:19], v129
	s_wait_dscnt 0x0
	ds_store_b128 v135, v[16:19]
	ds_load_b128 v[16:19], v130
	s_wait_dscnt 0x0
	ds_store_b128 v136, v[16:19]
.LBB173_186:                            ;   in Loop: Header=BB173_3 Depth=1
	s_or_b32 exec_lo, exec_lo, s0
	s_wait_dscnt 0x0
	s_barrier_signal -1
	s_barrier_wait -1
	s_and_saveexec_b32 s0, s31
	s_cbranch_execz .LBB173_188
; %bb.187:                              ;   in Loop: Header=BB173_3 Depth=1
	ds_load_b128 v[16:19], v1 offset:8976
	ds_load_b128 v[20:23], v1 offset:8448
	s_wait_dscnt 0x0
	v_mul_f64_e32 v[2:3], v[18:19], v[22:23]
	v_mul_f64_e32 v[46:47], v[16:17], v[22:23]
	s_delay_alu instid0(VALU_DEP_2) | instskip(NEXT) | instid1(VALU_DEP_2)
	v_fma_f64 v[2:3], v[16:17], v[20:21], -v[2:3]
	v_fmac_f64_e32 v[46:47], v[18:19], v[20:21]
	ds_load_b128 v[16:19], v1 offset:8960
	s_wait_dscnt 0x0
	v_mul_f64_e32 v[22:23], v[2:3], v[18:19]
	v_mul_f64_e32 v[20:21], v[46:47], v[18:19]
	s_delay_alu instid0(VALU_DEP_2) | instskip(NEXT) | instid1(VALU_DEP_2)
	v_fmac_f64_e32 v[22:23], v[16:17], v[46:47]
	v_fma_f64 v[20:21], v[16:17], v[2:3], -v[20:21]
	ds_store_b128 v1, v[20:23] offset:8960
	ds_store_b128 v1, v[20:23] offset:8464
.LBB173_188:                            ;   in Loop: Header=BB173_3 Depth=1
	s_or_b32 exec_lo, exec_lo, s0
	v_mov_b64_e32 v[18:19], 0
	v_mov_b64_e32 v[16:17], 0
	s_wait_dscnt 0x0
	s_barrier_signal -1
	s_barrier_wait -1
	global_wb scope:SCOPE_DEV
	s_wait_storecnt 0x0
	global_inv scope:SCOPE_DEV
	s_and_saveexec_b32 s0, s9
	s_cbranch_execz .LBB173_216
; %bb.189:                              ;   in Loop: Header=BB173_3 Depth=1
	ds_load_b128 v[16:19], v75 offset:16128
	ds_load_b128 v[20:23], v74 offset:8192
	s_wait_dscnt 0x0
	v_mul_f64_e32 v[2:3], v[18:19], v[22:23]
	v_mul_f64_e32 v[22:23], v[16:17], v[22:23]
	s_delay_alu instid0(VALU_DEP_2) | instskip(NEXT) | instid1(VALU_DEP_2)
	v_fma_f64 v[2:3], v[16:17], v[20:21], -v[2:3]
	v_fmac_f64_e32 v[22:23], v[18:19], v[20:21]
	s_delay_alu instid0(VALU_DEP_2) | instskip(NEXT) | instid1(VALU_DEP_2)
	v_add_f64_e32 v[16:17], 0, v[2:3]
	v_add_f64_e32 v[18:19], 0, v[22:23]
	s_mov_b32 s1, exec_lo
	v_readlane_b32 s54, v207, 11
	s_and_b32 s54, s1, s54
	s_delay_alu instid0(SALU_CYCLE_1)
	s_mov_b32 exec_lo, s54
	s_cbranch_execz .LBB173_191
; %bb.190:                              ;   in Loop: Header=BB173_3 Depth=1
	ds_load_b128 v[20:23], v75 offset:16144
	ds_load_b128 v[208:211], v74 offset:8704
	s_wait_dscnt 0x0
	v_mul_f64_e32 v[2:3], v[22:23], v[210:211]
	s_delay_alu instid0(VALU_DEP_1) | instskip(SKIP_1) | instid1(VALU_DEP_2)
	v_fma_f64 v[2:3], v[20:21], v[208:209], -v[2:3]
	v_mul_f64_e32 v[20:21], v[20:21], v[210:211]
	v_add_f64_e32 v[16:17], v[16:17], v[2:3]
	s_delay_alu instid0(VALU_DEP_2) | instskip(NEXT) | instid1(VALU_DEP_1)
	v_fmac_f64_e32 v[20:21], v[22:23], v[208:209]
	v_add_f64_e32 v[18:19], v[18:19], v[20:21]
.LBB173_191:                            ;   in Loop: Header=BB173_3 Depth=1
	s_or_b32 exec_lo, exec_lo, s1
	s_delay_alu instid0(SALU_CYCLE_1) | instskip(SKIP_2) | instid1(SALU_CYCLE_1)
	s_mov_b32 s1, exec_lo
	v_readlane_b32 s54, v207, 12
	s_and_b32 s54, s1, s54
	s_mov_b32 exec_lo, s54
	s_cbranch_execz .LBB173_193
; %bb.192:                              ;   in Loop: Header=BB173_3 Depth=1
	ds_load_b128 v[20:23], v75 offset:16160
	ds_load_b128 v[208:211], v74 offset:9216
	s_wait_dscnt 0x0
	v_mul_f64_e32 v[2:3], v[22:23], v[210:211]
	s_delay_alu instid0(VALU_DEP_1) | instskip(SKIP_1) | instid1(VALU_DEP_2)
	v_fma_f64 v[2:3], v[20:21], v[208:209], -v[2:3]
	v_mul_f64_e32 v[20:21], v[20:21], v[210:211]
	v_add_f64_e32 v[16:17], v[16:17], v[2:3]
	s_delay_alu instid0(VALU_DEP_2) | instskip(NEXT) | instid1(VALU_DEP_1)
	v_fmac_f64_e32 v[20:21], v[22:23], v[208:209]
	v_add_f64_e32 v[18:19], v[18:19], v[20:21]
.LBB173_193:                            ;   in Loop: Header=BB173_3 Depth=1
	s_or_b32 exec_lo, exec_lo, s1
	s_delay_alu instid0(SALU_CYCLE_1) | instskip(SKIP_2) | instid1(SALU_CYCLE_1)
	s_mov_b32 s1, exec_lo
	v_readlane_b32 s54, v207, 13
	s_and_b32 s54, s1, s54
	;; [unrolled: 20-line block ×10, first 2 shown]
	s_mov_b32 exec_lo, s54
	s_cbranch_execnz .LBB173_560
; %bb.210:                              ;   in Loop: Header=BB173_3 Depth=1
	s_or_b32 exec_lo, exec_lo, s1
	s_and_saveexec_b32 s1, s8
	s_cbranch_execnz .LBB173_561
.LBB173_211:                            ;   in Loop: Header=BB173_3 Depth=1
	s_or_b32 exec_lo, exec_lo, s1
	s_and_saveexec_b32 s1, s16
	s_cbranch_execnz .LBB173_562
.LBB173_212:                            ;   in Loop: Header=BB173_3 Depth=1
	s_or_b32 exec_lo, exec_lo, s1
	s_and_saveexec_b32 s1, s18
	s_cbranch_execnz .LBB173_563
.LBB173_213:                            ;   in Loop: Header=BB173_3 Depth=1
	s_or_b32 exec_lo, exec_lo, s1
	s_and_saveexec_b32 s1, s6
	s_cbranch_execz .LBB173_215
.LBB173_214:                            ;   in Loop: Header=BB173_3 Depth=1
	ds_load_b128 v[20:23], v1 offset:16368
	ds_load_b128 v[208:211], v52 offset:15872
	s_wait_dscnt 0x0
	v_mul_f64_e32 v[2:3], v[22:23], v[210:211]
	s_delay_alu instid0(VALU_DEP_1) | instskip(SKIP_1) | instid1(VALU_DEP_2)
	v_fma_f64 v[2:3], v[20:21], v[208:209], -v[2:3]
	v_mul_f64_e32 v[20:21], v[20:21], v[210:211]
	v_add_f64_e32 v[16:17], v[16:17], v[2:3]
	s_delay_alu instid0(VALU_DEP_2) | instskip(NEXT) | instid1(VALU_DEP_1)
	v_fmac_f64_e32 v[20:21], v[22:23], v[208:209]
	v_add_f64_e32 v[18:19], v[18:19], v[20:21]
.LBB173_215:                            ;   in Loop: Header=BB173_3 Depth=1
	s_or_b32 exec_lo, exec_lo, s1
.LBB173_216:                            ;   in Loop: Header=BB173_3 Depth=1
	s_delay_alu instid0(SALU_CYCLE_1) | instskip(NEXT) | instid1(SALU_CYCLE_1)
	s_or_b32 exec_lo, exec_lo, s0
	s_mov_b32 s0, exec_lo
	v_readlane_b32 s1, v207, 0
	s_and_b32 s1, s0, s1
	s_delay_alu instid0(SALU_CYCLE_1)
	s_mov_b32 exec_lo, s1
	s_cbranch_execz .LBB173_218
; %bb.217:                              ;   in Loop: Header=BB173_3 Depth=1
	ds_load_b128 v[20:23], v1 offset:7920
	s_wait_dscnt 0x0
	v_mul_f64_e32 v[2:3], v[18:19], v[22:23]
	v_mul_f64_e32 v[22:23], v[16:17], v[22:23]
	s_delay_alu instid0(VALU_DEP_1) | instskip(NEXT) | instid1(VALU_DEP_1)
	v_fmac_f64_e32 v[22:23], v[18:19], v[20:21]
	v_dual_fma_f64 v[2:3], v[16:17], v[20:21], -v[2:3] :: v_dual_mov_b32 v18, v22
	s_delay_alu instid0(VALU_DEP_1) | instskip(NEXT) | instid1(VALU_DEP_3)
	v_xor_b32_e32 v17, 0x80000000, v3
	v_xor_b32_e32 v19, 0x80000000, v23
	s_delay_alu instid0(VALU_DEP_3)
	v_mov_b32_e32 v16, v2
	ds_store_b128 v73, v[16:19]
	v_mov_b64_e32 v[16:17], v[2:3]
	v_mov_b64_e32 v[18:19], v[22:23]
.LBB173_218:                            ;   in Loop: Header=BB173_3 Depth=1
	s_or_b32 exec_lo, exec_lo, s0
	s_wait_loadcnt_dscnt 0x0
	s_barrier_signal -1
	s_barrier_wait -1
	s_mov_b32 s0, exec_lo
	v_readlane_b32 s1, v207, 1
	s_and_b32 s1, s0, s1
	s_delay_alu instid0(SALU_CYCLE_1)
	s_mov_b32 exec_lo, s1
	s_cbranch_execz .LBB173_220
; %bb.219:                              ;   in Loop: Header=BB173_3 Depth=1
	ds_load_b128 v[20:23], v73
	ds_load_b128 v[208:211], v74 offset:7680
	s_wait_dscnt 0x0
	v_mul_f64_e32 v[2:3], v[22:23], v[210:211]
	s_delay_alu instid0(VALU_DEP_1) | instskip(SKIP_1) | instid1(VALU_DEP_2)
	v_fma_f64 v[2:3], v[20:21], v[208:209], -v[2:3]
	v_mul_f64_e32 v[20:21], v[20:21], v[210:211]
	v_add_f64_e64 v[16:17], v[16:17], -v[2:3]
	s_delay_alu instid0(VALU_DEP_2) | instskip(NEXT) | instid1(VALU_DEP_1)
	v_fmac_f64_e32 v[20:21], v[22:23], v[208:209]
	v_add_f64_e64 v[18:19], v[18:19], -v[20:21]
.LBB173_220:                            ;   in Loop: Header=BB173_3 Depth=1
	s_or_b32 exec_lo, exec_lo, s0
	s_barrier_signal -1
	s_barrier_wait -1
	s_mov_b32 s0, exec_lo
	v_readlane_b32 s1, v207, 2
	s_and_b32 s1, s0, s1
	s_delay_alu instid0(SALU_CYCLE_1)
	s_mov_b32 exec_lo, s1
	s_cbranch_execz .LBB173_222
; %bb.221:                              ;   in Loop: Header=BB173_3 Depth=1
	ds_load_b128 v[20:23], v1 offset:7392
	s_wait_dscnt 0x0
	v_mul_f64_e32 v[2:3], v[18:19], v[22:23]
	v_mul_f64_e32 v[22:23], v[16:17], v[22:23]
	s_delay_alu instid0(VALU_DEP_1) | instskip(NEXT) | instid1(VALU_DEP_1)
	v_fmac_f64_e32 v[22:23], v[18:19], v[20:21]
	v_dual_fma_f64 v[2:3], v[16:17], v[20:21], -v[2:3] :: v_dual_mov_b32 v18, v22
	s_delay_alu instid0(VALU_DEP_1) | instskip(NEXT) | instid1(VALU_DEP_3)
	v_xor_b32_e32 v17, 0x80000000, v3
	v_xor_b32_e32 v19, 0x80000000, v23
	s_delay_alu instid0(VALU_DEP_3)
	v_mov_b32_e32 v16, v2
	ds_store_b128 v73, v[16:19]
	v_mov_b64_e32 v[16:17], v[2:3]
	v_mov_b64_e32 v[18:19], v[22:23]
.LBB173_222:                            ;   in Loop: Header=BB173_3 Depth=1
	s_or_b32 exec_lo, exec_lo, s0
	s_wait_dscnt 0x0
	s_barrier_signal -1
	s_barrier_wait -1
	s_mov_b32 s0, exec_lo
	v_readlane_b32 s1, v207, 3
	s_and_b32 s1, s0, s1
	s_delay_alu instid0(SALU_CYCLE_1)
	s_mov_b32 exec_lo, s1
	s_cbranch_execz .LBB173_224
; %bb.223:                              ;   in Loop: Header=BB173_3 Depth=1
	ds_load_b128 v[20:23], v73
	ds_load_b128 v[208:211], v74 offset:7168
	s_wait_dscnt 0x0
	v_mul_f64_e32 v[2:3], v[22:23], v[210:211]
	s_delay_alu instid0(VALU_DEP_1) | instskip(SKIP_1) | instid1(VALU_DEP_2)
	v_fma_f64 v[2:3], v[20:21], v[208:209], -v[2:3]
	v_mul_f64_e32 v[20:21], v[20:21], v[210:211]
	v_add_f64_e64 v[16:17], v[16:17], -v[2:3]
	s_delay_alu instid0(VALU_DEP_2) | instskip(NEXT) | instid1(VALU_DEP_1)
	v_fmac_f64_e32 v[20:21], v[22:23], v[208:209]
	v_add_f64_e64 v[18:19], v[18:19], -v[20:21]
.LBB173_224:                            ;   in Loop: Header=BB173_3 Depth=1
	s_or_b32 exec_lo, exec_lo, s0
	s_barrier_signal -1
	s_barrier_wait -1
	s_mov_b32 s0, exec_lo
	v_readlane_b32 s1, v207, 4
	s_and_b32 s1, s0, s1
	s_delay_alu instid0(SALU_CYCLE_1)
	s_mov_b32 exec_lo, s1
	s_cbranch_execz .LBB173_226
; %bb.225:                              ;   in Loop: Header=BB173_3 Depth=1
	ds_load_b128 v[20:23], v1 offset:6864
	s_wait_dscnt 0x0
	v_mul_f64_e32 v[2:3], v[18:19], v[22:23]
	v_mul_f64_e32 v[22:23], v[16:17], v[22:23]
	s_delay_alu instid0(VALU_DEP_1) | instskip(NEXT) | instid1(VALU_DEP_1)
	v_fmac_f64_e32 v[22:23], v[18:19], v[20:21]
	v_dual_fma_f64 v[2:3], v[16:17], v[20:21], -v[2:3] :: v_dual_mov_b32 v18, v22
	s_delay_alu instid0(VALU_DEP_1) | instskip(NEXT) | instid1(VALU_DEP_3)
	v_xor_b32_e32 v17, 0x80000000, v3
	v_xor_b32_e32 v19, 0x80000000, v23
	s_delay_alu instid0(VALU_DEP_3)
	v_mov_b32_e32 v16, v2
	ds_store_b128 v73, v[16:19]
	v_mov_b64_e32 v[16:17], v[2:3]
	v_mov_b64_e32 v[18:19], v[22:23]
.LBB173_226:                            ;   in Loop: Header=BB173_3 Depth=1
	s_or_b32 exec_lo, exec_lo, s0
	s_wait_dscnt 0x0
	s_barrier_signal -1
	s_barrier_wait -1
	s_mov_b32 s0, exec_lo
	v_readlane_b32 s1, v207, 5
	s_and_b32 s1, s0, s1
	s_delay_alu instid0(SALU_CYCLE_1)
	s_mov_b32 exec_lo, s1
	s_cbranch_execz .LBB173_228
; %bb.227:                              ;   in Loop: Header=BB173_3 Depth=1
	ds_load_b128 v[20:23], v73
	ds_load_b128 v[208:211], v74 offset:6656
	s_wait_dscnt 0x0
	v_mul_f64_e32 v[2:3], v[22:23], v[210:211]
	s_delay_alu instid0(VALU_DEP_1) | instskip(SKIP_1) | instid1(VALU_DEP_2)
	v_fma_f64 v[2:3], v[20:21], v[208:209], -v[2:3]
	v_mul_f64_e32 v[20:21], v[20:21], v[210:211]
	v_add_f64_e64 v[16:17], v[16:17], -v[2:3]
	s_delay_alu instid0(VALU_DEP_2) | instskip(NEXT) | instid1(VALU_DEP_1)
	v_fmac_f64_e32 v[20:21], v[22:23], v[208:209]
	v_add_f64_e64 v[18:19], v[18:19], -v[20:21]
.LBB173_228:                            ;   in Loop: Header=BB173_3 Depth=1
	s_or_b32 exec_lo, exec_lo, s0
	s_barrier_signal -1
	s_barrier_wait -1
	s_and_saveexec_b32 s0, s92
	s_cbranch_execz .LBB173_230
; %bb.229:                              ;   in Loop: Header=BB173_3 Depth=1
	ds_load_b128 v[20:23], v1 offset:6336
	s_wait_dscnt 0x0
	v_mul_f64_e32 v[2:3], v[18:19], v[22:23]
	v_mul_f64_e32 v[22:23], v[16:17], v[22:23]
	s_delay_alu instid0(VALU_DEP_1) | instskip(NEXT) | instid1(VALU_DEP_1)
	v_fmac_f64_e32 v[22:23], v[18:19], v[20:21]
	v_dual_fma_f64 v[2:3], v[16:17], v[20:21], -v[2:3] :: v_dual_mov_b32 v18, v22
	s_delay_alu instid0(VALU_DEP_1) | instskip(NEXT) | instid1(VALU_DEP_3)
	v_xor_b32_e32 v17, 0x80000000, v3
	v_xor_b32_e32 v19, 0x80000000, v23
	s_delay_alu instid0(VALU_DEP_3)
	v_mov_b32_e32 v16, v2
	ds_store_b128 v73, v[16:19]
	v_mov_b64_e32 v[16:17], v[2:3]
	v_mov_b64_e32 v[18:19], v[22:23]
.LBB173_230:                            ;   in Loop: Header=BB173_3 Depth=1
	s_or_b32 exec_lo, exec_lo, s0
	s_wait_dscnt 0x0
	s_barrier_signal -1
	s_barrier_wait -1
	s_and_saveexec_b32 s0, s93
	s_cbranch_execz .LBB173_232
; %bb.231:                              ;   in Loop: Header=BB173_3 Depth=1
	ds_load_b128 v[20:23], v73
	ds_load_b128 v[208:211], v74 offset:6144
	s_wait_dscnt 0x0
	v_mul_f64_e32 v[2:3], v[22:23], v[210:211]
	s_delay_alu instid0(VALU_DEP_1) | instskip(SKIP_1) | instid1(VALU_DEP_2)
	v_fma_f64 v[2:3], v[20:21], v[208:209], -v[2:3]
	v_mul_f64_e32 v[20:21], v[20:21], v[210:211]
	v_add_f64_e64 v[16:17], v[16:17], -v[2:3]
	s_delay_alu instid0(VALU_DEP_2) | instskip(NEXT) | instid1(VALU_DEP_1)
	v_fmac_f64_e32 v[20:21], v[22:23], v[208:209]
	v_add_f64_e64 v[18:19], v[18:19], -v[20:21]
.LBB173_232:                            ;   in Loop: Header=BB173_3 Depth=1
	s_or_b32 exec_lo, exec_lo, s0
	s_barrier_signal -1
	s_barrier_wait -1
	s_and_saveexec_b32 s0, s94
	s_cbranch_execz .LBB173_234
; %bb.233:                              ;   in Loop: Header=BB173_3 Depth=1
	ds_load_b128 v[20:23], v1 offset:5808
	s_wait_dscnt 0x0
	v_mul_f64_e32 v[2:3], v[18:19], v[22:23]
	v_mul_f64_e32 v[22:23], v[16:17], v[22:23]
	s_delay_alu instid0(VALU_DEP_1) | instskip(NEXT) | instid1(VALU_DEP_1)
	v_fmac_f64_e32 v[22:23], v[18:19], v[20:21]
	v_dual_fma_f64 v[2:3], v[16:17], v[20:21], -v[2:3] :: v_dual_mov_b32 v18, v22
	s_delay_alu instid0(VALU_DEP_1) | instskip(NEXT) | instid1(VALU_DEP_3)
	v_xor_b32_e32 v17, 0x80000000, v3
	v_xor_b32_e32 v19, 0x80000000, v23
	s_delay_alu instid0(VALU_DEP_3)
	v_mov_b32_e32 v16, v2
	ds_store_b128 v73, v[16:19]
	v_mov_b64_e32 v[16:17], v[2:3]
	v_mov_b64_e32 v[18:19], v[22:23]
.LBB173_234:                            ;   in Loop: Header=BB173_3 Depth=1
	s_or_b32 exec_lo, exec_lo, s0
	s_wait_dscnt 0x0
	s_barrier_signal -1
	s_barrier_wait -1
	s_and_saveexec_b32 s0, s95
	;; [unrolled: 41-line block ×6, first 2 shown]
	s_cbranch_execz .LBB173_252
; %bb.251:                              ;   in Loop: Header=BB173_3 Depth=1
	ds_load_b128 v[20:23], v73
	ds_load_b128 v[208:211], v74 offset:3584
	s_wait_dscnt 0x0
	v_mul_f64_e32 v[2:3], v[22:23], v[210:211]
	s_delay_alu instid0(VALU_DEP_1) | instskip(SKIP_1) | instid1(VALU_DEP_2)
	v_fma_f64 v[2:3], v[20:21], v[208:209], -v[2:3]
	v_mul_f64_e32 v[20:21], v[20:21], v[210:211]
	v_add_f64_e64 v[16:17], v[16:17], -v[2:3]
	s_delay_alu instid0(VALU_DEP_2) | instskip(NEXT) | instid1(VALU_DEP_1)
	v_fmac_f64_e32 v[20:21], v[22:23], v[208:209]
	v_add_f64_e64 v[18:19], v[18:19], -v[20:21]
.LBB173_252:                            ;   in Loop: Header=BB173_3 Depth=1
	s_or_b32 exec_lo, exec_lo, s0
	s_barrier_signal -1
	s_barrier_wait -1
	s_and_saveexec_b32 s0, s104
	s_cbranch_execz .LBB173_254
; %bb.253:                              ;   in Loop: Header=BB173_3 Depth=1
	ds_load_b128 v[20:23], v1 offset:3168
	s_wait_dscnt 0x0
	v_mul_f64_e32 v[2:3], v[18:19], v[22:23]
	v_mul_f64_e32 v[22:23], v[16:17], v[22:23]
	s_delay_alu instid0(VALU_DEP_1) | instskip(NEXT) | instid1(VALU_DEP_1)
	v_fmac_f64_e32 v[22:23], v[18:19], v[20:21]
	v_dual_fma_f64 v[2:3], v[16:17], v[20:21], -v[2:3] :: v_dual_mov_b32 v18, v22
	s_delay_alu instid0(VALU_DEP_1) | instskip(NEXT) | instid1(VALU_DEP_3)
	v_xor_b32_e32 v17, 0x80000000, v3
	v_xor_b32_e32 v19, 0x80000000, v23
	s_delay_alu instid0(VALU_DEP_3)
	v_mov_b32_e32 v16, v2
	ds_store_b128 v73, v[16:19]
	v_mov_b64_e32 v[16:17], v[2:3]
	v_mov_b64_e32 v[18:19], v[22:23]
.LBB173_254:                            ;   in Loop: Header=BB173_3 Depth=1
	s_or_b32 exec_lo, exec_lo, s0
	s_wait_dscnt 0x0
	s_barrier_signal -1
	s_barrier_wait -1
	s_and_saveexec_b32 s0, vcc_hi
	s_cbranch_execz .LBB173_256
; %bb.255:                              ;   in Loop: Header=BB173_3 Depth=1
	ds_load_b128 v[20:23], v73
	ds_load_b128 v[208:211], v74 offset:3072
	s_wait_dscnt 0x0
	v_mul_f64_e32 v[2:3], v[22:23], v[210:211]
	s_delay_alu instid0(VALU_DEP_1) | instskip(SKIP_1) | instid1(VALU_DEP_2)
	v_fma_f64 v[2:3], v[20:21], v[208:209], -v[2:3]
	v_mul_f64_e32 v[20:21], v[20:21], v[210:211]
	v_add_f64_e64 v[16:17], v[16:17], -v[2:3]
	s_delay_alu instid0(VALU_DEP_2) | instskip(NEXT) | instid1(VALU_DEP_1)
	v_fmac_f64_e32 v[20:21], v[22:23], v[208:209]
	v_add_f64_e64 v[18:19], v[18:19], -v[20:21]
.LBB173_256:                            ;   in Loop: Header=BB173_3 Depth=1
	s_or_b32 exec_lo, exec_lo, s0
	s_barrier_signal -1
	s_barrier_wait -1
	s_and_saveexec_b32 s0, s20
	s_cbranch_execz .LBB173_258
; %bb.257:                              ;   in Loop: Header=BB173_3 Depth=1
	ds_load_b128 v[20:23], v1 offset:2640
	s_wait_dscnt 0x0
	v_mul_f64_e32 v[2:3], v[18:19], v[22:23]
	v_mul_f64_e32 v[22:23], v[16:17], v[22:23]
	s_delay_alu instid0(VALU_DEP_1) | instskip(NEXT) | instid1(VALU_DEP_1)
	v_fmac_f64_e32 v[22:23], v[18:19], v[20:21]
	v_dual_fma_f64 v[2:3], v[16:17], v[20:21], -v[2:3] :: v_dual_mov_b32 v18, v22
	s_delay_alu instid0(VALU_DEP_1) | instskip(NEXT) | instid1(VALU_DEP_3)
	v_xor_b32_e32 v17, 0x80000000, v3
	v_xor_b32_e32 v19, 0x80000000, v23
	s_delay_alu instid0(VALU_DEP_3)
	v_mov_b32_e32 v16, v2
	ds_store_b128 v73, v[16:19]
	v_mov_b64_e32 v[16:17], v[2:3]
	v_mov_b64_e32 v[18:19], v[22:23]
.LBB173_258:                            ;   in Loop: Header=BB173_3 Depth=1
	s_or_b32 exec_lo, exec_lo, s0
	s_wait_dscnt 0x0
	s_barrier_signal -1
	s_barrier_wait -1
	s_and_saveexec_b32 s0, s21
	s_cbranch_execz .LBB173_260
; %bb.259:                              ;   in Loop: Header=BB173_3 Depth=1
	ds_load_b128 v[20:23], v73
	ds_load_b128 v[208:211], v74 offset:2560
	s_wait_dscnt 0x0
	v_mul_f64_e32 v[2:3], v[22:23], v[210:211]
	s_delay_alu instid0(VALU_DEP_1) | instskip(SKIP_1) | instid1(VALU_DEP_2)
	v_fma_f64 v[2:3], v[20:21], v[208:209], -v[2:3]
	v_mul_f64_e32 v[20:21], v[20:21], v[210:211]
	v_add_f64_e64 v[16:17], v[16:17], -v[2:3]
	s_delay_alu instid0(VALU_DEP_2) | instskip(NEXT) | instid1(VALU_DEP_1)
	v_fmac_f64_e32 v[20:21], v[22:23], v[208:209]
	v_add_f64_e64 v[18:19], v[18:19], -v[20:21]
.LBB173_260:                            ;   in Loop: Header=BB173_3 Depth=1
	s_or_b32 exec_lo, exec_lo, s0
	s_barrier_signal -1
	s_barrier_wait -1
	s_and_saveexec_b32 s0, s22
	s_cbranch_execz .LBB173_262
; %bb.261:                              ;   in Loop: Header=BB173_3 Depth=1
	ds_load_b128 v[20:23], v1 offset:2112
	s_wait_dscnt 0x0
	v_mul_f64_e32 v[2:3], v[18:19], v[22:23]
	v_mul_f64_e32 v[22:23], v[16:17], v[22:23]
	s_delay_alu instid0(VALU_DEP_1) | instskip(NEXT) | instid1(VALU_DEP_1)
	v_fmac_f64_e32 v[22:23], v[18:19], v[20:21]
	v_dual_fma_f64 v[2:3], v[16:17], v[20:21], -v[2:3] :: v_dual_mov_b32 v18, v22
	s_delay_alu instid0(VALU_DEP_1) | instskip(NEXT) | instid1(VALU_DEP_3)
	v_xor_b32_e32 v17, 0x80000000, v3
	v_xor_b32_e32 v19, 0x80000000, v23
	s_delay_alu instid0(VALU_DEP_3)
	v_mov_b32_e32 v16, v2
	ds_store_b128 v73, v[16:19]
	v_mov_b64_e32 v[16:17], v[2:3]
	v_mov_b64_e32 v[18:19], v[22:23]
.LBB173_262:                            ;   in Loop: Header=BB173_3 Depth=1
	s_or_b32 exec_lo, exec_lo, s0
	s_wait_dscnt 0x0
	s_barrier_signal -1
	s_barrier_wait -1
	s_and_saveexec_b32 s0, s23
	;; [unrolled: 41-line block ×5, first 2 shown]
	s_cbranch_execz .LBB173_276
; %bb.275:                              ;   in Loop: Header=BB173_3 Depth=1
	ds_load_b128 v[20:23], v73
	ds_load_b128 v[208:211], v1 offset:512
	s_wait_dscnt 0x0
	v_mul_f64_e32 v[2:3], v[22:23], v[210:211]
	s_delay_alu instid0(VALU_DEP_1) | instskip(SKIP_1) | instid1(VALU_DEP_2)
	v_fma_f64 v[2:3], v[20:21], v[208:209], -v[2:3]
	v_mul_f64_e32 v[20:21], v[20:21], v[210:211]
	v_add_f64_e64 v[16:17], v[16:17], -v[2:3]
	s_delay_alu instid0(VALU_DEP_2) | instskip(NEXT) | instid1(VALU_DEP_1)
	v_fmac_f64_e32 v[20:21], v[22:23], v[208:209]
	v_add_f64_e64 v[18:19], v[18:19], -v[20:21]
.LBB173_276:                            ;   in Loop: Header=BB173_3 Depth=1
	s_or_b32 exec_lo, exec_lo, s0
	s_barrier_signal -1
	s_barrier_wait -1
	s_and_saveexec_b32 s0, s29
	s_cbranch_execz .LBB173_278
; %bb.277:                              ;   in Loop: Header=BB173_3 Depth=1
	ds_load_b128 v[20:23], v1
	s_wait_dscnt 0x0
	v_mul_f64_e32 v[2:3], v[18:19], v[22:23]
	v_mul_f64_e32 v[22:23], v[16:17], v[22:23]
	s_delay_alu instid0(VALU_DEP_1) | instskip(NEXT) | instid1(VALU_DEP_1)
	v_fmac_f64_e32 v[22:23], v[18:19], v[20:21]
	v_dual_fma_f64 v[2:3], v[16:17], v[20:21], -v[2:3] :: v_dual_mov_b32 v18, v22
	s_delay_alu instid0(VALU_DEP_1) | instskip(NEXT) | instid1(VALU_DEP_3)
	v_xor_b32_e32 v17, 0x80000000, v3
	v_xor_b32_e32 v19, 0x80000000, v23
	s_delay_alu instid0(VALU_DEP_3)
	v_mov_b32_e32 v16, v2
	ds_store_b128 v73, v[16:19]
	v_mov_b64_e32 v[16:17], v[2:3]
	v_mov_b64_e32 v[18:19], v[22:23]
.LBB173_278:                            ;   in Loop: Header=BB173_3 Depth=1
	s_or_b32 exec_lo, exec_lo, s0
	s_wait_dscnt 0x0
	s_barrier_signal -1
	s_barrier_wait -1
	s_barrier_signal -1
	s_barrier_wait -1
	s_and_saveexec_b32 s0, s9
; %bb.279:                              ;   in Loop: Header=BB173_3 Depth=1
	ds_store_b128 v76, v[16:19] offset:15872
; %bb.280:                              ;   in Loop: Header=BB173_3 Depth=1
	s_or_b32 exec_lo, exec_lo, s0
	s_wait_dscnt 0x0
	s_barrier_signal -1
	s_barrier_wait -1
	s_barrier_signal -1
	s_barrier_wait -1
	s_and_saveexec_b32 s0, s30
	s_cbranch_execz .LBB173_282
; %bb.281:                              ;   in Loop: Header=BB173_3 Depth=1
	ds_load_b128 v[16:19], v77
	s_wait_dscnt 0x0
	ds_store_b128 v165, v[16:19]
	ds_load_b128 v[16:19], v78
	s_wait_dscnt 0x0
	ds_store_b128 v166, v[16:19]
	ds_load_b128 v[16:19], v79
	s_wait_dscnt 0x0
	ds_store_b128 v167, v[16:19]
	ds_load_b128 v[16:19], v80
	s_wait_dscnt 0x0
	ds_store_b128 v168, v[16:19]
	ds_load_b128 v[16:19], v81
	s_wait_dscnt 0x0
	ds_store_b128 v169, v[16:19]
	ds_load_b128 v[16:19], v82
	s_wait_dscnt 0x0
	ds_store_b128 v170, v[16:19]
	ds_load_b128 v[16:19], v83
	s_wait_dscnt 0x0
	ds_store_b128 v171, v[16:19]
	ds_load_b128 v[16:19], v84
	s_wait_dscnt 0x0
	ds_store_b128 v172, v[16:19]
	ds_load_b128 v[16:19], v85
	s_wait_dscnt 0x0
	ds_store_b128 v173, v[16:19]
	ds_load_b128 v[16:19], v86
	s_wait_dscnt 0x0
	ds_store_b128 v174, v[16:19]
	ds_load_b128 v[16:19], v87
	s_wait_dscnt 0x0
	ds_store_b128 v175, v[16:19]
	ds_load_b128 v[16:19], v88
	s_wait_dscnt 0x0
	ds_store_b128 v176, v[16:19]
	ds_load_b128 v[16:19], v89
	s_wait_dscnt 0x0
	ds_store_b128 v177, v[16:19]
	ds_load_b128 v[16:19], v90
	s_wait_dscnt 0x0
	ds_store_b128 v178, v[16:19]
	ds_load_b128 v[16:19], v91
	s_wait_dscnt 0x0
	ds_store_b128 v179, v[16:19]
	ds_load_b128 v[16:19], v92
	s_wait_dscnt 0x0
	ds_store_b128 v180, v[16:19]
.LBB173_282:                            ;   in Loop: Header=BB173_3 Depth=1
	s_or_b32 exec_lo, exec_lo, s0
	s_wait_dscnt 0x0
	s_barrier_signal -1
	s_barrier_wait -1
	s_and_saveexec_b32 s0, s31
	s_cbranch_execz .LBB173_284
; %bb.283:                              ;   in Loop: Header=BB173_3 Depth=1
	ds_load_b128 v[16:19], v1 offset:7920
	ds_load_b128 v[20:23], v1 offset:7392
	s_wait_dscnt 0x0
	v_mul_f64_e32 v[2:3], v[18:19], v[22:23]
	v_mul_f64_e32 v[46:47], v[16:17], v[22:23]
	s_delay_alu instid0(VALU_DEP_2) | instskip(NEXT) | instid1(VALU_DEP_2)
	v_fma_f64 v[2:3], v[16:17], v[20:21], -v[2:3]
	v_fmac_f64_e32 v[46:47], v[18:19], v[20:21]
	ds_load_b128 v[16:19], v1 offset:7904
	s_wait_dscnt 0x0
	v_mul_f64_e32 v[22:23], v[2:3], v[18:19]
	v_mul_f64_e32 v[20:21], v[46:47], v[18:19]
	s_delay_alu instid0(VALU_DEP_2) | instskip(NEXT) | instid1(VALU_DEP_2)
	v_fmac_f64_e32 v[22:23], v[16:17], v[46:47]
	v_fma_f64 v[20:21], v[16:17], v[2:3], -v[20:21]
	ds_store_b128 v1, v[20:23] offset:7904
	ds_store_b128 v1, v[20:23] offset:7408
.LBB173_284:                            ;   in Loop: Header=BB173_3 Depth=1
	s_or_b32 exec_lo, exec_lo, s0
	v_mov_b64_e32 v[16:17], 0
	v_mov_b64_e32 v[18:19], 0
	s_wait_dscnt 0x0
	s_barrier_signal -1
	s_barrier_wait -1
	global_wb scope:SCOPE_DEV
	s_wait_storecnt 0x0
	global_inv scope:SCOPE_DEV
	s_and_saveexec_b32 s0, s3
	s_cbranch_execz .LBB173_288
; %bb.285:                              ;   in Loop: Header=BB173_3 Depth=1
	ds_load_b128 v[16:19], v51 offset:7904
	ds_load_b128 v[20:23], v50 offset:7360
	s_wait_dscnt 0x0
	v_mul_f64_e32 v[2:3], v[18:19], v[22:23]
	v_mul_f64_e32 v[22:23], v[16:17], v[22:23]
	s_delay_alu instid0(VALU_DEP_2) | instskip(NEXT) | instid1(VALU_DEP_2)
	v_fma_f64 v[2:3], v[16:17], v[20:21], -v[2:3]
	v_fmac_f64_e32 v[22:23], v[18:19], v[20:21]
	s_delay_alu instid0(VALU_DEP_2) | instskip(NEXT) | instid1(VALU_DEP_2)
	v_add_f64_e32 v[16:17], 0, v[2:3]
	v_add_f64_e32 v[18:19], 0, v[22:23]
	s_and_saveexec_b32 s1, s4
	s_cbranch_execz .LBB173_287
; %bb.286:                              ;   in Loop: Header=BB173_3 Depth=1
	ds_load_b128 v[20:23], v1 offset:7920
	ds_load_b128 v[208:211], v52 offset:7872
	s_wait_dscnt 0x0
	v_mul_f64_e32 v[2:3], v[22:23], v[210:211]
	s_delay_alu instid0(VALU_DEP_1) | instskip(SKIP_1) | instid1(VALU_DEP_2)
	v_fma_f64 v[2:3], v[20:21], v[208:209], -v[2:3]
	v_mul_f64_e32 v[20:21], v[20:21], v[210:211]
	v_add_f64_e32 v[16:17], v[16:17], v[2:3]
	s_delay_alu instid0(VALU_DEP_2) | instskip(NEXT) | instid1(VALU_DEP_1)
	v_fmac_f64_e32 v[20:21], v[22:23], v[208:209]
	v_add_f64_e32 v[18:19], v[18:19], v[20:21]
.LBB173_287:                            ;   in Loop: Header=BB173_3 Depth=1
	s_or_b32 exec_lo, exec_lo, s1
.LBB173_288:                            ;   in Loop: Header=BB173_3 Depth=1
	s_delay_alu instid0(SALU_CYCLE_1)
	s_or_b32 exec_lo, exec_lo, s0
	s_and_saveexec_b32 s0, s61
	s_cbranch_execz .LBB173_290
; %bb.289:                              ;   in Loop: Header=BB173_3 Depth=1
	ds_load_b128 v[20:23], v1 offset:6864
	s_wait_dscnt 0x0
	v_mul_f64_e32 v[2:3], v[18:19], v[22:23]
	v_mul_f64_e32 v[22:23], v[16:17], v[22:23]
	s_delay_alu instid0(VALU_DEP_1) | instskip(NEXT) | instid1(VALU_DEP_1)
	v_fmac_f64_e32 v[22:23], v[18:19], v[20:21]
	v_dual_fma_f64 v[2:3], v[16:17], v[20:21], -v[2:3] :: v_dual_mov_b32 v18, v22
	s_delay_alu instid0(VALU_DEP_1) | instskip(NEXT) | instid1(VALU_DEP_3)
	v_xor_b32_e32 v17, 0x80000000, v3
	v_xor_b32_e32 v19, 0x80000000, v23
	s_delay_alu instid0(VALU_DEP_3)
	v_mov_b32_e32 v16, v2
	ds_store_b128 v25, v[16:19]
	v_mov_b64_e32 v[16:17], v[2:3]
	v_mov_b64_e32 v[18:19], v[22:23]
.LBB173_290:                            ;   in Loop: Header=BB173_3 Depth=1
	s_or_b32 exec_lo, exec_lo, s0
	s_wait_loadcnt_dscnt 0x0
	s_barrier_signal -1
	s_barrier_wait -1
	s_and_saveexec_b32 s0, s62
	s_cbranch_execz .LBB173_292
; %bb.291:                              ;   in Loop: Header=BB173_3 Depth=1
	ds_load_b128 v[20:23], v25
	ds_load_b128 v[208:211], v1 offset:6848
	s_wait_dscnt 0x0
	v_mul_f64_e32 v[2:3], v[22:23], v[210:211]
	s_delay_alu instid0(VALU_DEP_1) | instskip(SKIP_1) | instid1(VALU_DEP_2)
	v_fma_f64 v[2:3], v[20:21], v[208:209], -v[2:3]
	v_mul_f64_e32 v[20:21], v[20:21], v[210:211]
	v_add_f64_e64 v[16:17], v[16:17], -v[2:3]
	s_delay_alu instid0(VALU_DEP_2) | instskip(NEXT) | instid1(VALU_DEP_1)
	v_fmac_f64_e32 v[20:21], v[22:23], v[208:209]
	v_add_f64_e64 v[18:19], v[18:19], -v[20:21]
.LBB173_292:                            ;   in Loop: Header=BB173_3 Depth=1
	s_or_b32 exec_lo, exec_lo, s0
	s_barrier_signal -1
	s_barrier_wait -1
	s_and_saveexec_b32 s0, s62
	s_cbranch_execz .LBB173_294
; %bb.293:                              ;   in Loop: Header=BB173_3 Depth=1
	ds_load_b128 v[20:23], v1 offset:6336
	s_wait_dscnt 0x0
	v_mul_f64_e32 v[2:3], v[18:19], v[22:23]
	v_mul_f64_e32 v[22:23], v[16:17], v[22:23]
	s_delay_alu instid0(VALU_DEP_1) | instskip(NEXT) | instid1(VALU_DEP_1)
	v_fmac_f64_e32 v[22:23], v[18:19], v[20:21]
	v_dual_fma_f64 v[2:3], v[16:17], v[20:21], -v[2:3] :: v_dual_mov_b32 v18, v22
	s_delay_alu instid0(VALU_DEP_1) | instskip(NEXT) | instid1(VALU_DEP_3)
	v_xor_b32_e32 v17, 0x80000000, v3
	v_xor_b32_e32 v19, 0x80000000, v23
	s_delay_alu instid0(VALU_DEP_3)
	v_mov_b32_e32 v16, v2
	ds_store_b128 v25, v[16:19]
	v_mov_b64_e32 v[16:17], v[2:3]
	v_mov_b64_e32 v[18:19], v[22:23]
.LBB173_294:                            ;   in Loop: Header=BB173_3 Depth=1
	s_or_b32 exec_lo, exec_lo, s0
	s_wait_dscnt 0x0
	s_barrier_signal -1
	s_barrier_wait -1
	s_barrier_signal -1
	s_barrier_wait -1
	s_and_saveexec_b32 s0, s3
; %bb.295:                              ;   in Loop: Header=BB173_3 Depth=1
	ds_store_b128 v53, v[16:19] offset:7872
; %bb.296:                              ;   in Loop: Header=BB173_3 Depth=1
	s_or_b32 exec_lo, exec_lo, s0
	s_wait_dscnt 0x0
	s_barrier_signal -1
	s_barrier_wait -1
	s_barrier_signal -1
	s_barrier_wait -1
	s_and_saveexec_b32 s0, s63
	s_cbranch_execz .LBB173_298
; %bb.297:                              ;   in Loop: Header=BB173_3 Depth=1
	ds_load_b128 v[16:19], v93
	s_wait_dscnt 0x0
	ds_store_b128 v181, v[16:19]
	ds_load_b128 v[16:19], v94
	s_wait_dscnt 0x0
	ds_store_b128 v182, v[16:19]
.LBB173_298:                            ;   in Loop: Header=BB173_3 Depth=1
	s_or_b32 exec_lo, exec_lo, s0
	s_wait_dscnt 0x0
	s_barrier_signal -1
	s_barrier_wait -1
	s_and_saveexec_b32 s0, s31
	s_cbranch_execz .LBB173_300
; %bb.299:                              ;   in Loop: Header=BB173_3 Depth=1
	ds_load_b128 v[16:19], v1 offset:6864
	ds_load_b128 v[20:23], v1 offset:6336
	s_wait_dscnt 0x0
	v_mul_f64_e32 v[2:3], v[18:19], v[22:23]
	v_mul_f64_e32 v[46:47], v[16:17], v[22:23]
	s_delay_alu instid0(VALU_DEP_2) | instskip(NEXT) | instid1(VALU_DEP_2)
	v_fma_f64 v[2:3], v[16:17], v[20:21], -v[2:3]
	v_fmac_f64_e32 v[46:47], v[18:19], v[20:21]
	ds_load_b128 v[16:19], v1 offset:6848
	s_wait_dscnt 0x0
	v_mul_f64_e32 v[22:23], v[2:3], v[18:19]
	v_mul_f64_e32 v[20:21], v[46:47], v[18:19]
	s_delay_alu instid0(VALU_DEP_2) | instskip(NEXT) | instid1(VALU_DEP_2)
	v_fmac_f64_e32 v[22:23], v[16:17], v[46:47]
	v_fma_f64 v[20:21], v[16:17], v[2:3], -v[20:21]
	ds_store_b128 v1, v[20:23] offset:6848
	ds_store_b128 v1, v[20:23] offset:6352
.LBB173_300:                            ;   in Loop: Header=BB173_3 Depth=1
	s_or_b32 exec_lo, exec_lo, s0
	v_mov_b64_e32 v[18:19], 0
	v_mov_b64_e32 v[16:17], 0
	s_wait_dscnt 0x0
	s_barrier_signal -1
	s_barrier_wait -1
	global_wb scope:SCOPE_DEV
	s_wait_storecnt 0x0
	global_inv scope:SCOPE_DEV
	s_and_saveexec_b32 s0, s6
	s_cbranch_execz .LBB173_306
; %bb.301:                              ;   in Loop: Header=BB173_3 Depth=1
	ds_load_b128 v[16:19], v59 offset:7872
	ds_load_b128 v[20:23], v58 offset:6272
	s_wait_dscnt 0x0
	v_mul_f64_e32 v[2:3], v[18:19], v[22:23]
	v_mul_f64_e32 v[22:23], v[16:17], v[22:23]
	s_delay_alu instid0(VALU_DEP_2) | instskip(NEXT) | instid1(VALU_DEP_2)
	v_fma_f64 v[2:3], v[16:17], v[20:21], -v[2:3]
	v_fmac_f64_e32 v[22:23], v[18:19], v[20:21]
	s_delay_alu instid0(VALU_DEP_2) | instskip(NEXT) | instid1(VALU_DEP_2)
	v_add_f64_e32 v[16:17], 0, v[2:3]
	v_add_f64_e32 v[18:19], 0, v[22:23]
	s_and_saveexec_b32 s1, s7
	s_cbranch_execnz .LBB173_564
; %bb.302:                              ;   in Loop: Header=BB173_3 Depth=1
	s_or_b32 exec_lo, exec_lo, s1
	s_and_saveexec_b32 s1, s14
	s_cbranch_execnz .LBB173_565
.LBB173_303:                            ;   in Loop: Header=BB173_3 Depth=1
	s_or_b32 exec_lo, exec_lo, s1
	s_and_saveexec_b32 s1, s3
	s_cbranch_execz .LBB173_305
.LBB173_304:                            ;   in Loop: Header=BB173_3 Depth=1
	ds_load_b128 v[20:23], v1 offset:7920
	ds_load_b128 v[208:211], v56 offset:7808
	s_wait_dscnt 0x0
	v_mul_f64_e32 v[2:3], v[22:23], v[210:211]
	s_delay_alu instid0(VALU_DEP_1) | instskip(SKIP_1) | instid1(VALU_DEP_2)
	v_fma_f64 v[2:3], v[20:21], v[208:209], -v[2:3]
	v_mul_f64_e32 v[20:21], v[20:21], v[210:211]
	v_add_f64_e32 v[16:17], v[16:17], v[2:3]
	s_delay_alu instid0(VALU_DEP_2) | instskip(NEXT) | instid1(VALU_DEP_1)
	v_fmac_f64_e32 v[20:21], v[22:23], v[208:209]
	v_add_f64_e32 v[18:19], v[18:19], v[20:21]
.LBB173_305:                            ;   in Loop: Header=BB173_3 Depth=1
	s_or_b32 exec_lo, exec_lo, s1
.LBB173_306:                            ;   in Loop: Header=BB173_3 Depth=1
	s_delay_alu instid0(SALU_CYCLE_1)
	s_or_b32 exec_lo, exec_lo, s0
	s_and_saveexec_b32 s0, s64
	s_cbranch_execz .LBB173_308
; %bb.307:                              ;   in Loop: Header=BB173_3 Depth=1
	ds_load_b128 v[20:23], v1 offset:5808
	s_wait_dscnt 0x0
	v_mul_f64_e32 v[2:3], v[18:19], v[22:23]
	v_mul_f64_e32 v[22:23], v[16:17], v[22:23]
	s_delay_alu instid0(VALU_DEP_1) | instskip(NEXT) | instid1(VALU_DEP_1)
	v_fmac_f64_e32 v[22:23], v[18:19], v[20:21]
	v_dual_fma_f64 v[2:3], v[16:17], v[20:21], -v[2:3] :: v_dual_mov_b32 v18, v22
	s_delay_alu instid0(VALU_DEP_1) | instskip(NEXT) | instid1(VALU_DEP_3)
	v_xor_b32_e32 v17, 0x80000000, v3
	v_xor_b32_e32 v19, 0x80000000, v23
	s_delay_alu instid0(VALU_DEP_3)
	v_mov_b32_e32 v16, v2
	ds_store_b128 v57, v[16:19]
	v_mov_b64_e32 v[16:17], v[2:3]
	v_mov_b64_e32 v[18:19], v[22:23]
.LBB173_308:                            ;   in Loop: Header=BB173_3 Depth=1
	s_or_b32 exec_lo, exec_lo, s0
	s_wait_loadcnt_dscnt 0x0
	s_barrier_signal -1
	s_barrier_wait -1
	s_and_saveexec_b32 s0, s65
	s_cbranch_execz .LBB173_310
; %bb.309:                              ;   in Loop: Header=BB173_3 Depth=1
	ds_load_b128 v[20:23], v57
	ds_load_b128 v[208:211], v58 offset:5760
	s_wait_dscnt 0x0
	v_mul_f64_e32 v[2:3], v[22:23], v[210:211]
	s_delay_alu instid0(VALU_DEP_1) | instskip(SKIP_1) | instid1(VALU_DEP_2)
	v_fma_f64 v[2:3], v[20:21], v[208:209], -v[2:3]
	v_mul_f64_e32 v[20:21], v[20:21], v[210:211]
	v_add_f64_e64 v[16:17], v[16:17], -v[2:3]
	s_delay_alu instid0(VALU_DEP_2) | instskip(NEXT) | instid1(VALU_DEP_1)
	v_fmac_f64_e32 v[20:21], v[22:23], v[208:209]
	v_add_f64_e64 v[18:19], v[18:19], -v[20:21]
.LBB173_310:                            ;   in Loop: Header=BB173_3 Depth=1
	s_or_b32 exec_lo, exec_lo, s0
	s_barrier_signal -1
	s_barrier_wait -1
	s_and_saveexec_b32 s0, s66
	s_cbranch_execz .LBB173_312
; %bb.311:                              ;   in Loop: Header=BB173_3 Depth=1
	ds_load_b128 v[20:23], v1 offset:5280
	s_wait_dscnt 0x0
	v_mul_f64_e32 v[2:3], v[18:19], v[22:23]
	v_mul_f64_e32 v[22:23], v[16:17], v[22:23]
	s_delay_alu instid0(VALU_DEP_1) | instskip(NEXT) | instid1(VALU_DEP_1)
	v_fmac_f64_e32 v[22:23], v[18:19], v[20:21]
	v_dual_fma_f64 v[2:3], v[16:17], v[20:21], -v[2:3] :: v_dual_mov_b32 v18, v22
	s_delay_alu instid0(VALU_DEP_1) | instskip(NEXT) | instid1(VALU_DEP_3)
	v_xor_b32_e32 v17, 0x80000000, v3
	v_xor_b32_e32 v19, 0x80000000, v23
	s_delay_alu instid0(VALU_DEP_3)
	v_mov_b32_e32 v16, v2
	ds_store_b128 v57, v[16:19]
	v_mov_b64_e32 v[16:17], v[2:3]
	v_mov_b64_e32 v[18:19], v[22:23]
.LBB173_312:                            ;   in Loop: Header=BB173_3 Depth=1
	s_or_b32 exec_lo, exec_lo, s0
	s_wait_dscnt 0x0
	s_barrier_signal -1
	s_barrier_wait -1
	s_and_saveexec_b32 s0, s67
	s_cbranch_execz .LBB173_314
; %bb.313:                              ;   in Loop: Header=BB173_3 Depth=1
	ds_load_b128 v[20:23], v57
	ds_load_b128 v[208:211], v58 offset:5248
	s_wait_dscnt 0x0
	v_mul_f64_e32 v[2:3], v[22:23], v[210:211]
	s_delay_alu instid0(VALU_DEP_1) | instskip(SKIP_1) | instid1(VALU_DEP_2)
	v_fma_f64 v[2:3], v[20:21], v[208:209], -v[2:3]
	v_mul_f64_e32 v[20:21], v[20:21], v[210:211]
	v_add_f64_e64 v[16:17], v[16:17], -v[2:3]
	s_delay_alu instid0(VALU_DEP_2) | instskip(NEXT) | instid1(VALU_DEP_1)
	v_fmac_f64_e32 v[20:21], v[22:23], v[208:209]
	v_add_f64_e64 v[18:19], v[18:19], -v[20:21]
.LBB173_314:                            ;   in Loop: Header=BB173_3 Depth=1
	s_or_b32 exec_lo, exec_lo, s0
	s_barrier_signal -1
	s_barrier_wait -1
	s_and_saveexec_b32 s0, s68
	s_cbranch_execz .LBB173_316
; %bb.315:                              ;   in Loop: Header=BB173_3 Depth=1
	ds_load_b128 v[20:23], v1 offset:4752
	s_wait_dscnt 0x0
	v_mul_f64_e32 v[2:3], v[18:19], v[22:23]
	v_mul_f64_e32 v[22:23], v[16:17], v[22:23]
	s_delay_alu instid0(VALU_DEP_1) | instskip(NEXT) | instid1(VALU_DEP_1)
	v_fmac_f64_e32 v[22:23], v[18:19], v[20:21]
	v_dual_fma_f64 v[2:3], v[16:17], v[20:21], -v[2:3] :: v_dual_mov_b32 v18, v22
	s_delay_alu instid0(VALU_DEP_1) | instskip(NEXT) | instid1(VALU_DEP_3)
	v_xor_b32_e32 v17, 0x80000000, v3
	v_xor_b32_e32 v19, 0x80000000, v23
	s_delay_alu instid0(VALU_DEP_3)
	v_mov_b32_e32 v16, v2
	ds_store_b128 v57, v[16:19]
	v_mov_b64_e32 v[16:17], v[2:3]
	v_mov_b64_e32 v[18:19], v[22:23]
.LBB173_316:                            ;   in Loop: Header=BB173_3 Depth=1
	s_or_b32 exec_lo, exec_lo, s0
	s_wait_dscnt 0x0
	;; [unrolled: 41-line block ×3, first 2 shown]
	s_barrier_signal -1
	s_barrier_wait -1
	s_barrier_signal -1
	s_barrier_wait -1
	s_and_saveexec_b32 s0, s6
; %bb.321:                              ;   in Loop: Header=BB173_3 Depth=1
	ds_store_b128 v60, v[16:19] offset:7808
; %bb.322:                              ;   in Loop: Header=BB173_3 Depth=1
	s_or_b32 exec_lo, exec_lo, s0
	s_wait_dscnt 0x0
	s_barrier_signal -1
	s_barrier_wait -1
	s_barrier_signal -1
	s_barrier_wait -1
	s_and_saveexec_b32 s0, s70
	s_cbranch_execz .LBB173_324
; %bb.323:                              ;   in Loop: Header=BB173_3 Depth=1
	ds_load_b128 v[16:19], v110
	s_wait_dscnt 0x0
	ds_store_b128 v183, v[16:19]
	ds_load_b128 v[16:19], v113
	s_wait_dscnt 0x0
	ds_store_b128 v186, v[16:19]
	;; [unrolled: 3-line block ×4, first 2 shown]
.LBB173_324:                            ;   in Loop: Header=BB173_3 Depth=1
	s_or_b32 exec_lo, exec_lo, s0
	s_wait_dscnt 0x0
	s_barrier_signal -1
	s_barrier_wait -1
	s_and_saveexec_b32 s0, s31
	s_cbranch_execz .LBB173_326
; %bb.325:                              ;   in Loop: Header=BB173_3 Depth=1
	ds_load_b128 v[16:19], v1 offset:5808
	ds_load_b128 v[20:23], v1 offset:5280
	s_wait_dscnt 0x0
	v_mul_f64_e32 v[2:3], v[18:19], v[22:23]
	v_mul_f64_e32 v[46:47], v[16:17], v[22:23]
	s_delay_alu instid0(VALU_DEP_2) | instskip(NEXT) | instid1(VALU_DEP_2)
	v_fma_f64 v[2:3], v[16:17], v[20:21], -v[2:3]
	v_fmac_f64_e32 v[46:47], v[18:19], v[20:21]
	ds_load_b128 v[16:19], v1 offset:5792
	s_wait_dscnt 0x0
	v_mul_f64_e32 v[22:23], v[2:3], v[18:19]
	v_mul_f64_e32 v[20:21], v[46:47], v[18:19]
	s_delay_alu instid0(VALU_DEP_2) | instskip(NEXT) | instid1(VALU_DEP_2)
	v_fmac_f64_e32 v[22:23], v[16:17], v[46:47]
	v_fma_f64 v[20:21], v[16:17], v[2:3], -v[20:21]
	ds_store_b128 v1, v[20:23] offset:5792
	ds_store_b128 v1, v[20:23] offset:5296
.LBB173_326:                            ;   in Loop: Header=BB173_3 Depth=1
	s_or_b32 exec_lo, exec_lo, s0
	v_mov_b64_e32 v[16:17], 0
	v_mov_b64_e32 v[18:19], 0
	s_wait_dscnt 0x0
	s_barrier_signal -1
	s_barrier_wait -1
	global_wb scope:SCOPE_DEV
	s_wait_storecnt 0x0
	global_inv scope:SCOPE_DEV
	s_and_saveexec_b32 s0, s3
	s_cbranch_execz .LBB173_330
; %bb.327:                              ;   in Loop: Header=BB173_3 Depth=1
	ds_load_b128 v[16:19], v51 offset:5792
	ds_load_b128 v[20:23], v50 offset:5248
	s_wait_dscnt 0x0
	v_mul_f64_e32 v[2:3], v[18:19], v[22:23]
	v_mul_f64_e32 v[22:23], v[16:17], v[22:23]
	s_delay_alu instid0(VALU_DEP_2) | instskip(NEXT) | instid1(VALU_DEP_2)
	v_fma_f64 v[2:3], v[16:17], v[20:21], -v[2:3]
	v_fmac_f64_e32 v[22:23], v[18:19], v[20:21]
	s_delay_alu instid0(VALU_DEP_2) | instskip(NEXT) | instid1(VALU_DEP_2)
	v_add_f64_e32 v[16:17], 0, v[2:3]
	v_add_f64_e32 v[18:19], 0, v[22:23]
	s_and_saveexec_b32 s1, s4
	s_cbranch_execz .LBB173_329
; %bb.328:                              ;   in Loop: Header=BB173_3 Depth=1
	ds_load_b128 v[20:23], v1 offset:5808
	ds_load_b128 v[208:211], v107 offset:5760
	s_wait_dscnt 0x0
	v_mul_f64_e32 v[2:3], v[22:23], v[210:211]
	s_delay_alu instid0(VALU_DEP_1) | instskip(SKIP_1) | instid1(VALU_DEP_2)
	v_fma_f64 v[2:3], v[20:21], v[208:209], -v[2:3]
	v_mul_f64_e32 v[20:21], v[20:21], v[210:211]
	v_add_f64_e32 v[16:17], v[16:17], v[2:3]
	s_delay_alu instid0(VALU_DEP_2) | instskip(NEXT) | instid1(VALU_DEP_1)
	v_fmac_f64_e32 v[20:21], v[22:23], v[208:209]
	v_add_f64_e32 v[18:19], v[18:19], v[20:21]
.LBB173_329:                            ;   in Loop: Header=BB173_3 Depth=1
	s_or_b32 exec_lo, exec_lo, s1
.LBB173_330:                            ;   in Loop: Header=BB173_3 Depth=1
	s_delay_alu instid0(SALU_CYCLE_1)
	s_or_b32 exec_lo, exec_lo, s0
	s_and_saveexec_b32 s0, s61
	s_cbranch_execz .LBB173_332
; %bb.331:                              ;   in Loop: Header=BB173_3 Depth=1
	ds_load_b128 v[20:23], v1 offset:4752
	s_wait_dscnt 0x0
	v_mul_f64_e32 v[2:3], v[18:19], v[22:23]
	v_mul_f64_e32 v[22:23], v[16:17], v[22:23]
	s_delay_alu instid0(VALU_DEP_1) | instskip(NEXT) | instid1(VALU_DEP_1)
	v_fmac_f64_e32 v[22:23], v[18:19], v[20:21]
	v_dual_fma_f64 v[2:3], v[16:17], v[20:21], -v[2:3] :: v_dual_mov_b32 v18, v22
	s_delay_alu instid0(VALU_DEP_1) | instskip(NEXT) | instid1(VALU_DEP_3)
	v_xor_b32_e32 v17, 0x80000000, v3
	v_xor_b32_e32 v19, 0x80000000, v23
	s_delay_alu instid0(VALU_DEP_3)
	v_mov_b32_e32 v16, v2
	ds_store_b128 v25, v[16:19]
	v_mov_b64_e32 v[16:17], v[2:3]
	v_mov_b64_e32 v[18:19], v[22:23]
.LBB173_332:                            ;   in Loop: Header=BB173_3 Depth=1
	s_or_b32 exec_lo, exec_lo, s0
	s_wait_loadcnt_dscnt 0x0
	s_barrier_signal -1
	s_barrier_wait -1
	s_and_saveexec_b32 s0, s62
	s_cbranch_execz .LBB173_334
; %bb.333:                              ;   in Loop: Header=BB173_3 Depth=1
	ds_load_b128 v[20:23], v25
	ds_load_b128 v[208:211], v1 offset:4736
	s_wait_dscnt 0x0
	v_mul_f64_e32 v[2:3], v[22:23], v[210:211]
	s_delay_alu instid0(VALU_DEP_1) | instskip(SKIP_1) | instid1(VALU_DEP_2)
	v_fma_f64 v[2:3], v[20:21], v[208:209], -v[2:3]
	v_mul_f64_e32 v[20:21], v[20:21], v[210:211]
	v_add_f64_e64 v[16:17], v[16:17], -v[2:3]
	s_delay_alu instid0(VALU_DEP_2) | instskip(NEXT) | instid1(VALU_DEP_1)
	v_fmac_f64_e32 v[20:21], v[22:23], v[208:209]
	v_add_f64_e64 v[18:19], v[18:19], -v[20:21]
.LBB173_334:                            ;   in Loop: Header=BB173_3 Depth=1
	s_or_b32 exec_lo, exec_lo, s0
	s_barrier_signal -1
	s_barrier_wait -1
	s_and_saveexec_b32 s0, s62
	s_cbranch_execz .LBB173_336
; %bb.335:                              ;   in Loop: Header=BB173_3 Depth=1
	ds_load_b128 v[20:23], v1 offset:4224
	s_wait_dscnt 0x0
	v_mul_f64_e32 v[2:3], v[18:19], v[22:23]
	v_mul_f64_e32 v[22:23], v[16:17], v[22:23]
	s_delay_alu instid0(VALU_DEP_1) | instskip(NEXT) | instid1(VALU_DEP_1)
	v_fmac_f64_e32 v[22:23], v[18:19], v[20:21]
	v_dual_fma_f64 v[2:3], v[16:17], v[20:21], -v[2:3] :: v_dual_mov_b32 v18, v22
	s_delay_alu instid0(VALU_DEP_1) | instskip(NEXT) | instid1(VALU_DEP_3)
	v_xor_b32_e32 v17, 0x80000000, v3
	v_xor_b32_e32 v19, 0x80000000, v23
	s_delay_alu instid0(VALU_DEP_3)
	v_mov_b32_e32 v16, v2
	ds_store_b128 v25, v[16:19]
	v_mov_b64_e32 v[16:17], v[2:3]
	v_mov_b64_e32 v[18:19], v[22:23]
.LBB173_336:                            ;   in Loop: Header=BB173_3 Depth=1
	s_or_b32 exec_lo, exec_lo, s0
	s_wait_dscnt 0x0
	s_barrier_signal -1
	s_barrier_wait -1
	s_barrier_signal -1
	s_barrier_wait -1
	s_and_saveexec_b32 s0, s3
; %bb.337:                              ;   in Loop: Header=BB173_3 Depth=1
	ds_store_b128 v53, v[16:19] offset:5760
; %bb.338:                              ;   in Loop: Header=BB173_3 Depth=1
	s_or_b32 exec_lo, exec_lo, s0
	s_wait_dscnt 0x0
	s_barrier_signal -1
	s_barrier_wait -1
	s_barrier_signal -1
	s_barrier_wait -1
	s_and_saveexec_b32 s0, s63
	s_cbranch_execz .LBB173_340
; %bb.339:                              ;   in Loop: Header=BB173_3 Depth=1
	ds_load_b128 v[16:19], v123
	s_wait_dscnt 0x0
	ds_store_b128 v187, v[16:19]
	ds_load_b128 v[16:19], v124
	s_wait_dscnt 0x0
	ds_store_b128 v188, v[16:19]
.LBB173_340:                            ;   in Loop: Header=BB173_3 Depth=1
	s_or_b32 exec_lo, exec_lo, s0
	s_wait_dscnt 0x0
	s_barrier_signal -1
	s_barrier_wait -1
	s_and_saveexec_b32 s0, s31
	s_cbranch_execz .LBB173_342
; %bb.341:                              ;   in Loop: Header=BB173_3 Depth=1
	ds_load_b128 v[16:19], v1 offset:4752
	ds_load_b128 v[20:23], v1 offset:4224
	s_wait_dscnt 0x0
	v_mul_f64_e32 v[2:3], v[18:19], v[22:23]
	v_mul_f64_e32 v[46:47], v[16:17], v[22:23]
	s_delay_alu instid0(VALU_DEP_2) | instskip(NEXT) | instid1(VALU_DEP_2)
	v_fma_f64 v[2:3], v[16:17], v[20:21], -v[2:3]
	v_fmac_f64_e32 v[46:47], v[18:19], v[20:21]
	ds_load_b128 v[16:19], v1 offset:4736
	s_wait_dscnt 0x0
	v_mul_f64_e32 v[22:23], v[2:3], v[18:19]
	v_mul_f64_e32 v[20:21], v[46:47], v[18:19]
	s_delay_alu instid0(VALU_DEP_2) | instskip(NEXT) | instid1(VALU_DEP_2)
	v_fmac_f64_e32 v[22:23], v[16:17], v[46:47]
	v_fma_f64 v[20:21], v[16:17], v[2:3], -v[20:21]
	ds_store_b128 v1, v[20:23] offset:4736
	ds_store_b128 v1, v[20:23] offset:4240
.LBB173_342:                            ;   in Loop: Header=BB173_3 Depth=1
	s_or_b32 exec_lo, exec_lo, s0
	v_mov_b64_e32 v[18:19], 0
	v_mov_b64_e32 v[16:17], 0
	s_wait_dscnt 0x0
	s_barrier_signal -1
	s_barrier_wait -1
	global_wb scope:SCOPE_DEV
	s_wait_storecnt 0x0
	global_inv scope:SCOPE_DEV
	s_and_saveexec_b32 s0, s8
	s_cbranch_execz .LBB173_352
; %bb.343:                              ;   in Loop: Header=BB173_3 Depth=1
	ds_load_b128 v[16:19], v63 offset:7808
	ds_load_b128 v[20:23], v62 offset:4096
	s_wait_dscnt 0x0
	v_mul_f64_e32 v[2:3], v[18:19], v[22:23]
	v_mul_f64_e32 v[22:23], v[16:17], v[22:23]
	s_delay_alu instid0(VALU_DEP_2) | instskip(NEXT) | instid1(VALU_DEP_2)
	v_fma_f64 v[2:3], v[16:17], v[20:21], -v[2:3]
	v_fmac_f64_e32 v[22:23], v[18:19], v[20:21]
	s_delay_alu instid0(VALU_DEP_2) | instskip(NEXT) | instid1(VALU_DEP_2)
	v_add_f64_e32 v[16:17], 0, v[2:3]
	v_add_f64_e32 v[18:19], 0, v[22:23]
	s_and_saveexec_b32 s1, s15
	s_cbranch_execnz .LBB173_566
; %bb.344:                              ;   in Loop: Header=BB173_3 Depth=1
	s_or_b32 exec_lo, exec_lo, s1
	s_and_saveexec_b32 s1, s16
	s_cbranch_execnz .LBB173_567
.LBB173_345:                            ;   in Loop: Header=BB173_3 Depth=1
	s_or_b32 exec_lo, exec_lo, s1
	s_and_saveexec_b32 s1, s17
	s_cbranch_execnz .LBB173_568
.LBB173_346:                            ;   in Loop: Header=BB173_3 Depth=1
	s_or_b32 exec_lo, exec_lo, s1
	s_and_saveexec_b32 s1, s18
	s_cbranch_execnz .LBB173_569
.LBB173_347:                            ;   in Loop: Header=BB173_3 Depth=1
	s_or_b32 exec_lo, exec_lo, s1
	s_and_saveexec_b32 s1, s19
	s_cbranch_execnz .LBB173_570
.LBB173_348:                            ;   in Loop: Header=BB173_3 Depth=1
	s_or_b32 exec_lo, exec_lo, s1
	s_and_saveexec_b32 s1, s6
	s_cbranch_execnz .LBB173_571
.LBB173_349:                            ;   in Loop: Header=BB173_3 Depth=1
	s_or_b32 exec_lo, exec_lo, s1
	s_and_saveexec_b32 s1, s14
	s_cbranch_execz .LBB173_351
.LBB173_350:                            ;   in Loop: Header=BB173_3 Depth=1
	ds_load_b128 v[20:23], v1 offset:7920
	ds_load_b128 v[208:211], v52 offset:7680
	s_wait_dscnt 0x0
	v_mul_f64_e32 v[2:3], v[22:23], v[210:211]
	s_delay_alu instid0(VALU_DEP_1) | instskip(SKIP_1) | instid1(VALU_DEP_2)
	v_fma_f64 v[2:3], v[20:21], v[208:209], -v[2:3]
	v_mul_f64_e32 v[20:21], v[20:21], v[210:211]
	v_add_f64_e32 v[16:17], v[16:17], v[2:3]
	s_delay_alu instid0(VALU_DEP_2) | instskip(NEXT) | instid1(VALU_DEP_1)
	v_fmac_f64_e32 v[20:21], v[22:23], v[208:209]
	v_add_f64_e32 v[18:19], v[18:19], v[20:21]
.LBB173_351:                            ;   in Loop: Header=BB173_3 Depth=1
	s_or_b32 exec_lo, exec_lo, s1
.LBB173_352:                            ;   in Loop: Header=BB173_3 Depth=1
	s_delay_alu instid0(SALU_CYCLE_1)
	s_or_b32 exec_lo, exec_lo, s0
	s_and_saveexec_b32 s0, s71
	s_cbranch_execz .LBB173_354
; %bb.353:                              ;   in Loop: Header=BB173_3 Depth=1
	ds_load_b128 v[20:23], v1 offset:3696
	s_wait_dscnt 0x0
	v_mul_f64_e32 v[2:3], v[18:19], v[22:23]
	v_mul_f64_e32 v[22:23], v[16:17], v[22:23]
	s_delay_alu instid0(VALU_DEP_1) | instskip(NEXT) | instid1(VALU_DEP_1)
	v_fmac_f64_e32 v[22:23], v[18:19], v[20:21]
	v_dual_fma_f64 v[2:3], v[16:17], v[20:21], -v[2:3] :: v_dual_mov_b32 v18, v22
	s_delay_alu instid0(VALU_DEP_1) | instskip(NEXT) | instid1(VALU_DEP_3)
	v_xor_b32_e32 v17, 0x80000000, v3
	v_xor_b32_e32 v19, 0x80000000, v23
	s_delay_alu instid0(VALU_DEP_3)
	v_mov_b32_e32 v16, v2
	ds_store_b128 v61, v[16:19]
	v_mov_b64_e32 v[16:17], v[2:3]
	v_mov_b64_e32 v[18:19], v[22:23]
.LBB173_354:                            ;   in Loop: Header=BB173_3 Depth=1
	s_or_b32 exec_lo, exec_lo, s0
	s_wait_loadcnt_dscnt 0x0
	s_barrier_signal -1
	s_barrier_wait -1
	s_and_saveexec_b32 s0, s72
	s_cbranch_execz .LBB173_356
; %bb.355:                              ;   in Loop: Header=BB173_3 Depth=1
	ds_load_b128 v[20:23], v61
	ds_load_b128 v[208:211], v62 offset:3584
	s_wait_dscnt 0x0
	v_mul_f64_e32 v[2:3], v[22:23], v[210:211]
	s_delay_alu instid0(VALU_DEP_1) | instskip(SKIP_1) | instid1(VALU_DEP_2)
	v_fma_f64 v[2:3], v[20:21], v[208:209], -v[2:3]
	v_mul_f64_e32 v[20:21], v[20:21], v[210:211]
	v_add_f64_e64 v[16:17], v[16:17], -v[2:3]
	s_delay_alu instid0(VALU_DEP_2) | instskip(NEXT) | instid1(VALU_DEP_1)
	v_fmac_f64_e32 v[20:21], v[22:23], v[208:209]
	v_add_f64_e64 v[18:19], v[18:19], -v[20:21]
.LBB173_356:                            ;   in Loop: Header=BB173_3 Depth=1
	s_or_b32 exec_lo, exec_lo, s0
	s_barrier_signal -1
	s_barrier_wait -1
	s_and_saveexec_b32 s0, s73
	s_cbranch_execz .LBB173_358
; %bb.357:                              ;   in Loop: Header=BB173_3 Depth=1
	ds_load_b128 v[20:23], v1 offset:3168
	s_wait_dscnt 0x0
	v_mul_f64_e32 v[2:3], v[18:19], v[22:23]
	v_mul_f64_e32 v[22:23], v[16:17], v[22:23]
	s_delay_alu instid0(VALU_DEP_1) | instskip(NEXT) | instid1(VALU_DEP_1)
	v_fmac_f64_e32 v[22:23], v[18:19], v[20:21]
	v_dual_fma_f64 v[2:3], v[16:17], v[20:21], -v[2:3] :: v_dual_mov_b32 v18, v22
	s_delay_alu instid0(VALU_DEP_1) | instskip(NEXT) | instid1(VALU_DEP_3)
	v_xor_b32_e32 v17, 0x80000000, v3
	v_xor_b32_e32 v19, 0x80000000, v23
	s_delay_alu instid0(VALU_DEP_3)
	v_mov_b32_e32 v16, v2
	ds_store_b128 v61, v[16:19]
	v_mov_b64_e32 v[16:17], v[2:3]
	v_mov_b64_e32 v[18:19], v[22:23]
.LBB173_358:                            ;   in Loop: Header=BB173_3 Depth=1
	s_or_b32 exec_lo, exec_lo, s0
	s_wait_dscnt 0x0
	s_barrier_signal -1
	s_barrier_wait -1
	s_and_saveexec_b32 s0, s74
	s_cbranch_execz .LBB173_360
; %bb.359:                              ;   in Loop: Header=BB173_3 Depth=1
	ds_load_b128 v[20:23], v61
	ds_load_b128 v[208:211], v62 offset:3072
	s_wait_dscnt 0x0
	v_mul_f64_e32 v[2:3], v[22:23], v[210:211]
	s_delay_alu instid0(VALU_DEP_1) | instskip(SKIP_1) | instid1(VALU_DEP_2)
	v_fma_f64 v[2:3], v[20:21], v[208:209], -v[2:3]
	v_mul_f64_e32 v[20:21], v[20:21], v[210:211]
	v_add_f64_e64 v[16:17], v[16:17], -v[2:3]
	s_delay_alu instid0(VALU_DEP_2) | instskip(NEXT) | instid1(VALU_DEP_1)
	v_fmac_f64_e32 v[20:21], v[22:23], v[208:209]
	v_add_f64_e64 v[18:19], v[18:19], -v[20:21]
.LBB173_360:                            ;   in Loop: Header=BB173_3 Depth=1
	s_or_b32 exec_lo, exec_lo, s0
	s_barrier_signal -1
	s_barrier_wait -1
	s_and_saveexec_b32 s0, s75
	s_cbranch_execz .LBB173_362
; %bb.361:                              ;   in Loop: Header=BB173_3 Depth=1
	ds_load_b128 v[20:23], v1 offset:2640
	s_wait_dscnt 0x0
	v_mul_f64_e32 v[2:3], v[18:19], v[22:23]
	v_mul_f64_e32 v[22:23], v[16:17], v[22:23]
	s_delay_alu instid0(VALU_DEP_1) | instskip(NEXT) | instid1(VALU_DEP_1)
	v_fmac_f64_e32 v[22:23], v[18:19], v[20:21]
	v_dual_fma_f64 v[2:3], v[16:17], v[20:21], -v[2:3] :: v_dual_mov_b32 v18, v22
	s_delay_alu instid0(VALU_DEP_1) | instskip(NEXT) | instid1(VALU_DEP_3)
	v_xor_b32_e32 v17, 0x80000000, v3
	v_xor_b32_e32 v19, 0x80000000, v23
	s_delay_alu instid0(VALU_DEP_3)
	v_mov_b32_e32 v16, v2
	ds_store_b128 v61, v[16:19]
	v_mov_b64_e32 v[16:17], v[2:3]
	v_mov_b64_e32 v[18:19], v[22:23]
.LBB173_362:                            ;   in Loop: Header=BB173_3 Depth=1
	s_or_b32 exec_lo, exec_lo, s0
	s_wait_dscnt 0x0
	s_barrier_signal -1
	s_barrier_wait -1
	s_and_saveexec_b32 s0, s76
	s_cbranch_execz .LBB173_364
; %bb.363:                              ;   in Loop: Header=BB173_3 Depth=1
	ds_load_b128 v[20:23], v61
	ds_load_b128 v[208:211], v62 offset:2560
	s_wait_dscnt 0x0
	v_mul_f64_e32 v[2:3], v[22:23], v[210:211]
	s_delay_alu instid0(VALU_DEP_1) | instskip(SKIP_1) | instid1(VALU_DEP_2)
	v_fma_f64 v[2:3], v[20:21], v[208:209], -v[2:3]
	v_mul_f64_e32 v[20:21], v[20:21], v[210:211]
	v_add_f64_e64 v[16:17], v[16:17], -v[2:3]
	s_delay_alu instid0(VALU_DEP_2) | instskip(NEXT) | instid1(VALU_DEP_1)
	v_fmac_f64_e32 v[20:21], v[22:23], v[208:209]
	v_add_f64_e64 v[18:19], v[18:19], -v[20:21]
.LBB173_364:                            ;   in Loop: Header=BB173_3 Depth=1
	s_or_b32 exec_lo, exec_lo, s0
	s_barrier_signal -1
	s_barrier_wait -1
	s_and_saveexec_b32 s0, s77
	s_cbranch_execz .LBB173_366
; %bb.365:                              ;   in Loop: Header=BB173_3 Depth=1
	ds_load_b128 v[20:23], v1 offset:2112
	s_wait_dscnt 0x0
	v_mul_f64_e32 v[2:3], v[18:19], v[22:23]
	v_mul_f64_e32 v[22:23], v[16:17], v[22:23]
	s_delay_alu instid0(VALU_DEP_1) | instskip(NEXT) | instid1(VALU_DEP_1)
	v_fmac_f64_e32 v[22:23], v[18:19], v[20:21]
	v_dual_fma_f64 v[2:3], v[16:17], v[20:21], -v[2:3] :: v_dual_mov_b32 v18, v22
	s_delay_alu instid0(VALU_DEP_1) | instskip(NEXT) | instid1(VALU_DEP_3)
	v_xor_b32_e32 v17, 0x80000000, v3
	v_xor_b32_e32 v19, 0x80000000, v23
	s_delay_alu instid0(VALU_DEP_3)
	v_mov_b32_e32 v16, v2
	ds_store_b128 v61, v[16:19]
	v_mov_b64_e32 v[16:17], v[2:3]
	v_mov_b64_e32 v[18:19], v[22:23]
.LBB173_366:                            ;   in Loop: Header=BB173_3 Depth=1
	s_or_b32 exec_lo, exec_lo, s0
	s_wait_dscnt 0x0
	s_barrier_signal -1
	s_barrier_wait -1
	s_and_saveexec_b32 s0, s78
	s_cbranch_execz .LBB173_368
; %bb.367:                              ;   in Loop: Header=BB173_3 Depth=1
	ds_load_b128 v[20:23], v61
	ds_load_b128 v[208:211], v62 offset:2048
	s_wait_dscnt 0x0
	v_mul_f64_e32 v[2:3], v[22:23], v[210:211]
	s_delay_alu instid0(VALU_DEP_1) | instskip(SKIP_1) | instid1(VALU_DEP_2)
	v_fma_f64 v[2:3], v[20:21], v[208:209], -v[2:3]
	v_mul_f64_e32 v[20:21], v[20:21], v[210:211]
	v_add_f64_e64 v[16:17], v[16:17], -v[2:3]
	s_delay_alu instid0(VALU_DEP_2) | instskip(NEXT) | instid1(VALU_DEP_1)
	v_fmac_f64_e32 v[20:21], v[22:23], v[208:209]
	v_add_f64_e64 v[18:19], v[18:19], -v[20:21]
.LBB173_368:                            ;   in Loop: Header=BB173_3 Depth=1
	s_or_b32 exec_lo, exec_lo, s0
	s_barrier_signal -1
	s_barrier_wait -1
	s_and_saveexec_b32 s0, s79
	s_cbranch_execz .LBB173_370
; %bb.369:                              ;   in Loop: Header=BB173_3 Depth=1
	ds_load_b128 v[20:23], v1 offset:1584
	s_wait_dscnt 0x0
	v_mul_f64_e32 v[2:3], v[18:19], v[22:23]
	v_mul_f64_e32 v[22:23], v[16:17], v[22:23]
	s_delay_alu instid0(VALU_DEP_1) | instskip(NEXT) | instid1(VALU_DEP_1)
	v_fmac_f64_e32 v[22:23], v[18:19], v[20:21]
	v_dual_fma_f64 v[2:3], v[16:17], v[20:21], -v[2:3] :: v_dual_mov_b32 v18, v22
	s_delay_alu instid0(VALU_DEP_1) | instskip(NEXT) | instid1(VALU_DEP_3)
	v_xor_b32_e32 v17, 0x80000000, v3
	v_xor_b32_e32 v19, 0x80000000, v23
	s_delay_alu instid0(VALU_DEP_3)
	v_mov_b32_e32 v16, v2
	ds_store_b128 v61, v[16:19]
	v_mov_b64_e32 v[16:17], v[2:3]
	v_mov_b64_e32 v[18:19], v[22:23]
.LBB173_370:                            ;   in Loop: Header=BB173_3 Depth=1
	s_or_b32 exec_lo, exec_lo, s0
	s_wait_dscnt 0x0
	s_barrier_signal -1
	s_barrier_wait -1
	s_and_saveexec_b32 s0, s80
	s_cbranch_execz .LBB173_372
; %bb.371:                              ;   in Loop: Header=BB173_3 Depth=1
	ds_load_b128 v[20:23], v61
	ds_load_b128 v[208:211], v62 offset:1536
	s_wait_dscnt 0x0
	v_mul_f64_e32 v[2:3], v[22:23], v[210:211]
	s_delay_alu instid0(VALU_DEP_1) | instskip(SKIP_1) | instid1(VALU_DEP_2)
	v_fma_f64 v[2:3], v[20:21], v[208:209], -v[2:3]
	v_mul_f64_e32 v[20:21], v[20:21], v[210:211]
	v_add_f64_e64 v[16:17], v[16:17], -v[2:3]
	s_delay_alu instid0(VALU_DEP_2) | instskip(NEXT) | instid1(VALU_DEP_1)
	v_fmac_f64_e32 v[20:21], v[22:23], v[208:209]
	v_add_f64_e64 v[18:19], v[18:19], -v[20:21]
.LBB173_372:                            ;   in Loop: Header=BB173_3 Depth=1
	s_or_b32 exec_lo, exec_lo, s0
	s_barrier_signal -1
	s_barrier_wait -1
	s_and_saveexec_b32 s0, s81
	s_cbranch_execz .LBB173_374
; %bb.373:                              ;   in Loop: Header=BB173_3 Depth=1
	ds_load_b128 v[20:23], v1 offset:1056
	s_wait_dscnt 0x0
	v_mul_f64_e32 v[2:3], v[18:19], v[22:23]
	v_mul_f64_e32 v[22:23], v[16:17], v[22:23]
	s_delay_alu instid0(VALU_DEP_1) | instskip(NEXT) | instid1(VALU_DEP_1)
	v_fmac_f64_e32 v[22:23], v[18:19], v[20:21]
	v_dual_fma_f64 v[2:3], v[16:17], v[20:21], -v[2:3] :: v_dual_mov_b32 v18, v22
	s_delay_alu instid0(VALU_DEP_1) | instskip(NEXT) | instid1(VALU_DEP_3)
	v_xor_b32_e32 v17, 0x80000000, v3
	v_xor_b32_e32 v19, 0x80000000, v23
	s_delay_alu instid0(VALU_DEP_3)
	v_mov_b32_e32 v16, v2
	ds_store_b128 v61, v[16:19]
	v_mov_b64_e32 v[16:17], v[2:3]
	v_mov_b64_e32 v[18:19], v[22:23]
.LBB173_374:                            ;   in Loop: Header=BB173_3 Depth=1
	s_or_b32 exec_lo, exec_lo, s0
	s_wait_dscnt 0x0
	s_barrier_signal -1
	s_barrier_wait -1
	s_and_saveexec_b32 s0, s82
	s_cbranch_execz .LBB173_376
; %bb.375:                              ;   in Loop: Header=BB173_3 Depth=1
	ds_load_b128 v[20:23], v61
	ds_load_b128 v[208:211], v62 offset:1024
	s_wait_dscnt 0x0
	v_mul_f64_e32 v[2:3], v[22:23], v[210:211]
	s_delay_alu instid0(VALU_DEP_1) | instskip(SKIP_1) | instid1(VALU_DEP_2)
	v_fma_f64 v[2:3], v[20:21], v[208:209], -v[2:3]
	v_mul_f64_e32 v[20:21], v[20:21], v[210:211]
	v_add_f64_e64 v[16:17], v[16:17], -v[2:3]
	s_delay_alu instid0(VALU_DEP_2) | instskip(NEXT) | instid1(VALU_DEP_1)
	v_fmac_f64_e32 v[20:21], v[22:23], v[208:209]
	v_add_f64_e64 v[18:19], v[18:19], -v[20:21]
.LBB173_376:                            ;   in Loop: Header=BB173_3 Depth=1
	s_or_b32 exec_lo, exec_lo, s0
	s_barrier_signal -1
	s_barrier_wait -1
	s_and_saveexec_b32 s0, s83
	s_cbranch_execz .LBB173_378
; %bb.377:                              ;   in Loop: Header=BB173_3 Depth=1
	ds_load_b128 v[20:23], v1 offset:528
	s_wait_dscnt 0x0
	v_mul_f64_e32 v[2:3], v[18:19], v[22:23]
	v_mul_f64_e32 v[22:23], v[16:17], v[22:23]
	s_delay_alu instid0(VALU_DEP_1) | instskip(NEXT) | instid1(VALU_DEP_1)
	v_fmac_f64_e32 v[22:23], v[18:19], v[20:21]
	v_dual_fma_f64 v[2:3], v[16:17], v[20:21], -v[2:3] :: v_dual_mov_b32 v18, v22
	s_delay_alu instid0(VALU_DEP_1) | instskip(NEXT) | instid1(VALU_DEP_3)
	v_xor_b32_e32 v17, 0x80000000, v3
	v_xor_b32_e32 v19, 0x80000000, v23
	s_delay_alu instid0(VALU_DEP_3)
	v_mov_b32_e32 v16, v2
	ds_store_b128 v61, v[16:19]
	v_mov_b64_e32 v[16:17], v[2:3]
	v_mov_b64_e32 v[18:19], v[22:23]
.LBB173_378:                            ;   in Loop: Header=BB173_3 Depth=1
	s_or_b32 exec_lo, exec_lo, s0
	s_wait_dscnt 0x0
	s_barrier_signal -1
	s_barrier_wait -1
	s_and_saveexec_b32 s0, s84
	s_cbranch_execz .LBB173_380
; %bb.379:                              ;   in Loop: Header=BB173_3 Depth=1
	ds_load_b128 v[20:23], v61
	ds_load_b128 v[208:211], v1 offset:512
	s_wait_dscnt 0x0
	v_mul_f64_e32 v[2:3], v[22:23], v[210:211]
	s_delay_alu instid0(VALU_DEP_1) | instskip(SKIP_1) | instid1(VALU_DEP_2)
	v_fma_f64 v[2:3], v[20:21], v[208:209], -v[2:3]
	v_mul_f64_e32 v[20:21], v[20:21], v[210:211]
	v_add_f64_e64 v[16:17], v[16:17], -v[2:3]
	s_delay_alu instid0(VALU_DEP_2) | instskip(NEXT) | instid1(VALU_DEP_1)
	v_fmac_f64_e32 v[20:21], v[22:23], v[208:209]
	v_add_f64_e64 v[18:19], v[18:19], -v[20:21]
.LBB173_380:                            ;   in Loop: Header=BB173_3 Depth=1
	s_or_b32 exec_lo, exec_lo, s0
	s_barrier_signal -1
	s_barrier_wait -1
	s_and_saveexec_b32 s0, s84
	s_cbranch_execz .LBB173_382
; %bb.381:                              ;   in Loop: Header=BB173_3 Depth=1
	ds_load_b128 v[20:23], v1
	s_wait_dscnt 0x0
	v_mul_f64_e32 v[2:3], v[18:19], v[22:23]
	v_mul_f64_e32 v[22:23], v[16:17], v[22:23]
	s_delay_alu instid0(VALU_DEP_1) | instskip(NEXT) | instid1(VALU_DEP_1)
	v_fmac_f64_e32 v[22:23], v[18:19], v[20:21]
	v_dual_fma_f64 v[2:3], v[16:17], v[20:21], -v[2:3] :: v_dual_mov_b32 v18, v22
	s_delay_alu instid0(VALU_DEP_1) | instskip(NEXT) | instid1(VALU_DEP_3)
	v_xor_b32_e32 v17, 0x80000000, v3
	v_xor_b32_e32 v19, 0x80000000, v23
	s_delay_alu instid0(VALU_DEP_3)
	v_mov_b32_e32 v16, v2
	ds_store_b128 v61, v[16:19]
	v_mov_b64_e32 v[16:17], v[2:3]
	v_mov_b64_e32 v[18:19], v[22:23]
.LBB173_382:                            ;   in Loop: Header=BB173_3 Depth=1
	s_or_b32 exec_lo, exec_lo, s0
	s_wait_dscnt 0x0
	s_barrier_signal -1
	s_barrier_wait -1
	s_barrier_signal -1
	s_barrier_wait -1
	s_and_saveexec_b32 s0, s8
; %bb.383:                              ;   in Loop: Header=BB173_3 Depth=1
	ds_store_b128 v64, v[16:19] offset:7680
; %bb.384:                              ;   in Loop: Header=BB173_3 Depth=1
	s_or_b32 exec_lo, exec_lo, s0
	s_wait_dscnt 0x0
	s_barrier_signal -1
	s_barrier_wait -1
	s_barrier_signal -1
	s_barrier_wait -1
	s_and_saveexec_b32 s0, s85
	s_cbranch_execz .LBB173_386
; %bb.385:                              ;   in Loop: Header=BB173_3 Depth=1
	ds_load_b128 v[16:19], v95
	s_wait_dscnt 0x0
	ds_store_b128 v189, v[16:19]
	ds_load_b128 v[16:19], v96
	s_wait_dscnt 0x0
	ds_store_b128 v190, v[16:19]
	;; [unrolled: 3-line block ×8, first 2 shown]
.LBB173_386:                            ;   in Loop: Header=BB173_3 Depth=1
	s_or_b32 exec_lo, exec_lo, s0
	s_wait_dscnt 0x0
	s_barrier_signal -1
	s_barrier_wait -1
	s_and_saveexec_b32 s0, s31
	s_cbranch_execz .LBB173_388
; %bb.387:                              ;   in Loop: Header=BB173_3 Depth=1
	ds_load_b128 v[16:19], v1 offset:3696
	ds_load_b128 v[20:23], v1 offset:3168
	s_wait_dscnt 0x0
	v_mul_f64_e32 v[2:3], v[18:19], v[22:23]
	v_mul_f64_e32 v[46:47], v[16:17], v[22:23]
	s_delay_alu instid0(VALU_DEP_2) | instskip(NEXT) | instid1(VALU_DEP_2)
	v_fma_f64 v[2:3], v[16:17], v[20:21], -v[2:3]
	v_fmac_f64_e32 v[46:47], v[18:19], v[20:21]
	ds_load_b128 v[16:19], v1 offset:3680
	s_wait_dscnt 0x0
	v_mul_f64_e32 v[22:23], v[2:3], v[18:19]
	v_mul_f64_e32 v[20:21], v[46:47], v[18:19]
	s_delay_alu instid0(VALU_DEP_2) | instskip(NEXT) | instid1(VALU_DEP_2)
	v_fmac_f64_e32 v[22:23], v[16:17], v[46:47]
	v_fma_f64 v[20:21], v[16:17], v[2:3], -v[20:21]
	ds_store_b128 v1, v[20:23] offset:3680
	ds_store_b128 v1, v[20:23] offset:3184
.LBB173_388:                            ;   in Loop: Header=BB173_3 Depth=1
	s_or_b32 exec_lo, exec_lo, s0
	v_mov_b64_e32 v[16:17], 0
	v_mov_b64_e32 v[18:19], 0
	s_wait_dscnt 0x0
	s_barrier_signal -1
	s_barrier_wait -1
	global_wb scope:SCOPE_DEV
	s_wait_storecnt 0x0
	global_inv scope:SCOPE_DEV
	s_and_saveexec_b32 s0, s3
	s_cbranch_execz .LBB173_392
; %bb.389:                              ;   in Loop: Header=BB173_3 Depth=1
	ds_load_b128 v[16:19], v51 offset:3680
	ds_load_b128 v[20:23], v50 offset:3136
	s_wait_dscnt 0x0
	v_mul_f64_e32 v[2:3], v[18:19], v[22:23]
	v_mul_f64_e32 v[22:23], v[16:17], v[22:23]
	s_delay_alu instid0(VALU_DEP_2) | instskip(NEXT) | instid1(VALU_DEP_2)
	v_fma_f64 v[2:3], v[16:17], v[20:21], -v[2:3]
	v_fmac_f64_e32 v[22:23], v[18:19], v[20:21]
	s_delay_alu instid0(VALU_DEP_2) | instskip(NEXT) | instid1(VALU_DEP_2)
	v_add_f64_e32 v[16:17], 0, v[2:3]
	v_add_f64_e32 v[18:19], 0, v[22:23]
	s_and_saveexec_b32 s1, s4
	s_cbranch_execz .LBB173_391
; %bb.390:                              ;   in Loop: Header=BB173_3 Depth=1
	ds_load_b128 v[20:23], v1 offset:3696
	ds_load_b128 v[208:211], v56 offset:3648
	s_wait_dscnt 0x0
	v_mul_f64_e32 v[2:3], v[22:23], v[210:211]
	s_delay_alu instid0(VALU_DEP_1) | instskip(SKIP_1) | instid1(VALU_DEP_2)
	v_fma_f64 v[2:3], v[20:21], v[208:209], -v[2:3]
	v_mul_f64_e32 v[20:21], v[20:21], v[210:211]
	v_add_f64_e32 v[16:17], v[16:17], v[2:3]
	s_delay_alu instid0(VALU_DEP_2) | instskip(NEXT) | instid1(VALU_DEP_1)
	v_fmac_f64_e32 v[20:21], v[22:23], v[208:209]
	v_add_f64_e32 v[18:19], v[18:19], v[20:21]
.LBB173_391:                            ;   in Loop: Header=BB173_3 Depth=1
	s_or_b32 exec_lo, exec_lo, s1
.LBB173_392:                            ;   in Loop: Header=BB173_3 Depth=1
	s_delay_alu instid0(SALU_CYCLE_1)
	s_or_b32 exec_lo, exec_lo, s0
	s_and_saveexec_b32 s0, s61
	s_cbranch_execz .LBB173_394
; %bb.393:                              ;   in Loop: Header=BB173_3 Depth=1
	ds_load_b128 v[20:23], v1 offset:2640
	s_wait_dscnt 0x0
	v_mul_f64_e32 v[2:3], v[18:19], v[22:23]
	v_mul_f64_e32 v[22:23], v[16:17], v[22:23]
	s_delay_alu instid0(VALU_DEP_1) | instskip(NEXT) | instid1(VALU_DEP_1)
	v_fmac_f64_e32 v[22:23], v[18:19], v[20:21]
	v_dual_fma_f64 v[2:3], v[16:17], v[20:21], -v[2:3] :: v_dual_mov_b32 v18, v22
	s_delay_alu instid0(VALU_DEP_1) | instskip(NEXT) | instid1(VALU_DEP_3)
	v_xor_b32_e32 v17, 0x80000000, v3
	v_xor_b32_e32 v19, 0x80000000, v23
	s_delay_alu instid0(VALU_DEP_3)
	v_mov_b32_e32 v16, v2
	ds_store_b128 v25, v[16:19]
	v_mov_b64_e32 v[16:17], v[2:3]
	v_mov_b64_e32 v[18:19], v[22:23]
.LBB173_394:                            ;   in Loop: Header=BB173_3 Depth=1
	s_or_b32 exec_lo, exec_lo, s0
	s_wait_loadcnt_dscnt 0x0
	s_barrier_signal -1
	s_barrier_wait -1
	s_and_saveexec_b32 s0, s62
	s_cbranch_execz .LBB173_396
; %bb.395:                              ;   in Loop: Header=BB173_3 Depth=1
	ds_load_b128 v[20:23], v25
	ds_load_b128 v[208:211], v1 offset:2624
	s_wait_dscnt 0x0
	v_mul_f64_e32 v[2:3], v[22:23], v[210:211]
	s_delay_alu instid0(VALU_DEP_1) | instskip(SKIP_1) | instid1(VALU_DEP_2)
	v_fma_f64 v[2:3], v[20:21], v[208:209], -v[2:3]
	v_mul_f64_e32 v[20:21], v[20:21], v[210:211]
	v_add_f64_e64 v[16:17], v[16:17], -v[2:3]
	s_delay_alu instid0(VALU_DEP_2) | instskip(NEXT) | instid1(VALU_DEP_1)
	v_fmac_f64_e32 v[20:21], v[22:23], v[208:209]
	v_add_f64_e64 v[18:19], v[18:19], -v[20:21]
.LBB173_396:                            ;   in Loop: Header=BB173_3 Depth=1
	s_or_b32 exec_lo, exec_lo, s0
	s_barrier_signal -1
	s_barrier_wait -1
	s_and_saveexec_b32 s0, s62
	s_cbranch_execz .LBB173_398
; %bb.397:                              ;   in Loop: Header=BB173_3 Depth=1
	ds_load_b128 v[20:23], v1 offset:2112
	s_wait_dscnt 0x0
	v_mul_f64_e32 v[2:3], v[18:19], v[22:23]
	v_mul_f64_e32 v[22:23], v[16:17], v[22:23]
	s_delay_alu instid0(VALU_DEP_1) | instskip(NEXT) | instid1(VALU_DEP_1)
	v_fmac_f64_e32 v[22:23], v[18:19], v[20:21]
	v_dual_fma_f64 v[2:3], v[16:17], v[20:21], -v[2:3] :: v_dual_mov_b32 v18, v22
	s_delay_alu instid0(VALU_DEP_1) | instskip(NEXT) | instid1(VALU_DEP_3)
	v_xor_b32_e32 v17, 0x80000000, v3
	v_xor_b32_e32 v19, 0x80000000, v23
	s_delay_alu instid0(VALU_DEP_3)
	v_mov_b32_e32 v16, v2
	ds_store_b128 v25, v[16:19]
	v_mov_b64_e32 v[16:17], v[2:3]
	v_mov_b64_e32 v[18:19], v[22:23]
.LBB173_398:                            ;   in Loop: Header=BB173_3 Depth=1
	s_or_b32 exec_lo, exec_lo, s0
	s_wait_dscnt 0x0
	s_barrier_signal -1
	s_barrier_wait -1
	s_barrier_signal -1
	s_barrier_wait -1
	s_and_saveexec_b32 s0, s3
; %bb.399:                              ;   in Loop: Header=BB173_3 Depth=1
	ds_store_b128 v53, v[16:19] offset:3648
; %bb.400:                              ;   in Loop: Header=BB173_3 Depth=1
	s_or_b32 exec_lo, exec_lo, s0
	s_wait_dscnt 0x0
	s_barrier_signal -1
	s_barrier_wait -1
	s_barrier_signal -1
	s_barrier_wait -1
	s_and_saveexec_b32 s0, s63
	s_cbranch_execz .LBB173_402
; %bb.401:                              ;   in Loop: Header=BB173_3 Depth=1
	ds_load_b128 v[16:19], v114
	s_wait_dscnt 0x0
	ds_store_b128 v197, v[16:19]
	ds_load_b128 v[16:19], v115
	s_wait_dscnt 0x0
	ds_store_b128 v198, v[16:19]
.LBB173_402:                            ;   in Loop: Header=BB173_3 Depth=1
	s_or_b32 exec_lo, exec_lo, s0
	s_wait_dscnt 0x0
	s_barrier_signal -1
	s_barrier_wait -1
	s_and_saveexec_b32 s0, s31
	s_cbranch_execz .LBB173_404
; %bb.403:                              ;   in Loop: Header=BB173_3 Depth=1
	ds_load_b128 v[16:19], v1 offset:2640
	ds_load_b128 v[20:23], v1 offset:2112
	s_wait_dscnt 0x0
	v_mul_f64_e32 v[2:3], v[18:19], v[22:23]
	v_mul_f64_e32 v[46:47], v[16:17], v[22:23]
	s_delay_alu instid0(VALU_DEP_2) | instskip(NEXT) | instid1(VALU_DEP_2)
	v_fma_f64 v[2:3], v[16:17], v[20:21], -v[2:3]
	v_fmac_f64_e32 v[46:47], v[18:19], v[20:21]
	ds_load_b128 v[16:19], v1 offset:2624
	s_wait_dscnt 0x0
	v_mul_f64_e32 v[22:23], v[2:3], v[18:19]
	v_mul_f64_e32 v[20:21], v[46:47], v[18:19]
	s_delay_alu instid0(VALU_DEP_2) | instskip(NEXT) | instid1(VALU_DEP_2)
	v_fmac_f64_e32 v[22:23], v[16:17], v[46:47]
	v_fma_f64 v[20:21], v[16:17], v[2:3], -v[20:21]
	ds_store_b128 v1, v[20:23] offset:2624
	ds_store_b128 v1, v[20:23] offset:2128
.LBB173_404:                            ;   in Loop: Header=BB173_3 Depth=1
	s_or_b32 exec_lo, exec_lo, s0
	v_mov_b64_e32 v[18:19], 0
	v_mov_b64_e32 v[16:17], 0
	s_wait_dscnt 0x0
	s_barrier_signal -1
	s_barrier_wait -1
	global_wb scope:SCOPE_DEV
	s_wait_storecnt 0x0
	global_inv scope:SCOPE_DEV
	s_and_saveexec_b32 s0, s6
	s_cbranch_execz .LBB173_410
; %bb.405:                              ;   in Loop: Header=BB173_3 Depth=1
	ds_load_b128 v[16:19], v59 offset:3648
	ds_load_b128 v[20:23], v58 offset:2048
	s_wait_dscnt 0x0
	v_mul_f64_e32 v[2:3], v[18:19], v[22:23]
	v_mul_f64_e32 v[22:23], v[16:17], v[22:23]
	s_delay_alu instid0(VALU_DEP_2) | instskip(NEXT) | instid1(VALU_DEP_2)
	v_fma_f64 v[2:3], v[16:17], v[20:21], -v[2:3]
	v_fmac_f64_e32 v[22:23], v[18:19], v[20:21]
	s_delay_alu instid0(VALU_DEP_2) | instskip(NEXT) | instid1(VALU_DEP_2)
	v_add_f64_e32 v[16:17], 0, v[2:3]
	v_add_f64_e32 v[18:19], 0, v[22:23]
	s_and_saveexec_b32 s1, s7
	s_cbranch_execnz .LBB173_572
; %bb.406:                              ;   in Loop: Header=BB173_3 Depth=1
	s_or_b32 exec_lo, exec_lo, s1
	s_and_saveexec_b32 s1, s14
	s_cbranch_execnz .LBB173_573
.LBB173_407:                            ;   in Loop: Header=BB173_3 Depth=1
	s_or_b32 exec_lo, exec_lo, s1
	s_and_saveexec_b32 s1, s3
	s_cbranch_execz .LBB173_409
.LBB173_408:                            ;   in Loop: Header=BB173_3 Depth=1
	ds_load_b128 v[20:23], v1 offset:3696
	ds_load_b128 v[208:211], v107 offset:3584
	s_wait_dscnt 0x0
	v_mul_f64_e32 v[2:3], v[22:23], v[210:211]
	s_delay_alu instid0(VALU_DEP_1) | instskip(SKIP_1) | instid1(VALU_DEP_2)
	v_fma_f64 v[2:3], v[20:21], v[208:209], -v[2:3]
	v_mul_f64_e32 v[20:21], v[20:21], v[210:211]
	v_add_f64_e32 v[16:17], v[16:17], v[2:3]
	s_delay_alu instid0(VALU_DEP_2) | instskip(NEXT) | instid1(VALU_DEP_1)
	v_fmac_f64_e32 v[20:21], v[22:23], v[208:209]
	v_add_f64_e32 v[18:19], v[18:19], v[20:21]
.LBB173_409:                            ;   in Loop: Header=BB173_3 Depth=1
	s_or_b32 exec_lo, exec_lo, s1
.LBB173_410:                            ;   in Loop: Header=BB173_3 Depth=1
	s_delay_alu instid0(SALU_CYCLE_1)
	s_or_b32 exec_lo, exec_lo, s0
	s_and_saveexec_b32 s0, s64
	s_cbranch_execz .LBB173_412
; %bb.411:                              ;   in Loop: Header=BB173_3 Depth=1
	ds_load_b128 v[20:23], v1 offset:1584
	s_wait_dscnt 0x0
	v_mul_f64_e32 v[2:3], v[18:19], v[22:23]
	v_mul_f64_e32 v[22:23], v[16:17], v[22:23]
	s_delay_alu instid0(VALU_DEP_1) | instskip(NEXT) | instid1(VALU_DEP_1)
	v_fmac_f64_e32 v[22:23], v[18:19], v[20:21]
	v_dual_fma_f64 v[2:3], v[16:17], v[20:21], -v[2:3] :: v_dual_mov_b32 v18, v22
	s_delay_alu instid0(VALU_DEP_1) | instskip(NEXT) | instid1(VALU_DEP_3)
	v_xor_b32_e32 v17, 0x80000000, v3
	v_xor_b32_e32 v19, 0x80000000, v23
	s_delay_alu instid0(VALU_DEP_3)
	v_mov_b32_e32 v16, v2
	ds_store_b128 v57, v[16:19]
	v_mov_b64_e32 v[16:17], v[2:3]
	v_mov_b64_e32 v[18:19], v[22:23]
.LBB173_412:                            ;   in Loop: Header=BB173_3 Depth=1
	s_or_b32 exec_lo, exec_lo, s0
	s_wait_loadcnt_dscnt 0x0
	s_barrier_signal -1
	s_barrier_wait -1
	s_and_saveexec_b32 s0, s65
	s_cbranch_execz .LBB173_414
; %bb.413:                              ;   in Loop: Header=BB173_3 Depth=1
	ds_load_b128 v[20:23], v57
	ds_load_b128 v[208:211], v58 offset:1536
	s_wait_dscnt 0x0
	v_mul_f64_e32 v[2:3], v[22:23], v[210:211]
	s_delay_alu instid0(VALU_DEP_1) | instskip(SKIP_1) | instid1(VALU_DEP_2)
	v_fma_f64 v[2:3], v[20:21], v[208:209], -v[2:3]
	v_mul_f64_e32 v[20:21], v[20:21], v[210:211]
	v_add_f64_e64 v[16:17], v[16:17], -v[2:3]
	s_delay_alu instid0(VALU_DEP_2) | instskip(NEXT) | instid1(VALU_DEP_1)
	v_fmac_f64_e32 v[20:21], v[22:23], v[208:209]
	v_add_f64_e64 v[18:19], v[18:19], -v[20:21]
.LBB173_414:                            ;   in Loop: Header=BB173_3 Depth=1
	s_or_b32 exec_lo, exec_lo, s0
	s_barrier_signal -1
	s_barrier_wait -1
	s_and_saveexec_b32 s0, s66
	s_cbranch_execz .LBB173_416
; %bb.415:                              ;   in Loop: Header=BB173_3 Depth=1
	ds_load_b128 v[20:23], v1 offset:1056
	s_wait_dscnt 0x0
	v_mul_f64_e32 v[2:3], v[18:19], v[22:23]
	v_mul_f64_e32 v[22:23], v[16:17], v[22:23]
	s_delay_alu instid0(VALU_DEP_1) | instskip(NEXT) | instid1(VALU_DEP_1)
	v_fmac_f64_e32 v[22:23], v[18:19], v[20:21]
	v_dual_fma_f64 v[2:3], v[16:17], v[20:21], -v[2:3] :: v_dual_mov_b32 v18, v22
	s_delay_alu instid0(VALU_DEP_1) | instskip(NEXT) | instid1(VALU_DEP_3)
	v_xor_b32_e32 v17, 0x80000000, v3
	v_xor_b32_e32 v19, 0x80000000, v23
	s_delay_alu instid0(VALU_DEP_3)
	v_mov_b32_e32 v16, v2
	ds_store_b128 v57, v[16:19]
	v_mov_b64_e32 v[16:17], v[2:3]
	v_mov_b64_e32 v[18:19], v[22:23]
.LBB173_416:                            ;   in Loop: Header=BB173_3 Depth=1
	s_or_b32 exec_lo, exec_lo, s0
	s_wait_dscnt 0x0
	s_barrier_signal -1
	s_barrier_wait -1
	s_and_saveexec_b32 s0, s67
	s_cbranch_execz .LBB173_418
; %bb.417:                              ;   in Loop: Header=BB173_3 Depth=1
	ds_load_b128 v[20:23], v57
	ds_load_b128 v[208:211], v58 offset:1024
	s_wait_dscnt 0x0
	v_mul_f64_e32 v[2:3], v[22:23], v[210:211]
	s_delay_alu instid0(VALU_DEP_1) | instskip(SKIP_1) | instid1(VALU_DEP_2)
	v_fma_f64 v[2:3], v[20:21], v[208:209], -v[2:3]
	v_mul_f64_e32 v[20:21], v[20:21], v[210:211]
	v_add_f64_e64 v[16:17], v[16:17], -v[2:3]
	s_delay_alu instid0(VALU_DEP_2) | instskip(NEXT) | instid1(VALU_DEP_1)
	v_fmac_f64_e32 v[20:21], v[22:23], v[208:209]
	v_add_f64_e64 v[18:19], v[18:19], -v[20:21]
.LBB173_418:                            ;   in Loop: Header=BB173_3 Depth=1
	s_or_b32 exec_lo, exec_lo, s0
	s_barrier_signal -1
	s_barrier_wait -1
	s_and_saveexec_b32 s0, s68
	s_cbranch_execz .LBB173_420
; %bb.419:                              ;   in Loop: Header=BB173_3 Depth=1
	ds_load_b128 v[20:23], v1 offset:528
	s_wait_dscnt 0x0
	v_mul_f64_e32 v[2:3], v[18:19], v[22:23]
	v_mul_f64_e32 v[22:23], v[16:17], v[22:23]
	s_delay_alu instid0(VALU_DEP_1) | instskip(NEXT) | instid1(VALU_DEP_1)
	v_fmac_f64_e32 v[22:23], v[18:19], v[20:21]
	v_dual_fma_f64 v[2:3], v[16:17], v[20:21], -v[2:3] :: v_dual_mov_b32 v18, v22
	s_delay_alu instid0(VALU_DEP_1) | instskip(NEXT) | instid1(VALU_DEP_3)
	v_xor_b32_e32 v17, 0x80000000, v3
	v_xor_b32_e32 v19, 0x80000000, v23
	s_delay_alu instid0(VALU_DEP_3)
	v_mov_b32_e32 v16, v2
	ds_store_b128 v57, v[16:19]
	v_mov_b64_e32 v[16:17], v[2:3]
	v_mov_b64_e32 v[18:19], v[22:23]
.LBB173_420:                            ;   in Loop: Header=BB173_3 Depth=1
	s_or_b32 exec_lo, exec_lo, s0
	s_wait_dscnt 0x0
	s_barrier_signal -1
	s_barrier_wait -1
	s_and_saveexec_b32 s0, s69
	s_cbranch_execz .LBB173_422
; %bb.421:                              ;   in Loop: Header=BB173_3 Depth=1
	ds_load_b128 v[20:23], v57
	ds_load_b128 v[208:211], v1 offset:512
	s_wait_dscnt 0x0
	v_mul_f64_e32 v[2:3], v[22:23], v[210:211]
	s_delay_alu instid0(VALU_DEP_1) | instskip(SKIP_1) | instid1(VALU_DEP_2)
	v_fma_f64 v[2:3], v[20:21], v[208:209], -v[2:3]
	v_mul_f64_e32 v[20:21], v[20:21], v[210:211]
	v_add_f64_e64 v[16:17], v[16:17], -v[2:3]
	s_delay_alu instid0(VALU_DEP_2) | instskip(NEXT) | instid1(VALU_DEP_1)
	v_fmac_f64_e32 v[20:21], v[22:23], v[208:209]
	v_add_f64_e64 v[18:19], v[18:19], -v[20:21]
.LBB173_422:                            ;   in Loop: Header=BB173_3 Depth=1
	s_or_b32 exec_lo, exec_lo, s0
	s_barrier_signal -1
	s_barrier_wait -1
	s_and_saveexec_b32 s0, s69
	s_cbranch_execz .LBB173_424
; %bb.423:                              ;   in Loop: Header=BB173_3 Depth=1
	ds_load_b128 v[20:23], v1
	s_wait_dscnt 0x0
	v_mul_f64_e32 v[2:3], v[18:19], v[22:23]
	v_mul_f64_e32 v[22:23], v[16:17], v[22:23]
	s_delay_alu instid0(VALU_DEP_1) | instskip(NEXT) | instid1(VALU_DEP_1)
	v_fmac_f64_e32 v[22:23], v[18:19], v[20:21]
	v_dual_fma_f64 v[2:3], v[16:17], v[20:21], -v[2:3] :: v_dual_mov_b32 v18, v22
	s_delay_alu instid0(VALU_DEP_1) | instskip(NEXT) | instid1(VALU_DEP_3)
	v_xor_b32_e32 v17, 0x80000000, v3
	v_xor_b32_e32 v19, 0x80000000, v23
	s_delay_alu instid0(VALU_DEP_3)
	v_mov_b32_e32 v16, v2
	ds_store_b128 v57, v[16:19]
	v_mov_b64_e32 v[16:17], v[2:3]
	v_mov_b64_e32 v[18:19], v[22:23]
.LBB173_424:                            ;   in Loop: Header=BB173_3 Depth=1
	s_or_b32 exec_lo, exec_lo, s0
	s_wait_dscnt 0x0
	s_barrier_signal -1
	s_barrier_wait -1
	s_barrier_signal -1
	s_barrier_wait -1
	s_and_saveexec_b32 s0, s6
; %bb.425:                              ;   in Loop: Header=BB173_3 Depth=1
	ds_store_b128 v60, v[16:19] offset:3584
; %bb.426:                              ;   in Loop: Header=BB173_3 Depth=1
	s_or_b32 exec_lo, exec_lo, s0
	s_wait_dscnt 0x0
	s_barrier_signal -1
	s_barrier_wait -1
	s_barrier_signal -1
	s_barrier_wait -1
	s_and_saveexec_b32 s0, s70
	s_cbranch_execz .LBB173_428
; %bb.427:                              ;   in Loop: Header=BB173_3 Depth=1
	ds_load_b128 v[16:19], v125
	s_wait_dscnt 0x0
	ds_store_b128 v199, v[16:19]
	ds_load_b128 v[16:19], v128
	s_wait_dscnt 0x0
	ds_store_b128 v202, v[16:19]
	ds_load_b128 v[16:19], v127
	s_wait_dscnt 0x0
	ds_store_b128 v201, v[16:19]
	ds_load_b128 v[16:19], v126
	s_wait_dscnt 0x0
	ds_store_b128 v200, v[16:19]
.LBB173_428:                            ;   in Loop: Header=BB173_3 Depth=1
	s_or_b32 exec_lo, exec_lo, s0
	s_wait_dscnt 0x0
	s_barrier_signal -1
	s_barrier_wait -1
	s_and_saveexec_b32 s0, s31
	s_cbranch_execz .LBB173_430
; %bb.429:                              ;   in Loop: Header=BB173_3 Depth=1
	ds_load_b128 v[16:19], v1 offset:1584
	ds_load_b128 v[20:23], v1 offset:1056
	s_wait_dscnt 0x0
	v_mul_f64_e32 v[2:3], v[18:19], v[22:23]
	v_mul_f64_e32 v[46:47], v[16:17], v[22:23]
	s_delay_alu instid0(VALU_DEP_2) | instskip(NEXT) | instid1(VALU_DEP_2)
	v_fma_f64 v[2:3], v[16:17], v[20:21], -v[2:3]
	v_fmac_f64_e32 v[46:47], v[18:19], v[20:21]
	ds_load_b128 v[16:19], v1 offset:1568
	s_wait_dscnt 0x0
	v_mul_f64_e32 v[22:23], v[2:3], v[18:19]
	v_mul_f64_e32 v[20:21], v[46:47], v[18:19]
	s_delay_alu instid0(VALU_DEP_2) | instskip(NEXT) | instid1(VALU_DEP_2)
	v_fmac_f64_e32 v[22:23], v[16:17], v[46:47]
	v_fma_f64 v[20:21], v[16:17], v[2:3], -v[20:21]
	ds_store_b128 v1, v[20:23] offset:1568
	ds_store_b128 v1, v[20:23] offset:1072
.LBB173_430:                            ;   in Loop: Header=BB173_3 Depth=1
	s_or_b32 exec_lo, exec_lo, s0
	v_mov_b64_e32 v[16:17], 0
	v_mov_b64_e32 v[18:19], 0
	s_wait_dscnt 0x0
	s_barrier_signal -1
	s_barrier_wait -1
	global_wb scope:SCOPE_DEV
	s_wait_storecnt 0x0
	global_inv scope:SCOPE_DEV
	s_and_saveexec_b32 s0, s3
	s_cbranch_execz .LBB173_434
; %bb.431:                              ;   in Loop: Header=BB173_3 Depth=1
	ds_load_b128 v[16:19], v51 offset:1568
	ds_load_b128 v[20:23], v50 offset:1024
	s_wait_dscnt 0x0
	v_mul_f64_e32 v[2:3], v[18:19], v[22:23]
	v_mul_f64_e32 v[22:23], v[16:17], v[22:23]
	s_delay_alu instid0(VALU_DEP_2) | instskip(NEXT) | instid1(VALU_DEP_2)
	v_fma_f64 v[2:3], v[16:17], v[20:21], -v[2:3]
	v_fmac_f64_e32 v[22:23], v[18:19], v[20:21]
	s_delay_alu instid0(VALU_DEP_2) | instskip(NEXT) | instid1(VALU_DEP_2)
	v_add_f64_e32 v[16:17], 0, v[2:3]
	v_add_f64_e32 v[18:19], 0, v[22:23]
	s_and_saveexec_b32 s1, s4
	s_cbranch_execz .LBB173_433
; %bb.432:                              ;   in Loop: Header=BB173_3 Depth=1
	ds_load_b128 v[20:23], v1 offset:1584
	ds_load_b128 v[208:211], v118 offset:1536
	s_wait_dscnt 0x0
	v_mul_f64_e32 v[2:3], v[22:23], v[210:211]
	s_delay_alu instid0(VALU_DEP_1) | instskip(SKIP_1) | instid1(VALU_DEP_2)
	v_fma_f64 v[2:3], v[20:21], v[208:209], -v[2:3]
	v_mul_f64_e32 v[20:21], v[20:21], v[210:211]
	v_add_f64_e32 v[16:17], v[16:17], v[2:3]
	s_delay_alu instid0(VALU_DEP_2) | instskip(NEXT) | instid1(VALU_DEP_1)
	v_fmac_f64_e32 v[20:21], v[22:23], v[208:209]
	v_add_f64_e32 v[18:19], v[18:19], v[20:21]
.LBB173_433:                            ;   in Loop: Header=BB173_3 Depth=1
	s_or_b32 exec_lo, exec_lo, s1
.LBB173_434:                            ;   in Loop: Header=BB173_3 Depth=1
	s_delay_alu instid0(SALU_CYCLE_1)
	s_or_b32 exec_lo, exec_lo, s0
	s_and_saveexec_b32 s0, s61
	s_cbranch_execz .LBB173_436
; %bb.435:                              ;   in Loop: Header=BB173_3 Depth=1
	ds_load_b128 v[20:23], v1 offset:528
	s_wait_dscnt 0x0
	v_mul_f64_e32 v[2:3], v[18:19], v[22:23]
	v_mul_f64_e32 v[22:23], v[16:17], v[22:23]
	s_delay_alu instid0(VALU_DEP_1) | instskip(NEXT) | instid1(VALU_DEP_1)
	v_fmac_f64_e32 v[22:23], v[18:19], v[20:21]
	v_dual_fma_f64 v[2:3], v[16:17], v[20:21], -v[2:3] :: v_dual_mov_b32 v18, v22
	s_delay_alu instid0(VALU_DEP_1) | instskip(NEXT) | instid1(VALU_DEP_3)
	v_xor_b32_e32 v17, 0x80000000, v3
	v_xor_b32_e32 v19, 0x80000000, v23
	s_delay_alu instid0(VALU_DEP_3)
	v_mov_b32_e32 v16, v2
	ds_store_b128 v25, v[16:19]
	v_mov_b64_e32 v[16:17], v[2:3]
	v_mov_b64_e32 v[18:19], v[22:23]
.LBB173_436:                            ;   in Loop: Header=BB173_3 Depth=1
	s_or_b32 exec_lo, exec_lo, s0
	s_wait_loadcnt_dscnt 0x0
	s_barrier_signal -1
	s_barrier_wait -1
	s_and_saveexec_b32 s0, s62
	s_cbranch_execz .LBB173_438
; %bb.437:                              ;   in Loop: Header=BB173_3 Depth=1
	ds_load_b128 v[20:23], v25
	ds_load_b128 v[208:211], v1 offset:512
	s_wait_dscnt 0x0
	v_mul_f64_e32 v[2:3], v[22:23], v[210:211]
	s_delay_alu instid0(VALU_DEP_1) | instskip(SKIP_1) | instid1(VALU_DEP_2)
	v_fma_f64 v[2:3], v[20:21], v[208:209], -v[2:3]
	v_mul_f64_e32 v[20:21], v[20:21], v[210:211]
	v_add_f64_e64 v[16:17], v[16:17], -v[2:3]
	s_delay_alu instid0(VALU_DEP_2) | instskip(NEXT) | instid1(VALU_DEP_1)
	v_fmac_f64_e32 v[20:21], v[22:23], v[208:209]
	v_add_f64_e64 v[18:19], v[18:19], -v[20:21]
.LBB173_438:                            ;   in Loop: Header=BB173_3 Depth=1
	s_or_b32 exec_lo, exec_lo, s0
	s_barrier_signal -1
	s_barrier_wait -1
	s_and_saveexec_b32 s0, s62
	s_cbranch_execz .LBB173_440
; %bb.439:                              ;   in Loop: Header=BB173_3 Depth=1
	ds_load_b128 v[20:23], v1
	s_wait_dscnt 0x0
	v_mul_f64_e32 v[2:3], v[18:19], v[22:23]
	v_mul_f64_e32 v[22:23], v[16:17], v[22:23]
	s_delay_alu instid0(VALU_DEP_1) | instskip(NEXT) | instid1(VALU_DEP_1)
	v_fmac_f64_e32 v[22:23], v[18:19], v[20:21]
	v_dual_fma_f64 v[2:3], v[16:17], v[20:21], -v[2:3] :: v_dual_mov_b32 v18, v22
	s_delay_alu instid0(VALU_DEP_1) | instskip(NEXT) | instid1(VALU_DEP_3)
	v_xor_b32_e32 v17, 0x80000000, v3
	v_xor_b32_e32 v19, 0x80000000, v23
	s_delay_alu instid0(VALU_DEP_3)
	v_mov_b32_e32 v16, v2
	ds_store_b128 v25, v[16:19]
	v_mov_b64_e32 v[16:17], v[2:3]
	v_mov_b64_e32 v[18:19], v[22:23]
.LBB173_440:                            ;   in Loop: Header=BB173_3 Depth=1
	s_or_b32 exec_lo, exec_lo, s0
	s_wait_dscnt 0x0
	s_barrier_signal -1
	s_barrier_wait -1
	s_barrier_signal -1
	s_barrier_wait -1
	s_and_saveexec_b32 s0, s3
; %bb.441:                              ;   in Loop: Header=BB173_3 Depth=1
	ds_store_b128 v53, v[16:19] offset:1536
; %bb.442:                              ;   in Loop: Header=BB173_3 Depth=1
	s_or_b32 exec_lo, exec_lo, s0
	s_wait_dscnt 0x0
	s_barrier_signal -1
	s_barrier_wait -1
	s_barrier_signal -1
	s_barrier_wait -1
	s_and_saveexec_b32 s0, s63
	s_cbranch_execz .LBB173_444
; %bb.443:                              ;   in Loop: Header=BB173_3 Depth=1
	ds_load_b128 v[16:19], v131
	s_wait_dscnt 0x0
	ds_store_b128 v137, v[16:19]
	ds_load_b128 v[16:19], v132
	s_wait_dscnt 0x0
	ds_store_b128 v138, v[16:19]
.LBB173_444:                            ;   in Loop: Header=BB173_3 Depth=1
	s_or_b32 exec_lo, exec_lo, s0
	s_wait_dscnt 0x0
	s_barrier_signal -1
	s_barrier_wait -1
	s_and_saveexec_b32 s0, s31
	s_cbranch_execz .LBB173_446
; %bb.445:                              ;   in Loop: Header=BB173_3 Depth=1
	ds_load_b128 v[16:19], v1 offset:528
	ds_load_b128 v[20:23], v1
	s_wait_dscnt 0x0
	v_mul_f64_e32 v[2:3], v[18:19], v[22:23]
	v_mul_f64_e32 v[46:47], v[16:17], v[22:23]
	s_delay_alu instid0(VALU_DEP_2) | instskip(NEXT) | instid1(VALU_DEP_2)
	v_fma_f64 v[2:3], v[16:17], v[20:21], -v[2:3]
	v_fmac_f64_e32 v[46:47], v[18:19], v[20:21]
	ds_load_b128 v[16:19], v1 offset:512
	s_wait_dscnt 0x0
	v_mul_f64_e32 v[22:23], v[2:3], v[18:19]
	v_mul_f64_e32 v[20:21], v[46:47], v[18:19]
	s_delay_alu instid0(VALU_DEP_2) | instskip(NEXT) | instid1(VALU_DEP_2)
	v_fmac_f64_e32 v[22:23], v[16:17], v[46:47]
	v_fma_f64 v[20:21], v[16:17], v[2:3], -v[20:21]
	ds_store_b128 v1, v[20:23] offset:512
	ds_store_b128 v1, v[20:23] offset:16
.LBB173_446:                            ;   in Loop: Header=BB173_3 Depth=1
	s_or_b32 exec_lo, exec_lo, s0
.LBB173_447:                            ;   in Loop: Header=BB173_3 Depth=1
	v_add_nc_u64_e32 v[20:21], s[44:45], v[44:45]
	v_mov_b64_e32 v[16:17], 0
	v_mov_b64_e32 v[18:19], 0
	s_wait_dscnt 0x0
	s_barrier_signal -1
	s_barrier_wait -1
	s_wait_xcnt 0x0
	s_and_saveexec_b32 s0, s34
	s_cbranch_execz .LBB173_449
; %bb.448:                              ;   in Loop: Header=BB173_3 Depth=1
	v_lshl_add_u64 v[2:3], v[32:33], 4, v[20:21]
	flat_load_b128 v[44:47], v[2:3]
	s_wait_loadcnt_dscnt 0x0
	v_mul_f64_e32 v[2:3], v[12:13], v[44:45]
	s_delay_alu instid0(VALU_DEP_1) | instskip(SKIP_1) | instid1(VALU_DEP_1)
	v_fma_f64 v[16:17], v[14:15], v[46:47], -v[2:3]
	v_mul_f64_e32 v[2:3], v[12:13], v[46:47]
	v_fma_f64 v[18:19], v[44:45], -v[14:15], -v[2:3]
.LBB173_449:                            ;   in Loop: Header=BB173_3 Depth=1
	s_or_b32 exec_lo, exec_lo, s0
	s_delay_alu instid0(SALU_CYCLE_1)
	s_and_not1_b32 vcc_lo, exec_lo, s86
	s_cbranch_vccnz .LBB173_472
; %bb.450:                              ;   in Loop: Header=BB173_3 Depth=1
	v_mov_b32_e32 v22, -1
	s_lshl_b64 s[0:1], s[38:39], 2
	s_delay_alu instid0(SALU_CYCLE_1)
	s_add_nc_u64 s[54:55], s[52:53], s[0:1]
	s_mov_b32 s1, 0
	s_branch .LBB173_453
.LBB173_451:                            ;   in Loop: Header=BB173_453 Depth=2
	ds_load_b128 v[44:47], v134 offset:256
	s_wait_loadcnt_dscnt 0x0
	v_mul_f64_e32 v[2:3], v[14:15], v[46:47]
	s_delay_alu instid0(VALU_DEP_1) | instskip(SKIP_1) | instid1(VALU_DEP_2)
	v_fma_f64 v[2:3], v[12:13], v[44:45], -v[2:3]
	v_mul_f64_e32 v[12:13], v[12:13], v[46:47]
	v_add_f64_e32 v[16:17], v[16:17], v[2:3]
	s_delay_alu instid0(VALU_DEP_2) | instskip(NEXT) | instid1(VALU_DEP_1)
	v_fmac_f64_e32 v[12:13], v[14:15], v[44:45]
	v_add_f64_e32 v[18:19], v[18:19], v[12:13]
.LBB173_452:                            ;   in Loop: Header=BB173_453 Depth=2
	s_or_b32 exec_lo, exec_lo, s0
	s_add_co_i32 s1, s1, 1
	s_delay_alu instid0(SALU_CYCLE_1)
	s_cmp_eq_u32 s1, s57
	s_cbranch_scc1 .LBB173_472
.LBB173_453:                            ;   Parent Loop BB173_3 Depth=1
                                        ; =>  This Loop Header: Depth=2
                                        ;       Child Loop BB173_455 Depth 3
	v_cmp_gt_i32_e32 vcc_lo, s1, v22
	s_and_b32 s89, s35, vcc_lo
	s_delay_alu instid0(SALU_CYCLE_1)
	s_and_saveexec_b32 s0, s89
	s_cbranch_execz .LBB173_456
; %bb.454:                              ;   in Loop: Header=BB173_453 Depth=2
	global_load_b32 v22, v1, s[54:55]
	s_wait_loadcnt 0x0
	v_cmp_le_i32_e32 vcc_lo, s1, v22
	s_cbranch_vccnz .LBB173_456
.LBB173_455:                            ;   Parent Loop BB173_3 Depth=1
                                        ;     Parent Loop BB173_453 Depth=2
                                        ; =>    This Inner Loop Header: Depth=3
	global_wb scope:SCOPE_DEV
	s_wait_storecnt 0x0
	global_inv scope:SCOPE_DEV
	global_load_b32 v22, v1, s[54:55]
	s_wait_loadcnt 0x0
	v_cmp_gt_i32_e32 vcc_lo, s1, v22
	s_cbranch_vccnz .LBB173_455
.LBB173_456:                            ;   in Loop: Header=BB173_453 Depth=2
	s_or_b32 exec_lo, exec_lo, s0
	s_lshl_b32 s0, s1, 5
	global_wb scope:SCOPE_DEV
	s_wait_storecnt 0x0
	global_inv scope:SCOPE_DEV
	s_wait_loadcnt 0x0
	s_barrier_signal -1
	s_barrier_wait -1
	s_and_saveexec_b32 s89, s36
	s_cbranch_execz .LBB173_461
; %bb.457:                              ;   in Loop: Header=BB173_453 Depth=2
	v_or_b32_e32 v0, s0, v26
	s_delay_alu instid0(VALU_DEP_1) | instskip(SKIP_1) | instid1(SALU_CYCLE_1)
	v_cmp_le_i32_e32 vcc_lo, s56, v0
	s_and_saveexec_b32 s90, vcc_lo
	s_xor_b32 vcc_lo, exec_lo, s90
; %bb.458:                              ;   in Loop: Header=BB173_453 Depth=2
	v_dual_mov_b32 v0, v1 :: v_dual_mov_b32 v2, v1
	v_mov_b32_e32 v3, v1
	ds_store_b128 v203, v[0:3]
; %bb.459:                              ;   in Loop: Header=BB173_453 Depth=2
	s_and_not1_saveexec_b32 s90, vcc_lo
	s_cbranch_execz .LBB173_461
; %bb.460:                              ;   in Loop: Header=BB173_453 Depth=2
	v_mul_u64_e32 v[2:3], s[46:47], v[0:1]
	s_delay_alu instid0(VALU_DEP_1)
	v_lshl_add_u64 v[2:3], v[2:3], 4, v[20:21]
	flat_load_b128 v[12:15], v[2:3]
	s_wait_loadcnt_dscnt 0x0
	ds_store_2addr_b64 v203, v[12:13], v[14:15] offset1:1
.LBB173_461:                            ;   in Loop: Header=BB173_453 Depth=2
	s_or_b32 exec_lo, exec_lo, s89
	v_add_nc_u32_e32 v0, s0, v48
	v_cmp_ne_u32_e32 vcc_lo, s1, v49
	s_wait_dscnt 0x0
	s_barrier_signal -1
	s_barrier_wait -1
	v_cmp_gt_i32_e64 s0, s56, v0
	v_lshl_add_u64 v[2:3], v[0:1], 4, v[42:43]
	v_cndmask_b32_e64 v23, 0, 1, vcc_lo
	s_and_b32 s89, s0, s2
	s_delay_alu instid0(SALU_CYCLE_1)
	s_and_saveexec_b32 s0, s89
	s_cbranch_execz .LBB173_467
; %bb.462:                              ;   in Loop: Header=BB173_453 Depth=2
	v_mov_b64_e32 v[12:13], v[4:5]
	s_and_not1_b32 vcc_lo, exec_lo, vcc_lo
	s_cbranch_vccnz .LBB173_464
; %bb.463:                              ;   in Loop: Header=BB173_453 Depth=2
	flat_load_b64 v[12:13], v[2:3]
.LBB173_464:                            ;   in Loop: Header=BB173_453 Depth=2
	v_cmp_ne_u32_e32 vcc_lo, 1, v23
	v_mov_b64_e32 v[14:15], v[6:7]
	s_cbranch_vccnz .LBB173_466
; %bb.465:                              ;   in Loop: Header=BB173_453 Depth=2
	flat_load_b64 v[14:15], v[2:3] offset:8
.LBB173_466:                            ;   in Loop: Header=BB173_453 Depth=2
	ds_load_b128 v[44:47], v134
	s_wait_loadcnt_dscnt 0x0
	v_mul_f64_e32 v[208:209], v[14:15], v[46:47]
	s_delay_alu instid0(VALU_DEP_1) | instskip(SKIP_1) | instid1(VALU_DEP_2)
	v_fma_f64 v[208:209], v[12:13], v[44:45], -v[208:209]
	v_mul_f64_e32 v[12:13], v[12:13], v[46:47]
	v_add_f64_e32 v[16:17], v[16:17], v[208:209]
	s_delay_alu instid0(VALU_DEP_2) | instskip(NEXT) | instid1(VALU_DEP_1)
	v_fmac_f64_e32 v[12:13], v[14:15], v[44:45]
	v_add_f64_e32 v[18:19], v[18:19], v[12:13]
.LBB173_467:                            ;   in Loop: Header=BB173_453 Depth=2
	s_or_b32 exec_lo, exec_lo, s0
	v_add_nc_u32_e32 v0, 16, v0
	s_delay_alu instid0(VALU_DEP_1) | instskip(SKIP_1) | instid1(SALU_CYCLE_1)
	v_cmp_gt_i32_e32 vcc_lo, s56, v0
	s_and_b32 s89, vcc_lo, s2
	s_and_saveexec_b32 s0, s89
	s_cbranch_execz .LBB173_452
; %bb.468:                              ;   in Loop: Header=BB173_453 Depth=2
	v_cmp_ne_u32_e32 vcc_lo, 1, v23
	v_mov_b64_e32 v[12:13], v[8:9]
	s_cbranch_vccnz .LBB173_470
; %bb.469:                              ;   in Loop: Header=BB173_453 Depth=2
	flat_load_b64 v[12:13], v[2:3] offset:256
.LBB173_470:                            ;   in Loop: Header=BB173_453 Depth=2
	v_cmp_ne_u32_e32 vcc_lo, 1, v23
	v_mov_b64_e32 v[14:15], v[10:11]
	s_cbranch_vccnz .LBB173_451
; %bb.471:                              ;   in Loop: Header=BB173_453 Depth=2
	flat_load_b64 v[14:15], v[2:3] offset:264
	s_branch .LBB173_451
.LBB173_472:                            ;   in Loop: Header=BB173_3 Depth=1
	ds_store_b128 v204, v[16:19]
	s_wait_dscnt 0x0
	s_barrier_signal -1
	s_barrier_wait -1
	s_and_saveexec_b32 s0, s5
	s_cbranch_execz .LBB173_474
; %bb.473:                              ;   in Loop: Header=BB173_3 Depth=1
	ds_load_b128 v[12:15], v205 offset:512
	s_wait_dscnt 0x0
	v_add_f64_e32 v[2:3], v[16:17], v[12:13]
	v_add_f64_e32 v[16:17], v[18:19], v[14:15]
	ds_load_b128 v[12:15], v205 offset:1024
	s_wait_dscnt 0x0
	v_add_f64_e32 v[2:3], v[2:3], v[12:13]
	v_add_f64_e32 v[16:17], v[16:17], v[14:15]
	;; [unrolled: 4-line block ×15, first 2 shown]
	s_delay_alu instid0(VALU_DEP_2) | instskip(NEXT) | instid1(VALU_DEP_2)
	v_xor_b32_e32 v0, 0x80000000, v3
	v_xor_b32_e32 v3, 0x80000000, v13
	s_delay_alu instid0(VALU_DEP_4) | instskip(NEXT) | instid1(VALU_DEP_4)
	v_cndmask_b32_e64 v16, v2, 0, s33
	v_cndmask_b32_e64 v18, v12, 0, s33
	s_delay_alu instid0(VALU_DEP_4) | instskip(NEXT) | instid1(VALU_DEP_4)
	v_cndmask_b32_e64 v17, v0, 0, s33
	v_cndmask_b32_e64 v19, v3, 0, s33
.LBB173_474:                            ;   in Loop: Header=BB173_3 Depth=1
	s_or_b32 exec_lo, exec_lo, s0
	s_delay_alu instid0(SALU_CYCLE_1)
	s_and_not1_b32 vcc_lo, exec_lo, s60
	s_cbranch_vccnz .LBB173_483
; %bb.475:                              ;   in Loop: Header=BB173_3 Depth=1
	s_and_saveexec_b32 s0, s5
; %bb.476:                              ;   in Loop: Header=BB173_3 Depth=1
	ds_store_b128 v206, v[16:19]
; %bb.477:                              ;   in Loop: Header=BB173_3 Depth=1
	s_or_b32 exec_lo, exec_lo, s0
	v_mov_b64_e32 v[12:13], 0
	v_mov_b64_e32 v[14:15], 0
	s_wait_dscnt 0x0
	s_barrier_signal -1
	s_barrier_wait -1
	s_and_saveexec_b32 s0, s10
	s_cbranch_execz .LBB173_479
; %bb.478:                              ;   in Loop: Header=BB173_3 Depth=1
	ds_load_b128 v[12:15], v134
	ds_load_b128 v[42:45], v139
	s_wait_dscnt 0x0
	v_mul_f64_e32 v[2:3], v[14:15], v[44:45]
	v_mul_f64_e32 v[22:23], v[12:13], v[44:45]
	s_delay_alu instid0(VALU_DEP_2) | instskip(NEXT) | instid1(VALU_DEP_2)
	v_fma_f64 v[2:3], v[12:13], v[42:43], -v[2:3]
	v_fmac_f64_e32 v[22:23], v[14:15], v[42:43]
	s_delay_alu instid0(VALU_DEP_2) | instskip(NEXT) | instid1(VALU_DEP_2)
	v_add_f64_e32 v[12:13], 0, v[2:3]
	v_add_f64_e32 v[14:15], 0, v[22:23]
.LBB173_479:                            ;   in Loop: Header=BB173_3 Depth=1
	s_or_b32 exec_lo, exec_lo, s0
	s_and_saveexec_b32 s0, s11
	s_cbranch_execz .LBB173_481
; %bb.480:                              ;   in Loop: Header=BB173_3 Depth=1
	ds_load_b128 v[42:45], v134 offset:256
	ds_load_b128 v[208:211], v139 offset:8192
	s_wait_dscnt 0x0
	v_mul_f64_e32 v[2:3], v[44:45], v[210:211]
	v_mul_f64_e32 v[22:23], v[42:43], v[210:211]
	s_delay_alu instid0(VALU_DEP_2) | instskip(NEXT) | instid1(VALU_DEP_2)
	v_fma_f64 v[2:3], v[42:43], v[208:209], -v[2:3]
	v_fmac_f64_e32 v[22:23], v[44:45], v[208:209]
	s_delay_alu instid0(VALU_DEP_2) | instskip(NEXT) | instid1(VALU_DEP_2)
	v_add_f64_e32 v[12:13], v[12:13], v[2:3]
	v_add_f64_e32 v[14:15], v[14:15], v[22:23]
.LBB173_481:                            ;   in Loop: Header=BB173_3 Depth=1
	s_or_b32 exec_lo, exec_lo, s0
	s_mov_b32 s1, 0
	s_mov_b32 s0, 0
	ds_store_b128 v204, v[12:15]
	s_wait_dscnt 0x0
	s_barrier_signal -1
	s_barrier_wait -1
                                        ; implicit-def: $vgpr2_vgpr3
                                        ; implicit-def: $vgpr22_vgpr23
	s_and_saveexec_b32 s54, s5
	s_cbranch_execz .LBB173_545
; %bb.482:                              ;   in Loop: Header=BB173_3 Depth=1
	ds_load_b128 v[42:45], v205 offset:512
	s_mov_b32 s0, exec_lo
	s_wait_dscnt 0x0
	v_add_f64_e32 v[2:3], v[12:13], v[42:43]
	v_add_f64_e32 v[22:23], v[14:15], v[44:45]
	ds_load_b128 v[12:15], v205 offset:1024
	s_wait_dscnt 0x0
	v_add_f64_e32 v[2:3], v[2:3], v[12:13]
	v_add_f64_e32 v[22:23], v[22:23], v[14:15]
	ds_load_b128 v[12:15], v205 offset:1536
	;; [unrolled: 4-line block ×14, first 2 shown]
	s_wait_dscnt 0x0
	v_add_f64_e32 v[22:23], v[2:3], v[12:13]
	v_add_f64_e32 v[2:3], v[42:43], v[14:15]
	s_or_b32 exec_lo, exec_lo, s54
	s_delay_alu instid0(SALU_CYCLE_1)
	s_and_b32 vcc_lo, exec_lo, s1
	s_cbranch_vccnz .LBB173_484
	s_branch .LBB173_546
.LBB173_483:                            ;   in Loop: Header=BB173_3 Depth=1
	s_mov_b32 s0, 0
                                        ; implicit-def: $vgpr2_vgpr3
                                        ; implicit-def: $vgpr22_vgpr23
	s_cbranch_execz .LBB173_546
.LBB173_484:                            ;   in Loop: Header=BB173_3 Depth=1
	v_dual_mov_b32 v0, v24 :: v_dual_mov_b32 v2, v27
	s_mov_b32 s1, 0
	s_branch .LBB173_486
.LBB173_485:                            ;   in Loop: Header=BB173_486 Depth=2
	s_or_b32 exec_lo, exec_lo, s54
	v_add_nc_u32_e32 v2, 0x400, v2
	v_add_nc_u32_e32 v0, -2, v0
	s_add_co_i32 s1, s1, 2
	s_delay_alu instid0(SALU_CYCLE_1)
	s_cmp_lg_u32 s1, 32
	s_barrier_signal -1
	s_barrier_wait -1
	s_cbranch_scc0 .LBB173_494
.LBB173_486:                            ;   Parent Loop BB173_3 Depth=1
                                        ; =>  This Inner Loop Header: Depth=2
	s_delay_alu instid0(VALU_DEP_1) | instskip(SKIP_1) | instid1(SALU_CYCLE_1)
	v_cmp_eq_u32_e32 vcc_lo, 0, v0
	s_and_b32 s55, s5, vcc_lo
	s_and_saveexec_b32 s54, s55
	s_cbranch_execz .LBB173_488
; %bb.487:                              ;   in Loop: Header=BB173_486 Depth=2
	ds_load_b128 v[12:15], v140
	s_wait_dscnt 0x0
	v_mul_f64_e32 v[22:23], v[18:19], v[14:15]
	v_mul_f64_e32 v[44:45], v[16:17], v[14:15]
	s_delay_alu instid0(VALU_DEP_2) | instskip(NEXT) | instid1(VALU_DEP_2)
	v_fma_f64 v[42:43], v[16:17], v[12:13], -v[22:23]
	v_fmac_f64_e32 v[44:45], v[18:19], v[12:13]
	s_delay_alu instid0(VALU_DEP_2) | instskip(NEXT) | instid1(VALU_DEP_2)
	v_mov_b64_e32 v[16:17], v[42:43]
	v_mov_b64_e32 v[18:19], v[44:45]
	ds_store_b128 v1, v[42:45] offset:25088
.LBB173_488:                            ;   in Loop: Header=BB173_486 Depth=2
	s_or_b32 exec_lo, exec_lo, s54
	v_cmp_lt_u32_e32 vcc_lo, s1, v24
	s_wait_dscnt 0x0
	s_barrier_signal -1
	s_barrier_wait -1
	s_and_b32 s55, s5, vcc_lo
	s_delay_alu instid0(SALU_CYCLE_1)
	s_and_saveexec_b32 s54, s55
	s_cbranch_execz .LBB173_490
; %bb.489:                              ;   in Loop: Header=BB173_486 Depth=2
	ds_load_b128 v[12:15], v1 offset:25088
	ds_load_b128 v[42:45], v2
	s_wait_dscnt 0x0
	v_mul_f64_e32 v[22:23], v[14:15], v[44:45]
	s_delay_alu instid0(VALU_DEP_1) | instskip(SKIP_1) | instid1(VALU_DEP_2)
	v_fma_f64 v[22:23], v[12:13], v[42:43], -v[22:23]
	v_mul_f64_e32 v[12:13], v[12:13], v[44:45]
	v_add_f64_e32 v[16:17], v[16:17], v[22:23]
	s_delay_alu instid0(VALU_DEP_2) | instskip(NEXT) | instid1(VALU_DEP_1)
	v_fmac_f64_e32 v[12:13], v[14:15], v[42:43]
	v_add_f64_e32 v[18:19], v[18:19], v[12:13]
.LBB173_490:                            ;   in Loop: Header=BB173_486 Depth=2
	s_or_b32 exec_lo, exec_lo, s54
	s_or_b32 s54, s1, 1
	s_delay_alu instid0(SALU_CYCLE_1) | instskip(SKIP_3) | instid1(SALU_CYCLE_1)
	v_cmp_eq_u32_e32 vcc_lo, s54, v24
	s_barrier_signal -1
	s_barrier_wait -1
	s_and_b32 s89, s5, vcc_lo
	s_and_saveexec_b32 s55, s89
	s_cbranch_execz .LBB173_492
; %bb.491:                              ;   in Loop: Header=BB173_486 Depth=2
	ds_load_b128 v[12:15], v140
	s_wait_dscnt 0x0
	v_mul_f64_e32 v[22:23], v[18:19], v[14:15]
	v_mul_f64_e32 v[44:45], v[16:17], v[14:15]
	s_delay_alu instid0(VALU_DEP_2) | instskip(NEXT) | instid1(VALU_DEP_2)
	v_fma_f64 v[42:43], v[16:17], v[12:13], -v[22:23]
	v_fmac_f64_e32 v[44:45], v[18:19], v[12:13]
	s_delay_alu instid0(VALU_DEP_2) | instskip(NEXT) | instid1(VALU_DEP_2)
	v_mov_b64_e32 v[16:17], v[42:43]
	v_mov_b64_e32 v[18:19], v[44:45]
	ds_store_b128 v1, v[42:45] offset:25088
.LBB173_492:                            ;   in Loop: Header=BB173_486 Depth=2
	s_or_b32 exec_lo, exec_lo, s55
	v_cmp_lt_u32_e32 vcc_lo, s54, v24
	s_wait_dscnt 0x0
	s_barrier_signal -1
	s_barrier_wait -1
	s_and_b32 s55, s5, vcc_lo
	s_delay_alu instid0(SALU_CYCLE_1)
	s_and_saveexec_b32 s54, s55
	s_cbranch_execz .LBB173_485
; %bb.493:                              ;   in Loop: Header=BB173_486 Depth=2
	ds_load_b128 v[12:15], v1 offset:25088
	ds_load_b128 v[42:45], v2 offset:512
	s_wait_dscnt 0x0
	v_mul_f64_e32 v[22:23], v[14:15], v[44:45]
	s_delay_alu instid0(VALU_DEP_1) | instskip(SKIP_1) | instid1(VALU_DEP_2)
	v_fma_f64 v[22:23], v[12:13], v[42:43], -v[22:23]
	v_mul_f64_e32 v[12:13], v[12:13], v[44:45]
	v_add_f64_e32 v[16:17], v[16:17], v[22:23]
	s_delay_alu instid0(VALU_DEP_2) | instskip(NEXT) | instid1(VALU_DEP_1)
	v_fmac_f64_e32 v[12:13], v[14:15], v[42:43]
	v_add_f64_e32 v[18:19], v[18:19], v[12:13]
	s_branch .LBB173_485
.LBB173_494:                            ;   in Loop: Header=BB173_3 Depth=1
	s_and_b32 vcc_lo, exec_lo, s59
	s_mov_b32 s1, -1
	s_cbranch_vccz .LBB173_496
; %bb.495:                              ;   in Loop: Header=BB173_3 Depth=1
	s_and_not1_b32 s0, s0, exec_lo
	s_and_b32 s54, s5, exec_lo
	s_mov_b32 s1, 0
	s_or_b32 s0, s0, s54
.LBB173_496:                            ;   in Loop: Header=BB173_3 Depth=1
	s_and_not1_b32 vcc_lo, exec_lo, s1
	s_cbranch_vccnz .LBB173_498
; %bb.497:                              ;   in Loop: Header=BB173_3 Depth=1
	v_readlane_b32 s1, v207, 6
	s_and_not1_b32 s0, s0, exec_lo
	s_and_b32 s1, s1, exec_lo
	s_delay_alu instid0(SALU_CYCLE_1)
	s_or_b32 s0, s0, s1
.LBB173_498:                            ;   in Loop: Header=BB173_3 Depth=1
	v_mov_b64_e32 v[2:3], v[38:39]
	s_and_saveexec_b32 s1, s0
	s_cbranch_execnz .LBB173_547
	s_branch .LBB173_548
.LBB173_499:                            ;   in Loop: Header=BB173_3 Depth=1
	s_mov_b32 s1, exec_lo
	v_readlane_b32 s54, v207, 7
	s_and_b32 s54, s1, s54
	s_delay_alu instid0(SALU_CYCLE_1)
	s_xor_b32 s1, s54, s1
	s_mov_b32 exec_lo, s54
	s_cbranch_execz .LBB173_503
; %bb.500:                              ;   in Loop: Header=BB173_3 Depth=1
	s_mov_b32 s54, exec_lo
	v_readlane_b32 s55, v207, 22
	s_and_b32 s55, s54, s55
	s_delay_alu instid0(SALU_CYCLE_1)
	s_mov_b32 exec_lo, s55
; %bb.501:                              ;   in Loop: Header=BB173_3 Depth=1
	v_dual_mov_b32 v0, v1 :: v_dual_mov_b32 v2, v1
	v_mov_b32_e32 v3, v1
	ds_store_b128 v141, v[0:3]
; %bb.502:                              ;   in Loop: Header=BB173_3 Depth=1
	s_or_b32 exec_lo, exec_lo, s54
.LBB173_503:                            ;   in Loop: Header=BB173_3 Depth=1
	s_and_not1_saveexec_b32 s1, s1
	s_cbranch_execz .LBB173_509
; %bb.504:                              ;   in Loop: Header=BB173_3 Depth=1
	v_lshl_add_u64 v[2:3], v[34:35], 4, v[46:47]
                                        ; implicit-def: $vgpr20_vgpr21
	flat_load_b128 v[16:19], v[2:3]
	s_wait_loadcnt_dscnt 0x0
	v_cmp_ngt_f64_e64 s54, |v[16:17]|, |v[18:19]|
	s_and_saveexec_b32 s55, s54
	s_delay_alu instid0(SALU_CYCLE_1)
	s_xor_b32 s54, exec_lo, s55
	s_cbranch_execz .LBB173_506
; %bb.505:                              ;   in Loop: Header=BB173_3 Depth=1
	v_div_scale_f64 v[2:3], null, v[18:19], v[18:19], v[16:17]
	v_div_scale_f64 v[208:209], vcc_lo, v[16:17], v[18:19], v[16:17]
	s_delay_alu instid0(VALU_DEP_2) | instskip(SKIP_1) | instid1(TRANS32_DEP_1)
	v_rcp_f64_e32 v[20:21], v[2:3]
	v_nop
	v_fma_f64 v[22:23], -v[2:3], v[20:21], 1.0
	s_delay_alu instid0(VALU_DEP_1) | instskip(NEXT) | instid1(VALU_DEP_1)
	v_fmac_f64_e32 v[20:21], v[20:21], v[22:23]
	v_fma_f64 v[22:23], -v[2:3], v[20:21], 1.0
	s_delay_alu instid0(VALU_DEP_1) | instskip(NEXT) | instid1(VALU_DEP_1)
	v_fmac_f64_e32 v[20:21], v[20:21], v[22:23]
	v_mul_f64_e32 v[22:23], v[208:209], v[20:21]
	s_delay_alu instid0(VALU_DEP_1) | instskip(NEXT) | instid1(VALU_DEP_1)
	v_fma_f64 v[2:3], -v[2:3], v[22:23], v[208:209]
	v_div_fmas_f64 v[2:3], v[2:3], v[20:21], v[22:23]
	s_delay_alu instid0(VALU_DEP_1) | instskip(NEXT) | instid1(VALU_DEP_1)
	v_div_fixup_f64 v[2:3], v[2:3], v[18:19], v[16:17]
	v_fmac_f64_e32 v[18:19], v[16:17], v[2:3]
	s_delay_alu instid0(VALU_DEP_1) | instskip(NEXT) | instid1(VALU_DEP_1)
	v_div_scale_f64 v[16:17], null, v[18:19], v[18:19], 1.0
	v_rcp_f64_e32 v[20:21], v[16:17]
	v_nop
	s_delay_alu instid0(TRANS32_DEP_1) | instskip(NEXT) | instid1(VALU_DEP_1)
	v_fma_f64 v[22:23], -v[16:17], v[20:21], 1.0
	v_fmac_f64_e32 v[20:21], v[20:21], v[22:23]
	s_delay_alu instid0(VALU_DEP_1) | instskip(NEXT) | instid1(VALU_DEP_1)
	v_fma_f64 v[22:23], -v[16:17], v[20:21], 1.0
	v_fmac_f64_e32 v[20:21], v[20:21], v[22:23]
	v_div_scale_f64 v[22:23], vcc_lo, 1.0, v[18:19], 1.0
	s_delay_alu instid0(VALU_DEP_1) | instskip(NEXT) | instid1(VALU_DEP_1)
	v_mul_f64_e32 v[208:209], v[22:23], v[20:21]
	v_fma_f64 v[16:17], -v[16:17], v[208:209], v[22:23]
	s_delay_alu instid0(VALU_DEP_1) | instskip(NEXT) | instid1(VALU_DEP_1)
	v_div_fmas_f64 v[16:17], v[16:17], v[20:21], v[208:209]
	v_div_fixup_f64 v[22:23], v[16:17], v[18:19], 1.0
                                        ; implicit-def: $vgpr16_vgpr17
	s_delay_alu instid0(VALU_DEP_1)
	v_mul_f64_e32 v[20:21], v[2:3], v[22:23]
	v_xor_b32_e32 v23, 0x80000000, v23
.LBB173_506:                            ;   in Loop: Header=BB173_3 Depth=1
	s_and_not1_saveexec_b32 s54, s54
	s_cbranch_execz .LBB173_508
; %bb.507:                              ;   in Loop: Header=BB173_3 Depth=1
	v_div_scale_f64 v[2:3], null, v[16:17], v[16:17], v[18:19]
	v_div_scale_f64 v[208:209], vcc_lo, v[18:19], v[16:17], v[18:19]
	s_delay_alu instid0(VALU_DEP_2) | instskip(SKIP_1) | instid1(TRANS32_DEP_1)
	v_rcp_f64_e32 v[20:21], v[2:3]
	v_nop
	v_fma_f64 v[22:23], -v[2:3], v[20:21], 1.0
	s_delay_alu instid0(VALU_DEP_1) | instskip(NEXT) | instid1(VALU_DEP_1)
	v_fmac_f64_e32 v[20:21], v[20:21], v[22:23]
	v_fma_f64 v[22:23], -v[2:3], v[20:21], 1.0
	s_delay_alu instid0(VALU_DEP_1) | instskip(NEXT) | instid1(VALU_DEP_1)
	v_fmac_f64_e32 v[20:21], v[20:21], v[22:23]
	v_mul_f64_e32 v[22:23], v[208:209], v[20:21]
	s_delay_alu instid0(VALU_DEP_1) | instskip(NEXT) | instid1(VALU_DEP_1)
	v_fma_f64 v[2:3], -v[2:3], v[22:23], v[208:209]
	v_div_fmas_f64 v[2:3], v[2:3], v[20:21], v[22:23]
	s_delay_alu instid0(VALU_DEP_1) | instskip(NEXT) | instid1(VALU_DEP_1)
	v_div_fixup_f64 v[2:3], v[2:3], v[16:17], v[18:19]
	v_fmac_f64_e32 v[16:17], v[18:19], v[2:3]
	s_delay_alu instid0(VALU_DEP_1) | instskip(NEXT) | instid1(VALU_DEP_1)
	v_div_scale_f64 v[18:19], null, v[16:17], v[16:17], 1.0
	v_rcp_f64_e32 v[20:21], v[18:19]
	v_nop
	s_delay_alu instid0(TRANS32_DEP_1) | instskip(NEXT) | instid1(VALU_DEP_1)
	v_fma_f64 v[22:23], -v[18:19], v[20:21], 1.0
	v_fmac_f64_e32 v[20:21], v[20:21], v[22:23]
	s_delay_alu instid0(VALU_DEP_1) | instskip(NEXT) | instid1(VALU_DEP_1)
	v_fma_f64 v[22:23], -v[18:19], v[20:21], 1.0
	v_fmac_f64_e32 v[20:21], v[20:21], v[22:23]
	v_div_scale_f64 v[22:23], vcc_lo, 1.0, v[16:17], 1.0
	s_delay_alu instid0(VALU_DEP_1) | instskip(NEXT) | instid1(VALU_DEP_1)
	v_mul_f64_e32 v[208:209], v[22:23], v[20:21]
	v_fma_f64 v[18:19], -v[18:19], v[208:209], v[22:23]
	s_delay_alu instid0(VALU_DEP_1) | instskip(NEXT) | instid1(VALU_DEP_1)
	v_div_fmas_f64 v[18:19], v[18:19], v[20:21], v[208:209]
	v_div_fixup_f64 v[20:21], v[18:19], v[16:17], 1.0
	s_delay_alu instid0(VALU_DEP_1)
	v_mul_f64_e64 v[22:23], v[2:3], -v[20:21]
.LBB173_508:                            ;   in Loop: Header=BB173_3 Depth=1
	s_or_b32 exec_lo, exec_lo, s54
	ds_store_b128 v141, v[20:23]
.LBB173_509:                            ;   in Loop: Header=BB173_3 Depth=1
	s_or_b32 exec_lo, exec_lo, s1
	s_and_not1_saveexec_b32 s0, s0
	s_cbranch_execz .LBB173_13
.LBB173_510:                            ;   in Loop: Header=BB173_3 Depth=1
	v_lshl_add_u64 v[2:3], v[34:35], 4, v[46:47]
	flat_load_b128 v[16:19], v[2:3]
	s_wait_loadcnt_dscnt 0x0
	v_xor_b32_e32 v17, 0x80000000, v17
	v_xor_b32_e32 v19, 0x80000000, v19
	ds_store_b128 v141, v[16:19]
	s_or_b32 exec_lo, exec_lo, s0
	s_and_saveexec_b32 s0, s11
	s_delay_alu instid0(SALU_CYCLE_1)
	s_xor_b32 s0, exec_lo, s0
	s_cbranch_execz .LBB173_14
.LBB173_511:                            ;   in Loop: Header=BB173_3 Depth=1
	s_mov_b32 s1, exec_lo
	v_readlane_b32 s54, v207, 9
	s_and_b32 s54, s1, s54
	s_delay_alu instid0(SALU_CYCLE_1)
	s_xor_b32 s1, s54, s1
	s_mov_b32 exec_lo, s54
	s_cbranch_execz .LBB173_515
; %bb.512:                              ;   in Loop: Header=BB173_3 Depth=1
	s_mov_b32 s54, exec_lo
	v_readlane_b32 s55, v207, 23
	s_and_b32 s55, s54, s55
	s_delay_alu instid0(SALU_CYCLE_1)
	s_mov_b32 exec_lo, s55
; %bb.513:                              ;   in Loop: Header=BB173_3 Depth=1
	v_dual_mov_b32 v0, v1 :: v_dual_mov_b32 v2, v1
	v_mov_b32_e32 v3, v1
	ds_store_b128 v142, v[0:3]
; %bb.514:                              ;   in Loop: Header=BB173_3 Depth=1
	s_or_b32 exec_lo, exec_lo, s54
.LBB173_515:                            ;   in Loop: Header=BB173_3 Depth=1
	s_and_not1_saveexec_b32 s1, s1
	s_cbranch_execz .LBB173_521
; %bb.516:                              ;   in Loop: Header=BB173_3 Depth=1
	v_lshl_add_u64 v[2:3], v[36:37], 4, v[46:47]
                                        ; implicit-def: $vgpr20_vgpr21
	flat_load_b128 v[16:19], v[2:3]
	s_wait_loadcnt_dscnt 0x0
	v_cmp_ngt_f64_e64 s54, |v[16:17]|, |v[18:19]|
	s_and_saveexec_b32 s55, s54
	s_delay_alu instid0(SALU_CYCLE_1)
	s_xor_b32 s54, exec_lo, s55
	s_cbranch_execz .LBB173_518
; %bb.517:                              ;   in Loop: Header=BB173_3 Depth=1
	v_div_scale_f64 v[2:3], null, v[18:19], v[18:19], v[16:17]
	v_div_scale_f64 v[208:209], vcc_lo, v[16:17], v[18:19], v[16:17]
	s_delay_alu instid0(VALU_DEP_2) | instskip(SKIP_1) | instid1(TRANS32_DEP_1)
	v_rcp_f64_e32 v[20:21], v[2:3]
	v_nop
	v_fma_f64 v[22:23], -v[2:3], v[20:21], 1.0
	s_delay_alu instid0(VALU_DEP_1) | instskip(NEXT) | instid1(VALU_DEP_1)
	v_fmac_f64_e32 v[20:21], v[20:21], v[22:23]
	v_fma_f64 v[22:23], -v[2:3], v[20:21], 1.0
	s_delay_alu instid0(VALU_DEP_1) | instskip(NEXT) | instid1(VALU_DEP_1)
	v_fmac_f64_e32 v[20:21], v[20:21], v[22:23]
	v_mul_f64_e32 v[22:23], v[208:209], v[20:21]
	s_delay_alu instid0(VALU_DEP_1) | instskip(NEXT) | instid1(VALU_DEP_1)
	v_fma_f64 v[2:3], -v[2:3], v[22:23], v[208:209]
	v_div_fmas_f64 v[2:3], v[2:3], v[20:21], v[22:23]
	s_delay_alu instid0(VALU_DEP_1) | instskip(NEXT) | instid1(VALU_DEP_1)
	v_div_fixup_f64 v[2:3], v[2:3], v[18:19], v[16:17]
	v_fmac_f64_e32 v[18:19], v[16:17], v[2:3]
	s_delay_alu instid0(VALU_DEP_1) | instskip(NEXT) | instid1(VALU_DEP_1)
	v_div_scale_f64 v[16:17], null, v[18:19], v[18:19], 1.0
	v_rcp_f64_e32 v[20:21], v[16:17]
	v_nop
	s_delay_alu instid0(TRANS32_DEP_1) | instskip(NEXT) | instid1(VALU_DEP_1)
	v_fma_f64 v[22:23], -v[16:17], v[20:21], 1.0
	v_fmac_f64_e32 v[20:21], v[20:21], v[22:23]
	s_delay_alu instid0(VALU_DEP_1) | instskip(NEXT) | instid1(VALU_DEP_1)
	v_fma_f64 v[22:23], -v[16:17], v[20:21], 1.0
	v_fmac_f64_e32 v[20:21], v[20:21], v[22:23]
	v_div_scale_f64 v[22:23], vcc_lo, 1.0, v[18:19], 1.0
	s_delay_alu instid0(VALU_DEP_1) | instskip(NEXT) | instid1(VALU_DEP_1)
	v_mul_f64_e32 v[208:209], v[22:23], v[20:21]
	v_fma_f64 v[16:17], -v[16:17], v[208:209], v[22:23]
	s_delay_alu instid0(VALU_DEP_1) | instskip(NEXT) | instid1(VALU_DEP_1)
	v_div_fmas_f64 v[16:17], v[16:17], v[20:21], v[208:209]
	v_div_fixup_f64 v[22:23], v[16:17], v[18:19], 1.0
                                        ; implicit-def: $vgpr16_vgpr17
	s_delay_alu instid0(VALU_DEP_1)
	v_mul_f64_e32 v[20:21], v[2:3], v[22:23]
	v_xor_b32_e32 v23, 0x80000000, v23
.LBB173_518:                            ;   in Loop: Header=BB173_3 Depth=1
	s_and_not1_saveexec_b32 s54, s54
	s_cbranch_execz .LBB173_520
; %bb.519:                              ;   in Loop: Header=BB173_3 Depth=1
	v_div_scale_f64 v[2:3], null, v[16:17], v[16:17], v[18:19]
	v_div_scale_f64 v[208:209], vcc_lo, v[18:19], v[16:17], v[18:19]
	s_delay_alu instid0(VALU_DEP_2) | instskip(SKIP_1) | instid1(TRANS32_DEP_1)
	v_rcp_f64_e32 v[20:21], v[2:3]
	v_nop
	v_fma_f64 v[22:23], -v[2:3], v[20:21], 1.0
	s_delay_alu instid0(VALU_DEP_1) | instskip(NEXT) | instid1(VALU_DEP_1)
	v_fmac_f64_e32 v[20:21], v[20:21], v[22:23]
	v_fma_f64 v[22:23], -v[2:3], v[20:21], 1.0
	s_delay_alu instid0(VALU_DEP_1) | instskip(NEXT) | instid1(VALU_DEP_1)
	v_fmac_f64_e32 v[20:21], v[20:21], v[22:23]
	v_mul_f64_e32 v[22:23], v[208:209], v[20:21]
	s_delay_alu instid0(VALU_DEP_1) | instskip(NEXT) | instid1(VALU_DEP_1)
	v_fma_f64 v[2:3], -v[2:3], v[22:23], v[208:209]
	v_div_fmas_f64 v[2:3], v[2:3], v[20:21], v[22:23]
	s_delay_alu instid0(VALU_DEP_1) | instskip(NEXT) | instid1(VALU_DEP_1)
	v_div_fixup_f64 v[2:3], v[2:3], v[16:17], v[18:19]
	v_fmac_f64_e32 v[16:17], v[18:19], v[2:3]
	s_delay_alu instid0(VALU_DEP_1) | instskip(NEXT) | instid1(VALU_DEP_1)
	v_div_scale_f64 v[18:19], null, v[16:17], v[16:17], 1.0
	v_rcp_f64_e32 v[20:21], v[18:19]
	v_nop
	s_delay_alu instid0(TRANS32_DEP_1) | instskip(NEXT) | instid1(VALU_DEP_1)
	v_fma_f64 v[22:23], -v[18:19], v[20:21], 1.0
	v_fmac_f64_e32 v[20:21], v[20:21], v[22:23]
	s_delay_alu instid0(VALU_DEP_1) | instskip(NEXT) | instid1(VALU_DEP_1)
	v_fma_f64 v[22:23], -v[18:19], v[20:21], 1.0
	v_fmac_f64_e32 v[20:21], v[20:21], v[22:23]
	v_div_scale_f64 v[22:23], vcc_lo, 1.0, v[16:17], 1.0
	s_delay_alu instid0(VALU_DEP_1) | instskip(NEXT) | instid1(VALU_DEP_1)
	v_mul_f64_e32 v[208:209], v[22:23], v[20:21]
	v_fma_f64 v[18:19], -v[18:19], v[208:209], v[22:23]
	s_delay_alu instid0(VALU_DEP_1) | instskip(NEXT) | instid1(VALU_DEP_1)
	v_div_fmas_f64 v[18:19], v[18:19], v[20:21], v[208:209]
	v_div_fixup_f64 v[20:21], v[18:19], v[16:17], 1.0
	s_delay_alu instid0(VALU_DEP_1)
	v_mul_f64_e64 v[22:23], v[2:3], -v[20:21]
.LBB173_520:                            ;   in Loop: Header=BB173_3 Depth=1
	s_or_b32 exec_lo, exec_lo, s54
	ds_store_b128 v142, v[20:23]
.LBB173_521:                            ;   in Loop: Header=BB173_3 Depth=1
	s_or_b32 exec_lo, exec_lo, s1
	s_and_not1_saveexec_b32 s0, s0
	s_cbranch_execnz .LBB173_15
	s_branch .LBB173_16
.LBB173_522:                            ;   in Loop: Header=BB173_3 Depth=1
	s_mov_b32 s1, exec_lo
	v_readlane_b32 s54, v207, 8
	s_and_b32 s54, s1, s54
	s_delay_alu instid0(SALU_CYCLE_1)
	s_xor_b32 s1, s54, s1
	s_mov_b32 exec_lo, s54
	s_cbranch_execz .LBB173_526
; %bb.523:                              ;   in Loop: Header=BB173_3 Depth=1
	s_mov_b32 s54, exec_lo
	v_readlane_b32 s55, v207, 22
	s_and_b32 s55, s54, s55
	s_delay_alu instid0(SALU_CYCLE_1)
	s_mov_b32 exec_lo, s55
; %bb.524:                              ;   in Loop: Header=BB173_3 Depth=1
	v_dual_mov_b32 v0, v1 :: v_dual_mov_b32 v2, v1
	v_mov_b32_e32 v3, v1
	ds_store_b128 v133, v[0:3]
; %bb.525:                              ;   in Loop: Header=BB173_3 Depth=1
	s_or_b32 exec_lo, exec_lo, s54
.LBB173_526:                            ;   in Loop: Header=BB173_3 Depth=1
	s_and_not1_saveexec_b32 s1, s1
	s_cbranch_execz .LBB173_532
; %bb.527:                              ;   in Loop: Header=BB173_3 Depth=1
	v_lshl_add_u64 v[2:3], v[34:35], 4, v[46:47]
                                        ; implicit-def: $vgpr20_vgpr21
	flat_load_b128 v[16:19], v[2:3]
	s_wait_loadcnt_dscnt 0x0
	v_cmp_ngt_f64_e64 s54, |v[16:17]|, |v[18:19]|
	s_and_saveexec_b32 s55, s54
	s_delay_alu instid0(SALU_CYCLE_1)
	s_xor_b32 s54, exec_lo, s55
	s_cbranch_execz .LBB173_529
; %bb.528:                              ;   in Loop: Header=BB173_3 Depth=1
	v_div_scale_f64 v[2:3], null, v[18:19], v[18:19], v[16:17]
	v_div_scale_f64 v[208:209], vcc_lo, v[16:17], v[18:19], v[16:17]
	s_delay_alu instid0(VALU_DEP_2) | instskip(SKIP_1) | instid1(TRANS32_DEP_1)
	v_rcp_f64_e32 v[20:21], v[2:3]
	v_nop
	v_fma_f64 v[22:23], -v[2:3], v[20:21], 1.0
	s_delay_alu instid0(VALU_DEP_1) | instskip(NEXT) | instid1(VALU_DEP_1)
	v_fmac_f64_e32 v[20:21], v[20:21], v[22:23]
	v_fma_f64 v[22:23], -v[2:3], v[20:21], 1.0
	s_delay_alu instid0(VALU_DEP_1) | instskip(NEXT) | instid1(VALU_DEP_1)
	v_fmac_f64_e32 v[20:21], v[20:21], v[22:23]
	v_mul_f64_e32 v[22:23], v[208:209], v[20:21]
	s_delay_alu instid0(VALU_DEP_1) | instskip(NEXT) | instid1(VALU_DEP_1)
	v_fma_f64 v[2:3], -v[2:3], v[22:23], v[208:209]
	v_div_fmas_f64 v[2:3], v[2:3], v[20:21], v[22:23]
	s_delay_alu instid0(VALU_DEP_1) | instskip(NEXT) | instid1(VALU_DEP_1)
	v_div_fixup_f64 v[2:3], v[2:3], v[18:19], v[16:17]
	v_fmac_f64_e32 v[18:19], v[16:17], v[2:3]
	s_delay_alu instid0(VALU_DEP_1) | instskip(NEXT) | instid1(VALU_DEP_1)
	v_div_scale_f64 v[16:17], null, v[18:19], v[18:19], 1.0
	v_rcp_f64_e32 v[20:21], v[16:17]
	v_nop
	s_delay_alu instid0(TRANS32_DEP_1) | instskip(NEXT) | instid1(VALU_DEP_1)
	v_fma_f64 v[22:23], -v[16:17], v[20:21], 1.0
	v_fmac_f64_e32 v[20:21], v[20:21], v[22:23]
	s_delay_alu instid0(VALU_DEP_1) | instskip(NEXT) | instid1(VALU_DEP_1)
	v_fma_f64 v[22:23], -v[16:17], v[20:21], 1.0
	v_fmac_f64_e32 v[20:21], v[20:21], v[22:23]
	v_div_scale_f64 v[22:23], vcc_lo, 1.0, v[18:19], 1.0
	s_delay_alu instid0(VALU_DEP_1) | instskip(NEXT) | instid1(VALU_DEP_1)
	v_mul_f64_e32 v[208:209], v[22:23], v[20:21]
	v_fma_f64 v[16:17], -v[16:17], v[208:209], v[22:23]
	s_delay_alu instid0(VALU_DEP_1) | instskip(NEXT) | instid1(VALU_DEP_1)
	v_div_fmas_f64 v[16:17], v[16:17], v[20:21], v[208:209]
	v_div_fixup_f64 v[22:23], v[16:17], v[18:19], 1.0
                                        ; implicit-def: $vgpr16_vgpr17
	s_delay_alu instid0(VALU_DEP_1)
	v_mul_f64_e32 v[20:21], v[2:3], v[22:23]
	v_xor_b32_e32 v23, 0x80000000, v23
.LBB173_529:                            ;   in Loop: Header=BB173_3 Depth=1
	s_and_not1_saveexec_b32 s54, s54
	s_cbranch_execz .LBB173_531
; %bb.530:                              ;   in Loop: Header=BB173_3 Depth=1
	v_div_scale_f64 v[2:3], null, v[16:17], v[16:17], v[18:19]
	v_div_scale_f64 v[208:209], vcc_lo, v[18:19], v[16:17], v[18:19]
	s_delay_alu instid0(VALU_DEP_2) | instskip(SKIP_1) | instid1(TRANS32_DEP_1)
	v_rcp_f64_e32 v[20:21], v[2:3]
	v_nop
	v_fma_f64 v[22:23], -v[2:3], v[20:21], 1.0
	s_delay_alu instid0(VALU_DEP_1) | instskip(NEXT) | instid1(VALU_DEP_1)
	v_fmac_f64_e32 v[20:21], v[20:21], v[22:23]
	v_fma_f64 v[22:23], -v[2:3], v[20:21], 1.0
	s_delay_alu instid0(VALU_DEP_1) | instskip(NEXT) | instid1(VALU_DEP_1)
	v_fmac_f64_e32 v[20:21], v[20:21], v[22:23]
	v_mul_f64_e32 v[22:23], v[208:209], v[20:21]
	s_delay_alu instid0(VALU_DEP_1) | instskip(NEXT) | instid1(VALU_DEP_1)
	v_fma_f64 v[2:3], -v[2:3], v[22:23], v[208:209]
	v_div_fmas_f64 v[2:3], v[2:3], v[20:21], v[22:23]
	s_delay_alu instid0(VALU_DEP_1) | instskip(NEXT) | instid1(VALU_DEP_1)
	v_div_fixup_f64 v[2:3], v[2:3], v[16:17], v[18:19]
	v_fmac_f64_e32 v[16:17], v[18:19], v[2:3]
	s_delay_alu instid0(VALU_DEP_1) | instskip(NEXT) | instid1(VALU_DEP_1)
	v_div_scale_f64 v[18:19], null, v[16:17], v[16:17], 1.0
	v_rcp_f64_e32 v[20:21], v[18:19]
	v_nop
	s_delay_alu instid0(TRANS32_DEP_1) | instskip(NEXT) | instid1(VALU_DEP_1)
	v_fma_f64 v[22:23], -v[18:19], v[20:21], 1.0
	v_fmac_f64_e32 v[20:21], v[20:21], v[22:23]
	s_delay_alu instid0(VALU_DEP_1) | instskip(NEXT) | instid1(VALU_DEP_1)
	v_fma_f64 v[22:23], -v[18:19], v[20:21], 1.0
	v_fmac_f64_e32 v[20:21], v[20:21], v[22:23]
	v_div_scale_f64 v[22:23], vcc_lo, 1.0, v[16:17], 1.0
	s_delay_alu instid0(VALU_DEP_1) | instskip(NEXT) | instid1(VALU_DEP_1)
	v_mul_f64_e32 v[208:209], v[22:23], v[20:21]
	v_fma_f64 v[18:19], -v[18:19], v[208:209], v[22:23]
	s_delay_alu instid0(VALU_DEP_1) | instskip(NEXT) | instid1(VALU_DEP_1)
	v_div_fmas_f64 v[18:19], v[18:19], v[20:21], v[208:209]
	v_div_fixup_f64 v[20:21], v[18:19], v[16:17], 1.0
	s_delay_alu instid0(VALU_DEP_1)
	v_mul_f64_e64 v[22:23], v[2:3], -v[20:21]
.LBB173_531:                            ;   in Loop: Header=BB173_3 Depth=1
	s_or_b32 exec_lo, exec_lo, s54
	ds_store_b128 v133, v[20:23]
.LBB173_532:                            ;   in Loop: Header=BB173_3 Depth=1
	s_or_b32 exec_lo, exec_lo, s1
	s_and_not1_saveexec_b32 s0, s0
	s_cbranch_execz .LBB173_19
.LBB173_533:                            ;   in Loop: Header=BB173_3 Depth=1
	v_lshl_add_u64 v[2:3], v[34:35], 4, v[46:47]
	flat_load_b128 v[16:19], v[2:3]
	s_wait_loadcnt_dscnt 0x0
	v_xor_b32_e32 v17, 0x80000000, v17
	v_xor_b32_e32 v19, 0x80000000, v19
	ds_store_b128 v133, v[16:19]
	s_or_b32 exec_lo, exec_lo, s0
	s_and_saveexec_b32 s0, s88
	s_delay_alu instid0(SALU_CYCLE_1)
	s_xor_b32 s0, exec_lo, s0
	s_cbranch_execz .LBB173_20
.LBB173_534:                            ;   in Loop: Header=BB173_3 Depth=1
	s_mov_b32 s1, exec_lo
	v_readlane_b32 s54, v207, 10
	s_and_b32 s54, s1, s54
	s_delay_alu instid0(SALU_CYCLE_1)
	s_xor_b32 s1, s54, s1
	s_mov_b32 exec_lo, s54
	s_cbranch_execz .LBB173_538
; %bb.535:                              ;   in Loop: Header=BB173_3 Depth=1
	s_mov_b32 s54, exec_lo
	v_readlane_b32 s55, v207, 23
	s_and_b32 s55, s54, s55
	s_delay_alu instid0(SALU_CYCLE_1)
	s_mov_b32 exec_lo, s55
; %bb.536:                              ;   in Loop: Header=BB173_3 Depth=1
	v_dual_mov_b32 v0, v1 :: v_dual_mov_b32 v2, v1
	v_mov_b32_e32 v3, v1
	ds_store_b128 v142, v[0:3]
; %bb.537:                              ;   in Loop: Header=BB173_3 Depth=1
	s_or_b32 exec_lo, exec_lo, s54
                                        ; implicit-def: $vgpr46_vgpr47
.LBB173_538:                            ;   in Loop: Header=BB173_3 Depth=1
	s_and_not1_saveexec_b32 s1, s1
	s_cbranch_execz .LBB173_544
; %bb.539:                              ;   in Loop: Header=BB173_3 Depth=1
	v_lshl_add_u64 v[2:3], v[36:37], 4, v[46:47]
                                        ; implicit-def: $vgpr20_vgpr21
	flat_load_b128 v[16:19], v[2:3]
	s_wait_loadcnt_dscnt 0x0
	v_cmp_ngt_f64_e64 s54, |v[16:17]|, |v[18:19]|
	s_and_saveexec_b32 s55, s54
	s_delay_alu instid0(SALU_CYCLE_1)
	s_xor_b32 s54, exec_lo, s55
	s_cbranch_execz .LBB173_541
; %bb.540:                              ;   in Loop: Header=BB173_3 Depth=1
	v_div_scale_f64 v[2:3], null, v[18:19], v[18:19], v[16:17]
	v_div_scale_f64 v[46:47], vcc_lo, v[16:17], v[18:19], v[16:17]
	s_delay_alu instid0(VALU_DEP_2) | instskip(SKIP_1) | instid1(TRANS32_DEP_1)
	v_rcp_f64_e32 v[20:21], v[2:3]
	v_nop
	v_fma_f64 v[22:23], -v[2:3], v[20:21], 1.0
	s_delay_alu instid0(VALU_DEP_1) | instskip(NEXT) | instid1(VALU_DEP_1)
	v_fmac_f64_e32 v[20:21], v[20:21], v[22:23]
	v_fma_f64 v[22:23], -v[2:3], v[20:21], 1.0
	s_delay_alu instid0(VALU_DEP_1) | instskip(NEXT) | instid1(VALU_DEP_1)
	v_fmac_f64_e32 v[20:21], v[20:21], v[22:23]
	v_mul_f64_e32 v[22:23], v[46:47], v[20:21]
	s_delay_alu instid0(VALU_DEP_1) | instskip(NEXT) | instid1(VALU_DEP_1)
	v_fma_f64 v[2:3], -v[2:3], v[22:23], v[46:47]
	v_div_fmas_f64 v[2:3], v[2:3], v[20:21], v[22:23]
	s_delay_alu instid0(VALU_DEP_1) | instskip(NEXT) | instid1(VALU_DEP_1)
	v_div_fixup_f64 v[2:3], v[2:3], v[18:19], v[16:17]
	v_fmac_f64_e32 v[18:19], v[16:17], v[2:3]
	s_delay_alu instid0(VALU_DEP_1) | instskip(NEXT) | instid1(VALU_DEP_1)
	v_div_scale_f64 v[16:17], null, v[18:19], v[18:19], 1.0
	v_rcp_f64_e32 v[20:21], v[16:17]
	v_nop
	s_delay_alu instid0(TRANS32_DEP_1) | instskip(NEXT) | instid1(VALU_DEP_1)
	v_fma_f64 v[22:23], -v[16:17], v[20:21], 1.0
	v_fmac_f64_e32 v[20:21], v[20:21], v[22:23]
	s_delay_alu instid0(VALU_DEP_1) | instskip(NEXT) | instid1(VALU_DEP_1)
	v_fma_f64 v[22:23], -v[16:17], v[20:21], 1.0
	v_fmac_f64_e32 v[20:21], v[20:21], v[22:23]
	v_div_scale_f64 v[22:23], vcc_lo, 1.0, v[18:19], 1.0
	s_delay_alu instid0(VALU_DEP_1) | instskip(NEXT) | instid1(VALU_DEP_1)
	v_mul_f64_e32 v[46:47], v[22:23], v[20:21]
	v_fma_f64 v[16:17], -v[16:17], v[46:47], v[22:23]
	s_delay_alu instid0(VALU_DEP_1) | instskip(NEXT) | instid1(VALU_DEP_1)
	v_div_fmas_f64 v[16:17], v[16:17], v[20:21], v[46:47]
	v_div_fixup_f64 v[22:23], v[16:17], v[18:19], 1.0
                                        ; implicit-def: $vgpr16_vgpr17
	s_delay_alu instid0(VALU_DEP_1)
	v_mul_f64_e32 v[20:21], v[2:3], v[22:23]
	v_xor_b32_e32 v23, 0x80000000, v23
.LBB173_541:                            ;   in Loop: Header=BB173_3 Depth=1
	s_and_not1_saveexec_b32 s54, s54
	s_cbranch_execz .LBB173_543
; %bb.542:                              ;   in Loop: Header=BB173_3 Depth=1
	v_div_scale_f64 v[2:3], null, v[16:17], v[16:17], v[18:19]
	v_div_scale_f64 v[46:47], vcc_lo, v[18:19], v[16:17], v[18:19]
	s_delay_alu instid0(VALU_DEP_2) | instskip(SKIP_1) | instid1(TRANS32_DEP_1)
	v_rcp_f64_e32 v[20:21], v[2:3]
	v_nop
	v_fma_f64 v[22:23], -v[2:3], v[20:21], 1.0
	s_delay_alu instid0(VALU_DEP_1) | instskip(NEXT) | instid1(VALU_DEP_1)
	v_fmac_f64_e32 v[20:21], v[20:21], v[22:23]
	v_fma_f64 v[22:23], -v[2:3], v[20:21], 1.0
	s_delay_alu instid0(VALU_DEP_1) | instskip(NEXT) | instid1(VALU_DEP_1)
	v_fmac_f64_e32 v[20:21], v[20:21], v[22:23]
	v_mul_f64_e32 v[22:23], v[46:47], v[20:21]
	s_delay_alu instid0(VALU_DEP_1) | instskip(NEXT) | instid1(VALU_DEP_1)
	v_fma_f64 v[2:3], -v[2:3], v[22:23], v[46:47]
	v_div_fmas_f64 v[2:3], v[2:3], v[20:21], v[22:23]
	s_delay_alu instid0(VALU_DEP_1) | instskip(NEXT) | instid1(VALU_DEP_1)
	v_div_fixup_f64 v[2:3], v[2:3], v[16:17], v[18:19]
	v_fmac_f64_e32 v[16:17], v[18:19], v[2:3]
	s_delay_alu instid0(VALU_DEP_1) | instskip(NEXT) | instid1(VALU_DEP_1)
	v_div_scale_f64 v[18:19], null, v[16:17], v[16:17], 1.0
	v_rcp_f64_e32 v[20:21], v[18:19]
	v_nop
	s_delay_alu instid0(TRANS32_DEP_1) | instskip(NEXT) | instid1(VALU_DEP_1)
	v_fma_f64 v[22:23], -v[18:19], v[20:21], 1.0
	v_fmac_f64_e32 v[20:21], v[20:21], v[22:23]
	s_delay_alu instid0(VALU_DEP_1) | instskip(NEXT) | instid1(VALU_DEP_1)
	v_fma_f64 v[22:23], -v[18:19], v[20:21], 1.0
	v_fmac_f64_e32 v[20:21], v[20:21], v[22:23]
	v_div_scale_f64 v[22:23], vcc_lo, 1.0, v[16:17], 1.0
	s_delay_alu instid0(VALU_DEP_1) | instskip(NEXT) | instid1(VALU_DEP_1)
	v_mul_f64_e32 v[46:47], v[22:23], v[20:21]
	v_fma_f64 v[18:19], -v[18:19], v[46:47], v[22:23]
	s_delay_alu instid0(VALU_DEP_1) | instskip(NEXT) | instid1(VALU_DEP_1)
	v_div_fmas_f64 v[18:19], v[18:19], v[20:21], v[46:47]
	v_div_fixup_f64 v[20:21], v[18:19], v[16:17], 1.0
	s_delay_alu instid0(VALU_DEP_1)
	v_mul_f64_e64 v[22:23], v[2:3], -v[20:21]
.LBB173_543:                            ;   in Loop: Header=BB173_3 Depth=1
	s_or_b32 exec_lo, exec_lo, s54
	ds_store_b128 v142, v[20:23]
.LBB173_544:                            ;   in Loop: Header=BB173_3 Depth=1
	s_or_b32 exec_lo, exec_lo, s1
                                        ; implicit-def: $vgpr46_vgpr47
	s_and_not1_saveexec_b32 s0, s0
	s_cbranch_execnz .LBB173_21
	s_branch .LBB173_22
.LBB173_545:                            ;   in Loop: Header=BB173_3 Depth=1
	s_or_b32 exec_lo, exec_lo, s54
	s_delay_alu instid0(SALU_CYCLE_1)
	s_and_b32 vcc_lo, exec_lo, s1
	s_cbranch_vccnz .LBB173_484
.LBB173_546:                            ;   in Loop: Header=BB173_3 Depth=1
	s_delay_alu instid0(VALU_DEP_1) | instskip(NEXT) | instid1(VALU_DEP_3)
	v_mov_b64_e32 v[18:19], v[2:3]
	v_mov_b64_e32 v[16:17], v[22:23]
	;; [unrolled: 1-line block ×3, first 2 shown]
	s_and_saveexec_b32 s1, s0
	s_cbranch_execz .LBB173_548
.LBB173_547:                            ;   in Loop: Header=BB173_3 Depth=1
	s_delay_alu instid0(VALU_DEP_1)
	v_lshl_add_u64 v[2:3], v[2:3], 4, v[20:21]
	flat_store_b128 v[2:3], v[16:19]
.LBB173_548:                            ;   in Loop: Header=BB173_3 Depth=1
	s_wait_xcnt 0x0
	s_or_b32 exec_lo, exec_lo, s1
	global_wb scope:SCOPE_DEV
	s_wait_storecnt_dscnt 0x0
	global_inv scope:SCOPE_DEV
	s_wait_loadcnt 0x0
	s_barrier_signal -1
	s_barrier_wait -1
	s_and_saveexec_b32 s0, s35
	s_cbranch_execz .LBB173_2
; %bb.549:                              ;   in Loop: Header=BB173_3 Depth=1
	s_lshl_b64 s[54:55], s[38:39], 2
	s_delay_alu instid0(SALU_CYCLE_1)
	s_add_nc_u64 s[54:55], s[52:53], s[54:55]
	global_load_b32 v0, v1, s[54:55]
	s_wait_loadcnt 0x0
	v_add_nc_u32_e32 v0, 1, v0
	global_store_b32 v1, v0, s[54:55]
	s_branch .LBB173_2
.LBB173_550:                            ;   in Loop: Header=BB173_3 Depth=1
	ds_load_b128 v[20:23], v59 offset:16336
	ds_load_b128 v[208:211], v58 offset:15232
	s_wait_dscnt 0x0
	v_mul_f64_e32 v[2:3], v[22:23], v[210:211]
	s_delay_alu instid0(VALU_DEP_1) | instskip(SKIP_1) | instid1(VALU_DEP_2)
	v_fma_f64 v[2:3], v[20:21], v[208:209], -v[2:3]
	v_mul_f64_e32 v[20:21], v[20:21], v[210:211]
	v_add_f64_e32 v[16:17], v[16:17], v[2:3]
	s_delay_alu instid0(VALU_DEP_2) | instskip(NEXT) | instid1(VALU_DEP_1)
	v_fmac_f64_e32 v[20:21], v[22:23], v[208:209]
	v_add_f64_e32 v[18:19], v[18:19], v[20:21]
	s_or_b32 exec_lo, exec_lo, s1
	s_and_saveexec_b32 s1, s14
	s_cbranch_execz .LBB173_45
.LBB173_551:                            ;   in Loop: Header=BB173_3 Depth=1
	ds_load_b128 v[20:23], v59 offset:16352
	ds_load_b128 v[208:211], v58 offset:15744
	s_wait_dscnt 0x0
	v_mul_f64_e32 v[2:3], v[22:23], v[210:211]
	s_delay_alu instid0(VALU_DEP_1) | instskip(SKIP_1) | instid1(VALU_DEP_2)
	v_fma_f64 v[2:3], v[20:21], v[208:209], -v[2:3]
	v_mul_f64_e32 v[20:21], v[20:21], v[210:211]
	v_add_f64_e32 v[16:17], v[16:17], v[2:3]
	s_delay_alu instid0(VALU_DEP_2) | instskip(NEXT) | instid1(VALU_DEP_1)
	v_fmac_f64_e32 v[20:21], v[22:23], v[208:209]
	v_add_f64_e32 v[18:19], v[18:19], v[20:21]
	s_or_b32 exec_lo, exec_lo, s1
	s_and_saveexec_b32 s1, s3
	s_cbranch_execnz .LBB173_46
	s_branch .LBB173_47
.LBB173_552:                            ;   in Loop: Header=BB173_3 Depth=1
	ds_load_b128 v[20:23], v63 offset:16272
	ds_load_b128 v[208:211], v62 offset:13056
	s_wait_dscnt 0x0
	v_mul_f64_e32 v[2:3], v[22:23], v[210:211]
	s_delay_alu instid0(VALU_DEP_1) | instskip(SKIP_1) | instid1(VALU_DEP_2)
	v_fma_f64 v[2:3], v[20:21], v[208:209], -v[2:3]
	v_mul_f64_e32 v[20:21], v[20:21], v[210:211]
	v_add_f64_e32 v[16:17], v[16:17], v[2:3]
	s_delay_alu instid0(VALU_DEP_2) | instskip(NEXT) | instid1(VALU_DEP_1)
	v_fmac_f64_e32 v[20:21], v[22:23], v[208:209]
	v_add_f64_e32 v[18:19], v[18:19], v[20:21]
	s_or_b32 exec_lo, exec_lo, s1
	s_and_saveexec_b32 s1, s16
	s_cbranch_execz .LBB173_87
.LBB173_553:                            ;   in Loop: Header=BB173_3 Depth=1
	ds_load_b128 v[20:23], v63 offset:16288
	ds_load_b128 v[208:211], v62 offset:13568
	s_wait_dscnt 0x0
	v_mul_f64_e32 v[2:3], v[22:23], v[210:211]
	s_delay_alu instid0(VALU_DEP_1) | instskip(SKIP_1) | instid1(VALU_DEP_2)
	v_fma_f64 v[2:3], v[20:21], v[208:209], -v[2:3]
	v_mul_f64_e32 v[20:21], v[20:21], v[210:211]
	v_add_f64_e32 v[16:17], v[16:17], v[2:3]
	s_delay_alu instid0(VALU_DEP_2) | instskip(NEXT) | instid1(VALU_DEP_1)
	v_fmac_f64_e32 v[20:21], v[22:23], v[208:209]
	v_add_f64_e32 v[18:19], v[18:19], v[20:21]
	s_or_b32 exec_lo, exec_lo, s1
	s_and_saveexec_b32 s1, s17
	s_cbranch_execz .LBB173_88
.LBB173_554:                            ;   in Loop: Header=BB173_3 Depth=1
	ds_load_b128 v[20:23], v63 offset:16304
	ds_load_b128 v[208:211], v62 offset:14080
	s_wait_dscnt 0x0
	v_mul_f64_e32 v[2:3], v[22:23], v[210:211]
	s_delay_alu instid0(VALU_DEP_1) | instskip(SKIP_1) | instid1(VALU_DEP_2)
	v_fma_f64 v[2:3], v[20:21], v[208:209], -v[2:3]
	v_mul_f64_e32 v[20:21], v[20:21], v[210:211]
	v_add_f64_e32 v[16:17], v[16:17], v[2:3]
	s_delay_alu instid0(VALU_DEP_2) | instskip(NEXT) | instid1(VALU_DEP_1)
	v_fmac_f64_e32 v[20:21], v[22:23], v[208:209]
	v_add_f64_e32 v[18:19], v[18:19], v[20:21]
	s_or_b32 exec_lo, exec_lo, s1
	s_and_saveexec_b32 s1, s18
	s_cbranch_execz .LBB173_89
.LBB173_555:                            ;   in Loop: Header=BB173_3 Depth=1
	ds_load_b128 v[20:23], v63 offset:16320
	ds_load_b128 v[208:211], v62 offset:14592
	s_wait_dscnt 0x0
	v_mul_f64_e32 v[2:3], v[22:23], v[210:211]
	s_delay_alu instid0(VALU_DEP_1) | instskip(SKIP_1) | instid1(VALU_DEP_2)
	v_fma_f64 v[2:3], v[20:21], v[208:209], -v[2:3]
	v_mul_f64_e32 v[20:21], v[20:21], v[210:211]
	v_add_f64_e32 v[16:17], v[16:17], v[2:3]
	s_delay_alu instid0(VALU_DEP_2) | instskip(NEXT) | instid1(VALU_DEP_1)
	v_fmac_f64_e32 v[20:21], v[22:23], v[208:209]
	v_add_f64_e32 v[18:19], v[18:19], v[20:21]
	s_or_b32 exec_lo, exec_lo, s1
	s_and_saveexec_b32 s1, s19
	s_cbranch_execz .LBB173_90
.LBB173_556:                            ;   in Loop: Header=BB173_3 Depth=1
	ds_load_b128 v[20:23], v63 offset:16336
	ds_load_b128 v[208:211], v62 offset:15104
	s_wait_dscnt 0x0
	v_mul_f64_e32 v[2:3], v[22:23], v[210:211]
	s_delay_alu instid0(VALU_DEP_1) | instskip(SKIP_1) | instid1(VALU_DEP_2)
	v_fma_f64 v[2:3], v[20:21], v[208:209], -v[2:3]
	v_mul_f64_e32 v[20:21], v[20:21], v[210:211]
	v_add_f64_e32 v[16:17], v[16:17], v[2:3]
	s_delay_alu instid0(VALU_DEP_2) | instskip(NEXT) | instid1(VALU_DEP_1)
	v_fmac_f64_e32 v[20:21], v[22:23], v[208:209]
	v_add_f64_e32 v[18:19], v[18:19], v[20:21]
	s_or_b32 exec_lo, exec_lo, s1
	s_and_saveexec_b32 s1, s6
	s_cbranch_execz .LBB173_91
.LBB173_557:                            ;   in Loop: Header=BB173_3 Depth=1
	ds_load_b128 v[20:23], v63 offset:16352
	ds_load_b128 v[208:211], v62 offset:15616
	s_wait_dscnt 0x0
	v_mul_f64_e32 v[2:3], v[22:23], v[210:211]
	s_delay_alu instid0(VALU_DEP_1) | instskip(SKIP_1) | instid1(VALU_DEP_2)
	v_fma_f64 v[2:3], v[20:21], v[208:209], -v[2:3]
	v_mul_f64_e32 v[20:21], v[20:21], v[210:211]
	v_add_f64_e32 v[16:17], v[16:17], v[2:3]
	s_delay_alu instid0(VALU_DEP_2) | instskip(NEXT) | instid1(VALU_DEP_1)
	v_fmac_f64_e32 v[20:21], v[22:23], v[208:209]
	v_add_f64_e32 v[18:19], v[18:19], v[20:21]
	s_or_b32 exec_lo, exec_lo, s1
	s_and_saveexec_b32 s1, s14
	s_cbranch_execnz .LBB173_92
	s_branch .LBB173_93
.LBB173_558:                            ;   in Loop: Header=BB173_3 Depth=1
	ds_load_b128 v[20:23], v59 offset:12112
	ds_load_b128 v[208:211], v58 offset:11008
	s_wait_dscnt 0x0
	v_mul_f64_e32 v[2:3], v[22:23], v[210:211]
	s_delay_alu instid0(VALU_DEP_1) | instskip(SKIP_1) | instid1(VALU_DEP_2)
	v_fma_f64 v[2:3], v[20:21], v[208:209], -v[2:3]
	v_mul_f64_e32 v[20:21], v[20:21], v[210:211]
	v_add_f64_e32 v[16:17], v[16:17], v[2:3]
	s_delay_alu instid0(VALU_DEP_2) | instskip(NEXT) | instid1(VALU_DEP_1)
	v_fmac_f64_e32 v[20:21], v[22:23], v[208:209]
	v_add_f64_e32 v[18:19], v[18:19], v[20:21]
	s_or_b32 exec_lo, exec_lo, s1
	s_and_saveexec_b32 s1, s14
	s_cbranch_execz .LBB173_149
.LBB173_559:                            ;   in Loop: Header=BB173_3 Depth=1
	ds_load_b128 v[20:23], v59 offset:12128
	ds_load_b128 v[208:211], v58 offset:11520
	s_wait_dscnt 0x0
	v_mul_f64_e32 v[2:3], v[22:23], v[210:211]
	s_delay_alu instid0(VALU_DEP_1) | instskip(SKIP_1) | instid1(VALU_DEP_2)
	v_fma_f64 v[2:3], v[20:21], v[208:209], -v[2:3]
	v_mul_f64_e32 v[20:21], v[20:21], v[210:211]
	v_add_f64_e32 v[16:17], v[16:17], v[2:3]
	s_delay_alu instid0(VALU_DEP_2) | instskip(NEXT) | instid1(VALU_DEP_1)
	v_fmac_f64_e32 v[20:21], v[22:23], v[208:209]
	v_add_f64_e32 v[18:19], v[18:19], v[20:21]
	s_or_b32 exec_lo, exec_lo, s1
	s_and_saveexec_b32 s1, s3
	s_cbranch_execnz .LBB173_150
	s_branch .LBB173_151
.LBB173_560:                            ;   in Loop: Header=BB173_3 Depth=1
	ds_load_b128 v[20:23], v75 offset:16304
	ds_load_b128 v[208:211], v74 offset:13824
	s_wait_dscnt 0x0
	v_mul_f64_e32 v[2:3], v[22:23], v[210:211]
	s_delay_alu instid0(VALU_DEP_1) | instskip(SKIP_1) | instid1(VALU_DEP_2)
	v_fma_f64 v[2:3], v[20:21], v[208:209], -v[2:3]
	v_mul_f64_e32 v[20:21], v[20:21], v[210:211]
	v_add_f64_e32 v[16:17], v[16:17], v[2:3]
	s_delay_alu instid0(VALU_DEP_2) | instskip(NEXT) | instid1(VALU_DEP_1)
	v_fmac_f64_e32 v[20:21], v[22:23], v[208:209]
	v_add_f64_e32 v[18:19], v[18:19], v[20:21]
	s_or_b32 exec_lo, exec_lo, s1
	s_and_saveexec_b32 s1, s8
	s_cbranch_execz .LBB173_211
.LBB173_561:                            ;   in Loop: Header=BB173_3 Depth=1
	ds_load_b128 v[20:23], v75 offset:16320
	ds_load_b128 v[208:211], v74 offset:14336
	s_wait_dscnt 0x0
	v_mul_f64_e32 v[2:3], v[22:23], v[210:211]
	s_delay_alu instid0(VALU_DEP_1) | instskip(SKIP_1) | instid1(VALU_DEP_2)
	v_fma_f64 v[2:3], v[20:21], v[208:209], -v[2:3]
	v_mul_f64_e32 v[20:21], v[20:21], v[210:211]
	v_add_f64_e32 v[16:17], v[16:17], v[2:3]
	s_delay_alu instid0(VALU_DEP_2) | instskip(NEXT) | instid1(VALU_DEP_1)
	v_fmac_f64_e32 v[20:21], v[22:23], v[208:209]
	v_add_f64_e32 v[18:19], v[18:19], v[20:21]
	s_or_b32 exec_lo, exec_lo, s1
	s_and_saveexec_b32 s1, s16
	s_cbranch_execz .LBB173_212
.LBB173_562:                            ;   in Loop: Header=BB173_3 Depth=1
	ds_load_b128 v[20:23], v75 offset:16336
	ds_load_b128 v[208:211], v74 offset:14848
	s_wait_dscnt 0x0
	v_mul_f64_e32 v[2:3], v[22:23], v[210:211]
	s_delay_alu instid0(VALU_DEP_1) | instskip(SKIP_1) | instid1(VALU_DEP_2)
	v_fma_f64 v[2:3], v[20:21], v[208:209], -v[2:3]
	v_mul_f64_e32 v[20:21], v[20:21], v[210:211]
	v_add_f64_e32 v[16:17], v[16:17], v[2:3]
	s_delay_alu instid0(VALU_DEP_2) | instskip(NEXT) | instid1(VALU_DEP_1)
	v_fmac_f64_e32 v[20:21], v[22:23], v[208:209]
	v_add_f64_e32 v[18:19], v[18:19], v[20:21]
	s_or_b32 exec_lo, exec_lo, s1
	s_and_saveexec_b32 s1, s18
	s_cbranch_execz .LBB173_213
.LBB173_563:                            ;   in Loop: Header=BB173_3 Depth=1
	ds_load_b128 v[20:23], v75 offset:16352
	ds_load_b128 v[208:211], v74 offset:15360
	s_wait_dscnt 0x0
	v_mul_f64_e32 v[2:3], v[22:23], v[210:211]
	s_delay_alu instid0(VALU_DEP_1) | instskip(SKIP_1) | instid1(VALU_DEP_2)
	v_fma_f64 v[2:3], v[20:21], v[208:209], -v[2:3]
	v_mul_f64_e32 v[20:21], v[20:21], v[210:211]
	v_add_f64_e32 v[16:17], v[16:17], v[2:3]
	s_delay_alu instid0(VALU_DEP_2) | instskip(NEXT) | instid1(VALU_DEP_1)
	v_fmac_f64_e32 v[20:21], v[22:23], v[208:209]
	v_add_f64_e32 v[18:19], v[18:19], v[20:21]
	s_or_b32 exec_lo, exec_lo, s1
	s_and_saveexec_b32 s1, s6
	s_cbranch_execnz .LBB173_214
	s_branch .LBB173_215
.LBB173_564:                            ;   in Loop: Header=BB173_3 Depth=1
	ds_load_b128 v[20:23], v59 offset:7888
	ds_load_b128 v[208:211], v58 offset:6784
	s_wait_dscnt 0x0
	v_mul_f64_e32 v[2:3], v[22:23], v[210:211]
	s_delay_alu instid0(VALU_DEP_1) | instskip(SKIP_1) | instid1(VALU_DEP_2)
	v_fma_f64 v[2:3], v[20:21], v[208:209], -v[2:3]
	v_mul_f64_e32 v[20:21], v[20:21], v[210:211]
	v_add_f64_e32 v[16:17], v[16:17], v[2:3]
	s_delay_alu instid0(VALU_DEP_2) | instskip(NEXT) | instid1(VALU_DEP_1)
	v_fmac_f64_e32 v[20:21], v[22:23], v[208:209]
	v_add_f64_e32 v[18:19], v[18:19], v[20:21]
	s_or_b32 exec_lo, exec_lo, s1
	s_and_saveexec_b32 s1, s14
	s_cbranch_execz .LBB173_303
.LBB173_565:                            ;   in Loop: Header=BB173_3 Depth=1
	ds_load_b128 v[20:23], v59 offset:7904
	ds_load_b128 v[208:211], v58 offset:7296
	s_wait_dscnt 0x0
	v_mul_f64_e32 v[2:3], v[22:23], v[210:211]
	s_delay_alu instid0(VALU_DEP_1) | instskip(SKIP_1) | instid1(VALU_DEP_2)
	v_fma_f64 v[2:3], v[20:21], v[208:209], -v[2:3]
	v_mul_f64_e32 v[20:21], v[20:21], v[210:211]
	v_add_f64_e32 v[16:17], v[16:17], v[2:3]
	s_delay_alu instid0(VALU_DEP_2) | instskip(NEXT) | instid1(VALU_DEP_1)
	v_fmac_f64_e32 v[20:21], v[22:23], v[208:209]
	v_add_f64_e32 v[18:19], v[18:19], v[20:21]
	s_or_b32 exec_lo, exec_lo, s1
	s_and_saveexec_b32 s1, s3
	s_cbranch_execnz .LBB173_304
	s_branch .LBB173_305
.LBB173_566:                            ;   in Loop: Header=BB173_3 Depth=1
	ds_load_b128 v[20:23], v63 offset:7824
	ds_load_b128 v[208:211], v62 offset:4608
	s_wait_dscnt 0x0
	v_mul_f64_e32 v[2:3], v[22:23], v[210:211]
	s_delay_alu instid0(VALU_DEP_1) | instskip(SKIP_1) | instid1(VALU_DEP_2)
	v_fma_f64 v[2:3], v[20:21], v[208:209], -v[2:3]
	v_mul_f64_e32 v[20:21], v[20:21], v[210:211]
	v_add_f64_e32 v[16:17], v[16:17], v[2:3]
	s_delay_alu instid0(VALU_DEP_2) | instskip(NEXT) | instid1(VALU_DEP_1)
	v_fmac_f64_e32 v[20:21], v[22:23], v[208:209]
	v_add_f64_e32 v[18:19], v[18:19], v[20:21]
	s_or_b32 exec_lo, exec_lo, s1
	s_and_saveexec_b32 s1, s16
	s_cbranch_execz .LBB173_345
.LBB173_567:                            ;   in Loop: Header=BB173_3 Depth=1
	ds_load_b128 v[20:23], v63 offset:7840
	ds_load_b128 v[208:211], v62 offset:5120
	s_wait_dscnt 0x0
	v_mul_f64_e32 v[2:3], v[22:23], v[210:211]
	s_delay_alu instid0(VALU_DEP_1) | instskip(SKIP_1) | instid1(VALU_DEP_2)
	v_fma_f64 v[2:3], v[20:21], v[208:209], -v[2:3]
	v_mul_f64_e32 v[20:21], v[20:21], v[210:211]
	v_add_f64_e32 v[16:17], v[16:17], v[2:3]
	s_delay_alu instid0(VALU_DEP_2) | instskip(NEXT) | instid1(VALU_DEP_1)
	v_fmac_f64_e32 v[20:21], v[22:23], v[208:209]
	v_add_f64_e32 v[18:19], v[18:19], v[20:21]
	s_or_b32 exec_lo, exec_lo, s1
	s_and_saveexec_b32 s1, s17
	s_cbranch_execz .LBB173_346
.LBB173_568:                            ;   in Loop: Header=BB173_3 Depth=1
	ds_load_b128 v[20:23], v63 offset:7856
	ds_load_b128 v[208:211], v62 offset:5632
	s_wait_dscnt 0x0
	v_mul_f64_e32 v[2:3], v[22:23], v[210:211]
	s_delay_alu instid0(VALU_DEP_1) | instskip(SKIP_1) | instid1(VALU_DEP_2)
	v_fma_f64 v[2:3], v[20:21], v[208:209], -v[2:3]
	v_mul_f64_e32 v[20:21], v[20:21], v[210:211]
	v_add_f64_e32 v[16:17], v[16:17], v[2:3]
	s_delay_alu instid0(VALU_DEP_2) | instskip(NEXT) | instid1(VALU_DEP_1)
	v_fmac_f64_e32 v[20:21], v[22:23], v[208:209]
	v_add_f64_e32 v[18:19], v[18:19], v[20:21]
	s_or_b32 exec_lo, exec_lo, s1
	s_and_saveexec_b32 s1, s18
	s_cbranch_execz .LBB173_347
.LBB173_569:                            ;   in Loop: Header=BB173_3 Depth=1
	ds_load_b128 v[20:23], v63 offset:7872
	ds_load_b128 v[208:211], v62 offset:6144
	s_wait_dscnt 0x0
	v_mul_f64_e32 v[2:3], v[22:23], v[210:211]
	s_delay_alu instid0(VALU_DEP_1) | instskip(SKIP_1) | instid1(VALU_DEP_2)
	v_fma_f64 v[2:3], v[20:21], v[208:209], -v[2:3]
	v_mul_f64_e32 v[20:21], v[20:21], v[210:211]
	v_add_f64_e32 v[16:17], v[16:17], v[2:3]
	s_delay_alu instid0(VALU_DEP_2) | instskip(NEXT) | instid1(VALU_DEP_1)
	v_fmac_f64_e32 v[20:21], v[22:23], v[208:209]
	v_add_f64_e32 v[18:19], v[18:19], v[20:21]
	s_or_b32 exec_lo, exec_lo, s1
	s_and_saveexec_b32 s1, s19
	s_cbranch_execz .LBB173_348
.LBB173_570:                            ;   in Loop: Header=BB173_3 Depth=1
	ds_load_b128 v[20:23], v63 offset:7888
	ds_load_b128 v[208:211], v62 offset:6656
	s_wait_dscnt 0x0
	v_mul_f64_e32 v[2:3], v[22:23], v[210:211]
	s_delay_alu instid0(VALU_DEP_1) | instskip(SKIP_1) | instid1(VALU_DEP_2)
	v_fma_f64 v[2:3], v[20:21], v[208:209], -v[2:3]
	v_mul_f64_e32 v[20:21], v[20:21], v[210:211]
	v_add_f64_e32 v[16:17], v[16:17], v[2:3]
	s_delay_alu instid0(VALU_DEP_2) | instskip(NEXT) | instid1(VALU_DEP_1)
	v_fmac_f64_e32 v[20:21], v[22:23], v[208:209]
	v_add_f64_e32 v[18:19], v[18:19], v[20:21]
	s_or_b32 exec_lo, exec_lo, s1
	s_and_saveexec_b32 s1, s6
	s_cbranch_execz .LBB173_349
.LBB173_571:                            ;   in Loop: Header=BB173_3 Depth=1
	ds_load_b128 v[20:23], v63 offset:7904
	ds_load_b128 v[208:211], v62 offset:7168
	s_wait_dscnt 0x0
	v_mul_f64_e32 v[2:3], v[22:23], v[210:211]
	s_delay_alu instid0(VALU_DEP_1) | instskip(SKIP_1) | instid1(VALU_DEP_2)
	v_fma_f64 v[2:3], v[20:21], v[208:209], -v[2:3]
	v_mul_f64_e32 v[20:21], v[20:21], v[210:211]
	v_add_f64_e32 v[16:17], v[16:17], v[2:3]
	s_delay_alu instid0(VALU_DEP_2) | instskip(NEXT) | instid1(VALU_DEP_1)
	v_fmac_f64_e32 v[20:21], v[22:23], v[208:209]
	v_add_f64_e32 v[18:19], v[18:19], v[20:21]
	s_or_b32 exec_lo, exec_lo, s1
	s_and_saveexec_b32 s1, s14
	s_cbranch_execnz .LBB173_350
	s_branch .LBB173_351
.LBB173_572:                            ;   in Loop: Header=BB173_3 Depth=1
	ds_load_b128 v[20:23], v59 offset:3664
	ds_load_b128 v[208:211], v58 offset:2560
	s_wait_dscnt 0x0
	v_mul_f64_e32 v[2:3], v[22:23], v[210:211]
	s_delay_alu instid0(VALU_DEP_1) | instskip(SKIP_1) | instid1(VALU_DEP_2)
	v_fma_f64 v[2:3], v[20:21], v[208:209], -v[2:3]
	v_mul_f64_e32 v[20:21], v[20:21], v[210:211]
	v_add_f64_e32 v[16:17], v[16:17], v[2:3]
	s_delay_alu instid0(VALU_DEP_2) | instskip(NEXT) | instid1(VALU_DEP_1)
	v_fmac_f64_e32 v[20:21], v[22:23], v[208:209]
	v_add_f64_e32 v[18:19], v[18:19], v[20:21]
	s_or_b32 exec_lo, exec_lo, s1
	s_and_saveexec_b32 s1, s14
	s_cbranch_execz .LBB173_407
.LBB173_573:                            ;   in Loop: Header=BB173_3 Depth=1
	ds_load_b128 v[20:23], v59 offset:3680
	ds_load_b128 v[208:211], v58 offset:3072
	s_wait_dscnt 0x0
	v_mul_f64_e32 v[2:3], v[22:23], v[210:211]
	s_delay_alu instid0(VALU_DEP_1) | instskip(SKIP_1) | instid1(VALU_DEP_2)
	v_fma_f64 v[2:3], v[20:21], v[208:209], -v[2:3]
	v_mul_f64_e32 v[20:21], v[20:21], v[210:211]
	v_add_f64_e32 v[16:17], v[16:17], v[2:3]
	s_delay_alu instid0(VALU_DEP_2) | instskip(NEXT) | instid1(VALU_DEP_1)
	v_fmac_f64_e32 v[20:21], v[22:23], v[208:209]
	v_add_f64_e32 v[18:19], v[18:19], v[20:21]
	s_or_b32 exec_lo, exec_lo, s1
	s_and_saveexec_b32 s1, s3
	s_cbranch_execnz .LBB173_408
	s_branch .LBB173_409
.LBB173_574:
	s_endpgm
	.section	.rodata,"a",@progbits
	.p2align	6, 0x0
	.amdhsa_kernel _ZL19rocblas_trsv_deviceILi32ELi16ELb0ELb1ELb0ELb0E19rocblas_complex_numIdEPKS1_PKS3_PKPS1_EviT7_lllT6_T8_lllPii
		.amdhsa_group_segment_fixed_size 25104
		.amdhsa_private_segment_fixed_size 0
		.amdhsa_kernarg_size 352
		.amdhsa_user_sgpr_count 2
		.amdhsa_user_sgpr_dispatch_ptr 0
		.amdhsa_user_sgpr_queue_ptr 0
		.amdhsa_user_sgpr_kernarg_segment_ptr 1
		.amdhsa_user_sgpr_dispatch_id 0
		.amdhsa_user_sgpr_kernarg_preload_length 0
		.amdhsa_user_sgpr_kernarg_preload_offset 0
		.amdhsa_user_sgpr_private_segment_size 0
		.amdhsa_wavefront_size32 1
		.amdhsa_uses_dynamic_stack 0
		.amdhsa_enable_private_segment 0
		.amdhsa_system_sgpr_workgroup_id_x 1
		.amdhsa_system_sgpr_workgroup_id_y 0
		.amdhsa_system_sgpr_workgroup_id_z 1
		.amdhsa_system_sgpr_workgroup_info 0
		.amdhsa_system_vgpr_workitem_id 1
		.amdhsa_next_free_vgpr 212
		.amdhsa_next_free_sgpr 105
		.amdhsa_named_barrier_count 0
		.amdhsa_reserve_vcc 1
		.amdhsa_float_round_mode_32 0
		.amdhsa_float_round_mode_16_64 0
		.amdhsa_float_denorm_mode_32 3
		.amdhsa_float_denorm_mode_16_64 3
		.amdhsa_fp16_overflow 0
		.amdhsa_memory_ordered 1
		.amdhsa_forward_progress 1
		.amdhsa_inst_pref_size 230
		.amdhsa_round_robin_scheduling 0
		.amdhsa_exception_fp_ieee_invalid_op 0
		.amdhsa_exception_fp_denorm_src 0
		.amdhsa_exception_fp_ieee_div_zero 0
		.amdhsa_exception_fp_ieee_overflow 0
		.amdhsa_exception_fp_ieee_underflow 0
		.amdhsa_exception_fp_ieee_inexact 0
		.amdhsa_exception_int_div_zero 0
	.end_amdhsa_kernel
	.section	.text._ZL19rocblas_trsv_deviceILi32ELi16ELb0ELb1ELb0ELb0E19rocblas_complex_numIdEPKS1_PKS3_PKPS1_EviT7_lllT6_T8_lllPii,"axG",@progbits,_ZL19rocblas_trsv_deviceILi32ELi16ELb0ELb1ELb0ELb0E19rocblas_complex_numIdEPKS1_PKS3_PKPS1_EviT7_lllT6_T8_lllPii,comdat
.Lfunc_end173:
	.size	_ZL19rocblas_trsv_deviceILi32ELi16ELb0ELb1ELb0ELb0E19rocblas_complex_numIdEPKS1_PKS3_PKPS1_EviT7_lllT6_T8_lllPii, .Lfunc_end173-_ZL19rocblas_trsv_deviceILi32ELi16ELb0ELb1ELb0ELb0E19rocblas_complex_numIdEPKS1_PKS3_PKPS1_EviT7_lllT6_T8_lllPii
                                        ; -- End function
	.set _ZL19rocblas_trsv_deviceILi32ELi16ELb0ELb1ELb0ELb0E19rocblas_complex_numIdEPKS1_PKS3_PKPS1_EviT7_lllT6_T8_lllPii.num_vgpr, 212
	.set _ZL19rocblas_trsv_deviceILi32ELi16ELb0ELb1ELb0ELb0E19rocblas_complex_numIdEPKS1_PKS3_PKPS1_EviT7_lllT6_T8_lllPii.num_agpr, 0
	.set _ZL19rocblas_trsv_deviceILi32ELi16ELb0ELb1ELb0ELb0E19rocblas_complex_numIdEPKS1_PKS3_PKPS1_EviT7_lllT6_T8_lllPii.numbered_sgpr, 105
	.set _ZL19rocblas_trsv_deviceILi32ELi16ELb0ELb1ELb0ELb0E19rocblas_complex_numIdEPKS1_PKS3_PKPS1_EviT7_lllT6_T8_lllPii.num_named_barrier, 0
	.set _ZL19rocblas_trsv_deviceILi32ELi16ELb0ELb1ELb0ELb0E19rocblas_complex_numIdEPKS1_PKS3_PKPS1_EviT7_lllT6_T8_lllPii.private_seg_size, 0
	.set _ZL19rocblas_trsv_deviceILi32ELi16ELb0ELb1ELb0ELb0E19rocblas_complex_numIdEPKS1_PKS3_PKPS1_EviT7_lllT6_T8_lllPii.uses_vcc, 1
	.set _ZL19rocblas_trsv_deviceILi32ELi16ELb0ELb1ELb0ELb0E19rocblas_complex_numIdEPKS1_PKS3_PKPS1_EviT7_lllT6_T8_lllPii.uses_flat_scratch, 0
	.set _ZL19rocblas_trsv_deviceILi32ELi16ELb0ELb1ELb0ELb0E19rocblas_complex_numIdEPKS1_PKS3_PKPS1_EviT7_lllT6_T8_lllPii.has_dyn_sized_stack, 0
	.set _ZL19rocblas_trsv_deviceILi32ELi16ELb0ELb1ELb0ELb0E19rocblas_complex_numIdEPKS1_PKS3_PKPS1_EviT7_lllT6_T8_lllPii.has_recursion, 0
	.set _ZL19rocblas_trsv_deviceILi32ELi16ELb0ELb1ELb0ELb0E19rocblas_complex_numIdEPKS1_PKS3_PKPS1_EviT7_lllT6_T8_lllPii.has_indirect_call, 0
	.section	.AMDGPU.csdata,"",@progbits
; Kernel info:
; codeLenInByte = 29368
; TotalNumSgprs: 107
; NumVgprs: 212
; ScratchSize: 0
; MemoryBound: 1
; FloatMode: 240
; IeeeMode: 1
; LDSByteSize: 25104 bytes/workgroup (compile time only)
; SGPRBlocks: 0
; VGPRBlocks: 13
; NumSGPRsForWavesPerEU: 107
; NumVGPRsForWavesPerEU: 212
; NamedBarCnt: 0
; Occupancy: 4
; WaveLimiterHint : 1
; COMPUTE_PGM_RSRC2:SCRATCH_EN: 0
; COMPUTE_PGM_RSRC2:USER_SGPR: 2
; COMPUTE_PGM_RSRC2:TRAP_HANDLER: 0
; COMPUTE_PGM_RSRC2:TGID_X_EN: 1
; COMPUTE_PGM_RSRC2:TGID_Y_EN: 0
; COMPUTE_PGM_RSRC2:TGID_Z_EN: 1
; COMPUTE_PGM_RSRC2:TIDIG_COMP_CNT: 1
	.section	.text._ZL19rocblas_trsv_deviceILi32ELi16ELb0ELb1ELb1ELb0E19rocblas_complex_numIdEPKS1_PKS3_PKPS1_EviT7_lllT6_T8_lllPii,"axG",@progbits,_ZL19rocblas_trsv_deviceILi32ELi16ELb0ELb1ELb1ELb0E19rocblas_complex_numIdEPKS1_PKS3_PKPS1_EviT7_lllT6_T8_lllPii,comdat
	.globl	_ZL19rocblas_trsv_deviceILi32ELi16ELb0ELb1ELb1ELb0E19rocblas_complex_numIdEPKS1_PKS3_PKPS1_EviT7_lllT6_T8_lllPii ; -- Begin function _ZL19rocblas_trsv_deviceILi32ELi16ELb0ELb1ELb1ELb0E19rocblas_complex_numIdEPKS1_PKS3_PKPS1_EviT7_lllT6_T8_lllPii
	.p2align	8
	.type	_ZL19rocblas_trsv_deviceILi32ELi16ELb0ELb1ELb1ELb0E19rocblas_complex_numIdEPKS1_PKS3_PKPS1_EviT7_lllT6_T8_lllPii,@function
_ZL19rocblas_trsv_deviceILi32ELi16ELb0ELb1ELb1ELb0E19rocblas_complex_numIdEPKS1_PKS3_PKPS1_EviT7_lllT6_T8_lllPii: ; @_ZL19rocblas_trsv_deviceILi32ELi16ELb0ELb1ELb1ELb0E19rocblas_complex_numIdEPKS1_PKS3_PKPS1_EviT7_lllT6_T8_lllPii
; %bb.0:
	s_load_b32 s37, s[0:1], 0x58
	s_bfe_u32 s2, ttmp6, 0x40014
	s_lshr_b32 s3, ttmp7, 16
	s_add_co_i32 s2, s2, 1
	s_bfe_u32 s5, ttmp6, 0x40008
	s_mul_i32 s4, s3, s2
	s_getreg_b32 s2, hwreg(HW_REG_IB_STS2, 6, 4)
	s_add_co_i32 s5, s5, s4
	s_cmp_eq_u32 s2, 0
	s_mov_b32 s39, 0
	s_cselect_b32 s38, s3, s5
	s_wait_kmcnt 0x0
	s_cmp_ge_u32 s38, s37
	s_cbranch_scc1 .LBB174_574
; %bb.1:
	s_clause 0x3
	s_load_b32 s3, s[0:1], 0x6c
	s_load_b32 s56, s[0:1], 0x0
	s_load_b64 s[16:17], s[0:1], 0x18
	s_load_b256 s[40:47], s[0:1], 0x28
	s_bfe_u32 s4, ttmp6, 0x4000c
	s_and_b32 s5, ttmp6, 15
	s_add_co_i32 s4, s4, 1
	v_and_b32_e32 v24, 0x3ff, v0
	s_mul_i32 s4, ttmp9, s4
	v_mov_b32_e32 v1, 0
	s_add_co_i32 s5, s5, s4
	s_cmp_eq_u32 s2, 0
	v_bfe_u32 v48, v0, 10, 10
	s_cselect_b32 s57, ttmp9, s5
	v_dual_mov_b32 v27, v1 :: v_dual_lshlrev_b32 v6, 5, v24
	v_mov_b32_e32 v25, v1
	s_delay_alu instid0(VALU_DEP_3)
	v_lshl_add_u32 v10, v48, 5, v24
	v_sub_co_u32 v49, s7, s57, 1
	s_wait_kmcnt 0x0
	s_and_b32 s2, s3, 0xffff
	s_add_co_i32 s3, s56, -1
	s_ashr_i32 s4, s56, 31
	s_ashr_i32 s5, s3, 31
	s_lshr_b32 s4, s4, 27
	s_lshr_b32 s5, s5, 27
	s_add_co_i32 s4, s56, s4
	s_add_co_i32 s3, s3, s5
	s_and_not1_b32 s4, s4, 31
	s_ashr_i32 s3, s3, 5
	s_sub_co_i32 s15, s56, s4
	s_cmp_eq_u32 s3, s57
	s_add_nc_u64 s[4:5], s[16:17], 1
	s_cselect_b32 s3, -1, 0
	s_cmp_lg_u32 s15, 0
	v_dual_lshrrev_b32 v12, 1, v10 :: v_dual_bitop2_b32 v13, 1, v0 bitop3:0x40
	s_cselect_b32 s6, -1, 0
	s_lshl_b32 s18, s57, 5
	s_delay_alu instid0(SALU_CYCLE_1)
	v_dual_add_nc_u32 v7, 16, v48 :: v_dual_add_nc_u32 v8, s18, v48
	v_dual_add_nc_u32 v4, s18, v24 :: v_dual_add_nc_u32 v9, v48, v6
	s_and_b32 s31, s6, s3
	v_mad_nc_u64_u32 v[2:3], s4, s18, v[24:25]
	s_xor_b32 s58, s7, -1
	s_xor_b32 s59, s31, -1
	s_cmp_lt_i32 s57, 5
	v_dual_ashrrev_i32 v5, 31, v4 :: v_dual_add_nc_u32 v6, v7, v6
	v_lshl_add_u32 v11, v7, 5, v24
	s_cselect_b32 vcc_lo, -1, 0
	v_dual_lshlrev_b32 v14, 9, v12 :: v_dual_lshlrev_b32 v50, 4, v13
	s_ashr_i32 s19, s18, 31
	s_or_b32 s3, vcc_lo, s31
	v_cmp_eq_u32_e64 s6, 0, v13
	v_dual_cndmask_b32 v6, v11, v6, s3 :: v_dual_lshrrev_b32 v11, 10, v0
	s_xor_b32 s60, s3, -1
	s_mul_i32 s3, s4, s19
	s_mul_i32 s4, s5, s18
	v_dual_sub_nc_u32 v51, 0, v14 :: v_dual_lshlrev_b32 v52, 4, v24
	v_add3_u32 v3, s3, s4, v3
	v_cmp_gt_u32_e64 s3, 4, v10
	v_dual_sub_nc_u32 v53, v50, v14 :: v_dual_bitop2_b32 v14, 3, v0 bitop3:0x40
	v_cmp_eq_u32_e64 s5, 1, v13
	v_lshrrev_b32_e32 v13, 2, v10
	s_and_b32 s62, s6, s3
	v_cmp_gt_u32_e64 s6, 16, v10
	v_cmp_eq_u32_e64 s8, 3, v14
	v_cmp_ne_u32_e64 s9, 3, v14
	v_dual_lshlrev_b32 v15, 9, v13 :: v_dual_lshlrev_b32 v58, 4, v14
	s_and_b32 s61, s5, s3
	s_and_b32 s64, s8, s6
	v_cmp_gt_u32_e64 s8, 2, v14
	v_cmp_eq_u32_e64 s5, 0, v48
	v_sub_nc_u32_e32 v59, 0, v15
	v_lshl_add_u32 v57, v13, 4, 0x4000
	v_cmp_eq_u32_e64 s10, 2, v14
	v_cmp_eq_u32_e64 s11, 1, v14
	s_and_b32 s65, s9, s6
	v_cmp_eq_u32_e64 s9, 0, v14
	s_and_b32 s67, s8, s6
	v_dual_lshrrev_b32 v13, 3, v10 :: v_dual_sub_nc_u32 v60, v58, v15
	v_cmp_gt_u32_e64 s8, 4, v24
	v_and_b32_e32 v14, 7, v0
	s_and_b32 s69, s9, s6
	v_lshlrev_b32_e32 v15, 9, v13
	s_and_b32 s66, s10, s6
	s_and_b32 s70, s5, s8
	v_cmp_gt_u32_e64 s8, 64, v10
	v_cmp_eq_u32_e64 s9, 7, v14
	v_cmp_ne_u32_e64 s10, 7, v14
	v_dual_lshlrev_b32 v62, 4, v14 :: v_dual_sub_nc_u32 v63, 0, v15
	s_and_b32 s68, s11, s6
	s_and_b32 s71, s9, s8
	v_cmp_eq_u32_e64 s9, 5, v14
	s_and_b32 s72, s10, s8
	v_cmp_gt_u32_e64 s10, 5, v14
	v_lshl_add_u32 v61, v13, 4, 0x4000
	v_cmp_eq_u32_e64 s11, 6, v14
	s_and_b32 s75, s9, s8
	v_cmp_eq_u32_e64 s9, 4, v14
	s_and_b32 s76, s10, s8
	v_cmp_gt_u32_e64 s10, 3, v14
	v_dual_sub_nc_u32 v64, v62, v15 :: v_dual_lshlrev_b32 v13, 5, v10
	s_and_b32 s77, s9, s8
	v_cmp_eq_u32_e64 s9, 2, v14
	v_bitop3_b32 v11, v0, v11, 0x3ff bitop3:0xa8
	s_and_b32 s73, s11, s8
	v_cmp_gt_u32_e64 s11, 4, v14
	s_and_b32 s80, s10, s8
	v_cmp_gt_u32_e64 s10, 2, v14
	;; [unrolled: 2-line block ×3, first 2 shown]
	v_and_b32_e32 v13, 0xfffffe00, v13
	v_and_b32_e32 v0, 15, v0
	v_cmp_gt_u32_e64 s12, 6, v14
	s_and_b32 s78, s11, s8
	v_cmp_eq_u32_e64 s11, 1, v14
	s_and_b32 s82, s10, s8
	s_and_b32 s85, s5, s9
	v_cmp_gt_u32_e64 s9, 0x100, v10
	v_sub_nc_u32_e32 v75, 0, v13
	v_cmp_eq_u32_e64 s10, 15, v0
	s_and_b32 s74, s12, s8
	v_cmp_eq_u32_e64 s12, 3, v14
	s_and_b32 s83, s11, s8
	v_cmp_ne_u32_e64 s11, 15, v0
	s_and_b32 s10, s10, s9
                                        ; implicit-def: $vgpr207 : SGPR spill to VGPR lane
	v_cmp_eq_u32_e64 s13, 13, v0
	v_writelane_b32 v207, s10, 0
	s_and_b32 s79, s12, s8
	v_cmp_eq_u32_e64 s12, 0, v14
	v_cmp_eq_u32_e64 s10, 14, v0
	s_and_b32 s11, s11, s9
	v_lshl_add_u32 v25, v12, 4, 0x4000
	v_writelane_b32 v207, s11, 1
	s_and_b32 s84, s12, s8
	v_cmp_gt_u32_e64 s12, 14, v0
	s_and_b32 s10, s10, s9
	v_cmp_gt_u32_e64 s11, 13, v0
	v_writelane_b32 v207, s10, 2
	v_mad_u32_u24 v12, 0x1f0, v24, v52
	s_and_b32 s10, s12, s9
	v_cmp_eq_u32_e64 s12, 11, v0
	s_and_b32 s11, s11, s9
	v_writelane_b32 v207, s10, 3
	s_and_b32 s10, s13, s9
	v_cmp_gt_u32_e64 s13, 11, v0
	s_and_b32 s94, s12, s9
	v_cmp_gt_u32_e64 s12, 9, v0
	v_writelane_b32 v207, s10, 4
	v_cmp_eq_u32_e64 s10, 12, v0
	s_and_b32 s95, s13, s9
	v_cmp_eq_u32_e64 s13, 8, v0
	s_and_b32 s99, s12, s9
	v_writelane_b32 v207, s11, 5
	v_cmp_gt_u32_e64 s11, 12, v0
	s_and_b32 s92, s10, s9
	v_cmp_eq_u32_e64 s10, 10, v0
	s_and_b32 s100, s13, s9
	v_cmp_eq_u32_e64 s12, 6, v0
	s_and_b32 s93, s11, s9
	v_cmp_gt_u32_e64 s11, 10, v0
	s_and_b32 s96, s10, s9
	v_cmp_eq_u32_e64 s10, 9, v0
	v_cmp_gt_u32_e64 s13, 6, v0
	v_dual_lshlrev_b32 v74, 4, v0 :: v_dual_bitop2_b32 v14, -16, v10 bitop3:0x40
	s_and_b32 s97, s11, s9
	v_cmp_gt_u32_e64 s11, 8, v0
	s_and_b32 s98, s10, s9
	v_cmp_eq_u32_e64 s10, 7, v0
	s_and_b32 s104, s12, s9
	s_and_b32 vcc_hi, s13, s9
	s_and_b32 s101, s11, s9
	v_cmp_gt_u32_e64 s11, 7, v0
	s_and_b32 s102, s10, s9
	v_cmp_eq_u32_e64 s10, 5, v0
	v_cmp_gt_u32_e64 s12, 4, v0
	v_cmp_eq_u32_e64 s13, 3, v0
	s_and_b32 s103, s11, s9
	v_cmp_gt_u32_e64 s11, 5, v0
	s_and_b32 s20, s10, s9
	v_cmp_eq_u32_e64 s10, 4, v0
	v_mad_i32_i24 v56, 0xfffffe10, v24, v12
	s_and_b32 s23, s12, s9
	s_and_b32 s21, s11, s9
	v_cmp_gt_u32_e64 s11, 3, v0
	s_and_b32 s22, s10, s9
	s_and_b32 s24, s13, s9
	v_cmp_eq_u32_e64 s10, 2, v0
	v_cmp_eq_u32_e64 s12, 1, v0
	s_and_b32 s25, s11, s9
	v_cmp_gt_u32_e64 s11, 2, v0
	v_cmp_eq_u32_e64 s13, 0, v0
	v_dual_sub_nc_u32 v76, v74, v13 :: v_dual_add_nc_u32 v0, -16, v8
	s_and_b32 s28, s12, s9
	v_subrev_nc_u32_e32 v28, 32, v8
	v_cmp_le_i32_e64 s14, s15, v24
	s_and_b32 s26, s10, s9
	v_cmp_gt_i32_e64 s12, s56, v0
	v_mad_u32_u24 v0, 0x1f0, v24, v56
	v_cmp_gt_u32_e64 s10, 16, v24
	v_cmp_gt_u32_e64 s7, 2, v24
	s_and_b32 s33, s14, s31
	v_dual_ashrrev_i32 v29, 31, v28 :: v_dual_cndmask_b32 v9, v10, v9, vcc_lo
	v_mad_i32_i24 v107, 0xfffffe10, v24, v0
	v_add_nc_u32_e32 v103, 0x3980, v0
	v_add_nc_u32_e32 v104, 0x39b0, v0
	;; [unrolled: 1-line block ×4, first 2 shown]
	v_mad_u32_u24 v8, 0x1f0, v24, v107
	v_add_nc_u32_e32 v108, 0x2d40, v0
	v_add_nc_u32_e32 v109, 0x2d50, v0
	;; [unrolled: 1-line block ×4, first 2 shown]
	v_mad_i32_i24 v118, 0xfffffe10, v24, v8
	v_add_nc_u32_e32 v112, 0x18a0, v0
	v_add_nc_u32_e32 v113, 0x1890, v0
	;; [unrolled: 1-line block ×4, first 2 shown]
	v_mad_u32_u24 v0, 0x1f0, v24, v118
	v_cmp_gt_i32_e32 vcc_lo, s15, v24
	s_and_b32 s30, s5, s10
	s_xor_b32 s10, s33, -1
	v_mad_u32_u24 v26, v48, s2, v24
	v_cmp_gt_i32_e64 s2, s56, v4
	s_and_b32 s63, s5, s7
	s_and_b32 s27, s11, s9
	;; [unrolled: 1-line block ×4, first 2 shown]
	v_mul_u64_e32 v[30:31], s[16:17], v[4:5]
	v_mul_u64_e32 v[32:33], s[46:47], v[4:5]
	v_mad_i32_i24 v5, 0xfffffe10, v24, v0
	v_lshlrev_b32_e32 v4, 4, v48
	s_cmp_gt_i32 s57, 0
	v_mad_nc_u64_u32 v[34:35], s16, v48, v[2:3]
	s_cselect_b32 s86, -1, 0
	v_mad_nc_u64_u32 v[36:37], s16, v7, v[2:3]
	s_and_b32 s16, s5, vcc_lo
	v_add_nc_u32_e32 v129, 0x2500, v0
	v_add_nc_u32_e32 v130, 0x2510, v0
	;; [unrolled: 1-line block ×6, first 2 shown]
	v_dual_add_nc_u32 v137, 32, v5 :: v_dual_add_nc_u32 v133, v0, v4
	v_add_nc_u32_e32 v0, s18, v26
	v_add_nc_u32_e32 v134, 0x6000, v4
	;; [unrolled: 1-line block ×3, first 2 shown]
	v_lshl_add_u32 v139, v48, 9, v5
	v_add_nc_u64_e32 v[4:5], s[18:19], v[26:27]
	v_writelane_b32 v207, s16, 6
	v_cmp_ne_u32_e64 s18, v24, v48
	v_cmp_le_i32_e32 vcc_lo, s15, v48
	v_cmp_ge_u32_e64 s10, v24, v48
	v_mad_u32 v35, s17, v48, v35
	v_mad_u32 v37, s17, v7, v37
	v_writelane_b32 v207, s18, 7
	s_or_b32 s16, vcc_lo, s14
	v_cmp_ne_u32_e64 s17, v24, v7
	s_or_b32 s87, s16, s10
	s_or_b32 s16, s14, s18
	v_cmp_le_i32_e64 s15, s15, v7
	v_writelane_b32 v207, s16, 8
	v_cmp_gt_u32_e64 s31, 0xf0, v10
	v_mul_u64_e32 v[38:39], s[46:47], v[4:5]
	v_mul_u64_e32 v[40:41], s[46:47], v[0:1]
	s_or_b32 s15, s15, s14
	v_writelane_b32 v207, s17, 9
	s_or_b32 s14, s14, s17
	s_clause 0x1
	s_load_b64 s[52:53], s[0:1], 0x50
	s_load_b128 s[48:51], s[0:1], 0x8
	v_dual_add_nc_u32 v199, 64, v107 :: v_dual_bitop2_b32 v2, v7, v24 bitop3:0x54
	v_writelane_b32 v207, s14, 10
	v_cmp_gt_u32_e64 s35, 32, v11
	v_add_nc_u32_e32 v116, 0x3580, v8
	v_add_nc_u32_e32 v117, 0x3590, v8
	v_add_nc_u32_e32 v119, 0x2900, v8
	v_writelane_b32 v207, s31, 11
	v_cmp_gt_u32_e64 s31, 0xe0, v10
	v_add_nc_u32_e32 v120, 0x2930, v8
	v_add_nc_u32_e32 v121, 0x2920, v8
	v_add_nc_u32_e32 v122, 0x2910, v8
	v_add_nc_u32_e32 v123, 0x1480, v8
	v_writelane_b32 v207, s31, 12
	v_cmp_gt_u32_e64 s31, 0xd0, v10
	v_add_nc_u32_e32 v124, 0x1490, v8
	;; [unrolled: 6-line block ×3, first 2 shown]
	v_mul_u32_u24_e32 v140, 0x210, v24
	v_dual_lshlrev_b32 v8, 9, v24 :: v_dual_lshlrev_b32 v141, 4, v9
	s_delay_alu instid0(VALU_DEP_4)
	v_writelane_b32 v207, s31, 14
	v_cmp_gt_u32_e64 s31, 0xb0, v10
	v_cmp_ge_u32_e64 s11, v24, v7
	v_cmp_gt_i32_e64 s13, s56, v28
	v_cmp_gt_u32_e64 s4, 2, v10
	v_add_nc_u32_e32 v54, 0x3dc0, v12
	v_writelane_b32 v207, s31, 15
	v_cmp_gt_u32_e64 s31, 0xa0, v10
	v_add_nc_u32_e32 v55, 0x3dd0, v12
	v_cmp_gt_u32_e64 s7, 12, v10
	v_add_nc_u32_e32 v65, 0x3100, v12
	v_add_nc_u32_e32 v66, 0x3110, v12
	v_writelane_b32 v207, s31, 16
	v_cmp_gt_u32_e64 s31, 0x90, v10
	v_add_nc_u32_e32 v67, 0x3120, v12
	v_add_nc_u32_e32 v68, 0x3130, v12
	v_add_nc_u32_e32 v69, 0x3140, v12
	v_add_nc_u32_e32 v70, 0x3150, v12
	v_writelane_b32 v207, s31, 17
	v_cmp_gt_u32_e64 s31, 0x80, v10
	v_add_nc_u32_e32 v71, 0x3160, v12
	v_add_nc_u32_e32 v72, 0x3170, v12
	;; [unrolled: 6-line block ×5, first 2 shown]
	v_add_nc_u32_e32 v88, 0x20b0, v12
	v_add_nc_u32_e32 v89, 0x20c0, v12
	v_writelane_b32 v207, s31, 21
	v_add_nc_u32_e32 v90, 0x20d0, v12
	v_add_nc_u32_e32 v91, 0x20e0, v12
	;; [unrolled: 1-line block ×4, first 2 shown]
	v_writelane_b32 v207, s35, 22
	v_cmp_gt_u32_e64 s35, 32, v2
	v_add_nc_u32_e32 v94, 0x1cd0, v12
	v_add_nc_u32_e32 v95, 0x1000, v12
	;; [unrolled: 1-line block ×9, first 2 shown]
	v_dual_sub_nc_u32 v27, v140, v8 :: v_dual_lshlrev_b32 v142, 4, v6
	s_or_b32 s88, s15, s11
	v_add_nc_u32_e32 v143, 0x39e0, v56
	v_add_nc_u32_e32 v144, 0x3be0, v56
	;; [unrolled: 1-line block ×59, first 2 shown]
	v_lshl_add_u32 v203, v26, 4, 0x6000
	v_lshl_add_u32 v204, v10, 4, 0x4000
	v_add_nc_u32_e32 v205, 0x4000, v52
	v_add_nc_u32_e32 v206, v134, v52
	v_cmp_gt_u32_e64 s14, 8, v10
	v_cmp_gt_u32_e64 s15, 56, v10
	;; [unrolled: 1-line block ×6, first 2 shown]
	v_cmp_eq_u32_e64 s31, 0, v11
	v_writelane_b32 v207, s35, 23
	v_cmp_eq_u32_e64 s35, 0, v26
	v_cmp_gt_u32_e64 s36, 32, v26
	s_and_b32 s13, s13, s2
	s_and_b32 s12, s12, s2
	s_wait_kmcnt 0x0
	s_lshl_b64 s[50:51], s[50:51], 4
	s_lshl_b64 s[44:45], s[44:45], 4
                                        ; implicit-def: $vgpr4_vgpr5
                                        ; implicit-def: $vgpr8_vgpr9
	s_branch .LBB174_3
.LBB174_2:                              ;   in Loop: Header=BB174_3 Depth=1
	s_wait_xcnt 0x0
	s_or_b32 exec_lo, exec_lo, s0
	s_add_co_i32 s38, s38, 0x10000
	global_wb scope:SCOPE_DEV
	s_wait_storecnt 0x0
	global_inv scope:SCOPE_DEV
	s_cmp_lt_u32 s38, s37
	s_cbranch_scc0 .LBB174_574
.LBB174_3:                              ; =>This Loop Header: Depth=1
                                        ;     Child Loop BB174_453 Depth 2
                                        ;       Child Loop BB174_455 Depth 3
                                        ;     Child Loop BB174_486 Depth 2
	v_mov_b32_e32 v0, s38
	s_and_not1_b32 vcc_lo, exec_lo, s58
	s_clause 0x1
	global_load_b64 v[2:3], v0, s[48:49] scale_offset
	global_load_b64 v[44:45], v0, s[42:43] scale_offset
	global_load_b128 v[12:15], v1, s[40:41]
	s_wait_loadcnt 0x2
	v_add_nc_u64_e32 v[46:47], s[50:51], v[2:3]
	s_delay_alu instid0(VALU_DEP_1)
	v_lshl_add_u64 v[42:43], v[30:31], 4, v[46:47]
	s_cbranch_vccz .LBB174_6
; %bb.4:                                ;   in Loop: Header=BB174_3 Depth=1
	s_and_not1_b32 vcc_lo, exec_lo, s59
	s_mov_b32 s0, -1
	s_cbranch_vccz .LBB174_11
.LBB174_5:                              ;   in Loop: Header=BB174_3 Depth=1
	s_and_b32 vcc_lo, exec_lo, s0
	s_cbranch_vccnz .LBB174_17
	s_branch .LBB174_23
.LBB174_6:                              ;   in Loop: Header=BB174_3 Depth=1
	v_mov_b64_e32 v[10:11], 0
	v_mov_b64_e32 v[4:5], 0
	;; [unrolled: 1-line block ×3, first 2 shown]
	v_lshl_add_u64 v[2:3], v[28:29], 4, v[42:43]
	s_wait_loadcnt 0x0
	s_barrier_signal -1
	s_barrier_wait -1
	s_wait_xcnt 0x0
	s_and_saveexec_b32 s0, s13
	s_cbranch_execz .LBB174_8
; %bb.7:                                ;   in Loop: Header=BB174_3 Depth=1
	flat_load_b128 v[4:7], v[2:3]
.LBB174_8:                              ;   in Loop: Header=BB174_3 Depth=1
	s_wait_xcnt 0x0
	s_or_b32 exec_lo, exec_lo, s0
	v_mov_b64_e32 v[8:9], 0
	s_wait_loadcnt_dscnt 0x0
	s_barrier_signal -1
	s_barrier_wait -1
	s_and_saveexec_b32 s0, s12
	s_cbranch_execz .LBB174_10
; %bb.9:                                ;   in Loop: Header=BB174_3 Depth=1
	flat_load_b128 v[8:11], v[2:3] offset:256
.LBB174_10:                             ;   in Loop: Header=BB174_3 Depth=1
	s_wait_xcnt 0x0
	s_or_b32 exec_lo, exec_lo, s0
	s_delay_alu instid0(SALU_CYCLE_1)
	s_and_not1_b32 vcc_lo, exec_lo, s59
	s_mov_b32 s0, -1
	s_cbranch_vccnz .LBB174_5
.LBB174_11:                             ;   in Loop: Header=BB174_3 Depth=1
	s_wait_xcnt 0x0
	s_and_saveexec_b32 s0, s10
	s_delay_alu instid0(SALU_CYCLE_1)
	s_xor_b32 s0, exec_lo, s0
	s_cbranch_execnz .LBB174_499
; %bb.12:                               ;   in Loop: Header=BB174_3 Depth=1
	s_and_not1_saveexec_b32 s0, s0
	s_cbranch_execnz .LBB174_510
.LBB174_13:                             ;   in Loop: Header=BB174_3 Depth=1
	s_or_b32 exec_lo, exec_lo, s0
	s_and_saveexec_b32 s0, s11
	s_delay_alu instid0(SALU_CYCLE_1)
	s_xor_b32 s0, exec_lo, s0
	s_cbranch_execnz .LBB174_511
.LBB174_14:                             ;   in Loop: Header=BB174_3 Depth=1
	s_and_not1_saveexec_b32 s0, s0
	s_cbranch_execz .LBB174_16
.LBB174_15:                             ;   in Loop: Header=BB174_3 Depth=1
	v_lshl_add_u64 v[2:3], v[36:37], 4, v[46:47]
	flat_load_b128 v[16:19], v[2:3]
	s_wait_loadcnt_dscnt 0x0
	v_xor_b32_e32 v17, 0x80000000, v17
	ds_store_b128 v142, v[16:19]
.LBB174_16:                             ;   in Loop: Header=BB174_3 Depth=1
	s_or_b32 exec_lo, exec_lo, s0
	s_branch .LBB174_23
.LBB174_17:                             ;   in Loop: Header=BB174_3 Depth=1
	s_wait_xcnt 0x0
	s_and_saveexec_b32 s0, s87
	s_delay_alu instid0(SALU_CYCLE_1)
	s_xor_b32 s0, exec_lo, s0
	s_cbranch_execnz .LBB174_522
; %bb.18:                               ;   in Loop: Header=BB174_3 Depth=1
	s_and_not1_saveexec_b32 s0, s0
	s_cbranch_execnz .LBB174_533
.LBB174_19:                             ;   in Loop: Header=BB174_3 Depth=1
	s_or_b32 exec_lo, exec_lo, s0
	s_and_saveexec_b32 s0, s88
	s_delay_alu instid0(SALU_CYCLE_1)
	s_xor_b32 s0, exec_lo, s0
	s_cbranch_execnz .LBB174_534
.LBB174_20:                             ;   in Loop: Header=BB174_3 Depth=1
	s_and_not1_saveexec_b32 s0, s0
	s_cbranch_execz .LBB174_22
.LBB174_21:                             ;   in Loop: Header=BB174_3 Depth=1
	v_lshl_add_u64 v[2:3], v[36:37], 4, v[46:47]
	flat_load_b128 v[16:19], v[2:3]
	s_wait_loadcnt_dscnt 0x0
	v_xor_b32_e32 v17, 0x80000000, v17
	ds_store_b128 v142, v[16:19]
.LBB174_22:                             ;   in Loop: Header=BB174_3 Depth=1
	s_or_b32 exec_lo, exec_lo, s0
.LBB174_23:                             ;   in Loop: Header=BB174_3 Depth=1
	s_delay_alu instid0(SALU_CYCLE_1)
	s_and_not1_b32 vcc_lo, exec_lo, s60
	s_wait_loadcnt_dscnt 0x0
	s_barrier_signal -1
	s_barrier_wait -1
	s_cbranch_vccnz .LBB174_447
; %bb.24:                               ;   in Loop: Header=BB174_3 Depth=1
	s_wait_xcnt 0x0
	s_and_saveexec_b32 s0, s31
	s_cbranch_execz .LBB174_26
; %bb.25:                               ;   in Loop: Header=BB174_3 Depth=1
	ds_load_b128 v[16:19], v1 offset:16368
	ds_load_b128 v[20:23], v1 offset:15840
	s_wait_dscnt 0x0
	v_mul_f64_e32 v[2:3], v[18:19], v[22:23]
	v_mul_f64_e32 v[46:47], v[16:17], v[22:23]
	s_delay_alu instid0(VALU_DEP_2) | instskip(NEXT) | instid1(VALU_DEP_2)
	v_fma_f64 v[2:3], v[16:17], v[20:21], -v[2:3]
	v_fmac_f64_e32 v[46:47], v[18:19], v[20:21]
	ds_load_b128 v[16:19], v1 offset:16352
	s_wait_dscnt 0x0
	v_mul_f64_e32 v[22:23], v[2:3], v[18:19]
	v_mul_f64_e32 v[20:21], v[46:47], v[18:19]
	s_delay_alu instid0(VALU_DEP_2) | instskip(NEXT) | instid1(VALU_DEP_2)
	v_fmac_f64_e32 v[22:23], v[16:17], v[46:47]
	v_fma_f64 v[20:21], v[16:17], v[2:3], -v[20:21]
	ds_store_b128 v1, v[20:23] offset:16352
	ds_store_b128 v1, v[20:23] offset:15856
.LBB174_26:                             ;   in Loop: Header=BB174_3 Depth=1
	s_or_b32 exec_lo, exec_lo, s0
	v_mov_b64_e32 v[16:17], 0
	v_mov_b64_e32 v[18:19], 0
	s_wait_dscnt 0x0
	s_barrier_signal -1
	s_barrier_wait -1
	global_wb scope:SCOPE_DEV
	s_wait_storecnt 0x0
	global_inv scope:SCOPE_DEV
	s_and_saveexec_b32 s0, s3
	s_cbranch_execz .LBB174_30
; %bb.27:                               ;   in Loop: Header=BB174_3 Depth=1
	ds_load_b128 v[16:19], v51 offset:16352
	ds_load_b128 v[20:23], v50 offset:15808
	s_wait_dscnt 0x0
	v_mul_f64_e32 v[2:3], v[18:19], v[22:23]
	v_mul_f64_e32 v[22:23], v[16:17], v[22:23]
	s_delay_alu instid0(VALU_DEP_2) | instskip(NEXT) | instid1(VALU_DEP_2)
	v_fma_f64 v[2:3], v[16:17], v[20:21], -v[2:3]
	v_fmac_f64_e32 v[22:23], v[18:19], v[20:21]
	s_delay_alu instid0(VALU_DEP_2) | instskip(NEXT) | instid1(VALU_DEP_2)
	v_add_f64_e32 v[16:17], 0, v[2:3]
	v_add_f64_e32 v[18:19], 0, v[22:23]
	s_and_saveexec_b32 s1, s4
	s_cbranch_execz .LBB174_29
; %bb.28:                               ;   in Loop: Header=BB174_3 Depth=1
	ds_load_b128 v[20:23], v1 offset:16368
	ds_load_b128 v[208:211], v52 offset:16320
	s_wait_dscnt 0x0
	v_mul_f64_e32 v[2:3], v[22:23], v[210:211]
	s_delay_alu instid0(VALU_DEP_1) | instskip(SKIP_1) | instid1(VALU_DEP_2)
	v_fma_f64 v[2:3], v[20:21], v[208:209], -v[2:3]
	v_mul_f64_e32 v[20:21], v[20:21], v[210:211]
	v_add_f64_e32 v[16:17], v[16:17], v[2:3]
	s_delay_alu instid0(VALU_DEP_2) | instskip(NEXT) | instid1(VALU_DEP_1)
	v_fmac_f64_e32 v[20:21], v[22:23], v[208:209]
	v_add_f64_e32 v[18:19], v[18:19], v[20:21]
.LBB174_29:                             ;   in Loop: Header=BB174_3 Depth=1
	s_or_b32 exec_lo, exec_lo, s1
.LBB174_30:                             ;   in Loop: Header=BB174_3 Depth=1
	s_delay_alu instid0(SALU_CYCLE_1)
	s_or_b32 exec_lo, exec_lo, s0
	s_and_saveexec_b32 s0, s61
	s_cbranch_execz .LBB174_32
; %bb.31:                               ;   in Loop: Header=BB174_3 Depth=1
	ds_load_b128 v[20:23], v1 offset:15312
	s_wait_dscnt 0x0
	v_mul_f64_e32 v[2:3], v[18:19], v[22:23]
	v_mul_f64_e32 v[22:23], v[16:17], v[22:23]
	s_delay_alu instid0(VALU_DEP_1) | instskip(NEXT) | instid1(VALU_DEP_1)
	v_fmac_f64_e32 v[22:23], v[18:19], v[20:21]
	v_dual_fma_f64 v[2:3], v[16:17], v[20:21], -v[2:3] :: v_dual_mov_b32 v18, v22
	s_delay_alu instid0(VALU_DEP_1) | instskip(NEXT) | instid1(VALU_DEP_3)
	v_xor_b32_e32 v17, 0x80000000, v3
	v_xor_b32_e32 v19, 0x80000000, v23
	s_delay_alu instid0(VALU_DEP_3)
	v_mov_b32_e32 v16, v2
	ds_store_b128 v25, v[16:19]
	v_mov_b64_e32 v[16:17], v[2:3]
	v_mov_b64_e32 v[18:19], v[22:23]
.LBB174_32:                             ;   in Loop: Header=BB174_3 Depth=1
	s_or_b32 exec_lo, exec_lo, s0
	s_wait_loadcnt_dscnt 0x0
	s_barrier_signal -1
	s_barrier_wait -1
	s_and_saveexec_b32 s0, s62
	s_cbranch_execz .LBB174_34
; %bb.33:                               ;   in Loop: Header=BB174_3 Depth=1
	ds_load_b128 v[20:23], v25
	ds_load_b128 v[208:211], v1 offset:15296
	s_wait_dscnt 0x0
	v_mul_f64_e32 v[2:3], v[22:23], v[210:211]
	s_delay_alu instid0(VALU_DEP_1) | instskip(SKIP_1) | instid1(VALU_DEP_2)
	v_fma_f64 v[2:3], v[20:21], v[208:209], -v[2:3]
	v_mul_f64_e32 v[20:21], v[20:21], v[210:211]
	v_add_f64_e64 v[16:17], v[16:17], -v[2:3]
	s_delay_alu instid0(VALU_DEP_2) | instskip(NEXT) | instid1(VALU_DEP_1)
	v_fmac_f64_e32 v[20:21], v[22:23], v[208:209]
	v_add_f64_e64 v[18:19], v[18:19], -v[20:21]
.LBB174_34:                             ;   in Loop: Header=BB174_3 Depth=1
	s_or_b32 exec_lo, exec_lo, s0
	s_barrier_signal -1
	s_barrier_wait -1
	s_and_saveexec_b32 s0, s62
	s_cbranch_execz .LBB174_36
; %bb.35:                               ;   in Loop: Header=BB174_3 Depth=1
	ds_load_b128 v[20:23], v1 offset:14784
	s_wait_dscnt 0x0
	v_mul_f64_e32 v[2:3], v[18:19], v[22:23]
	v_mul_f64_e32 v[22:23], v[16:17], v[22:23]
	s_delay_alu instid0(VALU_DEP_1) | instskip(NEXT) | instid1(VALU_DEP_1)
	v_fmac_f64_e32 v[22:23], v[18:19], v[20:21]
	v_dual_fma_f64 v[2:3], v[16:17], v[20:21], -v[2:3] :: v_dual_mov_b32 v18, v22
	s_delay_alu instid0(VALU_DEP_1) | instskip(NEXT) | instid1(VALU_DEP_3)
	v_xor_b32_e32 v17, 0x80000000, v3
	v_xor_b32_e32 v19, 0x80000000, v23
	s_delay_alu instid0(VALU_DEP_3)
	v_mov_b32_e32 v16, v2
	ds_store_b128 v25, v[16:19]
	v_mov_b64_e32 v[16:17], v[2:3]
	v_mov_b64_e32 v[18:19], v[22:23]
.LBB174_36:                             ;   in Loop: Header=BB174_3 Depth=1
	s_or_b32 exec_lo, exec_lo, s0
	s_wait_dscnt 0x0
	s_barrier_signal -1
	s_barrier_wait -1
	s_barrier_signal -1
	s_barrier_wait -1
	s_and_saveexec_b32 s0, s3
; %bb.37:                               ;   in Loop: Header=BB174_3 Depth=1
	ds_store_b128 v53, v[16:19] offset:16320
; %bb.38:                               ;   in Loop: Header=BB174_3 Depth=1
	s_or_b32 exec_lo, exec_lo, s0
	s_wait_dscnt 0x0
	s_barrier_signal -1
	s_barrier_wait -1
	s_barrier_signal -1
	s_barrier_wait -1
	s_and_saveexec_b32 s0, s63
	s_cbranch_execz .LBB174_40
; %bb.39:                               ;   in Loop: Header=BB174_3 Depth=1
	ds_load_b128 v[16:19], v54
	s_wait_dscnt 0x0
	ds_store_b128 v143, v[16:19]
	ds_load_b128 v[16:19], v55
	s_wait_dscnt 0x0
	ds_store_b128 v144, v[16:19]
.LBB174_40:                             ;   in Loop: Header=BB174_3 Depth=1
	s_or_b32 exec_lo, exec_lo, s0
	s_wait_dscnt 0x0
	s_barrier_signal -1
	s_barrier_wait -1
	s_and_saveexec_b32 s0, s31
	s_cbranch_execz .LBB174_42
; %bb.41:                               ;   in Loop: Header=BB174_3 Depth=1
	ds_load_b128 v[16:19], v1 offset:15312
	ds_load_b128 v[20:23], v1 offset:14784
	s_wait_dscnt 0x0
	v_mul_f64_e32 v[2:3], v[18:19], v[22:23]
	v_mul_f64_e32 v[46:47], v[16:17], v[22:23]
	s_delay_alu instid0(VALU_DEP_2) | instskip(NEXT) | instid1(VALU_DEP_2)
	v_fma_f64 v[2:3], v[16:17], v[20:21], -v[2:3]
	v_fmac_f64_e32 v[46:47], v[18:19], v[20:21]
	ds_load_b128 v[16:19], v1 offset:15296
	s_wait_dscnt 0x0
	v_mul_f64_e32 v[22:23], v[2:3], v[18:19]
	v_mul_f64_e32 v[20:21], v[46:47], v[18:19]
	s_delay_alu instid0(VALU_DEP_2) | instskip(NEXT) | instid1(VALU_DEP_2)
	v_fmac_f64_e32 v[22:23], v[16:17], v[46:47]
	v_fma_f64 v[20:21], v[16:17], v[2:3], -v[20:21]
	ds_store_b128 v1, v[20:23] offset:15296
	ds_store_b128 v1, v[20:23] offset:14800
.LBB174_42:                             ;   in Loop: Header=BB174_3 Depth=1
	s_or_b32 exec_lo, exec_lo, s0
	v_mov_b64_e32 v[18:19], 0
	v_mov_b64_e32 v[16:17], 0
	s_wait_dscnt 0x0
	s_barrier_signal -1
	s_barrier_wait -1
	global_wb scope:SCOPE_DEV
	s_wait_storecnt 0x0
	global_inv scope:SCOPE_DEV
	s_and_saveexec_b32 s0, s6
	s_cbranch_execz .LBB174_48
; %bb.43:                               ;   in Loop: Header=BB174_3 Depth=1
	ds_load_b128 v[16:19], v59 offset:16320
	ds_load_b128 v[20:23], v58 offset:14720
	s_wait_dscnt 0x0
	v_mul_f64_e32 v[2:3], v[18:19], v[22:23]
	v_mul_f64_e32 v[22:23], v[16:17], v[22:23]
	s_delay_alu instid0(VALU_DEP_2) | instskip(NEXT) | instid1(VALU_DEP_2)
	v_fma_f64 v[2:3], v[16:17], v[20:21], -v[2:3]
	v_fmac_f64_e32 v[22:23], v[18:19], v[20:21]
	s_delay_alu instid0(VALU_DEP_2) | instskip(NEXT) | instid1(VALU_DEP_2)
	v_add_f64_e32 v[16:17], 0, v[2:3]
	v_add_f64_e32 v[18:19], 0, v[22:23]
	s_and_saveexec_b32 s1, s7
	s_cbranch_execnz .LBB174_550
; %bb.44:                               ;   in Loop: Header=BB174_3 Depth=1
	s_or_b32 exec_lo, exec_lo, s1
	s_and_saveexec_b32 s1, s14
	s_cbranch_execnz .LBB174_551
.LBB174_45:                             ;   in Loop: Header=BB174_3 Depth=1
	s_or_b32 exec_lo, exec_lo, s1
	s_and_saveexec_b32 s1, s3
	s_cbranch_execz .LBB174_47
.LBB174_46:                             ;   in Loop: Header=BB174_3 Depth=1
	ds_load_b128 v[20:23], v1 offset:16368
	ds_load_b128 v[208:211], v56 offset:16256
	s_wait_dscnt 0x0
	v_mul_f64_e32 v[2:3], v[22:23], v[210:211]
	s_delay_alu instid0(VALU_DEP_1) | instskip(SKIP_1) | instid1(VALU_DEP_2)
	v_fma_f64 v[2:3], v[20:21], v[208:209], -v[2:3]
	v_mul_f64_e32 v[20:21], v[20:21], v[210:211]
	v_add_f64_e32 v[16:17], v[16:17], v[2:3]
	s_delay_alu instid0(VALU_DEP_2) | instskip(NEXT) | instid1(VALU_DEP_1)
	v_fmac_f64_e32 v[20:21], v[22:23], v[208:209]
	v_add_f64_e32 v[18:19], v[18:19], v[20:21]
.LBB174_47:                             ;   in Loop: Header=BB174_3 Depth=1
	s_or_b32 exec_lo, exec_lo, s1
.LBB174_48:                             ;   in Loop: Header=BB174_3 Depth=1
	s_delay_alu instid0(SALU_CYCLE_1)
	s_or_b32 exec_lo, exec_lo, s0
	s_and_saveexec_b32 s0, s64
	s_cbranch_execz .LBB174_50
; %bb.49:                               ;   in Loop: Header=BB174_3 Depth=1
	ds_load_b128 v[20:23], v1 offset:14256
	s_wait_dscnt 0x0
	v_mul_f64_e32 v[2:3], v[18:19], v[22:23]
	v_mul_f64_e32 v[22:23], v[16:17], v[22:23]
	s_delay_alu instid0(VALU_DEP_1) | instskip(NEXT) | instid1(VALU_DEP_1)
	v_fmac_f64_e32 v[22:23], v[18:19], v[20:21]
	v_dual_fma_f64 v[2:3], v[16:17], v[20:21], -v[2:3] :: v_dual_mov_b32 v18, v22
	s_delay_alu instid0(VALU_DEP_1) | instskip(NEXT) | instid1(VALU_DEP_3)
	v_xor_b32_e32 v17, 0x80000000, v3
	v_xor_b32_e32 v19, 0x80000000, v23
	s_delay_alu instid0(VALU_DEP_3)
	v_mov_b32_e32 v16, v2
	ds_store_b128 v57, v[16:19]
	v_mov_b64_e32 v[16:17], v[2:3]
	v_mov_b64_e32 v[18:19], v[22:23]
.LBB174_50:                             ;   in Loop: Header=BB174_3 Depth=1
	s_or_b32 exec_lo, exec_lo, s0
	s_wait_loadcnt_dscnt 0x0
	s_barrier_signal -1
	s_barrier_wait -1
	s_and_saveexec_b32 s0, s65
	s_cbranch_execz .LBB174_52
; %bb.51:                               ;   in Loop: Header=BB174_3 Depth=1
	ds_load_b128 v[20:23], v57
	ds_load_b128 v[208:211], v58 offset:14208
	s_wait_dscnt 0x0
	v_mul_f64_e32 v[2:3], v[22:23], v[210:211]
	s_delay_alu instid0(VALU_DEP_1) | instskip(SKIP_1) | instid1(VALU_DEP_2)
	v_fma_f64 v[2:3], v[20:21], v[208:209], -v[2:3]
	v_mul_f64_e32 v[20:21], v[20:21], v[210:211]
	v_add_f64_e64 v[16:17], v[16:17], -v[2:3]
	s_delay_alu instid0(VALU_DEP_2) | instskip(NEXT) | instid1(VALU_DEP_1)
	v_fmac_f64_e32 v[20:21], v[22:23], v[208:209]
	v_add_f64_e64 v[18:19], v[18:19], -v[20:21]
.LBB174_52:                             ;   in Loop: Header=BB174_3 Depth=1
	s_or_b32 exec_lo, exec_lo, s0
	s_barrier_signal -1
	s_barrier_wait -1
	s_and_saveexec_b32 s0, s66
	s_cbranch_execz .LBB174_54
; %bb.53:                               ;   in Loop: Header=BB174_3 Depth=1
	ds_load_b128 v[20:23], v1 offset:13728
	s_wait_dscnt 0x0
	v_mul_f64_e32 v[2:3], v[18:19], v[22:23]
	v_mul_f64_e32 v[22:23], v[16:17], v[22:23]
	s_delay_alu instid0(VALU_DEP_1) | instskip(NEXT) | instid1(VALU_DEP_1)
	v_fmac_f64_e32 v[22:23], v[18:19], v[20:21]
	v_dual_fma_f64 v[2:3], v[16:17], v[20:21], -v[2:3] :: v_dual_mov_b32 v18, v22
	s_delay_alu instid0(VALU_DEP_1) | instskip(NEXT) | instid1(VALU_DEP_3)
	v_xor_b32_e32 v17, 0x80000000, v3
	v_xor_b32_e32 v19, 0x80000000, v23
	s_delay_alu instid0(VALU_DEP_3)
	v_mov_b32_e32 v16, v2
	ds_store_b128 v57, v[16:19]
	v_mov_b64_e32 v[16:17], v[2:3]
	v_mov_b64_e32 v[18:19], v[22:23]
.LBB174_54:                             ;   in Loop: Header=BB174_3 Depth=1
	s_or_b32 exec_lo, exec_lo, s0
	s_wait_dscnt 0x0
	s_barrier_signal -1
	s_barrier_wait -1
	s_and_saveexec_b32 s0, s67
	s_cbranch_execz .LBB174_56
; %bb.55:                               ;   in Loop: Header=BB174_3 Depth=1
	ds_load_b128 v[20:23], v57
	ds_load_b128 v[208:211], v58 offset:13696
	s_wait_dscnt 0x0
	v_mul_f64_e32 v[2:3], v[22:23], v[210:211]
	s_delay_alu instid0(VALU_DEP_1) | instskip(SKIP_1) | instid1(VALU_DEP_2)
	v_fma_f64 v[2:3], v[20:21], v[208:209], -v[2:3]
	v_mul_f64_e32 v[20:21], v[20:21], v[210:211]
	v_add_f64_e64 v[16:17], v[16:17], -v[2:3]
	s_delay_alu instid0(VALU_DEP_2) | instskip(NEXT) | instid1(VALU_DEP_1)
	v_fmac_f64_e32 v[20:21], v[22:23], v[208:209]
	v_add_f64_e64 v[18:19], v[18:19], -v[20:21]
.LBB174_56:                             ;   in Loop: Header=BB174_3 Depth=1
	s_or_b32 exec_lo, exec_lo, s0
	s_barrier_signal -1
	s_barrier_wait -1
	s_and_saveexec_b32 s0, s68
	s_cbranch_execz .LBB174_58
; %bb.57:                               ;   in Loop: Header=BB174_3 Depth=1
	ds_load_b128 v[20:23], v1 offset:13200
	s_wait_dscnt 0x0
	v_mul_f64_e32 v[2:3], v[18:19], v[22:23]
	v_mul_f64_e32 v[22:23], v[16:17], v[22:23]
	s_delay_alu instid0(VALU_DEP_1) | instskip(NEXT) | instid1(VALU_DEP_1)
	v_fmac_f64_e32 v[22:23], v[18:19], v[20:21]
	v_dual_fma_f64 v[2:3], v[16:17], v[20:21], -v[2:3] :: v_dual_mov_b32 v18, v22
	s_delay_alu instid0(VALU_DEP_1) | instskip(NEXT) | instid1(VALU_DEP_3)
	v_xor_b32_e32 v17, 0x80000000, v3
	v_xor_b32_e32 v19, 0x80000000, v23
	s_delay_alu instid0(VALU_DEP_3)
	v_mov_b32_e32 v16, v2
	ds_store_b128 v57, v[16:19]
	v_mov_b64_e32 v[16:17], v[2:3]
	v_mov_b64_e32 v[18:19], v[22:23]
.LBB174_58:                             ;   in Loop: Header=BB174_3 Depth=1
	s_or_b32 exec_lo, exec_lo, s0
	s_wait_dscnt 0x0
	;; [unrolled: 41-line block ×3, first 2 shown]
	s_barrier_signal -1
	s_barrier_wait -1
	s_barrier_signal -1
	s_barrier_wait -1
	s_and_saveexec_b32 s0, s6
; %bb.63:                               ;   in Loop: Header=BB174_3 Depth=1
	ds_store_b128 v60, v[16:19] offset:16256
; %bb.64:                               ;   in Loop: Header=BB174_3 Depth=1
	s_or_b32 exec_lo, exec_lo, s0
	s_wait_dscnt 0x0
	s_barrier_signal -1
	s_barrier_wait -1
	s_barrier_signal -1
	s_barrier_wait -1
	s_and_saveexec_b32 s0, s70
	s_cbranch_execz .LBB174_66
; %bb.65:                               ;   in Loop: Header=BB174_3 Depth=1
	ds_load_b128 v[16:19], v103
	s_wait_dscnt 0x0
	ds_store_b128 v145, v[16:19]
	ds_load_b128 v[16:19], v106
	s_wait_dscnt 0x0
	ds_store_b128 v148, v[16:19]
	;; [unrolled: 3-line block ×4, first 2 shown]
.LBB174_66:                             ;   in Loop: Header=BB174_3 Depth=1
	s_or_b32 exec_lo, exec_lo, s0
	s_wait_dscnt 0x0
	s_barrier_signal -1
	s_barrier_wait -1
	s_and_saveexec_b32 s0, s31
	s_cbranch_execz .LBB174_68
; %bb.67:                               ;   in Loop: Header=BB174_3 Depth=1
	ds_load_b128 v[16:19], v1 offset:14256
	ds_load_b128 v[20:23], v1 offset:13728
	s_wait_dscnt 0x0
	v_mul_f64_e32 v[2:3], v[18:19], v[22:23]
	v_mul_f64_e32 v[46:47], v[16:17], v[22:23]
	s_delay_alu instid0(VALU_DEP_2) | instskip(NEXT) | instid1(VALU_DEP_2)
	v_fma_f64 v[2:3], v[16:17], v[20:21], -v[2:3]
	v_fmac_f64_e32 v[46:47], v[18:19], v[20:21]
	ds_load_b128 v[16:19], v1 offset:14240
	s_wait_dscnt 0x0
	v_mul_f64_e32 v[22:23], v[2:3], v[18:19]
	v_mul_f64_e32 v[20:21], v[46:47], v[18:19]
	s_delay_alu instid0(VALU_DEP_2) | instskip(NEXT) | instid1(VALU_DEP_2)
	v_fmac_f64_e32 v[22:23], v[16:17], v[46:47]
	v_fma_f64 v[20:21], v[16:17], v[2:3], -v[20:21]
	ds_store_b128 v1, v[20:23] offset:14240
	ds_store_b128 v1, v[20:23] offset:13744
.LBB174_68:                             ;   in Loop: Header=BB174_3 Depth=1
	s_or_b32 exec_lo, exec_lo, s0
	v_mov_b64_e32 v[16:17], 0
	v_mov_b64_e32 v[18:19], 0
	s_wait_dscnt 0x0
	s_barrier_signal -1
	s_barrier_wait -1
	global_wb scope:SCOPE_DEV
	s_wait_storecnt 0x0
	global_inv scope:SCOPE_DEV
	s_and_saveexec_b32 s0, s3
	s_cbranch_execz .LBB174_72
; %bb.69:                               ;   in Loop: Header=BB174_3 Depth=1
	ds_load_b128 v[16:19], v51 offset:14240
	ds_load_b128 v[20:23], v50 offset:13696
	s_wait_dscnt 0x0
	v_mul_f64_e32 v[2:3], v[18:19], v[22:23]
	v_mul_f64_e32 v[22:23], v[16:17], v[22:23]
	s_delay_alu instid0(VALU_DEP_2) | instskip(NEXT) | instid1(VALU_DEP_2)
	v_fma_f64 v[2:3], v[16:17], v[20:21], -v[2:3]
	v_fmac_f64_e32 v[22:23], v[18:19], v[20:21]
	s_delay_alu instid0(VALU_DEP_2) | instskip(NEXT) | instid1(VALU_DEP_2)
	v_add_f64_e32 v[16:17], 0, v[2:3]
	v_add_f64_e32 v[18:19], 0, v[22:23]
	s_and_saveexec_b32 s1, s4
	s_cbranch_execz .LBB174_71
; %bb.70:                               ;   in Loop: Header=BB174_3 Depth=1
	ds_load_b128 v[20:23], v1 offset:14256
	ds_load_b128 v[208:211], v107 offset:14208
	s_wait_dscnt 0x0
	v_mul_f64_e32 v[2:3], v[22:23], v[210:211]
	s_delay_alu instid0(VALU_DEP_1) | instskip(SKIP_1) | instid1(VALU_DEP_2)
	v_fma_f64 v[2:3], v[20:21], v[208:209], -v[2:3]
	v_mul_f64_e32 v[20:21], v[20:21], v[210:211]
	v_add_f64_e32 v[16:17], v[16:17], v[2:3]
	s_delay_alu instid0(VALU_DEP_2) | instskip(NEXT) | instid1(VALU_DEP_1)
	v_fmac_f64_e32 v[20:21], v[22:23], v[208:209]
	v_add_f64_e32 v[18:19], v[18:19], v[20:21]
.LBB174_71:                             ;   in Loop: Header=BB174_3 Depth=1
	s_or_b32 exec_lo, exec_lo, s1
.LBB174_72:                             ;   in Loop: Header=BB174_3 Depth=1
	s_delay_alu instid0(SALU_CYCLE_1)
	s_or_b32 exec_lo, exec_lo, s0
	s_and_saveexec_b32 s0, s61
	s_cbranch_execz .LBB174_74
; %bb.73:                               ;   in Loop: Header=BB174_3 Depth=1
	ds_load_b128 v[20:23], v1 offset:13200
	s_wait_dscnt 0x0
	v_mul_f64_e32 v[2:3], v[18:19], v[22:23]
	v_mul_f64_e32 v[22:23], v[16:17], v[22:23]
	s_delay_alu instid0(VALU_DEP_1) | instskip(NEXT) | instid1(VALU_DEP_1)
	v_fmac_f64_e32 v[22:23], v[18:19], v[20:21]
	v_dual_fma_f64 v[2:3], v[16:17], v[20:21], -v[2:3] :: v_dual_mov_b32 v18, v22
	s_delay_alu instid0(VALU_DEP_1) | instskip(NEXT) | instid1(VALU_DEP_3)
	v_xor_b32_e32 v17, 0x80000000, v3
	v_xor_b32_e32 v19, 0x80000000, v23
	s_delay_alu instid0(VALU_DEP_3)
	v_mov_b32_e32 v16, v2
	ds_store_b128 v25, v[16:19]
	v_mov_b64_e32 v[16:17], v[2:3]
	v_mov_b64_e32 v[18:19], v[22:23]
.LBB174_74:                             ;   in Loop: Header=BB174_3 Depth=1
	s_or_b32 exec_lo, exec_lo, s0
	s_wait_loadcnt_dscnt 0x0
	s_barrier_signal -1
	s_barrier_wait -1
	s_and_saveexec_b32 s0, s62
	s_cbranch_execz .LBB174_76
; %bb.75:                               ;   in Loop: Header=BB174_3 Depth=1
	ds_load_b128 v[20:23], v25
	ds_load_b128 v[208:211], v1 offset:13184
	s_wait_dscnt 0x0
	v_mul_f64_e32 v[2:3], v[22:23], v[210:211]
	s_delay_alu instid0(VALU_DEP_1) | instskip(SKIP_1) | instid1(VALU_DEP_2)
	v_fma_f64 v[2:3], v[20:21], v[208:209], -v[2:3]
	v_mul_f64_e32 v[20:21], v[20:21], v[210:211]
	v_add_f64_e64 v[16:17], v[16:17], -v[2:3]
	s_delay_alu instid0(VALU_DEP_2) | instskip(NEXT) | instid1(VALU_DEP_1)
	v_fmac_f64_e32 v[20:21], v[22:23], v[208:209]
	v_add_f64_e64 v[18:19], v[18:19], -v[20:21]
.LBB174_76:                             ;   in Loop: Header=BB174_3 Depth=1
	s_or_b32 exec_lo, exec_lo, s0
	s_barrier_signal -1
	s_barrier_wait -1
	s_and_saveexec_b32 s0, s62
	s_cbranch_execz .LBB174_78
; %bb.77:                               ;   in Loop: Header=BB174_3 Depth=1
	ds_load_b128 v[20:23], v1 offset:12672
	s_wait_dscnt 0x0
	v_mul_f64_e32 v[2:3], v[18:19], v[22:23]
	v_mul_f64_e32 v[22:23], v[16:17], v[22:23]
	s_delay_alu instid0(VALU_DEP_1) | instskip(NEXT) | instid1(VALU_DEP_1)
	v_fmac_f64_e32 v[22:23], v[18:19], v[20:21]
	v_dual_fma_f64 v[2:3], v[16:17], v[20:21], -v[2:3] :: v_dual_mov_b32 v18, v22
	s_delay_alu instid0(VALU_DEP_1) | instskip(NEXT) | instid1(VALU_DEP_3)
	v_xor_b32_e32 v17, 0x80000000, v3
	v_xor_b32_e32 v19, 0x80000000, v23
	s_delay_alu instid0(VALU_DEP_3)
	v_mov_b32_e32 v16, v2
	ds_store_b128 v25, v[16:19]
	v_mov_b64_e32 v[16:17], v[2:3]
	v_mov_b64_e32 v[18:19], v[22:23]
.LBB174_78:                             ;   in Loop: Header=BB174_3 Depth=1
	s_or_b32 exec_lo, exec_lo, s0
	s_wait_dscnt 0x0
	s_barrier_signal -1
	s_barrier_wait -1
	s_barrier_signal -1
	s_barrier_wait -1
	s_and_saveexec_b32 s0, s3
; %bb.79:                               ;   in Loop: Header=BB174_3 Depth=1
	ds_store_b128 v53, v[16:19] offset:14208
; %bb.80:                               ;   in Loop: Header=BB174_3 Depth=1
	s_or_b32 exec_lo, exec_lo, s0
	s_wait_dscnt 0x0
	s_barrier_signal -1
	s_barrier_wait -1
	s_barrier_signal -1
	s_barrier_wait -1
	s_and_saveexec_b32 s0, s63
	s_cbranch_execz .LBB174_82
; %bb.81:                               ;   in Loop: Header=BB174_3 Depth=1
	ds_load_b128 v[16:19], v116
	s_wait_dscnt 0x0
	ds_store_b128 v149, v[16:19]
	ds_load_b128 v[16:19], v117
	s_wait_dscnt 0x0
	ds_store_b128 v150, v[16:19]
.LBB174_82:                             ;   in Loop: Header=BB174_3 Depth=1
	s_or_b32 exec_lo, exec_lo, s0
	s_wait_dscnt 0x0
	s_barrier_signal -1
	s_barrier_wait -1
	s_and_saveexec_b32 s0, s31
	s_cbranch_execz .LBB174_84
; %bb.83:                               ;   in Loop: Header=BB174_3 Depth=1
	ds_load_b128 v[16:19], v1 offset:13200
	ds_load_b128 v[20:23], v1 offset:12672
	s_wait_dscnt 0x0
	v_mul_f64_e32 v[2:3], v[18:19], v[22:23]
	v_mul_f64_e32 v[46:47], v[16:17], v[22:23]
	s_delay_alu instid0(VALU_DEP_2) | instskip(NEXT) | instid1(VALU_DEP_2)
	v_fma_f64 v[2:3], v[16:17], v[20:21], -v[2:3]
	v_fmac_f64_e32 v[46:47], v[18:19], v[20:21]
	ds_load_b128 v[16:19], v1 offset:13184
	s_wait_dscnt 0x0
	v_mul_f64_e32 v[22:23], v[2:3], v[18:19]
	v_mul_f64_e32 v[20:21], v[46:47], v[18:19]
	s_delay_alu instid0(VALU_DEP_2) | instskip(NEXT) | instid1(VALU_DEP_2)
	v_fmac_f64_e32 v[22:23], v[16:17], v[46:47]
	v_fma_f64 v[20:21], v[16:17], v[2:3], -v[20:21]
	ds_store_b128 v1, v[20:23] offset:13184
	ds_store_b128 v1, v[20:23] offset:12688
.LBB174_84:                             ;   in Loop: Header=BB174_3 Depth=1
	s_or_b32 exec_lo, exec_lo, s0
	v_mov_b64_e32 v[18:19], 0
	v_mov_b64_e32 v[16:17], 0
	s_wait_dscnt 0x0
	s_barrier_signal -1
	s_barrier_wait -1
	global_wb scope:SCOPE_DEV
	s_wait_storecnt 0x0
	global_inv scope:SCOPE_DEV
	s_and_saveexec_b32 s0, s8
	s_cbranch_execz .LBB174_94
; %bb.85:                               ;   in Loop: Header=BB174_3 Depth=1
	ds_load_b128 v[16:19], v63 offset:16256
	ds_load_b128 v[20:23], v62 offset:12544
	s_wait_dscnt 0x0
	v_mul_f64_e32 v[2:3], v[18:19], v[22:23]
	v_mul_f64_e32 v[22:23], v[16:17], v[22:23]
	s_delay_alu instid0(VALU_DEP_2) | instskip(NEXT) | instid1(VALU_DEP_2)
	v_fma_f64 v[2:3], v[16:17], v[20:21], -v[2:3]
	v_fmac_f64_e32 v[22:23], v[18:19], v[20:21]
	s_delay_alu instid0(VALU_DEP_2) | instskip(NEXT) | instid1(VALU_DEP_2)
	v_add_f64_e32 v[16:17], 0, v[2:3]
	v_add_f64_e32 v[18:19], 0, v[22:23]
	s_and_saveexec_b32 s1, s15
	s_cbranch_execnz .LBB174_552
; %bb.86:                               ;   in Loop: Header=BB174_3 Depth=1
	s_or_b32 exec_lo, exec_lo, s1
	s_and_saveexec_b32 s1, s16
	s_cbranch_execnz .LBB174_553
.LBB174_87:                             ;   in Loop: Header=BB174_3 Depth=1
	s_or_b32 exec_lo, exec_lo, s1
	s_and_saveexec_b32 s1, s17
	s_cbranch_execnz .LBB174_554
.LBB174_88:                             ;   in Loop: Header=BB174_3 Depth=1
	s_or_b32 exec_lo, exec_lo, s1
	s_and_saveexec_b32 s1, s18
	s_cbranch_execnz .LBB174_555
.LBB174_89:                             ;   in Loop: Header=BB174_3 Depth=1
	s_or_b32 exec_lo, exec_lo, s1
	s_and_saveexec_b32 s1, s19
	s_cbranch_execnz .LBB174_556
.LBB174_90:                             ;   in Loop: Header=BB174_3 Depth=1
	s_or_b32 exec_lo, exec_lo, s1
	s_and_saveexec_b32 s1, s6
	s_cbranch_execnz .LBB174_557
.LBB174_91:                             ;   in Loop: Header=BB174_3 Depth=1
	s_or_b32 exec_lo, exec_lo, s1
	s_and_saveexec_b32 s1, s14
	s_cbranch_execz .LBB174_93
.LBB174_92:                             ;   in Loop: Header=BB174_3 Depth=1
	ds_load_b128 v[20:23], v1 offset:16368
	ds_load_b128 v[208:211], v52 offset:16128
	s_wait_dscnt 0x0
	v_mul_f64_e32 v[2:3], v[22:23], v[210:211]
	s_delay_alu instid0(VALU_DEP_1) | instskip(SKIP_1) | instid1(VALU_DEP_2)
	v_fma_f64 v[2:3], v[20:21], v[208:209], -v[2:3]
	v_mul_f64_e32 v[20:21], v[20:21], v[210:211]
	v_add_f64_e32 v[16:17], v[16:17], v[2:3]
	s_delay_alu instid0(VALU_DEP_2) | instskip(NEXT) | instid1(VALU_DEP_1)
	v_fmac_f64_e32 v[20:21], v[22:23], v[208:209]
	v_add_f64_e32 v[18:19], v[18:19], v[20:21]
.LBB174_93:                             ;   in Loop: Header=BB174_3 Depth=1
	s_or_b32 exec_lo, exec_lo, s1
.LBB174_94:                             ;   in Loop: Header=BB174_3 Depth=1
	s_delay_alu instid0(SALU_CYCLE_1)
	s_or_b32 exec_lo, exec_lo, s0
	s_and_saveexec_b32 s0, s71
	s_cbranch_execz .LBB174_96
; %bb.95:                               ;   in Loop: Header=BB174_3 Depth=1
	ds_load_b128 v[20:23], v1 offset:12144
	s_wait_dscnt 0x0
	v_mul_f64_e32 v[2:3], v[18:19], v[22:23]
	v_mul_f64_e32 v[22:23], v[16:17], v[22:23]
	s_delay_alu instid0(VALU_DEP_1) | instskip(NEXT) | instid1(VALU_DEP_1)
	v_fmac_f64_e32 v[22:23], v[18:19], v[20:21]
	v_dual_fma_f64 v[2:3], v[16:17], v[20:21], -v[2:3] :: v_dual_mov_b32 v18, v22
	s_delay_alu instid0(VALU_DEP_1) | instskip(NEXT) | instid1(VALU_DEP_3)
	v_xor_b32_e32 v17, 0x80000000, v3
	v_xor_b32_e32 v19, 0x80000000, v23
	s_delay_alu instid0(VALU_DEP_3)
	v_mov_b32_e32 v16, v2
	ds_store_b128 v61, v[16:19]
	v_mov_b64_e32 v[16:17], v[2:3]
	v_mov_b64_e32 v[18:19], v[22:23]
.LBB174_96:                             ;   in Loop: Header=BB174_3 Depth=1
	s_or_b32 exec_lo, exec_lo, s0
	s_wait_loadcnt_dscnt 0x0
	s_barrier_signal -1
	s_barrier_wait -1
	s_and_saveexec_b32 s0, s72
	s_cbranch_execz .LBB174_98
; %bb.97:                               ;   in Loop: Header=BB174_3 Depth=1
	ds_load_b128 v[20:23], v61
	ds_load_b128 v[208:211], v62 offset:12032
	s_wait_dscnt 0x0
	v_mul_f64_e32 v[2:3], v[22:23], v[210:211]
	s_delay_alu instid0(VALU_DEP_1) | instskip(SKIP_1) | instid1(VALU_DEP_2)
	v_fma_f64 v[2:3], v[20:21], v[208:209], -v[2:3]
	v_mul_f64_e32 v[20:21], v[20:21], v[210:211]
	v_add_f64_e64 v[16:17], v[16:17], -v[2:3]
	s_delay_alu instid0(VALU_DEP_2) | instskip(NEXT) | instid1(VALU_DEP_1)
	v_fmac_f64_e32 v[20:21], v[22:23], v[208:209]
	v_add_f64_e64 v[18:19], v[18:19], -v[20:21]
.LBB174_98:                             ;   in Loop: Header=BB174_3 Depth=1
	s_or_b32 exec_lo, exec_lo, s0
	s_barrier_signal -1
	s_barrier_wait -1
	s_and_saveexec_b32 s0, s73
	s_cbranch_execz .LBB174_100
; %bb.99:                               ;   in Loop: Header=BB174_3 Depth=1
	ds_load_b128 v[20:23], v1 offset:11616
	s_wait_dscnt 0x0
	v_mul_f64_e32 v[2:3], v[18:19], v[22:23]
	v_mul_f64_e32 v[22:23], v[16:17], v[22:23]
	s_delay_alu instid0(VALU_DEP_1) | instskip(NEXT) | instid1(VALU_DEP_1)
	v_fmac_f64_e32 v[22:23], v[18:19], v[20:21]
	v_dual_fma_f64 v[2:3], v[16:17], v[20:21], -v[2:3] :: v_dual_mov_b32 v18, v22
	s_delay_alu instid0(VALU_DEP_1) | instskip(NEXT) | instid1(VALU_DEP_3)
	v_xor_b32_e32 v17, 0x80000000, v3
	v_xor_b32_e32 v19, 0x80000000, v23
	s_delay_alu instid0(VALU_DEP_3)
	v_mov_b32_e32 v16, v2
	ds_store_b128 v61, v[16:19]
	v_mov_b64_e32 v[16:17], v[2:3]
	v_mov_b64_e32 v[18:19], v[22:23]
.LBB174_100:                            ;   in Loop: Header=BB174_3 Depth=1
	s_or_b32 exec_lo, exec_lo, s0
	s_wait_dscnt 0x0
	s_barrier_signal -1
	s_barrier_wait -1
	s_and_saveexec_b32 s0, s74
	s_cbranch_execz .LBB174_102
; %bb.101:                              ;   in Loop: Header=BB174_3 Depth=1
	ds_load_b128 v[20:23], v61
	ds_load_b128 v[208:211], v62 offset:11520
	s_wait_dscnt 0x0
	v_mul_f64_e32 v[2:3], v[22:23], v[210:211]
	s_delay_alu instid0(VALU_DEP_1) | instskip(SKIP_1) | instid1(VALU_DEP_2)
	v_fma_f64 v[2:3], v[20:21], v[208:209], -v[2:3]
	v_mul_f64_e32 v[20:21], v[20:21], v[210:211]
	v_add_f64_e64 v[16:17], v[16:17], -v[2:3]
	s_delay_alu instid0(VALU_DEP_2) | instskip(NEXT) | instid1(VALU_DEP_1)
	v_fmac_f64_e32 v[20:21], v[22:23], v[208:209]
	v_add_f64_e64 v[18:19], v[18:19], -v[20:21]
.LBB174_102:                            ;   in Loop: Header=BB174_3 Depth=1
	s_or_b32 exec_lo, exec_lo, s0
	s_barrier_signal -1
	s_barrier_wait -1
	s_and_saveexec_b32 s0, s75
	s_cbranch_execz .LBB174_104
; %bb.103:                              ;   in Loop: Header=BB174_3 Depth=1
	ds_load_b128 v[20:23], v1 offset:11088
	s_wait_dscnt 0x0
	v_mul_f64_e32 v[2:3], v[18:19], v[22:23]
	v_mul_f64_e32 v[22:23], v[16:17], v[22:23]
	s_delay_alu instid0(VALU_DEP_1) | instskip(NEXT) | instid1(VALU_DEP_1)
	v_fmac_f64_e32 v[22:23], v[18:19], v[20:21]
	v_dual_fma_f64 v[2:3], v[16:17], v[20:21], -v[2:3] :: v_dual_mov_b32 v18, v22
	s_delay_alu instid0(VALU_DEP_1) | instskip(NEXT) | instid1(VALU_DEP_3)
	v_xor_b32_e32 v17, 0x80000000, v3
	v_xor_b32_e32 v19, 0x80000000, v23
	s_delay_alu instid0(VALU_DEP_3)
	v_mov_b32_e32 v16, v2
	ds_store_b128 v61, v[16:19]
	v_mov_b64_e32 v[16:17], v[2:3]
	v_mov_b64_e32 v[18:19], v[22:23]
.LBB174_104:                            ;   in Loop: Header=BB174_3 Depth=1
	s_or_b32 exec_lo, exec_lo, s0
	s_wait_dscnt 0x0
	s_barrier_signal -1
	s_barrier_wait -1
	s_and_saveexec_b32 s0, s76
	s_cbranch_execz .LBB174_106
; %bb.105:                              ;   in Loop: Header=BB174_3 Depth=1
	ds_load_b128 v[20:23], v61
	ds_load_b128 v[208:211], v62 offset:11008
	s_wait_dscnt 0x0
	v_mul_f64_e32 v[2:3], v[22:23], v[210:211]
	s_delay_alu instid0(VALU_DEP_1) | instskip(SKIP_1) | instid1(VALU_DEP_2)
	v_fma_f64 v[2:3], v[20:21], v[208:209], -v[2:3]
	v_mul_f64_e32 v[20:21], v[20:21], v[210:211]
	v_add_f64_e64 v[16:17], v[16:17], -v[2:3]
	s_delay_alu instid0(VALU_DEP_2) | instskip(NEXT) | instid1(VALU_DEP_1)
	v_fmac_f64_e32 v[20:21], v[22:23], v[208:209]
	v_add_f64_e64 v[18:19], v[18:19], -v[20:21]
.LBB174_106:                            ;   in Loop: Header=BB174_3 Depth=1
	s_or_b32 exec_lo, exec_lo, s0
	s_barrier_signal -1
	s_barrier_wait -1
	s_and_saveexec_b32 s0, s77
	s_cbranch_execz .LBB174_108
; %bb.107:                              ;   in Loop: Header=BB174_3 Depth=1
	ds_load_b128 v[20:23], v1 offset:10560
	s_wait_dscnt 0x0
	v_mul_f64_e32 v[2:3], v[18:19], v[22:23]
	v_mul_f64_e32 v[22:23], v[16:17], v[22:23]
	s_delay_alu instid0(VALU_DEP_1) | instskip(NEXT) | instid1(VALU_DEP_1)
	v_fmac_f64_e32 v[22:23], v[18:19], v[20:21]
	v_dual_fma_f64 v[2:3], v[16:17], v[20:21], -v[2:3] :: v_dual_mov_b32 v18, v22
	s_delay_alu instid0(VALU_DEP_1) | instskip(NEXT) | instid1(VALU_DEP_3)
	v_xor_b32_e32 v17, 0x80000000, v3
	v_xor_b32_e32 v19, 0x80000000, v23
	s_delay_alu instid0(VALU_DEP_3)
	v_mov_b32_e32 v16, v2
	ds_store_b128 v61, v[16:19]
	v_mov_b64_e32 v[16:17], v[2:3]
	v_mov_b64_e32 v[18:19], v[22:23]
.LBB174_108:                            ;   in Loop: Header=BB174_3 Depth=1
	;; [unrolled: 41-line block ×6, first 2 shown]
	s_or_b32 exec_lo, exec_lo, s0
	s_wait_dscnt 0x0
	s_barrier_signal -1
	s_barrier_wait -1
	s_barrier_signal -1
	s_barrier_wait -1
	s_and_saveexec_b32 s0, s8
; %bb.125:                              ;   in Loop: Header=BB174_3 Depth=1
	ds_store_b128 v64, v[16:19] offset:16128
; %bb.126:                              ;   in Loop: Header=BB174_3 Depth=1
	s_or_b32 exec_lo, exec_lo, s0
	s_wait_dscnt 0x0
	s_barrier_signal -1
	s_barrier_wait -1
	s_barrier_signal -1
	s_barrier_wait -1
	s_and_saveexec_b32 s0, s85
	s_cbranch_execz .LBB174_128
; %bb.127:                              ;   in Loop: Header=BB174_3 Depth=1
	ds_load_b128 v[16:19], v65
	s_wait_dscnt 0x0
	ds_store_b128 v151, v[16:19]
	ds_load_b128 v[16:19], v66
	s_wait_dscnt 0x0
	ds_store_b128 v152, v[16:19]
	;; [unrolled: 3-line block ×8, first 2 shown]
.LBB174_128:                            ;   in Loop: Header=BB174_3 Depth=1
	s_or_b32 exec_lo, exec_lo, s0
	s_wait_dscnt 0x0
	s_barrier_signal -1
	s_barrier_wait -1
	s_and_saveexec_b32 s0, s31
	s_cbranch_execz .LBB174_130
; %bb.129:                              ;   in Loop: Header=BB174_3 Depth=1
	ds_load_b128 v[16:19], v1 offset:12144
	ds_load_b128 v[20:23], v1 offset:11616
	s_wait_dscnt 0x0
	v_mul_f64_e32 v[2:3], v[18:19], v[22:23]
	v_mul_f64_e32 v[46:47], v[16:17], v[22:23]
	s_delay_alu instid0(VALU_DEP_2) | instskip(NEXT) | instid1(VALU_DEP_2)
	v_fma_f64 v[2:3], v[16:17], v[20:21], -v[2:3]
	v_fmac_f64_e32 v[46:47], v[18:19], v[20:21]
	ds_load_b128 v[16:19], v1 offset:12128
	s_wait_dscnt 0x0
	v_mul_f64_e32 v[22:23], v[2:3], v[18:19]
	v_mul_f64_e32 v[20:21], v[46:47], v[18:19]
	s_delay_alu instid0(VALU_DEP_2) | instskip(NEXT) | instid1(VALU_DEP_2)
	v_fmac_f64_e32 v[22:23], v[16:17], v[46:47]
	v_fma_f64 v[20:21], v[16:17], v[2:3], -v[20:21]
	ds_store_b128 v1, v[20:23] offset:12128
	ds_store_b128 v1, v[20:23] offset:11632
.LBB174_130:                            ;   in Loop: Header=BB174_3 Depth=1
	s_or_b32 exec_lo, exec_lo, s0
	v_mov_b64_e32 v[16:17], 0
	v_mov_b64_e32 v[18:19], 0
	s_wait_dscnt 0x0
	s_barrier_signal -1
	s_barrier_wait -1
	global_wb scope:SCOPE_DEV
	s_wait_storecnt 0x0
	global_inv scope:SCOPE_DEV
	s_and_saveexec_b32 s0, s3
	s_cbranch_execz .LBB174_134
; %bb.131:                              ;   in Loop: Header=BB174_3 Depth=1
	ds_load_b128 v[16:19], v51 offset:12128
	ds_load_b128 v[20:23], v50 offset:11584
	s_wait_dscnt 0x0
	v_mul_f64_e32 v[2:3], v[18:19], v[22:23]
	v_mul_f64_e32 v[22:23], v[16:17], v[22:23]
	s_delay_alu instid0(VALU_DEP_2) | instskip(NEXT) | instid1(VALU_DEP_2)
	v_fma_f64 v[2:3], v[16:17], v[20:21], -v[2:3]
	v_fmac_f64_e32 v[22:23], v[18:19], v[20:21]
	s_delay_alu instid0(VALU_DEP_2) | instskip(NEXT) | instid1(VALU_DEP_2)
	v_add_f64_e32 v[16:17], 0, v[2:3]
	v_add_f64_e32 v[18:19], 0, v[22:23]
	s_and_saveexec_b32 s1, s4
	s_cbranch_execz .LBB174_133
; %bb.132:                              ;   in Loop: Header=BB174_3 Depth=1
	ds_load_b128 v[20:23], v1 offset:12144
	ds_load_b128 v[208:211], v56 offset:12096
	s_wait_dscnt 0x0
	v_mul_f64_e32 v[2:3], v[22:23], v[210:211]
	s_delay_alu instid0(VALU_DEP_1) | instskip(SKIP_1) | instid1(VALU_DEP_2)
	v_fma_f64 v[2:3], v[20:21], v[208:209], -v[2:3]
	v_mul_f64_e32 v[20:21], v[20:21], v[210:211]
	v_add_f64_e32 v[16:17], v[16:17], v[2:3]
	s_delay_alu instid0(VALU_DEP_2) | instskip(NEXT) | instid1(VALU_DEP_1)
	v_fmac_f64_e32 v[20:21], v[22:23], v[208:209]
	v_add_f64_e32 v[18:19], v[18:19], v[20:21]
.LBB174_133:                            ;   in Loop: Header=BB174_3 Depth=1
	s_or_b32 exec_lo, exec_lo, s1
.LBB174_134:                            ;   in Loop: Header=BB174_3 Depth=1
	s_delay_alu instid0(SALU_CYCLE_1)
	s_or_b32 exec_lo, exec_lo, s0
	s_and_saveexec_b32 s0, s61
	s_cbranch_execz .LBB174_136
; %bb.135:                              ;   in Loop: Header=BB174_3 Depth=1
	ds_load_b128 v[20:23], v1 offset:11088
	s_wait_dscnt 0x0
	v_mul_f64_e32 v[2:3], v[18:19], v[22:23]
	v_mul_f64_e32 v[22:23], v[16:17], v[22:23]
	s_delay_alu instid0(VALU_DEP_1) | instskip(NEXT) | instid1(VALU_DEP_1)
	v_fmac_f64_e32 v[22:23], v[18:19], v[20:21]
	v_dual_fma_f64 v[2:3], v[16:17], v[20:21], -v[2:3] :: v_dual_mov_b32 v18, v22
	s_delay_alu instid0(VALU_DEP_1) | instskip(NEXT) | instid1(VALU_DEP_3)
	v_xor_b32_e32 v17, 0x80000000, v3
	v_xor_b32_e32 v19, 0x80000000, v23
	s_delay_alu instid0(VALU_DEP_3)
	v_mov_b32_e32 v16, v2
	ds_store_b128 v25, v[16:19]
	v_mov_b64_e32 v[16:17], v[2:3]
	v_mov_b64_e32 v[18:19], v[22:23]
.LBB174_136:                            ;   in Loop: Header=BB174_3 Depth=1
	s_or_b32 exec_lo, exec_lo, s0
	s_wait_loadcnt_dscnt 0x0
	s_barrier_signal -1
	s_barrier_wait -1
	s_and_saveexec_b32 s0, s62
	s_cbranch_execz .LBB174_138
; %bb.137:                              ;   in Loop: Header=BB174_3 Depth=1
	ds_load_b128 v[20:23], v25
	ds_load_b128 v[208:211], v1 offset:11072
	s_wait_dscnt 0x0
	v_mul_f64_e32 v[2:3], v[22:23], v[210:211]
	s_delay_alu instid0(VALU_DEP_1) | instskip(SKIP_1) | instid1(VALU_DEP_2)
	v_fma_f64 v[2:3], v[20:21], v[208:209], -v[2:3]
	v_mul_f64_e32 v[20:21], v[20:21], v[210:211]
	v_add_f64_e64 v[16:17], v[16:17], -v[2:3]
	s_delay_alu instid0(VALU_DEP_2) | instskip(NEXT) | instid1(VALU_DEP_1)
	v_fmac_f64_e32 v[20:21], v[22:23], v[208:209]
	v_add_f64_e64 v[18:19], v[18:19], -v[20:21]
.LBB174_138:                            ;   in Loop: Header=BB174_3 Depth=1
	s_or_b32 exec_lo, exec_lo, s0
	s_barrier_signal -1
	s_barrier_wait -1
	s_and_saveexec_b32 s0, s62
	s_cbranch_execz .LBB174_140
; %bb.139:                              ;   in Loop: Header=BB174_3 Depth=1
	ds_load_b128 v[20:23], v1 offset:10560
	s_wait_dscnt 0x0
	v_mul_f64_e32 v[2:3], v[18:19], v[22:23]
	v_mul_f64_e32 v[22:23], v[16:17], v[22:23]
	s_delay_alu instid0(VALU_DEP_1) | instskip(NEXT) | instid1(VALU_DEP_1)
	v_fmac_f64_e32 v[22:23], v[18:19], v[20:21]
	v_dual_fma_f64 v[2:3], v[16:17], v[20:21], -v[2:3] :: v_dual_mov_b32 v18, v22
	s_delay_alu instid0(VALU_DEP_1) | instskip(NEXT) | instid1(VALU_DEP_3)
	v_xor_b32_e32 v17, 0x80000000, v3
	v_xor_b32_e32 v19, 0x80000000, v23
	s_delay_alu instid0(VALU_DEP_3)
	v_mov_b32_e32 v16, v2
	ds_store_b128 v25, v[16:19]
	v_mov_b64_e32 v[16:17], v[2:3]
	v_mov_b64_e32 v[18:19], v[22:23]
.LBB174_140:                            ;   in Loop: Header=BB174_3 Depth=1
	s_or_b32 exec_lo, exec_lo, s0
	s_wait_dscnt 0x0
	s_barrier_signal -1
	s_barrier_wait -1
	s_barrier_signal -1
	s_barrier_wait -1
	s_and_saveexec_b32 s0, s3
; %bb.141:                              ;   in Loop: Header=BB174_3 Depth=1
	ds_store_b128 v53, v[16:19] offset:12096
; %bb.142:                              ;   in Loop: Header=BB174_3 Depth=1
	s_or_b32 exec_lo, exec_lo, s0
	s_wait_dscnt 0x0
	s_barrier_signal -1
	s_barrier_wait -1
	s_barrier_signal -1
	s_barrier_wait -1
	s_and_saveexec_b32 s0, s63
	s_cbranch_execz .LBB174_144
; %bb.143:                              ;   in Loop: Header=BB174_3 Depth=1
	ds_load_b128 v[16:19], v108
	s_wait_dscnt 0x0
	ds_store_b128 v159, v[16:19]
	ds_load_b128 v[16:19], v109
	s_wait_dscnt 0x0
	ds_store_b128 v160, v[16:19]
.LBB174_144:                            ;   in Loop: Header=BB174_3 Depth=1
	s_or_b32 exec_lo, exec_lo, s0
	s_wait_dscnt 0x0
	s_barrier_signal -1
	s_barrier_wait -1
	s_and_saveexec_b32 s0, s31
	s_cbranch_execz .LBB174_146
; %bb.145:                              ;   in Loop: Header=BB174_3 Depth=1
	ds_load_b128 v[16:19], v1 offset:11088
	ds_load_b128 v[20:23], v1 offset:10560
	s_wait_dscnt 0x0
	v_mul_f64_e32 v[2:3], v[18:19], v[22:23]
	v_mul_f64_e32 v[46:47], v[16:17], v[22:23]
	s_delay_alu instid0(VALU_DEP_2) | instskip(NEXT) | instid1(VALU_DEP_2)
	v_fma_f64 v[2:3], v[16:17], v[20:21], -v[2:3]
	v_fmac_f64_e32 v[46:47], v[18:19], v[20:21]
	ds_load_b128 v[16:19], v1 offset:11072
	s_wait_dscnt 0x0
	v_mul_f64_e32 v[22:23], v[2:3], v[18:19]
	v_mul_f64_e32 v[20:21], v[46:47], v[18:19]
	s_delay_alu instid0(VALU_DEP_2) | instskip(NEXT) | instid1(VALU_DEP_2)
	v_fmac_f64_e32 v[22:23], v[16:17], v[46:47]
	v_fma_f64 v[20:21], v[16:17], v[2:3], -v[20:21]
	ds_store_b128 v1, v[20:23] offset:11072
	ds_store_b128 v1, v[20:23] offset:10576
.LBB174_146:                            ;   in Loop: Header=BB174_3 Depth=1
	s_or_b32 exec_lo, exec_lo, s0
	v_mov_b64_e32 v[18:19], 0
	v_mov_b64_e32 v[16:17], 0
	s_wait_dscnt 0x0
	s_barrier_signal -1
	s_barrier_wait -1
	global_wb scope:SCOPE_DEV
	s_wait_storecnt 0x0
	global_inv scope:SCOPE_DEV
	s_and_saveexec_b32 s0, s6
	s_cbranch_execz .LBB174_152
; %bb.147:                              ;   in Loop: Header=BB174_3 Depth=1
	ds_load_b128 v[16:19], v59 offset:12096
	ds_load_b128 v[20:23], v58 offset:10496
	s_wait_dscnt 0x0
	v_mul_f64_e32 v[2:3], v[18:19], v[22:23]
	v_mul_f64_e32 v[22:23], v[16:17], v[22:23]
	s_delay_alu instid0(VALU_DEP_2) | instskip(NEXT) | instid1(VALU_DEP_2)
	v_fma_f64 v[2:3], v[16:17], v[20:21], -v[2:3]
	v_fmac_f64_e32 v[22:23], v[18:19], v[20:21]
	s_delay_alu instid0(VALU_DEP_2) | instskip(NEXT) | instid1(VALU_DEP_2)
	v_add_f64_e32 v[16:17], 0, v[2:3]
	v_add_f64_e32 v[18:19], 0, v[22:23]
	s_and_saveexec_b32 s1, s7
	s_cbranch_execnz .LBB174_558
; %bb.148:                              ;   in Loop: Header=BB174_3 Depth=1
	s_or_b32 exec_lo, exec_lo, s1
	s_and_saveexec_b32 s1, s14
	s_cbranch_execnz .LBB174_559
.LBB174_149:                            ;   in Loop: Header=BB174_3 Depth=1
	s_or_b32 exec_lo, exec_lo, s1
	s_and_saveexec_b32 s1, s3
	s_cbranch_execz .LBB174_151
.LBB174_150:                            ;   in Loop: Header=BB174_3 Depth=1
	ds_load_b128 v[20:23], v1 offset:12144
	ds_load_b128 v[208:211], v107 offset:12032
	s_wait_dscnt 0x0
	v_mul_f64_e32 v[2:3], v[22:23], v[210:211]
	s_delay_alu instid0(VALU_DEP_1) | instskip(SKIP_1) | instid1(VALU_DEP_2)
	v_fma_f64 v[2:3], v[20:21], v[208:209], -v[2:3]
	v_mul_f64_e32 v[20:21], v[20:21], v[210:211]
	v_add_f64_e32 v[16:17], v[16:17], v[2:3]
	s_delay_alu instid0(VALU_DEP_2) | instskip(NEXT) | instid1(VALU_DEP_1)
	v_fmac_f64_e32 v[20:21], v[22:23], v[208:209]
	v_add_f64_e32 v[18:19], v[18:19], v[20:21]
.LBB174_151:                            ;   in Loop: Header=BB174_3 Depth=1
	s_or_b32 exec_lo, exec_lo, s1
.LBB174_152:                            ;   in Loop: Header=BB174_3 Depth=1
	s_delay_alu instid0(SALU_CYCLE_1)
	s_or_b32 exec_lo, exec_lo, s0
	s_and_saveexec_b32 s0, s64
	s_cbranch_execz .LBB174_154
; %bb.153:                              ;   in Loop: Header=BB174_3 Depth=1
	ds_load_b128 v[20:23], v1 offset:10032
	s_wait_dscnt 0x0
	v_mul_f64_e32 v[2:3], v[18:19], v[22:23]
	v_mul_f64_e32 v[22:23], v[16:17], v[22:23]
	s_delay_alu instid0(VALU_DEP_1) | instskip(NEXT) | instid1(VALU_DEP_1)
	v_fmac_f64_e32 v[22:23], v[18:19], v[20:21]
	v_dual_fma_f64 v[2:3], v[16:17], v[20:21], -v[2:3] :: v_dual_mov_b32 v18, v22
	s_delay_alu instid0(VALU_DEP_1) | instskip(NEXT) | instid1(VALU_DEP_3)
	v_xor_b32_e32 v17, 0x80000000, v3
	v_xor_b32_e32 v19, 0x80000000, v23
	s_delay_alu instid0(VALU_DEP_3)
	v_mov_b32_e32 v16, v2
	ds_store_b128 v57, v[16:19]
	v_mov_b64_e32 v[16:17], v[2:3]
	v_mov_b64_e32 v[18:19], v[22:23]
.LBB174_154:                            ;   in Loop: Header=BB174_3 Depth=1
	s_or_b32 exec_lo, exec_lo, s0
	s_wait_loadcnt_dscnt 0x0
	s_barrier_signal -1
	s_barrier_wait -1
	s_and_saveexec_b32 s0, s65
	s_cbranch_execz .LBB174_156
; %bb.155:                              ;   in Loop: Header=BB174_3 Depth=1
	ds_load_b128 v[20:23], v57
	ds_load_b128 v[208:211], v58 offset:9984
	s_wait_dscnt 0x0
	v_mul_f64_e32 v[2:3], v[22:23], v[210:211]
	s_delay_alu instid0(VALU_DEP_1) | instskip(SKIP_1) | instid1(VALU_DEP_2)
	v_fma_f64 v[2:3], v[20:21], v[208:209], -v[2:3]
	v_mul_f64_e32 v[20:21], v[20:21], v[210:211]
	v_add_f64_e64 v[16:17], v[16:17], -v[2:3]
	s_delay_alu instid0(VALU_DEP_2) | instskip(NEXT) | instid1(VALU_DEP_1)
	v_fmac_f64_e32 v[20:21], v[22:23], v[208:209]
	v_add_f64_e64 v[18:19], v[18:19], -v[20:21]
.LBB174_156:                            ;   in Loop: Header=BB174_3 Depth=1
	s_or_b32 exec_lo, exec_lo, s0
	s_barrier_signal -1
	s_barrier_wait -1
	s_and_saveexec_b32 s0, s66
	s_cbranch_execz .LBB174_158
; %bb.157:                              ;   in Loop: Header=BB174_3 Depth=1
	ds_load_b128 v[20:23], v1 offset:9504
	s_wait_dscnt 0x0
	v_mul_f64_e32 v[2:3], v[18:19], v[22:23]
	v_mul_f64_e32 v[22:23], v[16:17], v[22:23]
	s_delay_alu instid0(VALU_DEP_1) | instskip(NEXT) | instid1(VALU_DEP_1)
	v_fmac_f64_e32 v[22:23], v[18:19], v[20:21]
	v_dual_fma_f64 v[2:3], v[16:17], v[20:21], -v[2:3] :: v_dual_mov_b32 v18, v22
	s_delay_alu instid0(VALU_DEP_1) | instskip(NEXT) | instid1(VALU_DEP_3)
	v_xor_b32_e32 v17, 0x80000000, v3
	v_xor_b32_e32 v19, 0x80000000, v23
	s_delay_alu instid0(VALU_DEP_3)
	v_mov_b32_e32 v16, v2
	ds_store_b128 v57, v[16:19]
	v_mov_b64_e32 v[16:17], v[2:3]
	v_mov_b64_e32 v[18:19], v[22:23]
.LBB174_158:                            ;   in Loop: Header=BB174_3 Depth=1
	s_or_b32 exec_lo, exec_lo, s0
	s_wait_dscnt 0x0
	s_barrier_signal -1
	s_barrier_wait -1
	s_and_saveexec_b32 s0, s67
	s_cbranch_execz .LBB174_160
; %bb.159:                              ;   in Loop: Header=BB174_3 Depth=1
	ds_load_b128 v[20:23], v57
	ds_load_b128 v[208:211], v58 offset:9472
	s_wait_dscnt 0x0
	v_mul_f64_e32 v[2:3], v[22:23], v[210:211]
	s_delay_alu instid0(VALU_DEP_1) | instskip(SKIP_1) | instid1(VALU_DEP_2)
	v_fma_f64 v[2:3], v[20:21], v[208:209], -v[2:3]
	v_mul_f64_e32 v[20:21], v[20:21], v[210:211]
	v_add_f64_e64 v[16:17], v[16:17], -v[2:3]
	s_delay_alu instid0(VALU_DEP_2) | instskip(NEXT) | instid1(VALU_DEP_1)
	v_fmac_f64_e32 v[20:21], v[22:23], v[208:209]
	v_add_f64_e64 v[18:19], v[18:19], -v[20:21]
.LBB174_160:                            ;   in Loop: Header=BB174_3 Depth=1
	s_or_b32 exec_lo, exec_lo, s0
	s_barrier_signal -1
	s_barrier_wait -1
	s_and_saveexec_b32 s0, s68
	s_cbranch_execz .LBB174_162
; %bb.161:                              ;   in Loop: Header=BB174_3 Depth=1
	ds_load_b128 v[20:23], v1 offset:8976
	s_wait_dscnt 0x0
	v_mul_f64_e32 v[2:3], v[18:19], v[22:23]
	v_mul_f64_e32 v[22:23], v[16:17], v[22:23]
	s_delay_alu instid0(VALU_DEP_1) | instskip(NEXT) | instid1(VALU_DEP_1)
	v_fmac_f64_e32 v[22:23], v[18:19], v[20:21]
	v_dual_fma_f64 v[2:3], v[16:17], v[20:21], -v[2:3] :: v_dual_mov_b32 v18, v22
	s_delay_alu instid0(VALU_DEP_1) | instskip(NEXT) | instid1(VALU_DEP_3)
	v_xor_b32_e32 v17, 0x80000000, v3
	v_xor_b32_e32 v19, 0x80000000, v23
	s_delay_alu instid0(VALU_DEP_3)
	v_mov_b32_e32 v16, v2
	ds_store_b128 v57, v[16:19]
	v_mov_b64_e32 v[16:17], v[2:3]
	v_mov_b64_e32 v[18:19], v[22:23]
.LBB174_162:                            ;   in Loop: Header=BB174_3 Depth=1
	s_or_b32 exec_lo, exec_lo, s0
	s_wait_dscnt 0x0
	;; [unrolled: 41-line block ×3, first 2 shown]
	s_barrier_signal -1
	s_barrier_wait -1
	s_barrier_signal -1
	s_barrier_wait -1
	s_and_saveexec_b32 s0, s6
; %bb.167:                              ;   in Loop: Header=BB174_3 Depth=1
	ds_store_b128 v60, v[16:19] offset:12032
; %bb.168:                              ;   in Loop: Header=BB174_3 Depth=1
	s_or_b32 exec_lo, exec_lo, s0
	s_wait_dscnt 0x0
	s_barrier_signal -1
	s_barrier_wait -1
	s_barrier_signal -1
	s_barrier_wait -1
	s_and_saveexec_b32 s0, s70
	s_cbranch_execz .LBB174_170
; %bb.169:                              ;   in Loop: Header=BB174_3 Depth=1
	ds_load_b128 v[16:19], v119
	s_wait_dscnt 0x0
	ds_store_b128 v161, v[16:19]
	ds_load_b128 v[16:19], v122
	s_wait_dscnt 0x0
	ds_store_b128 v164, v[16:19]
	;; [unrolled: 3-line block ×4, first 2 shown]
.LBB174_170:                            ;   in Loop: Header=BB174_3 Depth=1
	s_or_b32 exec_lo, exec_lo, s0
	s_wait_dscnt 0x0
	s_barrier_signal -1
	s_barrier_wait -1
	s_and_saveexec_b32 s0, s31
	s_cbranch_execz .LBB174_172
; %bb.171:                              ;   in Loop: Header=BB174_3 Depth=1
	ds_load_b128 v[16:19], v1 offset:10032
	ds_load_b128 v[20:23], v1 offset:9504
	s_wait_dscnt 0x0
	v_mul_f64_e32 v[2:3], v[18:19], v[22:23]
	v_mul_f64_e32 v[46:47], v[16:17], v[22:23]
	s_delay_alu instid0(VALU_DEP_2) | instskip(NEXT) | instid1(VALU_DEP_2)
	v_fma_f64 v[2:3], v[16:17], v[20:21], -v[2:3]
	v_fmac_f64_e32 v[46:47], v[18:19], v[20:21]
	ds_load_b128 v[16:19], v1 offset:10016
	s_wait_dscnt 0x0
	v_mul_f64_e32 v[22:23], v[2:3], v[18:19]
	v_mul_f64_e32 v[20:21], v[46:47], v[18:19]
	s_delay_alu instid0(VALU_DEP_2) | instskip(NEXT) | instid1(VALU_DEP_2)
	v_fmac_f64_e32 v[22:23], v[16:17], v[46:47]
	v_fma_f64 v[20:21], v[16:17], v[2:3], -v[20:21]
	ds_store_b128 v1, v[20:23] offset:10016
	ds_store_b128 v1, v[20:23] offset:9520
.LBB174_172:                            ;   in Loop: Header=BB174_3 Depth=1
	s_or_b32 exec_lo, exec_lo, s0
	v_mov_b64_e32 v[16:17], 0
	v_mov_b64_e32 v[18:19], 0
	s_wait_dscnt 0x0
	s_barrier_signal -1
	s_barrier_wait -1
	global_wb scope:SCOPE_DEV
	s_wait_storecnt 0x0
	global_inv scope:SCOPE_DEV
	s_and_saveexec_b32 s0, s3
	s_cbranch_execz .LBB174_176
; %bb.173:                              ;   in Loop: Header=BB174_3 Depth=1
	ds_load_b128 v[16:19], v51 offset:10016
	ds_load_b128 v[20:23], v50 offset:9472
	s_wait_dscnt 0x0
	v_mul_f64_e32 v[2:3], v[18:19], v[22:23]
	v_mul_f64_e32 v[22:23], v[16:17], v[22:23]
	s_delay_alu instid0(VALU_DEP_2) | instskip(NEXT) | instid1(VALU_DEP_2)
	v_fma_f64 v[2:3], v[16:17], v[20:21], -v[2:3]
	v_fmac_f64_e32 v[22:23], v[18:19], v[20:21]
	s_delay_alu instid0(VALU_DEP_2) | instskip(NEXT) | instid1(VALU_DEP_2)
	v_add_f64_e32 v[16:17], 0, v[2:3]
	v_add_f64_e32 v[18:19], 0, v[22:23]
	s_and_saveexec_b32 s1, s4
	s_cbranch_execz .LBB174_175
; %bb.174:                              ;   in Loop: Header=BB174_3 Depth=1
	ds_load_b128 v[20:23], v1 offset:10032
	ds_load_b128 v[208:211], v118 offset:9984
	s_wait_dscnt 0x0
	v_mul_f64_e32 v[2:3], v[22:23], v[210:211]
	s_delay_alu instid0(VALU_DEP_1) | instskip(SKIP_1) | instid1(VALU_DEP_2)
	v_fma_f64 v[2:3], v[20:21], v[208:209], -v[2:3]
	v_mul_f64_e32 v[20:21], v[20:21], v[210:211]
	v_add_f64_e32 v[16:17], v[16:17], v[2:3]
	s_delay_alu instid0(VALU_DEP_2) | instskip(NEXT) | instid1(VALU_DEP_1)
	v_fmac_f64_e32 v[20:21], v[22:23], v[208:209]
	v_add_f64_e32 v[18:19], v[18:19], v[20:21]
.LBB174_175:                            ;   in Loop: Header=BB174_3 Depth=1
	s_or_b32 exec_lo, exec_lo, s1
.LBB174_176:                            ;   in Loop: Header=BB174_3 Depth=1
	s_delay_alu instid0(SALU_CYCLE_1)
	s_or_b32 exec_lo, exec_lo, s0
	s_and_saveexec_b32 s0, s61
	s_cbranch_execz .LBB174_178
; %bb.177:                              ;   in Loop: Header=BB174_3 Depth=1
	ds_load_b128 v[20:23], v1 offset:8976
	s_wait_dscnt 0x0
	v_mul_f64_e32 v[2:3], v[18:19], v[22:23]
	v_mul_f64_e32 v[22:23], v[16:17], v[22:23]
	s_delay_alu instid0(VALU_DEP_1) | instskip(NEXT) | instid1(VALU_DEP_1)
	v_fmac_f64_e32 v[22:23], v[18:19], v[20:21]
	v_dual_fma_f64 v[2:3], v[16:17], v[20:21], -v[2:3] :: v_dual_mov_b32 v18, v22
	s_delay_alu instid0(VALU_DEP_1) | instskip(NEXT) | instid1(VALU_DEP_3)
	v_xor_b32_e32 v17, 0x80000000, v3
	v_xor_b32_e32 v19, 0x80000000, v23
	s_delay_alu instid0(VALU_DEP_3)
	v_mov_b32_e32 v16, v2
	ds_store_b128 v25, v[16:19]
	v_mov_b64_e32 v[16:17], v[2:3]
	v_mov_b64_e32 v[18:19], v[22:23]
.LBB174_178:                            ;   in Loop: Header=BB174_3 Depth=1
	s_or_b32 exec_lo, exec_lo, s0
	s_wait_loadcnt_dscnt 0x0
	s_barrier_signal -1
	s_barrier_wait -1
	s_and_saveexec_b32 s0, s62
	s_cbranch_execz .LBB174_180
; %bb.179:                              ;   in Loop: Header=BB174_3 Depth=1
	ds_load_b128 v[20:23], v25
	ds_load_b128 v[208:211], v1 offset:8960
	s_wait_dscnt 0x0
	v_mul_f64_e32 v[2:3], v[22:23], v[210:211]
	s_delay_alu instid0(VALU_DEP_1) | instskip(SKIP_1) | instid1(VALU_DEP_2)
	v_fma_f64 v[2:3], v[20:21], v[208:209], -v[2:3]
	v_mul_f64_e32 v[20:21], v[20:21], v[210:211]
	v_add_f64_e64 v[16:17], v[16:17], -v[2:3]
	s_delay_alu instid0(VALU_DEP_2) | instskip(NEXT) | instid1(VALU_DEP_1)
	v_fmac_f64_e32 v[20:21], v[22:23], v[208:209]
	v_add_f64_e64 v[18:19], v[18:19], -v[20:21]
.LBB174_180:                            ;   in Loop: Header=BB174_3 Depth=1
	s_or_b32 exec_lo, exec_lo, s0
	s_barrier_signal -1
	s_barrier_wait -1
	s_and_saveexec_b32 s0, s62
	s_cbranch_execz .LBB174_182
; %bb.181:                              ;   in Loop: Header=BB174_3 Depth=1
	ds_load_b128 v[20:23], v1 offset:8448
	s_wait_dscnt 0x0
	v_mul_f64_e32 v[2:3], v[18:19], v[22:23]
	v_mul_f64_e32 v[22:23], v[16:17], v[22:23]
	s_delay_alu instid0(VALU_DEP_1) | instskip(NEXT) | instid1(VALU_DEP_1)
	v_fmac_f64_e32 v[22:23], v[18:19], v[20:21]
	v_dual_fma_f64 v[2:3], v[16:17], v[20:21], -v[2:3] :: v_dual_mov_b32 v18, v22
	s_delay_alu instid0(VALU_DEP_1) | instskip(NEXT) | instid1(VALU_DEP_3)
	v_xor_b32_e32 v17, 0x80000000, v3
	v_xor_b32_e32 v19, 0x80000000, v23
	s_delay_alu instid0(VALU_DEP_3)
	v_mov_b32_e32 v16, v2
	ds_store_b128 v25, v[16:19]
	v_mov_b64_e32 v[16:17], v[2:3]
	v_mov_b64_e32 v[18:19], v[22:23]
.LBB174_182:                            ;   in Loop: Header=BB174_3 Depth=1
	s_or_b32 exec_lo, exec_lo, s0
	s_wait_dscnt 0x0
	s_barrier_signal -1
	s_barrier_wait -1
	s_barrier_signal -1
	s_barrier_wait -1
	s_and_saveexec_b32 s0, s3
; %bb.183:                              ;   in Loop: Header=BB174_3 Depth=1
	ds_store_b128 v53, v[16:19] offset:9984
; %bb.184:                              ;   in Loop: Header=BB174_3 Depth=1
	s_or_b32 exec_lo, exec_lo, s0
	s_wait_dscnt 0x0
	s_barrier_signal -1
	s_barrier_wait -1
	s_barrier_signal -1
	s_barrier_wait -1
	s_and_saveexec_b32 s0, s63
	s_cbranch_execz .LBB174_186
; %bb.185:                              ;   in Loop: Header=BB174_3 Depth=1
	ds_load_b128 v[16:19], v129
	s_wait_dscnt 0x0
	ds_store_b128 v135, v[16:19]
	ds_load_b128 v[16:19], v130
	s_wait_dscnt 0x0
	ds_store_b128 v136, v[16:19]
.LBB174_186:                            ;   in Loop: Header=BB174_3 Depth=1
	s_or_b32 exec_lo, exec_lo, s0
	s_wait_dscnt 0x0
	s_barrier_signal -1
	s_barrier_wait -1
	s_and_saveexec_b32 s0, s31
	s_cbranch_execz .LBB174_188
; %bb.187:                              ;   in Loop: Header=BB174_3 Depth=1
	ds_load_b128 v[16:19], v1 offset:8976
	ds_load_b128 v[20:23], v1 offset:8448
	s_wait_dscnt 0x0
	v_mul_f64_e32 v[2:3], v[18:19], v[22:23]
	v_mul_f64_e32 v[46:47], v[16:17], v[22:23]
	s_delay_alu instid0(VALU_DEP_2) | instskip(NEXT) | instid1(VALU_DEP_2)
	v_fma_f64 v[2:3], v[16:17], v[20:21], -v[2:3]
	v_fmac_f64_e32 v[46:47], v[18:19], v[20:21]
	ds_load_b128 v[16:19], v1 offset:8960
	s_wait_dscnt 0x0
	v_mul_f64_e32 v[22:23], v[2:3], v[18:19]
	v_mul_f64_e32 v[20:21], v[46:47], v[18:19]
	s_delay_alu instid0(VALU_DEP_2) | instskip(NEXT) | instid1(VALU_DEP_2)
	v_fmac_f64_e32 v[22:23], v[16:17], v[46:47]
	v_fma_f64 v[20:21], v[16:17], v[2:3], -v[20:21]
	ds_store_b128 v1, v[20:23] offset:8960
	ds_store_b128 v1, v[20:23] offset:8464
.LBB174_188:                            ;   in Loop: Header=BB174_3 Depth=1
	s_or_b32 exec_lo, exec_lo, s0
	v_mov_b64_e32 v[18:19], 0
	v_mov_b64_e32 v[16:17], 0
	s_wait_dscnt 0x0
	s_barrier_signal -1
	s_barrier_wait -1
	global_wb scope:SCOPE_DEV
	s_wait_storecnt 0x0
	global_inv scope:SCOPE_DEV
	s_and_saveexec_b32 s0, s9
	s_cbranch_execz .LBB174_216
; %bb.189:                              ;   in Loop: Header=BB174_3 Depth=1
	ds_load_b128 v[16:19], v75 offset:16128
	ds_load_b128 v[20:23], v74 offset:8192
	s_wait_dscnt 0x0
	v_mul_f64_e32 v[2:3], v[18:19], v[22:23]
	v_mul_f64_e32 v[22:23], v[16:17], v[22:23]
	s_delay_alu instid0(VALU_DEP_2) | instskip(NEXT) | instid1(VALU_DEP_2)
	v_fma_f64 v[2:3], v[16:17], v[20:21], -v[2:3]
	v_fmac_f64_e32 v[22:23], v[18:19], v[20:21]
	s_delay_alu instid0(VALU_DEP_2) | instskip(NEXT) | instid1(VALU_DEP_2)
	v_add_f64_e32 v[16:17], 0, v[2:3]
	v_add_f64_e32 v[18:19], 0, v[22:23]
	s_mov_b32 s1, exec_lo
	v_readlane_b32 s54, v207, 11
	s_and_b32 s54, s1, s54
	s_delay_alu instid0(SALU_CYCLE_1)
	s_mov_b32 exec_lo, s54
	s_cbranch_execz .LBB174_191
; %bb.190:                              ;   in Loop: Header=BB174_3 Depth=1
	ds_load_b128 v[20:23], v75 offset:16144
	ds_load_b128 v[208:211], v74 offset:8704
	s_wait_dscnt 0x0
	v_mul_f64_e32 v[2:3], v[22:23], v[210:211]
	s_delay_alu instid0(VALU_DEP_1) | instskip(SKIP_1) | instid1(VALU_DEP_2)
	v_fma_f64 v[2:3], v[20:21], v[208:209], -v[2:3]
	v_mul_f64_e32 v[20:21], v[20:21], v[210:211]
	v_add_f64_e32 v[16:17], v[16:17], v[2:3]
	s_delay_alu instid0(VALU_DEP_2) | instskip(NEXT) | instid1(VALU_DEP_1)
	v_fmac_f64_e32 v[20:21], v[22:23], v[208:209]
	v_add_f64_e32 v[18:19], v[18:19], v[20:21]
.LBB174_191:                            ;   in Loop: Header=BB174_3 Depth=1
	s_or_b32 exec_lo, exec_lo, s1
	s_delay_alu instid0(SALU_CYCLE_1) | instskip(SKIP_2) | instid1(SALU_CYCLE_1)
	s_mov_b32 s1, exec_lo
	v_readlane_b32 s54, v207, 12
	s_and_b32 s54, s1, s54
	s_mov_b32 exec_lo, s54
	s_cbranch_execz .LBB174_193
; %bb.192:                              ;   in Loop: Header=BB174_3 Depth=1
	ds_load_b128 v[20:23], v75 offset:16160
	ds_load_b128 v[208:211], v74 offset:9216
	s_wait_dscnt 0x0
	v_mul_f64_e32 v[2:3], v[22:23], v[210:211]
	s_delay_alu instid0(VALU_DEP_1) | instskip(SKIP_1) | instid1(VALU_DEP_2)
	v_fma_f64 v[2:3], v[20:21], v[208:209], -v[2:3]
	v_mul_f64_e32 v[20:21], v[20:21], v[210:211]
	v_add_f64_e32 v[16:17], v[16:17], v[2:3]
	s_delay_alu instid0(VALU_DEP_2) | instskip(NEXT) | instid1(VALU_DEP_1)
	v_fmac_f64_e32 v[20:21], v[22:23], v[208:209]
	v_add_f64_e32 v[18:19], v[18:19], v[20:21]
.LBB174_193:                            ;   in Loop: Header=BB174_3 Depth=1
	s_or_b32 exec_lo, exec_lo, s1
	s_delay_alu instid0(SALU_CYCLE_1) | instskip(SKIP_2) | instid1(SALU_CYCLE_1)
	s_mov_b32 s1, exec_lo
	v_readlane_b32 s54, v207, 13
	s_and_b32 s54, s1, s54
	;; [unrolled: 20-line block ×10, first 2 shown]
	s_mov_b32 exec_lo, s54
	s_cbranch_execnz .LBB174_560
; %bb.210:                              ;   in Loop: Header=BB174_3 Depth=1
	s_or_b32 exec_lo, exec_lo, s1
	s_and_saveexec_b32 s1, s8
	s_cbranch_execnz .LBB174_561
.LBB174_211:                            ;   in Loop: Header=BB174_3 Depth=1
	s_or_b32 exec_lo, exec_lo, s1
	s_and_saveexec_b32 s1, s16
	s_cbranch_execnz .LBB174_562
.LBB174_212:                            ;   in Loop: Header=BB174_3 Depth=1
	s_or_b32 exec_lo, exec_lo, s1
	s_and_saveexec_b32 s1, s18
	s_cbranch_execnz .LBB174_563
.LBB174_213:                            ;   in Loop: Header=BB174_3 Depth=1
	s_or_b32 exec_lo, exec_lo, s1
	s_and_saveexec_b32 s1, s6
	s_cbranch_execz .LBB174_215
.LBB174_214:                            ;   in Loop: Header=BB174_3 Depth=1
	ds_load_b128 v[20:23], v1 offset:16368
	ds_load_b128 v[208:211], v52 offset:15872
	s_wait_dscnt 0x0
	v_mul_f64_e32 v[2:3], v[22:23], v[210:211]
	s_delay_alu instid0(VALU_DEP_1) | instskip(SKIP_1) | instid1(VALU_DEP_2)
	v_fma_f64 v[2:3], v[20:21], v[208:209], -v[2:3]
	v_mul_f64_e32 v[20:21], v[20:21], v[210:211]
	v_add_f64_e32 v[16:17], v[16:17], v[2:3]
	s_delay_alu instid0(VALU_DEP_2) | instskip(NEXT) | instid1(VALU_DEP_1)
	v_fmac_f64_e32 v[20:21], v[22:23], v[208:209]
	v_add_f64_e32 v[18:19], v[18:19], v[20:21]
.LBB174_215:                            ;   in Loop: Header=BB174_3 Depth=1
	s_or_b32 exec_lo, exec_lo, s1
.LBB174_216:                            ;   in Loop: Header=BB174_3 Depth=1
	s_delay_alu instid0(SALU_CYCLE_1) | instskip(NEXT) | instid1(SALU_CYCLE_1)
	s_or_b32 exec_lo, exec_lo, s0
	s_mov_b32 s0, exec_lo
	v_readlane_b32 s1, v207, 0
	s_and_b32 s1, s0, s1
	s_delay_alu instid0(SALU_CYCLE_1)
	s_mov_b32 exec_lo, s1
	s_cbranch_execz .LBB174_218
; %bb.217:                              ;   in Loop: Header=BB174_3 Depth=1
	ds_load_b128 v[20:23], v1 offset:7920
	s_wait_dscnt 0x0
	v_mul_f64_e32 v[2:3], v[18:19], v[22:23]
	v_mul_f64_e32 v[22:23], v[16:17], v[22:23]
	s_delay_alu instid0(VALU_DEP_1) | instskip(NEXT) | instid1(VALU_DEP_1)
	v_fmac_f64_e32 v[22:23], v[18:19], v[20:21]
	v_dual_fma_f64 v[2:3], v[16:17], v[20:21], -v[2:3] :: v_dual_mov_b32 v18, v22
	s_delay_alu instid0(VALU_DEP_1) | instskip(NEXT) | instid1(VALU_DEP_3)
	v_xor_b32_e32 v17, 0x80000000, v3
	v_xor_b32_e32 v19, 0x80000000, v23
	s_delay_alu instid0(VALU_DEP_3)
	v_mov_b32_e32 v16, v2
	ds_store_b128 v73, v[16:19]
	v_mov_b64_e32 v[16:17], v[2:3]
	v_mov_b64_e32 v[18:19], v[22:23]
.LBB174_218:                            ;   in Loop: Header=BB174_3 Depth=1
	s_or_b32 exec_lo, exec_lo, s0
	s_wait_loadcnt_dscnt 0x0
	s_barrier_signal -1
	s_barrier_wait -1
	s_mov_b32 s0, exec_lo
	v_readlane_b32 s1, v207, 1
	s_and_b32 s1, s0, s1
	s_delay_alu instid0(SALU_CYCLE_1)
	s_mov_b32 exec_lo, s1
	s_cbranch_execz .LBB174_220
; %bb.219:                              ;   in Loop: Header=BB174_3 Depth=1
	ds_load_b128 v[20:23], v73
	ds_load_b128 v[208:211], v74 offset:7680
	s_wait_dscnt 0x0
	v_mul_f64_e32 v[2:3], v[22:23], v[210:211]
	s_delay_alu instid0(VALU_DEP_1) | instskip(SKIP_1) | instid1(VALU_DEP_2)
	v_fma_f64 v[2:3], v[20:21], v[208:209], -v[2:3]
	v_mul_f64_e32 v[20:21], v[20:21], v[210:211]
	v_add_f64_e64 v[16:17], v[16:17], -v[2:3]
	s_delay_alu instid0(VALU_DEP_2) | instskip(NEXT) | instid1(VALU_DEP_1)
	v_fmac_f64_e32 v[20:21], v[22:23], v[208:209]
	v_add_f64_e64 v[18:19], v[18:19], -v[20:21]
.LBB174_220:                            ;   in Loop: Header=BB174_3 Depth=1
	s_or_b32 exec_lo, exec_lo, s0
	s_barrier_signal -1
	s_barrier_wait -1
	s_mov_b32 s0, exec_lo
	v_readlane_b32 s1, v207, 2
	s_and_b32 s1, s0, s1
	s_delay_alu instid0(SALU_CYCLE_1)
	s_mov_b32 exec_lo, s1
	s_cbranch_execz .LBB174_222
; %bb.221:                              ;   in Loop: Header=BB174_3 Depth=1
	ds_load_b128 v[20:23], v1 offset:7392
	s_wait_dscnt 0x0
	v_mul_f64_e32 v[2:3], v[18:19], v[22:23]
	v_mul_f64_e32 v[22:23], v[16:17], v[22:23]
	s_delay_alu instid0(VALU_DEP_1) | instskip(NEXT) | instid1(VALU_DEP_1)
	v_fmac_f64_e32 v[22:23], v[18:19], v[20:21]
	v_dual_fma_f64 v[2:3], v[16:17], v[20:21], -v[2:3] :: v_dual_mov_b32 v18, v22
	s_delay_alu instid0(VALU_DEP_1) | instskip(NEXT) | instid1(VALU_DEP_3)
	v_xor_b32_e32 v17, 0x80000000, v3
	v_xor_b32_e32 v19, 0x80000000, v23
	s_delay_alu instid0(VALU_DEP_3)
	v_mov_b32_e32 v16, v2
	ds_store_b128 v73, v[16:19]
	v_mov_b64_e32 v[16:17], v[2:3]
	v_mov_b64_e32 v[18:19], v[22:23]
.LBB174_222:                            ;   in Loop: Header=BB174_3 Depth=1
	s_or_b32 exec_lo, exec_lo, s0
	s_wait_dscnt 0x0
	s_barrier_signal -1
	s_barrier_wait -1
	s_mov_b32 s0, exec_lo
	v_readlane_b32 s1, v207, 3
	s_and_b32 s1, s0, s1
	s_delay_alu instid0(SALU_CYCLE_1)
	s_mov_b32 exec_lo, s1
	s_cbranch_execz .LBB174_224
; %bb.223:                              ;   in Loop: Header=BB174_3 Depth=1
	ds_load_b128 v[20:23], v73
	ds_load_b128 v[208:211], v74 offset:7168
	s_wait_dscnt 0x0
	v_mul_f64_e32 v[2:3], v[22:23], v[210:211]
	s_delay_alu instid0(VALU_DEP_1) | instskip(SKIP_1) | instid1(VALU_DEP_2)
	v_fma_f64 v[2:3], v[20:21], v[208:209], -v[2:3]
	v_mul_f64_e32 v[20:21], v[20:21], v[210:211]
	v_add_f64_e64 v[16:17], v[16:17], -v[2:3]
	s_delay_alu instid0(VALU_DEP_2) | instskip(NEXT) | instid1(VALU_DEP_1)
	v_fmac_f64_e32 v[20:21], v[22:23], v[208:209]
	v_add_f64_e64 v[18:19], v[18:19], -v[20:21]
.LBB174_224:                            ;   in Loop: Header=BB174_3 Depth=1
	s_or_b32 exec_lo, exec_lo, s0
	s_barrier_signal -1
	s_barrier_wait -1
	s_mov_b32 s0, exec_lo
	v_readlane_b32 s1, v207, 4
	s_and_b32 s1, s0, s1
	s_delay_alu instid0(SALU_CYCLE_1)
	s_mov_b32 exec_lo, s1
	s_cbranch_execz .LBB174_226
; %bb.225:                              ;   in Loop: Header=BB174_3 Depth=1
	ds_load_b128 v[20:23], v1 offset:6864
	s_wait_dscnt 0x0
	v_mul_f64_e32 v[2:3], v[18:19], v[22:23]
	v_mul_f64_e32 v[22:23], v[16:17], v[22:23]
	s_delay_alu instid0(VALU_DEP_1) | instskip(NEXT) | instid1(VALU_DEP_1)
	v_fmac_f64_e32 v[22:23], v[18:19], v[20:21]
	v_dual_fma_f64 v[2:3], v[16:17], v[20:21], -v[2:3] :: v_dual_mov_b32 v18, v22
	s_delay_alu instid0(VALU_DEP_1) | instskip(NEXT) | instid1(VALU_DEP_3)
	v_xor_b32_e32 v17, 0x80000000, v3
	v_xor_b32_e32 v19, 0x80000000, v23
	s_delay_alu instid0(VALU_DEP_3)
	v_mov_b32_e32 v16, v2
	ds_store_b128 v73, v[16:19]
	v_mov_b64_e32 v[16:17], v[2:3]
	v_mov_b64_e32 v[18:19], v[22:23]
.LBB174_226:                            ;   in Loop: Header=BB174_3 Depth=1
	s_or_b32 exec_lo, exec_lo, s0
	s_wait_dscnt 0x0
	s_barrier_signal -1
	s_barrier_wait -1
	s_mov_b32 s0, exec_lo
	v_readlane_b32 s1, v207, 5
	s_and_b32 s1, s0, s1
	s_delay_alu instid0(SALU_CYCLE_1)
	s_mov_b32 exec_lo, s1
	s_cbranch_execz .LBB174_228
; %bb.227:                              ;   in Loop: Header=BB174_3 Depth=1
	ds_load_b128 v[20:23], v73
	ds_load_b128 v[208:211], v74 offset:6656
	s_wait_dscnt 0x0
	v_mul_f64_e32 v[2:3], v[22:23], v[210:211]
	s_delay_alu instid0(VALU_DEP_1) | instskip(SKIP_1) | instid1(VALU_DEP_2)
	v_fma_f64 v[2:3], v[20:21], v[208:209], -v[2:3]
	v_mul_f64_e32 v[20:21], v[20:21], v[210:211]
	v_add_f64_e64 v[16:17], v[16:17], -v[2:3]
	s_delay_alu instid0(VALU_DEP_2) | instskip(NEXT) | instid1(VALU_DEP_1)
	v_fmac_f64_e32 v[20:21], v[22:23], v[208:209]
	v_add_f64_e64 v[18:19], v[18:19], -v[20:21]
.LBB174_228:                            ;   in Loop: Header=BB174_3 Depth=1
	s_or_b32 exec_lo, exec_lo, s0
	s_barrier_signal -1
	s_barrier_wait -1
	s_and_saveexec_b32 s0, s92
	s_cbranch_execz .LBB174_230
; %bb.229:                              ;   in Loop: Header=BB174_3 Depth=1
	ds_load_b128 v[20:23], v1 offset:6336
	s_wait_dscnt 0x0
	v_mul_f64_e32 v[2:3], v[18:19], v[22:23]
	v_mul_f64_e32 v[22:23], v[16:17], v[22:23]
	s_delay_alu instid0(VALU_DEP_1) | instskip(NEXT) | instid1(VALU_DEP_1)
	v_fmac_f64_e32 v[22:23], v[18:19], v[20:21]
	v_dual_fma_f64 v[2:3], v[16:17], v[20:21], -v[2:3] :: v_dual_mov_b32 v18, v22
	s_delay_alu instid0(VALU_DEP_1) | instskip(NEXT) | instid1(VALU_DEP_3)
	v_xor_b32_e32 v17, 0x80000000, v3
	v_xor_b32_e32 v19, 0x80000000, v23
	s_delay_alu instid0(VALU_DEP_3)
	v_mov_b32_e32 v16, v2
	ds_store_b128 v73, v[16:19]
	v_mov_b64_e32 v[16:17], v[2:3]
	v_mov_b64_e32 v[18:19], v[22:23]
.LBB174_230:                            ;   in Loop: Header=BB174_3 Depth=1
	s_or_b32 exec_lo, exec_lo, s0
	s_wait_dscnt 0x0
	s_barrier_signal -1
	s_barrier_wait -1
	s_and_saveexec_b32 s0, s93
	s_cbranch_execz .LBB174_232
; %bb.231:                              ;   in Loop: Header=BB174_3 Depth=1
	ds_load_b128 v[20:23], v73
	ds_load_b128 v[208:211], v74 offset:6144
	s_wait_dscnt 0x0
	v_mul_f64_e32 v[2:3], v[22:23], v[210:211]
	s_delay_alu instid0(VALU_DEP_1) | instskip(SKIP_1) | instid1(VALU_DEP_2)
	v_fma_f64 v[2:3], v[20:21], v[208:209], -v[2:3]
	v_mul_f64_e32 v[20:21], v[20:21], v[210:211]
	v_add_f64_e64 v[16:17], v[16:17], -v[2:3]
	s_delay_alu instid0(VALU_DEP_2) | instskip(NEXT) | instid1(VALU_DEP_1)
	v_fmac_f64_e32 v[20:21], v[22:23], v[208:209]
	v_add_f64_e64 v[18:19], v[18:19], -v[20:21]
.LBB174_232:                            ;   in Loop: Header=BB174_3 Depth=1
	s_or_b32 exec_lo, exec_lo, s0
	s_barrier_signal -1
	s_barrier_wait -1
	s_and_saveexec_b32 s0, s94
	s_cbranch_execz .LBB174_234
; %bb.233:                              ;   in Loop: Header=BB174_3 Depth=1
	ds_load_b128 v[20:23], v1 offset:5808
	s_wait_dscnt 0x0
	v_mul_f64_e32 v[2:3], v[18:19], v[22:23]
	v_mul_f64_e32 v[22:23], v[16:17], v[22:23]
	s_delay_alu instid0(VALU_DEP_1) | instskip(NEXT) | instid1(VALU_DEP_1)
	v_fmac_f64_e32 v[22:23], v[18:19], v[20:21]
	v_dual_fma_f64 v[2:3], v[16:17], v[20:21], -v[2:3] :: v_dual_mov_b32 v18, v22
	s_delay_alu instid0(VALU_DEP_1) | instskip(NEXT) | instid1(VALU_DEP_3)
	v_xor_b32_e32 v17, 0x80000000, v3
	v_xor_b32_e32 v19, 0x80000000, v23
	s_delay_alu instid0(VALU_DEP_3)
	v_mov_b32_e32 v16, v2
	ds_store_b128 v73, v[16:19]
	v_mov_b64_e32 v[16:17], v[2:3]
	v_mov_b64_e32 v[18:19], v[22:23]
.LBB174_234:                            ;   in Loop: Header=BB174_3 Depth=1
	s_or_b32 exec_lo, exec_lo, s0
	s_wait_dscnt 0x0
	s_barrier_signal -1
	s_barrier_wait -1
	s_and_saveexec_b32 s0, s95
	;; [unrolled: 41-line block ×6, first 2 shown]
	s_cbranch_execz .LBB174_252
; %bb.251:                              ;   in Loop: Header=BB174_3 Depth=1
	ds_load_b128 v[20:23], v73
	ds_load_b128 v[208:211], v74 offset:3584
	s_wait_dscnt 0x0
	v_mul_f64_e32 v[2:3], v[22:23], v[210:211]
	s_delay_alu instid0(VALU_DEP_1) | instskip(SKIP_1) | instid1(VALU_DEP_2)
	v_fma_f64 v[2:3], v[20:21], v[208:209], -v[2:3]
	v_mul_f64_e32 v[20:21], v[20:21], v[210:211]
	v_add_f64_e64 v[16:17], v[16:17], -v[2:3]
	s_delay_alu instid0(VALU_DEP_2) | instskip(NEXT) | instid1(VALU_DEP_1)
	v_fmac_f64_e32 v[20:21], v[22:23], v[208:209]
	v_add_f64_e64 v[18:19], v[18:19], -v[20:21]
.LBB174_252:                            ;   in Loop: Header=BB174_3 Depth=1
	s_or_b32 exec_lo, exec_lo, s0
	s_barrier_signal -1
	s_barrier_wait -1
	s_and_saveexec_b32 s0, s104
	s_cbranch_execz .LBB174_254
; %bb.253:                              ;   in Loop: Header=BB174_3 Depth=1
	ds_load_b128 v[20:23], v1 offset:3168
	s_wait_dscnt 0x0
	v_mul_f64_e32 v[2:3], v[18:19], v[22:23]
	v_mul_f64_e32 v[22:23], v[16:17], v[22:23]
	s_delay_alu instid0(VALU_DEP_1) | instskip(NEXT) | instid1(VALU_DEP_1)
	v_fmac_f64_e32 v[22:23], v[18:19], v[20:21]
	v_dual_fma_f64 v[2:3], v[16:17], v[20:21], -v[2:3] :: v_dual_mov_b32 v18, v22
	s_delay_alu instid0(VALU_DEP_1) | instskip(NEXT) | instid1(VALU_DEP_3)
	v_xor_b32_e32 v17, 0x80000000, v3
	v_xor_b32_e32 v19, 0x80000000, v23
	s_delay_alu instid0(VALU_DEP_3)
	v_mov_b32_e32 v16, v2
	ds_store_b128 v73, v[16:19]
	v_mov_b64_e32 v[16:17], v[2:3]
	v_mov_b64_e32 v[18:19], v[22:23]
.LBB174_254:                            ;   in Loop: Header=BB174_3 Depth=1
	s_or_b32 exec_lo, exec_lo, s0
	s_wait_dscnt 0x0
	s_barrier_signal -1
	s_barrier_wait -1
	s_and_saveexec_b32 s0, vcc_hi
	s_cbranch_execz .LBB174_256
; %bb.255:                              ;   in Loop: Header=BB174_3 Depth=1
	ds_load_b128 v[20:23], v73
	ds_load_b128 v[208:211], v74 offset:3072
	s_wait_dscnt 0x0
	v_mul_f64_e32 v[2:3], v[22:23], v[210:211]
	s_delay_alu instid0(VALU_DEP_1) | instskip(SKIP_1) | instid1(VALU_DEP_2)
	v_fma_f64 v[2:3], v[20:21], v[208:209], -v[2:3]
	v_mul_f64_e32 v[20:21], v[20:21], v[210:211]
	v_add_f64_e64 v[16:17], v[16:17], -v[2:3]
	s_delay_alu instid0(VALU_DEP_2) | instskip(NEXT) | instid1(VALU_DEP_1)
	v_fmac_f64_e32 v[20:21], v[22:23], v[208:209]
	v_add_f64_e64 v[18:19], v[18:19], -v[20:21]
.LBB174_256:                            ;   in Loop: Header=BB174_3 Depth=1
	s_or_b32 exec_lo, exec_lo, s0
	s_barrier_signal -1
	s_barrier_wait -1
	s_and_saveexec_b32 s0, s20
	s_cbranch_execz .LBB174_258
; %bb.257:                              ;   in Loop: Header=BB174_3 Depth=1
	ds_load_b128 v[20:23], v1 offset:2640
	s_wait_dscnt 0x0
	v_mul_f64_e32 v[2:3], v[18:19], v[22:23]
	v_mul_f64_e32 v[22:23], v[16:17], v[22:23]
	s_delay_alu instid0(VALU_DEP_1) | instskip(NEXT) | instid1(VALU_DEP_1)
	v_fmac_f64_e32 v[22:23], v[18:19], v[20:21]
	v_dual_fma_f64 v[2:3], v[16:17], v[20:21], -v[2:3] :: v_dual_mov_b32 v18, v22
	s_delay_alu instid0(VALU_DEP_1) | instskip(NEXT) | instid1(VALU_DEP_3)
	v_xor_b32_e32 v17, 0x80000000, v3
	v_xor_b32_e32 v19, 0x80000000, v23
	s_delay_alu instid0(VALU_DEP_3)
	v_mov_b32_e32 v16, v2
	ds_store_b128 v73, v[16:19]
	v_mov_b64_e32 v[16:17], v[2:3]
	v_mov_b64_e32 v[18:19], v[22:23]
.LBB174_258:                            ;   in Loop: Header=BB174_3 Depth=1
	s_or_b32 exec_lo, exec_lo, s0
	s_wait_dscnt 0x0
	s_barrier_signal -1
	s_barrier_wait -1
	s_and_saveexec_b32 s0, s21
	s_cbranch_execz .LBB174_260
; %bb.259:                              ;   in Loop: Header=BB174_3 Depth=1
	ds_load_b128 v[20:23], v73
	ds_load_b128 v[208:211], v74 offset:2560
	s_wait_dscnt 0x0
	v_mul_f64_e32 v[2:3], v[22:23], v[210:211]
	s_delay_alu instid0(VALU_DEP_1) | instskip(SKIP_1) | instid1(VALU_DEP_2)
	v_fma_f64 v[2:3], v[20:21], v[208:209], -v[2:3]
	v_mul_f64_e32 v[20:21], v[20:21], v[210:211]
	v_add_f64_e64 v[16:17], v[16:17], -v[2:3]
	s_delay_alu instid0(VALU_DEP_2) | instskip(NEXT) | instid1(VALU_DEP_1)
	v_fmac_f64_e32 v[20:21], v[22:23], v[208:209]
	v_add_f64_e64 v[18:19], v[18:19], -v[20:21]
.LBB174_260:                            ;   in Loop: Header=BB174_3 Depth=1
	s_or_b32 exec_lo, exec_lo, s0
	s_barrier_signal -1
	s_barrier_wait -1
	s_and_saveexec_b32 s0, s22
	s_cbranch_execz .LBB174_262
; %bb.261:                              ;   in Loop: Header=BB174_3 Depth=1
	ds_load_b128 v[20:23], v1 offset:2112
	s_wait_dscnt 0x0
	v_mul_f64_e32 v[2:3], v[18:19], v[22:23]
	v_mul_f64_e32 v[22:23], v[16:17], v[22:23]
	s_delay_alu instid0(VALU_DEP_1) | instskip(NEXT) | instid1(VALU_DEP_1)
	v_fmac_f64_e32 v[22:23], v[18:19], v[20:21]
	v_dual_fma_f64 v[2:3], v[16:17], v[20:21], -v[2:3] :: v_dual_mov_b32 v18, v22
	s_delay_alu instid0(VALU_DEP_1) | instskip(NEXT) | instid1(VALU_DEP_3)
	v_xor_b32_e32 v17, 0x80000000, v3
	v_xor_b32_e32 v19, 0x80000000, v23
	s_delay_alu instid0(VALU_DEP_3)
	v_mov_b32_e32 v16, v2
	ds_store_b128 v73, v[16:19]
	v_mov_b64_e32 v[16:17], v[2:3]
	v_mov_b64_e32 v[18:19], v[22:23]
.LBB174_262:                            ;   in Loop: Header=BB174_3 Depth=1
	s_or_b32 exec_lo, exec_lo, s0
	s_wait_dscnt 0x0
	s_barrier_signal -1
	s_barrier_wait -1
	s_and_saveexec_b32 s0, s23
	;; [unrolled: 41-line block ×5, first 2 shown]
	s_cbranch_execz .LBB174_276
; %bb.275:                              ;   in Loop: Header=BB174_3 Depth=1
	ds_load_b128 v[20:23], v73
	ds_load_b128 v[208:211], v1 offset:512
	s_wait_dscnt 0x0
	v_mul_f64_e32 v[2:3], v[22:23], v[210:211]
	s_delay_alu instid0(VALU_DEP_1) | instskip(SKIP_1) | instid1(VALU_DEP_2)
	v_fma_f64 v[2:3], v[20:21], v[208:209], -v[2:3]
	v_mul_f64_e32 v[20:21], v[20:21], v[210:211]
	v_add_f64_e64 v[16:17], v[16:17], -v[2:3]
	s_delay_alu instid0(VALU_DEP_2) | instskip(NEXT) | instid1(VALU_DEP_1)
	v_fmac_f64_e32 v[20:21], v[22:23], v[208:209]
	v_add_f64_e64 v[18:19], v[18:19], -v[20:21]
.LBB174_276:                            ;   in Loop: Header=BB174_3 Depth=1
	s_or_b32 exec_lo, exec_lo, s0
	s_barrier_signal -1
	s_barrier_wait -1
	s_and_saveexec_b32 s0, s29
	s_cbranch_execz .LBB174_278
; %bb.277:                              ;   in Loop: Header=BB174_3 Depth=1
	ds_load_b128 v[20:23], v1
	s_wait_dscnt 0x0
	v_mul_f64_e32 v[2:3], v[18:19], v[22:23]
	v_mul_f64_e32 v[22:23], v[16:17], v[22:23]
	s_delay_alu instid0(VALU_DEP_1) | instskip(NEXT) | instid1(VALU_DEP_1)
	v_fmac_f64_e32 v[22:23], v[18:19], v[20:21]
	v_dual_fma_f64 v[2:3], v[16:17], v[20:21], -v[2:3] :: v_dual_mov_b32 v18, v22
	s_delay_alu instid0(VALU_DEP_1) | instskip(NEXT) | instid1(VALU_DEP_3)
	v_xor_b32_e32 v17, 0x80000000, v3
	v_xor_b32_e32 v19, 0x80000000, v23
	s_delay_alu instid0(VALU_DEP_3)
	v_mov_b32_e32 v16, v2
	ds_store_b128 v73, v[16:19]
	v_mov_b64_e32 v[16:17], v[2:3]
	v_mov_b64_e32 v[18:19], v[22:23]
.LBB174_278:                            ;   in Loop: Header=BB174_3 Depth=1
	s_or_b32 exec_lo, exec_lo, s0
	s_wait_dscnt 0x0
	s_barrier_signal -1
	s_barrier_wait -1
	s_barrier_signal -1
	s_barrier_wait -1
	s_and_saveexec_b32 s0, s9
; %bb.279:                              ;   in Loop: Header=BB174_3 Depth=1
	ds_store_b128 v76, v[16:19] offset:15872
; %bb.280:                              ;   in Loop: Header=BB174_3 Depth=1
	s_or_b32 exec_lo, exec_lo, s0
	s_wait_dscnt 0x0
	s_barrier_signal -1
	s_barrier_wait -1
	s_barrier_signal -1
	s_barrier_wait -1
	s_and_saveexec_b32 s0, s30
	s_cbranch_execz .LBB174_282
; %bb.281:                              ;   in Loop: Header=BB174_3 Depth=1
	ds_load_b128 v[16:19], v77
	s_wait_dscnt 0x0
	ds_store_b128 v165, v[16:19]
	ds_load_b128 v[16:19], v78
	s_wait_dscnt 0x0
	ds_store_b128 v166, v[16:19]
	;; [unrolled: 3-line block ×16, first 2 shown]
.LBB174_282:                            ;   in Loop: Header=BB174_3 Depth=1
	s_or_b32 exec_lo, exec_lo, s0
	s_wait_dscnt 0x0
	s_barrier_signal -1
	s_barrier_wait -1
	s_and_saveexec_b32 s0, s31
	s_cbranch_execz .LBB174_284
; %bb.283:                              ;   in Loop: Header=BB174_3 Depth=1
	ds_load_b128 v[16:19], v1 offset:7920
	ds_load_b128 v[20:23], v1 offset:7392
	s_wait_dscnt 0x0
	v_mul_f64_e32 v[2:3], v[18:19], v[22:23]
	v_mul_f64_e32 v[46:47], v[16:17], v[22:23]
	s_delay_alu instid0(VALU_DEP_2) | instskip(NEXT) | instid1(VALU_DEP_2)
	v_fma_f64 v[2:3], v[16:17], v[20:21], -v[2:3]
	v_fmac_f64_e32 v[46:47], v[18:19], v[20:21]
	ds_load_b128 v[16:19], v1 offset:7904
	s_wait_dscnt 0x0
	v_mul_f64_e32 v[22:23], v[2:3], v[18:19]
	v_mul_f64_e32 v[20:21], v[46:47], v[18:19]
	s_delay_alu instid0(VALU_DEP_2) | instskip(NEXT) | instid1(VALU_DEP_2)
	v_fmac_f64_e32 v[22:23], v[16:17], v[46:47]
	v_fma_f64 v[20:21], v[16:17], v[2:3], -v[20:21]
	ds_store_b128 v1, v[20:23] offset:7904
	ds_store_b128 v1, v[20:23] offset:7408
.LBB174_284:                            ;   in Loop: Header=BB174_3 Depth=1
	s_or_b32 exec_lo, exec_lo, s0
	v_mov_b64_e32 v[16:17], 0
	v_mov_b64_e32 v[18:19], 0
	s_wait_dscnt 0x0
	s_barrier_signal -1
	s_barrier_wait -1
	global_wb scope:SCOPE_DEV
	s_wait_storecnt 0x0
	global_inv scope:SCOPE_DEV
	s_and_saveexec_b32 s0, s3
	s_cbranch_execz .LBB174_288
; %bb.285:                              ;   in Loop: Header=BB174_3 Depth=1
	ds_load_b128 v[16:19], v51 offset:7904
	ds_load_b128 v[20:23], v50 offset:7360
	s_wait_dscnt 0x0
	v_mul_f64_e32 v[2:3], v[18:19], v[22:23]
	v_mul_f64_e32 v[22:23], v[16:17], v[22:23]
	s_delay_alu instid0(VALU_DEP_2) | instskip(NEXT) | instid1(VALU_DEP_2)
	v_fma_f64 v[2:3], v[16:17], v[20:21], -v[2:3]
	v_fmac_f64_e32 v[22:23], v[18:19], v[20:21]
	s_delay_alu instid0(VALU_DEP_2) | instskip(NEXT) | instid1(VALU_DEP_2)
	v_add_f64_e32 v[16:17], 0, v[2:3]
	v_add_f64_e32 v[18:19], 0, v[22:23]
	s_and_saveexec_b32 s1, s4
	s_cbranch_execz .LBB174_287
; %bb.286:                              ;   in Loop: Header=BB174_3 Depth=1
	ds_load_b128 v[20:23], v1 offset:7920
	ds_load_b128 v[208:211], v52 offset:7872
	s_wait_dscnt 0x0
	v_mul_f64_e32 v[2:3], v[22:23], v[210:211]
	s_delay_alu instid0(VALU_DEP_1) | instskip(SKIP_1) | instid1(VALU_DEP_2)
	v_fma_f64 v[2:3], v[20:21], v[208:209], -v[2:3]
	v_mul_f64_e32 v[20:21], v[20:21], v[210:211]
	v_add_f64_e32 v[16:17], v[16:17], v[2:3]
	s_delay_alu instid0(VALU_DEP_2) | instskip(NEXT) | instid1(VALU_DEP_1)
	v_fmac_f64_e32 v[20:21], v[22:23], v[208:209]
	v_add_f64_e32 v[18:19], v[18:19], v[20:21]
.LBB174_287:                            ;   in Loop: Header=BB174_3 Depth=1
	s_or_b32 exec_lo, exec_lo, s1
.LBB174_288:                            ;   in Loop: Header=BB174_3 Depth=1
	s_delay_alu instid0(SALU_CYCLE_1)
	s_or_b32 exec_lo, exec_lo, s0
	s_and_saveexec_b32 s0, s61
	s_cbranch_execz .LBB174_290
; %bb.289:                              ;   in Loop: Header=BB174_3 Depth=1
	ds_load_b128 v[20:23], v1 offset:6864
	s_wait_dscnt 0x0
	v_mul_f64_e32 v[2:3], v[18:19], v[22:23]
	v_mul_f64_e32 v[22:23], v[16:17], v[22:23]
	s_delay_alu instid0(VALU_DEP_1) | instskip(NEXT) | instid1(VALU_DEP_1)
	v_fmac_f64_e32 v[22:23], v[18:19], v[20:21]
	v_dual_fma_f64 v[2:3], v[16:17], v[20:21], -v[2:3] :: v_dual_mov_b32 v18, v22
	s_delay_alu instid0(VALU_DEP_1) | instskip(NEXT) | instid1(VALU_DEP_3)
	v_xor_b32_e32 v17, 0x80000000, v3
	v_xor_b32_e32 v19, 0x80000000, v23
	s_delay_alu instid0(VALU_DEP_3)
	v_mov_b32_e32 v16, v2
	ds_store_b128 v25, v[16:19]
	v_mov_b64_e32 v[16:17], v[2:3]
	v_mov_b64_e32 v[18:19], v[22:23]
.LBB174_290:                            ;   in Loop: Header=BB174_3 Depth=1
	s_or_b32 exec_lo, exec_lo, s0
	s_wait_loadcnt_dscnt 0x0
	s_barrier_signal -1
	s_barrier_wait -1
	s_and_saveexec_b32 s0, s62
	s_cbranch_execz .LBB174_292
; %bb.291:                              ;   in Loop: Header=BB174_3 Depth=1
	ds_load_b128 v[20:23], v25
	ds_load_b128 v[208:211], v1 offset:6848
	s_wait_dscnt 0x0
	v_mul_f64_e32 v[2:3], v[22:23], v[210:211]
	s_delay_alu instid0(VALU_DEP_1) | instskip(SKIP_1) | instid1(VALU_DEP_2)
	v_fma_f64 v[2:3], v[20:21], v[208:209], -v[2:3]
	v_mul_f64_e32 v[20:21], v[20:21], v[210:211]
	v_add_f64_e64 v[16:17], v[16:17], -v[2:3]
	s_delay_alu instid0(VALU_DEP_2) | instskip(NEXT) | instid1(VALU_DEP_1)
	v_fmac_f64_e32 v[20:21], v[22:23], v[208:209]
	v_add_f64_e64 v[18:19], v[18:19], -v[20:21]
.LBB174_292:                            ;   in Loop: Header=BB174_3 Depth=1
	s_or_b32 exec_lo, exec_lo, s0
	s_barrier_signal -1
	s_barrier_wait -1
	s_and_saveexec_b32 s0, s62
	s_cbranch_execz .LBB174_294
; %bb.293:                              ;   in Loop: Header=BB174_3 Depth=1
	ds_load_b128 v[20:23], v1 offset:6336
	s_wait_dscnt 0x0
	v_mul_f64_e32 v[2:3], v[18:19], v[22:23]
	v_mul_f64_e32 v[22:23], v[16:17], v[22:23]
	s_delay_alu instid0(VALU_DEP_1) | instskip(NEXT) | instid1(VALU_DEP_1)
	v_fmac_f64_e32 v[22:23], v[18:19], v[20:21]
	v_dual_fma_f64 v[2:3], v[16:17], v[20:21], -v[2:3] :: v_dual_mov_b32 v18, v22
	s_delay_alu instid0(VALU_DEP_1) | instskip(NEXT) | instid1(VALU_DEP_3)
	v_xor_b32_e32 v17, 0x80000000, v3
	v_xor_b32_e32 v19, 0x80000000, v23
	s_delay_alu instid0(VALU_DEP_3)
	v_mov_b32_e32 v16, v2
	ds_store_b128 v25, v[16:19]
	v_mov_b64_e32 v[16:17], v[2:3]
	v_mov_b64_e32 v[18:19], v[22:23]
.LBB174_294:                            ;   in Loop: Header=BB174_3 Depth=1
	s_or_b32 exec_lo, exec_lo, s0
	s_wait_dscnt 0x0
	s_barrier_signal -1
	s_barrier_wait -1
	s_barrier_signal -1
	s_barrier_wait -1
	s_and_saveexec_b32 s0, s3
; %bb.295:                              ;   in Loop: Header=BB174_3 Depth=1
	ds_store_b128 v53, v[16:19] offset:7872
; %bb.296:                              ;   in Loop: Header=BB174_3 Depth=1
	s_or_b32 exec_lo, exec_lo, s0
	s_wait_dscnt 0x0
	s_barrier_signal -1
	s_barrier_wait -1
	s_barrier_signal -1
	s_barrier_wait -1
	s_and_saveexec_b32 s0, s63
	s_cbranch_execz .LBB174_298
; %bb.297:                              ;   in Loop: Header=BB174_3 Depth=1
	ds_load_b128 v[16:19], v93
	s_wait_dscnt 0x0
	ds_store_b128 v181, v[16:19]
	ds_load_b128 v[16:19], v94
	s_wait_dscnt 0x0
	ds_store_b128 v182, v[16:19]
.LBB174_298:                            ;   in Loop: Header=BB174_3 Depth=1
	s_or_b32 exec_lo, exec_lo, s0
	s_wait_dscnt 0x0
	s_barrier_signal -1
	s_barrier_wait -1
	s_and_saveexec_b32 s0, s31
	s_cbranch_execz .LBB174_300
; %bb.299:                              ;   in Loop: Header=BB174_3 Depth=1
	ds_load_b128 v[16:19], v1 offset:6864
	ds_load_b128 v[20:23], v1 offset:6336
	s_wait_dscnt 0x0
	v_mul_f64_e32 v[2:3], v[18:19], v[22:23]
	v_mul_f64_e32 v[46:47], v[16:17], v[22:23]
	s_delay_alu instid0(VALU_DEP_2) | instskip(NEXT) | instid1(VALU_DEP_2)
	v_fma_f64 v[2:3], v[16:17], v[20:21], -v[2:3]
	v_fmac_f64_e32 v[46:47], v[18:19], v[20:21]
	ds_load_b128 v[16:19], v1 offset:6848
	s_wait_dscnt 0x0
	v_mul_f64_e32 v[22:23], v[2:3], v[18:19]
	v_mul_f64_e32 v[20:21], v[46:47], v[18:19]
	s_delay_alu instid0(VALU_DEP_2) | instskip(NEXT) | instid1(VALU_DEP_2)
	v_fmac_f64_e32 v[22:23], v[16:17], v[46:47]
	v_fma_f64 v[20:21], v[16:17], v[2:3], -v[20:21]
	ds_store_b128 v1, v[20:23] offset:6848
	ds_store_b128 v1, v[20:23] offset:6352
.LBB174_300:                            ;   in Loop: Header=BB174_3 Depth=1
	s_or_b32 exec_lo, exec_lo, s0
	v_mov_b64_e32 v[18:19], 0
	v_mov_b64_e32 v[16:17], 0
	s_wait_dscnt 0x0
	s_barrier_signal -1
	s_barrier_wait -1
	global_wb scope:SCOPE_DEV
	s_wait_storecnt 0x0
	global_inv scope:SCOPE_DEV
	s_and_saveexec_b32 s0, s6
	s_cbranch_execz .LBB174_306
; %bb.301:                              ;   in Loop: Header=BB174_3 Depth=1
	ds_load_b128 v[16:19], v59 offset:7872
	ds_load_b128 v[20:23], v58 offset:6272
	s_wait_dscnt 0x0
	v_mul_f64_e32 v[2:3], v[18:19], v[22:23]
	v_mul_f64_e32 v[22:23], v[16:17], v[22:23]
	s_delay_alu instid0(VALU_DEP_2) | instskip(NEXT) | instid1(VALU_DEP_2)
	v_fma_f64 v[2:3], v[16:17], v[20:21], -v[2:3]
	v_fmac_f64_e32 v[22:23], v[18:19], v[20:21]
	s_delay_alu instid0(VALU_DEP_2) | instskip(NEXT) | instid1(VALU_DEP_2)
	v_add_f64_e32 v[16:17], 0, v[2:3]
	v_add_f64_e32 v[18:19], 0, v[22:23]
	s_and_saveexec_b32 s1, s7
	s_cbranch_execnz .LBB174_564
; %bb.302:                              ;   in Loop: Header=BB174_3 Depth=1
	s_or_b32 exec_lo, exec_lo, s1
	s_and_saveexec_b32 s1, s14
	s_cbranch_execnz .LBB174_565
.LBB174_303:                            ;   in Loop: Header=BB174_3 Depth=1
	s_or_b32 exec_lo, exec_lo, s1
	s_and_saveexec_b32 s1, s3
	s_cbranch_execz .LBB174_305
.LBB174_304:                            ;   in Loop: Header=BB174_3 Depth=1
	ds_load_b128 v[20:23], v1 offset:7920
	ds_load_b128 v[208:211], v56 offset:7808
	s_wait_dscnt 0x0
	v_mul_f64_e32 v[2:3], v[22:23], v[210:211]
	s_delay_alu instid0(VALU_DEP_1) | instskip(SKIP_1) | instid1(VALU_DEP_2)
	v_fma_f64 v[2:3], v[20:21], v[208:209], -v[2:3]
	v_mul_f64_e32 v[20:21], v[20:21], v[210:211]
	v_add_f64_e32 v[16:17], v[16:17], v[2:3]
	s_delay_alu instid0(VALU_DEP_2) | instskip(NEXT) | instid1(VALU_DEP_1)
	v_fmac_f64_e32 v[20:21], v[22:23], v[208:209]
	v_add_f64_e32 v[18:19], v[18:19], v[20:21]
.LBB174_305:                            ;   in Loop: Header=BB174_3 Depth=1
	s_or_b32 exec_lo, exec_lo, s1
.LBB174_306:                            ;   in Loop: Header=BB174_3 Depth=1
	s_delay_alu instid0(SALU_CYCLE_1)
	s_or_b32 exec_lo, exec_lo, s0
	s_and_saveexec_b32 s0, s64
	s_cbranch_execz .LBB174_308
; %bb.307:                              ;   in Loop: Header=BB174_3 Depth=1
	ds_load_b128 v[20:23], v1 offset:5808
	s_wait_dscnt 0x0
	v_mul_f64_e32 v[2:3], v[18:19], v[22:23]
	v_mul_f64_e32 v[22:23], v[16:17], v[22:23]
	s_delay_alu instid0(VALU_DEP_1) | instskip(NEXT) | instid1(VALU_DEP_1)
	v_fmac_f64_e32 v[22:23], v[18:19], v[20:21]
	v_dual_fma_f64 v[2:3], v[16:17], v[20:21], -v[2:3] :: v_dual_mov_b32 v18, v22
	s_delay_alu instid0(VALU_DEP_1) | instskip(NEXT) | instid1(VALU_DEP_3)
	v_xor_b32_e32 v17, 0x80000000, v3
	v_xor_b32_e32 v19, 0x80000000, v23
	s_delay_alu instid0(VALU_DEP_3)
	v_mov_b32_e32 v16, v2
	ds_store_b128 v57, v[16:19]
	v_mov_b64_e32 v[16:17], v[2:3]
	v_mov_b64_e32 v[18:19], v[22:23]
.LBB174_308:                            ;   in Loop: Header=BB174_3 Depth=1
	s_or_b32 exec_lo, exec_lo, s0
	s_wait_loadcnt_dscnt 0x0
	s_barrier_signal -1
	s_barrier_wait -1
	s_and_saveexec_b32 s0, s65
	s_cbranch_execz .LBB174_310
; %bb.309:                              ;   in Loop: Header=BB174_3 Depth=1
	ds_load_b128 v[20:23], v57
	ds_load_b128 v[208:211], v58 offset:5760
	s_wait_dscnt 0x0
	v_mul_f64_e32 v[2:3], v[22:23], v[210:211]
	s_delay_alu instid0(VALU_DEP_1) | instskip(SKIP_1) | instid1(VALU_DEP_2)
	v_fma_f64 v[2:3], v[20:21], v[208:209], -v[2:3]
	v_mul_f64_e32 v[20:21], v[20:21], v[210:211]
	v_add_f64_e64 v[16:17], v[16:17], -v[2:3]
	s_delay_alu instid0(VALU_DEP_2) | instskip(NEXT) | instid1(VALU_DEP_1)
	v_fmac_f64_e32 v[20:21], v[22:23], v[208:209]
	v_add_f64_e64 v[18:19], v[18:19], -v[20:21]
.LBB174_310:                            ;   in Loop: Header=BB174_3 Depth=1
	s_or_b32 exec_lo, exec_lo, s0
	s_barrier_signal -1
	s_barrier_wait -1
	s_and_saveexec_b32 s0, s66
	s_cbranch_execz .LBB174_312
; %bb.311:                              ;   in Loop: Header=BB174_3 Depth=1
	ds_load_b128 v[20:23], v1 offset:5280
	s_wait_dscnt 0x0
	v_mul_f64_e32 v[2:3], v[18:19], v[22:23]
	v_mul_f64_e32 v[22:23], v[16:17], v[22:23]
	s_delay_alu instid0(VALU_DEP_1) | instskip(NEXT) | instid1(VALU_DEP_1)
	v_fmac_f64_e32 v[22:23], v[18:19], v[20:21]
	v_dual_fma_f64 v[2:3], v[16:17], v[20:21], -v[2:3] :: v_dual_mov_b32 v18, v22
	s_delay_alu instid0(VALU_DEP_1) | instskip(NEXT) | instid1(VALU_DEP_3)
	v_xor_b32_e32 v17, 0x80000000, v3
	v_xor_b32_e32 v19, 0x80000000, v23
	s_delay_alu instid0(VALU_DEP_3)
	v_mov_b32_e32 v16, v2
	ds_store_b128 v57, v[16:19]
	v_mov_b64_e32 v[16:17], v[2:3]
	v_mov_b64_e32 v[18:19], v[22:23]
.LBB174_312:                            ;   in Loop: Header=BB174_3 Depth=1
	s_or_b32 exec_lo, exec_lo, s0
	s_wait_dscnt 0x0
	s_barrier_signal -1
	s_barrier_wait -1
	s_and_saveexec_b32 s0, s67
	s_cbranch_execz .LBB174_314
; %bb.313:                              ;   in Loop: Header=BB174_3 Depth=1
	ds_load_b128 v[20:23], v57
	ds_load_b128 v[208:211], v58 offset:5248
	s_wait_dscnt 0x0
	v_mul_f64_e32 v[2:3], v[22:23], v[210:211]
	s_delay_alu instid0(VALU_DEP_1) | instskip(SKIP_1) | instid1(VALU_DEP_2)
	v_fma_f64 v[2:3], v[20:21], v[208:209], -v[2:3]
	v_mul_f64_e32 v[20:21], v[20:21], v[210:211]
	v_add_f64_e64 v[16:17], v[16:17], -v[2:3]
	s_delay_alu instid0(VALU_DEP_2) | instskip(NEXT) | instid1(VALU_DEP_1)
	v_fmac_f64_e32 v[20:21], v[22:23], v[208:209]
	v_add_f64_e64 v[18:19], v[18:19], -v[20:21]
.LBB174_314:                            ;   in Loop: Header=BB174_3 Depth=1
	s_or_b32 exec_lo, exec_lo, s0
	s_barrier_signal -1
	s_barrier_wait -1
	s_and_saveexec_b32 s0, s68
	s_cbranch_execz .LBB174_316
; %bb.315:                              ;   in Loop: Header=BB174_3 Depth=1
	ds_load_b128 v[20:23], v1 offset:4752
	s_wait_dscnt 0x0
	v_mul_f64_e32 v[2:3], v[18:19], v[22:23]
	v_mul_f64_e32 v[22:23], v[16:17], v[22:23]
	s_delay_alu instid0(VALU_DEP_1) | instskip(NEXT) | instid1(VALU_DEP_1)
	v_fmac_f64_e32 v[22:23], v[18:19], v[20:21]
	v_dual_fma_f64 v[2:3], v[16:17], v[20:21], -v[2:3] :: v_dual_mov_b32 v18, v22
	s_delay_alu instid0(VALU_DEP_1) | instskip(NEXT) | instid1(VALU_DEP_3)
	v_xor_b32_e32 v17, 0x80000000, v3
	v_xor_b32_e32 v19, 0x80000000, v23
	s_delay_alu instid0(VALU_DEP_3)
	v_mov_b32_e32 v16, v2
	ds_store_b128 v57, v[16:19]
	v_mov_b64_e32 v[16:17], v[2:3]
	v_mov_b64_e32 v[18:19], v[22:23]
.LBB174_316:                            ;   in Loop: Header=BB174_3 Depth=1
	s_or_b32 exec_lo, exec_lo, s0
	s_wait_dscnt 0x0
	;; [unrolled: 41-line block ×3, first 2 shown]
	s_barrier_signal -1
	s_barrier_wait -1
	s_barrier_signal -1
	s_barrier_wait -1
	s_and_saveexec_b32 s0, s6
; %bb.321:                              ;   in Loop: Header=BB174_3 Depth=1
	ds_store_b128 v60, v[16:19] offset:7808
; %bb.322:                              ;   in Loop: Header=BB174_3 Depth=1
	s_or_b32 exec_lo, exec_lo, s0
	s_wait_dscnt 0x0
	s_barrier_signal -1
	s_barrier_wait -1
	s_barrier_signal -1
	s_barrier_wait -1
	s_and_saveexec_b32 s0, s70
	s_cbranch_execz .LBB174_324
; %bb.323:                              ;   in Loop: Header=BB174_3 Depth=1
	ds_load_b128 v[16:19], v110
	s_wait_dscnt 0x0
	ds_store_b128 v183, v[16:19]
	ds_load_b128 v[16:19], v113
	s_wait_dscnt 0x0
	ds_store_b128 v186, v[16:19]
	;; [unrolled: 3-line block ×4, first 2 shown]
.LBB174_324:                            ;   in Loop: Header=BB174_3 Depth=1
	s_or_b32 exec_lo, exec_lo, s0
	s_wait_dscnt 0x0
	s_barrier_signal -1
	s_barrier_wait -1
	s_and_saveexec_b32 s0, s31
	s_cbranch_execz .LBB174_326
; %bb.325:                              ;   in Loop: Header=BB174_3 Depth=1
	ds_load_b128 v[16:19], v1 offset:5808
	ds_load_b128 v[20:23], v1 offset:5280
	s_wait_dscnt 0x0
	v_mul_f64_e32 v[2:3], v[18:19], v[22:23]
	v_mul_f64_e32 v[46:47], v[16:17], v[22:23]
	s_delay_alu instid0(VALU_DEP_2) | instskip(NEXT) | instid1(VALU_DEP_2)
	v_fma_f64 v[2:3], v[16:17], v[20:21], -v[2:3]
	v_fmac_f64_e32 v[46:47], v[18:19], v[20:21]
	ds_load_b128 v[16:19], v1 offset:5792
	s_wait_dscnt 0x0
	v_mul_f64_e32 v[22:23], v[2:3], v[18:19]
	v_mul_f64_e32 v[20:21], v[46:47], v[18:19]
	s_delay_alu instid0(VALU_DEP_2) | instskip(NEXT) | instid1(VALU_DEP_2)
	v_fmac_f64_e32 v[22:23], v[16:17], v[46:47]
	v_fma_f64 v[20:21], v[16:17], v[2:3], -v[20:21]
	ds_store_b128 v1, v[20:23] offset:5792
	ds_store_b128 v1, v[20:23] offset:5296
.LBB174_326:                            ;   in Loop: Header=BB174_3 Depth=1
	s_or_b32 exec_lo, exec_lo, s0
	v_mov_b64_e32 v[16:17], 0
	v_mov_b64_e32 v[18:19], 0
	s_wait_dscnt 0x0
	s_barrier_signal -1
	s_barrier_wait -1
	global_wb scope:SCOPE_DEV
	s_wait_storecnt 0x0
	global_inv scope:SCOPE_DEV
	s_and_saveexec_b32 s0, s3
	s_cbranch_execz .LBB174_330
; %bb.327:                              ;   in Loop: Header=BB174_3 Depth=1
	ds_load_b128 v[16:19], v51 offset:5792
	ds_load_b128 v[20:23], v50 offset:5248
	s_wait_dscnt 0x0
	v_mul_f64_e32 v[2:3], v[18:19], v[22:23]
	v_mul_f64_e32 v[22:23], v[16:17], v[22:23]
	s_delay_alu instid0(VALU_DEP_2) | instskip(NEXT) | instid1(VALU_DEP_2)
	v_fma_f64 v[2:3], v[16:17], v[20:21], -v[2:3]
	v_fmac_f64_e32 v[22:23], v[18:19], v[20:21]
	s_delay_alu instid0(VALU_DEP_2) | instskip(NEXT) | instid1(VALU_DEP_2)
	v_add_f64_e32 v[16:17], 0, v[2:3]
	v_add_f64_e32 v[18:19], 0, v[22:23]
	s_and_saveexec_b32 s1, s4
	s_cbranch_execz .LBB174_329
; %bb.328:                              ;   in Loop: Header=BB174_3 Depth=1
	ds_load_b128 v[20:23], v1 offset:5808
	ds_load_b128 v[208:211], v107 offset:5760
	s_wait_dscnt 0x0
	v_mul_f64_e32 v[2:3], v[22:23], v[210:211]
	s_delay_alu instid0(VALU_DEP_1) | instskip(SKIP_1) | instid1(VALU_DEP_2)
	v_fma_f64 v[2:3], v[20:21], v[208:209], -v[2:3]
	v_mul_f64_e32 v[20:21], v[20:21], v[210:211]
	v_add_f64_e32 v[16:17], v[16:17], v[2:3]
	s_delay_alu instid0(VALU_DEP_2) | instskip(NEXT) | instid1(VALU_DEP_1)
	v_fmac_f64_e32 v[20:21], v[22:23], v[208:209]
	v_add_f64_e32 v[18:19], v[18:19], v[20:21]
.LBB174_329:                            ;   in Loop: Header=BB174_3 Depth=1
	s_or_b32 exec_lo, exec_lo, s1
.LBB174_330:                            ;   in Loop: Header=BB174_3 Depth=1
	s_delay_alu instid0(SALU_CYCLE_1)
	s_or_b32 exec_lo, exec_lo, s0
	s_and_saveexec_b32 s0, s61
	s_cbranch_execz .LBB174_332
; %bb.331:                              ;   in Loop: Header=BB174_3 Depth=1
	ds_load_b128 v[20:23], v1 offset:4752
	s_wait_dscnt 0x0
	v_mul_f64_e32 v[2:3], v[18:19], v[22:23]
	v_mul_f64_e32 v[22:23], v[16:17], v[22:23]
	s_delay_alu instid0(VALU_DEP_1) | instskip(NEXT) | instid1(VALU_DEP_1)
	v_fmac_f64_e32 v[22:23], v[18:19], v[20:21]
	v_dual_fma_f64 v[2:3], v[16:17], v[20:21], -v[2:3] :: v_dual_mov_b32 v18, v22
	s_delay_alu instid0(VALU_DEP_1) | instskip(NEXT) | instid1(VALU_DEP_3)
	v_xor_b32_e32 v17, 0x80000000, v3
	v_xor_b32_e32 v19, 0x80000000, v23
	s_delay_alu instid0(VALU_DEP_3)
	v_mov_b32_e32 v16, v2
	ds_store_b128 v25, v[16:19]
	v_mov_b64_e32 v[16:17], v[2:3]
	v_mov_b64_e32 v[18:19], v[22:23]
.LBB174_332:                            ;   in Loop: Header=BB174_3 Depth=1
	s_or_b32 exec_lo, exec_lo, s0
	s_wait_loadcnt_dscnt 0x0
	s_barrier_signal -1
	s_barrier_wait -1
	s_and_saveexec_b32 s0, s62
	s_cbranch_execz .LBB174_334
; %bb.333:                              ;   in Loop: Header=BB174_3 Depth=1
	ds_load_b128 v[20:23], v25
	ds_load_b128 v[208:211], v1 offset:4736
	s_wait_dscnt 0x0
	v_mul_f64_e32 v[2:3], v[22:23], v[210:211]
	s_delay_alu instid0(VALU_DEP_1) | instskip(SKIP_1) | instid1(VALU_DEP_2)
	v_fma_f64 v[2:3], v[20:21], v[208:209], -v[2:3]
	v_mul_f64_e32 v[20:21], v[20:21], v[210:211]
	v_add_f64_e64 v[16:17], v[16:17], -v[2:3]
	s_delay_alu instid0(VALU_DEP_2) | instskip(NEXT) | instid1(VALU_DEP_1)
	v_fmac_f64_e32 v[20:21], v[22:23], v[208:209]
	v_add_f64_e64 v[18:19], v[18:19], -v[20:21]
.LBB174_334:                            ;   in Loop: Header=BB174_3 Depth=1
	s_or_b32 exec_lo, exec_lo, s0
	s_barrier_signal -1
	s_barrier_wait -1
	s_and_saveexec_b32 s0, s62
	s_cbranch_execz .LBB174_336
; %bb.335:                              ;   in Loop: Header=BB174_3 Depth=1
	ds_load_b128 v[20:23], v1 offset:4224
	s_wait_dscnt 0x0
	v_mul_f64_e32 v[2:3], v[18:19], v[22:23]
	v_mul_f64_e32 v[22:23], v[16:17], v[22:23]
	s_delay_alu instid0(VALU_DEP_1) | instskip(NEXT) | instid1(VALU_DEP_1)
	v_fmac_f64_e32 v[22:23], v[18:19], v[20:21]
	v_dual_fma_f64 v[2:3], v[16:17], v[20:21], -v[2:3] :: v_dual_mov_b32 v18, v22
	s_delay_alu instid0(VALU_DEP_1) | instskip(NEXT) | instid1(VALU_DEP_3)
	v_xor_b32_e32 v17, 0x80000000, v3
	v_xor_b32_e32 v19, 0x80000000, v23
	s_delay_alu instid0(VALU_DEP_3)
	v_mov_b32_e32 v16, v2
	ds_store_b128 v25, v[16:19]
	v_mov_b64_e32 v[16:17], v[2:3]
	v_mov_b64_e32 v[18:19], v[22:23]
.LBB174_336:                            ;   in Loop: Header=BB174_3 Depth=1
	s_or_b32 exec_lo, exec_lo, s0
	s_wait_dscnt 0x0
	s_barrier_signal -1
	s_barrier_wait -1
	s_barrier_signal -1
	s_barrier_wait -1
	s_and_saveexec_b32 s0, s3
; %bb.337:                              ;   in Loop: Header=BB174_3 Depth=1
	ds_store_b128 v53, v[16:19] offset:5760
; %bb.338:                              ;   in Loop: Header=BB174_3 Depth=1
	s_or_b32 exec_lo, exec_lo, s0
	s_wait_dscnt 0x0
	s_barrier_signal -1
	s_barrier_wait -1
	s_barrier_signal -1
	s_barrier_wait -1
	s_and_saveexec_b32 s0, s63
	s_cbranch_execz .LBB174_340
; %bb.339:                              ;   in Loop: Header=BB174_3 Depth=1
	ds_load_b128 v[16:19], v123
	s_wait_dscnt 0x0
	ds_store_b128 v187, v[16:19]
	ds_load_b128 v[16:19], v124
	s_wait_dscnt 0x0
	ds_store_b128 v188, v[16:19]
.LBB174_340:                            ;   in Loop: Header=BB174_3 Depth=1
	s_or_b32 exec_lo, exec_lo, s0
	s_wait_dscnt 0x0
	s_barrier_signal -1
	s_barrier_wait -1
	s_and_saveexec_b32 s0, s31
	s_cbranch_execz .LBB174_342
; %bb.341:                              ;   in Loop: Header=BB174_3 Depth=1
	ds_load_b128 v[16:19], v1 offset:4752
	ds_load_b128 v[20:23], v1 offset:4224
	s_wait_dscnt 0x0
	v_mul_f64_e32 v[2:3], v[18:19], v[22:23]
	v_mul_f64_e32 v[46:47], v[16:17], v[22:23]
	s_delay_alu instid0(VALU_DEP_2) | instskip(NEXT) | instid1(VALU_DEP_2)
	v_fma_f64 v[2:3], v[16:17], v[20:21], -v[2:3]
	v_fmac_f64_e32 v[46:47], v[18:19], v[20:21]
	ds_load_b128 v[16:19], v1 offset:4736
	s_wait_dscnt 0x0
	v_mul_f64_e32 v[22:23], v[2:3], v[18:19]
	v_mul_f64_e32 v[20:21], v[46:47], v[18:19]
	s_delay_alu instid0(VALU_DEP_2) | instskip(NEXT) | instid1(VALU_DEP_2)
	v_fmac_f64_e32 v[22:23], v[16:17], v[46:47]
	v_fma_f64 v[20:21], v[16:17], v[2:3], -v[20:21]
	ds_store_b128 v1, v[20:23] offset:4736
	ds_store_b128 v1, v[20:23] offset:4240
.LBB174_342:                            ;   in Loop: Header=BB174_3 Depth=1
	s_or_b32 exec_lo, exec_lo, s0
	v_mov_b64_e32 v[18:19], 0
	v_mov_b64_e32 v[16:17], 0
	s_wait_dscnt 0x0
	s_barrier_signal -1
	s_barrier_wait -1
	global_wb scope:SCOPE_DEV
	s_wait_storecnt 0x0
	global_inv scope:SCOPE_DEV
	s_and_saveexec_b32 s0, s8
	s_cbranch_execz .LBB174_352
; %bb.343:                              ;   in Loop: Header=BB174_3 Depth=1
	ds_load_b128 v[16:19], v63 offset:7808
	ds_load_b128 v[20:23], v62 offset:4096
	s_wait_dscnt 0x0
	v_mul_f64_e32 v[2:3], v[18:19], v[22:23]
	v_mul_f64_e32 v[22:23], v[16:17], v[22:23]
	s_delay_alu instid0(VALU_DEP_2) | instskip(NEXT) | instid1(VALU_DEP_2)
	v_fma_f64 v[2:3], v[16:17], v[20:21], -v[2:3]
	v_fmac_f64_e32 v[22:23], v[18:19], v[20:21]
	s_delay_alu instid0(VALU_DEP_2) | instskip(NEXT) | instid1(VALU_DEP_2)
	v_add_f64_e32 v[16:17], 0, v[2:3]
	v_add_f64_e32 v[18:19], 0, v[22:23]
	s_and_saveexec_b32 s1, s15
	s_cbranch_execnz .LBB174_566
; %bb.344:                              ;   in Loop: Header=BB174_3 Depth=1
	s_or_b32 exec_lo, exec_lo, s1
	s_and_saveexec_b32 s1, s16
	s_cbranch_execnz .LBB174_567
.LBB174_345:                            ;   in Loop: Header=BB174_3 Depth=1
	s_or_b32 exec_lo, exec_lo, s1
	s_and_saveexec_b32 s1, s17
	s_cbranch_execnz .LBB174_568
.LBB174_346:                            ;   in Loop: Header=BB174_3 Depth=1
	s_or_b32 exec_lo, exec_lo, s1
	s_and_saveexec_b32 s1, s18
	s_cbranch_execnz .LBB174_569
.LBB174_347:                            ;   in Loop: Header=BB174_3 Depth=1
	s_or_b32 exec_lo, exec_lo, s1
	s_and_saveexec_b32 s1, s19
	s_cbranch_execnz .LBB174_570
.LBB174_348:                            ;   in Loop: Header=BB174_3 Depth=1
	s_or_b32 exec_lo, exec_lo, s1
	s_and_saveexec_b32 s1, s6
	s_cbranch_execnz .LBB174_571
.LBB174_349:                            ;   in Loop: Header=BB174_3 Depth=1
	s_or_b32 exec_lo, exec_lo, s1
	s_and_saveexec_b32 s1, s14
	s_cbranch_execz .LBB174_351
.LBB174_350:                            ;   in Loop: Header=BB174_3 Depth=1
	ds_load_b128 v[20:23], v1 offset:7920
	ds_load_b128 v[208:211], v52 offset:7680
	s_wait_dscnt 0x0
	v_mul_f64_e32 v[2:3], v[22:23], v[210:211]
	s_delay_alu instid0(VALU_DEP_1) | instskip(SKIP_1) | instid1(VALU_DEP_2)
	v_fma_f64 v[2:3], v[20:21], v[208:209], -v[2:3]
	v_mul_f64_e32 v[20:21], v[20:21], v[210:211]
	v_add_f64_e32 v[16:17], v[16:17], v[2:3]
	s_delay_alu instid0(VALU_DEP_2) | instskip(NEXT) | instid1(VALU_DEP_1)
	v_fmac_f64_e32 v[20:21], v[22:23], v[208:209]
	v_add_f64_e32 v[18:19], v[18:19], v[20:21]
.LBB174_351:                            ;   in Loop: Header=BB174_3 Depth=1
	s_or_b32 exec_lo, exec_lo, s1
.LBB174_352:                            ;   in Loop: Header=BB174_3 Depth=1
	s_delay_alu instid0(SALU_CYCLE_1)
	s_or_b32 exec_lo, exec_lo, s0
	s_and_saveexec_b32 s0, s71
	s_cbranch_execz .LBB174_354
; %bb.353:                              ;   in Loop: Header=BB174_3 Depth=1
	ds_load_b128 v[20:23], v1 offset:3696
	s_wait_dscnt 0x0
	v_mul_f64_e32 v[2:3], v[18:19], v[22:23]
	v_mul_f64_e32 v[22:23], v[16:17], v[22:23]
	s_delay_alu instid0(VALU_DEP_1) | instskip(NEXT) | instid1(VALU_DEP_1)
	v_fmac_f64_e32 v[22:23], v[18:19], v[20:21]
	v_dual_fma_f64 v[2:3], v[16:17], v[20:21], -v[2:3] :: v_dual_mov_b32 v18, v22
	s_delay_alu instid0(VALU_DEP_1) | instskip(NEXT) | instid1(VALU_DEP_3)
	v_xor_b32_e32 v17, 0x80000000, v3
	v_xor_b32_e32 v19, 0x80000000, v23
	s_delay_alu instid0(VALU_DEP_3)
	v_mov_b32_e32 v16, v2
	ds_store_b128 v61, v[16:19]
	v_mov_b64_e32 v[16:17], v[2:3]
	v_mov_b64_e32 v[18:19], v[22:23]
.LBB174_354:                            ;   in Loop: Header=BB174_3 Depth=1
	s_or_b32 exec_lo, exec_lo, s0
	s_wait_loadcnt_dscnt 0x0
	s_barrier_signal -1
	s_barrier_wait -1
	s_and_saveexec_b32 s0, s72
	s_cbranch_execz .LBB174_356
; %bb.355:                              ;   in Loop: Header=BB174_3 Depth=1
	ds_load_b128 v[20:23], v61
	ds_load_b128 v[208:211], v62 offset:3584
	s_wait_dscnt 0x0
	v_mul_f64_e32 v[2:3], v[22:23], v[210:211]
	s_delay_alu instid0(VALU_DEP_1) | instskip(SKIP_1) | instid1(VALU_DEP_2)
	v_fma_f64 v[2:3], v[20:21], v[208:209], -v[2:3]
	v_mul_f64_e32 v[20:21], v[20:21], v[210:211]
	v_add_f64_e64 v[16:17], v[16:17], -v[2:3]
	s_delay_alu instid0(VALU_DEP_2) | instskip(NEXT) | instid1(VALU_DEP_1)
	v_fmac_f64_e32 v[20:21], v[22:23], v[208:209]
	v_add_f64_e64 v[18:19], v[18:19], -v[20:21]
.LBB174_356:                            ;   in Loop: Header=BB174_3 Depth=1
	s_or_b32 exec_lo, exec_lo, s0
	s_barrier_signal -1
	s_barrier_wait -1
	s_and_saveexec_b32 s0, s73
	s_cbranch_execz .LBB174_358
; %bb.357:                              ;   in Loop: Header=BB174_3 Depth=1
	ds_load_b128 v[20:23], v1 offset:3168
	s_wait_dscnt 0x0
	v_mul_f64_e32 v[2:3], v[18:19], v[22:23]
	v_mul_f64_e32 v[22:23], v[16:17], v[22:23]
	s_delay_alu instid0(VALU_DEP_1) | instskip(NEXT) | instid1(VALU_DEP_1)
	v_fmac_f64_e32 v[22:23], v[18:19], v[20:21]
	v_dual_fma_f64 v[2:3], v[16:17], v[20:21], -v[2:3] :: v_dual_mov_b32 v18, v22
	s_delay_alu instid0(VALU_DEP_1) | instskip(NEXT) | instid1(VALU_DEP_3)
	v_xor_b32_e32 v17, 0x80000000, v3
	v_xor_b32_e32 v19, 0x80000000, v23
	s_delay_alu instid0(VALU_DEP_3)
	v_mov_b32_e32 v16, v2
	ds_store_b128 v61, v[16:19]
	v_mov_b64_e32 v[16:17], v[2:3]
	v_mov_b64_e32 v[18:19], v[22:23]
.LBB174_358:                            ;   in Loop: Header=BB174_3 Depth=1
	s_or_b32 exec_lo, exec_lo, s0
	s_wait_dscnt 0x0
	s_barrier_signal -1
	s_barrier_wait -1
	s_and_saveexec_b32 s0, s74
	s_cbranch_execz .LBB174_360
; %bb.359:                              ;   in Loop: Header=BB174_3 Depth=1
	ds_load_b128 v[20:23], v61
	ds_load_b128 v[208:211], v62 offset:3072
	s_wait_dscnt 0x0
	v_mul_f64_e32 v[2:3], v[22:23], v[210:211]
	s_delay_alu instid0(VALU_DEP_1) | instskip(SKIP_1) | instid1(VALU_DEP_2)
	v_fma_f64 v[2:3], v[20:21], v[208:209], -v[2:3]
	v_mul_f64_e32 v[20:21], v[20:21], v[210:211]
	v_add_f64_e64 v[16:17], v[16:17], -v[2:3]
	s_delay_alu instid0(VALU_DEP_2) | instskip(NEXT) | instid1(VALU_DEP_1)
	v_fmac_f64_e32 v[20:21], v[22:23], v[208:209]
	v_add_f64_e64 v[18:19], v[18:19], -v[20:21]
.LBB174_360:                            ;   in Loop: Header=BB174_3 Depth=1
	s_or_b32 exec_lo, exec_lo, s0
	s_barrier_signal -1
	s_barrier_wait -1
	s_and_saveexec_b32 s0, s75
	s_cbranch_execz .LBB174_362
; %bb.361:                              ;   in Loop: Header=BB174_3 Depth=1
	ds_load_b128 v[20:23], v1 offset:2640
	s_wait_dscnt 0x0
	v_mul_f64_e32 v[2:3], v[18:19], v[22:23]
	v_mul_f64_e32 v[22:23], v[16:17], v[22:23]
	s_delay_alu instid0(VALU_DEP_1) | instskip(NEXT) | instid1(VALU_DEP_1)
	v_fmac_f64_e32 v[22:23], v[18:19], v[20:21]
	v_dual_fma_f64 v[2:3], v[16:17], v[20:21], -v[2:3] :: v_dual_mov_b32 v18, v22
	s_delay_alu instid0(VALU_DEP_1) | instskip(NEXT) | instid1(VALU_DEP_3)
	v_xor_b32_e32 v17, 0x80000000, v3
	v_xor_b32_e32 v19, 0x80000000, v23
	s_delay_alu instid0(VALU_DEP_3)
	v_mov_b32_e32 v16, v2
	ds_store_b128 v61, v[16:19]
	v_mov_b64_e32 v[16:17], v[2:3]
	v_mov_b64_e32 v[18:19], v[22:23]
.LBB174_362:                            ;   in Loop: Header=BB174_3 Depth=1
	s_or_b32 exec_lo, exec_lo, s0
	s_wait_dscnt 0x0
	;; [unrolled: 41-line block ×6, first 2 shown]
	s_barrier_signal -1
	s_barrier_wait -1
	s_and_saveexec_b32 s0, s84
	s_cbranch_execz .LBB174_380
; %bb.379:                              ;   in Loop: Header=BB174_3 Depth=1
	ds_load_b128 v[20:23], v61
	ds_load_b128 v[208:211], v1 offset:512
	s_wait_dscnt 0x0
	v_mul_f64_e32 v[2:3], v[22:23], v[210:211]
	s_delay_alu instid0(VALU_DEP_1) | instskip(SKIP_1) | instid1(VALU_DEP_2)
	v_fma_f64 v[2:3], v[20:21], v[208:209], -v[2:3]
	v_mul_f64_e32 v[20:21], v[20:21], v[210:211]
	v_add_f64_e64 v[16:17], v[16:17], -v[2:3]
	s_delay_alu instid0(VALU_DEP_2) | instskip(NEXT) | instid1(VALU_DEP_1)
	v_fmac_f64_e32 v[20:21], v[22:23], v[208:209]
	v_add_f64_e64 v[18:19], v[18:19], -v[20:21]
.LBB174_380:                            ;   in Loop: Header=BB174_3 Depth=1
	s_or_b32 exec_lo, exec_lo, s0
	s_barrier_signal -1
	s_barrier_wait -1
	s_and_saveexec_b32 s0, s84
	s_cbranch_execz .LBB174_382
; %bb.381:                              ;   in Loop: Header=BB174_3 Depth=1
	ds_load_b128 v[20:23], v1
	s_wait_dscnt 0x0
	v_mul_f64_e32 v[2:3], v[18:19], v[22:23]
	v_mul_f64_e32 v[22:23], v[16:17], v[22:23]
	s_delay_alu instid0(VALU_DEP_1) | instskip(NEXT) | instid1(VALU_DEP_1)
	v_fmac_f64_e32 v[22:23], v[18:19], v[20:21]
	v_dual_fma_f64 v[2:3], v[16:17], v[20:21], -v[2:3] :: v_dual_mov_b32 v18, v22
	s_delay_alu instid0(VALU_DEP_1) | instskip(NEXT) | instid1(VALU_DEP_3)
	v_xor_b32_e32 v17, 0x80000000, v3
	v_xor_b32_e32 v19, 0x80000000, v23
	s_delay_alu instid0(VALU_DEP_3)
	v_mov_b32_e32 v16, v2
	ds_store_b128 v61, v[16:19]
	v_mov_b64_e32 v[16:17], v[2:3]
	v_mov_b64_e32 v[18:19], v[22:23]
.LBB174_382:                            ;   in Loop: Header=BB174_3 Depth=1
	s_or_b32 exec_lo, exec_lo, s0
	s_wait_dscnt 0x0
	s_barrier_signal -1
	s_barrier_wait -1
	s_barrier_signal -1
	s_barrier_wait -1
	s_and_saveexec_b32 s0, s8
; %bb.383:                              ;   in Loop: Header=BB174_3 Depth=1
	ds_store_b128 v64, v[16:19] offset:7680
; %bb.384:                              ;   in Loop: Header=BB174_3 Depth=1
	s_or_b32 exec_lo, exec_lo, s0
	s_wait_dscnt 0x0
	s_barrier_signal -1
	s_barrier_wait -1
	s_barrier_signal -1
	s_barrier_wait -1
	s_and_saveexec_b32 s0, s85
	s_cbranch_execz .LBB174_386
; %bb.385:                              ;   in Loop: Header=BB174_3 Depth=1
	ds_load_b128 v[16:19], v95
	s_wait_dscnt 0x0
	ds_store_b128 v189, v[16:19]
	ds_load_b128 v[16:19], v96
	s_wait_dscnt 0x0
	ds_store_b128 v190, v[16:19]
	;; [unrolled: 3-line block ×8, first 2 shown]
.LBB174_386:                            ;   in Loop: Header=BB174_3 Depth=1
	s_or_b32 exec_lo, exec_lo, s0
	s_wait_dscnt 0x0
	s_barrier_signal -1
	s_barrier_wait -1
	s_and_saveexec_b32 s0, s31
	s_cbranch_execz .LBB174_388
; %bb.387:                              ;   in Loop: Header=BB174_3 Depth=1
	ds_load_b128 v[16:19], v1 offset:3696
	ds_load_b128 v[20:23], v1 offset:3168
	s_wait_dscnt 0x0
	v_mul_f64_e32 v[2:3], v[18:19], v[22:23]
	v_mul_f64_e32 v[46:47], v[16:17], v[22:23]
	s_delay_alu instid0(VALU_DEP_2) | instskip(NEXT) | instid1(VALU_DEP_2)
	v_fma_f64 v[2:3], v[16:17], v[20:21], -v[2:3]
	v_fmac_f64_e32 v[46:47], v[18:19], v[20:21]
	ds_load_b128 v[16:19], v1 offset:3680
	s_wait_dscnt 0x0
	v_mul_f64_e32 v[22:23], v[2:3], v[18:19]
	v_mul_f64_e32 v[20:21], v[46:47], v[18:19]
	s_delay_alu instid0(VALU_DEP_2) | instskip(NEXT) | instid1(VALU_DEP_2)
	v_fmac_f64_e32 v[22:23], v[16:17], v[46:47]
	v_fma_f64 v[20:21], v[16:17], v[2:3], -v[20:21]
	ds_store_b128 v1, v[20:23] offset:3680
	ds_store_b128 v1, v[20:23] offset:3184
.LBB174_388:                            ;   in Loop: Header=BB174_3 Depth=1
	s_or_b32 exec_lo, exec_lo, s0
	v_mov_b64_e32 v[16:17], 0
	v_mov_b64_e32 v[18:19], 0
	s_wait_dscnt 0x0
	s_barrier_signal -1
	s_barrier_wait -1
	global_wb scope:SCOPE_DEV
	s_wait_storecnt 0x0
	global_inv scope:SCOPE_DEV
	s_and_saveexec_b32 s0, s3
	s_cbranch_execz .LBB174_392
; %bb.389:                              ;   in Loop: Header=BB174_3 Depth=1
	ds_load_b128 v[16:19], v51 offset:3680
	ds_load_b128 v[20:23], v50 offset:3136
	s_wait_dscnt 0x0
	v_mul_f64_e32 v[2:3], v[18:19], v[22:23]
	v_mul_f64_e32 v[22:23], v[16:17], v[22:23]
	s_delay_alu instid0(VALU_DEP_2) | instskip(NEXT) | instid1(VALU_DEP_2)
	v_fma_f64 v[2:3], v[16:17], v[20:21], -v[2:3]
	v_fmac_f64_e32 v[22:23], v[18:19], v[20:21]
	s_delay_alu instid0(VALU_DEP_2) | instskip(NEXT) | instid1(VALU_DEP_2)
	v_add_f64_e32 v[16:17], 0, v[2:3]
	v_add_f64_e32 v[18:19], 0, v[22:23]
	s_and_saveexec_b32 s1, s4
	s_cbranch_execz .LBB174_391
; %bb.390:                              ;   in Loop: Header=BB174_3 Depth=1
	ds_load_b128 v[20:23], v1 offset:3696
	ds_load_b128 v[208:211], v56 offset:3648
	s_wait_dscnt 0x0
	v_mul_f64_e32 v[2:3], v[22:23], v[210:211]
	s_delay_alu instid0(VALU_DEP_1) | instskip(SKIP_1) | instid1(VALU_DEP_2)
	v_fma_f64 v[2:3], v[20:21], v[208:209], -v[2:3]
	v_mul_f64_e32 v[20:21], v[20:21], v[210:211]
	v_add_f64_e32 v[16:17], v[16:17], v[2:3]
	s_delay_alu instid0(VALU_DEP_2) | instskip(NEXT) | instid1(VALU_DEP_1)
	v_fmac_f64_e32 v[20:21], v[22:23], v[208:209]
	v_add_f64_e32 v[18:19], v[18:19], v[20:21]
.LBB174_391:                            ;   in Loop: Header=BB174_3 Depth=1
	s_or_b32 exec_lo, exec_lo, s1
.LBB174_392:                            ;   in Loop: Header=BB174_3 Depth=1
	s_delay_alu instid0(SALU_CYCLE_1)
	s_or_b32 exec_lo, exec_lo, s0
	s_and_saveexec_b32 s0, s61
	s_cbranch_execz .LBB174_394
; %bb.393:                              ;   in Loop: Header=BB174_3 Depth=1
	ds_load_b128 v[20:23], v1 offset:2640
	s_wait_dscnt 0x0
	v_mul_f64_e32 v[2:3], v[18:19], v[22:23]
	v_mul_f64_e32 v[22:23], v[16:17], v[22:23]
	s_delay_alu instid0(VALU_DEP_1) | instskip(NEXT) | instid1(VALU_DEP_1)
	v_fmac_f64_e32 v[22:23], v[18:19], v[20:21]
	v_dual_fma_f64 v[2:3], v[16:17], v[20:21], -v[2:3] :: v_dual_mov_b32 v18, v22
	s_delay_alu instid0(VALU_DEP_1) | instskip(NEXT) | instid1(VALU_DEP_3)
	v_xor_b32_e32 v17, 0x80000000, v3
	v_xor_b32_e32 v19, 0x80000000, v23
	s_delay_alu instid0(VALU_DEP_3)
	v_mov_b32_e32 v16, v2
	ds_store_b128 v25, v[16:19]
	v_mov_b64_e32 v[16:17], v[2:3]
	v_mov_b64_e32 v[18:19], v[22:23]
.LBB174_394:                            ;   in Loop: Header=BB174_3 Depth=1
	s_or_b32 exec_lo, exec_lo, s0
	s_wait_loadcnt_dscnt 0x0
	s_barrier_signal -1
	s_barrier_wait -1
	s_and_saveexec_b32 s0, s62
	s_cbranch_execz .LBB174_396
; %bb.395:                              ;   in Loop: Header=BB174_3 Depth=1
	ds_load_b128 v[20:23], v25
	ds_load_b128 v[208:211], v1 offset:2624
	s_wait_dscnt 0x0
	v_mul_f64_e32 v[2:3], v[22:23], v[210:211]
	s_delay_alu instid0(VALU_DEP_1) | instskip(SKIP_1) | instid1(VALU_DEP_2)
	v_fma_f64 v[2:3], v[20:21], v[208:209], -v[2:3]
	v_mul_f64_e32 v[20:21], v[20:21], v[210:211]
	v_add_f64_e64 v[16:17], v[16:17], -v[2:3]
	s_delay_alu instid0(VALU_DEP_2) | instskip(NEXT) | instid1(VALU_DEP_1)
	v_fmac_f64_e32 v[20:21], v[22:23], v[208:209]
	v_add_f64_e64 v[18:19], v[18:19], -v[20:21]
.LBB174_396:                            ;   in Loop: Header=BB174_3 Depth=1
	s_or_b32 exec_lo, exec_lo, s0
	s_barrier_signal -1
	s_barrier_wait -1
	s_and_saveexec_b32 s0, s62
	s_cbranch_execz .LBB174_398
; %bb.397:                              ;   in Loop: Header=BB174_3 Depth=1
	ds_load_b128 v[20:23], v1 offset:2112
	s_wait_dscnt 0x0
	v_mul_f64_e32 v[2:3], v[18:19], v[22:23]
	v_mul_f64_e32 v[22:23], v[16:17], v[22:23]
	s_delay_alu instid0(VALU_DEP_1) | instskip(NEXT) | instid1(VALU_DEP_1)
	v_fmac_f64_e32 v[22:23], v[18:19], v[20:21]
	v_dual_fma_f64 v[2:3], v[16:17], v[20:21], -v[2:3] :: v_dual_mov_b32 v18, v22
	s_delay_alu instid0(VALU_DEP_1) | instskip(NEXT) | instid1(VALU_DEP_3)
	v_xor_b32_e32 v17, 0x80000000, v3
	v_xor_b32_e32 v19, 0x80000000, v23
	s_delay_alu instid0(VALU_DEP_3)
	v_mov_b32_e32 v16, v2
	ds_store_b128 v25, v[16:19]
	v_mov_b64_e32 v[16:17], v[2:3]
	v_mov_b64_e32 v[18:19], v[22:23]
.LBB174_398:                            ;   in Loop: Header=BB174_3 Depth=1
	s_or_b32 exec_lo, exec_lo, s0
	s_wait_dscnt 0x0
	s_barrier_signal -1
	s_barrier_wait -1
	s_barrier_signal -1
	s_barrier_wait -1
	s_and_saveexec_b32 s0, s3
; %bb.399:                              ;   in Loop: Header=BB174_3 Depth=1
	ds_store_b128 v53, v[16:19] offset:3648
; %bb.400:                              ;   in Loop: Header=BB174_3 Depth=1
	s_or_b32 exec_lo, exec_lo, s0
	s_wait_dscnt 0x0
	s_barrier_signal -1
	s_barrier_wait -1
	s_barrier_signal -1
	s_barrier_wait -1
	s_and_saveexec_b32 s0, s63
	s_cbranch_execz .LBB174_402
; %bb.401:                              ;   in Loop: Header=BB174_3 Depth=1
	ds_load_b128 v[16:19], v114
	s_wait_dscnt 0x0
	ds_store_b128 v197, v[16:19]
	ds_load_b128 v[16:19], v115
	s_wait_dscnt 0x0
	ds_store_b128 v198, v[16:19]
.LBB174_402:                            ;   in Loop: Header=BB174_3 Depth=1
	s_or_b32 exec_lo, exec_lo, s0
	s_wait_dscnt 0x0
	s_barrier_signal -1
	s_barrier_wait -1
	s_and_saveexec_b32 s0, s31
	s_cbranch_execz .LBB174_404
; %bb.403:                              ;   in Loop: Header=BB174_3 Depth=1
	ds_load_b128 v[16:19], v1 offset:2640
	ds_load_b128 v[20:23], v1 offset:2112
	s_wait_dscnt 0x0
	v_mul_f64_e32 v[2:3], v[18:19], v[22:23]
	v_mul_f64_e32 v[46:47], v[16:17], v[22:23]
	s_delay_alu instid0(VALU_DEP_2) | instskip(NEXT) | instid1(VALU_DEP_2)
	v_fma_f64 v[2:3], v[16:17], v[20:21], -v[2:3]
	v_fmac_f64_e32 v[46:47], v[18:19], v[20:21]
	ds_load_b128 v[16:19], v1 offset:2624
	s_wait_dscnt 0x0
	v_mul_f64_e32 v[22:23], v[2:3], v[18:19]
	v_mul_f64_e32 v[20:21], v[46:47], v[18:19]
	s_delay_alu instid0(VALU_DEP_2) | instskip(NEXT) | instid1(VALU_DEP_2)
	v_fmac_f64_e32 v[22:23], v[16:17], v[46:47]
	v_fma_f64 v[20:21], v[16:17], v[2:3], -v[20:21]
	ds_store_b128 v1, v[20:23] offset:2624
	ds_store_b128 v1, v[20:23] offset:2128
.LBB174_404:                            ;   in Loop: Header=BB174_3 Depth=1
	s_or_b32 exec_lo, exec_lo, s0
	v_mov_b64_e32 v[18:19], 0
	v_mov_b64_e32 v[16:17], 0
	s_wait_dscnt 0x0
	s_barrier_signal -1
	s_barrier_wait -1
	global_wb scope:SCOPE_DEV
	s_wait_storecnt 0x0
	global_inv scope:SCOPE_DEV
	s_and_saveexec_b32 s0, s6
	s_cbranch_execz .LBB174_410
; %bb.405:                              ;   in Loop: Header=BB174_3 Depth=1
	ds_load_b128 v[16:19], v59 offset:3648
	ds_load_b128 v[20:23], v58 offset:2048
	s_wait_dscnt 0x0
	v_mul_f64_e32 v[2:3], v[18:19], v[22:23]
	v_mul_f64_e32 v[22:23], v[16:17], v[22:23]
	s_delay_alu instid0(VALU_DEP_2) | instskip(NEXT) | instid1(VALU_DEP_2)
	v_fma_f64 v[2:3], v[16:17], v[20:21], -v[2:3]
	v_fmac_f64_e32 v[22:23], v[18:19], v[20:21]
	s_delay_alu instid0(VALU_DEP_2) | instskip(NEXT) | instid1(VALU_DEP_2)
	v_add_f64_e32 v[16:17], 0, v[2:3]
	v_add_f64_e32 v[18:19], 0, v[22:23]
	s_and_saveexec_b32 s1, s7
	s_cbranch_execnz .LBB174_572
; %bb.406:                              ;   in Loop: Header=BB174_3 Depth=1
	s_or_b32 exec_lo, exec_lo, s1
	s_and_saveexec_b32 s1, s14
	s_cbranch_execnz .LBB174_573
.LBB174_407:                            ;   in Loop: Header=BB174_3 Depth=1
	s_or_b32 exec_lo, exec_lo, s1
	s_and_saveexec_b32 s1, s3
	s_cbranch_execz .LBB174_409
.LBB174_408:                            ;   in Loop: Header=BB174_3 Depth=1
	ds_load_b128 v[20:23], v1 offset:3696
	ds_load_b128 v[208:211], v107 offset:3584
	s_wait_dscnt 0x0
	v_mul_f64_e32 v[2:3], v[22:23], v[210:211]
	s_delay_alu instid0(VALU_DEP_1) | instskip(SKIP_1) | instid1(VALU_DEP_2)
	v_fma_f64 v[2:3], v[20:21], v[208:209], -v[2:3]
	v_mul_f64_e32 v[20:21], v[20:21], v[210:211]
	v_add_f64_e32 v[16:17], v[16:17], v[2:3]
	s_delay_alu instid0(VALU_DEP_2) | instskip(NEXT) | instid1(VALU_DEP_1)
	v_fmac_f64_e32 v[20:21], v[22:23], v[208:209]
	v_add_f64_e32 v[18:19], v[18:19], v[20:21]
.LBB174_409:                            ;   in Loop: Header=BB174_3 Depth=1
	s_or_b32 exec_lo, exec_lo, s1
.LBB174_410:                            ;   in Loop: Header=BB174_3 Depth=1
	s_delay_alu instid0(SALU_CYCLE_1)
	s_or_b32 exec_lo, exec_lo, s0
	s_and_saveexec_b32 s0, s64
	s_cbranch_execz .LBB174_412
; %bb.411:                              ;   in Loop: Header=BB174_3 Depth=1
	ds_load_b128 v[20:23], v1 offset:1584
	s_wait_dscnt 0x0
	v_mul_f64_e32 v[2:3], v[18:19], v[22:23]
	v_mul_f64_e32 v[22:23], v[16:17], v[22:23]
	s_delay_alu instid0(VALU_DEP_1) | instskip(NEXT) | instid1(VALU_DEP_1)
	v_fmac_f64_e32 v[22:23], v[18:19], v[20:21]
	v_dual_fma_f64 v[2:3], v[16:17], v[20:21], -v[2:3] :: v_dual_mov_b32 v18, v22
	s_delay_alu instid0(VALU_DEP_1) | instskip(NEXT) | instid1(VALU_DEP_3)
	v_xor_b32_e32 v17, 0x80000000, v3
	v_xor_b32_e32 v19, 0x80000000, v23
	s_delay_alu instid0(VALU_DEP_3)
	v_mov_b32_e32 v16, v2
	ds_store_b128 v57, v[16:19]
	v_mov_b64_e32 v[16:17], v[2:3]
	v_mov_b64_e32 v[18:19], v[22:23]
.LBB174_412:                            ;   in Loop: Header=BB174_3 Depth=1
	s_or_b32 exec_lo, exec_lo, s0
	s_wait_loadcnt_dscnt 0x0
	s_barrier_signal -1
	s_barrier_wait -1
	s_and_saveexec_b32 s0, s65
	s_cbranch_execz .LBB174_414
; %bb.413:                              ;   in Loop: Header=BB174_3 Depth=1
	ds_load_b128 v[20:23], v57
	ds_load_b128 v[208:211], v58 offset:1536
	s_wait_dscnt 0x0
	v_mul_f64_e32 v[2:3], v[22:23], v[210:211]
	s_delay_alu instid0(VALU_DEP_1) | instskip(SKIP_1) | instid1(VALU_DEP_2)
	v_fma_f64 v[2:3], v[20:21], v[208:209], -v[2:3]
	v_mul_f64_e32 v[20:21], v[20:21], v[210:211]
	v_add_f64_e64 v[16:17], v[16:17], -v[2:3]
	s_delay_alu instid0(VALU_DEP_2) | instskip(NEXT) | instid1(VALU_DEP_1)
	v_fmac_f64_e32 v[20:21], v[22:23], v[208:209]
	v_add_f64_e64 v[18:19], v[18:19], -v[20:21]
.LBB174_414:                            ;   in Loop: Header=BB174_3 Depth=1
	s_or_b32 exec_lo, exec_lo, s0
	s_barrier_signal -1
	s_barrier_wait -1
	s_and_saveexec_b32 s0, s66
	s_cbranch_execz .LBB174_416
; %bb.415:                              ;   in Loop: Header=BB174_3 Depth=1
	ds_load_b128 v[20:23], v1 offset:1056
	s_wait_dscnt 0x0
	v_mul_f64_e32 v[2:3], v[18:19], v[22:23]
	v_mul_f64_e32 v[22:23], v[16:17], v[22:23]
	s_delay_alu instid0(VALU_DEP_1) | instskip(NEXT) | instid1(VALU_DEP_1)
	v_fmac_f64_e32 v[22:23], v[18:19], v[20:21]
	v_dual_fma_f64 v[2:3], v[16:17], v[20:21], -v[2:3] :: v_dual_mov_b32 v18, v22
	s_delay_alu instid0(VALU_DEP_1) | instskip(NEXT) | instid1(VALU_DEP_3)
	v_xor_b32_e32 v17, 0x80000000, v3
	v_xor_b32_e32 v19, 0x80000000, v23
	s_delay_alu instid0(VALU_DEP_3)
	v_mov_b32_e32 v16, v2
	ds_store_b128 v57, v[16:19]
	v_mov_b64_e32 v[16:17], v[2:3]
	v_mov_b64_e32 v[18:19], v[22:23]
.LBB174_416:                            ;   in Loop: Header=BB174_3 Depth=1
	s_or_b32 exec_lo, exec_lo, s0
	s_wait_dscnt 0x0
	s_barrier_signal -1
	s_barrier_wait -1
	s_and_saveexec_b32 s0, s67
	s_cbranch_execz .LBB174_418
; %bb.417:                              ;   in Loop: Header=BB174_3 Depth=1
	ds_load_b128 v[20:23], v57
	ds_load_b128 v[208:211], v58 offset:1024
	s_wait_dscnt 0x0
	v_mul_f64_e32 v[2:3], v[22:23], v[210:211]
	s_delay_alu instid0(VALU_DEP_1) | instskip(SKIP_1) | instid1(VALU_DEP_2)
	v_fma_f64 v[2:3], v[20:21], v[208:209], -v[2:3]
	v_mul_f64_e32 v[20:21], v[20:21], v[210:211]
	v_add_f64_e64 v[16:17], v[16:17], -v[2:3]
	s_delay_alu instid0(VALU_DEP_2) | instskip(NEXT) | instid1(VALU_DEP_1)
	v_fmac_f64_e32 v[20:21], v[22:23], v[208:209]
	v_add_f64_e64 v[18:19], v[18:19], -v[20:21]
.LBB174_418:                            ;   in Loop: Header=BB174_3 Depth=1
	s_or_b32 exec_lo, exec_lo, s0
	s_barrier_signal -1
	s_barrier_wait -1
	s_and_saveexec_b32 s0, s68
	s_cbranch_execz .LBB174_420
; %bb.419:                              ;   in Loop: Header=BB174_3 Depth=1
	ds_load_b128 v[20:23], v1 offset:528
	s_wait_dscnt 0x0
	v_mul_f64_e32 v[2:3], v[18:19], v[22:23]
	v_mul_f64_e32 v[22:23], v[16:17], v[22:23]
	s_delay_alu instid0(VALU_DEP_1) | instskip(NEXT) | instid1(VALU_DEP_1)
	v_fmac_f64_e32 v[22:23], v[18:19], v[20:21]
	v_dual_fma_f64 v[2:3], v[16:17], v[20:21], -v[2:3] :: v_dual_mov_b32 v18, v22
	s_delay_alu instid0(VALU_DEP_1) | instskip(NEXT) | instid1(VALU_DEP_3)
	v_xor_b32_e32 v17, 0x80000000, v3
	v_xor_b32_e32 v19, 0x80000000, v23
	s_delay_alu instid0(VALU_DEP_3)
	v_mov_b32_e32 v16, v2
	ds_store_b128 v57, v[16:19]
	v_mov_b64_e32 v[16:17], v[2:3]
	v_mov_b64_e32 v[18:19], v[22:23]
.LBB174_420:                            ;   in Loop: Header=BB174_3 Depth=1
	s_or_b32 exec_lo, exec_lo, s0
	s_wait_dscnt 0x0
	s_barrier_signal -1
	s_barrier_wait -1
	s_and_saveexec_b32 s0, s69
	s_cbranch_execz .LBB174_422
; %bb.421:                              ;   in Loop: Header=BB174_3 Depth=1
	ds_load_b128 v[20:23], v57
	ds_load_b128 v[208:211], v1 offset:512
	s_wait_dscnt 0x0
	v_mul_f64_e32 v[2:3], v[22:23], v[210:211]
	s_delay_alu instid0(VALU_DEP_1) | instskip(SKIP_1) | instid1(VALU_DEP_2)
	v_fma_f64 v[2:3], v[20:21], v[208:209], -v[2:3]
	v_mul_f64_e32 v[20:21], v[20:21], v[210:211]
	v_add_f64_e64 v[16:17], v[16:17], -v[2:3]
	s_delay_alu instid0(VALU_DEP_2) | instskip(NEXT) | instid1(VALU_DEP_1)
	v_fmac_f64_e32 v[20:21], v[22:23], v[208:209]
	v_add_f64_e64 v[18:19], v[18:19], -v[20:21]
.LBB174_422:                            ;   in Loop: Header=BB174_3 Depth=1
	s_or_b32 exec_lo, exec_lo, s0
	s_barrier_signal -1
	s_barrier_wait -1
	s_and_saveexec_b32 s0, s69
	s_cbranch_execz .LBB174_424
; %bb.423:                              ;   in Loop: Header=BB174_3 Depth=1
	ds_load_b128 v[20:23], v1
	s_wait_dscnt 0x0
	v_mul_f64_e32 v[2:3], v[18:19], v[22:23]
	v_mul_f64_e32 v[22:23], v[16:17], v[22:23]
	s_delay_alu instid0(VALU_DEP_1) | instskip(NEXT) | instid1(VALU_DEP_1)
	v_fmac_f64_e32 v[22:23], v[18:19], v[20:21]
	v_dual_fma_f64 v[2:3], v[16:17], v[20:21], -v[2:3] :: v_dual_mov_b32 v18, v22
	s_delay_alu instid0(VALU_DEP_1) | instskip(NEXT) | instid1(VALU_DEP_3)
	v_xor_b32_e32 v17, 0x80000000, v3
	v_xor_b32_e32 v19, 0x80000000, v23
	s_delay_alu instid0(VALU_DEP_3)
	v_mov_b32_e32 v16, v2
	ds_store_b128 v57, v[16:19]
	v_mov_b64_e32 v[16:17], v[2:3]
	v_mov_b64_e32 v[18:19], v[22:23]
.LBB174_424:                            ;   in Loop: Header=BB174_3 Depth=1
	s_or_b32 exec_lo, exec_lo, s0
	s_wait_dscnt 0x0
	s_barrier_signal -1
	s_barrier_wait -1
	s_barrier_signal -1
	s_barrier_wait -1
	s_and_saveexec_b32 s0, s6
; %bb.425:                              ;   in Loop: Header=BB174_3 Depth=1
	ds_store_b128 v60, v[16:19] offset:3584
; %bb.426:                              ;   in Loop: Header=BB174_3 Depth=1
	s_or_b32 exec_lo, exec_lo, s0
	s_wait_dscnt 0x0
	s_barrier_signal -1
	s_barrier_wait -1
	s_barrier_signal -1
	s_barrier_wait -1
	s_and_saveexec_b32 s0, s70
	s_cbranch_execz .LBB174_428
; %bb.427:                              ;   in Loop: Header=BB174_3 Depth=1
	ds_load_b128 v[16:19], v125
	s_wait_dscnt 0x0
	ds_store_b128 v199, v[16:19]
	ds_load_b128 v[16:19], v128
	s_wait_dscnt 0x0
	ds_store_b128 v202, v[16:19]
	ds_load_b128 v[16:19], v127
	s_wait_dscnt 0x0
	ds_store_b128 v201, v[16:19]
	ds_load_b128 v[16:19], v126
	s_wait_dscnt 0x0
	ds_store_b128 v200, v[16:19]
.LBB174_428:                            ;   in Loop: Header=BB174_3 Depth=1
	s_or_b32 exec_lo, exec_lo, s0
	s_wait_dscnt 0x0
	s_barrier_signal -1
	s_barrier_wait -1
	s_and_saveexec_b32 s0, s31
	s_cbranch_execz .LBB174_430
; %bb.429:                              ;   in Loop: Header=BB174_3 Depth=1
	ds_load_b128 v[16:19], v1 offset:1584
	ds_load_b128 v[20:23], v1 offset:1056
	s_wait_dscnt 0x0
	v_mul_f64_e32 v[2:3], v[18:19], v[22:23]
	v_mul_f64_e32 v[46:47], v[16:17], v[22:23]
	s_delay_alu instid0(VALU_DEP_2) | instskip(NEXT) | instid1(VALU_DEP_2)
	v_fma_f64 v[2:3], v[16:17], v[20:21], -v[2:3]
	v_fmac_f64_e32 v[46:47], v[18:19], v[20:21]
	ds_load_b128 v[16:19], v1 offset:1568
	s_wait_dscnt 0x0
	v_mul_f64_e32 v[22:23], v[2:3], v[18:19]
	v_mul_f64_e32 v[20:21], v[46:47], v[18:19]
	s_delay_alu instid0(VALU_DEP_2) | instskip(NEXT) | instid1(VALU_DEP_2)
	v_fmac_f64_e32 v[22:23], v[16:17], v[46:47]
	v_fma_f64 v[20:21], v[16:17], v[2:3], -v[20:21]
	ds_store_b128 v1, v[20:23] offset:1568
	ds_store_b128 v1, v[20:23] offset:1072
.LBB174_430:                            ;   in Loop: Header=BB174_3 Depth=1
	s_or_b32 exec_lo, exec_lo, s0
	v_mov_b64_e32 v[16:17], 0
	v_mov_b64_e32 v[18:19], 0
	s_wait_dscnt 0x0
	s_barrier_signal -1
	s_barrier_wait -1
	global_wb scope:SCOPE_DEV
	s_wait_storecnt 0x0
	global_inv scope:SCOPE_DEV
	s_and_saveexec_b32 s0, s3
	s_cbranch_execz .LBB174_434
; %bb.431:                              ;   in Loop: Header=BB174_3 Depth=1
	ds_load_b128 v[16:19], v51 offset:1568
	ds_load_b128 v[20:23], v50 offset:1024
	s_wait_dscnt 0x0
	v_mul_f64_e32 v[2:3], v[18:19], v[22:23]
	v_mul_f64_e32 v[22:23], v[16:17], v[22:23]
	s_delay_alu instid0(VALU_DEP_2) | instskip(NEXT) | instid1(VALU_DEP_2)
	v_fma_f64 v[2:3], v[16:17], v[20:21], -v[2:3]
	v_fmac_f64_e32 v[22:23], v[18:19], v[20:21]
	s_delay_alu instid0(VALU_DEP_2) | instskip(NEXT) | instid1(VALU_DEP_2)
	v_add_f64_e32 v[16:17], 0, v[2:3]
	v_add_f64_e32 v[18:19], 0, v[22:23]
	s_and_saveexec_b32 s1, s4
	s_cbranch_execz .LBB174_433
; %bb.432:                              ;   in Loop: Header=BB174_3 Depth=1
	ds_load_b128 v[20:23], v1 offset:1584
	ds_load_b128 v[208:211], v118 offset:1536
	s_wait_dscnt 0x0
	v_mul_f64_e32 v[2:3], v[22:23], v[210:211]
	s_delay_alu instid0(VALU_DEP_1) | instskip(SKIP_1) | instid1(VALU_DEP_2)
	v_fma_f64 v[2:3], v[20:21], v[208:209], -v[2:3]
	v_mul_f64_e32 v[20:21], v[20:21], v[210:211]
	v_add_f64_e32 v[16:17], v[16:17], v[2:3]
	s_delay_alu instid0(VALU_DEP_2) | instskip(NEXT) | instid1(VALU_DEP_1)
	v_fmac_f64_e32 v[20:21], v[22:23], v[208:209]
	v_add_f64_e32 v[18:19], v[18:19], v[20:21]
.LBB174_433:                            ;   in Loop: Header=BB174_3 Depth=1
	s_or_b32 exec_lo, exec_lo, s1
.LBB174_434:                            ;   in Loop: Header=BB174_3 Depth=1
	s_delay_alu instid0(SALU_CYCLE_1)
	s_or_b32 exec_lo, exec_lo, s0
	s_and_saveexec_b32 s0, s61
	s_cbranch_execz .LBB174_436
; %bb.435:                              ;   in Loop: Header=BB174_3 Depth=1
	ds_load_b128 v[20:23], v1 offset:528
	s_wait_dscnt 0x0
	v_mul_f64_e32 v[2:3], v[18:19], v[22:23]
	v_mul_f64_e32 v[22:23], v[16:17], v[22:23]
	s_delay_alu instid0(VALU_DEP_1) | instskip(NEXT) | instid1(VALU_DEP_1)
	v_fmac_f64_e32 v[22:23], v[18:19], v[20:21]
	v_dual_fma_f64 v[2:3], v[16:17], v[20:21], -v[2:3] :: v_dual_mov_b32 v18, v22
	s_delay_alu instid0(VALU_DEP_1) | instskip(NEXT) | instid1(VALU_DEP_3)
	v_xor_b32_e32 v17, 0x80000000, v3
	v_xor_b32_e32 v19, 0x80000000, v23
	s_delay_alu instid0(VALU_DEP_3)
	v_mov_b32_e32 v16, v2
	ds_store_b128 v25, v[16:19]
	v_mov_b64_e32 v[16:17], v[2:3]
	v_mov_b64_e32 v[18:19], v[22:23]
.LBB174_436:                            ;   in Loop: Header=BB174_3 Depth=1
	s_or_b32 exec_lo, exec_lo, s0
	s_wait_loadcnt_dscnt 0x0
	s_barrier_signal -1
	s_barrier_wait -1
	s_and_saveexec_b32 s0, s62
	s_cbranch_execz .LBB174_438
; %bb.437:                              ;   in Loop: Header=BB174_3 Depth=1
	ds_load_b128 v[20:23], v25
	ds_load_b128 v[208:211], v1 offset:512
	s_wait_dscnt 0x0
	v_mul_f64_e32 v[2:3], v[22:23], v[210:211]
	s_delay_alu instid0(VALU_DEP_1) | instskip(SKIP_1) | instid1(VALU_DEP_2)
	v_fma_f64 v[2:3], v[20:21], v[208:209], -v[2:3]
	v_mul_f64_e32 v[20:21], v[20:21], v[210:211]
	v_add_f64_e64 v[16:17], v[16:17], -v[2:3]
	s_delay_alu instid0(VALU_DEP_2) | instskip(NEXT) | instid1(VALU_DEP_1)
	v_fmac_f64_e32 v[20:21], v[22:23], v[208:209]
	v_add_f64_e64 v[18:19], v[18:19], -v[20:21]
.LBB174_438:                            ;   in Loop: Header=BB174_3 Depth=1
	s_or_b32 exec_lo, exec_lo, s0
	s_barrier_signal -1
	s_barrier_wait -1
	s_and_saveexec_b32 s0, s62
	s_cbranch_execz .LBB174_440
; %bb.439:                              ;   in Loop: Header=BB174_3 Depth=1
	ds_load_b128 v[20:23], v1
	s_wait_dscnt 0x0
	v_mul_f64_e32 v[2:3], v[18:19], v[22:23]
	v_mul_f64_e32 v[22:23], v[16:17], v[22:23]
	s_delay_alu instid0(VALU_DEP_1) | instskip(NEXT) | instid1(VALU_DEP_1)
	v_fmac_f64_e32 v[22:23], v[18:19], v[20:21]
	v_dual_fma_f64 v[2:3], v[16:17], v[20:21], -v[2:3] :: v_dual_mov_b32 v18, v22
	s_delay_alu instid0(VALU_DEP_1) | instskip(NEXT) | instid1(VALU_DEP_3)
	v_xor_b32_e32 v17, 0x80000000, v3
	v_xor_b32_e32 v19, 0x80000000, v23
	s_delay_alu instid0(VALU_DEP_3)
	v_mov_b32_e32 v16, v2
	ds_store_b128 v25, v[16:19]
	v_mov_b64_e32 v[16:17], v[2:3]
	v_mov_b64_e32 v[18:19], v[22:23]
.LBB174_440:                            ;   in Loop: Header=BB174_3 Depth=1
	s_or_b32 exec_lo, exec_lo, s0
	s_wait_dscnt 0x0
	s_barrier_signal -1
	s_barrier_wait -1
	s_barrier_signal -1
	s_barrier_wait -1
	s_and_saveexec_b32 s0, s3
; %bb.441:                              ;   in Loop: Header=BB174_3 Depth=1
	ds_store_b128 v53, v[16:19] offset:1536
; %bb.442:                              ;   in Loop: Header=BB174_3 Depth=1
	s_or_b32 exec_lo, exec_lo, s0
	s_wait_dscnt 0x0
	s_barrier_signal -1
	s_barrier_wait -1
	s_barrier_signal -1
	s_barrier_wait -1
	s_and_saveexec_b32 s0, s63
	s_cbranch_execz .LBB174_444
; %bb.443:                              ;   in Loop: Header=BB174_3 Depth=1
	ds_load_b128 v[16:19], v131
	s_wait_dscnt 0x0
	ds_store_b128 v137, v[16:19]
	ds_load_b128 v[16:19], v132
	s_wait_dscnt 0x0
	ds_store_b128 v138, v[16:19]
.LBB174_444:                            ;   in Loop: Header=BB174_3 Depth=1
	s_or_b32 exec_lo, exec_lo, s0
	s_wait_dscnt 0x0
	s_barrier_signal -1
	s_barrier_wait -1
	s_and_saveexec_b32 s0, s31
	s_cbranch_execz .LBB174_446
; %bb.445:                              ;   in Loop: Header=BB174_3 Depth=1
	ds_load_b128 v[16:19], v1 offset:528
	ds_load_b128 v[20:23], v1
	s_wait_dscnt 0x0
	v_mul_f64_e32 v[2:3], v[18:19], v[22:23]
	v_mul_f64_e32 v[46:47], v[16:17], v[22:23]
	s_delay_alu instid0(VALU_DEP_2) | instskip(NEXT) | instid1(VALU_DEP_2)
	v_fma_f64 v[2:3], v[16:17], v[20:21], -v[2:3]
	v_fmac_f64_e32 v[46:47], v[18:19], v[20:21]
	ds_load_b128 v[16:19], v1 offset:512
	s_wait_dscnt 0x0
	v_mul_f64_e32 v[22:23], v[2:3], v[18:19]
	v_mul_f64_e32 v[20:21], v[46:47], v[18:19]
	s_delay_alu instid0(VALU_DEP_2) | instskip(NEXT) | instid1(VALU_DEP_2)
	v_fmac_f64_e32 v[22:23], v[16:17], v[46:47]
	v_fma_f64 v[20:21], v[16:17], v[2:3], -v[20:21]
	ds_store_b128 v1, v[20:23] offset:512
	ds_store_b128 v1, v[20:23] offset:16
.LBB174_446:                            ;   in Loop: Header=BB174_3 Depth=1
	s_or_b32 exec_lo, exec_lo, s0
.LBB174_447:                            ;   in Loop: Header=BB174_3 Depth=1
	v_add_nc_u64_e32 v[20:21], s[44:45], v[44:45]
	v_mov_b64_e32 v[16:17], 0
	v_mov_b64_e32 v[18:19], 0
	s_wait_dscnt 0x0
	s_barrier_signal -1
	s_barrier_wait -1
	s_wait_xcnt 0x0
	s_and_saveexec_b32 s0, s34
	s_cbranch_execz .LBB174_449
; %bb.448:                              ;   in Loop: Header=BB174_3 Depth=1
	v_lshl_add_u64 v[2:3], v[32:33], 4, v[20:21]
	flat_load_b128 v[44:47], v[2:3]
	s_wait_loadcnt_dscnt 0x0
	v_mul_f64_e32 v[2:3], v[12:13], v[44:45]
	s_delay_alu instid0(VALU_DEP_1) | instskip(SKIP_1) | instid1(VALU_DEP_1)
	v_fma_f64 v[16:17], v[14:15], v[46:47], -v[2:3]
	v_mul_f64_e32 v[2:3], v[12:13], v[46:47]
	v_fma_f64 v[18:19], v[44:45], -v[14:15], -v[2:3]
.LBB174_449:                            ;   in Loop: Header=BB174_3 Depth=1
	s_or_b32 exec_lo, exec_lo, s0
	s_delay_alu instid0(SALU_CYCLE_1)
	s_and_not1_b32 vcc_lo, exec_lo, s86
	s_cbranch_vccnz .LBB174_472
; %bb.450:                              ;   in Loop: Header=BB174_3 Depth=1
	v_mov_b32_e32 v22, -1
	s_lshl_b64 s[0:1], s[38:39], 2
	s_delay_alu instid0(SALU_CYCLE_1)
	s_add_nc_u64 s[54:55], s[52:53], s[0:1]
	s_mov_b32 s1, 0
	s_branch .LBB174_453
.LBB174_451:                            ;   in Loop: Header=BB174_453 Depth=2
	ds_load_b128 v[44:47], v134 offset:256
	s_wait_loadcnt_dscnt 0x0
	v_mul_f64_e32 v[2:3], v[14:15], v[46:47]
	v_mul_f64_e32 v[14:15], v[14:15], v[44:45]
	s_delay_alu instid0(VALU_DEP_2) | instskip(NEXT) | instid1(VALU_DEP_2)
	v_fmac_f64_e32 v[2:3], v[12:13], v[44:45]
	v_fma_f64 v[12:13], v[12:13], v[46:47], -v[14:15]
	s_delay_alu instid0(VALU_DEP_2) | instskip(NEXT) | instid1(VALU_DEP_2)
	v_add_f64_e32 v[16:17], v[16:17], v[2:3]
	v_add_f64_e32 v[18:19], v[18:19], v[12:13]
.LBB174_452:                            ;   in Loop: Header=BB174_453 Depth=2
	s_or_b32 exec_lo, exec_lo, s0
	s_add_co_i32 s1, s1, 1
	s_delay_alu instid0(SALU_CYCLE_1)
	s_cmp_eq_u32 s1, s57
	s_cbranch_scc1 .LBB174_472
.LBB174_453:                            ;   Parent Loop BB174_3 Depth=1
                                        ; =>  This Loop Header: Depth=2
                                        ;       Child Loop BB174_455 Depth 3
	v_cmp_gt_i32_e32 vcc_lo, s1, v22
	s_and_b32 s89, s35, vcc_lo
	s_delay_alu instid0(SALU_CYCLE_1)
	s_and_saveexec_b32 s0, s89
	s_cbranch_execz .LBB174_456
; %bb.454:                              ;   in Loop: Header=BB174_453 Depth=2
	global_load_b32 v22, v1, s[54:55]
	s_wait_loadcnt 0x0
	v_cmp_le_i32_e32 vcc_lo, s1, v22
	s_cbranch_vccnz .LBB174_456
.LBB174_455:                            ;   Parent Loop BB174_3 Depth=1
                                        ;     Parent Loop BB174_453 Depth=2
                                        ; =>    This Inner Loop Header: Depth=3
	global_wb scope:SCOPE_DEV
	s_wait_storecnt 0x0
	global_inv scope:SCOPE_DEV
	global_load_b32 v22, v1, s[54:55]
	s_wait_loadcnt 0x0
	v_cmp_gt_i32_e32 vcc_lo, s1, v22
	s_cbranch_vccnz .LBB174_455
.LBB174_456:                            ;   in Loop: Header=BB174_453 Depth=2
	s_or_b32 exec_lo, exec_lo, s0
	s_lshl_b32 s0, s1, 5
	global_wb scope:SCOPE_DEV
	s_wait_storecnt 0x0
	global_inv scope:SCOPE_DEV
	s_wait_loadcnt 0x0
	s_barrier_signal -1
	s_barrier_wait -1
	s_and_saveexec_b32 s89, s36
	s_cbranch_execz .LBB174_461
; %bb.457:                              ;   in Loop: Header=BB174_453 Depth=2
	v_or_b32_e32 v0, s0, v26
	s_delay_alu instid0(VALU_DEP_1) | instskip(SKIP_1) | instid1(SALU_CYCLE_1)
	v_cmp_le_i32_e32 vcc_lo, s56, v0
	s_and_saveexec_b32 s90, vcc_lo
	s_xor_b32 vcc_lo, exec_lo, s90
; %bb.458:                              ;   in Loop: Header=BB174_453 Depth=2
	v_dual_mov_b32 v0, v1 :: v_dual_mov_b32 v2, v1
	v_mov_b32_e32 v3, v1
	ds_store_b128 v203, v[0:3]
; %bb.459:                              ;   in Loop: Header=BB174_453 Depth=2
	s_and_not1_saveexec_b32 s90, vcc_lo
	s_cbranch_execz .LBB174_461
; %bb.460:                              ;   in Loop: Header=BB174_453 Depth=2
	v_mul_u64_e32 v[2:3], s[46:47], v[0:1]
	s_delay_alu instid0(VALU_DEP_1)
	v_lshl_add_u64 v[2:3], v[2:3], 4, v[20:21]
	flat_load_b128 v[12:15], v[2:3]
	s_wait_loadcnt_dscnt 0x0
	ds_store_2addr_b64 v203, v[12:13], v[14:15] offset1:1
.LBB174_461:                            ;   in Loop: Header=BB174_453 Depth=2
	s_or_b32 exec_lo, exec_lo, s89
	v_add_nc_u32_e32 v0, s0, v48
	v_cmp_ne_u32_e32 vcc_lo, s1, v49
	s_wait_dscnt 0x0
	s_barrier_signal -1
	s_barrier_wait -1
	v_cmp_gt_i32_e64 s0, s56, v0
	v_lshl_add_u64 v[2:3], v[0:1], 4, v[42:43]
	v_cndmask_b32_e64 v23, 0, 1, vcc_lo
	s_and_b32 s89, s0, s2
	s_delay_alu instid0(SALU_CYCLE_1)
	s_and_saveexec_b32 s0, s89
	s_cbranch_execz .LBB174_467
; %bb.462:                              ;   in Loop: Header=BB174_453 Depth=2
	v_mov_b64_e32 v[12:13], v[4:5]
	s_and_not1_b32 vcc_lo, exec_lo, vcc_lo
	s_cbranch_vccnz .LBB174_464
; %bb.463:                              ;   in Loop: Header=BB174_453 Depth=2
	flat_load_b64 v[12:13], v[2:3]
.LBB174_464:                            ;   in Loop: Header=BB174_453 Depth=2
	v_cmp_ne_u32_e32 vcc_lo, 1, v23
	v_mov_b64_e32 v[14:15], v[6:7]
	s_cbranch_vccnz .LBB174_466
; %bb.465:                              ;   in Loop: Header=BB174_453 Depth=2
	flat_load_b64 v[14:15], v[2:3] offset:8
.LBB174_466:                            ;   in Loop: Header=BB174_453 Depth=2
	ds_load_b128 v[44:47], v134
	s_wait_loadcnt_dscnt 0x0
	v_mul_f64_e32 v[208:209], v[14:15], v[46:47]
	v_mul_f64_e32 v[14:15], v[14:15], v[44:45]
	s_delay_alu instid0(VALU_DEP_2) | instskip(NEXT) | instid1(VALU_DEP_2)
	v_fmac_f64_e32 v[208:209], v[12:13], v[44:45]
	v_fma_f64 v[12:13], v[12:13], v[46:47], -v[14:15]
	s_delay_alu instid0(VALU_DEP_2) | instskip(NEXT) | instid1(VALU_DEP_2)
	v_add_f64_e32 v[16:17], v[16:17], v[208:209]
	v_add_f64_e32 v[18:19], v[18:19], v[12:13]
.LBB174_467:                            ;   in Loop: Header=BB174_453 Depth=2
	s_or_b32 exec_lo, exec_lo, s0
	v_add_nc_u32_e32 v0, 16, v0
	s_delay_alu instid0(VALU_DEP_1) | instskip(SKIP_1) | instid1(SALU_CYCLE_1)
	v_cmp_gt_i32_e32 vcc_lo, s56, v0
	s_and_b32 s89, vcc_lo, s2
	s_and_saveexec_b32 s0, s89
	s_cbranch_execz .LBB174_452
; %bb.468:                              ;   in Loop: Header=BB174_453 Depth=2
	v_cmp_ne_u32_e32 vcc_lo, 1, v23
	v_mov_b64_e32 v[12:13], v[8:9]
	s_cbranch_vccnz .LBB174_470
; %bb.469:                              ;   in Loop: Header=BB174_453 Depth=2
	flat_load_b64 v[12:13], v[2:3] offset:256
.LBB174_470:                            ;   in Loop: Header=BB174_453 Depth=2
	v_cmp_ne_u32_e32 vcc_lo, 1, v23
	v_mov_b64_e32 v[14:15], v[10:11]
	s_cbranch_vccnz .LBB174_451
; %bb.471:                              ;   in Loop: Header=BB174_453 Depth=2
	flat_load_b64 v[14:15], v[2:3] offset:264
	s_branch .LBB174_451
.LBB174_472:                            ;   in Loop: Header=BB174_3 Depth=1
	ds_store_b128 v204, v[16:19]
	s_wait_dscnt 0x0
	s_barrier_signal -1
	s_barrier_wait -1
	s_and_saveexec_b32 s0, s5
	s_cbranch_execz .LBB174_474
; %bb.473:                              ;   in Loop: Header=BB174_3 Depth=1
	ds_load_b128 v[12:15], v205 offset:512
	s_wait_dscnt 0x0
	v_add_f64_e32 v[2:3], v[16:17], v[12:13]
	v_add_f64_e32 v[16:17], v[18:19], v[14:15]
	ds_load_b128 v[12:15], v205 offset:1024
	s_wait_dscnt 0x0
	v_add_f64_e32 v[2:3], v[2:3], v[12:13]
	v_add_f64_e32 v[16:17], v[16:17], v[14:15]
	;; [unrolled: 4-line block ×15, first 2 shown]
	s_delay_alu instid0(VALU_DEP_2) | instskip(NEXT) | instid1(VALU_DEP_2)
	v_xor_b32_e32 v0, 0x80000000, v3
	v_xor_b32_e32 v3, 0x80000000, v13
	s_delay_alu instid0(VALU_DEP_4) | instskip(NEXT) | instid1(VALU_DEP_4)
	v_cndmask_b32_e64 v16, v2, 0, s33
	v_cndmask_b32_e64 v18, v12, 0, s33
	s_delay_alu instid0(VALU_DEP_4) | instskip(NEXT) | instid1(VALU_DEP_4)
	v_cndmask_b32_e64 v17, v0, 0, s33
	v_cndmask_b32_e64 v19, v3, 0, s33
.LBB174_474:                            ;   in Loop: Header=BB174_3 Depth=1
	s_or_b32 exec_lo, exec_lo, s0
	s_delay_alu instid0(SALU_CYCLE_1)
	s_and_not1_b32 vcc_lo, exec_lo, s60
	s_cbranch_vccnz .LBB174_483
; %bb.475:                              ;   in Loop: Header=BB174_3 Depth=1
	s_and_saveexec_b32 s0, s5
; %bb.476:                              ;   in Loop: Header=BB174_3 Depth=1
	ds_store_b128 v206, v[16:19]
; %bb.477:                              ;   in Loop: Header=BB174_3 Depth=1
	s_or_b32 exec_lo, exec_lo, s0
	v_mov_b64_e32 v[12:13], 0
	v_mov_b64_e32 v[14:15], 0
	s_wait_dscnt 0x0
	s_barrier_signal -1
	s_barrier_wait -1
	s_and_saveexec_b32 s0, s10
	s_cbranch_execz .LBB174_479
; %bb.478:                              ;   in Loop: Header=BB174_3 Depth=1
	ds_load_b128 v[12:15], v134
	ds_load_b128 v[42:45], v139
	s_wait_dscnt 0x0
	v_mul_f64_e32 v[2:3], v[14:15], v[44:45]
	v_mul_f64_e32 v[22:23], v[12:13], v[44:45]
	s_delay_alu instid0(VALU_DEP_2) | instskip(NEXT) | instid1(VALU_DEP_2)
	v_fma_f64 v[2:3], v[12:13], v[42:43], -v[2:3]
	v_fmac_f64_e32 v[22:23], v[14:15], v[42:43]
	s_delay_alu instid0(VALU_DEP_2) | instskip(NEXT) | instid1(VALU_DEP_2)
	v_add_f64_e32 v[12:13], 0, v[2:3]
	v_add_f64_e32 v[14:15], 0, v[22:23]
.LBB174_479:                            ;   in Loop: Header=BB174_3 Depth=1
	s_or_b32 exec_lo, exec_lo, s0
	s_and_saveexec_b32 s0, s11
	s_cbranch_execz .LBB174_481
; %bb.480:                              ;   in Loop: Header=BB174_3 Depth=1
	ds_load_b128 v[42:45], v134 offset:256
	ds_load_b128 v[208:211], v139 offset:8192
	s_wait_dscnt 0x0
	v_mul_f64_e32 v[2:3], v[44:45], v[210:211]
	v_mul_f64_e32 v[22:23], v[42:43], v[210:211]
	s_delay_alu instid0(VALU_DEP_2) | instskip(NEXT) | instid1(VALU_DEP_2)
	v_fma_f64 v[2:3], v[42:43], v[208:209], -v[2:3]
	v_fmac_f64_e32 v[22:23], v[44:45], v[208:209]
	s_delay_alu instid0(VALU_DEP_2) | instskip(NEXT) | instid1(VALU_DEP_2)
	v_add_f64_e32 v[12:13], v[12:13], v[2:3]
	v_add_f64_e32 v[14:15], v[14:15], v[22:23]
.LBB174_481:                            ;   in Loop: Header=BB174_3 Depth=1
	s_or_b32 exec_lo, exec_lo, s0
	s_mov_b32 s1, 0
	s_mov_b32 s0, 0
	ds_store_b128 v204, v[12:15]
	s_wait_dscnt 0x0
	s_barrier_signal -1
	s_barrier_wait -1
                                        ; implicit-def: $vgpr2_vgpr3
                                        ; implicit-def: $vgpr22_vgpr23
	s_and_saveexec_b32 s54, s5
	s_cbranch_execz .LBB174_545
; %bb.482:                              ;   in Loop: Header=BB174_3 Depth=1
	ds_load_b128 v[42:45], v205 offset:512
	s_mov_b32 s0, exec_lo
	s_wait_dscnt 0x0
	v_add_f64_e32 v[2:3], v[12:13], v[42:43]
	v_add_f64_e32 v[22:23], v[14:15], v[44:45]
	ds_load_b128 v[12:15], v205 offset:1024
	s_wait_dscnt 0x0
	v_add_f64_e32 v[2:3], v[2:3], v[12:13]
	v_add_f64_e32 v[22:23], v[22:23], v[14:15]
	ds_load_b128 v[12:15], v205 offset:1536
	;; [unrolled: 4-line block ×14, first 2 shown]
	s_wait_dscnt 0x0
	v_add_f64_e32 v[22:23], v[2:3], v[12:13]
	v_add_f64_e32 v[2:3], v[42:43], v[14:15]
	s_or_b32 exec_lo, exec_lo, s54
	s_delay_alu instid0(SALU_CYCLE_1)
	s_and_b32 vcc_lo, exec_lo, s1
	s_cbranch_vccnz .LBB174_484
	s_branch .LBB174_546
.LBB174_483:                            ;   in Loop: Header=BB174_3 Depth=1
	s_mov_b32 s0, 0
                                        ; implicit-def: $vgpr2_vgpr3
                                        ; implicit-def: $vgpr22_vgpr23
	s_cbranch_execz .LBB174_546
.LBB174_484:                            ;   in Loop: Header=BB174_3 Depth=1
	v_dual_mov_b32 v0, v24 :: v_dual_mov_b32 v2, v27
	s_mov_b32 s1, 0
	s_branch .LBB174_486
.LBB174_485:                            ;   in Loop: Header=BB174_486 Depth=2
	s_or_b32 exec_lo, exec_lo, s54
	v_add_nc_u32_e32 v2, 0x400, v2
	v_add_nc_u32_e32 v0, -2, v0
	s_add_co_i32 s1, s1, 2
	s_delay_alu instid0(SALU_CYCLE_1)
	s_cmp_lg_u32 s1, 32
	s_barrier_signal -1
	s_barrier_wait -1
	s_cbranch_scc0 .LBB174_494
.LBB174_486:                            ;   Parent Loop BB174_3 Depth=1
                                        ; =>  This Inner Loop Header: Depth=2
	s_delay_alu instid0(VALU_DEP_1) | instskip(SKIP_1) | instid1(SALU_CYCLE_1)
	v_cmp_eq_u32_e32 vcc_lo, 0, v0
	s_and_b32 s55, s5, vcc_lo
	s_and_saveexec_b32 s54, s55
	s_cbranch_execz .LBB174_488
; %bb.487:                              ;   in Loop: Header=BB174_486 Depth=2
	ds_load_b128 v[12:15], v140
	s_wait_dscnt 0x0
	v_mul_f64_e32 v[22:23], v[18:19], v[14:15]
	v_mul_f64_e32 v[44:45], v[16:17], v[14:15]
	s_delay_alu instid0(VALU_DEP_2) | instskip(NEXT) | instid1(VALU_DEP_2)
	v_fma_f64 v[42:43], v[16:17], v[12:13], -v[22:23]
	v_fmac_f64_e32 v[44:45], v[18:19], v[12:13]
	s_delay_alu instid0(VALU_DEP_2) | instskip(NEXT) | instid1(VALU_DEP_2)
	v_mov_b64_e32 v[16:17], v[42:43]
	v_mov_b64_e32 v[18:19], v[44:45]
	ds_store_b128 v1, v[42:45] offset:25088
.LBB174_488:                            ;   in Loop: Header=BB174_486 Depth=2
	s_or_b32 exec_lo, exec_lo, s54
	v_cmp_lt_u32_e32 vcc_lo, s1, v24
	s_wait_dscnt 0x0
	s_barrier_signal -1
	s_barrier_wait -1
	s_and_b32 s55, s5, vcc_lo
	s_delay_alu instid0(SALU_CYCLE_1)
	s_and_saveexec_b32 s54, s55
	s_cbranch_execz .LBB174_490
; %bb.489:                              ;   in Loop: Header=BB174_486 Depth=2
	ds_load_b128 v[12:15], v1 offset:25088
	ds_load_b128 v[42:45], v2
	s_wait_dscnt 0x0
	v_mul_f64_e32 v[22:23], v[14:15], v[44:45]
	s_delay_alu instid0(VALU_DEP_1) | instskip(SKIP_1) | instid1(VALU_DEP_2)
	v_fma_f64 v[22:23], v[12:13], v[42:43], -v[22:23]
	v_mul_f64_e32 v[12:13], v[12:13], v[44:45]
	v_add_f64_e32 v[16:17], v[16:17], v[22:23]
	s_delay_alu instid0(VALU_DEP_2) | instskip(NEXT) | instid1(VALU_DEP_1)
	v_fmac_f64_e32 v[12:13], v[14:15], v[42:43]
	v_add_f64_e32 v[18:19], v[18:19], v[12:13]
.LBB174_490:                            ;   in Loop: Header=BB174_486 Depth=2
	s_or_b32 exec_lo, exec_lo, s54
	s_or_b32 s54, s1, 1
	s_delay_alu instid0(SALU_CYCLE_1) | instskip(SKIP_3) | instid1(SALU_CYCLE_1)
	v_cmp_eq_u32_e32 vcc_lo, s54, v24
	s_barrier_signal -1
	s_barrier_wait -1
	s_and_b32 s89, s5, vcc_lo
	s_and_saveexec_b32 s55, s89
	s_cbranch_execz .LBB174_492
; %bb.491:                              ;   in Loop: Header=BB174_486 Depth=2
	ds_load_b128 v[12:15], v140
	s_wait_dscnt 0x0
	v_mul_f64_e32 v[22:23], v[18:19], v[14:15]
	v_mul_f64_e32 v[44:45], v[16:17], v[14:15]
	s_delay_alu instid0(VALU_DEP_2) | instskip(NEXT) | instid1(VALU_DEP_2)
	v_fma_f64 v[42:43], v[16:17], v[12:13], -v[22:23]
	v_fmac_f64_e32 v[44:45], v[18:19], v[12:13]
	s_delay_alu instid0(VALU_DEP_2) | instskip(NEXT) | instid1(VALU_DEP_2)
	v_mov_b64_e32 v[16:17], v[42:43]
	v_mov_b64_e32 v[18:19], v[44:45]
	ds_store_b128 v1, v[42:45] offset:25088
.LBB174_492:                            ;   in Loop: Header=BB174_486 Depth=2
	s_or_b32 exec_lo, exec_lo, s55
	v_cmp_lt_u32_e32 vcc_lo, s54, v24
	s_wait_dscnt 0x0
	s_barrier_signal -1
	s_barrier_wait -1
	s_and_b32 s55, s5, vcc_lo
	s_delay_alu instid0(SALU_CYCLE_1)
	s_and_saveexec_b32 s54, s55
	s_cbranch_execz .LBB174_485
; %bb.493:                              ;   in Loop: Header=BB174_486 Depth=2
	ds_load_b128 v[12:15], v1 offset:25088
	ds_load_b128 v[42:45], v2 offset:512
	s_wait_dscnt 0x0
	v_mul_f64_e32 v[22:23], v[14:15], v[44:45]
	s_delay_alu instid0(VALU_DEP_1) | instskip(SKIP_1) | instid1(VALU_DEP_2)
	v_fma_f64 v[22:23], v[12:13], v[42:43], -v[22:23]
	v_mul_f64_e32 v[12:13], v[12:13], v[44:45]
	v_add_f64_e32 v[16:17], v[16:17], v[22:23]
	s_delay_alu instid0(VALU_DEP_2) | instskip(NEXT) | instid1(VALU_DEP_1)
	v_fmac_f64_e32 v[12:13], v[14:15], v[42:43]
	v_add_f64_e32 v[18:19], v[18:19], v[12:13]
	s_branch .LBB174_485
.LBB174_494:                            ;   in Loop: Header=BB174_3 Depth=1
	s_and_b32 vcc_lo, exec_lo, s59
	s_mov_b32 s1, -1
	s_cbranch_vccz .LBB174_496
; %bb.495:                              ;   in Loop: Header=BB174_3 Depth=1
	s_and_not1_b32 s0, s0, exec_lo
	s_and_b32 s54, s5, exec_lo
	s_mov_b32 s1, 0
	s_or_b32 s0, s0, s54
.LBB174_496:                            ;   in Loop: Header=BB174_3 Depth=1
	s_and_not1_b32 vcc_lo, exec_lo, s1
	s_cbranch_vccnz .LBB174_498
; %bb.497:                              ;   in Loop: Header=BB174_3 Depth=1
	v_readlane_b32 s1, v207, 6
	s_and_not1_b32 s0, s0, exec_lo
	s_and_b32 s1, s1, exec_lo
	s_delay_alu instid0(SALU_CYCLE_1)
	s_or_b32 s0, s0, s1
.LBB174_498:                            ;   in Loop: Header=BB174_3 Depth=1
	v_mov_b64_e32 v[2:3], v[38:39]
	s_and_saveexec_b32 s1, s0
	s_cbranch_execnz .LBB174_547
	s_branch .LBB174_548
.LBB174_499:                            ;   in Loop: Header=BB174_3 Depth=1
	s_mov_b32 s1, exec_lo
	v_readlane_b32 s54, v207, 7
	s_and_b32 s54, s1, s54
	s_delay_alu instid0(SALU_CYCLE_1)
	s_xor_b32 s1, s54, s1
	s_mov_b32 exec_lo, s54
	s_cbranch_execz .LBB174_503
; %bb.500:                              ;   in Loop: Header=BB174_3 Depth=1
	s_mov_b32 s54, exec_lo
	v_readlane_b32 s55, v207, 22
	s_and_b32 s55, s54, s55
	s_delay_alu instid0(SALU_CYCLE_1)
	s_mov_b32 exec_lo, s55
; %bb.501:                              ;   in Loop: Header=BB174_3 Depth=1
	v_dual_mov_b32 v0, v1 :: v_dual_mov_b32 v2, v1
	v_mov_b32_e32 v3, v1
	ds_store_b128 v141, v[0:3]
; %bb.502:                              ;   in Loop: Header=BB174_3 Depth=1
	s_or_b32 exec_lo, exec_lo, s54
.LBB174_503:                            ;   in Loop: Header=BB174_3 Depth=1
	s_and_not1_saveexec_b32 s1, s1
	s_cbranch_execz .LBB174_509
; %bb.504:                              ;   in Loop: Header=BB174_3 Depth=1
	v_lshl_add_u64 v[2:3], v[34:35], 4, v[46:47]
                                        ; implicit-def: $vgpr20_vgpr21
	flat_load_b128 v[16:19], v[2:3]
	s_wait_loadcnt_dscnt 0x0
	v_cmp_ngt_f64_e64 s54, |v[16:17]|, |v[18:19]|
	s_and_saveexec_b32 s55, s54
	s_delay_alu instid0(SALU_CYCLE_1)
	s_xor_b32 s54, exec_lo, s55
	s_cbranch_execz .LBB174_506
; %bb.505:                              ;   in Loop: Header=BB174_3 Depth=1
	v_div_scale_f64 v[2:3], null, -v[18:19], -v[18:19], v[16:17]
	v_div_scale_f64 v[208:209], vcc_lo, v[16:17], -v[18:19], v[16:17]
	s_delay_alu instid0(VALU_DEP_2) | instskip(SKIP_1) | instid1(TRANS32_DEP_1)
	v_rcp_f64_e32 v[20:21], v[2:3]
	v_nop
	v_fma_f64 v[22:23], -v[2:3], v[20:21], 1.0
	s_delay_alu instid0(VALU_DEP_1) | instskip(NEXT) | instid1(VALU_DEP_1)
	v_fmac_f64_e32 v[20:21], v[20:21], v[22:23]
	v_fma_f64 v[22:23], -v[2:3], v[20:21], 1.0
	s_delay_alu instid0(VALU_DEP_1) | instskip(NEXT) | instid1(VALU_DEP_1)
	v_fmac_f64_e32 v[20:21], v[20:21], v[22:23]
	v_mul_f64_e32 v[22:23], v[208:209], v[20:21]
	s_delay_alu instid0(VALU_DEP_1) | instskip(NEXT) | instid1(VALU_DEP_1)
	v_fma_f64 v[2:3], -v[2:3], v[22:23], v[208:209]
	v_div_fmas_f64 v[2:3], v[2:3], v[20:21], v[22:23]
	s_delay_alu instid0(VALU_DEP_1) | instskip(NEXT) | instid1(VALU_DEP_1)
	v_div_fixup_f64 v[2:3], v[2:3], -v[18:19], v[16:17]
	v_fma_f64 v[16:17], v[16:17], v[2:3], -v[18:19]
	s_delay_alu instid0(VALU_DEP_1) | instskip(NEXT) | instid1(VALU_DEP_1)
	v_div_scale_f64 v[18:19], null, v[16:17], v[16:17], 1.0
	v_rcp_f64_e32 v[20:21], v[18:19]
	v_nop
	s_delay_alu instid0(TRANS32_DEP_1) | instskip(NEXT) | instid1(VALU_DEP_1)
	v_fma_f64 v[22:23], -v[18:19], v[20:21], 1.0
	v_fmac_f64_e32 v[20:21], v[20:21], v[22:23]
	s_delay_alu instid0(VALU_DEP_1) | instskip(NEXT) | instid1(VALU_DEP_1)
	v_fma_f64 v[22:23], -v[18:19], v[20:21], 1.0
	v_fmac_f64_e32 v[20:21], v[20:21], v[22:23]
	v_div_scale_f64 v[22:23], vcc_lo, 1.0, v[16:17], 1.0
	s_delay_alu instid0(VALU_DEP_1) | instskip(NEXT) | instid1(VALU_DEP_1)
	v_mul_f64_e32 v[208:209], v[22:23], v[20:21]
	v_fma_f64 v[18:19], -v[18:19], v[208:209], v[22:23]
	s_delay_alu instid0(VALU_DEP_1) | instskip(NEXT) | instid1(VALU_DEP_1)
	v_div_fmas_f64 v[18:19], v[18:19], v[20:21], v[208:209]
	v_div_fixup_f64 v[22:23], v[18:19], v[16:17], 1.0
                                        ; implicit-def: $vgpr16_vgpr17
	s_delay_alu instid0(VALU_DEP_1)
	v_mul_f64_e32 v[20:21], v[2:3], v[22:23]
	v_xor_b32_e32 v23, 0x80000000, v23
.LBB174_506:                            ;   in Loop: Header=BB174_3 Depth=1
	s_and_not1_saveexec_b32 s54, s54
	s_cbranch_execz .LBB174_508
; %bb.507:                              ;   in Loop: Header=BB174_3 Depth=1
	v_div_scale_f64 v[2:3], null, v[16:17], v[16:17], -v[18:19]
	v_div_scale_f64 v[208:209], vcc_lo, -v[18:19], v[16:17], -v[18:19]
	s_delay_alu instid0(VALU_DEP_2) | instskip(SKIP_1) | instid1(TRANS32_DEP_1)
	v_rcp_f64_e32 v[20:21], v[2:3]
	v_nop
	v_fma_f64 v[22:23], -v[2:3], v[20:21], 1.0
	s_delay_alu instid0(VALU_DEP_1) | instskip(NEXT) | instid1(VALU_DEP_1)
	v_fmac_f64_e32 v[20:21], v[20:21], v[22:23]
	v_fma_f64 v[22:23], -v[2:3], v[20:21], 1.0
	s_delay_alu instid0(VALU_DEP_1) | instskip(NEXT) | instid1(VALU_DEP_1)
	v_fmac_f64_e32 v[20:21], v[20:21], v[22:23]
	v_mul_f64_e32 v[22:23], v[208:209], v[20:21]
	s_delay_alu instid0(VALU_DEP_1) | instskip(NEXT) | instid1(VALU_DEP_1)
	v_fma_f64 v[2:3], -v[2:3], v[22:23], v[208:209]
	v_div_fmas_f64 v[2:3], v[2:3], v[20:21], v[22:23]
	s_delay_alu instid0(VALU_DEP_1) | instskip(NEXT) | instid1(VALU_DEP_1)
	v_div_fixup_f64 v[2:3], v[2:3], v[16:17], -v[18:19]
	v_fma_f64 v[16:17], -v[18:19], v[2:3], v[16:17]
	s_delay_alu instid0(VALU_DEP_1) | instskip(NEXT) | instid1(VALU_DEP_1)
	v_div_scale_f64 v[18:19], null, v[16:17], v[16:17], 1.0
	v_rcp_f64_e32 v[20:21], v[18:19]
	v_nop
	s_delay_alu instid0(TRANS32_DEP_1) | instskip(NEXT) | instid1(VALU_DEP_1)
	v_fma_f64 v[22:23], -v[18:19], v[20:21], 1.0
	v_fmac_f64_e32 v[20:21], v[20:21], v[22:23]
	s_delay_alu instid0(VALU_DEP_1) | instskip(NEXT) | instid1(VALU_DEP_1)
	v_fma_f64 v[22:23], -v[18:19], v[20:21], 1.0
	v_fmac_f64_e32 v[20:21], v[20:21], v[22:23]
	v_div_scale_f64 v[22:23], vcc_lo, 1.0, v[16:17], 1.0
	s_delay_alu instid0(VALU_DEP_1) | instskip(NEXT) | instid1(VALU_DEP_1)
	v_mul_f64_e32 v[208:209], v[22:23], v[20:21]
	v_fma_f64 v[18:19], -v[18:19], v[208:209], v[22:23]
	s_delay_alu instid0(VALU_DEP_1) | instskip(NEXT) | instid1(VALU_DEP_1)
	v_div_fmas_f64 v[18:19], v[18:19], v[20:21], v[208:209]
	v_div_fixup_f64 v[20:21], v[18:19], v[16:17], 1.0
	s_delay_alu instid0(VALU_DEP_1)
	v_mul_f64_e64 v[22:23], v[2:3], -v[20:21]
.LBB174_508:                            ;   in Loop: Header=BB174_3 Depth=1
	s_or_b32 exec_lo, exec_lo, s54
	ds_store_b128 v141, v[20:23]
.LBB174_509:                            ;   in Loop: Header=BB174_3 Depth=1
	s_or_b32 exec_lo, exec_lo, s1
	s_and_not1_saveexec_b32 s0, s0
	s_cbranch_execz .LBB174_13
.LBB174_510:                            ;   in Loop: Header=BB174_3 Depth=1
	v_lshl_add_u64 v[2:3], v[34:35], 4, v[46:47]
	flat_load_b128 v[16:19], v[2:3]
	s_wait_loadcnt_dscnt 0x0
	v_xor_b32_e32 v17, 0x80000000, v17
	ds_store_b128 v141, v[16:19]
	s_or_b32 exec_lo, exec_lo, s0
	s_and_saveexec_b32 s0, s11
	s_delay_alu instid0(SALU_CYCLE_1)
	s_xor_b32 s0, exec_lo, s0
	s_cbranch_execz .LBB174_14
.LBB174_511:                            ;   in Loop: Header=BB174_3 Depth=1
	s_mov_b32 s1, exec_lo
	v_readlane_b32 s54, v207, 9
	s_and_b32 s54, s1, s54
	s_delay_alu instid0(SALU_CYCLE_1)
	s_xor_b32 s1, s54, s1
	s_mov_b32 exec_lo, s54
	s_cbranch_execz .LBB174_515
; %bb.512:                              ;   in Loop: Header=BB174_3 Depth=1
	s_mov_b32 s54, exec_lo
	v_readlane_b32 s55, v207, 23
	s_and_b32 s55, s54, s55
	s_delay_alu instid0(SALU_CYCLE_1)
	s_mov_b32 exec_lo, s55
; %bb.513:                              ;   in Loop: Header=BB174_3 Depth=1
	v_dual_mov_b32 v0, v1 :: v_dual_mov_b32 v2, v1
	v_mov_b32_e32 v3, v1
	ds_store_b128 v142, v[0:3]
; %bb.514:                              ;   in Loop: Header=BB174_3 Depth=1
	s_or_b32 exec_lo, exec_lo, s54
.LBB174_515:                            ;   in Loop: Header=BB174_3 Depth=1
	s_and_not1_saveexec_b32 s1, s1
	s_cbranch_execz .LBB174_521
; %bb.516:                              ;   in Loop: Header=BB174_3 Depth=1
	v_lshl_add_u64 v[2:3], v[36:37], 4, v[46:47]
                                        ; implicit-def: $vgpr20_vgpr21
	flat_load_b128 v[16:19], v[2:3]
	s_wait_loadcnt_dscnt 0x0
	v_cmp_ngt_f64_e64 s54, |v[16:17]|, |v[18:19]|
	s_and_saveexec_b32 s55, s54
	s_delay_alu instid0(SALU_CYCLE_1)
	s_xor_b32 s54, exec_lo, s55
	s_cbranch_execz .LBB174_518
; %bb.517:                              ;   in Loop: Header=BB174_3 Depth=1
	v_div_scale_f64 v[2:3], null, -v[18:19], -v[18:19], v[16:17]
	v_div_scale_f64 v[208:209], vcc_lo, v[16:17], -v[18:19], v[16:17]
	s_delay_alu instid0(VALU_DEP_2) | instskip(SKIP_1) | instid1(TRANS32_DEP_1)
	v_rcp_f64_e32 v[20:21], v[2:3]
	v_nop
	v_fma_f64 v[22:23], -v[2:3], v[20:21], 1.0
	s_delay_alu instid0(VALU_DEP_1) | instskip(NEXT) | instid1(VALU_DEP_1)
	v_fmac_f64_e32 v[20:21], v[20:21], v[22:23]
	v_fma_f64 v[22:23], -v[2:3], v[20:21], 1.0
	s_delay_alu instid0(VALU_DEP_1) | instskip(NEXT) | instid1(VALU_DEP_1)
	v_fmac_f64_e32 v[20:21], v[20:21], v[22:23]
	v_mul_f64_e32 v[22:23], v[208:209], v[20:21]
	s_delay_alu instid0(VALU_DEP_1) | instskip(NEXT) | instid1(VALU_DEP_1)
	v_fma_f64 v[2:3], -v[2:3], v[22:23], v[208:209]
	v_div_fmas_f64 v[2:3], v[2:3], v[20:21], v[22:23]
	s_delay_alu instid0(VALU_DEP_1) | instskip(NEXT) | instid1(VALU_DEP_1)
	v_div_fixup_f64 v[2:3], v[2:3], -v[18:19], v[16:17]
	v_fma_f64 v[16:17], v[16:17], v[2:3], -v[18:19]
	s_delay_alu instid0(VALU_DEP_1) | instskip(NEXT) | instid1(VALU_DEP_1)
	v_div_scale_f64 v[18:19], null, v[16:17], v[16:17], 1.0
	v_rcp_f64_e32 v[20:21], v[18:19]
	v_nop
	s_delay_alu instid0(TRANS32_DEP_1) | instskip(NEXT) | instid1(VALU_DEP_1)
	v_fma_f64 v[22:23], -v[18:19], v[20:21], 1.0
	v_fmac_f64_e32 v[20:21], v[20:21], v[22:23]
	s_delay_alu instid0(VALU_DEP_1) | instskip(NEXT) | instid1(VALU_DEP_1)
	v_fma_f64 v[22:23], -v[18:19], v[20:21], 1.0
	v_fmac_f64_e32 v[20:21], v[20:21], v[22:23]
	v_div_scale_f64 v[22:23], vcc_lo, 1.0, v[16:17], 1.0
	s_delay_alu instid0(VALU_DEP_1) | instskip(NEXT) | instid1(VALU_DEP_1)
	v_mul_f64_e32 v[208:209], v[22:23], v[20:21]
	v_fma_f64 v[18:19], -v[18:19], v[208:209], v[22:23]
	s_delay_alu instid0(VALU_DEP_1) | instskip(NEXT) | instid1(VALU_DEP_1)
	v_div_fmas_f64 v[18:19], v[18:19], v[20:21], v[208:209]
	v_div_fixup_f64 v[22:23], v[18:19], v[16:17], 1.0
                                        ; implicit-def: $vgpr16_vgpr17
	s_delay_alu instid0(VALU_DEP_1)
	v_mul_f64_e32 v[20:21], v[2:3], v[22:23]
	v_xor_b32_e32 v23, 0x80000000, v23
.LBB174_518:                            ;   in Loop: Header=BB174_3 Depth=1
	s_and_not1_saveexec_b32 s54, s54
	s_cbranch_execz .LBB174_520
; %bb.519:                              ;   in Loop: Header=BB174_3 Depth=1
	v_div_scale_f64 v[2:3], null, v[16:17], v[16:17], -v[18:19]
	v_div_scale_f64 v[208:209], vcc_lo, -v[18:19], v[16:17], -v[18:19]
	s_delay_alu instid0(VALU_DEP_2) | instskip(SKIP_1) | instid1(TRANS32_DEP_1)
	v_rcp_f64_e32 v[20:21], v[2:3]
	v_nop
	v_fma_f64 v[22:23], -v[2:3], v[20:21], 1.0
	s_delay_alu instid0(VALU_DEP_1) | instskip(NEXT) | instid1(VALU_DEP_1)
	v_fmac_f64_e32 v[20:21], v[20:21], v[22:23]
	v_fma_f64 v[22:23], -v[2:3], v[20:21], 1.0
	s_delay_alu instid0(VALU_DEP_1) | instskip(NEXT) | instid1(VALU_DEP_1)
	v_fmac_f64_e32 v[20:21], v[20:21], v[22:23]
	v_mul_f64_e32 v[22:23], v[208:209], v[20:21]
	s_delay_alu instid0(VALU_DEP_1) | instskip(NEXT) | instid1(VALU_DEP_1)
	v_fma_f64 v[2:3], -v[2:3], v[22:23], v[208:209]
	v_div_fmas_f64 v[2:3], v[2:3], v[20:21], v[22:23]
	s_delay_alu instid0(VALU_DEP_1) | instskip(NEXT) | instid1(VALU_DEP_1)
	v_div_fixup_f64 v[2:3], v[2:3], v[16:17], -v[18:19]
	v_fma_f64 v[16:17], -v[18:19], v[2:3], v[16:17]
	s_delay_alu instid0(VALU_DEP_1) | instskip(NEXT) | instid1(VALU_DEP_1)
	v_div_scale_f64 v[18:19], null, v[16:17], v[16:17], 1.0
	v_rcp_f64_e32 v[20:21], v[18:19]
	v_nop
	s_delay_alu instid0(TRANS32_DEP_1) | instskip(NEXT) | instid1(VALU_DEP_1)
	v_fma_f64 v[22:23], -v[18:19], v[20:21], 1.0
	v_fmac_f64_e32 v[20:21], v[20:21], v[22:23]
	s_delay_alu instid0(VALU_DEP_1) | instskip(NEXT) | instid1(VALU_DEP_1)
	v_fma_f64 v[22:23], -v[18:19], v[20:21], 1.0
	v_fmac_f64_e32 v[20:21], v[20:21], v[22:23]
	v_div_scale_f64 v[22:23], vcc_lo, 1.0, v[16:17], 1.0
	s_delay_alu instid0(VALU_DEP_1) | instskip(NEXT) | instid1(VALU_DEP_1)
	v_mul_f64_e32 v[208:209], v[22:23], v[20:21]
	v_fma_f64 v[18:19], -v[18:19], v[208:209], v[22:23]
	s_delay_alu instid0(VALU_DEP_1) | instskip(NEXT) | instid1(VALU_DEP_1)
	v_div_fmas_f64 v[18:19], v[18:19], v[20:21], v[208:209]
	v_div_fixup_f64 v[20:21], v[18:19], v[16:17], 1.0
	s_delay_alu instid0(VALU_DEP_1)
	v_mul_f64_e64 v[22:23], v[2:3], -v[20:21]
.LBB174_520:                            ;   in Loop: Header=BB174_3 Depth=1
	s_or_b32 exec_lo, exec_lo, s54
	ds_store_b128 v142, v[20:23]
.LBB174_521:                            ;   in Loop: Header=BB174_3 Depth=1
	s_or_b32 exec_lo, exec_lo, s1
	s_and_not1_saveexec_b32 s0, s0
	s_cbranch_execnz .LBB174_15
	s_branch .LBB174_16
.LBB174_522:                            ;   in Loop: Header=BB174_3 Depth=1
	s_mov_b32 s1, exec_lo
	v_readlane_b32 s54, v207, 8
	s_and_b32 s54, s1, s54
	s_delay_alu instid0(SALU_CYCLE_1)
	s_xor_b32 s1, s54, s1
	s_mov_b32 exec_lo, s54
	s_cbranch_execz .LBB174_526
; %bb.523:                              ;   in Loop: Header=BB174_3 Depth=1
	s_mov_b32 s54, exec_lo
	v_readlane_b32 s55, v207, 22
	s_and_b32 s55, s54, s55
	s_delay_alu instid0(SALU_CYCLE_1)
	s_mov_b32 exec_lo, s55
; %bb.524:                              ;   in Loop: Header=BB174_3 Depth=1
	v_dual_mov_b32 v0, v1 :: v_dual_mov_b32 v2, v1
	v_mov_b32_e32 v3, v1
	ds_store_b128 v133, v[0:3]
; %bb.525:                              ;   in Loop: Header=BB174_3 Depth=1
	s_or_b32 exec_lo, exec_lo, s54
.LBB174_526:                            ;   in Loop: Header=BB174_3 Depth=1
	s_and_not1_saveexec_b32 s1, s1
	s_cbranch_execz .LBB174_532
; %bb.527:                              ;   in Loop: Header=BB174_3 Depth=1
	v_lshl_add_u64 v[2:3], v[34:35], 4, v[46:47]
                                        ; implicit-def: $vgpr20_vgpr21
	flat_load_b128 v[16:19], v[2:3]
	s_wait_loadcnt_dscnt 0x0
	v_cmp_ngt_f64_e64 s54, |v[16:17]|, |v[18:19]|
	s_and_saveexec_b32 s55, s54
	s_delay_alu instid0(SALU_CYCLE_1)
	s_xor_b32 s54, exec_lo, s55
	s_cbranch_execz .LBB174_529
; %bb.528:                              ;   in Loop: Header=BB174_3 Depth=1
	v_div_scale_f64 v[2:3], null, -v[18:19], -v[18:19], v[16:17]
	v_div_scale_f64 v[208:209], vcc_lo, v[16:17], -v[18:19], v[16:17]
	s_delay_alu instid0(VALU_DEP_2) | instskip(SKIP_1) | instid1(TRANS32_DEP_1)
	v_rcp_f64_e32 v[20:21], v[2:3]
	v_nop
	v_fma_f64 v[22:23], -v[2:3], v[20:21], 1.0
	s_delay_alu instid0(VALU_DEP_1) | instskip(NEXT) | instid1(VALU_DEP_1)
	v_fmac_f64_e32 v[20:21], v[20:21], v[22:23]
	v_fma_f64 v[22:23], -v[2:3], v[20:21], 1.0
	s_delay_alu instid0(VALU_DEP_1) | instskip(NEXT) | instid1(VALU_DEP_1)
	v_fmac_f64_e32 v[20:21], v[20:21], v[22:23]
	v_mul_f64_e32 v[22:23], v[208:209], v[20:21]
	s_delay_alu instid0(VALU_DEP_1) | instskip(NEXT) | instid1(VALU_DEP_1)
	v_fma_f64 v[2:3], -v[2:3], v[22:23], v[208:209]
	v_div_fmas_f64 v[2:3], v[2:3], v[20:21], v[22:23]
	s_delay_alu instid0(VALU_DEP_1) | instskip(NEXT) | instid1(VALU_DEP_1)
	v_div_fixup_f64 v[2:3], v[2:3], -v[18:19], v[16:17]
	v_fma_f64 v[16:17], v[16:17], v[2:3], -v[18:19]
	s_delay_alu instid0(VALU_DEP_1) | instskip(NEXT) | instid1(VALU_DEP_1)
	v_div_scale_f64 v[18:19], null, v[16:17], v[16:17], 1.0
	v_rcp_f64_e32 v[20:21], v[18:19]
	v_nop
	s_delay_alu instid0(TRANS32_DEP_1) | instskip(NEXT) | instid1(VALU_DEP_1)
	v_fma_f64 v[22:23], -v[18:19], v[20:21], 1.0
	v_fmac_f64_e32 v[20:21], v[20:21], v[22:23]
	s_delay_alu instid0(VALU_DEP_1) | instskip(NEXT) | instid1(VALU_DEP_1)
	v_fma_f64 v[22:23], -v[18:19], v[20:21], 1.0
	v_fmac_f64_e32 v[20:21], v[20:21], v[22:23]
	v_div_scale_f64 v[22:23], vcc_lo, 1.0, v[16:17], 1.0
	s_delay_alu instid0(VALU_DEP_1) | instskip(NEXT) | instid1(VALU_DEP_1)
	v_mul_f64_e32 v[208:209], v[22:23], v[20:21]
	v_fma_f64 v[18:19], -v[18:19], v[208:209], v[22:23]
	s_delay_alu instid0(VALU_DEP_1) | instskip(NEXT) | instid1(VALU_DEP_1)
	v_div_fmas_f64 v[18:19], v[18:19], v[20:21], v[208:209]
	v_div_fixup_f64 v[22:23], v[18:19], v[16:17], 1.0
                                        ; implicit-def: $vgpr16_vgpr17
	s_delay_alu instid0(VALU_DEP_1)
	v_mul_f64_e32 v[20:21], v[2:3], v[22:23]
	v_xor_b32_e32 v23, 0x80000000, v23
.LBB174_529:                            ;   in Loop: Header=BB174_3 Depth=1
	s_and_not1_saveexec_b32 s54, s54
	s_cbranch_execz .LBB174_531
; %bb.530:                              ;   in Loop: Header=BB174_3 Depth=1
	v_div_scale_f64 v[2:3], null, v[16:17], v[16:17], -v[18:19]
	v_div_scale_f64 v[208:209], vcc_lo, -v[18:19], v[16:17], -v[18:19]
	s_delay_alu instid0(VALU_DEP_2) | instskip(SKIP_1) | instid1(TRANS32_DEP_1)
	v_rcp_f64_e32 v[20:21], v[2:3]
	v_nop
	v_fma_f64 v[22:23], -v[2:3], v[20:21], 1.0
	s_delay_alu instid0(VALU_DEP_1) | instskip(NEXT) | instid1(VALU_DEP_1)
	v_fmac_f64_e32 v[20:21], v[20:21], v[22:23]
	v_fma_f64 v[22:23], -v[2:3], v[20:21], 1.0
	s_delay_alu instid0(VALU_DEP_1) | instskip(NEXT) | instid1(VALU_DEP_1)
	v_fmac_f64_e32 v[20:21], v[20:21], v[22:23]
	v_mul_f64_e32 v[22:23], v[208:209], v[20:21]
	s_delay_alu instid0(VALU_DEP_1) | instskip(NEXT) | instid1(VALU_DEP_1)
	v_fma_f64 v[2:3], -v[2:3], v[22:23], v[208:209]
	v_div_fmas_f64 v[2:3], v[2:3], v[20:21], v[22:23]
	s_delay_alu instid0(VALU_DEP_1) | instskip(NEXT) | instid1(VALU_DEP_1)
	v_div_fixup_f64 v[2:3], v[2:3], v[16:17], -v[18:19]
	v_fma_f64 v[16:17], -v[18:19], v[2:3], v[16:17]
	s_delay_alu instid0(VALU_DEP_1) | instskip(NEXT) | instid1(VALU_DEP_1)
	v_div_scale_f64 v[18:19], null, v[16:17], v[16:17], 1.0
	v_rcp_f64_e32 v[20:21], v[18:19]
	v_nop
	s_delay_alu instid0(TRANS32_DEP_1) | instskip(NEXT) | instid1(VALU_DEP_1)
	v_fma_f64 v[22:23], -v[18:19], v[20:21], 1.0
	v_fmac_f64_e32 v[20:21], v[20:21], v[22:23]
	s_delay_alu instid0(VALU_DEP_1) | instskip(NEXT) | instid1(VALU_DEP_1)
	v_fma_f64 v[22:23], -v[18:19], v[20:21], 1.0
	v_fmac_f64_e32 v[20:21], v[20:21], v[22:23]
	v_div_scale_f64 v[22:23], vcc_lo, 1.0, v[16:17], 1.0
	s_delay_alu instid0(VALU_DEP_1) | instskip(NEXT) | instid1(VALU_DEP_1)
	v_mul_f64_e32 v[208:209], v[22:23], v[20:21]
	v_fma_f64 v[18:19], -v[18:19], v[208:209], v[22:23]
	s_delay_alu instid0(VALU_DEP_1) | instskip(NEXT) | instid1(VALU_DEP_1)
	v_div_fmas_f64 v[18:19], v[18:19], v[20:21], v[208:209]
	v_div_fixup_f64 v[20:21], v[18:19], v[16:17], 1.0
	s_delay_alu instid0(VALU_DEP_1)
	v_mul_f64_e64 v[22:23], v[2:3], -v[20:21]
.LBB174_531:                            ;   in Loop: Header=BB174_3 Depth=1
	s_or_b32 exec_lo, exec_lo, s54
	ds_store_b128 v133, v[20:23]
.LBB174_532:                            ;   in Loop: Header=BB174_3 Depth=1
	s_or_b32 exec_lo, exec_lo, s1
	s_and_not1_saveexec_b32 s0, s0
	s_cbranch_execz .LBB174_19
.LBB174_533:                            ;   in Loop: Header=BB174_3 Depth=1
	v_lshl_add_u64 v[2:3], v[34:35], 4, v[46:47]
	flat_load_b128 v[16:19], v[2:3]
	s_wait_loadcnt_dscnt 0x0
	v_xor_b32_e32 v17, 0x80000000, v17
	ds_store_b128 v133, v[16:19]
	s_or_b32 exec_lo, exec_lo, s0
	s_and_saveexec_b32 s0, s88
	s_delay_alu instid0(SALU_CYCLE_1)
	s_xor_b32 s0, exec_lo, s0
	s_cbranch_execz .LBB174_20
.LBB174_534:                            ;   in Loop: Header=BB174_3 Depth=1
	s_mov_b32 s1, exec_lo
	v_readlane_b32 s54, v207, 10
	s_and_b32 s54, s1, s54
	s_delay_alu instid0(SALU_CYCLE_1)
	s_xor_b32 s1, s54, s1
	s_mov_b32 exec_lo, s54
	s_cbranch_execz .LBB174_538
; %bb.535:                              ;   in Loop: Header=BB174_3 Depth=1
	s_mov_b32 s54, exec_lo
	v_readlane_b32 s55, v207, 23
	s_and_b32 s55, s54, s55
	s_delay_alu instid0(SALU_CYCLE_1)
	s_mov_b32 exec_lo, s55
; %bb.536:                              ;   in Loop: Header=BB174_3 Depth=1
	v_dual_mov_b32 v0, v1 :: v_dual_mov_b32 v2, v1
	v_mov_b32_e32 v3, v1
	ds_store_b128 v142, v[0:3]
; %bb.537:                              ;   in Loop: Header=BB174_3 Depth=1
	s_or_b32 exec_lo, exec_lo, s54
                                        ; implicit-def: $vgpr46_vgpr47
.LBB174_538:                            ;   in Loop: Header=BB174_3 Depth=1
	s_and_not1_saveexec_b32 s1, s1
	s_cbranch_execz .LBB174_544
; %bb.539:                              ;   in Loop: Header=BB174_3 Depth=1
	v_lshl_add_u64 v[2:3], v[36:37], 4, v[46:47]
                                        ; implicit-def: $vgpr20_vgpr21
	flat_load_b128 v[16:19], v[2:3]
	s_wait_loadcnt_dscnt 0x0
	v_cmp_ngt_f64_e64 s54, |v[16:17]|, |v[18:19]|
	s_and_saveexec_b32 s55, s54
	s_delay_alu instid0(SALU_CYCLE_1)
	s_xor_b32 s54, exec_lo, s55
	s_cbranch_execz .LBB174_541
; %bb.540:                              ;   in Loop: Header=BB174_3 Depth=1
	v_div_scale_f64 v[2:3], null, -v[18:19], -v[18:19], v[16:17]
	v_div_scale_f64 v[46:47], vcc_lo, v[16:17], -v[18:19], v[16:17]
	s_delay_alu instid0(VALU_DEP_2) | instskip(SKIP_1) | instid1(TRANS32_DEP_1)
	v_rcp_f64_e32 v[20:21], v[2:3]
	v_nop
	v_fma_f64 v[22:23], -v[2:3], v[20:21], 1.0
	s_delay_alu instid0(VALU_DEP_1) | instskip(NEXT) | instid1(VALU_DEP_1)
	v_fmac_f64_e32 v[20:21], v[20:21], v[22:23]
	v_fma_f64 v[22:23], -v[2:3], v[20:21], 1.0
	s_delay_alu instid0(VALU_DEP_1) | instskip(NEXT) | instid1(VALU_DEP_1)
	v_fmac_f64_e32 v[20:21], v[20:21], v[22:23]
	v_mul_f64_e32 v[22:23], v[46:47], v[20:21]
	s_delay_alu instid0(VALU_DEP_1) | instskip(NEXT) | instid1(VALU_DEP_1)
	v_fma_f64 v[2:3], -v[2:3], v[22:23], v[46:47]
	v_div_fmas_f64 v[2:3], v[2:3], v[20:21], v[22:23]
	s_delay_alu instid0(VALU_DEP_1) | instskip(NEXT) | instid1(VALU_DEP_1)
	v_div_fixup_f64 v[2:3], v[2:3], -v[18:19], v[16:17]
	v_fma_f64 v[16:17], v[16:17], v[2:3], -v[18:19]
	s_delay_alu instid0(VALU_DEP_1) | instskip(NEXT) | instid1(VALU_DEP_1)
	v_div_scale_f64 v[18:19], null, v[16:17], v[16:17], 1.0
	v_rcp_f64_e32 v[20:21], v[18:19]
	v_nop
	s_delay_alu instid0(TRANS32_DEP_1) | instskip(NEXT) | instid1(VALU_DEP_1)
	v_fma_f64 v[22:23], -v[18:19], v[20:21], 1.0
	v_fmac_f64_e32 v[20:21], v[20:21], v[22:23]
	s_delay_alu instid0(VALU_DEP_1) | instskip(NEXT) | instid1(VALU_DEP_1)
	v_fma_f64 v[22:23], -v[18:19], v[20:21], 1.0
	v_fmac_f64_e32 v[20:21], v[20:21], v[22:23]
	v_div_scale_f64 v[22:23], vcc_lo, 1.0, v[16:17], 1.0
	s_delay_alu instid0(VALU_DEP_1) | instskip(NEXT) | instid1(VALU_DEP_1)
	v_mul_f64_e32 v[46:47], v[22:23], v[20:21]
	v_fma_f64 v[18:19], -v[18:19], v[46:47], v[22:23]
	s_delay_alu instid0(VALU_DEP_1) | instskip(NEXT) | instid1(VALU_DEP_1)
	v_div_fmas_f64 v[18:19], v[18:19], v[20:21], v[46:47]
	v_div_fixup_f64 v[22:23], v[18:19], v[16:17], 1.0
                                        ; implicit-def: $vgpr16_vgpr17
	s_delay_alu instid0(VALU_DEP_1)
	v_mul_f64_e32 v[20:21], v[2:3], v[22:23]
	v_xor_b32_e32 v23, 0x80000000, v23
.LBB174_541:                            ;   in Loop: Header=BB174_3 Depth=1
	s_and_not1_saveexec_b32 s54, s54
	s_cbranch_execz .LBB174_543
; %bb.542:                              ;   in Loop: Header=BB174_3 Depth=1
	v_div_scale_f64 v[2:3], null, v[16:17], v[16:17], -v[18:19]
	v_div_scale_f64 v[46:47], vcc_lo, -v[18:19], v[16:17], -v[18:19]
	s_delay_alu instid0(VALU_DEP_2) | instskip(SKIP_1) | instid1(TRANS32_DEP_1)
	v_rcp_f64_e32 v[20:21], v[2:3]
	v_nop
	v_fma_f64 v[22:23], -v[2:3], v[20:21], 1.0
	s_delay_alu instid0(VALU_DEP_1) | instskip(NEXT) | instid1(VALU_DEP_1)
	v_fmac_f64_e32 v[20:21], v[20:21], v[22:23]
	v_fma_f64 v[22:23], -v[2:3], v[20:21], 1.0
	s_delay_alu instid0(VALU_DEP_1) | instskip(NEXT) | instid1(VALU_DEP_1)
	v_fmac_f64_e32 v[20:21], v[20:21], v[22:23]
	v_mul_f64_e32 v[22:23], v[46:47], v[20:21]
	s_delay_alu instid0(VALU_DEP_1) | instskip(NEXT) | instid1(VALU_DEP_1)
	v_fma_f64 v[2:3], -v[2:3], v[22:23], v[46:47]
	v_div_fmas_f64 v[2:3], v[2:3], v[20:21], v[22:23]
	s_delay_alu instid0(VALU_DEP_1) | instskip(NEXT) | instid1(VALU_DEP_1)
	v_div_fixup_f64 v[2:3], v[2:3], v[16:17], -v[18:19]
	v_fma_f64 v[16:17], -v[18:19], v[2:3], v[16:17]
	s_delay_alu instid0(VALU_DEP_1) | instskip(NEXT) | instid1(VALU_DEP_1)
	v_div_scale_f64 v[18:19], null, v[16:17], v[16:17], 1.0
	v_rcp_f64_e32 v[20:21], v[18:19]
	v_nop
	s_delay_alu instid0(TRANS32_DEP_1) | instskip(NEXT) | instid1(VALU_DEP_1)
	v_fma_f64 v[22:23], -v[18:19], v[20:21], 1.0
	v_fmac_f64_e32 v[20:21], v[20:21], v[22:23]
	s_delay_alu instid0(VALU_DEP_1) | instskip(NEXT) | instid1(VALU_DEP_1)
	v_fma_f64 v[22:23], -v[18:19], v[20:21], 1.0
	v_fmac_f64_e32 v[20:21], v[20:21], v[22:23]
	v_div_scale_f64 v[22:23], vcc_lo, 1.0, v[16:17], 1.0
	s_delay_alu instid0(VALU_DEP_1) | instskip(NEXT) | instid1(VALU_DEP_1)
	v_mul_f64_e32 v[46:47], v[22:23], v[20:21]
	v_fma_f64 v[18:19], -v[18:19], v[46:47], v[22:23]
	s_delay_alu instid0(VALU_DEP_1) | instskip(NEXT) | instid1(VALU_DEP_1)
	v_div_fmas_f64 v[18:19], v[18:19], v[20:21], v[46:47]
	v_div_fixup_f64 v[20:21], v[18:19], v[16:17], 1.0
	s_delay_alu instid0(VALU_DEP_1)
	v_mul_f64_e64 v[22:23], v[2:3], -v[20:21]
.LBB174_543:                            ;   in Loop: Header=BB174_3 Depth=1
	s_or_b32 exec_lo, exec_lo, s54
	ds_store_b128 v142, v[20:23]
.LBB174_544:                            ;   in Loop: Header=BB174_3 Depth=1
	s_or_b32 exec_lo, exec_lo, s1
                                        ; implicit-def: $vgpr46_vgpr47
	s_and_not1_saveexec_b32 s0, s0
	s_cbranch_execnz .LBB174_21
	s_branch .LBB174_22
.LBB174_545:                            ;   in Loop: Header=BB174_3 Depth=1
	s_or_b32 exec_lo, exec_lo, s54
	s_delay_alu instid0(SALU_CYCLE_1)
	s_and_b32 vcc_lo, exec_lo, s1
	s_cbranch_vccnz .LBB174_484
.LBB174_546:                            ;   in Loop: Header=BB174_3 Depth=1
	s_delay_alu instid0(VALU_DEP_1) | instskip(NEXT) | instid1(VALU_DEP_3)
	v_mov_b64_e32 v[18:19], v[2:3]
	v_mov_b64_e32 v[16:17], v[22:23]
	;; [unrolled: 1-line block ×3, first 2 shown]
	s_and_saveexec_b32 s1, s0
	s_cbranch_execz .LBB174_548
.LBB174_547:                            ;   in Loop: Header=BB174_3 Depth=1
	s_delay_alu instid0(VALU_DEP_1)
	v_lshl_add_u64 v[2:3], v[2:3], 4, v[20:21]
	flat_store_b128 v[2:3], v[16:19]
.LBB174_548:                            ;   in Loop: Header=BB174_3 Depth=1
	s_wait_xcnt 0x0
	s_or_b32 exec_lo, exec_lo, s1
	global_wb scope:SCOPE_DEV
	s_wait_storecnt_dscnt 0x0
	global_inv scope:SCOPE_DEV
	s_wait_loadcnt 0x0
	s_barrier_signal -1
	s_barrier_wait -1
	s_and_saveexec_b32 s0, s35
	s_cbranch_execz .LBB174_2
; %bb.549:                              ;   in Loop: Header=BB174_3 Depth=1
	s_lshl_b64 s[54:55], s[38:39], 2
	s_delay_alu instid0(SALU_CYCLE_1)
	s_add_nc_u64 s[54:55], s[52:53], s[54:55]
	global_load_b32 v0, v1, s[54:55]
	s_wait_loadcnt 0x0
	v_add_nc_u32_e32 v0, 1, v0
	global_store_b32 v1, v0, s[54:55]
	s_branch .LBB174_2
.LBB174_550:                            ;   in Loop: Header=BB174_3 Depth=1
	ds_load_b128 v[20:23], v59 offset:16336
	ds_load_b128 v[208:211], v58 offset:15232
	s_wait_dscnt 0x0
	v_mul_f64_e32 v[2:3], v[22:23], v[210:211]
	s_delay_alu instid0(VALU_DEP_1) | instskip(SKIP_1) | instid1(VALU_DEP_2)
	v_fma_f64 v[2:3], v[20:21], v[208:209], -v[2:3]
	v_mul_f64_e32 v[20:21], v[20:21], v[210:211]
	v_add_f64_e32 v[16:17], v[16:17], v[2:3]
	s_delay_alu instid0(VALU_DEP_2) | instskip(NEXT) | instid1(VALU_DEP_1)
	v_fmac_f64_e32 v[20:21], v[22:23], v[208:209]
	v_add_f64_e32 v[18:19], v[18:19], v[20:21]
	s_or_b32 exec_lo, exec_lo, s1
	s_and_saveexec_b32 s1, s14
	s_cbranch_execz .LBB174_45
.LBB174_551:                            ;   in Loop: Header=BB174_3 Depth=1
	ds_load_b128 v[20:23], v59 offset:16352
	ds_load_b128 v[208:211], v58 offset:15744
	s_wait_dscnt 0x0
	v_mul_f64_e32 v[2:3], v[22:23], v[210:211]
	s_delay_alu instid0(VALU_DEP_1) | instskip(SKIP_1) | instid1(VALU_DEP_2)
	v_fma_f64 v[2:3], v[20:21], v[208:209], -v[2:3]
	v_mul_f64_e32 v[20:21], v[20:21], v[210:211]
	v_add_f64_e32 v[16:17], v[16:17], v[2:3]
	s_delay_alu instid0(VALU_DEP_2) | instskip(NEXT) | instid1(VALU_DEP_1)
	v_fmac_f64_e32 v[20:21], v[22:23], v[208:209]
	v_add_f64_e32 v[18:19], v[18:19], v[20:21]
	s_or_b32 exec_lo, exec_lo, s1
	s_and_saveexec_b32 s1, s3
	s_cbranch_execnz .LBB174_46
	s_branch .LBB174_47
.LBB174_552:                            ;   in Loop: Header=BB174_3 Depth=1
	ds_load_b128 v[20:23], v63 offset:16272
	ds_load_b128 v[208:211], v62 offset:13056
	s_wait_dscnt 0x0
	v_mul_f64_e32 v[2:3], v[22:23], v[210:211]
	s_delay_alu instid0(VALU_DEP_1) | instskip(SKIP_1) | instid1(VALU_DEP_2)
	v_fma_f64 v[2:3], v[20:21], v[208:209], -v[2:3]
	v_mul_f64_e32 v[20:21], v[20:21], v[210:211]
	v_add_f64_e32 v[16:17], v[16:17], v[2:3]
	s_delay_alu instid0(VALU_DEP_2) | instskip(NEXT) | instid1(VALU_DEP_1)
	v_fmac_f64_e32 v[20:21], v[22:23], v[208:209]
	v_add_f64_e32 v[18:19], v[18:19], v[20:21]
	s_or_b32 exec_lo, exec_lo, s1
	s_and_saveexec_b32 s1, s16
	s_cbranch_execz .LBB174_87
.LBB174_553:                            ;   in Loop: Header=BB174_3 Depth=1
	ds_load_b128 v[20:23], v63 offset:16288
	ds_load_b128 v[208:211], v62 offset:13568
	s_wait_dscnt 0x0
	v_mul_f64_e32 v[2:3], v[22:23], v[210:211]
	s_delay_alu instid0(VALU_DEP_1) | instskip(SKIP_1) | instid1(VALU_DEP_2)
	v_fma_f64 v[2:3], v[20:21], v[208:209], -v[2:3]
	v_mul_f64_e32 v[20:21], v[20:21], v[210:211]
	v_add_f64_e32 v[16:17], v[16:17], v[2:3]
	s_delay_alu instid0(VALU_DEP_2) | instskip(NEXT) | instid1(VALU_DEP_1)
	v_fmac_f64_e32 v[20:21], v[22:23], v[208:209]
	v_add_f64_e32 v[18:19], v[18:19], v[20:21]
	s_or_b32 exec_lo, exec_lo, s1
	s_and_saveexec_b32 s1, s17
	s_cbranch_execz .LBB174_88
.LBB174_554:                            ;   in Loop: Header=BB174_3 Depth=1
	ds_load_b128 v[20:23], v63 offset:16304
	ds_load_b128 v[208:211], v62 offset:14080
	s_wait_dscnt 0x0
	v_mul_f64_e32 v[2:3], v[22:23], v[210:211]
	s_delay_alu instid0(VALU_DEP_1) | instskip(SKIP_1) | instid1(VALU_DEP_2)
	v_fma_f64 v[2:3], v[20:21], v[208:209], -v[2:3]
	v_mul_f64_e32 v[20:21], v[20:21], v[210:211]
	v_add_f64_e32 v[16:17], v[16:17], v[2:3]
	s_delay_alu instid0(VALU_DEP_2) | instskip(NEXT) | instid1(VALU_DEP_1)
	v_fmac_f64_e32 v[20:21], v[22:23], v[208:209]
	v_add_f64_e32 v[18:19], v[18:19], v[20:21]
	s_or_b32 exec_lo, exec_lo, s1
	s_and_saveexec_b32 s1, s18
	s_cbranch_execz .LBB174_89
.LBB174_555:                            ;   in Loop: Header=BB174_3 Depth=1
	ds_load_b128 v[20:23], v63 offset:16320
	ds_load_b128 v[208:211], v62 offset:14592
	s_wait_dscnt 0x0
	v_mul_f64_e32 v[2:3], v[22:23], v[210:211]
	s_delay_alu instid0(VALU_DEP_1) | instskip(SKIP_1) | instid1(VALU_DEP_2)
	v_fma_f64 v[2:3], v[20:21], v[208:209], -v[2:3]
	v_mul_f64_e32 v[20:21], v[20:21], v[210:211]
	v_add_f64_e32 v[16:17], v[16:17], v[2:3]
	s_delay_alu instid0(VALU_DEP_2) | instskip(NEXT) | instid1(VALU_DEP_1)
	v_fmac_f64_e32 v[20:21], v[22:23], v[208:209]
	v_add_f64_e32 v[18:19], v[18:19], v[20:21]
	s_or_b32 exec_lo, exec_lo, s1
	s_and_saveexec_b32 s1, s19
	s_cbranch_execz .LBB174_90
.LBB174_556:                            ;   in Loop: Header=BB174_3 Depth=1
	ds_load_b128 v[20:23], v63 offset:16336
	ds_load_b128 v[208:211], v62 offset:15104
	s_wait_dscnt 0x0
	v_mul_f64_e32 v[2:3], v[22:23], v[210:211]
	s_delay_alu instid0(VALU_DEP_1) | instskip(SKIP_1) | instid1(VALU_DEP_2)
	v_fma_f64 v[2:3], v[20:21], v[208:209], -v[2:3]
	v_mul_f64_e32 v[20:21], v[20:21], v[210:211]
	v_add_f64_e32 v[16:17], v[16:17], v[2:3]
	s_delay_alu instid0(VALU_DEP_2) | instskip(NEXT) | instid1(VALU_DEP_1)
	v_fmac_f64_e32 v[20:21], v[22:23], v[208:209]
	v_add_f64_e32 v[18:19], v[18:19], v[20:21]
	s_or_b32 exec_lo, exec_lo, s1
	s_and_saveexec_b32 s1, s6
	s_cbranch_execz .LBB174_91
.LBB174_557:                            ;   in Loop: Header=BB174_3 Depth=1
	ds_load_b128 v[20:23], v63 offset:16352
	ds_load_b128 v[208:211], v62 offset:15616
	s_wait_dscnt 0x0
	v_mul_f64_e32 v[2:3], v[22:23], v[210:211]
	s_delay_alu instid0(VALU_DEP_1) | instskip(SKIP_1) | instid1(VALU_DEP_2)
	v_fma_f64 v[2:3], v[20:21], v[208:209], -v[2:3]
	v_mul_f64_e32 v[20:21], v[20:21], v[210:211]
	v_add_f64_e32 v[16:17], v[16:17], v[2:3]
	s_delay_alu instid0(VALU_DEP_2) | instskip(NEXT) | instid1(VALU_DEP_1)
	v_fmac_f64_e32 v[20:21], v[22:23], v[208:209]
	v_add_f64_e32 v[18:19], v[18:19], v[20:21]
	s_or_b32 exec_lo, exec_lo, s1
	s_and_saveexec_b32 s1, s14
	s_cbranch_execnz .LBB174_92
	s_branch .LBB174_93
.LBB174_558:                            ;   in Loop: Header=BB174_3 Depth=1
	ds_load_b128 v[20:23], v59 offset:12112
	ds_load_b128 v[208:211], v58 offset:11008
	s_wait_dscnt 0x0
	v_mul_f64_e32 v[2:3], v[22:23], v[210:211]
	s_delay_alu instid0(VALU_DEP_1) | instskip(SKIP_1) | instid1(VALU_DEP_2)
	v_fma_f64 v[2:3], v[20:21], v[208:209], -v[2:3]
	v_mul_f64_e32 v[20:21], v[20:21], v[210:211]
	v_add_f64_e32 v[16:17], v[16:17], v[2:3]
	s_delay_alu instid0(VALU_DEP_2) | instskip(NEXT) | instid1(VALU_DEP_1)
	v_fmac_f64_e32 v[20:21], v[22:23], v[208:209]
	v_add_f64_e32 v[18:19], v[18:19], v[20:21]
	s_or_b32 exec_lo, exec_lo, s1
	s_and_saveexec_b32 s1, s14
	s_cbranch_execz .LBB174_149
.LBB174_559:                            ;   in Loop: Header=BB174_3 Depth=1
	ds_load_b128 v[20:23], v59 offset:12128
	ds_load_b128 v[208:211], v58 offset:11520
	s_wait_dscnt 0x0
	v_mul_f64_e32 v[2:3], v[22:23], v[210:211]
	s_delay_alu instid0(VALU_DEP_1) | instskip(SKIP_1) | instid1(VALU_DEP_2)
	v_fma_f64 v[2:3], v[20:21], v[208:209], -v[2:3]
	v_mul_f64_e32 v[20:21], v[20:21], v[210:211]
	v_add_f64_e32 v[16:17], v[16:17], v[2:3]
	s_delay_alu instid0(VALU_DEP_2) | instskip(NEXT) | instid1(VALU_DEP_1)
	v_fmac_f64_e32 v[20:21], v[22:23], v[208:209]
	v_add_f64_e32 v[18:19], v[18:19], v[20:21]
	s_or_b32 exec_lo, exec_lo, s1
	s_and_saveexec_b32 s1, s3
	s_cbranch_execnz .LBB174_150
	s_branch .LBB174_151
.LBB174_560:                            ;   in Loop: Header=BB174_3 Depth=1
	ds_load_b128 v[20:23], v75 offset:16304
	ds_load_b128 v[208:211], v74 offset:13824
	s_wait_dscnt 0x0
	v_mul_f64_e32 v[2:3], v[22:23], v[210:211]
	s_delay_alu instid0(VALU_DEP_1) | instskip(SKIP_1) | instid1(VALU_DEP_2)
	v_fma_f64 v[2:3], v[20:21], v[208:209], -v[2:3]
	v_mul_f64_e32 v[20:21], v[20:21], v[210:211]
	v_add_f64_e32 v[16:17], v[16:17], v[2:3]
	s_delay_alu instid0(VALU_DEP_2) | instskip(NEXT) | instid1(VALU_DEP_1)
	v_fmac_f64_e32 v[20:21], v[22:23], v[208:209]
	v_add_f64_e32 v[18:19], v[18:19], v[20:21]
	s_or_b32 exec_lo, exec_lo, s1
	s_and_saveexec_b32 s1, s8
	s_cbranch_execz .LBB174_211
.LBB174_561:                            ;   in Loop: Header=BB174_3 Depth=1
	ds_load_b128 v[20:23], v75 offset:16320
	ds_load_b128 v[208:211], v74 offset:14336
	s_wait_dscnt 0x0
	v_mul_f64_e32 v[2:3], v[22:23], v[210:211]
	s_delay_alu instid0(VALU_DEP_1) | instskip(SKIP_1) | instid1(VALU_DEP_2)
	v_fma_f64 v[2:3], v[20:21], v[208:209], -v[2:3]
	v_mul_f64_e32 v[20:21], v[20:21], v[210:211]
	v_add_f64_e32 v[16:17], v[16:17], v[2:3]
	s_delay_alu instid0(VALU_DEP_2) | instskip(NEXT) | instid1(VALU_DEP_1)
	v_fmac_f64_e32 v[20:21], v[22:23], v[208:209]
	v_add_f64_e32 v[18:19], v[18:19], v[20:21]
	s_or_b32 exec_lo, exec_lo, s1
	s_and_saveexec_b32 s1, s16
	s_cbranch_execz .LBB174_212
.LBB174_562:                            ;   in Loop: Header=BB174_3 Depth=1
	ds_load_b128 v[20:23], v75 offset:16336
	ds_load_b128 v[208:211], v74 offset:14848
	s_wait_dscnt 0x0
	v_mul_f64_e32 v[2:3], v[22:23], v[210:211]
	s_delay_alu instid0(VALU_DEP_1) | instskip(SKIP_1) | instid1(VALU_DEP_2)
	v_fma_f64 v[2:3], v[20:21], v[208:209], -v[2:3]
	v_mul_f64_e32 v[20:21], v[20:21], v[210:211]
	v_add_f64_e32 v[16:17], v[16:17], v[2:3]
	s_delay_alu instid0(VALU_DEP_2) | instskip(NEXT) | instid1(VALU_DEP_1)
	v_fmac_f64_e32 v[20:21], v[22:23], v[208:209]
	v_add_f64_e32 v[18:19], v[18:19], v[20:21]
	s_or_b32 exec_lo, exec_lo, s1
	s_and_saveexec_b32 s1, s18
	s_cbranch_execz .LBB174_213
.LBB174_563:                            ;   in Loop: Header=BB174_3 Depth=1
	ds_load_b128 v[20:23], v75 offset:16352
	ds_load_b128 v[208:211], v74 offset:15360
	s_wait_dscnt 0x0
	v_mul_f64_e32 v[2:3], v[22:23], v[210:211]
	s_delay_alu instid0(VALU_DEP_1) | instskip(SKIP_1) | instid1(VALU_DEP_2)
	v_fma_f64 v[2:3], v[20:21], v[208:209], -v[2:3]
	v_mul_f64_e32 v[20:21], v[20:21], v[210:211]
	v_add_f64_e32 v[16:17], v[16:17], v[2:3]
	s_delay_alu instid0(VALU_DEP_2) | instskip(NEXT) | instid1(VALU_DEP_1)
	v_fmac_f64_e32 v[20:21], v[22:23], v[208:209]
	v_add_f64_e32 v[18:19], v[18:19], v[20:21]
	s_or_b32 exec_lo, exec_lo, s1
	s_and_saveexec_b32 s1, s6
	s_cbranch_execnz .LBB174_214
	s_branch .LBB174_215
.LBB174_564:                            ;   in Loop: Header=BB174_3 Depth=1
	ds_load_b128 v[20:23], v59 offset:7888
	ds_load_b128 v[208:211], v58 offset:6784
	s_wait_dscnt 0x0
	v_mul_f64_e32 v[2:3], v[22:23], v[210:211]
	s_delay_alu instid0(VALU_DEP_1) | instskip(SKIP_1) | instid1(VALU_DEP_2)
	v_fma_f64 v[2:3], v[20:21], v[208:209], -v[2:3]
	v_mul_f64_e32 v[20:21], v[20:21], v[210:211]
	v_add_f64_e32 v[16:17], v[16:17], v[2:3]
	s_delay_alu instid0(VALU_DEP_2) | instskip(NEXT) | instid1(VALU_DEP_1)
	v_fmac_f64_e32 v[20:21], v[22:23], v[208:209]
	v_add_f64_e32 v[18:19], v[18:19], v[20:21]
	s_or_b32 exec_lo, exec_lo, s1
	s_and_saveexec_b32 s1, s14
	s_cbranch_execz .LBB174_303
.LBB174_565:                            ;   in Loop: Header=BB174_3 Depth=1
	ds_load_b128 v[20:23], v59 offset:7904
	ds_load_b128 v[208:211], v58 offset:7296
	s_wait_dscnt 0x0
	v_mul_f64_e32 v[2:3], v[22:23], v[210:211]
	s_delay_alu instid0(VALU_DEP_1) | instskip(SKIP_1) | instid1(VALU_DEP_2)
	v_fma_f64 v[2:3], v[20:21], v[208:209], -v[2:3]
	v_mul_f64_e32 v[20:21], v[20:21], v[210:211]
	v_add_f64_e32 v[16:17], v[16:17], v[2:3]
	s_delay_alu instid0(VALU_DEP_2) | instskip(NEXT) | instid1(VALU_DEP_1)
	v_fmac_f64_e32 v[20:21], v[22:23], v[208:209]
	v_add_f64_e32 v[18:19], v[18:19], v[20:21]
	s_or_b32 exec_lo, exec_lo, s1
	s_and_saveexec_b32 s1, s3
	s_cbranch_execnz .LBB174_304
	s_branch .LBB174_305
.LBB174_566:                            ;   in Loop: Header=BB174_3 Depth=1
	ds_load_b128 v[20:23], v63 offset:7824
	ds_load_b128 v[208:211], v62 offset:4608
	s_wait_dscnt 0x0
	v_mul_f64_e32 v[2:3], v[22:23], v[210:211]
	s_delay_alu instid0(VALU_DEP_1) | instskip(SKIP_1) | instid1(VALU_DEP_2)
	v_fma_f64 v[2:3], v[20:21], v[208:209], -v[2:3]
	v_mul_f64_e32 v[20:21], v[20:21], v[210:211]
	v_add_f64_e32 v[16:17], v[16:17], v[2:3]
	s_delay_alu instid0(VALU_DEP_2) | instskip(NEXT) | instid1(VALU_DEP_1)
	v_fmac_f64_e32 v[20:21], v[22:23], v[208:209]
	v_add_f64_e32 v[18:19], v[18:19], v[20:21]
	s_or_b32 exec_lo, exec_lo, s1
	s_and_saveexec_b32 s1, s16
	s_cbranch_execz .LBB174_345
.LBB174_567:                            ;   in Loop: Header=BB174_3 Depth=1
	ds_load_b128 v[20:23], v63 offset:7840
	ds_load_b128 v[208:211], v62 offset:5120
	s_wait_dscnt 0x0
	v_mul_f64_e32 v[2:3], v[22:23], v[210:211]
	s_delay_alu instid0(VALU_DEP_1) | instskip(SKIP_1) | instid1(VALU_DEP_2)
	v_fma_f64 v[2:3], v[20:21], v[208:209], -v[2:3]
	v_mul_f64_e32 v[20:21], v[20:21], v[210:211]
	v_add_f64_e32 v[16:17], v[16:17], v[2:3]
	s_delay_alu instid0(VALU_DEP_2) | instskip(NEXT) | instid1(VALU_DEP_1)
	v_fmac_f64_e32 v[20:21], v[22:23], v[208:209]
	v_add_f64_e32 v[18:19], v[18:19], v[20:21]
	s_or_b32 exec_lo, exec_lo, s1
	s_and_saveexec_b32 s1, s17
	s_cbranch_execz .LBB174_346
.LBB174_568:                            ;   in Loop: Header=BB174_3 Depth=1
	ds_load_b128 v[20:23], v63 offset:7856
	ds_load_b128 v[208:211], v62 offset:5632
	s_wait_dscnt 0x0
	v_mul_f64_e32 v[2:3], v[22:23], v[210:211]
	s_delay_alu instid0(VALU_DEP_1) | instskip(SKIP_1) | instid1(VALU_DEP_2)
	v_fma_f64 v[2:3], v[20:21], v[208:209], -v[2:3]
	v_mul_f64_e32 v[20:21], v[20:21], v[210:211]
	v_add_f64_e32 v[16:17], v[16:17], v[2:3]
	s_delay_alu instid0(VALU_DEP_2) | instskip(NEXT) | instid1(VALU_DEP_1)
	v_fmac_f64_e32 v[20:21], v[22:23], v[208:209]
	v_add_f64_e32 v[18:19], v[18:19], v[20:21]
	s_or_b32 exec_lo, exec_lo, s1
	s_and_saveexec_b32 s1, s18
	s_cbranch_execz .LBB174_347
.LBB174_569:                            ;   in Loop: Header=BB174_3 Depth=1
	ds_load_b128 v[20:23], v63 offset:7872
	ds_load_b128 v[208:211], v62 offset:6144
	s_wait_dscnt 0x0
	v_mul_f64_e32 v[2:3], v[22:23], v[210:211]
	s_delay_alu instid0(VALU_DEP_1) | instskip(SKIP_1) | instid1(VALU_DEP_2)
	v_fma_f64 v[2:3], v[20:21], v[208:209], -v[2:3]
	v_mul_f64_e32 v[20:21], v[20:21], v[210:211]
	v_add_f64_e32 v[16:17], v[16:17], v[2:3]
	s_delay_alu instid0(VALU_DEP_2) | instskip(NEXT) | instid1(VALU_DEP_1)
	v_fmac_f64_e32 v[20:21], v[22:23], v[208:209]
	v_add_f64_e32 v[18:19], v[18:19], v[20:21]
	s_or_b32 exec_lo, exec_lo, s1
	s_and_saveexec_b32 s1, s19
	s_cbranch_execz .LBB174_348
.LBB174_570:                            ;   in Loop: Header=BB174_3 Depth=1
	ds_load_b128 v[20:23], v63 offset:7888
	ds_load_b128 v[208:211], v62 offset:6656
	s_wait_dscnt 0x0
	v_mul_f64_e32 v[2:3], v[22:23], v[210:211]
	s_delay_alu instid0(VALU_DEP_1) | instskip(SKIP_1) | instid1(VALU_DEP_2)
	v_fma_f64 v[2:3], v[20:21], v[208:209], -v[2:3]
	v_mul_f64_e32 v[20:21], v[20:21], v[210:211]
	v_add_f64_e32 v[16:17], v[16:17], v[2:3]
	s_delay_alu instid0(VALU_DEP_2) | instskip(NEXT) | instid1(VALU_DEP_1)
	v_fmac_f64_e32 v[20:21], v[22:23], v[208:209]
	v_add_f64_e32 v[18:19], v[18:19], v[20:21]
	s_or_b32 exec_lo, exec_lo, s1
	s_and_saveexec_b32 s1, s6
	s_cbranch_execz .LBB174_349
.LBB174_571:                            ;   in Loop: Header=BB174_3 Depth=1
	ds_load_b128 v[20:23], v63 offset:7904
	ds_load_b128 v[208:211], v62 offset:7168
	s_wait_dscnt 0x0
	v_mul_f64_e32 v[2:3], v[22:23], v[210:211]
	s_delay_alu instid0(VALU_DEP_1) | instskip(SKIP_1) | instid1(VALU_DEP_2)
	v_fma_f64 v[2:3], v[20:21], v[208:209], -v[2:3]
	v_mul_f64_e32 v[20:21], v[20:21], v[210:211]
	v_add_f64_e32 v[16:17], v[16:17], v[2:3]
	s_delay_alu instid0(VALU_DEP_2) | instskip(NEXT) | instid1(VALU_DEP_1)
	v_fmac_f64_e32 v[20:21], v[22:23], v[208:209]
	v_add_f64_e32 v[18:19], v[18:19], v[20:21]
	s_or_b32 exec_lo, exec_lo, s1
	s_and_saveexec_b32 s1, s14
	s_cbranch_execnz .LBB174_350
	s_branch .LBB174_351
.LBB174_572:                            ;   in Loop: Header=BB174_3 Depth=1
	ds_load_b128 v[20:23], v59 offset:3664
	ds_load_b128 v[208:211], v58 offset:2560
	s_wait_dscnt 0x0
	v_mul_f64_e32 v[2:3], v[22:23], v[210:211]
	s_delay_alu instid0(VALU_DEP_1) | instskip(SKIP_1) | instid1(VALU_DEP_2)
	v_fma_f64 v[2:3], v[20:21], v[208:209], -v[2:3]
	v_mul_f64_e32 v[20:21], v[20:21], v[210:211]
	v_add_f64_e32 v[16:17], v[16:17], v[2:3]
	s_delay_alu instid0(VALU_DEP_2) | instskip(NEXT) | instid1(VALU_DEP_1)
	v_fmac_f64_e32 v[20:21], v[22:23], v[208:209]
	v_add_f64_e32 v[18:19], v[18:19], v[20:21]
	s_or_b32 exec_lo, exec_lo, s1
	s_and_saveexec_b32 s1, s14
	s_cbranch_execz .LBB174_407
.LBB174_573:                            ;   in Loop: Header=BB174_3 Depth=1
	ds_load_b128 v[20:23], v59 offset:3680
	ds_load_b128 v[208:211], v58 offset:3072
	s_wait_dscnt 0x0
	v_mul_f64_e32 v[2:3], v[22:23], v[210:211]
	s_delay_alu instid0(VALU_DEP_1) | instskip(SKIP_1) | instid1(VALU_DEP_2)
	v_fma_f64 v[2:3], v[20:21], v[208:209], -v[2:3]
	v_mul_f64_e32 v[20:21], v[20:21], v[210:211]
	v_add_f64_e32 v[16:17], v[16:17], v[2:3]
	s_delay_alu instid0(VALU_DEP_2) | instskip(NEXT) | instid1(VALU_DEP_1)
	v_fmac_f64_e32 v[20:21], v[22:23], v[208:209]
	v_add_f64_e32 v[18:19], v[18:19], v[20:21]
	s_or_b32 exec_lo, exec_lo, s1
	s_and_saveexec_b32 s1, s3
	s_cbranch_execnz .LBB174_408
	s_branch .LBB174_409
.LBB174_574:
	s_endpgm
	.section	.rodata,"a",@progbits
	.p2align	6, 0x0
	.amdhsa_kernel _ZL19rocblas_trsv_deviceILi32ELi16ELb0ELb1ELb1ELb0E19rocblas_complex_numIdEPKS1_PKS3_PKPS1_EviT7_lllT6_T8_lllPii
		.amdhsa_group_segment_fixed_size 25104
		.amdhsa_private_segment_fixed_size 0
		.amdhsa_kernarg_size 352
		.amdhsa_user_sgpr_count 2
		.amdhsa_user_sgpr_dispatch_ptr 0
		.amdhsa_user_sgpr_queue_ptr 0
		.amdhsa_user_sgpr_kernarg_segment_ptr 1
		.amdhsa_user_sgpr_dispatch_id 0
		.amdhsa_user_sgpr_kernarg_preload_length 0
		.amdhsa_user_sgpr_kernarg_preload_offset 0
		.amdhsa_user_sgpr_private_segment_size 0
		.amdhsa_wavefront_size32 1
		.amdhsa_uses_dynamic_stack 0
		.amdhsa_enable_private_segment 0
		.amdhsa_system_sgpr_workgroup_id_x 1
		.amdhsa_system_sgpr_workgroup_id_y 0
		.amdhsa_system_sgpr_workgroup_id_z 1
		.amdhsa_system_sgpr_workgroup_info 0
		.amdhsa_system_vgpr_workitem_id 1
		.amdhsa_next_free_vgpr 212
		.amdhsa_next_free_sgpr 105
		.amdhsa_named_barrier_count 0
		.amdhsa_reserve_vcc 1
		.amdhsa_float_round_mode_32 0
		.amdhsa_float_round_mode_16_64 0
		.amdhsa_float_denorm_mode_32 3
		.amdhsa_float_denorm_mode_16_64 3
		.amdhsa_fp16_overflow 0
		.amdhsa_memory_ordered 1
		.amdhsa_forward_progress 1
		.amdhsa_inst_pref_size 230
		.amdhsa_round_robin_scheduling 0
		.amdhsa_exception_fp_ieee_invalid_op 0
		.amdhsa_exception_fp_denorm_src 0
		.amdhsa_exception_fp_ieee_div_zero 0
		.amdhsa_exception_fp_ieee_overflow 0
		.amdhsa_exception_fp_ieee_underflow 0
		.amdhsa_exception_fp_ieee_inexact 0
		.amdhsa_exception_int_div_zero 0
	.end_amdhsa_kernel
	.section	.text._ZL19rocblas_trsv_deviceILi32ELi16ELb0ELb1ELb1ELb0E19rocblas_complex_numIdEPKS1_PKS3_PKPS1_EviT7_lllT6_T8_lllPii,"axG",@progbits,_ZL19rocblas_trsv_deviceILi32ELi16ELb0ELb1ELb1ELb0E19rocblas_complex_numIdEPKS1_PKS3_PKPS1_EviT7_lllT6_T8_lllPii,comdat
.Lfunc_end174:
	.size	_ZL19rocblas_trsv_deviceILi32ELi16ELb0ELb1ELb1ELb0E19rocblas_complex_numIdEPKS1_PKS3_PKPS1_EviT7_lllT6_T8_lllPii, .Lfunc_end174-_ZL19rocblas_trsv_deviceILi32ELi16ELb0ELb1ELb1ELb0E19rocblas_complex_numIdEPKS1_PKS3_PKPS1_EviT7_lllT6_T8_lllPii
                                        ; -- End function
	.set _ZL19rocblas_trsv_deviceILi32ELi16ELb0ELb1ELb1ELb0E19rocblas_complex_numIdEPKS1_PKS3_PKPS1_EviT7_lllT6_T8_lllPii.num_vgpr, 212
	.set _ZL19rocblas_trsv_deviceILi32ELi16ELb0ELb1ELb1ELb0E19rocblas_complex_numIdEPKS1_PKS3_PKPS1_EviT7_lllT6_T8_lllPii.num_agpr, 0
	.set _ZL19rocblas_trsv_deviceILi32ELi16ELb0ELb1ELb1ELb0E19rocblas_complex_numIdEPKS1_PKS3_PKPS1_EviT7_lllT6_T8_lllPii.numbered_sgpr, 105
	.set _ZL19rocblas_trsv_deviceILi32ELi16ELb0ELb1ELb1ELb0E19rocblas_complex_numIdEPKS1_PKS3_PKPS1_EviT7_lllT6_T8_lllPii.num_named_barrier, 0
	.set _ZL19rocblas_trsv_deviceILi32ELi16ELb0ELb1ELb1ELb0E19rocblas_complex_numIdEPKS1_PKS3_PKPS1_EviT7_lllT6_T8_lllPii.private_seg_size, 0
	.set _ZL19rocblas_trsv_deviceILi32ELi16ELb0ELb1ELb1ELb0E19rocblas_complex_numIdEPKS1_PKS3_PKPS1_EviT7_lllT6_T8_lllPii.uses_vcc, 1
	.set _ZL19rocblas_trsv_deviceILi32ELi16ELb0ELb1ELb1ELb0E19rocblas_complex_numIdEPKS1_PKS3_PKPS1_EviT7_lllT6_T8_lllPii.uses_flat_scratch, 0
	.set _ZL19rocblas_trsv_deviceILi32ELi16ELb0ELb1ELb1ELb0E19rocblas_complex_numIdEPKS1_PKS3_PKPS1_EviT7_lllT6_T8_lllPii.has_dyn_sized_stack, 0
	.set _ZL19rocblas_trsv_deviceILi32ELi16ELb0ELb1ELb1ELb0E19rocblas_complex_numIdEPKS1_PKS3_PKPS1_EviT7_lllT6_T8_lllPii.has_recursion, 0
	.set _ZL19rocblas_trsv_deviceILi32ELi16ELb0ELb1ELb1ELb0E19rocblas_complex_numIdEPKS1_PKS3_PKPS1_EviT7_lllT6_T8_lllPii.has_indirect_call, 0
	.section	.AMDGPU.csdata,"",@progbits
; Kernel info:
; codeLenInByte = 29368
; TotalNumSgprs: 107
; NumVgprs: 212
; ScratchSize: 0
; MemoryBound: 1
; FloatMode: 240
; IeeeMode: 1
; LDSByteSize: 25104 bytes/workgroup (compile time only)
; SGPRBlocks: 0
; VGPRBlocks: 13
; NumSGPRsForWavesPerEU: 107
; NumVGPRsForWavesPerEU: 212
; NamedBarCnt: 0
; Occupancy: 4
; WaveLimiterHint : 1
; COMPUTE_PGM_RSRC2:SCRATCH_EN: 0
; COMPUTE_PGM_RSRC2:USER_SGPR: 2
; COMPUTE_PGM_RSRC2:TRAP_HANDLER: 0
; COMPUTE_PGM_RSRC2:TGID_X_EN: 1
; COMPUTE_PGM_RSRC2:TGID_Y_EN: 0
; COMPUTE_PGM_RSRC2:TGID_Z_EN: 1
; COMPUTE_PGM_RSRC2:TIDIG_COMP_CNT: 1
	.section	.text._ZL19rocblas_trsv_deviceILi32ELi16ELb1ELb0ELb0ELb1E19rocblas_complex_numIdEPKS1_PKS3_PKPS1_EviT7_lllT6_T8_lllPii,"axG",@progbits,_ZL19rocblas_trsv_deviceILi32ELi16ELb1ELb0ELb0ELb1E19rocblas_complex_numIdEPKS1_PKS3_PKPS1_EviT7_lllT6_T8_lllPii,comdat
	.globl	_ZL19rocblas_trsv_deviceILi32ELi16ELb1ELb0ELb0ELb1E19rocblas_complex_numIdEPKS1_PKS3_PKPS1_EviT7_lllT6_T8_lllPii ; -- Begin function _ZL19rocblas_trsv_deviceILi32ELi16ELb1ELb0ELb0ELb1E19rocblas_complex_numIdEPKS1_PKS3_PKPS1_EviT7_lllT6_T8_lllPii
	.p2align	8
	.type	_ZL19rocblas_trsv_deviceILi32ELi16ELb1ELb0ELb0ELb1E19rocblas_complex_numIdEPKS1_PKS3_PKPS1_EviT7_lllT6_T8_lllPii,@function
_ZL19rocblas_trsv_deviceILi32ELi16ELb1ELb0ELb0ELb1E19rocblas_complex_numIdEPKS1_PKS3_PKPS1_EviT7_lllT6_T8_lllPii: ; @_ZL19rocblas_trsv_deviceILi32ELi16ELb1ELb0ELb0ELb1E19rocblas_complex_numIdEPKS1_PKS3_PKPS1_EviT7_lllT6_T8_lllPii
; %bb.0:
	s_load_b32 s62, s[0:1], 0x58
	s_bfe_u32 s2, ttmp6, 0x40014
	s_lshr_b32 s3, ttmp7, 16
	s_add_co_i32 s2, s2, 1
	s_bfe_u32 s5, ttmp6, 0x40008
	s_mul_i32 s4, s3, s2
	s_getreg_b32 s2, hwreg(HW_REG_IB_STS2, 6, 4)
	s_add_co_i32 s5, s5, s4
	s_cmp_eq_u32 s2, 0
	s_mov_b32 s53, 0
	s_cselect_b32 s52, s3, s5
	s_wait_kmcnt 0x0
	s_cmp_ge_u32 s52, s62
	s_cbranch_scc1 .LBB175_512
; %bb.1:
	s_clause 0x3
	s_load_b32 s3, s[0:1], 0x6c
	s_load_b32 s63, s[0:1], 0x0
	s_load_b64 s[54:55], s[0:1], 0x18
	s_load_b256 s[36:43], s[0:1], 0x28
	s_bfe_u32 s5, ttmp6, 0x4000c
	s_and_b32 s4, ttmp6, 15
	s_add_co_i32 s5, s5, 1
	s_clause 0x1
	s_load_b64 s[56:57], s[0:1], 0x50
	s_load_b128 s[44:47], s[0:1], 0x8
	s_mul_i32 s5, ttmp9, s5
	v_bfe_u32 v20, v0, 10, 10
	s_add_co_i32 s4, s4, s5
	s_cmp_eq_u32 s2, 0
	v_and_b32_e32 v22, 0x3ff, v0
	s_cselect_b32 s64, ttmp9, s4
	v_dual_mov_b32 v1, 0 :: v_dual_lshrrev_b32 v2, 10, v0
	v_lshlrev_b32_e32 v3, 5, v20
	v_sub_co_u32 v23, s5, s64, 1
	s_wait_kmcnt 0x0
	s_and_b32 s2, s3, 0xffff
	s_add_co_i32 s0, s63, -1
	s_ashr_i32 s1, s63, 31
	s_ashr_i32 s3, s0, 31
	s_lshr_b32 s1, s1, 27
	s_lshr_b32 s3, s3, 27
	s_add_co_i32 s1, s63, s1
	s_add_co_i32 s0, s0, s3
	s_and_not1_b32 s1, s1, 31
	s_ashr_i32 s0, s0, 5
	s_sub_co_i32 s27, s63, s1
	s_cmp_eq_u32 s0, s64
	v_mov_b32_e32 v25, v1
	s_cselect_b32 s3, -1, 0
	s_cmp_lg_u32 s27, 0
	v_add_nc_u16 v6, v3, v22
	s_cselect_b32 s4, -1, 0
	s_lshl_b32 s20, s64, 5
	v_bitop3_b32 v10, v0, v2, 0x3ff bitop3:0xa8
	v_dual_add_nc_u32 v7, s20, v20 :: v_dual_add_nc_u32 v26, s20, v22
	v_mad_u32_u24 v24, v20, s2, v22
	s_and_b32 s29, s4, s3
	s_xor_b32 s65, s5, -1
	s_delay_alu instid0(VALU_DEP_2)
	v_subrev_nc_u32_e32 v4, 32, v7
	s_ashr_i32 s21, s20, 31
	s_xor_b32 s66, s29, -1
	v_ashrrev_i32_e32 v27, 31, v26
	s_add_nc_u64 s[0:1], s[54:55], 1
	v_ashrrev_i32_e32 v5, 31, v4
	s_cmp_gt_i32 s64, 4
	s_mul_u64 s[18:19], s[0:1], s[20:21]
	v_add_nc_u32_e32 v11, v3, v22
	s_cselect_b32 s1, -1, 0
	v_mul_u64_e32 v[28:29], s[54:55], v[4:5]
	v_lshrrev_b16 v5, 1, v6
	v_and_b32_e32 v6, 1, v0
	v_cmp_gt_u32_e64 s2, 4, v11
                                        ; implicit-def: $vgpr80 : SGPR spill to VGPR lane
	v_cmp_gt_i32_e32 vcc_lo, s27, v22
	s_and_b32 s67, s1, s66
	v_and_b32_e32 v2, 0xffff, v5
	v_lshlrev_b32_e32 v3, 4, v6
	v_cmp_eq_u32_e64 s4, 1, v6
	v_lshlrev_b32_e32 v51, 4, v22
	v_lshl_add_u32 v68, v20, 4, 0x6000
	v_lshl_add_u32 v48, v2, 4, 0x4000
	v_lshl_or_b32 v49, v2, 9, v3
	v_mul_u32_u24_e32 v50, 0x210, v2
	v_dual_lshrrev_b32 v2, 2, v11 :: v_dual_bitop2_b32 v3, 3, v0 bitop3:0x40
	s_xor_b32 s5, s4, -1
	s_and_b32 s69, s4, s2
	v_cmp_gt_u32_e64 s4, 16, v11
	s_delay_alu instid0(VALU_DEP_2)
	v_dual_lshlrev_b32 v5, 4, v2 :: v_dual_lshlrev_b32 v52, 4, v3
	v_mul_u32_u24_e32 v53, 0x210, v2
	v_cmp_eq_u32_e64 s7, 0, v3
	v_cmp_ne_u32_e64 s8, 0, v3
	v_cmp_eq_u32_e64 s9, 1, v3
	v_lshl_or_b32 v55, v2, 9, v52
	v_sub_nc_u32_e32 v2, v53, v5
	s_and_b32 s70, s7, s4
	s_and_b32 s71, s8, s4
	s_and_b32 s72, s9, s4
	v_cmp_lt_u32_e64 s7, 1, v3
	v_cmp_eq_u32_e64 s8, 2, v3
	v_cmp_eq_u32_e64 s9, 3, v3
	v_and_b32_e32 v3, 7, v0
	v_dual_add_nc_u32 v56, v2, v52 :: v_dual_lshrrev_b32 v2, 3, v11
	s_and_b32 s73, s7, s4
	v_cmp_gt_u32_e64 s7, 64, v11
	s_delay_alu instid0(VALU_DEP_3)
	v_cmp_eq_u32_e64 s12, 0, v3
	v_cmp_ne_u32_e64 s13, 0, v3
	v_dual_mov_b32 v21, v1 :: v_dual_add_nc_u32 v54, 0x4000, v5
	v_dual_lshlrev_b32 v5, 4, v2 :: v_dual_lshlrev_b32 v58, 4, v3
	v_mul_u32_u24_e32 v57, 0x210, v2
	s_and_b32 s76, s12, s7
	s_and_b32 s77, s13, s7
	v_cmp_eq_u32_e64 s12, 1, v3
	v_cmp_lt_u32_e64 s13, 1, v3
	v_sub_nc_u32_e32 v6, v57, v5
	s_and_b32 s74, s8, s4
	v_cmp_gt_u32_e64 s8, 56, v11
	s_and_b32 s78, s12, s7
	s_and_b32 s79, s13, s7
	v_cmp_lt_u32_e64 s12, 3, v3
	v_cmp_eq_u32_e64 s13, 4, v3
	v_lshl_or_b32 v60, v2, 9, v58
	v_cmp_eq_u32_e64 s14, 2, v3
	v_dual_lshlrev_b32 v2, 5, v11 :: v_dual_add_nc_u32 v61, v6, v58
	v_and_b32_e32 v0, 15, v0
	s_and_b32 s83, s12, s7
	s_and_b32 s84, s13, s7
	v_cmp_eq_u32_e64 s12, 6, v3
	v_cmp_eq_u32_e64 s13, 7, v3
	v_writelane_b32 v80, s8, 0
	v_cmp_gt_u32_e64 s8, 40, v11
	v_cmp_lt_u32_e64 s15, 2, v3
	s_and_b32 s80, s14, s7
	v_cmp_lt_u32_e64 s14, 4, v3
	s_and_b32 s88, s12, s7
	s_and_b32 s89, s13, s7
	v_cmp_gt_u32_e64 s12, 0x100, v11
	v_cmp_eq_u32_e64 s13, 0, v0
	v_writelane_b32 v80, s8, 1
	s_and_b32 s81, s15, s7
	v_cmp_eq_u32_e64 s15, 5, v3
	s_and_b32 s85, s14, s7
	v_cmp_ne_u32_e64 s14, 0, v0
	s_and_b32 s8, s13, s12
	v_cmp_lt_u32_e64 s13, 1, v0
	v_writelane_b32 v80, s8, 2
	s_and_b32 s86, s15, s7
	v_cmp_eq_u32_e64 s15, 1, v0
	s_and_b32 s8, s14, s12
	v_cmp_eq_u32_e64 s16, 3, v3
	v_writelane_b32 v80, s8, 3
	v_cmp_eq_u32_e64 s14, 2, v0
	s_and_b32 s8, s15, s12
	v_cmp_lt_u32_e64 s15, 2, v0
	s_and_b32 s82, s16, s7
	v_writelane_b32 v80, s8, 4
	s_and_b32 s8, s13, s12
	v_cmp_lt_u32_e64 s16, 5, v3
	v_cmp_lt_u32_e64 s13, 3, v0
	s_and_b32 s68, s5, s2
	v_writelane_b32 v80, s8, 5
	s_and_b32 s8, s14, s12
	s_and_b32 s87, s16, s7
	v_cmp_eq_u32_e64 s16, 3, v0
	v_cmp_eq_u32_e64 s14, 4, v0
	v_writelane_b32 v80, s8, 6
	s_and_b32 s8, s15, s12
	v_cmp_lt_u32_e64 s15, 4, v0
	s_and_b32 s75, s9, s4
	v_and_b32_e32 v63, 0xfffffe00, v2
	v_writelane_b32 v80, s8, 7
	s_and_b32 s8, s16, s12
	v_cmp_lt_u32_e64 s16, 5, v0
	v_dual_lshlrev_b32 v64, 4, v0 :: v_dual_add_nc_u32 v71, v68, v51
	v_writelane_b32 v80, s8, 8
	s_and_b32 s8, s13, s12
	v_cmp_eq_u32_e64 s13, 5, v0
	s_and_b32 s101, s16, s12
	v_cmp_eq_u32_e64 s16, 8, v0
	v_writelane_b32 v80, s8, 9
	s_and_b32 s8, s14, s12
	v_cmp_eq_u32_e64 s14, 6, v0
	v_add_nc_u64_e32 v[2:3], s[20:21], v[24:25]
	s_and_b32 s17, s16, s12
	v_writelane_b32 v80, s8, 10
	s_and_b32 s8, s15, s12
	s_and_b32 s102, s14, s12
	v_cmp_lt_u32_e64 s14, 7, v0
	v_cmp_eq_u32_e64 s15, 7, v0
	v_writelane_b32 v80, s8, 11
	s_and_b32 s8, s13, s12
	v_cmp_lt_u32_e64 s13, 6, v0
	s_and_b32 vcc_hi, s14, s12
	v_cmp_eq_u32_e64 s14, 9, v0
	s_and_b32 s104, s15, s12
	v_cmp_lt_u32_e64 s15, 9, v0
	s_and_b32 s103, s13, s12
	v_cmp_lt_u32_e64 s13, 8, v0
	s_and_b32 s23, s14, s12
	v_cmp_eq_u32_e64 s14, 11, v0
	v_cmp_lt_u32_e64 s16, 10, v0
	s_and_b32 s24, s15, s12
	s_and_b32 s22, s13, s12
	v_cmp_eq_u32_e64 s13, 10, v0
	s_and_b32 s28, s14, s12
	v_cmp_lt_u32_e64 s14, 12, v0
	v_cmp_eq_u32_e64 s15, 12, v0
	v_writelane_b32 v80, s8, 12
	s_and_b32 s25, s13, s12
	v_cmp_lt_u32_e64 s13, 11, v0
	s_and_b32 s26, s16, s12
	v_cmp_eq_u32_e64 s16, 13, v0
	s_and_b32 s90, s14, s12
	v_cmp_le_i32_e64 s14, s27, v22
	s_and_b32 s8, s13, s12
	v_cmp_lt_u32_e64 s13, 13, v0
	s_and_b32 s10, s15, s12
	v_cmp_eq_u32_e64 s15, 14, v0
	s_and_b32 s91, s16, s12
	v_cmp_eq_u32_e64 s16, 15, v0
	;; [unrolled: 2-line block ×3, first 2 shown]
	s_and_b32 s93, s14, s29
	s_and_b32 s94, s15, s12
	s_xor_b32 s15, s93, -1
	s_and_b32 s95, s16, s12
	s_and_b32 s96, s13, s15
	s_cmp_gt_i32 s64, 0
	v_add_nc_u32_e32 v0, s20, v24
	s_cselect_b32 s97, -1, 0
	s_and_b32 s15, s13, vcc_lo
	s_lshl_b64 s[58:59], s[18:19], 4
	v_writelane_b32 v80, s15, 13
	v_cmp_gt_u32_e64 s18, 0xf0, v11
	v_or_b32_e32 v66, v63, v64
	v_dual_add_nc_u32 v6, 16, v20 :: v_dual_lshlrev_b32 v40, 4, v22
	v_mul_u64_e32 v[32:33], s[42:43], v[0:1]
	s_delay_alu instid0(VALU_DEP_4) | instskip(SKIP_4) | instid1(VALU_DEP_4)
	v_writelane_b32 v80, s18, 14
	v_cmp_gt_u32_e64 s18, 0xe0, v11
	v_dual_mov_b32 v7, v1 :: v_dual_add_nc_u32 v0, -16, v7
	v_mul_u64_e32 v[30:31], s[42:43], v[26:27]
	v_mul_u64_e32 v[34:35], s[42:43], v[2:3]
	v_writelane_b32 v80, s18, 15
	v_cmp_gt_u32_e64 s18, 0xd0, v11
	v_mul_u64_e32 v[36:37], s[54:55], v[20:21]
	v_mul_u64_e32 v[38:39], s[54:55], v[6:7]
	v_cmp_le_i32_e64 s15, s27, v20
	v_cmp_le_i32_e64 s16, s27, v6
	v_writelane_b32 v80, s18, 16
	v_cmp_gt_u32_e64 s18, 0xc0, v11
	v_cmp_gt_i32_e64 s0, s63, v26
	v_and_b32_e32 v62, 0x7ff0, v11
	s_or_b32 s27, s15, s14
	s_or_b32 s29, s16, s14
	v_writelane_b32 v80, s18, 17
	v_cmp_gt_u32_e64 s18, 0xb0, v11
	v_cmp_gt_i32_e64 s16, s63, v0
	v_cmp_le_u32_e64 s14, v22, v20
	v_cmp_le_u32_e64 s15, v22, v6
	v_dual_mov_b32 v41, v1 :: v_dual_bitop2_b32 v0, v6, v22 bitop3:0x54
	v_writelane_b32 v80, s18, 18
	v_cmp_gt_u32_e64 s18, 0xa0, v11
	v_cmp_gt_i32_e32 vcc_lo, s63, v4
	v_cmp_eq_u32_e64 s1, 0, v10
	v_cmp_gt_u32_e64 s3, 2, v11
	v_cmp_gt_u32_e64 s5, 12, v11
	v_writelane_b32 v80, s18, 19
	v_cmp_gt_u32_e64 s18, 0x90, v11
	v_cmp_gt_u32_e64 s6, 8, v11
	v_add_nc_u32_e32 v59, 0x4000, v5
	v_cmp_gt_u32_e64 s9, 48, v11
	v_cmp_gt_u32_e64 s11, 32, v11
	v_writelane_b32 v80, s18, 20
	v_cmp_gt_u32_e64 s18, 0x80, v11
	v_add_nc_u32_e32 v65, 0x4000, v62
	v_lshl_add_u32 v67, v24, 4, 0x6000
	v_lshl_add_u32 v69, v11, 4, 0x4000
	v_add_nc_u32_e32 v25, 0x4000, v51
	v_writelane_b32 v80, s18, 21
	v_cmp_gt_u32_e64 s18, 0x70, v11
	v_lshl_add_u32 v70, v20, 9, v51
	s_and_b32 s21, s0, s16
	s_or_b32 s98, s27, s14
	s_or_b32 s99, s29, s15
	v_writelane_b32 v80, s18, 22
	v_cmp_gt_u32_e64 s18, 0x60, v11
	v_lshl_add_u32 v21, v6, 9, v51
	v_cmp_gt_u32_e64 s16, 24, v11
	v_cmp_eq_u32_e64 s27, 0, v24
	v_cmp_gt_u32_e64 s29, 32, v24
	v_writelane_b32 v80, s18, 23
	v_cmp_gt_u32_e64 s18, 0x50, v11
	v_cmp_ge_u32_e64 s30, v22, v20
	v_cmp_ge_u32_e64 s31, v22, v6
	v_cmp_gt_u32_e64 s33, 32, v10
	v_cmp_gt_u32_e64 s34, 32, v0
	s_and_b32 s20, s0, vcc_lo
	s_lshl_b64 s[60:61], s[54:55], 8
	s_lshl_b64 s[46:47], s[46:47], 4
	;; [unrolled: 1-line block ×3, first 2 shown]
	s_mov_b32 s49, 0x3ff00000
                                        ; implicit-def: $vgpr4_vgpr5
                                        ; implicit-def: $vgpr8_vgpr9
	v_writelane_b32 v80, s18, 24
	s_branch .LBB175_3
.LBB175_2:                              ;   in Loop: Header=BB175_3 Depth=1
	s_wait_xcnt 0x0
	s_or_b32 exec_lo, exec_lo, s18
	s_add_co_i32 s52, s52, 0x10000
	global_wb scope:SCOPE_DEV
	s_wait_storecnt 0x0
	global_inv scope:SCOPE_DEV
	s_cmp_lt_u32 s52, s62
	s_cbranch_scc0 .LBB175_512
.LBB175_3:                              ; =>This Loop Header: Depth=1
                                        ;     Child Loop BB175_431 Depth 2
                                        ;       Child Loop BB175_433 Depth 3
                                        ;     Child Loop BB175_464 Depth 2
	v_mov_b32_e32 v0, s52
	s_and_not1_b32 vcc_lo, exec_lo, s65
	s_clause 0x1
	global_load_b64 v[2:3], v0, s[44:45] scale_offset
	global_load_b64 v[44:45], v0, s[38:39] scale_offset
	global_load_b128 v[12:15], v1, s[36:37]
	s_wait_loadcnt 0x2
	v_add_nc_u64_e32 v[42:43], s[46:47], v[2:3]
	s_cbranch_vccnz .LBB175_9
; %bb.4:                                ;   in Loop: Header=BB175_3 Depth=1
	s_delay_alu instid0(VALU_DEP_1)
	v_lshl_add_u64 v[2:3], v[28:29], 4, v[42:43]
	v_mov_b64_e32 v[10:11], 0
	v_mov_b64_e32 v[4:5], 0
	;; [unrolled: 1-line block ×3, first 2 shown]
	s_wait_loadcnt 0x0
	v_lshl_add_u64 v[2:3], v[26:27], 4, v[2:3]
	s_barrier_signal -1
	s_barrier_wait -1
	s_wait_xcnt 0x0
	s_and_saveexec_b32 s18, s20
	s_cbranch_execz .LBB175_6
; %bb.5:                                ;   in Loop: Header=BB175_3 Depth=1
	flat_load_b128 v[4:7], v[2:3]
.LBB175_6:                              ;   in Loop: Header=BB175_3 Depth=1
	s_wait_xcnt 0x0
	s_or_b32 exec_lo, exec_lo, s18
	v_mov_b64_e32 v[8:9], 0
	s_wait_loadcnt_dscnt 0x0
	s_barrier_signal -1
	s_barrier_wait -1
	s_and_saveexec_b32 s18, s21
	s_cbranch_execz .LBB175_8
; %bb.7:                                ;   in Loop: Header=BB175_3 Depth=1
	v_add_nc_u64_e32 v[2:3], s[60:61], v[2:3]
	flat_load_b128 v[8:11], v[2:3]
.LBB175_8:                              ;   in Loop: Header=BB175_3 Depth=1
	s_wait_xcnt 0x0
	s_or_b32 exec_lo, exec_lo, s18
.LBB175_9:                              ;   in Loop: Header=BB175_3 Depth=1
	s_delay_alu instid0(VALU_DEP_1) | instskip(SKIP_2) | instid1(VALU_DEP_1)
	v_add_nc_u64_e32 v[2:3], s[58:59], v[42:43]
	s_and_not1_b32 vcc_lo, exec_lo, s66
	s_mov_b32 s18, -1
	v_add_nc_u64_e32 v[46:47], v[2:3], v[40:41]
	s_cbranch_vccnz .LBB175_18
; %bb.10:                               ;   in Loop: Header=BB175_3 Depth=1
	s_mov_b32 s35, 0
	s_wait_xcnt 0x0
	s_and_saveexec_b32 s18, s14
	s_delay_alu instid0(SALU_CYCLE_1)
	s_xor_b32 s18, exec_lo, s18
; %bb.11:                               ;   in Loop: Header=BB175_3 Depth=1
	s_and_b32 s35, s33, exec_lo
; %bb.12:                               ;   in Loop: Header=BB175_3 Depth=1
	s_or_saveexec_b32 s18, s18
	v_mov_b64_e32 v[18:19], 0
	v_mov_b64_e32 v[16:17], 0
	s_xor_b32 exec_lo, exec_lo, s18
	s_cbranch_execnz .LBB175_477
; %bb.13:                               ;   in Loop: Header=BB175_3 Depth=1
	s_or_b32 exec_lo, exec_lo, s18
	s_and_saveexec_b32 s18, s35
	s_cbranch_execnz .LBB175_478
.LBB175_14:                             ;   in Loop: Header=BB175_3 Depth=1
	s_or_b32 exec_lo, exec_lo, s18
	s_and_saveexec_b32 s18, s15
	s_delay_alu instid0(SALU_CYCLE_1)
	s_xor_b32 s18, exec_lo, s18
	s_cbranch_execnz .LBB175_479
.LBB175_15:                             ;   in Loop: Header=BB175_3 Depth=1
	s_and_not1_saveexec_b32 s18, s18
	s_cbranch_execz .LBB175_17
.LBB175_16:                             ;   in Loop: Header=BB175_3 Depth=1
	v_lshl_add_u64 v[2:3], v[38:39], 4, v[46:47]
	flat_load_b128 v[16:19], v[2:3]
	s_wait_loadcnt_dscnt 0x0
	v_xor_b32_e32 v17, 0x80000000, v17
	v_xor_b32_e32 v19, 0x80000000, v19
	ds_store_b128 v21, v[16:19]
.LBB175_17:                             ;   in Loop: Header=BB175_3 Depth=1
	s_or_b32 exec_lo, exec_lo, s18
	s_mov_b32 s18, 0
.LBB175_18:                             ;   in Loop: Header=BB175_3 Depth=1
	s_delay_alu instid0(SALU_CYCLE_1)
	s_and_b32 vcc_lo, exec_lo, s18
	s_cbranch_vccz .LBB175_27
; %bb.19:                               ;   in Loop: Header=BB175_3 Depth=1
	s_mov_b32 s35, 0
	s_wait_xcnt 0x0
	s_and_saveexec_b32 s18, s98
	s_delay_alu instid0(SALU_CYCLE_1)
	s_xor_b32 s18, exec_lo, s18
; %bb.20:                               ;   in Loop: Header=BB175_3 Depth=1
	s_and_b32 s35, s33, exec_lo
; %bb.21:                               ;   in Loop: Header=BB175_3 Depth=1
	s_or_saveexec_b32 s18, s18
	v_mov_b64_e32 v[18:19], 0
	v_mov_b64_e32 v[16:17], 0
	s_xor_b32 exec_lo, exec_lo, s18
	s_cbranch_execnz .LBB175_482
; %bb.22:                               ;   in Loop: Header=BB175_3 Depth=1
	s_or_b32 exec_lo, exec_lo, s18
	s_and_saveexec_b32 s18, s35
	s_cbranch_execnz .LBB175_483
.LBB175_23:                             ;   in Loop: Header=BB175_3 Depth=1
	s_or_b32 exec_lo, exec_lo, s18
	s_and_saveexec_b32 s18, s99
	s_delay_alu instid0(SALU_CYCLE_1)
	s_xor_b32 s18, exec_lo, s18
	s_cbranch_execnz .LBB175_484
.LBB175_24:                             ;   in Loop: Header=BB175_3 Depth=1
	s_and_not1_saveexec_b32 s18, s18
	s_cbranch_execz .LBB175_26
.LBB175_25:                             ;   in Loop: Header=BB175_3 Depth=1
	v_lshl_add_u64 v[2:3], v[38:39], 4, v[46:47]
	flat_load_b128 v[16:19], v[2:3]
	s_wait_loadcnt_dscnt 0x0
	v_xor_b32_e32 v17, 0x80000000, v17
	v_xor_b32_e32 v19, 0x80000000, v19
	ds_store_b128 v21, v[16:19]
.LBB175_26:                             ;   in Loop: Header=BB175_3 Depth=1
	s_or_b32 exec_lo, exec_lo, s18
.LBB175_27:                             ;   in Loop: Header=BB175_3 Depth=1
	s_delay_alu instid0(SALU_CYCLE_1)
	s_and_not1_b32 vcc_lo, exec_lo, s67
	s_wait_loadcnt_dscnt 0x0
	s_barrier_signal -1
	s_barrier_wait -1
	s_cbranch_vccnz .LBB175_425
; %bb.28:                               ;   in Loop: Header=BB175_3 Depth=1
	s_wait_xcnt 0x0
	s_and_saveexec_b32 s18, s1
	s_cbranch_execz .LBB175_30
; %bb.29:                               ;   in Loop: Header=BB175_3 Depth=1
	s_mov_b32 s48, s53
	s_mov_b32 s50, s53
	;; [unrolled: 1-line block ×3, first 2 shown]
	v_mov_b64_e32 v[16:17], s[48:49]
	v_mov_b64_e32 v[18:19], s[50:51]
	ds_store_b128 v1, v[16:19]
	ds_store_b128 v1, v[16:19] offset:528
.LBB175_30:                             ;   in Loop: Header=BB175_3 Depth=1
	s_or_b32 exec_lo, exec_lo, s18
	v_mov_b64_e32 v[18:19], 0
	v_mov_b64_e32 v[16:17], 0
	s_wait_dscnt 0x0
	s_barrier_signal -1
	s_barrier_wait -1
	s_and_saveexec_b32 s35, s2
	s_cbranch_execz .LBB175_34
; %bb.31:                               ;   in Loop: Header=BB175_3 Depth=1
	ds_load_b128 v[16:19], v50
	ds_load_b128 v[72:75], v49 offset:32
	s_wait_dscnt 0x0
	v_mul_f64_e32 v[2:3], v[18:19], v[74:75]
	v_mul_f64_e32 v[46:47], v[16:17], v[74:75]
	s_delay_alu instid0(VALU_DEP_2) | instskip(NEXT) | instid1(VALU_DEP_2)
	v_fma_f64 v[2:3], v[16:17], v[72:73], -v[2:3]
	v_fmac_f64_e32 v[46:47], v[18:19], v[72:73]
	s_delay_alu instid0(VALU_DEP_2) | instskip(NEXT) | instid1(VALU_DEP_2)
	v_add_f64_e32 v[16:17], 0, v[2:3]
	v_add_f64_e32 v[18:19], 0, v[46:47]
	s_and_saveexec_b32 s18, s3
	s_cbranch_execz .LBB175_33
; %bb.32:                               ;   in Loop: Header=BB175_3 Depth=1
	ds_load_b128 v[72:75], v1 offset:16
	ds_load_b128 v[76:79], v51 offset:544
	s_wait_dscnt 0x0
	v_mul_f64_e32 v[2:3], v[74:75], v[78:79]
	v_mul_f64_e32 v[46:47], v[72:73], v[78:79]
	s_delay_alu instid0(VALU_DEP_2) | instskip(NEXT) | instid1(VALU_DEP_2)
	v_fma_f64 v[2:3], v[72:73], v[76:77], -v[2:3]
	v_fmac_f64_e32 v[46:47], v[74:75], v[76:77]
	s_delay_alu instid0(VALU_DEP_2) | instskip(NEXT) | instid1(VALU_DEP_2)
	v_add_f64_e32 v[16:17], v[16:17], v[2:3]
	v_add_f64_e32 v[18:19], v[18:19], v[46:47]
.LBB175_33:                             ;   in Loop: Header=BB175_3 Depth=1
	s_or_b32 exec_lo, exec_lo, s18
	s_delay_alu instid0(VALU_DEP_2) | instskip(NEXT) | instid1(VALU_DEP_2)
	v_xor_b32_e32 v17, 0x80000000, v17
	v_xor_b32_e32 v19, 0x80000000, v19
.LBB175_34:                             ;   in Loop: Header=BB175_3 Depth=1
	s_or_b32 exec_lo, exec_lo, s35
	s_and_saveexec_b32 s18, s68
; %bb.35:                               ;   in Loop: Header=BB175_3 Depth=1
	ds_store_b128 v48, v[16:19]
; %bb.36:                               ;   in Loop: Header=BB175_3 Depth=1
	s_or_b32 exec_lo, exec_lo, s18
	s_wait_dscnt 0x0
	s_barrier_signal -1
	s_barrier_wait -1
	s_and_saveexec_b32 s18, s69
	s_cbranch_execz .LBB175_38
; %bb.37:                               ;   in Loop: Header=BB175_3 Depth=1
	ds_load_b128 v[72:75], v48
	ds_load_b128 v[76:79], v1 offset:1072
	s_wait_dscnt 0x0
	v_mul_f64_e32 v[2:3], v[74:75], v[78:79]
	v_mul_f64_e32 v[46:47], v[72:73], v[78:79]
	s_delay_alu instid0(VALU_DEP_2) | instskip(NEXT) | instid1(VALU_DEP_2)
	v_fma_f64 v[2:3], v[72:73], v[76:77], -v[2:3]
	v_fmac_f64_e32 v[46:47], v[74:75], v[76:77]
	s_delay_alu instid0(VALU_DEP_2) | instskip(NEXT) | instid1(VALU_DEP_2)
	v_add_f64_e32 v[16:17], v[16:17], v[2:3]
	v_add_f64_e32 v[18:19], v[18:19], v[46:47]
.LBB175_38:                             ;   in Loop: Header=BB175_3 Depth=1
	s_or_b32 exec_lo, exec_lo, s18
	s_barrier_signal -1
	s_barrier_wait -1
	s_and_saveexec_b32 s18, s69
; %bb.39:                               ;   in Loop: Header=BB175_3 Depth=1
	ds_store_b128 v48, v[16:19]
; %bb.40:                               ;   in Loop: Header=BB175_3 Depth=1
	s_or_b32 exec_lo, exec_lo, s18
	s_wait_dscnt 0x0
	s_barrier_signal -1
	s_barrier_wait -1
	s_barrier_signal -1
	s_barrier_wait -1
	s_and_saveexec_b32 s18, s2
; %bb.41:                               ;   in Loop: Header=BB175_3 Depth=1
	v_xor_b32_e32 v17, 0x80000000, v17
	v_xor_b32_e32 v19, 0x80000000, v19
	ds_store_b128 v49, v[16:19] offset:32
; %bb.42:                               ;   in Loop: Header=BB175_3 Depth=1
	s_or_b32 exec_lo, exec_lo, s18
	s_wait_dscnt 0x0
	s_barrier_signal -1
	s_barrier_wait -1
	s_barrier_signal -1
	s_barrier_wait -1
	s_and_saveexec_b32 s18, s1
	s_cbranch_execz .LBB175_44
; %bb.43:                               ;   in Loop: Header=BB175_3 Depth=1
	s_mov_b32 s48, s53
	s_mov_b32 s50, s53
	;; [unrolled: 1-line block ×3, first 2 shown]
	v_mov_b64_e32 v[16:17], s[48:49]
	v_mov_b64_e32 v[18:19], s[50:51]
	ds_store_b128 v1, v[16:19] offset:1056
	ds_store_b128 v1, v[16:19] offset:1584
.LBB175_44:                             ;   in Loop: Header=BB175_3 Depth=1
	s_or_b32 exec_lo, exec_lo, s18
	v_mov_b64_e32 v[18:19], 0
	v_mov_b64_e32 v[16:17], 0
	s_wait_dscnt 0x0
	s_barrier_signal -1
	s_barrier_wait -1
	s_and_saveexec_b32 s35, s4
	s_cbranch_execz .LBB175_50
; %bb.45:                               ;   in Loop: Header=BB175_3 Depth=1
	ds_load_b128 v[16:19], v53
	ds_load_b128 v[72:75], v55 offset:64
	s_wait_dscnt 0x0
	v_mul_f64_e32 v[2:3], v[18:19], v[74:75]
	v_mul_f64_e32 v[46:47], v[16:17], v[74:75]
	s_delay_alu instid0(VALU_DEP_2) | instskip(NEXT) | instid1(VALU_DEP_2)
	v_fma_f64 v[2:3], v[16:17], v[72:73], -v[2:3]
	v_fmac_f64_e32 v[46:47], v[18:19], v[72:73]
	s_delay_alu instid0(VALU_DEP_2) | instskip(NEXT) | instid1(VALU_DEP_2)
	v_add_f64_e32 v[16:17], 0, v[2:3]
	v_add_f64_e32 v[18:19], 0, v[46:47]
	s_and_saveexec_b32 s18, s5
	s_cbranch_execnz .LBB175_492
; %bb.46:                               ;   in Loop: Header=BB175_3 Depth=1
	s_or_b32 exec_lo, exec_lo, s18
	s_and_saveexec_b32 s18, s6
	s_cbranch_execnz .LBB175_493
.LBB175_47:                             ;   in Loop: Header=BB175_3 Depth=1
	s_or_b32 exec_lo, exec_lo, s18
	s_and_saveexec_b32 s18, s2
	s_cbranch_execz .LBB175_49
.LBB175_48:                             ;   in Loop: Header=BB175_3 Depth=1
	ds_load_b128 v[72:75], v1 offset:48
	ds_load_b128 v[76:79], v51 offset:1600
	s_wait_dscnt 0x0
	v_mul_f64_e32 v[2:3], v[74:75], v[78:79]
	v_mul_f64_e32 v[46:47], v[72:73], v[78:79]
	s_delay_alu instid0(VALU_DEP_2) | instskip(NEXT) | instid1(VALU_DEP_2)
	v_fma_f64 v[2:3], v[72:73], v[76:77], -v[2:3]
	v_fmac_f64_e32 v[46:47], v[74:75], v[76:77]
	s_delay_alu instid0(VALU_DEP_2) | instskip(NEXT) | instid1(VALU_DEP_2)
	v_add_f64_e32 v[16:17], v[16:17], v[2:3]
	v_add_f64_e32 v[18:19], v[18:19], v[46:47]
.LBB175_49:                             ;   in Loop: Header=BB175_3 Depth=1
	s_or_b32 exec_lo, exec_lo, s18
	s_delay_alu instid0(VALU_DEP_2) | instskip(NEXT) | instid1(VALU_DEP_2)
	v_xor_b32_e32 v17, 0x80000000, v17
	v_xor_b32_e32 v19, 0x80000000, v19
.LBB175_50:                             ;   in Loop: Header=BB175_3 Depth=1
	s_or_b32 exec_lo, exec_lo, s35
	s_and_saveexec_b32 s18, s70
; %bb.51:                               ;   in Loop: Header=BB175_3 Depth=1
	ds_store_b128 v54, v[16:19]
; %bb.52:                               ;   in Loop: Header=BB175_3 Depth=1
	s_or_b32 exec_lo, exec_lo, s18
	s_wait_dscnt 0x0
	s_barrier_signal -1
	s_barrier_wait -1
	s_and_saveexec_b32 s18, s71
	s_cbranch_execz .LBB175_54
; %bb.53:                               ;   in Loop: Header=BB175_3 Depth=1
	ds_load_b128 v[72:75], v54
	ds_load_b128 v[76:79], v52 offset:2112
	s_wait_dscnt 0x0
	v_mul_f64_e32 v[2:3], v[74:75], v[78:79]
	v_mul_f64_e32 v[46:47], v[72:73], v[78:79]
	s_delay_alu instid0(VALU_DEP_2) | instskip(NEXT) | instid1(VALU_DEP_2)
	v_fma_f64 v[2:3], v[72:73], v[76:77], -v[2:3]
	v_fmac_f64_e32 v[46:47], v[74:75], v[76:77]
	s_delay_alu instid0(VALU_DEP_2) | instskip(NEXT) | instid1(VALU_DEP_2)
	v_add_f64_e32 v[16:17], v[16:17], v[2:3]
	v_add_f64_e32 v[18:19], v[18:19], v[46:47]
.LBB175_54:                             ;   in Loop: Header=BB175_3 Depth=1
	s_or_b32 exec_lo, exec_lo, s18
	s_barrier_signal -1
	s_barrier_wait -1
	s_and_saveexec_b32 s18, s72
; %bb.55:                               ;   in Loop: Header=BB175_3 Depth=1
	ds_store_b128 v54, v[16:19]
; %bb.56:                               ;   in Loop: Header=BB175_3 Depth=1
	s_or_b32 exec_lo, exec_lo, s18
	s_wait_dscnt 0x0
	s_barrier_signal -1
	s_barrier_wait -1
	s_and_saveexec_b32 s18, s73
	s_cbranch_execz .LBB175_58
; %bb.57:                               ;   in Loop: Header=BB175_3 Depth=1
	ds_load_b128 v[72:75], v54
	ds_load_b128 v[76:79], v52 offset:2624
	s_wait_dscnt 0x0
	v_mul_f64_e32 v[2:3], v[74:75], v[78:79]
	v_mul_f64_e32 v[46:47], v[72:73], v[78:79]
	s_delay_alu instid0(VALU_DEP_2) | instskip(NEXT) | instid1(VALU_DEP_2)
	v_fma_f64 v[2:3], v[72:73], v[76:77], -v[2:3]
	v_fmac_f64_e32 v[46:47], v[74:75], v[76:77]
	s_delay_alu instid0(VALU_DEP_2) | instskip(NEXT) | instid1(VALU_DEP_2)
	v_add_f64_e32 v[16:17], v[16:17], v[2:3]
	v_add_f64_e32 v[18:19], v[18:19], v[46:47]
.LBB175_58:                             ;   in Loop: Header=BB175_3 Depth=1
	s_or_b32 exec_lo, exec_lo, s18
	s_barrier_signal -1
	s_barrier_wait -1
	s_and_saveexec_b32 s18, s74
; %bb.59:                               ;   in Loop: Header=BB175_3 Depth=1
	ds_store_b128 v54, v[16:19]
; %bb.60:                               ;   in Loop: Header=BB175_3 Depth=1
	s_or_b32 exec_lo, exec_lo, s18
	s_wait_dscnt 0x0
	s_barrier_signal -1
	s_barrier_wait -1
	s_and_saveexec_b32 s18, s75
	s_cbranch_execz .LBB175_62
; %bb.61:                               ;   in Loop: Header=BB175_3 Depth=1
	ds_load_b128 v[72:75], v54
	ds_load_b128 v[76:79], v1 offset:3184
	s_wait_dscnt 0x0
	v_mul_f64_e32 v[2:3], v[74:75], v[78:79]
	v_mul_f64_e32 v[46:47], v[72:73], v[78:79]
	s_delay_alu instid0(VALU_DEP_2) | instskip(NEXT) | instid1(VALU_DEP_2)
	v_fma_f64 v[2:3], v[72:73], v[76:77], -v[2:3]
	v_fmac_f64_e32 v[46:47], v[74:75], v[76:77]
	s_delay_alu instid0(VALU_DEP_2) | instskip(NEXT) | instid1(VALU_DEP_2)
	v_add_f64_e32 v[16:17], v[16:17], v[2:3]
	v_add_f64_e32 v[18:19], v[18:19], v[46:47]
.LBB175_62:                             ;   in Loop: Header=BB175_3 Depth=1
	s_or_b32 exec_lo, exec_lo, s18
	s_barrier_signal -1
	s_barrier_wait -1
	s_and_saveexec_b32 s18, s75
; %bb.63:                               ;   in Loop: Header=BB175_3 Depth=1
	ds_store_b128 v54, v[16:19]
; %bb.64:                               ;   in Loop: Header=BB175_3 Depth=1
	s_or_b32 exec_lo, exec_lo, s18
	s_wait_dscnt 0x0
	s_barrier_signal -1
	s_barrier_wait -1
	s_barrier_signal -1
	s_barrier_wait -1
	s_and_saveexec_b32 s18, s4
; %bb.65:                               ;   in Loop: Header=BB175_3 Depth=1
	v_xor_b32_e32 v19, 0x80000000, v19
	v_xor_b32_e32 v17, 0x80000000, v17
	ds_store_b128 v55, v[16:19] offset:64
; %bb.66:                               ;   in Loop: Header=BB175_3 Depth=1
	s_or_b32 exec_lo, exec_lo, s18
	s_wait_dscnt 0x0
	s_barrier_signal -1
	s_barrier_wait -1
	s_barrier_signal -1
	s_barrier_wait -1
	s_and_saveexec_b32 s18, s1
	s_cbranch_execz .LBB175_68
; %bb.67:                               ;   in Loop: Header=BB175_3 Depth=1
	s_mov_b32 s48, s53
	s_mov_b32 s50, s53
	;; [unrolled: 1-line block ×3, first 2 shown]
	v_mov_b64_e32 v[16:17], s[48:49]
	v_mov_b64_e32 v[18:19], s[50:51]
	ds_store_b128 v1, v[16:19] offset:2112
	ds_store_b128 v1, v[16:19] offset:2640
.LBB175_68:                             ;   in Loop: Header=BB175_3 Depth=1
	s_or_b32 exec_lo, exec_lo, s18
	v_mov_b64_e32 v[18:19], 0
	v_mov_b64_e32 v[16:17], 0
	s_wait_dscnt 0x0
	s_barrier_signal -1
	s_barrier_wait -1
	s_and_saveexec_b32 s35, s2
	s_cbranch_execz .LBB175_72
; %bb.69:                               ;   in Loop: Header=BB175_3 Depth=1
	ds_load_b128 v[16:19], v50 offset:2112
	ds_load_b128 v[72:75], v49 offset:2144
	s_wait_dscnt 0x0
	v_mul_f64_e32 v[2:3], v[18:19], v[74:75]
	v_mul_f64_e32 v[46:47], v[16:17], v[74:75]
	s_delay_alu instid0(VALU_DEP_2) | instskip(NEXT) | instid1(VALU_DEP_2)
	v_fma_f64 v[2:3], v[16:17], v[72:73], -v[2:3]
	v_fmac_f64_e32 v[46:47], v[18:19], v[72:73]
	s_delay_alu instid0(VALU_DEP_2) | instskip(NEXT) | instid1(VALU_DEP_2)
	v_add_f64_e32 v[16:17], 0, v[2:3]
	v_add_f64_e32 v[18:19], 0, v[46:47]
	s_and_saveexec_b32 s18, s3
	s_cbranch_execz .LBB175_71
; %bb.70:                               ;   in Loop: Header=BB175_3 Depth=1
	ds_load_b128 v[72:75], v1 offset:2128
	ds_load_b128 v[76:79], v51 offset:2656
	s_wait_dscnt 0x0
	v_mul_f64_e32 v[2:3], v[74:75], v[78:79]
	v_mul_f64_e32 v[46:47], v[72:73], v[78:79]
	s_delay_alu instid0(VALU_DEP_2) | instskip(NEXT) | instid1(VALU_DEP_2)
	v_fma_f64 v[2:3], v[72:73], v[76:77], -v[2:3]
	v_fmac_f64_e32 v[46:47], v[74:75], v[76:77]
	s_delay_alu instid0(VALU_DEP_2) | instskip(NEXT) | instid1(VALU_DEP_2)
	v_add_f64_e32 v[16:17], v[16:17], v[2:3]
	v_add_f64_e32 v[18:19], v[18:19], v[46:47]
.LBB175_71:                             ;   in Loop: Header=BB175_3 Depth=1
	s_or_b32 exec_lo, exec_lo, s18
	s_delay_alu instid0(VALU_DEP_2) | instskip(NEXT) | instid1(VALU_DEP_2)
	v_xor_b32_e32 v17, 0x80000000, v17
	v_xor_b32_e32 v19, 0x80000000, v19
.LBB175_72:                             ;   in Loop: Header=BB175_3 Depth=1
	s_or_b32 exec_lo, exec_lo, s35
	s_and_saveexec_b32 s18, s68
; %bb.73:                               ;   in Loop: Header=BB175_3 Depth=1
	ds_store_b128 v48, v[16:19]
; %bb.74:                               ;   in Loop: Header=BB175_3 Depth=1
	s_or_b32 exec_lo, exec_lo, s18
	s_wait_dscnt 0x0
	s_barrier_signal -1
	s_barrier_wait -1
	s_and_saveexec_b32 s18, s69
	s_cbranch_execz .LBB175_76
; %bb.75:                               ;   in Loop: Header=BB175_3 Depth=1
	ds_load_b128 v[72:75], v48
	ds_load_b128 v[76:79], v1 offset:3184
	s_wait_dscnt 0x0
	v_mul_f64_e32 v[2:3], v[74:75], v[78:79]
	v_mul_f64_e32 v[46:47], v[72:73], v[78:79]
	s_delay_alu instid0(VALU_DEP_2) | instskip(NEXT) | instid1(VALU_DEP_2)
	v_fma_f64 v[2:3], v[72:73], v[76:77], -v[2:3]
	v_fmac_f64_e32 v[46:47], v[74:75], v[76:77]
	s_delay_alu instid0(VALU_DEP_2) | instskip(NEXT) | instid1(VALU_DEP_2)
	v_add_f64_e32 v[16:17], v[16:17], v[2:3]
	v_add_f64_e32 v[18:19], v[18:19], v[46:47]
.LBB175_76:                             ;   in Loop: Header=BB175_3 Depth=1
	s_or_b32 exec_lo, exec_lo, s18
	s_barrier_signal -1
	s_barrier_wait -1
	s_and_saveexec_b32 s18, s69
; %bb.77:                               ;   in Loop: Header=BB175_3 Depth=1
	ds_store_b128 v48, v[16:19]
; %bb.78:                               ;   in Loop: Header=BB175_3 Depth=1
	s_or_b32 exec_lo, exec_lo, s18
	s_wait_dscnt 0x0
	s_barrier_signal -1
	s_barrier_wait -1
	s_barrier_signal -1
	s_barrier_wait -1
	s_and_saveexec_b32 s18, s2
; %bb.79:                               ;   in Loop: Header=BB175_3 Depth=1
	v_xor_b32_e32 v17, 0x80000000, v17
	v_xor_b32_e32 v19, 0x80000000, v19
	ds_store_b128 v49, v[16:19] offset:2144
; %bb.80:                               ;   in Loop: Header=BB175_3 Depth=1
	s_or_b32 exec_lo, exec_lo, s18
	s_wait_dscnt 0x0
	s_barrier_signal -1
	s_barrier_wait -1
	s_barrier_signal -1
	s_barrier_wait -1
	s_and_saveexec_b32 s18, s1
	s_cbranch_execz .LBB175_82
; %bb.81:                               ;   in Loop: Header=BB175_3 Depth=1
	s_mov_b32 s48, s53
	s_mov_b32 s50, s53
	;; [unrolled: 1-line block ×3, first 2 shown]
	v_mov_b64_e32 v[16:17], s[48:49]
	v_mov_b64_e32 v[18:19], s[50:51]
	ds_store_b128 v1, v[16:19] offset:3168
	ds_store_b128 v1, v[16:19] offset:3696
.LBB175_82:                             ;   in Loop: Header=BB175_3 Depth=1
	s_or_b32 exec_lo, exec_lo, s18
	v_mov_b64_e32 v[18:19], 0
	v_mov_b64_e32 v[16:17], 0
	s_wait_dscnt 0x0
	s_barrier_signal -1
	s_barrier_wait -1
	s_and_saveexec_b32 s35, s7
	s_cbranch_execz .LBB175_94
; %bb.83:                               ;   in Loop: Header=BB175_3 Depth=1
	ds_load_b128 v[16:19], v57
	ds_load_b128 v[72:75], v60 offset:128
	v_readlane_b32 s19, v80, 0
	s_wait_dscnt 0x0
	v_mul_f64_e32 v[2:3], v[18:19], v[74:75]
	v_mul_f64_e32 v[46:47], v[16:17], v[74:75]
	s_delay_alu instid0(VALU_DEP_2) | instskip(NEXT) | instid1(VALU_DEP_2)
	v_fma_f64 v[2:3], v[16:17], v[72:73], -v[2:3]
	v_fmac_f64_e32 v[46:47], v[18:19], v[72:73]
	s_delay_alu instid0(VALU_DEP_2) | instskip(NEXT) | instid1(VALU_DEP_2)
	v_add_f64_e32 v[16:17], 0, v[2:3]
	v_add_f64_e32 v[18:19], 0, v[46:47]
	s_and_saveexec_b32 s18, s19
	s_cbranch_execz .LBB175_85
; %bb.84:                               ;   in Loop: Header=BB175_3 Depth=1
	ds_load_b128 v[72:75], v57 offset:16
	ds_load_b128 v[76:79], v61 offset:640
	s_wait_dscnt 0x0
	v_mul_f64_e32 v[2:3], v[74:75], v[78:79]
	v_mul_f64_e32 v[46:47], v[72:73], v[78:79]
	s_delay_alu instid0(VALU_DEP_2) | instskip(NEXT) | instid1(VALU_DEP_2)
	v_fma_f64 v[2:3], v[72:73], v[76:77], -v[2:3]
	v_fmac_f64_e32 v[46:47], v[74:75], v[76:77]
	s_delay_alu instid0(VALU_DEP_2) | instskip(NEXT) | instid1(VALU_DEP_2)
	v_add_f64_e32 v[16:17], v[16:17], v[2:3]
	v_add_f64_e32 v[18:19], v[18:19], v[46:47]
.LBB175_85:                             ;   in Loop: Header=BB175_3 Depth=1
	s_or_b32 exec_lo, exec_lo, s18
	s_and_saveexec_b32 s18, s9
	s_cbranch_execz .LBB175_87
; %bb.86:                               ;   in Loop: Header=BB175_3 Depth=1
	ds_load_b128 v[72:75], v57 offset:32
	ds_load_b128 v[76:79], v61 offset:1152
	s_wait_dscnt 0x0
	v_mul_f64_e32 v[2:3], v[74:75], v[78:79]
	v_mul_f64_e32 v[46:47], v[72:73], v[78:79]
	s_delay_alu instid0(VALU_DEP_2) | instskip(NEXT) | instid1(VALU_DEP_2)
	v_fma_f64 v[2:3], v[72:73], v[76:77], -v[2:3]
	v_fmac_f64_e32 v[46:47], v[74:75], v[76:77]
	s_delay_alu instid0(VALU_DEP_2) | instskip(NEXT) | instid1(VALU_DEP_2)
	v_add_f64_e32 v[16:17], v[16:17], v[2:3]
	v_add_f64_e32 v[18:19], v[18:19], v[46:47]
.LBB175_87:                             ;   in Loop: Header=BB175_3 Depth=1
	s_or_b32 exec_lo, exec_lo, s18
	v_readlane_b32 s19, v80, 1
	s_and_saveexec_b32 s18, s19
	s_cbranch_execnz .LBB175_494
; %bb.88:                               ;   in Loop: Header=BB175_3 Depth=1
	s_or_b32 exec_lo, exec_lo, s18
	s_and_saveexec_b32 s18, s11
	s_cbranch_execnz .LBB175_495
.LBB175_89:                             ;   in Loop: Header=BB175_3 Depth=1
	s_or_b32 exec_lo, exec_lo, s18
	s_and_saveexec_b32 s18, s16
	s_cbranch_execnz .LBB175_496
.LBB175_90:                             ;   in Loop: Header=BB175_3 Depth=1
	s_or_b32 exec_lo, exec_lo, s18
	s_and_saveexec_b32 s18, s4
	s_cbranch_execnz .LBB175_497
.LBB175_91:                             ;   in Loop: Header=BB175_3 Depth=1
	s_or_b32 exec_lo, exec_lo, s18
	s_and_saveexec_b32 s18, s6
	s_cbranch_execz .LBB175_93
.LBB175_92:                             ;   in Loop: Header=BB175_3 Depth=1
	ds_load_b128 v[72:75], v1 offset:112
	ds_load_b128 v[76:79], v51 offset:3712
	s_wait_dscnt 0x0
	v_mul_f64_e32 v[2:3], v[74:75], v[78:79]
	v_mul_f64_e32 v[46:47], v[72:73], v[78:79]
	s_delay_alu instid0(VALU_DEP_2) | instskip(NEXT) | instid1(VALU_DEP_2)
	v_fma_f64 v[2:3], v[72:73], v[76:77], -v[2:3]
	v_fmac_f64_e32 v[46:47], v[74:75], v[76:77]
	s_delay_alu instid0(VALU_DEP_2) | instskip(NEXT) | instid1(VALU_DEP_2)
	v_add_f64_e32 v[16:17], v[16:17], v[2:3]
	v_add_f64_e32 v[18:19], v[18:19], v[46:47]
.LBB175_93:                             ;   in Loop: Header=BB175_3 Depth=1
	s_or_b32 exec_lo, exec_lo, s18
	s_delay_alu instid0(VALU_DEP_2) | instskip(NEXT) | instid1(VALU_DEP_2)
	v_xor_b32_e32 v17, 0x80000000, v17
	v_xor_b32_e32 v19, 0x80000000, v19
.LBB175_94:                             ;   in Loop: Header=BB175_3 Depth=1
	s_or_b32 exec_lo, exec_lo, s35
	s_and_saveexec_b32 s18, s76
; %bb.95:                               ;   in Loop: Header=BB175_3 Depth=1
	ds_store_b128 v59, v[16:19]
; %bb.96:                               ;   in Loop: Header=BB175_3 Depth=1
	s_or_b32 exec_lo, exec_lo, s18
	s_wait_dscnt 0x0
	s_barrier_signal -1
	s_barrier_wait -1
	s_and_saveexec_b32 s18, s77
	s_cbranch_execz .LBB175_98
; %bb.97:                               ;   in Loop: Header=BB175_3 Depth=1
	ds_load_b128 v[72:75], v59
	ds_load_b128 v[76:79], v58 offset:4224
	s_wait_dscnt 0x0
	v_mul_f64_e32 v[2:3], v[74:75], v[78:79]
	v_mul_f64_e32 v[46:47], v[72:73], v[78:79]
	s_delay_alu instid0(VALU_DEP_2) | instskip(NEXT) | instid1(VALU_DEP_2)
	v_fma_f64 v[2:3], v[72:73], v[76:77], -v[2:3]
	v_fmac_f64_e32 v[46:47], v[74:75], v[76:77]
	s_delay_alu instid0(VALU_DEP_2) | instskip(NEXT) | instid1(VALU_DEP_2)
	v_add_f64_e32 v[16:17], v[16:17], v[2:3]
	v_add_f64_e32 v[18:19], v[18:19], v[46:47]
.LBB175_98:                             ;   in Loop: Header=BB175_3 Depth=1
	s_or_b32 exec_lo, exec_lo, s18
	s_barrier_signal -1
	s_barrier_wait -1
	s_and_saveexec_b32 s18, s78
; %bb.99:                               ;   in Loop: Header=BB175_3 Depth=1
	ds_store_b128 v59, v[16:19]
; %bb.100:                              ;   in Loop: Header=BB175_3 Depth=1
	s_or_b32 exec_lo, exec_lo, s18
	s_wait_dscnt 0x0
	s_barrier_signal -1
	s_barrier_wait -1
	s_and_saveexec_b32 s18, s79
	s_cbranch_execz .LBB175_102
; %bb.101:                              ;   in Loop: Header=BB175_3 Depth=1
	ds_load_b128 v[72:75], v59
	ds_load_b128 v[76:79], v58 offset:4736
	s_wait_dscnt 0x0
	v_mul_f64_e32 v[2:3], v[74:75], v[78:79]
	v_mul_f64_e32 v[46:47], v[72:73], v[78:79]
	s_delay_alu instid0(VALU_DEP_2) | instskip(NEXT) | instid1(VALU_DEP_2)
	v_fma_f64 v[2:3], v[72:73], v[76:77], -v[2:3]
	v_fmac_f64_e32 v[46:47], v[74:75], v[76:77]
	s_delay_alu instid0(VALU_DEP_2) | instskip(NEXT) | instid1(VALU_DEP_2)
	v_add_f64_e32 v[16:17], v[16:17], v[2:3]
	v_add_f64_e32 v[18:19], v[18:19], v[46:47]
.LBB175_102:                            ;   in Loop: Header=BB175_3 Depth=1
	s_or_b32 exec_lo, exec_lo, s18
	s_barrier_signal -1
	s_barrier_wait -1
	s_and_saveexec_b32 s18, s80
; %bb.103:                              ;   in Loop: Header=BB175_3 Depth=1
	ds_store_b128 v59, v[16:19]
; %bb.104:                              ;   in Loop: Header=BB175_3 Depth=1
	s_or_b32 exec_lo, exec_lo, s18
	s_wait_dscnt 0x0
	s_barrier_signal -1
	s_barrier_wait -1
	s_and_saveexec_b32 s18, s81
	s_cbranch_execz .LBB175_106
; %bb.105:                              ;   in Loop: Header=BB175_3 Depth=1
	ds_load_b128 v[72:75], v59
	ds_load_b128 v[76:79], v58 offset:5248
	s_wait_dscnt 0x0
	v_mul_f64_e32 v[2:3], v[74:75], v[78:79]
	v_mul_f64_e32 v[46:47], v[72:73], v[78:79]
	s_delay_alu instid0(VALU_DEP_2) | instskip(NEXT) | instid1(VALU_DEP_2)
	v_fma_f64 v[2:3], v[72:73], v[76:77], -v[2:3]
	v_fmac_f64_e32 v[46:47], v[74:75], v[76:77]
	s_delay_alu instid0(VALU_DEP_2) | instskip(NEXT) | instid1(VALU_DEP_2)
	v_add_f64_e32 v[16:17], v[16:17], v[2:3]
	v_add_f64_e32 v[18:19], v[18:19], v[46:47]
.LBB175_106:                            ;   in Loop: Header=BB175_3 Depth=1
	s_or_b32 exec_lo, exec_lo, s18
	s_barrier_signal -1
	s_barrier_wait -1
	s_and_saveexec_b32 s18, s82
; %bb.107:                              ;   in Loop: Header=BB175_3 Depth=1
	;; [unrolled: 26-line block ×6, first 2 shown]
	ds_store_b128 v59, v[16:19]
; %bb.124:                              ;   in Loop: Header=BB175_3 Depth=1
	s_or_b32 exec_lo, exec_lo, s18
	s_wait_dscnt 0x0
	s_barrier_signal -1
	s_barrier_wait -1
	s_barrier_signal -1
	s_barrier_wait -1
	s_and_saveexec_b32 s18, s7
; %bb.125:                              ;   in Loop: Header=BB175_3 Depth=1
	v_xor_b32_e32 v17, 0x80000000, v17
	v_xor_b32_e32 v19, 0x80000000, v19
	ds_store_b128 v60, v[16:19] offset:128
; %bb.126:                              ;   in Loop: Header=BB175_3 Depth=1
	s_or_b32 exec_lo, exec_lo, s18
	s_wait_dscnt 0x0
	s_barrier_signal -1
	s_barrier_wait -1
	s_barrier_signal -1
	s_barrier_wait -1
	s_and_saveexec_b32 s18, s1
	s_cbranch_execz .LBB175_128
; %bb.127:                              ;   in Loop: Header=BB175_3 Depth=1
	s_mov_b32 s48, s53
	s_mov_b32 s50, s53
	;; [unrolled: 1-line block ×3, first 2 shown]
	v_mov_b64_e32 v[16:17], s[48:49]
	v_mov_b64_e32 v[18:19], s[50:51]
	ds_store_b128 v1, v[16:19] offset:4224
	ds_store_b128 v1, v[16:19] offset:4752
.LBB175_128:                            ;   in Loop: Header=BB175_3 Depth=1
	s_or_b32 exec_lo, exec_lo, s18
	v_mov_b64_e32 v[18:19], 0
	v_mov_b64_e32 v[16:17], 0
	s_wait_dscnt 0x0
	s_barrier_signal -1
	s_barrier_wait -1
	s_and_saveexec_b32 s35, s2
	s_cbranch_execz .LBB175_132
; %bb.129:                              ;   in Loop: Header=BB175_3 Depth=1
	ds_load_b128 v[16:19], v50 offset:4224
	ds_load_b128 v[72:75], v49 offset:4256
	s_wait_dscnt 0x0
	v_mul_f64_e32 v[2:3], v[18:19], v[74:75]
	v_mul_f64_e32 v[46:47], v[16:17], v[74:75]
	s_delay_alu instid0(VALU_DEP_2) | instskip(NEXT) | instid1(VALU_DEP_2)
	v_fma_f64 v[2:3], v[16:17], v[72:73], -v[2:3]
	v_fmac_f64_e32 v[46:47], v[18:19], v[72:73]
	s_delay_alu instid0(VALU_DEP_2) | instskip(NEXT) | instid1(VALU_DEP_2)
	v_add_f64_e32 v[16:17], 0, v[2:3]
	v_add_f64_e32 v[18:19], 0, v[46:47]
	s_and_saveexec_b32 s18, s3
	s_cbranch_execz .LBB175_131
; %bb.130:                              ;   in Loop: Header=BB175_3 Depth=1
	ds_load_b128 v[72:75], v1 offset:4240
	ds_load_b128 v[76:79], v51 offset:4768
	s_wait_dscnt 0x0
	v_mul_f64_e32 v[2:3], v[74:75], v[78:79]
	v_mul_f64_e32 v[46:47], v[72:73], v[78:79]
	s_delay_alu instid0(VALU_DEP_2) | instskip(NEXT) | instid1(VALU_DEP_2)
	v_fma_f64 v[2:3], v[72:73], v[76:77], -v[2:3]
	v_fmac_f64_e32 v[46:47], v[74:75], v[76:77]
	s_delay_alu instid0(VALU_DEP_2) | instskip(NEXT) | instid1(VALU_DEP_2)
	v_add_f64_e32 v[16:17], v[16:17], v[2:3]
	v_add_f64_e32 v[18:19], v[18:19], v[46:47]
.LBB175_131:                            ;   in Loop: Header=BB175_3 Depth=1
	s_or_b32 exec_lo, exec_lo, s18
	s_delay_alu instid0(VALU_DEP_2) | instskip(NEXT) | instid1(VALU_DEP_2)
	v_xor_b32_e32 v17, 0x80000000, v17
	v_xor_b32_e32 v19, 0x80000000, v19
.LBB175_132:                            ;   in Loop: Header=BB175_3 Depth=1
	s_or_b32 exec_lo, exec_lo, s35
	s_and_saveexec_b32 s18, s68
; %bb.133:                              ;   in Loop: Header=BB175_3 Depth=1
	ds_store_b128 v48, v[16:19]
; %bb.134:                              ;   in Loop: Header=BB175_3 Depth=1
	s_or_b32 exec_lo, exec_lo, s18
	s_wait_dscnt 0x0
	s_barrier_signal -1
	s_barrier_wait -1
	s_and_saveexec_b32 s18, s69
	s_cbranch_execz .LBB175_136
; %bb.135:                              ;   in Loop: Header=BB175_3 Depth=1
	ds_load_b128 v[72:75], v48
	ds_load_b128 v[76:79], v1 offset:5296
	s_wait_dscnt 0x0
	v_mul_f64_e32 v[2:3], v[74:75], v[78:79]
	v_mul_f64_e32 v[46:47], v[72:73], v[78:79]
	s_delay_alu instid0(VALU_DEP_2) | instskip(NEXT) | instid1(VALU_DEP_2)
	v_fma_f64 v[2:3], v[72:73], v[76:77], -v[2:3]
	v_fmac_f64_e32 v[46:47], v[74:75], v[76:77]
	s_delay_alu instid0(VALU_DEP_2) | instskip(NEXT) | instid1(VALU_DEP_2)
	v_add_f64_e32 v[16:17], v[16:17], v[2:3]
	v_add_f64_e32 v[18:19], v[18:19], v[46:47]
.LBB175_136:                            ;   in Loop: Header=BB175_3 Depth=1
	s_or_b32 exec_lo, exec_lo, s18
	s_barrier_signal -1
	s_barrier_wait -1
	s_and_saveexec_b32 s18, s69
; %bb.137:                              ;   in Loop: Header=BB175_3 Depth=1
	ds_store_b128 v48, v[16:19]
; %bb.138:                              ;   in Loop: Header=BB175_3 Depth=1
	s_or_b32 exec_lo, exec_lo, s18
	s_wait_dscnt 0x0
	s_barrier_signal -1
	s_barrier_wait -1
	s_barrier_signal -1
	s_barrier_wait -1
	s_and_saveexec_b32 s18, s2
; %bb.139:                              ;   in Loop: Header=BB175_3 Depth=1
	v_xor_b32_e32 v17, 0x80000000, v17
	v_xor_b32_e32 v19, 0x80000000, v19
	ds_store_b128 v49, v[16:19] offset:4256
; %bb.140:                              ;   in Loop: Header=BB175_3 Depth=1
	s_or_b32 exec_lo, exec_lo, s18
	s_wait_dscnt 0x0
	s_barrier_signal -1
	s_barrier_wait -1
	s_barrier_signal -1
	s_barrier_wait -1
	s_and_saveexec_b32 s18, s1
	s_cbranch_execz .LBB175_142
; %bb.141:                              ;   in Loop: Header=BB175_3 Depth=1
	s_mov_b32 s48, s53
	s_mov_b32 s50, s53
	;; [unrolled: 1-line block ×3, first 2 shown]
	v_mov_b64_e32 v[16:17], s[48:49]
	v_mov_b64_e32 v[18:19], s[50:51]
	ds_store_b128 v1, v[16:19] offset:5280
	ds_store_b128 v1, v[16:19] offset:5808
.LBB175_142:                            ;   in Loop: Header=BB175_3 Depth=1
	s_or_b32 exec_lo, exec_lo, s18
	v_mov_b64_e32 v[18:19], 0
	v_mov_b64_e32 v[16:17], 0
	s_wait_dscnt 0x0
	s_barrier_signal -1
	s_barrier_wait -1
	s_and_saveexec_b32 s35, s4
	s_cbranch_execz .LBB175_148
; %bb.143:                              ;   in Loop: Header=BB175_3 Depth=1
	ds_load_b128 v[16:19], v53 offset:4224
	ds_load_b128 v[72:75], v55 offset:4288
	s_wait_dscnt 0x0
	v_mul_f64_e32 v[2:3], v[18:19], v[74:75]
	v_mul_f64_e32 v[46:47], v[16:17], v[74:75]
	s_delay_alu instid0(VALU_DEP_2) | instskip(NEXT) | instid1(VALU_DEP_2)
	v_fma_f64 v[2:3], v[16:17], v[72:73], -v[2:3]
	v_fmac_f64_e32 v[46:47], v[18:19], v[72:73]
	s_delay_alu instid0(VALU_DEP_2) | instskip(NEXT) | instid1(VALU_DEP_2)
	v_add_f64_e32 v[16:17], 0, v[2:3]
	v_add_f64_e32 v[18:19], 0, v[46:47]
	s_and_saveexec_b32 s18, s5
	s_cbranch_execnz .LBB175_498
; %bb.144:                              ;   in Loop: Header=BB175_3 Depth=1
	s_or_b32 exec_lo, exec_lo, s18
	s_and_saveexec_b32 s18, s6
	s_cbranch_execnz .LBB175_499
.LBB175_145:                            ;   in Loop: Header=BB175_3 Depth=1
	s_or_b32 exec_lo, exec_lo, s18
	s_and_saveexec_b32 s18, s2
	s_cbranch_execz .LBB175_147
.LBB175_146:                            ;   in Loop: Header=BB175_3 Depth=1
	ds_load_b128 v[72:75], v1 offset:4272
	ds_load_b128 v[76:79], v51 offset:5824
	s_wait_dscnt 0x0
	v_mul_f64_e32 v[2:3], v[74:75], v[78:79]
	v_mul_f64_e32 v[46:47], v[72:73], v[78:79]
	s_delay_alu instid0(VALU_DEP_2) | instskip(NEXT) | instid1(VALU_DEP_2)
	v_fma_f64 v[2:3], v[72:73], v[76:77], -v[2:3]
	v_fmac_f64_e32 v[46:47], v[74:75], v[76:77]
	s_delay_alu instid0(VALU_DEP_2) | instskip(NEXT) | instid1(VALU_DEP_2)
	v_add_f64_e32 v[16:17], v[16:17], v[2:3]
	v_add_f64_e32 v[18:19], v[18:19], v[46:47]
.LBB175_147:                            ;   in Loop: Header=BB175_3 Depth=1
	s_or_b32 exec_lo, exec_lo, s18
	s_delay_alu instid0(VALU_DEP_2) | instskip(NEXT) | instid1(VALU_DEP_2)
	v_xor_b32_e32 v17, 0x80000000, v17
	v_xor_b32_e32 v19, 0x80000000, v19
.LBB175_148:                            ;   in Loop: Header=BB175_3 Depth=1
	s_or_b32 exec_lo, exec_lo, s35
	s_and_saveexec_b32 s18, s70
; %bb.149:                              ;   in Loop: Header=BB175_3 Depth=1
	ds_store_b128 v54, v[16:19]
; %bb.150:                              ;   in Loop: Header=BB175_3 Depth=1
	s_or_b32 exec_lo, exec_lo, s18
	s_wait_dscnt 0x0
	s_barrier_signal -1
	s_barrier_wait -1
	s_and_saveexec_b32 s18, s71
	s_cbranch_execz .LBB175_152
; %bb.151:                              ;   in Loop: Header=BB175_3 Depth=1
	ds_load_b128 v[72:75], v54
	ds_load_b128 v[76:79], v52 offset:6336
	s_wait_dscnt 0x0
	v_mul_f64_e32 v[2:3], v[74:75], v[78:79]
	v_mul_f64_e32 v[46:47], v[72:73], v[78:79]
	s_delay_alu instid0(VALU_DEP_2) | instskip(NEXT) | instid1(VALU_DEP_2)
	v_fma_f64 v[2:3], v[72:73], v[76:77], -v[2:3]
	v_fmac_f64_e32 v[46:47], v[74:75], v[76:77]
	s_delay_alu instid0(VALU_DEP_2) | instskip(NEXT) | instid1(VALU_DEP_2)
	v_add_f64_e32 v[16:17], v[16:17], v[2:3]
	v_add_f64_e32 v[18:19], v[18:19], v[46:47]
.LBB175_152:                            ;   in Loop: Header=BB175_3 Depth=1
	s_or_b32 exec_lo, exec_lo, s18
	s_barrier_signal -1
	s_barrier_wait -1
	s_and_saveexec_b32 s18, s72
; %bb.153:                              ;   in Loop: Header=BB175_3 Depth=1
	ds_store_b128 v54, v[16:19]
; %bb.154:                              ;   in Loop: Header=BB175_3 Depth=1
	s_or_b32 exec_lo, exec_lo, s18
	s_wait_dscnt 0x0
	s_barrier_signal -1
	s_barrier_wait -1
	s_and_saveexec_b32 s18, s73
	s_cbranch_execz .LBB175_156
; %bb.155:                              ;   in Loop: Header=BB175_3 Depth=1
	ds_load_b128 v[72:75], v54
	ds_load_b128 v[76:79], v52 offset:6848
	s_wait_dscnt 0x0
	v_mul_f64_e32 v[2:3], v[74:75], v[78:79]
	v_mul_f64_e32 v[46:47], v[72:73], v[78:79]
	s_delay_alu instid0(VALU_DEP_2) | instskip(NEXT) | instid1(VALU_DEP_2)
	v_fma_f64 v[2:3], v[72:73], v[76:77], -v[2:3]
	v_fmac_f64_e32 v[46:47], v[74:75], v[76:77]
	s_delay_alu instid0(VALU_DEP_2) | instskip(NEXT) | instid1(VALU_DEP_2)
	v_add_f64_e32 v[16:17], v[16:17], v[2:3]
	v_add_f64_e32 v[18:19], v[18:19], v[46:47]
.LBB175_156:                            ;   in Loop: Header=BB175_3 Depth=1
	s_or_b32 exec_lo, exec_lo, s18
	s_barrier_signal -1
	s_barrier_wait -1
	;; [unrolled: 26-line block ×3, first 2 shown]
	s_and_saveexec_b32 s18, s75
; %bb.161:                              ;   in Loop: Header=BB175_3 Depth=1
	ds_store_b128 v54, v[16:19]
; %bb.162:                              ;   in Loop: Header=BB175_3 Depth=1
	s_or_b32 exec_lo, exec_lo, s18
	s_wait_dscnt 0x0
	s_barrier_signal -1
	s_barrier_wait -1
	s_barrier_signal -1
	s_barrier_wait -1
	s_and_saveexec_b32 s18, s4
; %bb.163:                              ;   in Loop: Header=BB175_3 Depth=1
	v_xor_b32_e32 v19, 0x80000000, v19
	v_xor_b32_e32 v17, 0x80000000, v17
	ds_store_b128 v55, v[16:19] offset:4288
; %bb.164:                              ;   in Loop: Header=BB175_3 Depth=1
	s_or_b32 exec_lo, exec_lo, s18
	s_wait_dscnt 0x0
	s_barrier_signal -1
	s_barrier_wait -1
	s_barrier_signal -1
	s_barrier_wait -1
	s_and_saveexec_b32 s18, s1
	s_cbranch_execz .LBB175_166
; %bb.165:                              ;   in Loop: Header=BB175_3 Depth=1
	s_mov_b32 s48, s53
	s_mov_b32 s50, s53
	;; [unrolled: 1-line block ×3, first 2 shown]
	v_mov_b64_e32 v[16:17], s[48:49]
	v_mov_b64_e32 v[18:19], s[50:51]
	ds_store_b128 v1, v[16:19] offset:6336
	ds_store_b128 v1, v[16:19] offset:6864
.LBB175_166:                            ;   in Loop: Header=BB175_3 Depth=1
	s_or_b32 exec_lo, exec_lo, s18
	v_mov_b64_e32 v[18:19], 0
	v_mov_b64_e32 v[16:17], 0
	s_wait_dscnt 0x0
	s_barrier_signal -1
	s_barrier_wait -1
	s_and_saveexec_b32 s35, s2
	s_cbranch_execz .LBB175_170
; %bb.167:                              ;   in Loop: Header=BB175_3 Depth=1
	ds_load_b128 v[16:19], v50 offset:6336
	ds_load_b128 v[72:75], v49 offset:6368
	s_wait_dscnt 0x0
	v_mul_f64_e32 v[2:3], v[18:19], v[74:75]
	v_mul_f64_e32 v[46:47], v[16:17], v[74:75]
	s_delay_alu instid0(VALU_DEP_2) | instskip(NEXT) | instid1(VALU_DEP_2)
	v_fma_f64 v[2:3], v[16:17], v[72:73], -v[2:3]
	v_fmac_f64_e32 v[46:47], v[18:19], v[72:73]
	s_delay_alu instid0(VALU_DEP_2) | instskip(NEXT) | instid1(VALU_DEP_2)
	v_add_f64_e32 v[16:17], 0, v[2:3]
	v_add_f64_e32 v[18:19], 0, v[46:47]
	s_and_saveexec_b32 s18, s3
	s_cbranch_execz .LBB175_169
; %bb.168:                              ;   in Loop: Header=BB175_3 Depth=1
	ds_load_b128 v[72:75], v1 offset:6352
	ds_load_b128 v[76:79], v51 offset:6880
	s_wait_dscnt 0x0
	v_mul_f64_e32 v[2:3], v[74:75], v[78:79]
	v_mul_f64_e32 v[46:47], v[72:73], v[78:79]
	s_delay_alu instid0(VALU_DEP_2) | instskip(NEXT) | instid1(VALU_DEP_2)
	v_fma_f64 v[2:3], v[72:73], v[76:77], -v[2:3]
	v_fmac_f64_e32 v[46:47], v[74:75], v[76:77]
	s_delay_alu instid0(VALU_DEP_2) | instskip(NEXT) | instid1(VALU_DEP_2)
	v_add_f64_e32 v[16:17], v[16:17], v[2:3]
	v_add_f64_e32 v[18:19], v[18:19], v[46:47]
.LBB175_169:                            ;   in Loop: Header=BB175_3 Depth=1
	s_or_b32 exec_lo, exec_lo, s18
	s_delay_alu instid0(VALU_DEP_2) | instskip(NEXT) | instid1(VALU_DEP_2)
	v_xor_b32_e32 v17, 0x80000000, v17
	v_xor_b32_e32 v19, 0x80000000, v19
.LBB175_170:                            ;   in Loop: Header=BB175_3 Depth=1
	s_or_b32 exec_lo, exec_lo, s35
	s_and_saveexec_b32 s18, s68
; %bb.171:                              ;   in Loop: Header=BB175_3 Depth=1
	ds_store_b128 v48, v[16:19]
; %bb.172:                              ;   in Loop: Header=BB175_3 Depth=1
	s_or_b32 exec_lo, exec_lo, s18
	s_wait_dscnt 0x0
	s_barrier_signal -1
	s_barrier_wait -1
	s_and_saveexec_b32 s18, s69
	s_cbranch_execz .LBB175_174
; %bb.173:                              ;   in Loop: Header=BB175_3 Depth=1
	ds_load_b128 v[72:75], v48
	ds_load_b128 v[76:79], v1 offset:7408
	s_wait_dscnt 0x0
	v_mul_f64_e32 v[2:3], v[74:75], v[78:79]
	v_mul_f64_e32 v[46:47], v[72:73], v[78:79]
	s_delay_alu instid0(VALU_DEP_2) | instskip(NEXT) | instid1(VALU_DEP_2)
	v_fma_f64 v[2:3], v[72:73], v[76:77], -v[2:3]
	v_fmac_f64_e32 v[46:47], v[74:75], v[76:77]
	s_delay_alu instid0(VALU_DEP_2) | instskip(NEXT) | instid1(VALU_DEP_2)
	v_add_f64_e32 v[16:17], v[16:17], v[2:3]
	v_add_f64_e32 v[18:19], v[18:19], v[46:47]
.LBB175_174:                            ;   in Loop: Header=BB175_3 Depth=1
	s_or_b32 exec_lo, exec_lo, s18
	s_barrier_signal -1
	s_barrier_wait -1
	s_and_saveexec_b32 s18, s69
; %bb.175:                              ;   in Loop: Header=BB175_3 Depth=1
	ds_store_b128 v48, v[16:19]
; %bb.176:                              ;   in Loop: Header=BB175_3 Depth=1
	s_or_b32 exec_lo, exec_lo, s18
	s_wait_dscnt 0x0
	s_barrier_signal -1
	s_barrier_wait -1
	s_barrier_signal -1
	s_barrier_wait -1
	s_and_saveexec_b32 s18, s2
; %bb.177:                              ;   in Loop: Header=BB175_3 Depth=1
	v_xor_b32_e32 v17, 0x80000000, v17
	v_xor_b32_e32 v19, 0x80000000, v19
	ds_store_b128 v49, v[16:19] offset:6368
; %bb.178:                              ;   in Loop: Header=BB175_3 Depth=1
	s_or_b32 exec_lo, exec_lo, s18
	s_wait_dscnt 0x0
	s_barrier_signal -1
	s_barrier_wait -1
	s_barrier_signal -1
	s_barrier_wait -1
	s_and_saveexec_b32 s18, s1
	s_cbranch_execz .LBB175_180
; %bb.179:                              ;   in Loop: Header=BB175_3 Depth=1
	s_mov_b32 s48, s53
	s_mov_b32 s50, s53
	;; [unrolled: 1-line block ×3, first 2 shown]
	v_mov_b64_e32 v[16:17], s[48:49]
	v_mov_b64_e32 v[18:19], s[50:51]
	ds_store_b128 v1, v[16:19] offset:7392
	ds_store_b128 v1, v[16:19] offset:7920
.LBB175_180:                            ;   in Loop: Header=BB175_3 Depth=1
	s_or_b32 exec_lo, exec_lo, s18
	v_mov_b64_e32 v[18:19], 0
	v_mov_b64_e32 v[16:17], 0
	s_wait_dscnt 0x0
	s_barrier_signal -1
	s_barrier_wait -1
	s_and_saveexec_b32 s35, s12
	s_cbranch_execz .LBB175_208
; %bb.181:                              ;   in Loop: Header=BB175_3 Depth=1
	v_add_nc_u32_e32 v0, v63, v62
	v_readlane_b32 s19, v80, 14
	ds_load_b128 v[16:19], v66 offset:256
	ds_load_b128 v[72:75], v0
	s_wait_dscnt 0x0
	v_mul_f64_e32 v[2:3], v[74:75], v[18:19]
	v_mul_f64_e32 v[18:19], v[72:73], v[18:19]
	s_delay_alu instid0(VALU_DEP_2) | instskip(NEXT) | instid1(VALU_DEP_2)
	v_fma_f64 v[2:3], v[72:73], v[16:17], -v[2:3]
	v_fmac_f64_e32 v[18:19], v[74:75], v[16:17]
	s_delay_alu instid0(VALU_DEP_2) | instskip(NEXT) | instid1(VALU_DEP_2)
	v_add_f64_e32 v[16:17], 0, v[2:3]
	v_add_f64_e32 v[18:19], 0, v[18:19]
	s_and_saveexec_b32 s18, s19
	s_cbranch_execz .LBB175_183
; %bb.182:                              ;   in Loop: Header=BB175_3 Depth=1
	ds_load_b128 v[72:75], v0 offset:16
	ds_load_b128 v[76:79], v66 offset:768
	s_wait_dscnt 0x0
	v_mul_f64_e32 v[2:3], v[74:75], v[78:79]
	v_mul_f64_e32 v[46:47], v[72:73], v[78:79]
	s_delay_alu instid0(VALU_DEP_2) | instskip(NEXT) | instid1(VALU_DEP_2)
	v_fma_f64 v[2:3], v[72:73], v[76:77], -v[2:3]
	v_fmac_f64_e32 v[46:47], v[74:75], v[76:77]
	s_delay_alu instid0(VALU_DEP_2) | instskip(NEXT) | instid1(VALU_DEP_2)
	v_add_f64_e32 v[16:17], v[16:17], v[2:3]
	v_add_f64_e32 v[18:19], v[18:19], v[46:47]
.LBB175_183:                            ;   in Loop: Header=BB175_3 Depth=1
	s_or_b32 exec_lo, exec_lo, s18
	v_readlane_b32 s19, v80, 15
	s_and_saveexec_b32 s18, s19
	s_cbranch_execz .LBB175_185
; %bb.184:                              ;   in Loop: Header=BB175_3 Depth=1
	ds_load_b128 v[72:75], v0 offset:32
	ds_load_b128 v[76:79], v66 offset:1280
	s_wait_dscnt 0x0
	v_mul_f64_e32 v[2:3], v[74:75], v[78:79]
	v_mul_f64_e32 v[46:47], v[72:73], v[78:79]
	s_delay_alu instid0(VALU_DEP_2) | instskip(NEXT) | instid1(VALU_DEP_2)
	v_fma_f64 v[2:3], v[72:73], v[76:77], -v[2:3]
	v_fmac_f64_e32 v[46:47], v[74:75], v[76:77]
	s_delay_alu instid0(VALU_DEP_2) | instskip(NEXT) | instid1(VALU_DEP_2)
	v_add_f64_e32 v[16:17], v[16:17], v[2:3]
	v_add_f64_e32 v[18:19], v[18:19], v[46:47]
.LBB175_185:                            ;   in Loop: Header=BB175_3 Depth=1
	s_or_b32 exec_lo, exec_lo, s18
	v_readlane_b32 s19, v80, 16
	;; [unrolled: 17-line block ×10, first 2 shown]
	s_and_saveexec_b32 s18, s19
	s_cbranch_execnz .LBB175_500
; %bb.202:                              ;   in Loop: Header=BB175_3 Depth=1
	s_or_b32 exec_lo, exec_lo, s18
	s_and_saveexec_b32 s18, s7
	s_cbranch_execnz .LBB175_501
.LBB175_203:                            ;   in Loop: Header=BB175_3 Depth=1
	s_or_b32 exec_lo, exec_lo, s18
	s_and_saveexec_b32 s18, s9
	s_cbranch_execnz .LBB175_502
.LBB175_204:                            ;   in Loop: Header=BB175_3 Depth=1
	s_or_b32 exec_lo, exec_lo, s18
	s_and_saveexec_b32 s18, s11
	s_cbranch_execnz .LBB175_503
.LBB175_205:                            ;   in Loop: Header=BB175_3 Depth=1
	s_or_b32 exec_lo, exec_lo, s18
	s_and_saveexec_b32 s18, s4
	s_cbranch_execz .LBB175_207
.LBB175_206:                            ;   in Loop: Header=BB175_3 Depth=1
	ds_load_b128 v[72:75], v1 offset:240
	ds_load_b128 v[76:79], v51 offset:7936
	s_wait_dscnt 0x0
	v_mul_f64_e32 v[2:3], v[74:75], v[78:79]
	v_mul_f64_e32 v[46:47], v[72:73], v[78:79]
	s_delay_alu instid0(VALU_DEP_2) | instskip(NEXT) | instid1(VALU_DEP_2)
	v_fma_f64 v[2:3], v[72:73], v[76:77], -v[2:3]
	v_fmac_f64_e32 v[46:47], v[74:75], v[76:77]
	s_delay_alu instid0(VALU_DEP_2) | instskip(NEXT) | instid1(VALU_DEP_2)
	v_add_f64_e32 v[16:17], v[16:17], v[2:3]
	v_add_f64_e32 v[18:19], v[18:19], v[46:47]
.LBB175_207:                            ;   in Loop: Header=BB175_3 Depth=1
	s_or_b32 exec_lo, exec_lo, s18
	s_delay_alu instid0(VALU_DEP_2) | instskip(NEXT) | instid1(VALU_DEP_2)
	v_xor_b32_e32 v17, 0x80000000, v17
	v_xor_b32_e32 v19, 0x80000000, v19
.LBB175_208:                            ;   in Loop: Header=BB175_3 Depth=1
	s_or_b32 exec_lo, exec_lo, s35
	v_readlane_b32 s19, v80, 2
	s_and_saveexec_b32 s18, s19
; %bb.209:                              ;   in Loop: Header=BB175_3 Depth=1
	ds_store_b128 v65, v[16:19]
; %bb.210:                              ;   in Loop: Header=BB175_3 Depth=1
	s_or_b32 exec_lo, exec_lo, s18
	v_readlane_b32 s19, v80, 3
	s_wait_dscnt 0x0
	s_barrier_signal -1
	s_barrier_wait -1
	s_and_saveexec_b32 s18, s19
	s_cbranch_execz .LBB175_212
; %bb.211:                              ;   in Loop: Header=BB175_3 Depth=1
	ds_load_b128 v[72:75], v65
	ds_load_b128 v[76:79], v64 offset:8448
	s_wait_dscnt 0x0
	v_mul_f64_e32 v[2:3], v[74:75], v[78:79]
	v_mul_f64_e32 v[46:47], v[72:73], v[78:79]
	s_delay_alu instid0(VALU_DEP_2) | instskip(NEXT) | instid1(VALU_DEP_2)
	v_fma_f64 v[2:3], v[72:73], v[76:77], -v[2:3]
	v_fmac_f64_e32 v[46:47], v[74:75], v[76:77]
	s_delay_alu instid0(VALU_DEP_2) | instskip(NEXT) | instid1(VALU_DEP_2)
	v_add_f64_e32 v[16:17], v[16:17], v[2:3]
	v_add_f64_e32 v[18:19], v[18:19], v[46:47]
.LBB175_212:                            ;   in Loop: Header=BB175_3 Depth=1
	s_or_b32 exec_lo, exec_lo, s18
	v_readlane_b32 s19, v80, 4
	s_barrier_signal -1
	s_barrier_wait -1
	s_and_saveexec_b32 s18, s19
; %bb.213:                              ;   in Loop: Header=BB175_3 Depth=1
	ds_store_b128 v65, v[16:19]
; %bb.214:                              ;   in Loop: Header=BB175_3 Depth=1
	s_or_b32 exec_lo, exec_lo, s18
	v_readlane_b32 s19, v80, 5
	s_wait_dscnt 0x0
	s_barrier_signal -1
	s_barrier_wait -1
	s_and_saveexec_b32 s18, s19
	s_cbranch_execz .LBB175_216
; %bb.215:                              ;   in Loop: Header=BB175_3 Depth=1
	ds_load_b128 v[72:75], v65
	ds_load_b128 v[76:79], v64 offset:8960
	s_wait_dscnt 0x0
	v_mul_f64_e32 v[2:3], v[74:75], v[78:79]
	v_mul_f64_e32 v[46:47], v[72:73], v[78:79]
	s_delay_alu instid0(VALU_DEP_2) | instskip(NEXT) | instid1(VALU_DEP_2)
	v_fma_f64 v[2:3], v[72:73], v[76:77], -v[2:3]
	v_fmac_f64_e32 v[46:47], v[74:75], v[76:77]
	s_delay_alu instid0(VALU_DEP_2) | instskip(NEXT) | instid1(VALU_DEP_2)
	v_add_f64_e32 v[16:17], v[16:17], v[2:3]
	v_add_f64_e32 v[18:19], v[18:19], v[46:47]
.LBB175_216:                            ;   in Loop: Header=BB175_3 Depth=1
	s_or_b32 exec_lo, exec_lo, s18
	v_readlane_b32 s19, v80, 6
	s_barrier_signal -1
	s_barrier_wait -1
	;; [unrolled: 28-line block ×5, first 2 shown]
	s_and_saveexec_b32 s18, s19
; %bb.229:                              ;   in Loop: Header=BB175_3 Depth=1
	ds_store_b128 v65, v[16:19]
; %bb.230:                              ;   in Loop: Header=BB175_3 Depth=1
	s_or_b32 exec_lo, exec_lo, s18
	s_wait_dscnt 0x0
	s_barrier_signal -1
	s_barrier_wait -1
	s_and_saveexec_b32 s18, s101
	s_cbranch_execz .LBB175_232
; %bb.231:                              ;   in Loop: Header=BB175_3 Depth=1
	ds_load_b128 v[72:75], v65
	ds_load_b128 v[76:79], v64 offset:11008
	s_wait_dscnt 0x0
	v_mul_f64_e32 v[2:3], v[74:75], v[78:79]
	v_mul_f64_e32 v[46:47], v[72:73], v[78:79]
	s_delay_alu instid0(VALU_DEP_2) | instskip(NEXT) | instid1(VALU_DEP_2)
	v_fma_f64 v[2:3], v[72:73], v[76:77], -v[2:3]
	v_fmac_f64_e32 v[46:47], v[74:75], v[76:77]
	s_delay_alu instid0(VALU_DEP_2) | instskip(NEXT) | instid1(VALU_DEP_2)
	v_add_f64_e32 v[16:17], v[16:17], v[2:3]
	v_add_f64_e32 v[18:19], v[18:19], v[46:47]
.LBB175_232:                            ;   in Loop: Header=BB175_3 Depth=1
	s_or_b32 exec_lo, exec_lo, s18
	s_barrier_signal -1
	s_barrier_wait -1
	s_and_saveexec_b32 s18, s102
; %bb.233:                              ;   in Loop: Header=BB175_3 Depth=1
	ds_store_b128 v65, v[16:19]
; %bb.234:                              ;   in Loop: Header=BB175_3 Depth=1
	s_or_b32 exec_lo, exec_lo, s18
	s_wait_dscnt 0x0
	s_barrier_signal -1
	s_barrier_wait -1
	s_and_saveexec_b32 s18, s103
	s_cbranch_execz .LBB175_236
; %bb.235:                              ;   in Loop: Header=BB175_3 Depth=1
	ds_load_b128 v[72:75], v65
	ds_load_b128 v[76:79], v64 offset:11520
	s_wait_dscnt 0x0
	v_mul_f64_e32 v[2:3], v[74:75], v[78:79]
	v_mul_f64_e32 v[46:47], v[72:73], v[78:79]
	s_delay_alu instid0(VALU_DEP_2) | instskip(NEXT) | instid1(VALU_DEP_2)
	v_fma_f64 v[2:3], v[72:73], v[76:77], -v[2:3]
	v_fmac_f64_e32 v[46:47], v[74:75], v[76:77]
	s_delay_alu instid0(VALU_DEP_2) | instskip(NEXT) | instid1(VALU_DEP_2)
	v_add_f64_e32 v[16:17], v[16:17], v[2:3]
	v_add_f64_e32 v[18:19], v[18:19], v[46:47]
.LBB175_236:                            ;   in Loop: Header=BB175_3 Depth=1
	s_or_b32 exec_lo, exec_lo, s18
	s_barrier_signal -1
	s_barrier_wait -1
	s_and_saveexec_b32 s18, s104
; %bb.237:                              ;   in Loop: Header=BB175_3 Depth=1
	ds_store_b128 v65, v[16:19]
; %bb.238:                              ;   in Loop: Header=BB175_3 Depth=1
	s_or_b32 exec_lo, exec_lo, s18
	s_wait_dscnt 0x0
	s_barrier_signal -1
	s_barrier_wait -1
	s_and_saveexec_b32 s18, vcc_hi
	s_cbranch_execz .LBB175_240
; %bb.239:                              ;   in Loop: Header=BB175_3 Depth=1
	ds_load_b128 v[72:75], v65
	ds_load_b128 v[76:79], v64 offset:12032
	s_wait_dscnt 0x0
	v_mul_f64_e32 v[2:3], v[74:75], v[78:79]
	v_mul_f64_e32 v[46:47], v[72:73], v[78:79]
	s_delay_alu instid0(VALU_DEP_2) | instskip(NEXT) | instid1(VALU_DEP_2)
	v_fma_f64 v[2:3], v[72:73], v[76:77], -v[2:3]
	v_fmac_f64_e32 v[46:47], v[74:75], v[76:77]
	s_delay_alu instid0(VALU_DEP_2) | instskip(NEXT) | instid1(VALU_DEP_2)
	v_add_f64_e32 v[16:17], v[16:17], v[2:3]
	v_add_f64_e32 v[18:19], v[18:19], v[46:47]
.LBB175_240:                            ;   in Loop: Header=BB175_3 Depth=1
	s_or_b32 exec_lo, exec_lo, s18
	s_barrier_signal -1
	s_barrier_wait -1
	s_and_saveexec_b32 s18, s17
; %bb.241:                              ;   in Loop: Header=BB175_3 Depth=1
	ds_store_b128 v65, v[16:19]
; %bb.242:                              ;   in Loop: Header=BB175_3 Depth=1
	s_or_b32 exec_lo, exec_lo, s18
	s_wait_dscnt 0x0
	s_barrier_signal -1
	s_barrier_wait -1
	s_and_saveexec_b32 s18, s22
	s_cbranch_execz .LBB175_244
; %bb.243:                              ;   in Loop: Header=BB175_3 Depth=1
	ds_load_b128 v[72:75], v65
	ds_load_b128 v[76:79], v64 offset:12544
	s_wait_dscnt 0x0
	v_mul_f64_e32 v[2:3], v[74:75], v[78:79]
	v_mul_f64_e32 v[46:47], v[72:73], v[78:79]
	s_delay_alu instid0(VALU_DEP_2) | instskip(NEXT) | instid1(VALU_DEP_2)
	v_fma_f64 v[2:3], v[72:73], v[76:77], -v[2:3]
	v_fmac_f64_e32 v[46:47], v[74:75], v[76:77]
	s_delay_alu instid0(VALU_DEP_2) | instskip(NEXT) | instid1(VALU_DEP_2)
	v_add_f64_e32 v[16:17], v[16:17], v[2:3]
	v_add_f64_e32 v[18:19], v[18:19], v[46:47]
.LBB175_244:                            ;   in Loop: Header=BB175_3 Depth=1
	s_or_b32 exec_lo, exec_lo, s18
	s_barrier_signal -1
	s_barrier_wait -1
	s_and_saveexec_b32 s18, s23
; %bb.245:                              ;   in Loop: Header=BB175_3 Depth=1
	ds_store_b128 v65, v[16:19]
; %bb.246:                              ;   in Loop: Header=BB175_3 Depth=1
	s_or_b32 exec_lo, exec_lo, s18
	s_wait_dscnt 0x0
	s_barrier_signal -1
	s_barrier_wait -1
	s_and_saveexec_b32 s18, s24
	;; [unrolled: 26-line block ×7, first 2 shown]
	s_cbranch_execz .LBB175_268
; %bb.267:                              ;   in Loop: Header=BB175_3 Depth=1
	ds_load_b128 v[72:75], v65
	ds_load_b128 v[76:79], v1 offset:15856
	s_wait_dscnt 0x0
	v_mul_f64_e32 v[2:3], v[74:75], v[78:79]
	v_mul_f64_e32 v[46:47], v[72:73], v[78:79]
	s_delay_alu instid0(VALU_DEP_2) | instskip(NEXT) | instid1(VALU_DEP_2)
	v_fma_f64 v[2:3], v[72:73], v[76:77], -v[2:3]
	v_fmac_f64_e32 v[46:47], v[74:75], v[76:77]
	s_delay_alu instid0(VALU_DEP_2) | instskip(NEXT) | instid1(VALU_DEP_2)
	v_add_f64_e32 v[16:17], v[16:17], v[2:3]
	v_add_f64_e32 v[18:19], v[18:19], v[46:47]
.LBB175_268:                            ;   in Loop: Header=BB175_3 Depth=1
	s_or_b32 exec_lo, exec_lo, s18
	s_barrier_signal -1
	s_barrier_wait -1
	s_and_saveexec_b32 s18, s95
; %bb.269:                              ;   in Loop: Header=BB175_3 Depth=1
	ds_store_b128 v65, v[16:19]
; %bb.270:                              ;   in Loop: Header=BB175_3 Depth=1
	s_or_b32 exec_lo, exec_lo, s18
	s_wait_dscnt 0x0
	s_barrier_signal -1
	s_barrier_wait -1
	s_barrier_signal -1
	s_barrier_wait -1
	s_and_saveexec_b32 s18, s12
; %bb.271:                              ;   in Loop: Header=BB175_3 Depth=1
	v_xor_b32_e32 v19, 0x80000000, v19
	v_xor_b32_e32 v17, 0x80000000, v17
	ds_store_b128 v66, v[16:19] offset:256
; %bb.272:                              ;   in Loop: Header=BB175_3 Depth=1
	s_or_b32 exec_lo, exec_lo, s18
	s_wait_dscnt 0x0
	s_barrier_signal -1
	s_barrier_wait -1
	s_barrier_signal -1
	s_barrier_wait -1
	s_and_saveexec_b32 s18, s1
	s_cbranch_execz .LBB175_274
; %bb.273:                              ;   in Loop: Header=BB175_3 Depth=1
	s_mov_b32 s48, s53
	s_mov_b32 s50, s53
	;; [unrolled: 1-line block ×3, first 2 shown]
	v_mov_b64_e32 v[16:17], s[48:49]
	v_mov_b64_e32 v[18:19], s[50:51]
	ds_store_b128 v1, v[16:19] offset:8448
	ds_store_b128 v1, v[16:19] offset:8976
.LBB175_274:                            ;   in Loop: Header=BB175_3 Depth=1
	s_or_b32 exec_lo, exec_lo, s18
	v_mov_b64_e32 v[18:19], 0
	v_mov_b64_e32 v[16:17], 0
	s_wait_dscnt 0x0
	s_barrier_signal -1
	s_barrier_wait -1
	s_and_saveexec_b32 s35, s2
	s_cbranch_execz .LBB175_278
; %bb.275:                              ;   in Loop: Header=BB175_3 Depth=1
	ds_load_b128 v[16:19], v50 offset:8448
	ds_load_b128 v[72:75], v49 offset:8480
	s_wait_dscnt 0x0
	v_mul_f64_e32 v[2:3], v[18:19], v[74:75]
	v_mul_f64_e32 v[46:47], v[16:17], v[74:75]
	s_delay_alu instid0(VALU_DEP_2) | instskip(NEXT) | instid1(VALU_DEP_2)
	v_fma_f64 v[2:3], v[16:17], v[72:73], -v[2:3]
	v_fmac_f64_e32 v[46:47], v[18:19], v[72:73]
	s_delay_alu instid0(VALU_DEP_2) | instskip(NEXT) | instid1(VALU_DEP_2)
	v_add_f64_e32 v[16:17], 0, v[2:3]
	v_add_f64_e32 v[18:19], 0, v[46:47]
	s_and_saveexec_b32 s18, s3
	s_cbranch_execz .LBB175_277
; %bb.276:                              ;   in Loop: Header=BB175_3 Depth=1
	ds_load_b128 v[72:75], v1 offset:8464
	ds_load_b128 v[76:79], v51 offset:8992
	s_wait_dscnt 0x0
	v_mul_f64_e32 v[2:3], v[74:75], v[78:79]
	v_mul_f64_e32 v[46:47], v[72:73], v[78:79]
	s_delay_alu instid0(VALU_DEP_2) | instskip(NEXT) | instid1(VALU_DEP_2)
	v_fma_f64 v[2:3], v[72:73], v[76:77], -v[2:3]
	v_fmac_f64_e32 v[46:47], v[74:75], v[76:77]
	s_delay_alu instid0(VALU_DEP_2) | instskip(NEXT) | instid1(VALU_DEP_2)
	v_add_f64_e32 v[16:17], v[16:17], v[2:3]
	v_add_f64_e32 v[18:19], v[18:19], v[46:47]
.LBB175_277:                            ;   in Loop: Header=BB175_3 Depth=1
	s_or_b32 exec_lo, exec_lo, s18
	s_delay_alu instid0(VALU_DEP_2) | instskip(NEXT) | instid1(VALU_DEP_2)
	v_xor_b32_e32 v17, 0x80000000, v17
	v_xor_b32_e32 v19, 0x80000000, v19
.LBB175_278:                            ;   in Loop: Header=BB175_3 Depth=1
	s_or_b32 exec_lo, exec_lo, s35
	s_and_saveexec_b32 s18, s68
; %bb.279:                              ;   in Loop: Header=BB175_3 Depth=1
	ds_store_b128 v48, v[16:19]
; %bb.280:                              ;   in Loop: Header=BB175_3 Depth=1
	s_or_b32 exec_lo, exec_lo, s18
	s_wait_dscnt 0x0
	s_barrier_signal -1
	s_barrier_wait -1
	s_and_saveexec_b32 s18, s69
	s_cbranch_execz .LBB175_282
; %bb.281:                              ;   in Loop: Header=BB175_3 Depth=1
	ds_load_b128 v[72:75], v48
	ds_load_b128 v[76:79], v1 offset:9520
	s_wait_dscnt 0x0
	v_mul_f64_e32 v[2:3], v[74:75], v[78:79]
	v_mul_f64_e32 v[46:47], v[72:73], v[78:79]
	s_delay_alu instid0(VALU_DEP_2) | instskip(NEXT) | instid1(VALU_DEP_2)
	v_fma_f64 v[2:3], v[72:73], v[76:77], -v[2:3]
	v_fmac_f64_e32 v[46:47], v[74:75], v[76:77]
	s_delay_alu instid0(VALU_DEP_2) | instskip(NEXT) | instid1(VALU_DEP_2)
	v_add_f64_e32 v[16:17], v[16:17], v[2:3]
	v_add_f64_e32 v[18:19], v[18:19], v[46:47]
.LBB175_282:                            ;   in Loop: Header=BB175_3 Depth=1
	s_or_b32 exec_lo, exec_lo, s18
	s_barrier_signal -1
	s_barrier_wait -1
	s_and_saveexec_b32 s18, s69
; %bb.283:                              ;   in Loop: Header=BB175_3 Depth=1
	ds_store_b128 v48, v[16:19]
; %bb.284:                              ;   in Loop: Header=BB175_3 Depth=1
	s_or_b32 exec_lo, exec_lo, s18
	s_wait_dscnt 0x0
	s_barrier_signal -1
	s_barrier_wait -1
	s_barrier_signal -1
	s_barrier_wait -1
	s_and_saveexec_b32 s18, s2
; %bb.285:                              ;   in Loop: Header=BB175_3 Depth=1
	v_xor_b32_e32 v17, 0x80000000, v17
	v_xor_b32_e32 v19, 0x80000000, v19
	ds_store_b128 v49, v[16:19] offset:8480
; %bb.286:                              ;   in Loop: Header=BB175_3 Depth=1
	s_or_b32 exec_lo, exec_lo, s18
	s_wait_dscnt 0x0
	s_barrier_signal -1
	s_barrier_wait -1
	s_barrier_signal -1
	s_barrier_wait -1
	s_and_saveexec_b32 s18, s1
	s_cbranch_execz .LBB175_288
; %bb.287:                              ;   in Loop: Header=BB175_3 Depth=1
	s_mov_b32 s48, s53
	s_mov_b32 s50, s53
	;; [unrolled: 1-line block ×3, first 2 shown]
	v_mov_b64_e32 v[16:17], s[48:49]
	v_mov_b64_e32 v[18:19], s[50:51]
	ds_store_b128 v1, v[16:19] offset:9504
	ds_store_b128 v1, v[16:19] offset:10032
.LBB175_288:                            ;   in Loop: Header=BB175_3 Depth=1
	s_or_b32 exec_lo, exec_lo, s18
	v_mov_b64_e32 v[18:19], 0
	v_mov_b64_e32 v[16:17], 0
	s_wait_dscnt 0x0
	s_barrier_signal -1
	s_barrier_wait -1
	s_and_saveexec_b32 s35, s4
	s_cbranch_execz .LBB175_294
; %bb.289:                              ;   in Loop: Header=BB175_3 Depth=1
	ds_load_b128 v[16:19], v53 offset:8448
	ds_load_b128 v[72:75], v55 offset:8512
	s_wait_dscnt 0x0
	v_mul_f64_e32 v[2:3], v[18:19], v[74:75]
	v_mul_f64_e32 v[46:47], v[16:17], v[74:75]
	s_delay_alu instid0(VALU_DEP_2) | instskip(NEXT) | instid1(VALU_DEP_2)
	v_fma_f64 v[2:3], v[16:17], v[72:73], -v[2:3]
	v_fmac_f64_e32 v[46:47], v[18:19], v[72:73]
	s_delay_alu instid0(VALU_DEP_2) | instskip(NEXT) | instid1(VALU_DEP_2)
	v_add_f64_e32 v[16:17], 0, v[2:3]
	v_add_f64_e32 v[18:19], 0, v[46:47]
	s_and_saveexec_b32 s18, s5
	s_cbranch_execnz .LBB175_504
; %bb.290:                              ;   in Loop: Header=BB175_3 Depth=1
	s_or_b32 exec_lo, exec_lo, s18
	s_and_saveexec_b32 s18, s6
	s_cbranch_execnz .LBB175_505
.LBB175_291:                            ;   in Loop: Header=BB175_3 Depth=1
	s_or_b32 exec_lo, exec_lo, s18
	s_and_saveexec_b32 s18, s2
	s_cbranch_execz .LBB175_293
.LBB175_292:                            ;   in Loop: Header=BB175_3 Depth=1
	ds_load_b128 v[72:75], v1 offset:8496
	ds_load_b128 v[76:79], v51 offset:10048
	s_wait_dscnt 0x0
	v_mul_f64_e32 v[2:3], v[74:75], v[78:79]
	v_mul_f64_e32 v[46:47], v[72:73], v[78:79]
	s_delay_alu instid0(VALU_DEP_2) | instskip(NEXT) | instid1(VALU_DEP_2)
	v_fma_f64 v[2:3], v[72:73], v[76:77], -v[2:3]
	v_fmac_f64_e32 v[46:47], v[74:75], v[76:77]
	s_delay_alu instid0(VALU_DEP_2) | instskip(NEXT) | instid1(VALU_DEP_2)
	v_add_f64_e32 v[16:17], v[16:17], v[2:3]
	v_add_f64_e32 v[18:19], v[18:19], v[46:47]
.LBB175_293:                            ;   in Loop: Header=BB175_3 Depth=1
	s_or_b32 exec_lo, exec_lo, s18
	s_delay_alu instid0(VALU_DEP_2) | instskip(NEXT) | instid1(VALU_DEP_2)
	v_xor_b32_e32 v17, 0x80000000, v17
	v_xor_b32_e32 v19, 0x80000000, v19
.LBB175_294:                            ;   in Loop: Header=BB175_3 Depth=1
	s_or_b32 exec_lo, exec_lo, s35
	s_and_saveexec_b32 s18, s70
; %bb.295:                              ;   in Loop: Header=BB175_3 Depth=1
	ds_store_b128 v54, v[16:19]
; %bb.296:                              ;   in Loop: Header=BB175_3 Depth=1
	s_or_b32 exec_lo, exec_lo, s18
	s_wait_dscnt 0x0
	s_barrier_signal -1
	s_barrier_wait -1
	s_and_saveexec_b32 s18, s71
	s_cbranch_execz .LBB175_298
; %bb.297:                              ;   in Loop: Header=BB175_3 Depth=1
	ds_load_b128 v[72:75], v54
	ds_load_b128 v[76:79], v52 offset:10560
	s_wait_dscnt 0x0
	v_mul_f64_e32 v[2:3], v[74:75], v[78:79]
	v_mul_f64_e32 v[46:47], v[72:73], v[78:79]
	s_delay_alu instid0(VALU_DEP_2) | instskip(NEXT) | instid1(VALU_DEP_2)
	v_fma_f64 v[2:3], v[72:73], v[76:77], -v[2:3]
	v_fmac_f64_e32 v[46:47], v[74:75], v[76:77]
	s_delay_alu instid0(VALU_DEP_2) | instskip(NEXT) | instid1(VALU_DEP_2)
	v_add_f64_e32 v[16:17], v[16:17], v[2:3]
	v_add_f64_e32 v[18:19], v[18:19], v[46:47]
.LBB175_298:                            ;   in Loop: Header=BB175_3 Depth=1
	s_or_b32 exec_lo, exec_lo, s18
	s_barrier_signal -1
	s_barrier_wait -1
	s_and_saveexec_b32 s18, s72
; %bb.299:                              ;   in Loop: Header=BB175_3 Depth=1
	ds_store_b128 v54, v[16:19]
; %bb.300:                              ;   in Loop: Header=BB175_3 Depth=1
	s_or_b32 exec_lo, exec_lo, s18
	s_wait_dscnt 0x0
	s_barrier_signal -1
	s_barrier_wait -1
	s_and_saveexec_b32 s18, s73
	s_cbranch_execz .LBB175_302
; %bb.301:                              ;   in Loop: Header=BB175_3 Depth=1
	ds_load_b128 v[72:75], v54
	ds_load_b128 v[76:79], v52 offset:11072
	s_wait_dscnt 0x0
	v_mul_f64_e32 v[2:3], v[74:75], v[78:79]
	v_mul_f64_e32 v[46:47], v[72:73], v[78:79]
	s_delay_alu instid0(VALU_DEP_2) | instskip(NEXT) | instid1(VALU_DEP_2)
	v_fma_f64 v[2:3], v[72:73], v[76:77], -v[2:3]
	v_fmac_f64_e32 v[46:47], v[74:75], v[76:77]
	s_delay_alu instid0(VALU_DEP_2) | instskip(NEXT) | instid1(VALU_DEP_2)
	v_add_f64_e32 v[16:17], v[16:17], v[2:3]
	v_add_f64_e32 v[18:19], v[18:19], v[46:47]
.LBB175_302:                            ;   in Loop: Header=BB175_3 Depth=1
	s_or_b32 exec_lo, exec_lo, s18
	s_barrier_signal -1
	s_barrier_wait -1
	;; [unrolled: 26-line block ×3, first 2 shown]
	s_and_saveexec_b32 s18, s75
; %bb.307:                              ;   in Loop: Header=BB175_3 Depth=1
	ds_store_b128 v54, v[16:19]
; %bb.308:                              ;   in Loop: Header=BB175_3 Depth=1
	s_or_b32 exec_lo, exec_lo, s18
	s_wait_dscnt 0x0
	s_barrier_signal -1
	s_barrier_wait -1
	s_barrier_signal -1
	s_barrier_wait -1
	s_and_saveexec_b32 s18, s4
; %bb.309:                              ;   in Loop: Header=BB175_3 Depth=1
	v_xor_b32_e32 v19, 0x80000000, v19
	v_xor_b32_e32 v17, 0x80000000, v17
	ds_store_b128 v55, v[16:19] offset:8512
; %bb.310:                              ;   in Loop: Header=BB175_3 Depth=1
	s_or_b32 exec_lo, exec_lo, s18
	s_wait_dscnt 0x0
	s_barrier_signal -1
	s_barrier_wait -1
	s_barrier_signal -1
	s_barrier_wait -1
	s_and_saveexec_b32 s18, s1
	s_cbranch_execz .LBB175_312
; %bb.311:                              ;   in Loop: Header=BB175_3 Depth=1
	s_mov_b32 s48, s53
	s_mov_b32 s50, s53
	;; [unrolled: 1-line block ×3, first 2 shown]
	v_mov_b64_e32 v[16:17], s[48:49]
	v_mov_b64_e32 v[18:19], s[50:51]
	ds_store_b128 v1, v[16:19] offset:10560
	ds_store_b128 v1, v[16:19] offset:11088
.LBB175_312:                            ;   in Loop: Header=BB175_3 Depth=1
	s_or_b32 exec_lo, exec_lo, s18
	v_mov_b64_e32 v[18:19], 0
	v_mov_b64_e32 v[16:17], 0
	s_wait_dscnt 0x0
	s_barrier_signal -1
	s_barrier_wait -1
	s_and_saveexec_b32 s35, s2
	s_cbranch_execz .LBB175_316
; %bb.313:                              ;   in Loop: Header=BB175_3 Depth=1
	ds_load_b128 v[16:19], v50 offset:10560
	ds_load_b128 v[72:75], v49 offset:10592
	s_wait_dscnt 0x0
	v_mul_f64_e32 v[2:3], v[18:19], v[74:75]
	v_mul_f64_e32 v[46:47], v[16:17], v[74:75]
	s_delay_alu instid0(VALU_DEP_2) | instskip(NEXT) | instid1(VALU_DEP_2)
	v_fma_f64 v[2:3], v[16:17], v[72:73], -v[2:3]
	v_fmac_f64_e32 v[46:47], v[18:19], v[72:73]
	s_delay_alu instid0(VALU_DEP_2) | instskip(NEXT) | instid1(VALU_DEP_2)
	v_add_f64_e32 v[16:17], 0, v[2:3]
	v_add_f64_e32 v[18:19], 0, v[46:47]
	s_and_saveexec_b32 s18, s3
	s_cbranch_execz .LBB175_315
; %bb.314:                              ;   in Loop: Header=BB175_3 Depth=1
	ds_load_b128 v[72:75], v1 offset:10576
	ds_load_b128 v[76:79], v51 offset:11104
	s_wait_dscnt 0x0
	v_mul_f64_e32 v[2:3], v[74:75], v[78:79]
	v_mul_f64_e32 v[46:47], v[72:73], v[78:79]
	s_delay_alu instid0(VALU_DEP_2) | instskip(NEXT) | instid1(VALU_DEP_2)
	v_fma_f64 v[2:3], v[72:73], v[76:77], -v[2:3]
	v_fmac_f64_e32 v[46:47], v[74:75], v[76:77]
	s_delay_alu instid0(VALU_DEP_2) | instskip(NEXT) | instid1(VALU_DEP_2)
	v_add_f64_e32 v[16:17], v[16:17], v[2:3]
	v_add_f64_e32 v[18:19], v[18:19], v[46:47]
.LBB175_315:                            ;   in Loop: Header=BB175_3 Depth=1
	s_or_b32 exec_lo, exec_lo, s18
	s_delay_alu instid0(VALU_DEP_2) | instskip(NEXT) | instid1(VALU_DEP_2)
	v_xor_b32_e32 v17, 0x80000000, v17
	v_xor_b32_e32 v19, 0x80000000, v19
.LBB175_316:                            ;   in Loop: Header=BB175_3 Depth=1
	s_or_b32 exec_lo, exec_lo, s35
	s_and_saveexec_b32 s18, s68
; %bb.317:                              ;   in Loop: Header=BB175_3 Depth=1
	ds_store_b128 v48, v[16:19]
; %bb.318:                              ;   in Loop: Header=BB175_3 Depth=1
	s_or_b32 exec_lo, exec_lo, s18
	s_wait_dscnt 0x0
	s_barrier_signal -1
	s_barrier_wait -1
	s_and_saveexec_b32 s18, s69
	s_cbranch_execz .LBB175_320
; %bb.319:                              ;   in Loop: Header=BB175_3 Depth=1
	ds_load_b128 v[72:75], v48
	ds_load_b128 v[76:79], v1 offset:11632
	s_wait_dscnt 0x0
	v_mul_f64_e32 v[2:3], v[74:75], v[78:79]
	v_mul_f64_e32 v[46:47], v[72:73], v[78:79]
	s_delay_alu instid0(VALU_DEP_2) | instskip(NEXT) | instid1(VALU_DEP_2)
	v_fma_f64 v[2:3], v[72:73], v[76:77], -v[2:3]
	v_fmac_f64_e32 v[46:47], v[74:75], v[76:77]
	s_delay_alu instid0(VALU_DEP_2) | instskip(NEXT) | instid1(VALU_DEP_2)
	v_add_f64_e32 v[16:17], v[16:17], v[2:3]
	v_add_f64_e32 v[18:19], v[18:19], v[46:47]
.LBB175_320:                            ;   in Loop: Header=BB175_3 Depth=1
	s_or_b32 exec_lo, exec_lo, s18
	s_barrier_signal -1
	s_barrier_wait -1
	s_and_saveexec_b32 s18, s69
; %bb.321:                              ;   in Loop: Header=BB175_3 Depth=1
	ds_store_b128 v48, v[16:19]
; %bb.322:                              ;   in Loop: Header=BB175_3 Depth=1
	s_or_b32 exec_lo, exec_lo, s18
	s_wait_dscnt 0x0
	s_barrier_signal -1
	s_barrier_wait -1
	s_barrier_signal -1
	s_barrier_wait -1
	s_and_saveexec_b32 s18, s2
; %bb.323:                              ;   in Loop: Header=BB175_3 Depth=1
	v_xor_b32_e32 v17, 0x80000000, v17
	v_xor_b32_e32 v19, 0x80000000, v19
	ds_store_b128 v49, v[16:19] offset:10592
; %bb.324:                              ;   in Loop: Header=BB175_3 Depth=1
	s_or_b32 exec_lo, exec_lo, s18
	s_wait_dscnt 0x0
	s_barrier_signal -1
	s_barrier_wait -1
	s_barrier_signal -1
	s_barrier_wait -1
	s_and_saveexec_b32 s18, s1
	s_cbranch_execz .LBB175_326
; %bb.325:                              ;   in Loop: Header=BB175_3 Depth=1
	s_mov_b32 s48, s53
	s_mov_b32 s50, s53
	s_mov_b32 s51, s53
	v_mov_b64_e32 v[16:17], s[48:49]
	v_mov_b64_e32 v[18:19], s[50:51]
	ds_store_b128 v1, v[16:19] offset:11616
	ds_store_b128 v1, v[16:19] offset:12144
.LBB175_326:                            ;   in Loop: Header=BB175_3 Depth=1
	s_or_b32 exec_lo, exec_lo, s18
	v_mov_b64_e32 v[18:19], 0
	v_mov_b64_e32 v[16:17], 0
	s_wait_dscnt 0x0
	s_barrier_signal -1
	s_barrier_wait -1
	s_and_saveexec_b32 s35, s7
	s_cbranch_execz .LBB175_338
; %bb.327:                              ;   in Loop: Header=BB175_3 Depth=1
	ds_load_b128 v[16:19], v57 offset:8448
	ds_load_b128 v[72:75], v60 offset:8576
	v_readlane_b32 s19, v80, 0
	s_wait_dscnt 0x0
	v_mul_f64_e32 v[2:3], v[18:19], v[74:75]
	v_mul_f64_e32 v[46:47], v[16:17], v[74:75]
	s_delay_alu instid0(VALU_DEP_2) | instskip(NEXT) | instid1(VALU_DEP_2)
	v_fma_f64 v[2:3], v[16:17], v[72:73], -v[2:3]
	v_fmac_f64_e32 v[46:47], v[18:19], v[72:73]
	s_delay_alu instid0(VALU_DEP_2) | instskip(NEXT) | instid1(VALU_DEP_2)
	v_add_f64_e32 v[16:17], 0, v[2:3]
	v_add_f64_e32 v[18:19], 0, v[46:47]
	s_and_saveexec_b32 s18, s19
	s_cbranch_execz .LBB175_329
; %bb.328:                              ;   in Loop: Header=BB175_3 Depth=1
	ds_load_b128 v[72:75], v57 offset:8464
	ds_load_b128 v[76:79], v61 offset:9088
	s_wait_dscnt 0x0
	v_mul_f64_e32 v[2:3], v[74:75], v[78:79]
	v_mul_f64_e32 v[46:47], v[72:73], v[78:79]
	s_delay_alu instid0(VALU_DEP_2) | instskip(NEXT) | instid1(VALU_DEP_2)
	v_fma_f64 v[2:3], v[72:73], v[76:77], -v[2:3]
	v_fmac_f64_e32 v[46:47], v[74:75], v[76:77]
	s_delay_alu instid0(VALU_DEP_2) | instskip(NEXT) | instid1(VALU_DEP_2)
	v_add_f64_e32 v[16:17], v[16:17], v[2:3]
	v_add_f64_e32 v[18:19], v[18:19], v[46:47]
.LBB175_329:                            ;   in Loop: Header=BB175_3 Depth=1
	s_or_b32 exec_lo, exec_lo, s18
	s_and_saveexec_b32 s18, s9
	s_cbranch_execz .LBB175_331
; %bb.330:                              ;   in Loop: Header=BB175_3 Depth=1
	ds_load_b128 v[72:75], v57 offset:8480
	ds_load_b128 v[76:79], v61 offset:9600
	s_wait_dscnt 0x0
	v_mul_f64_e32 v[2:3], v[74:75], v[78:79]
	v_mul_f64_e32 v[46:47], v[72:73], v[78:79]
	s_delay_alu instid0(VALU_DEP_2) | instskip(NEXT) | instid1(VALU_DEP_2)
	v_fma_f64 v[2:3], v[72:73], v[76:77], -v[2:3]
	v_fmac_f64_e32 v[46:47], v[74:75], v[76:77]
	s_delay_alu instid0(VALU_DEP_2) | instskip(NEXT) | instid1(VALU_DEP_2)
	v_add_f64_e32 v[16:17], v[16:17], v[2:3]
	v_add_f64_e32 v[18:19], v[18:19], v[46:47]
.LBB175_331:                            ;   in Loop: Header=BB175_3 Depth=1
	s_or_b32 exec_lo, exec_lo, s18
	v_readlane_b32 s19, v80, 1
	s_and_saveexec_b32 s18, s19
	s_cbranch_execnz .LBB175_506
; %bb.332:                              ;   in Loop: Header=BB175_3 Depth=1
	s_or_b32 exec_lo, exec_lo, s18
	s_and_saveexec_b32 s18, s11
	s_cbranch_execnz .LBB175_507
.LBB175_333:                            ;   in Loop: Header=BB175_3 Depth=1
	s_or_b32 exec_lo, exec_lo, s18
	s_and_saveexec_b32 s18, s16
	s_cbranch_execnz .LBB175_508
.LBB175_334:                            ;   in Loop: Header=BB175_3 Depth=1
	s_or_b32 exec_lo, exec_lo, s18
	s_and_saveexec_b32 s18, s4
	s_cbranch_execnz .LBB175_509
.LBB175_335:                            ;   in Loop: Header=BB175_3 Depth=1
	s_or_b32 exec_lo, exec_lo, s18
	s_and_saveexec_b32 s18, s6
	s_cbranch_execz .LBB175_337
.LBB175_336:                            ;   in Loop: Header=BB175_3 Depth=1
	ds_load_b128 v[72:75], v1 offset:8560
	ds_load_b128 v[76:79], v51 offset:12160
	s_wait_dscnt 0x0
	v_mul_f64_e32 v[2:3], v[74:75], v[78:79]
	v_mul_f64_e32 v[46:47], v[72:73], v[78:79]
	s_delay_alu instid0(VALU_DEP_2) | instskip(NEXT) | instid1(VALU_DEP_2)
	v_fma_f64 v[2:3], v[72:73], v[76:77], -v[2:3]
	v_fmac_f64_e32 v[46:47], v[74:75], v[76:77]
	s_delay_alu instid0(VALU_DEP_2) | instskip(NEXT) | instid1(VALU_DEP_2)
	v_add_f64_e32 v[16:17], v[16:17], v[2:3]
	v_add_f64_e32 v[18:19], v[18:19], v[46:47]
.LBB175_337:                            ;   in Loop: Header=BB175_3 Depth=1
	s_or_b32 exec_lo, exec_lo, s18
	s_delay_alu instid0(VALU_DEP_2) | instskip(NEXT) | instid1(VALU_DEP_2)
	v_xor_b32_e32 v17, 0x80000000, v17
	v_xor_b32_e32 v19, 0x80000000, v19
.LBB175_338:                            ;   in Loop: Header=BB175_3 Depth=1
	s_or_b32 exec_lo, exec_lo, s35
	s_and_saveexec_b32 s18, s76
; %bb.339:                              ;   in Loop: Header=BB175_3 Depth=1
	ds_store_b128 v59, v[16:19]
; %bb.340:                              ;   in Loop: Header=BB175_3 Depth=1
	s_or_b32 exec_lo, exec_lo, s18
	s_wait_dscnt 0x0
	s_barrier_signal -1
	s_barrier_wait -1
	s_and_saveexec_b32 s18, s77
	s_cbranch_execz .LBB175_342
; %bb.341:                              ;   in Loop: Header=BB175_3 Depth=1
	ds_load_b128 v[72:75], v59
	ds_load_b128 v[76:79], v58 offset:12672
	s_wait_dscnt 0x0
	v_mul_f64_e32 v[2:3], v[74:75], v[78:79]
	v_mul_f64_e32 v[46:47], v[72:73], v[78:79]
	s_delay_alu instid0(VALU_DEP_2) | instskip(NEXT) | instid1(VALU_DEP_2)
	v_fma_f64 v[2:3], v[72:73], v[76:77], -v[2:3]
	v_fmac_f64_e32 v[46:47], v[74:75], v[76:77]
	s_delay_alu instid0(VALU_DEP_2) | instskip(NEXT) | instid1(VALU_DEP_2)
	v_add_f64_e32 v[16:17], v[16:17], v[2:3]
	v_add_f64_e32 v[18:19], v[18:19], v[46:47]
.LBB175_342:                            ;   in Loop: Header=BB175_3 Depth=1
	s_or_b32 exec_lo, exec_lo, s18
	s_barrier_signal -1
	s_barrier_wait -1
	s_and_saveexec_b32 s18, s78
; %bb.343:                              ;   in Loop: Header=BB175_3 Depth=1
	ds_store_b128 v59, v[16:19]
; %bb.344:                              ;   in Loop: Header=BB175_3 Depth=1
	s_or_b32 exec_lo, exec_lo, s18
	s_wait_dscnt 0x0
	s_barrier_signal -1
	s_barrier_wait -1
	s_and_saveexec_b32 s18, s79
	s_cbranch_execz .LBB175_346
; %bb.345:                              ;   in Loop: Header=BB175_3 Depth=1
	ds_load_b128 v[72:75], v59
	ds_load_b128 v[76:79], v58 offset:13184
	s_wait_dscnt 0x0
	v_mul_f64_e32 v[2:3], v[74:75], v[78:79]
	v_mul_f64_e32 v[46:47], v[72:73], v[78:79]
	s_delay_alu instid0(VALU_DEP_2) | instskip(NEXT) | instid1(VALU_DEP_2)
	v_fma_f64 v[2:3], v[72:73], v[76:77], -v[2:3]
	v_fmac_f64_e32 v[46:47], v[74:75], v[76:77]
	s_delay_alu instid0(VALU_DEP_2) | instskip(NEXT) | instid1(VALU_DEP_2)
	v_add_f64_e32 v[16:17], v[16:17], v[2:3]
	v_add_f64_e32 v[18:19], v[18:19], v[46:47]
.LBB175_346:                            ;   in Loop: Header=BB175_3 Depth=1
	s_or_b32 exec_lo, exec_lo, s18
	s_barrier_signal -1
	s_barrier_wait -1
	;; [unrolled: 26-line block ×7, first 2 shown]
	s_and_saveexec_b32 s18, s89
; %bb.367:                              ;   in Loop: Header=BB175_3 Depth=1
	ds_store_b128 v59, v[16:19]
; %bb.368:                              ;   in Loop: Header=BB175_3 Depth=1
	s_or_b32 exec_lo, exec_lo, s18
	s_wait_dscnt 0x0
	s_barrier_signal -1
	s_barrier_wait -1
	s_barrier_signal -1
	s_barrier_wait -1
	s_and_saveexec_b32 s18, s7
; %bb.369:                              ;   in Loop: Header=BB175_3 Depth=1
	v_xor_b32_e32 v17, 0x80000000, v17
	v_xor_b32_e32 v19, 0x80000000, v19
	ds_store_b128 v60, v[16:19] offset:8576
; %bb.370:                              ;   in Loop: Header=BB175_3 Depth=1
	s_or_b32 exec_lo, exec_lo, s18
	s_wait_dscnt 0x0
	s_barrier_signal -1
	s_barrier_wait -1
	s_barrier_signal -1
	s_barrier_wait -1
	s_and_saveexec_b32 s18, s1
	s_cbranch_execz .LBB175_372
; %bb.371:                              ;   in Loop: Header=BB175_3 Depth=1
	s_mov_b32 s48, s53
	s_mov_b32 s50, s53
	;; [unrolled: 1-line block ×3, first 2 shown]
	v_mov_b64_e32 v[16:17], s[48:49]
	v_mov_b64_e32 v[18:19], s[50:51]
	ds_store_b128 v1, v[16:19] offset:12672
	ds_store_b128 v1, v[16:19] offset:13200
.LBB175_372:                            ;   in Loop: Header=BB175_3 Depth=1
	s_or_b32 exec_lo, exec_lo, s18
	v_mov_b64_e32 v[18:19], 0
	v_mov_b64_e32 v[16:17], 0
	s_wait_dscnt 0x0
	s_barrier_signal -1
	s_barrier_wait -1
	s_and_saveexec_b32 s35, s2
	s_cbranch_execz .LBB175_376
; %bb.373:                              ;   in Loop: Header=BB175_3 Depth=1
	ds_load_b128 v[16:19], v50 offset:12672
	ds_load_b128 v[72:75], v49 offset:12704
	s_wait_dscnt 0x0
	v_mul_f64_e32 v[2:3], v[18:19], v[74:75]
	v_mul_f64_e32 v[46:47], v[16:17], v[74:75]
	s_delay_alu instid0(VALU_DEP_2) | instskip(NEXT) | instid1(VALU_DEP_2)
	v_fma_f64 v[2:3], v[16:17], v[72:73], -v[2:3]
	v_fmac_f64_e32 v[46:47], v[18:19], v[72:73]
	s_delay_alu instid0(VALU_DEP_2) | instskip(NEXT) | instid1(VALU_DEP_2)
	v_add_f64_e32 v[16:17], 0, v[2:3]
	v_add_f64_e32 v[18:19], 0, v[46:47]
	s_and_saveexec_b32 s18, s3
	s_cbranch_execz .LBB175_375
; %bb.374:                              ;   in Loop: Header=BB175_3 Depth=1
	ds_load_b128 v[72:75], v1 offset:12688
	ds_load_b128 v[76:79], v51 offset:13216
	s_wait_dscnt 0x0
	v_mul_f64_e32 v[2:3], v[74:75], v[78:79]
	v_mul_f64_e32 v[46:47], v[72:73], v[78:79]
	s_delay_alu instid0(VALU_DEP_2) | instskip(NEXT) | instid1(VALU_DEP_2)
	v_fma_f64 v[2:3], v[72:73], v[76:77], -v[2:3]
	v_fmac_f64_e32 v[46:47], v[74:75], v[76:77]
	s_delay_alu instid0(VALU_DEP_2) | instskip(NEXT) | instid1(VALU_DEP_2)
	v_add_f64_e32 v[16:17], v[16:17], v[2:3]
	v_add_f64_e32 v[18:19], v[18:19], v[46:47]
.LBB175_375:                            ;   in Loop: Header=BB175_3 Depth=1
	s_or_b32 exec_lo, exec_lo, s18
	s_delay_alu instid0(VALU_DEP_2) | instskip(NEXT) | instid1(VALU_DEP_2)
	v_xor_b32_e32 v17, 0x80000000, v17
	v_xor_b32_e32 v19, 0x80000000, v19
.LBB175_376:                            ;   in Loop: Header=BB175_3 Depth=1
	s_or_b32 exec_lo, exec_lo, s35
	s_and_saveexec_b32 s18, s68
; %bb.377:                              ;   in Loop: Header=BB175_3 Depth=1
	ds_store_b128 v48, v[16:19]
; %bb.378:                              ;   in Loop: Header=BB175_3 Depth=1
	s_or_b32 exec_lo, exec_lo, s18
	s_wait_dscnt 0x0
	s_barrier_signal -1
	s_barrier_wait -1
	s_and_saveexec_b32 s18, s69
	s_cbranch_execz .LBB175_380
; %bb.379:                              ;   in Loop: Header=BB175_3 Depth=1
	ds_load_b128 v[72:75], v48
	ds_load_b128 v[76:79], v1 offset:13744
	s_wait_dscnt 0x0
	v_mul_f64_e32 v[2:3], v[74:75], v[78:79]
	v_mul_f64_e32 v[46:47], v[72:73], v[78:79]
	s_delay_alu instid0(VALU_DEP_2) | instskip(NEXT) | instid1(VALU_DEP_2)
	v_fma_f64 v[2:3], v[72:73], v[76:77], -v[2:3]
	v_fmac_f64_e32 v[46:47], v[74:75], v[76:77]
	s_delay_alu instid0(VALU_DEP_2) | instskip(NEXT) | instid1(VALU_DEP_2)
	v_add_f64_e32 v[16:17], v[16:17], v[2:3]
	v_add_f64_e32 v[18:19], v[18:19], v[46:47]
.LBB175_380:                            ;   in Loop: Header=BB175_3 Depth=1
	s_or_b32 exec_lo, exec_lo, s18
	s_barrier_signal -1
	s_barrier_wait -1
	s_and_saveexec_b32 s18, s69
; %bb.381:                              ;   in Loop: Header=BB175_3 Depth=1
	ds_store_b128 v48, v[16:19]
; %bb.382:                              ;   in Loop: Header=BB175_3 Depth=1
	s_or_b32 exec_lo, exec_lo, s18
	s_wait_dscnt 0x0
	s_barrier_signal -1
	s_barrier_wait -1
	s_barrier_signal -1
	s_barrier_wait -1
	s_and_saveexec_b32 s18, s2
; %bb.383:                              ;   in Loop: Header=BB175_3 Depth=1
	v_xor_b32_e32 v17, 0x80000000, v17
	v_xor_b32_e32 v19, 0x80000000, v19
	ds_store_b128 v49, v[16:19] offset:12704
; %bb.384:                              ;   in Loop: Header=BB175_3 Depth=1
	s_or_b32 exec_lo, exec_lo, s18
	s_wait_dscnt 0x0
	s_barrier_signal -1
	s_barrier_wait -1
	s_barrier_signal -1
	s_barrier_wait -1
	s_and_saveexec_b32 s18, s1
	s_cbranch_execz .LBB175_386
; %bb.385:                              ;   in Loop: Header=BB175_3 Depth=1
	s_mov_b32 s48, s53
	s_mov_b32 s50, s53
	;; [unrolled: 1-line block ×3, first 2 shown]
	v_mov_b64_e32 v[16:17], s[48:49]
	v_mov_b64_e32 v[18:19], s[50:51]
	ds_store_b128 v1, v[16:19] offset:13728
	ds_store_b128 v1, v[16:19] offset:14256
.LBB175_386:                            ;   in Loop: Header=BB175_3 Depth=1
	s_or_b32 exec_lo, exec_lo, s18
	v_mov_b64_e32 v[18:19], 0
	v_mov_b64_e32 v[16:17], 0
	s_wait_dscnt 0x0
	s_barrier_signal -1
	s_barrier_wait -1
	s_and_saveexec_b32 s35, s4
	s_cbranch_execz .LBB175_392
; %bb.387:                              ;   in Loop: Header=BB175_3 Depth=1
	ds_load_b128 v[16:19], v53 offset:12672
	ds_load_b128 v[72:75], v55 offset:12736
	s_wait_dscnt 0x0
	v_mul_f64_e32 v[2:3], v[18:19], v[74:75]
	v_mul_f64_e32 v[46:47], v[16:17], v[74:75]
	s_delay_alu instid0(VALU_DEP_2) | instskip(NEXT) | instid1(VALU_DEP_2)
	v_fma_f64 v[2:3], v[16:17], v[72:73], -v[2:3]
	v_fmac_f64_e32 v[46:47], v[18:19], v[72:73]
	s_delay_alu instid0(VALU_DEP_2) | instskip(NEXT) | instid1(VALU_DEP_2)
	v_add_f64_e32 v[16:17], 0, v[2:3]
	v_add_f64_e32 v[18:19], 0, v[46:47]
	s_and_saveexec_b32 s18, s5
	s_cbranch_execnz .LBB175_510
; %bb.388:                              ;   in Loop: Header=BB175_3 Depth=1
	s_or_b32 exec_lo, exec_lo, s18
	s_and_saveexec_b32 s18, s6
	s_cbranch_execnz .LBB175_511
.LBB175_389:                            ;   in Loop: Header=BB175_3 Depth=1
	s_or_b32 exec_lo, exec_lo, s18
	s_and_saveexec_b32 s18, s2
	s_cbranch_execz .LBB175_391
.LBB175_390:                            ;   in Loop: Header=BB175_3 Depth=1
	ds_load_b128 v[72:75], v1 offset:12720
	ds_load_b128 v[76:79], v51 offset:14272
	s_wait_dscnt 0x0
	v_mul_f64_e32 v[2:3], v[74:75], v[78:79]
	v_mul_f64_e32 v[46:47], v[72:73], v[78:79]
	s_delay_alu instid0(VALU_DEP_2) | instskip(NEXT) | instid1(VALU_DEP_2)
	v_fma_f64 v[2:3], v[72:73], v[76:77], -v[2:3]
	v_fmac_f64_e32 v[46:47], v[74:75], v[76:77]
	s_delay_alu instid0(VALU_DEP_2) | instskip(NEXT) | instid1(VALU_DEP_2)
	v_add_f64_e32 v[16:17], v[16:17], v[2:3]
	v_add_f64_e32 v[18:19], v[18:19], v[46:47]
.LBB175_391:                            ;   in Loop: Header=BB175_3 Depth=1
	s_or_b32 exec_lo, exec_lo, s18
	s_delay_alu instid0(VALU_DEP_2) | instskip(NEXT) | instid1(VALU_DEP_2)
	v_xor_b32_e32 v17, 0x80000000, v17
	v_xor_b32_e32 v19, 0x80000000, v19
.LBB175_392:                            ;   in Loop: Header=BB175_3 Depth=1
	s_or_b32 exec_lo, exec_lo, s35
	s_and_saveexec_b32 s18, s70
; %bb.393:                              ;   in Loop: Header=BB175_3 Depth=1
	ds_store_b128 v54, v[16:19]
; %bb.394:                              ;   in Loop: Header=BB175_3 Depth=1
	s_or_b32 exec_lo, exec_lo, s18
	s_wait_dscnt 0x0
	s_barrier_signal -1
	s_barrier_wait -1
	s_and_saveexec_b32 s18, s71
	s_cbranch_execz .LBB175_396
; %bb.395:                              ;   in Loop: Header=BB175_3 Depth=1
	ds_load_b128 v[72:75], v54
	ds_load_b128 v[76:79], v52 offset:14784
	s_wait_dscnt 0x0
	v_mul_f64_e32 v[2:3], v[74:75], v[78:79]
	v_mul_f64_e32 v[46:47], v[72:73], v[78:79]
	s_delay_alu instid0(VALU_DEP_2) | instskip(NEXT) | instid1(VALU_DEP_2)
	v_fma_f64 v[2:3], v[72:73], v[76:77], -v[2:3]
	v_fmac_f64_e32 v[46:47], v[74:75], v[76:77]
	s_delay_alu instid0(VALU_DEP_2) | instskip(NEXT) | instid1(VALU_DEP_2)
	v_add_f64_e32 v[16:17], v[16:17], v[2:3]
	v_add_f64_e32 v[18:19], v[18:19], v[46:47]
.LBB175_396:                            ;   in Loop: Header=BB175_3 Depth=1
	s_or_b32 exec_lo, exec_lo, s18
	s_barrier_signal -1
	s_barrier_wait -1
	s_and_saveexec_b32 s18, s72
; %bb.397:                              ;   in Loop: Header=BB175_3 Depth=1
	ds_store_b128 v54, v[16:19]
; %bb.398:                              ;   in Loop: Header=BB175_3 Depth=1
	s_or_b32 exec_lo, exec_lo, s18
	s_wait_dscnt 0x0
	s_barrier_signal -1
	s_barrier_wait -1
	s_and_saveexec_b32 s18, s73
	s_cbranch_execz .LBB175_400
; %bb.399:                              ;   in Loop: Header=BB175_3 Depth=1
	ds_load_b128 v[72:75], v54
	ds_load_b128 v[76:79], v52 offset:15296
	s_wait_dscnt 0x0
	v_mul_f64_e32 v[2:3], v[74:75], v[78:79]
	v_mul_f64_e32 v[46:47], v[72:73], v[78:79]
	s_delay_alu instid0(VALU_DEP_2) | instskip(NEXT) | instid1(VALU_DEP_2)
	v_fma_f64 v[2:3], v[72:73], v[76:77], -v[2:3]
	v_fmac_f64_e32 v[46:47], v[74:75], v[76:77]
	s_delay_alu instid0(VALU_DEP_2) | instskip(NEXT) | instid1(VALU_DEP_2)
	v_add_f64_e32 v[16:17], v[16:17], v[2:3]
	v_add_f64_e32 v[18:19], v[18:19], v[46:47]
.LBB175_400:                            ;   in Loop: Header=BB175_3 Depth=1
	s_or_b32 exec_lo, exec_lo, s18
	s_barrier_signal -1
	s_barrier_wait -1
	;; [unrolled: 26-line block ×3, first 2 shown]
	s_and_saveexec_b32 s18, s75
; %bb.405:                              ;   in Loop: Header=BB175_3 Depth=1
	ds_store_b128 v54, v[16:19]
; %bb.406:                              ;   in Loop: Header=BB175_3 Depth=1
	s_or_b32 exec_lo, exec_lo, s18
	s_wait_dscnt 0x0
	s_barrier_signal -1
	s_barrier_wait -1
	s_barrier_signal -1
	s_barrier_wait -1
	s_and_saveexec_b32 s18, s4
; %bb.407:                              ;   in Loop: Header=BB175_3 Depth=1
	v_xor_b32_e32 v19, 0x80000000, v19
	v_xor_b32_e32 v17, 0x80000000, v17
	ds_store_b128 v55, v[16:19] offset:12736
; %bb.408:                              ;   in Loop: Header=BB175_3 Depth=1
	s_or_b32 exec_lo, exec_lo, s18
	s_wait_dscnt 0x0
	s_barrier_signal -1
	s_barrier_wait -1
	s_barrier_signal -1
	s_barrier_wait -1
	s_and_saveexec_b32 s18, s1
	s_cbranch_execz .LBB175_410
; %bb.409:                              ;   in Loop: Header=BB175_3 Depth=1
	s_mov_b32 s48, s53
	s_mov_b32 s50, s53
	;; [unrolled: 1-line block ×3, first 2 shown]
	v_mov_b64_e32 v[16:17], s[48:49]
	v_mov_b64_e32 v[18:19], s[50:51]
	ds_store_b128 v1, v[16:19] offset:14784
	ds_store_b128 v1, v[16:19] offset:15312
.LBB175_410:                            ;   in Loop: Header=BB175_3 Depth=1
	s_or_b32 exec_lo, exec_lo, s18
	v_mov_b64_e32 v[18:19], 0
	v_mov_b64_e32 v[16:17], 0
	s_wait_dscnt 0x0
	s_barrier_signal -1
	s_barrier_wait -1
	s_and_saveexec_b32 s35, s2
	s_cbranch_execz .LBB175_414
; %bb.411:                              ;   in Loop: Header=BB175_3 Depth=1
	ds_load_b128 v[16:19], v50 offset:14784
	ds_load_b128 v[72:75], v49 offset:14816
	s_wait_dscnt 0x0
	v_mul_f64_e32 v[2:3], v[18:19], v[74:75]
	v_mul_f64_e32 v[46:47], v[16:17], v[74:75]
	s_delay_alu instid0(VALU_DEP_2) | instskip(NEXT) | instid1(VALU_DEP_2)
	v_fma_f64 v[2:3], v[16:17], v[72:73], -v[2:3]
	v_fmac_f64_e32 v[46:47], v[18:19], v[72:73]
	s_delay_alu instid0(VALU_DEP_2) | instskip(NEXT) | instid1(VALU_DEP_2)
	v_add_f64_e32 v[16:17], 0, v[2:3]
	v_add_f64_e32 v[18:19], 0, v[46:47]
	s_and_saveexec_b32 s18, s3
	s_cbranch_execz .LBB175_413
; %bb.412:                              ;   in Loop: Header=BB175_3 Depth=1
	ds_load_b128 v[72:75], v1 offset:14800
	ds_load_b128 v[76:79], v51 offset:15328
	s_wait_dscnt 0x0
	v_mul_f64_e32 v[2:3], v[74:75], v[78:79]
	v_mul_f64_e32 v[46:47], v[72:73], v[78:79]
	s_delay_alu instid0(VALU_DEP_2) | instskip(NEXT) | instid1(VALU_DEP_2)
	v_fma_f64 v[2:3], v[72:73], v[76:77], -v[2:3]
	v_fmac_f64_e32 v[46:47], v[74:75], v[76:77]
	s_delay_alu instid0(VALU_DEP_2) | instskip(NEXT) | instid1(VALU_DEP_2)
	v_add_f64_e32 v[16:17], v[16:17], v[2:3]
	v_add_f64_e32 v[18:19], v[18:19], v[46:47]
.LBB175_413:                            ;   in Loop: Header=BB175_3 Depth=1
	s_or_b32 exec_lo, exec_lo, s18
	s_delay_alu instid0(VALU_DEP_2) | instskip(NEXT) | instid1(VALU_DEP_2)
	v_xor_b32_e32 v17, 0x80000000, v17
	v_xor_b32_e32 v19, 0x80000000, v19
.LBB175_414:                            ;   in Loop: Header=BB175_3 Depth=1
	s_or_b32 exec_lo, exec_lo, s35
	s_and_saveexec_b32 s18, s68
; %bb.415:                              ;   in Loop: Header=BB175_3 Depth=1
	ds_store_b128 v48, v[16:19]
; %bb.416:                              ;   in Loop: Header=BB175_3 Depth=1
	s_or_b32 exec_lo, exec_lo, s18
	s_wait_dscnt 0x0
	s_barrier_signal -1
	s_barrier_wait -1
	s_and_saveexec_b32 s18, s69
	s_cbranch_execz .LBB175_418
; %bb.417:                              ;   in Loop: Header=BB175_3 Depth=1
	ds_load_b128 v[72:75], v48
	ds_load_b128 v[76:79], v1 offset:15856
	s_wait_dscnt 0x0
	v_mul_f64_e32 v[2:3], v[74:75], v[78:79]
	v_mul_f64_e32 v[46:47], v[72:73], v[78:79]
	s_delay_alu instid0(VALU_DEP_2) | instskip(NEXT) | instid1(VALU_DEP_2)
	v_fma_f64 v[2:3], v[72:73], v[76:77], -v[2:3]
	v_fmac_f64_e32 v[46:47], v[74:75], v[76:77]
	s_delay_alu instid0(VALU_DEP_2) | instskip(NEXT) | instid1(VALU_DEP_2)
	v_add_f64_e32 v[16:17], v[16:17], v[2:3]
	v_add_f64_e32 v[18:19], v[18:19], v[46:47]
.LBB175_418:                            ;   in Loop: Header=BB175_3 Depth=1
	s_or_b32 exec_lo, exec_lo, s18
	s_barrier_signal -1
	s_barrier_wait -1
	s_and_saveexec_b32 s18, s69
; %bb.419:                              ;   in Loop: Header=BB175_3 Depth=1
	ds_store_b128 v48, v[16:19]
; %bb.420:                              ;   in Loop: Header=BB175_3 Depth=1
	s_or_b32 exec_lo, exec_lo, s18
	s_wait_dscnt 0x0
	s_barrier_signal -1
	s_barrier_wait -1
	s_barrier_signal -1
	s_barrier_wait -1
	s_and_saveexec_b32 s18, s2
; %bb.421:                              ;   in Loop: Header=BB175_3 Depth=1
	v_xor_b32_e32 v17, 0x80000000, v17
	v_xor_b32_e32 v19, 0x80000000, v19
	ds_store_b128 v49, v[16:19] offset:14816
; %bb.422:                              ;   in Loop: Header=BB175_3 Depth=1
	s_or_b32 exec_lo, exec_lo, s18
	s_wait_dscnt 0x0
	s_barrier_signal -1
	s_barrier_wait -1
	s_barrier_signal -1
	s_barrier_wait -1
	s_and_saveexec_b32 s18, s1
	s_cbranch_execz .LBB175_424
; %bb.423:                              ;   in Loop: Header=BB175_3 Depth=1
	s_mov_b32 s48, s53
	s_mov_b32 s50, s53
	;; [unrolled: 1-line block ×3, first 2 shown]
	v_mov_b64_e32 v[16:17], s[48:49]
	v_mov_b64_e32 v[18:19], s[50:51]
	ds_store_b128 v1, v[16:19] offset:15840
	ds_store_b128 v1, v[16:19] offset:16368
.LBB175_424:                            ;   in Loop: Header=BB175_3 Depth=1
	s_or_b32 exec_lo, exec_lo, s18
.LBB175_425:                            ;   in Loop: Header=BB175_3 Depth=1
	v_mov_b64_e32 v[16:17], 0
	v_add_nc_u64_e32 v[44:45], s[40:41], v[44:45]
	s_wait_dscnt 0x0
	s_barrier_signal -1
	s_barrier_wait -1
	s_delay_alu instid0(VALU_DEP_2)
	v_mov_b64_e32 v[18:19], v[16:17]
	s_wait_xcnt 0x0
	s_and_saveexec_b32 s18, s96
	s_cbranch_execz .LBB175_427
; %bb.426:                              ;   in Loop: Header=BB175_3 Depth=1
	v_lshl_add_u64 v[2:3], v[30:31], 4, v[44:45]
	flat_load_b128 v[72:75], v[2:3]
	s_wait_loadcnt_dscnt 0x0
	v_mul_f64_e32 v[2:3], v[12:13], v[72:73]
	v_mul_f64_e32 v[12:13], v[12:13], v[74:75]
	s_delay_alu instid0(VALU_DEP_2) | instskip(NEXT) | instid1(VALU_DEP_2)
	v_fma_f64 v[16:17], v[14:15], v[74:75], -v[2:3]
	v_fma_f64 v[18:19], v[72:73], -v[14:15], -v[12:13]
.LBB175_427:                            ;   in Loop: Header=BB175_3 Depth=1
	s_or_b32 exec_lo, exec_lo, s18
	s_delay_alu instid0(SALU_CYCLE_1)
	s_and_not1_b32 vcc_lo, exec_lo, s97
	s_cbranch_vccnz .LBB175_450
; %bb.428:                              ;   in Loop: Header=BB175_3 Depth=1
	v_lshl_add_u64 v[12:13], v[26:27], 4, v[42:43]
	v_mov_b32_e32 v46, -1
	s_lshl_b64 s[50:51], s[52:53], 2
	s_mov_b32 s48, 0
	s_add_nc_u64 s[50:51], s[56:57], s[50:51]
	s_branch .LBB175_431
.LBB175_429:                            ;   in Loop: Header=BB175_431 Depth=2
	ds_load_b128 v[72:75], v68 offset:256
	s_wait_loadcnt_dscnt 0x0
	v_mul_f64_e32 v[14:15], v[42:43], v[74:75]
	v_mul_f64_e32 v[74:75], v[2:3], v[74:75]
	s_delay_alu instid0(VALU_DEP_2) | instskip(NEXT) | instid1(VALU_DEP_2)
	v_fma_f64 v[2:3], v[2:3], v[72:73], -v[14:15]
	v_fmac_f64_e32 v[74:75], v[42:43], v[72:73]
	s_delay_alu instid0(VALU_DEP_2) | instskip(NEXT) | instid1(VALU_DEP_2)
	v_add_f64_e32 v[16:17], v[16:17], v[2:3]
	v_add_f64_e32 v[18:19], v[18:19], v[74:75]
.LBB175_430:                            ;   in Loop: Header=BB175_431 Depth=2
	s_or_b32 exec_lo, exec_lo, s35
	s_add_co_i32 s48, s48, 1
	s_delay_alu instid0(SALU_CYCLE_1)
	s_cmp_eq_u32 s48, s64
	s_cbranch_scc1 .LBB175_450
.LBB175_431:                            ;   Parent Loop BB175_3 Depth=1
                                        ; =>  This Loop Header: Depth=2
                                        ;       Child Loop BB175_433 Depth 3
	v_cmp_gt_i32_e32 vcc_lo, s48, v46
	s_and_b32 s35, s27, vcc_lo
	s_delay_alu instid0(SALU_CYCLE_1)
	s_and_saveexec_b32 s18, s35
	s_cbranch_execz .LBB175_434
; %bb.432:                              ;   in Loop: Header=BB175_431 Depth=2
	global_load_b32 v46, v1, s[50:51]
	s_wait_loadcnt 0x0
	v_cmp_le_i32_e32 vcc_lo, s48, v46
	s_cbranch_vccnz .LBB175_434
.LBB175_433:                            ;   Parent Loop BB175_3 Depth=1
                                        ;     Parent Loop BB175_431 Depth=2
                                        ; =>    This Inner Loop Header: Depth=3
	global_wb scope:SCOPE_DEV
	s_wait_storecnt 0x0
	global_inv scope:SCOPE_DEV
	global_load_b32 v46, v1, s[50:51]
	s_wait_loadcnt 0x0
	v_cmp_gt_i32_e32 vcc_lo, s48, v46
	s_cbranch_vccnz .LBB175_433
.LBB175_434:                            ;   in Loop: Header=BB175_431 Depth=2
	s_or_b32 exec_lo, exec_lo, s18
	s_lshl_b32 s35, s48, 5
	global_wb scope:SCOPE_DEV
	s_wait_storecnt 0x0
	global_inv scope:SCOPE_DEV
	s_wait_loadcnt 0x0
	s_barrier_signal -1
	s_barrier_wait -1
	s_and_saveexec_b32 s18, s29
	s_cbranch_execz .LBB175_439
; %bb.435:                              ;   in Loop: Header=BB175_431 Depth=2
	v_or_b32_e32 v0, s35, v24
	s_delay_alu instid0(VALU_DEP_1) | instskip(SKIP_1) | instid1(SALU_CYCLE_1)
	v_cmp_le_i32_e32 vcc_lo, s63, v0
	s_and_saveexec_b32 s19, vcc_lo
	s_xor_b32 vcc_lo, exec_lo, s19
; %bb.436:                              ;   in Loop: Header=BB175_431 Depth=2
	v_dual_mov_b32 v0, v1 :: v_dual_mov_b32 v2, v1
	v_mov_b32_e32 v3, v1
	ds_store_b128 v67, v[0:3]
; %bb.437:                              ;   in Loop: Header=BB175_431 Depth=2
	s_and_not1_saveexec_b32 s19, vcc_lo
	s_cbranch_execz .LBB175_439
; %bb.438:                              ;   in Loop: Header=BB175_431 Depth=2
	v_mul_u64_e32 v[2:3], s[42:43], v[0:1]
	s_delay_alu instid0(VALU_DEP_1)
	v_lshl_add_u64 v[2:3], v[2:3], 4, v[44:45]
	flat_load_b128 v[72:75], v[2:3]
	s_wait_loadcnt_dscnt 0x0
	ds_store_2addr_b64 v67, v[72:73], v[74:75] offset1:1
.LBB175_439:                            ;   in Loop: Header=BB175_431 Depth=2
	s_or_b32 exec_lo, exec_lo, s18
	v_add_nc_u32_e32 v0, s35, v20
	v_cmp_ne_u32_e32 vcc_lo, s48, v23
	s_wait_dscnt 0x0
	s_barrier_signal -1
	s_barrier_wait -1
	v_mul_u64_e32 v[2:3], s[54:55], v[0:1]
	v_cmp_gt_i32_e64 s35, s63, v0
	v_cndmask_b32_e64 v47, 0, 1, vcc_lo
	s_and_b32 s18, s0, s35
	v_lshl_add_u64 v[2:3], v[2:3], 4, v[12:13]
	s_and_saveexec_b32 s35, s18
	s_cbranch_execz .LBB175_445
; %bb.440:                              ;   in Loop: Header=BB175_431 Depth=2
	v_mov_b64_e32 v[14:15], v[4:5]
	s_and_not1_b32 vcc_lo, exec_lo, vcc_lo
	s_cbranch_vccnz .LBB175_442
; %bb.441:                              ;   in Loop: Header=BB175_431 Depth=2
	flat_load_b64 v[14:15], v[2:3]
.LBB175_442:                            ;   in Loop: Header=BB175_431 Depth=2
	v_cmp_ne_u32_e32 vcc_lo, 1, v47
	v_mov_b64_e32 v[42:43], v[6:7]
	s_cbranch_vccnz .LBB175_444
; %bb.443:                              ;   in Loop: Header=BB175_431 Depth=2
	flat_load_b64 v[42:43], v[2:3] offset:8
.LBB175_444:                            ;   in Loop: Header=BB175_431 Depth=2
	ds_load_b128 v[72:75], v68
	s_wait_loadcnt_dscnt 0x0
	v_mul_f64_e32 v[76:77], v[42:43], v[74:75]
	v_mul_f64_e32 v[74:75], v[14:15], v[74:75]
	s_delay_alu instid0(VALU_DEP_2) | instskip(NEXT) | instid1(VALU_DEP_2)
	v_fma_f64 v[14:15], v[14:15], v[72:73], -v[76:77]
	v_fmac_f64_e32 v[74:75], v[42:43], v[72:73]
	s_delay_alu instid0(VALU_DEP_2) | instskip(NEXT) | instid1(VALU_DEP_2)
	v_add_f64_e32 v[16:17], v[16:17], v[14:15]
	v_add_f64_e32 v[18:19], v[18:19], v[74:75]
.LBB175_445:                            ;   in Loop: Header=BB175_431 Depth=2
	s_or_b32 exec_lo, exec_lo, s35
	v_add_nc_u32_e32 v0, 16, v0
	s_delay_alu instid0(VALU_DEP_1) | instskip(SKIP_1) | instid1(SALU_CYCLE_1)
	v_cmp_gt_i32_e32 vcc_lo, s63, v0
	s_and_b32 s18, s0, vcc_lo
	s_and_saveexec_b32 s35, s18
	s_cbranch_execz .LBB175_430
; %bb.446:                              ;   in Loop: Header=BB175_431 Depth=2
	v_cmp_ne_u32_e32 vcc_lo, 1, v47
	v_add_nc_u64_e32 v[14:15], s[60:61], v[2:3]
	v_mov_b64_e32 v[2:3], v[8:9]
	s_cbranch_vccnz .LBB175_448
; %bb.447:                              ;   in Loop: Header=BB175_431 Depth=2
	flat_load_b64 v[2:3], v[14:15]
.LBB175_448:                            ;   in Loop: Header=BB175_431 Depth=2
	v_cmp_ne_u32_e32 vcc_lo, 1, v47
	v_mov_b64_e32 v[42:43], v[10:11]
	s_cbranch_vccnz .LBB175_429
; %bb.449:                              ;   in Loop: Header=BB175_431 Depth=2
	flat_load_b64 v[42:43], v[14:15] offset:8
	s_branch .LBB175_429
.LBB175_450:                            ;   in Loop: Header=BB175_3 Depth=1
	ds_store_b128 v69, v[16:19]
	s_wait_dscnt 0x0
	s_barrier_signal -1
	s_barrier_wait -1
	s_and_saveexec_b32 s35, s13
	s_cbranch_execz .LBB175_452
; %bb.451:                              ;   in Loop: Header=BB175_3 Depth=1
	ds_load_b128 v[12:15], v25 offset:512
	ds_load_b128 v[72:75], v25 offset:1024
	s_wait_dscnt 0x1
	v_add_f64_e32 v[2:3], v[16:17], v[12:13]
	v_add_f64_e32 v[12:13], v[18:19], v[14:15]
	s_wait_dscnt 0x0
	s_delay_alu instid0(VALU_DEP_2) | instskip(NEXT) | instid1(VALU_DEP_2)
	v_add_f64_e32 v[2:3], v[2:3], v[72:73]
	v_add_f64_e32 v[42:43], v[12:13], v[74:75]
	ds_load_b128 v[12:15], v25 offset:1536
	ds_load_b128 v[16:19], v25 offset:2048
	s_wait_dscnt 0x1
	v_add_f64_e32 v[2:3], v[2:3], v[12:13]
	v_add_f64_e32 v[12:13], v[42:43], v[14:15]
	s_wait_dscnt 0x0
	s_delay_alu instid0(VALU_DEP_2) | instskip(NEXT) | instid1(VALU_DEP_2)
	v_add_f64_e32 v[2:3], v[2:3], v[16:17]
	v_add_f64_e32 v[42:43], v[12:13], v[18:19]
	;; [unrolled: 9-line block ×7, first 2 shown]
	ds_load_b128 v[12:15], v25 offset:7680
	s_wait_dscnt 0x0
	v_add_f64_e32 v[2:3], v[2:3], v[12:13]
	v_add_f64_e32 v[12:13], v[16:17], v[14:15]
	s_delay_alu instid0(VALU_DEP_2) | instskip(NEXT) | instid1(VALU_DEP_2)
	v_xor_b32_e32 v0, 0x80000000, v3
	v_xor_b32_e32 v3, 0x80000000, v13
	s_delay_alu instid0(VALU_DEP_4) | instskip(NEXT) | instid1(VALU_DEP_4)
	v_cndmask_b32_e64 v16, v2, 0, s93
	v_cndmask_b32_e64 v18, v12, 0, s93
	s_delay_alu instid0(VALU_DEP_4) | instskip(NEXT) | instid1(VALU_DEP_4)
	v_cndmask_b32_e64 v17, v0, 0, s93
	v_cndmask_b32_e64 v19, v3, 0, s93
.LBB175_452:                            ;   in Loop: Header=BB175_3 Depth=1
	s_or_b32 exec_lo, exec_lo, s35
	s_delay_alu instid0(SALU_CYCLE_1)
	s_and_not1_b32 vcc_lo, exec_lo, s67
	s_cbranch_vccnz .LBB175_461
; %bb.453:                              ;   in Loop: Header=BB175_3 Depth=1
	s_and_saveexec_b32 s18, s13
; %bb.454:                              ;   in Loop: Header=BB175_3 Depth=1
	ds_store_b128 v71, v[16:19]
; %bb.455:                              ;   in Loop: Header=BB175_3 Depth=1
	s_or_b32 exec_lo, exec_lo, s18
	v_mov_b64_e32 v[12:13], 0
	v_mov_b64_e32 v[14:15], 0
	s_wait_dscnt 0x0
	s_barrier_signal -1
	s_barrier_wait -1
	s_and_saveexec_b32 s18, s30
	s_cbranch_execz .LBB175_457
; %bb.456:                              ;   in Loop: Header=BB175_3 Depth=1
	ds_load_b128 v[12:15], v68
	ds_load_b128 v[72:75], v70
	s_wait_dscnt 0x0
	v_mul_f64_e32 v[2:3], v[14:15], v[74:75]
	v_mul_f64_e32 v[42:43], v[12:13], v[74:75]
	s_delay_alu instid0(VALU_DEP_2) | instskip(NEXT) | instid1(VALU_DEP_2)
	v_fma_f64 v[2:3], v[12:13], v[72:73], -v[2:3]
	v_fmac_f64_e32 v[42:43], v[14:15], v[72:73]
	s_delay_alu instid0(VALU_DEP_2) | instskip(NEXT) | instid1(VALU_DEP_2)
	v_add_f64_e32 v[12:13], 0, v[2:3]
	v_add_f64_e32 v[14:15], 0, v[42:43]
.LBB175_457:                            ;   in Loop: Header=BB175_3 Depth=1
	s_or_b32 exec_lo, exec_lo, s18
	s_and_saveexec_b32 s18, s31
	s_cbranch_execz .LBB175_459
; %bb.458:                              ;   in Loop: Header=BB175_3 Depth=1
	ds_load_b128 v[72:75], v68 offset:256
	ds_load_b128 v[76:79], v70 offset:8192
	s_wait_dscnt 0x0
	v_mul_f64_e32 v[2:3], v[74:75], v[78:79]
	v_mul_f64_e32 v[42:43], v[72:73], v[78:79]
	s_delay_alu instid0(VALU_DEP_2) | instskip(NEXT) | instid1(VALU_DEP_2)
	v_fma_f64 v[2:3], v[72:73], v[76:77], -v[2:3]
	v_fmac_f64_e32 v[42:43], v[74:75], v[76:77]
	s_delay_alu instid0(VALU_DEP_2) | instskip(NEXT) | instid1(VALU_DEP_2)
	v_add_f64_e32 v[12:13], v[12:13], v[2:3]
	v_add_f64_e32 v[14:15], v[14:15], v[42:43]
.LBB175_459:                            ;   in Loop: Header=BB175_3 Depth=1
	s_or_b32 exec_lo, exec_lo, s18
	s_mov_b32 s48, 0
	s_mov_b32 s35, 0
	ds_store_b128 v69, v[12:15]
	s_wait_dscnt 0x0
	s_barrier_signal -1
	s_barrier_wait -1
                                        ; implicit-def: $vgpr2_vgpr3
                                        ; implicit-def: $vgpr42_vgpr43
	s_and_saveexec_b32 s50, s13
	s_cbranch_execz .LBB175_487
; %bb.460:                              ;   in Loop: Header=BB175_3 Depth=1
	ds_load_b128 v[72:75], v25 offset:512
	ds_load_b128 v[76:79], v25 offset:1024
	s_mov_b32 s35, exec_lo
	s_wait_dscnt 0x1
	v_add_f64_e32 v[2:3], v[12:13], v[72:73]
	v_add_f64_e32 v[12:13], v[14:15], v[74:75]
	s_wait_dscnt 0x0
	s_delay_alu instid0(VALU_DEP_2) | instskip(NEXT) | instid1(VALU_DEP_2)
	v_add_f64_e32 v[2:3], v[2:3], v[76:77]
	v_add_f64_e32 v[42:43], v[12:13], v[78:79]
	ds_load_b128 v[12:15], v25 offset:1536
	ds_load_b128 v[72:75], v25 offset:2048
	s_wait_dscnt 0x1
	v_add_f64_e32 v[2:3], v[2:3], v[12:13]
	v_add_f64_e32 v[12:13], v[42:43], v[14:15]
	s_wait_dscnt 0x0
	s_delay_alu instid0(VALU_DEP_2) | instskip(NEXT) | instid1(VALU_DEP_2)
	v_add_f64_e32 v[2:3], v[2:3], v[72:73]
	v_add_f64_e32 v[42:43], v[12:13], v[74:75]
	ds_load_b128 v[12:15], v25 offset:2560
	ds_load_b128 v[72:75], v25 offset:3072
	;; [unrolled: 9-line block ×6, first 2 shown]
	s_wait_dscnt 0x1
	v_add_f64_e32 v[2:3], v[2:3], v[12:13]
	v_add_f64_e32 v[12:13], v[42:43], v[14:15]
	s_wait_dscnt 0x0
	s_delay_alu instid0(VALU_DEP_2) | instskip(NEXT) | instid1(VALU_DEP_2)
	v_add_f64_e32 v[2:3], v[2:3], v[72:73]
	v_add_f64_e32 v[46:47], v[12:13], v[74:75]
	ds_load_b128 v[12:15], v25 offset:7680
	s_wait_dscnt 0x0
	v_add_f64_e32 v[42:43], v[2:3], v[12:13]
	v_add_f64_e32 v[2:3], v[46:47], v[14:15]
	s_or_b32 exec_lo, exec_lo, s50
	s_delay_alu instid0(SALU_CYCLE_1)
	s_and_b32 vcc_lo, exec_lo, s48
	s_cbranch_vccnz .LBB175_462
	s_branch .LBB175_488
.LBB175_461:                            ;   in Loop: Header=BB175_3 Depth=1
	s_mov_b32 s35, 0
                                        ; implicit-def: $vgpr2_vgpr3
                                        ; implicit-def: $vgpr42_vgpr43
	s_cbranch_execz .LBB175_488
.LBB175_462:                            ;   in Loop: Header=BB175_3 Depth=1
	v_dual_mov_b32 v0, v22 :: v_dual_mov_b32 v2, v51
	s_mov_b32 s48, 0
	s_branch .LBB175_464
.LBB175_463:                            ;   in Loop: Header=BB175_464 Depth=2
	s_or_b32 exec_lo, exec_lo, s18
	v_add_nc_u32_e32 v2, 0x400, v2
	v_add_nc_u32_e32 v0, -2, v0
	s_add_co_i32 s48, s48, 2
	s_delay_alu instid0(SALU_CYCLE_1)
	s_cmp_lg_u32 s48, 32
	s_barrier_signal -1
	s_barrier_wait -1
	s_cbranch_scc0 .LBB175_472
.LBB175_464:                            ;   Parent Loop BB175_3 Depth=1
                                        ; =>  This Inner Loop Header: Depth=2
	s_delay_alu instid0(VALU_DEP_1) | instskip(SKIP_1) | instid1(SALU_CYCLE_1)
	v_cmp_eq_u32_e32 vcc_lo, 0, v0
	s_and_b32 s19, s13, vcc_lo
	s_and_saveexec_b32 s18, s19
; %bb.465:                              ;   in Loop: Header=BB175_464 Depth=2
	ds_store_b128 v1, v[16:19] offset:25088
; %bb.466:                              ;   in Loop: Header=BB175_464 Depth=2
	s_or_b32 exec_lo, exec_lo, s18
	v_cmp_lt_u32_e32 vcc_lo, s48, v22
	s_wait_dscnt 0x0
	s_barrier_signal -1
	s_barrier_wait -1
	s_and_b32 s19, s13, vcc_lo
	s_delay_alu instid0(SALU_CYCLE_1)
	s_and_saveexec_b32 s18, s19
	s_cbranch_execz .LBB175_468
; %bb.467:                              ;   in Loop: Header=BB175_464 Depth=2
	ds_load_b128 v[12:15], v1 offset:25088
	ds_load_b128 v[72:75], v2
	s_wait_dscnt 0x0
	v_mul_f64_e32 v[42:43], v[14:15], v[74:75]
	v_mul_f64_e32 v[46:47], v[12:13], v[74:75]
	s_delay_alu instid0(VALU_DEP_2) | instskip(NEXT) | instid1(VALU_DEP_2)
	v_fma_f64 v[12:13], v[12:13], v[72:73], -v[42:43]
	v_fmac_f64_e32 v[46:47], v[14:15], v[72:73]
	s_delay_alu instid0(VALU_DEP_2) | instskip(NEXT) | instid1(VALU_DEP_2)
	v_add_f64_e32 v[16:17], v[16:17], v[12:13]
	v_add_f64_e32 v[18:19], v[18:19], v[46:47]
.LBB175_468:                            ;   in Loop: Header=BB175_464 Depth=2
	s_or_b32 exec_lo, exec_lo, s18
	s_or_b32 s18, s48, 1
	s_delay_alu instid0(SALU_CYCLE_1) | instskip(SKIP_3) | instid1(SALU_CYCLE_1)
	v_cmp_eq_u32_e32 vcc_lo, s18, v22
	s_barrier_signal -1
	s_barrier_wait -1
	s_and_b32 s19, s13, vcc_lo
	s_and_saveexec_b32 s50, s19
; %bb.469:                              ;   in Loop: Header=BB175_464 Depth=2
	ds_store_b128 v1, v[16:19] offset:25088
; %bb.470:                              ;   in Loop: Header=BB175_464 Depth=2
	s_or_b32 exec_lo, exec_lo, s50
	v_cmp_lt_u32_e32 vcc_lo, s18, v22
	s_wait_dscnt 0x0
	s_barrier_signal -1
	s_barrier_wait -1
	s_and_b32 s19, s13, vcc_lo
	s_delay_alu instid0(SALU_CYCLE_1)
	s_and_saveexec_b32 s18, s19
	s_cbranch_execz .LBB175_463
; %bb.471:                              ;   in Loop: Header=BB175_464 Depth=2
	ds_load_b128 v[12:15], v1 offset:25088
	ds_load_b128 v[72:75], v2 offset:512
	s_wait_dscnt 0x0
	v_mul_f64_e32 v[42:43], v[14:15], v[74:75]
	v_mul_f64_e32 v[46:47], v[12:13], v[74:75]
	s_delay_alu instid0(VALU_DEP_2) | instskip(NEXT) | instid1(VALU_DEP_2)
	v_fma_f64 v[12:13], v[12:13], v[72:73], -v[42:43]
	v_fmac_f64_e32 v[46:47], v[14:15], v[72:73]
	s_delay_alu instid0(VALU_DEP_2) | instskip(NEXT) | instid1(VALU_DEP_2)
	v_add_f64_e32 v[16:17], v[16:17], v[12:13]
	v_add_f64_e32 v[18:19], v[18:19], v[46:47]
	s_branch .LBB175_463
.LBB175_472:                            ;   in Loop: Header=BB175_3 Depth=1
	s_and_b32 vcc_lo, exec_lo, s66
	s_mov_b32 s18, -1
	s_cbranch_vccz .LBB175_474
; %bb.473:                              ;   in Loop: Header=BB175_3 Depth=1
	s_and_not1_b32 s19, s35, exec_lo
	s_and_b32 s35, s13, exec_lo
	s_mov_b32 s18, 0
	s_or_b32 s35, s19, s35
.LBB175_474:                            ;   in Loop: Header=BB175_3 Depth=1
	s_and_not1_b32 vcc_lo, exec_lo, s18
	s_cbranch_vccnz .LBB175_476
; %bb.475:                              ;   in Loop: Header=BB175_3 Depth=1
	v_readlane_b32 s19, v80, 13
	s_and_not1_b32 s18, s35, exec_lo
	s_and_b32 s19, s19, exec_lo
	s_delay_alu instid0(SALU_CYCLE_1)
	s_or_b32 s35, s18, s19
.LBB175_476:                            ;   in Loop: Header=BB175_3 Depth=1
	v_mov_b64_e32 v[2:3], v[34:35]
	s_and_saveexec_b32 s18, s35
	s_cbranch_execnz .LBB175_489
	s_branch .LBB175_490
.LBB175_477:                            ;   in Loop: Header=BB175_3 Depth=1
	v_lshl_add_u64 v[2:3], v[36:37], 4, v[46:47]
	s_or_b32 s35, s35, exec_lo
	flat_load_b128 v[16:19], v[2:3]
	s_wait_loadcnt_dscnt 0x0
	v_xor_b32_e32 v17, 0x80000000, v17
	v_xor_b32_e32 v19, 0x80000000, v19
	s_or_b32 exec_lo, exec_lo, s18
	s_and_saveexec_b32 s18, s35
	s_cbranch_execz .LBB175_14
.LBB175_478:                            ;   in Loop: Header=BB175_3 Depth=1
	ds_store_b128 v70, v[16:19]
	s_or_b32 exec_lo, exec_lo, s18
	s_and_saveexec_b32 s18, s15
	s_delay_alu instid0(SALU_CYCLE_1)
	s_xor_b32 s18, exec_lo, s18
	s_cbranch_execz .LBB175_15
.LBB175_479:                            ;   in Loop: Header=BB175_3 Depth=1
	s_and_saveexec_b32 s35, s34
; %bb.480:                              ;   in Loop: Header=BB175_3 Depth=1
	v_dual_mov_b32 v0, v1 :: v_dual_mov_b32 v2, v1
	v_mov_b32_e32 v3, v1
	ds_store_b128 v21, v[0:3]
; %bb.481:                              ;   in Loop: Header=BB175_3 Depth=1
	s_or_b32 exec_lo, exec_lo, s35
	s_and_not1_saveexec_b32 s18, s18
	s_cbranch_execnz .LBB175_16
	s_branch .LBB175_17
.LBB175_482:                            ;   in Loop: Header=BB175_3 Depth=1
	v_lshl_add_u64 v[2:3], v[36:37], 4, v[46:47]
	s_or_b32 s35, s35, exec_lo
	flat_load_b128 v[16:19], v[2:3]
	s_wait_loadcnt_dscnt 0x0
	v_xor_b32_e32 v17, 0x80000000, v17
	v_xor_b32_e32 v19, 0x80000000, v19
	s_or_b32 exec_lo, exec_lo, s18
	s_and_saveexec_b32 s18, s35
	s_cbranch_execz .LBB175_23
.LBB175_483:                            ;   in Loop: Header=BB175_3 Depth=1
	ds_store_b128 v70, v[16:19]
	s_or_b32 exec_lo, exec_lo, s18
	s_and_saveexec_b32 s18, s99
	s_delay_alu instid0(SALU_CYCLE_1)
	s_xor_b32 s18, exec_lo, s18
	s_cbranch_execz .LBB175_24
.LBB175_484:                            ;   in Loop: Header=BB175_3 Depth=1
	s_and_saveexec_b32 s35, s34
; %bb.485:                              ;   in Loop: Header=BB175_3 Depth=1
	v_dual_mov_b32 v0, v1 :: v_dual_mov_b32 v2, v1
	v_mov_b32_e32 v3, v1
	ds_store_b128 v21, v[0:3]
; %bb.486:                              ;   in Loop: Header=BB175_3 Depth=1
	s_or_b32 exec_lo, exec_lo, s35
                                        ; implicit-def: $vgpr46_vgpr47
	s_and_not1_saveexec_b32 s18, s18
	s_cbranch_execnz .LBB175_25
	s_branch .LBB175_26
.LBB175_487:                            ;   in Loop: Header=BB175_3 Depth=1
	s_or_b32 exec_lo, exec_lo, s50
	s_delay_alu instid0(SALU_CYCLE_1)
	s_and_b32 vcc_lo, exec_lo, s48
	s_cbranch_vccnz .LBB175_462
.LBB175_488:                            ;   in Loop: Header=BB175_3 Depth=1
	s_delay_alu instid0(VALU_DEP_1) | instskip(NEXT) | instid1(VALU_DEP_3)
	v_mov_b64_e32 v[18:19], v[2:3]
	v_mov_b64_e32 v[16:17], v[42:43]
	;; [unrolled: 1-line block ×3, first 2 shown]
	s_and_saveexec_b32 s18, s35
	s_cbranch_execz .LBB175_490
.LBB175_489:                            ;   in Loop: Header=BB175_3 Depth=1
	s_delay_alu instid0(VALU_DEP_1)
	v_lshl_add_u64 v[2:3], v[2:3], 4, v[44:45]
	flat_store_b128 v[2:3], v[16:19]
.LBB175_490:                            ;   in Loop: Header=BB175_3 Depth=1
	s_wait_xcnt 0x0
	s_or_b32 exec_lo, exec_lo, s18
	global_wb scope:SCOPE_DEV
	s_wait_storecnt_dscnt 0x0
	global_inv scope:SCOPE_DEV
	s_wait_loadcnt 0x0
	s_barrier_signal -1
	s_barrier_wait -1
	s_and_saveexec_b32 s18, s27
	s_cbranch_execz .LBB175_2
; %bb.491:                              ;   in Loop: Header=BB175_3 Depth=1
	s_lshl_b64 s[50:51], s[52:53], 2
	s_delay_alu instid0(SALU_CYCLE_1)
	s_add_nc_u64 s[50:51], s[56:57], s[50:51]
	global_load_b32 v0, v1, s[50:51]
	s_wait_loadcnt 0x0
	v_add_nc_u32_e32 v0, 1, v0
	global_store_b32 v1, v0, s[50:51]
	s_branch .LBB175_2
.LBB175_492:                            ;   in Loop: Header=BB175_3 Depth=1
	ds_load_b128 v[72:75], v53 offset:16
	ds_load_b128 v[76:79], v56 offset:576
	s_wait_dscnt 0x0
	v_mul_f64_e32 v[2:3], v[74:75], v[78:79]
	v_mul_f64_e32 v[46:47], v[72:73], v[78:79]
	s_delay_alu instid0(VALU_DEP_2) | instskip(NEXT) | instid1(VALU_DEP_2)
	v_fma_f64 v[2:3], v[72:73], v[76:77], -v[2:3]
	v_fmac_f64_e32 v[46:47], v[74:75], v[76:77]
	s_delay_alu instid0(VALU_DEP_2) | instskip(NEXT) | instid1(VALU_DEP_2)
	v_add_f64_e32 v[16:17], v[16:17], v[2:3]
	v_add_f64_e32 v[18:19], v[18:19], v[46:47]
	s_or_b32 exec_lo, exec_lo, s18
	s_and_saveexec_b32 s18, s6
	s_cbranch_execz .LBB175_47
.LBB175_493:                            ;   in Loop: Header=BB175_3 Depth=1
	ds_load_b128 v[72:75], v53 offset:32
	ds_load_b128 v[76:79], v55 offset:1088
	s_wait_dscnt 0x0
	v_mul_f64_e32 v[2:3], v[74:75], v[78:79]
	v_mul_f64_e32 v[46:47], v[72:73], v[78:79]
	s_delay_alu instid0(VALU_DEP_2) | instskip(NEXT) | instid1(VALU_DEP_2)
	v_fma_f64 v[2:3], v[72:73], v[76:77], -v[2:3]
	v_fmac_f64_e32 v[46:47], v[74:75], v[76:77]
	s_delay_alu instid0(VALU_DEP_2) | instskip(NEXT) | instid1(VALU_DEP_2)
	v_add_f64_e32 v[16:17], v[16:17], v[2:3]
	v_add_f64_e32 v[18:19], v[18:19], v[46:47]
	s_or_b32 exec_lo, exec_lo, s18
	s_and_saveexec_b32 s18, s2
	s_cbranch_execnz .LBB175_48
	s_branch .LBB175_49
.LBB175_494:                            ;   in Loop: Header=BB175_3 Depth=1
	ds_load_b128 v[72:75], v57 offset:48
	ds_load_b128 v[76:79], v61 offset:1664
	s_wait_dscnt 0x0
	v_mul_f64_e32 v[2:3], v[74:75], v[78:79]
	v_mul_f64_e32 v[46:47], v[72:73], v[78:79]
	s_delay_alu instid0(VALU_DEP_2) | instskip(NEXT) | instid1(VALU_DEP_2)
	v_fma_f64 v[2:3], v[72:73], v[76:77], -v[2:3]
	v_fmac_f64_e32 v[46:47], v[74:75], v[76:77]
	s_delay_alu instid0(VALU_DEP_2) | instskip(NEXT) | instid1(VALU_DEP_2)
	v_add_f64_e32 v[16:17], v[16:17], v[2:3]
	v_add_f64_e32 v[18:19], v[18:19], v[46:47]
	s_or_b32 exec_lo, exec_lo, s18
	s_and_saveexec_b32 s18, s11
	s_cbranch_execz .LBB175_89
.LBB175_495:                            ;   in Loop: Header=BB175_3 Depth=1
	ds_load_b128 v[72:75], v57 offset:64
	ds_load_b128 v[76:79], v60 offset:2176
	s_wait_dscnt 0x0
	v_mul_f64_e32 v[2:3], v[74:75], v[78:79]
	v_mul_f64_e32 v[46:47], v[72:73], v[78:79]
	s_delay_alu instid0(VALU_DEP_2) | instskip(NEXT) | instid1(VALU_DEP_2)
	v_fma_f64 v[2:3], v[72:73], v[76:77], -v[2:3]
	v_fmac_f64_e32 v[46:47], v[74:75], v[76:77]
	s_delay_alu instid0(VALU_DEP_2) | instskip(NEXT) | instid1(VALU_DEP_2)
	v_add_f64_e32 v[16:17], v[16:17], v[2:3]
	v_add_f64_e32 v[18:19], v[18:19], v[46:47]
	s_or_b32 exec_lo, exec_lo, s18
	s_and_saveexec_b32 s18, s16
	s_cbranch_execz .LBB175_90
.LBB175_496:                            ;   in Loop: Header=BB175_3 Depth=1
	ds_load_b128 v[72:75], v57 offset:80
	ds_load_b128 v[76:79], v61 offset:2688
	s_wait_dscnt 0x0
	v_mul_f64_e32 v[2:3], v[74:75], v[78:79]
	v_mul_f64_e32 v[46:47], v[72:73], v[78:79]
	s_delay_alu instid0(VALU_DEP_2) | instskip(NEXT) | instid1(VALU_DEP_2)
	v_fma_f64 v[2:3], v[72:73], v[76:77], -v[2:3]
	v_fmac_f64_e32 v[46:47], v[74:75], v[76:77]
	s_delay_alu instid0(VALU_DEP_2) | instskip(NEXT) | instid1(VALU_DEP_2)
	v_add_f64_e32 v[16:17], v[16:17], v[2:3]
	v_add_f64_e32 v[18:19], v[18:19], v[46:47]
	s_or_b32 exec_lo, exec_lo, s18
	s_and_saveexec_b32 s18, s4
	s_cbranch_execz .LBB175_91
.LBB175_497:                            ;   in Loop: Header=BB175_3 Depth=1
	ds_load_b128 v[72:75], v57 offset:96
	ds_load_b128 v[76:79], v60 offset:3200
	s_wait_dscnt 0x0
	v_mul_f64_e32 v[2:3], v[74:75], v[78:79]
	v_mul_f64_e32 v[46:47], v[72:73], v[78:79]
	s_delay_alu instid0(VALU_DEP_2) | instskip(NEXT) | instid1(VALU_DEP_2)
	v_fma_f64 v[2:3], v[72:73], v[76:77], -v[2:3]
	v_fmac_f64_e32 v[46:47], v[74:75], v[76:77]
	s_delay_alu instid0(VALU_DEP_2) | instskip(NEXT) | instid1(VALU_DEP_2)
	v_add_f64_e32 v[16:17], v[16:17], v[2:3]
	v_add_f64_e32 v[18:19], v[18:19], v[46:47]
	s_or_b32 exec_lo, exec_lo, s18
	s_and_saveexec_b32 s18, s6
	s_cbranch_execnz .LBB175_92
	s_branch .LBB175_93
.LBB175_498:                            ;   in Loop: Header=BB175_3 Depth=1
	ds_load_b128 v[72:75], v53 offset:4240
	ds_load_b128 v[76:79], v56 offset:4800
	s_wait_dscnt 0x0
	v_mul_f64_e32 v[2:3], v[74:75], v[78:79]
	v_mul_f64_e32 v[46:47], v[72:73], v[78:79]
	s_delay_alu instid0(VALU_DEP_2) | instskip(NEXT) | instid1(VALU_DEP_2)
	v_fma_f64 v[2:3], v[72:73], v[76:77], -v[2:3]
	v_fmac_f64_e32 v[46:47], v[74:75], v[76:77]
	s_delay_alu instid0(VALU_DEP_2) | instskip(NEXT) | instid1(VALU_DEP_2)
	v_add_f64_e32 v[16:17], v[16:17], v[2:3]
	v_add_f64_e32 v[18:19], v[18:19], v[46:47]
	s_or_b32 exec_lo, exec_lo, s18
	s_and_saveexec_b32 s18, s6
	s_cbranch_execz .LBB175_145
.LBB175_499:                            ;   in Loop: Header=BB175_3 Depth=1
	ds_load_b128 v[72:75], v53 offset:4256
	ds_load_b128 v[76:79], v55 offset:5312
	s_wait_dscnt 0x0
	v_mul_f64_e32 v[2:3], v[74:75], v[78:79]
	v_mul_f64_e32 v[46:47], v[72:73], v[78:79]
	s_delay_alu instid0(VALU_DEP_2) | instskip(NEXT) | instid1(VALU_DEP_2)
	v_fma_f64 v[2:3], v[72:73], v[76:77], -v[2:3]
	v_fmac_f64_e32 v[46:47], v[74:75], v[76:77]
	s_delay_alu instid0(VALU_DEP_2) | instskip(NEXT) | instid1(VALU_DEP_2)
	v_add_f64_e32 v[16:17], v[16:17], v[2:3]
	v_add_f64_e32 v[18:19], v[18:19], v[46:47]
	s_or_b32 exec_lo, exec_lo, s18
	s_and_saveexec_b32 s18, s2
	s_cbranch_execnz .LBB175_146
	s_branch .LBB175_147
.LBB175_500:                            ;   in Loop: Header=BB175_3 Depth=1
	ds_load_b128 v[72:75], v0 offset:176
	ds_load_b128 v[76:79], v66 offset:5888
	s_wait_dscnt 0x0
	v_mul_f64_e32 v[2:3], v[74:75], v[78:79]
	v_mul_f64_e32 v[46:47], v[72:73], v[78:79]
	s_delay_alu instid0(VALU_DEP_2) | instskip(NEXT) | instid1(VALU_DEP_2)
	v_fma_f64 v[2:3], v[72:73], v[76:77], -v[2:3]
	v_fmac_f64_e32 v[46:47], v[74:75], v[76:77]
	s_delay_alu instid0(VALU_DEP_2) | instskip(NEXT) | instid1(VALU_DEP_2)
	v_add_f64_e32 v[16:17], v[16:17], v[2:3]
	v_add_f64_e32 v[18:19], v[18:19], v[46:47]
	s_or_b32 exec_lo, exec_lo, s18
	s_and_saveexec_b32 s18, s7
	s_cbranch_execz .LBB175_203
.LBB175_501:                            ;   in Loop: Header=BB175_3 Depth=1
	ds_load_b128 v[72:75], v0 offset:192
	ds_load_b128 v[76:79], v66 offset:6400
	s_wait_dscnt 0x0
	v_mul_f64_e32 v[2:3], v[74:75], v[78:79]
	v_mul_f64_e32 v[46:47], v[72:73], v[78:79]
	s_delay_alu instid0(VALU_DEP_2) | instskip(NEXT) | instid1(VALU_DEP_2)
	v_fma_f64 v[2:3], v[72:73], v[76:77], -v[2:3]
	v_fmac_f64_e32 v[46:47], v[74:75], v[76:77]
	s_delay_alu instid0(VALU_DEP_2) | instskip(NEXT) | instid1(VALU_DEP_2)
	v_add_f64_e32 v[16:17], v[16:17], v[2:3]
	v_add_f64_e32 v[18:19], v[18:19], v[46:47]
	s_or_b32 exec_lo, exec_lo, s18
	s_and_saveexec_b32 s18, s9
	s_cbranch_execz .LBB175_204
.LBB175_502:                            ;   in Loop: Header=BB175_3 Depth=1
	ds_load_b128 v[72:75], v0 offset:208
	ds_load_b128 v[76:79], v66 offset:6912
	s_wait_dscnt 0x0
	v_mul_f64_e32 v[2:3], v[74:75], v[78:79]
	v_mul_f64_e32 v[46:47], v[72:73], v[78:79]
	s_delay_alu instid0(VALU_DEP_2) | instskip(NEXT) | instid1(VALU_DEP_2)
	v_fma_f64 v[2:3], v[72:73], v[76:77], -v[2:3]
	v_fmac_f64_e32 v[46:47], v[74:75], v[76:77]
	s_delay_alu instid0(VALU_DEP_2) | instskip(NEXT) | instid1(VALU_DEP_2)
	v_add_f64_e32 v[16:17], v[16:17], v[2:3]
	v_add_f64_e32 v[18:19], v[18:19], v[46:47]
	s_or_b32 exec_lo, exec_lo, s18
	s_and_saveexec_b32 s18, s11
	s_cbranch_execz .LBB175_205
.LBB175_503:                            ;   in Loop: Header=BB175_3 Depth=1
	ds_load_b128 v[72:75], v0 offset:224
	ds_load_b128 v[76:79], v66 offset:7424
	s_wait_dscnt 0x0
	v_mul_f64_e32 v[2:3], v[74:75], v[78:79]
	v_mul_f64_e32 v[46:47], v[72:73], v[78:79]
	s_delay_alu instid0(VALU_DEP_2) | instskip(NEXT) | instid1(VALU_DEP_2)
	v_fma_f64 v[2:3], v[72:73], v[76:77], -v[2:3]
	v_fmac_f64_e32 v[46:47], v[74:75], v[76:77]
	s_delay_alu instid0(VALU_DEP_2) | instskip(NEXT) | instid1(VALU_DEP_2)
	v_add_f64_e32 v[16:17], v[16:17], v[2:3]
	v_add_f64_e32 v[18:19], v[18:19], v[46:47]
	s_or_b32 exec_lo, exec_lo, s18
	s_and_saveexec_b32 s18, s4
	s_cbranch_execnz .LBB175_206
	s_branch .LBB175_207
.LBB175_504:                            ;   in Loop: Header=BB175_3 Depth=1
	ds_load_b128 v[72:75], v53 offset:8464
	ds_load_b128 v[76:79], v56 offset:9024
	s_wait_dscnt 0x0
	v_mul_f64_e32 v[2:3], v[74:75], v[78:79]
	v_mul_f64_e32 v[46:47], v[72:73], v[78:79]
	s_delay_alu instid0(VALU_DEP_2) | instskip(NEXT) | instid1(VALU_DEP_2)
	v_fma_f64 v[2:3], v[72:73], v[76:77], -v[2:3]
	v_fmac_f64_e32 v[46:47], v[74:75], v[76:77]
	s_delay_alu instid0(VALU_DEP_2) | instskip(NEXT) | instid1(VALU_DEP_2)
	v_add_f64_e32 v[16:17], v[16:17], v[2:3]
	v_add_f64_e32 v[18:19], v[18:19], v[46:47]
	s_or_b32 exec_lo, exec_lo, s18
	s_and_saveexec_b32 s18, s6
	s_cbranch_execz .LBB175_291
.LBB175_505:                            ;   in Loop: Header=BB175_3 Depth=1
	ds_load_b128 v[72:75], v53 offset:8480
	ds_load_b128 v[76:79], v55 offset:9536
	s_wait_dscnt 0x0
	v_mul_f64_e32 v[2:3], v[74:75], v[78:79]
	v_mul_f64_e32 v[46:47], v[72:73], v[78:79]
	s_delay_alu instid0(VALU_DEP_2) | instskip(NEXT) | instid1(VALU_DEP_2)
	v_fma_f64 v[2:3], v[72:73], v[76:77], -v[2:3]
	v_fmac_f64_e32 v[46:47], v[74:75], v[76:77]
	s_delay_alu instid0(VALU_DEP_2) | instskip(NEXT) | instid1(VALU_DEP_2)
	v_add_f64_e32 v[16:17], v[16:17], v[2:3]
	v_add_f64_e32 v[18:19], v[18:19], v[46:47]
	s_or_b32 exec_lo, exec_lo, s18
	s_and_saveexec_b32 s18, s2
	s_cbranch_execnz .LBB175_292
	s_branch .LBB175_293
.LBB175_506:                            ;   in Loop: Header=BB175_3 Depth=1
	ds_load_b128 v[72:75], v57 offset:8496
	ds_load_b128 v[76:79], v61 offset:10112
	s_wait_dscnt 0x0
	v_mul_f64_e32 v[2:3], v[74:75], v[78:79]
	v_mul_f64_e32 v[46:47], v[72:73], v[78:79]
	s_delay_alu instid0(VALU_DEP_2) | instskip(NEXT) | instid1(VALU_DEP_2)
	v_fma_f64 v[2:3], v[72:73], v[76:77], -v[2:3]
	v_fmac_f64_e32 v[46:47], v[74:75], v[76:77]
	s_delay_alu instid0(VALU_DEP_2) | instskip(NEXT) | instid1(VALU_DEP_2)
	v_add_f64_e32 v[16:17], v[16:17], v[2:3]
	v_add_f64_e32 v[18:19], v[18:19], v[46:47]
	s_or_b32 exec_lo, exec_lo, s18
	s_and_saveexec_b32 s18, s11
	s_cbranch_execz .LBB175_333
.LBB175_507:                            ;   in Loop: Header=BB175_3 Depth=1
	ds_load_b128 v[72:75], v57 offset:8512
	ds_load_b128 v[76:79], v60 offset:10624
	s_wait_dscnt 0x0
	v_mul_f64_e32 v[2:3], v[74:75], v[78:79]
	v_mul_f64_e32 v[46:47], v[72:73], v[78:79]
	s_delay_alu instid0(VALU_DEP_2) | instskip(NEXT) | instid1(VALU_DEP_2)
	v_fma_f64 v[2:3], v[72:73], v[76:77], -v[2:3]
	v_fmac_f64_e32 v[46:47], v[74:75], v[76:77]
	s_delay_alu instid0(VALU_DEP_2) | instskip(NEXT) | instid1(VALU_DEP_2)
	v_add_f64_e32 v[16:17], v[16:17], v[2:3]
	v_add_f64_e32 v[18:19], v[18:19], v[46:47]
	s_or_b32 exec_lo, exec_lo, s18
	s_and_saveexec_b32 s18, s16
	s_cbranch_execz .LBB175_334
.LBB175_508:                            ;   in Loop: Header=BB175_3 Depth=1
	ds_load_b128 v[72:75], v57 offset:8528
	ds_load_b128 v[76:79], v61 offset:11136
	s_wait_dscnt 0x0
	v_mul_f64_e32 v[2:3], v[74:75], v[78:79]
	v_mul_f64_e32 v[46:47], v[72:73], v[78:79]
	s_delay_alu instid0(VALU_DEP_2) | instskip(NEXT) | instid1(VALU_DEP_2)
	v_fma_f64 v[2:3], v[72:73], v[76:77], -v[2:3]
	v_fmac_f64_e32 v[46:47], v[74:75], v[76:77]
	s_delay_alu instid0(VALU_DEP_2) | instskip(NEXT) | instid1(VALU_DEP_2)
	v_add_f64_e32 v[16:17], v[16:17], v[2:3]
	v_add_f64_e32 v[18:19], v[18:19], v[46:47]
	s_or_b32 exec_lo, exec_lo, s18
	s_and_saveexec_b32 s18, s4
	s_cbranch_execz .LBB175_335
.LBB175_509:                            ;   in Loop: Header=BB175_3 Depth=1
	ds_load_b128 v[72:75], v57 offset:8544
	ds_load_b128 v[76:79], v60 offset:11648
	s_wait_dscnt 0x0
	v_mul_f64_e32 v[2:3], v[74:75], v[78:79]
	v_mul_f64_e32 v[46:47], v[72:73], v[78:79]
	s_delay_alu instid0(VALU_DEP_2) | instskip(NEXT) | instid1(VALU_DEP_2)
	v_fma_f64 v[2:3], v[72:73], v[76:77], -v[2:3]
	v_fmac_f64_e32 v[46:47], v[74:75], v[76:77]
	s_delay_alu instid0(VALU_DEP_2) | instskip(NEXT) | instid1(VALU_DEP_2)
	v_add_f64_e32 v[16:17], v[16:17], v[2:3]
	v_add_f64_e32 v[18:19], v[18:19], v[46:47]
	s_or_b32 exec_lo, exec_lo, s18
	s_and_saveexec_b32 s18, s6
	s_cbranch_execnz .LBB175_336
	s_branch .LBB175_337
.LBB175_510:                            ;   in Loop: Header=BB175_3 Depth=1
	ds_load_b128 v[72:75], v53 offset:12688
	ds_load_b128 v[76:79], v56 offset:13248
	s_wait_dscnt 0x0
	v_mul_f64_e32 v[2:3], v[74:75], v[78:79]
	v_mul_f64_e32 v[46:47], v[72:73], v[78:79]
	s_delay_alu instid0(VALU_DEP_2) | instskip(NEXT) | instid1(VALU_DEP_2)
	v_fma_f64 v[2:3], v[72:73], v[76:77], -v[2:3]
	v_fmac_f64_e32 v[46:47], v[74:75], v[76:77]
	s_delay_alu instid0(VALU_DEP_2) | instskip(NEXT) | instid1(VALU_DEP_2)
	v_add_f64_e32 v[16:17], v[16:17], v[2:3]
	v_add_f64_e32 v[18:19], v[18:19], v[46:47]
	s_or_b32 exec_lo, exec_lo, s18
	s_and_saveexec_b32 s18, s6
	s_cbranch_execz .LBB175_389
.LBB175_511:                            ;   in Loop: Header=BB175_3 Depth=1
	ds_load_b128 v[72:75], v53 offset:12704
	ds_load_b128 v[76:79], v55 offset:13760
	s_wait_dscnt 0x0
	v_mul_f64_e32 v[2:3], v[74:75], v[78:79]
	v_mul_f64_e32 v[46:47], v[72:73], v[78:79]
	s_delay_alu instid0(VALU_DEP_2) | instskip(NEXT) | instid1(VALU_DEP_2)
	v_fma_f64 v[2:3], v[72:73], v[76:77], -v[2:3]
	v_fmac_f64_e32 v[46:47], v[74:75], v[76:77]
	s_delay_alu instid0(VALU_DEP_2) | instskip(NEXT) | instid1(VALU_DEP_2)
	v_add_f64_e32 v[16:17], v[16:17], v[2:3]
	v_add_f64_e32 v[18:19], v[18:19], v[46:47]
	s_or_b32 exec_lo, exec_lo, s18
	s_and_saveexec_b32 s18, s2
	s_cbranch_execnz .LBB175_390
	s_branch .LBB175_391
.LBB175_512:
	s_endpgm
	.section	.rodata,"a",@progbits
	.p2align	6, 0x0
	.amdhsa_kernel _ZL19rocblas_trsv_deviceILi32ELi16ELb1ELb0ELb0ELb1E19rocblas_complex_numIdEPKS1_PKS3_PKPS1_EviT7_lllT6_T8_lllPii
		.amdhsa_group_segment_fixed_size 25104
		.amdhsa_private_segment_fixed_size 0
		.amdhsa_kernarg_size 352
		.amdhsa_user_sgpr_count 2
		.amdhsa_user_sgpr_dispatch_ptr 0
		.amdhsa_user_sgpr_queue_ptr 0
		.amdhsa_user_sgpr_kernarg_segment_ptr 1
		.amdhsa_user_sgpr_dispatch_id 0
		.amdhsa_user_sgpr_kernarg_preload_length 0
		.amdhsa_user_sgpr_kernarg_preload_offset 0
		.amdhsa_user_sgpr_private_segment_size 0
		.amdhsa_wavefront_size32 1
		.amdhsa_uses_dynamic_stack 0
		.amdhsa_enable_private_segment 0
		.amdhsa_system_sgpr_workgroup_id_x 1
		.amdhsa_system_sgpr_workgroup_id_y 0
		.amdhsa_system_sgpr_workgroup_id_z 1
		.amdhsa_system_sgpr_workgroup_info 0
		.amdhsa_system_vgpr_workitem_id 1
		.amdhsa_next_free_vgpr 81
		.amdhsa_next_free_sgpr 105
		.amdhsa_named_barrier_count 0
		.amdhsa_reserve_vcc 1
		.amdhsa_float_round_mode_32 0
		.amdhsa_float_round_mode_16_64 0
		.amdhsa_float_denorm_mode_32 3
		.amdhsa_float_denorm_mode_16_64 3
		.amdhsa_fp16_overflow 0
		.amdhsa_memory_ordered 1
		.amdhsa_forward_progress 1
		.amdhsa_inst_pref_size 139
		.amdhsa_round_robin_scheduling 0
		.amdhsa_exception_fp_ieee_invalid_op 0
		.amdhsa_exception_fp_denorm_src 0
		.amdhsa_exception_fp_ieee_div_zero 0
		.amdhsa_exception_fp_ieee_overflow 0
		.amdhsa_exception_fp_ieee_underflow 0
		.amdhsa_exception_fp_ieee_inexact 0
		.amdhsa_exception_int_div_zero 0
	.end_amdhsa_kernel
	.section	.text._ZL19rocblas_trsv_deviceILi32ELi16ELb1ELb0ELb0ELb1E19rocblas_complex_numIdEPKS1_PKS3_PKPS1_EviT7_lllT6_T8_lllPii,"axG",@progbits,_ZL19rocblas_trsv_deviceILi32ELi16ELb1ELb0ELb0ELb1E19rocblas_complex_numIdEPKS1_PKS3_PKPS1_EviT7_lllT6_T8_lllPii,comdat
.Lfunc_end175:
	.size	_ZL19rocblas_trsv_deviceILi32ELi16ELb1ELb0ELb0ELb1E19rocblas_complex_numIdEPKS1_PKS3_PKPS1_EviT7_lllT6_T8_lllPii, .Lfunc_end175-_ZL19rocblas_trsv_deviceILi32ELi16ELb1ELb0ELb0ELb1E19rocblas_complex_numIdEPKS1_PKS3_PKPS1_EviT7_lllT6_T8_lllPii
                                        ; -- End function
	.set _ZL19rocblas_trsv_deviceILi32ELi16ELb1ELb0ELb0ELb1E19rocblas_complex_numIdEPKS1_PKS3_PKPS1_EviT7_lllT6_T8_lllPii.num_vgpr, 81
	.set _ZL19rocblas_trsv_deviceILi32ELi16ELb1ELb0ELb0ELb1E19rocblas_complex_numIdEPKS1_PKS3_PKPS1_EviT7_lllT6_T8_lllPii.num_agpr, 0
	.set _ZL19rocblas_trsv_deviceILi32ELi16ELb1ELb0ELb0ELb1E19rocblas_complex_numIdEPKS1_PKS3_PKPS1_EviT7_lllT6_T8_lllPii.numbered_sgpr, 105
	.set _ZL19rocblas_trsv_deviceILi32ELi16ELb1ELb0ELb0ELb1E19rocblas_complex_numIdEPKS1_PKS3_PKPS1_EviT7_lllT6_T8_lllPii.num_named_barrier, 0
	.set _ZL19rocblas_trsv_deviceILi32ELi16ELb1ELb0ELb0ELb1E19rocblas_complex_numIdEPKS1_PKS3_PKPS1_EviT7_lllT6_T8_lllPii.private_seg_size, 0
	.set _ZL19rocblas_trsv_deviceILi32ELi16ELb1ELb0ELb0ELb1E19rocblas_complex_numIdEPKS1_PKS3_PKPS1_EviT7_lllT6_T8_lllPii.uses_vcc, 1
	.set _ZL19rocblas_trsv_deviceILi32ELi16ELb1ELb0ELb0ELb1E19rocblas_complex_numIdEPKS1_PKS3_PKPS1_EviT7_lllT6_T8_lllPii.uses_flat_scratch, 0
	.set _ZL19rocblas_trsv_deviceILi32ELi16ELb1ELb0ELb0ELb1E19rocblas_complex_numIdEPKS1_PKS3_PKPS1_EviT7_lllT6_T8_lllPii.has_dyn_sized_stack, 0
	.set _ZL19rocblas_trsv_deviceILi32ELi16ELb1ELb0ELb0ELb1E19rocblas_complex_numIdEPKS1_PKS3_PKPS1_EviT7_lllT6_T8_lllPii.has_recursion, 0
	.set _ZL19rocblas_trsv_deviceILi32ELi16ELb1ELb0ELb0ELb1E19rocblas_complex_numIdEPKS1_PKS3_PKPS1_EviT7_lllT6_T8_lllPii.has_indirect_call, 0
	.section	.AMDGPU.csdata,"",@progbits
; Kernel info:
; codeLenInByte = 17680
; TotalNumSgprs: 107
; NumVgprs: 81
; ScratchSize: 0
; MemoryBound: 1
; FloatMode: 240
; IeeeMode: 1
; LDSByteSize: 25104 bytes/workgroup (compile time only)
; SGPRBlocks: 0
; VGPRBlocks: 5
; NumSGPRsForWavesPerEU: 107
; NumVGPRsForWavesPerEU: 81
; NamedBarCnt: 0
; Occupancy: 10
; WaveLimiterHint : 1
; COMPUTE_PGM_RSRC2:SCRATCH_EN: 0
; COMPUTE_PGM_RSRC2:USER_SGPR: 2
; COMPUTE_PGM_RSRC2:TRAP_HANDLER: 0
; COMPUTE_PGM_RSRC2:TGID_X_EN: 1
; COMPUTE_PGM_RSRC2:TGID_Y_EN: 0
; COMPUTE_PGM_RSRC2:TGID_Z_EN: 1
; COMPUTE_PGM_RSRC2:TIDIG_COMP_CNT: 1
	.section	.text._ZL19rocblas_trsv_deviceILi32ELi16ELb1ELb1ELb0ELb1E19rocblas_complex_numIdEPKS1_PKS3_PKPS1_EviT7_lllT6_T8_lllPii,"axG",@progbits,_ZL19rocblas_trsv_deviceILi32ELi16ELb1ELb1ELb0ELb1E19rocblas_complex_numIdEPKS1_PKS3_PKPS1_EviT7_lllT6_T8_lllPii,comdat
	.globl	_ZL19rocblas_trsv_deviceILi32ELi16ELb1ELb1ELb0ELb1E19rocblas_complex_numIdEPKS1_PKS3_PKPS1_EviT7_lllT6_T8_lllPii ; -- Begin function _ZL19rocblas_trsv_deviceILi32ELi16ELb1ELb1ELb0ELb1E19rocblas_complex_numIdEPKS1_PKS3_PKPS1_EviT7_lllT6_T8_lllPii
	.p2align	8
	.type	_ZL19rocblas_trsv_deviceILi32ELi16ELb1ELb1ELb0ELb1E19rocblas_complex_numIdEPKS1_PKS3_PKPS1_EviT7_lllT6_T8_lllPii,@function
_ZL19rocblas_trsv_deviceILi32ELi16ELb1ELb1ELb0ELb1E19rocblas_complex_numIdEPKS1_PKS3_PKPS1_EviT7_lllT6_T8_lllPii: ; @_ZL19rocblas_trsv_deviceILi32ELi16ELb1ELb1ELb0ELb1E19rocblas_complex_numIdEPKS1_PKS3_PKPS1_EviT7_lllT6_T8_lllPii
; %bb.0:
	s_load_b32 s33, s[0:1], 0x58
	s_bfe_u32 s2, ttmp6, 0x40014
	s_lshr_b32 s3, ttmp7, 16
	s_add_co_i32 s2, s2, 1
	s_bfe_u32 s5, ttmp6, 0x40008
	s_mul_i32 s4, s3, s2
	s_getreg_b32 s2, hwreg(HW_REG_IB_STS2, 6, 4)
	s_add_co_i32 s5, s5, s4
	s_cmp_eq_u32 s2, 0
	s_mov_b32 s35, 0
	s_cselect_b32 s34, s3, s5
	s_wait_kmcnt 0x0
	s_cmp_ge_u32 s34, s33
	s_cbranch_scc1 .LBB176_542
; %bb.1:
	s_clause 0x2
	s_load_b32 s3, s[0:1], 0x6c
	s_load_b32 s59, s[0:1], 0x60
	;; [unrolled: 1-line block ×3, first 2 shown]
	s_bfe_u32 s5, ttmp6, 0x4000c
	s_and_b32 s4, ttmp6, 15
	s_add_co_i32 s5, s5, 1
	s_clause 0x1
	s_load_b64 s[12:13], s[0:1], 0x18
	s_load_b128 s[44:47], s[0:1], 0x8
	s_mul_i32 s5, ttmp9, s5
	s_load_b256 s[36:43], s[0:1], 0x28
	s_add_co_i32 s4, s4, s5
	s_cmp_eq_u32 s2, 0
	s_load_b64 s[54:55], s[0:1], 0x50
	s_cselect_b32 s58, ttmp9, s4
	v_and_b32_e32 v22, 0x3ff, v0
	v_mov_b32_e32 v2, 0
	v_bfe_u32 v24, v0, 10, 10
                                        ; implicit-def: $vgpr212 : SGPR spill to VGPR lane
	s_mov_b32 s49, 0x3ff00000
	s_delay_alu instid0(VALU_DEP_3)
	v_dual_lshrrev_b32 v10, 10, v0 :: v_dual_lshlrev_b32 v1, 5, v22
	s_wait_kmcnt 0x0
	s_and_b32 s0, s3, 0xffff
	s_add_co_i32 s59, s59, -1
	s_add_co_i32 s1, s52, -1
	s_ashr_i32 s53, s52, 31
	s_ashr_i32 s2, s1, 31
	s_lshr_b32 s3, s53, 27
	s_lshr_b32 s2, s2, 27
	s_add_co_i32 s3, s52, s3
	s_add_co_i32 s1, s1, s2
	s_and_not1_b32 s3, s3, 31
	s_sub_co_i32 s95, s59, s58
	s_ashr_i32 s1, s1, 5
	s_sub_co_i32 s11, s52, s3
	s_cmp_eq_u32 s1, s95
	v_dual_mov_b32 v27, v2 :: v_dual_add_nc_u32 v4, 16, v24
	s_cselect_b32 s1, -1, 0
	s_cmp_lg_u32 s11, 0
	v_lshl_add_u32 v3, v24, 5, v22
	s_cselect_b32 s2, -1, 0
	v_add_nc_u32_e32 v8, v24, v1
	s_and_b32 s27, s2, s1
	v_lshl_add_u32 v9, v4, 5, v22
	s_xor_b32 s60, s27, -1
	s_cmp_lg_u32 s58, 0
	s_add_nc_u64 s[2:3], s[12:13], 1
	s_cselect_b32 s61, -1, 0
	s_lshl_b32 s16, s95, 5
	s_cmp_lt_i32 s58, 5
	v_dual_add_nc_u32 v5, s16, v24 :: v_dual_add_nc_u32 v1, v4, v1
	v_add_nc_u32_e32 v6, s16, v22
	s_cselect_b32 vcc_lo, -1, 0
	s_ashr_i32 s17, s16, 31
	s_delay_alu instid0(VALU_DEP_2) | instskip(SKIP_2) | instid1(VALU_DEP_2)
	v_dual_add_nc_u32 v28, 32, v5 :: v_dual_cndmask_b32 v8, v3, v8, vcc_lo
	v_lshrrev_b32_e32 v11, 1, v3
	s_or_b32 vcc_lo, vcc_lo, s27
	v_dual_ashrrev_i32 v7, 31, v6 :: v_dual_ashrrev_i32 v29, 31, v28
	v_dual_cndmask_b32 v9, v9, v1, vcc_lo :: v_dual_bitop2_b32 v1, 1, v0 bitop3:0x40
	s_mul_u64 s[14:15], s[2:3], s[16:17]
	v_cmp_gt_u32_e64 s1, 4, v3
	v_lshlrev_b32_e32 v48, 4, v22
	v_bitop3_b32 v13, v0, v10, 0x3ff bitop3:0xa8
	v_cmp_eq_u32_e64 s2, 1, v1
	v_lshlrev_b32_e32 v12, 4, v1
	v_lshl_add_u32 v23, v11, 4, 0x4000
	v_mul_u32_u24_e32 v47, 0x210, v11
	v_lshrrev_b32_e32 v1, 2, v3
	s_xor_b32 s3, s2, -1
	v_lshl_or_b32 v46, v11, 9, v12
	s_and_b32 s63, s3, s1
	s_and_b32 s64, s2, s1
	v_cmp_eq_u32_e64 s2, 0, v24
	v_cmp_gt_u32_e64 s3, 2, v22
	v_mad_u32_u24 v10, 0x1f0, v22, v48
	v_dual_lshlrev_b32 v12, 4, v1 :: v_dual_bitop2_b32 v11, 3, v0 bitop3:0x40
	v_mul_u32_u24_e32 v49, 0x210, v1
	s_and_b32 s65, s2, s3
	s_delay_alu instid0(VALU_DEP_2)
	v_dual_add_nc_u32 v51, 48, v10 :: v_dual_lshlrev_b32 v52, 4, v11
	v_mad_i32_i24 v53, 0xfffffe10, v22, v10
	v_cmp_gt_u32_e64 s3, 16, v3
	v_cmp_eq_u32_e64 s4, 0, v11
	v_cmp_ne_u32_e64 s5, 0, v11
	v_dual_add_nc_u32 v50, 32, v10 :: v_dual_sub_nc_u32 v14, v49, v12
	v_dual_mov_b32 v25, v2 :: v_dual_add_nc_u32 v54, 0x4000, v12
	v_lshl_or_b32 v55, v1, 9, v52
	v_cmp_eq_u32_e64 s6, 1, v11
	v_cmp_lt_u32_e64 s7, 1, v11
	v_cmp_eq_u32_e64 s8, 2, v11
	s_and_b32 s66, s4, s3
	s_and_b32 s67, s5, s3
	v_lshrrev_b32_e32 v1, 3, v3
	v_cmp_eq_u32_e64 s4, 3, v11
	v_cmp_gt_u32_e64 s5, 4, v22
	v_mad_u32_u24 v11, 0x1f0, v22, v53
	v_and_b32_e32 v12, 7, v0
	v_dual_add_nc_u32 v56, v14, v52 :: v_dual_lshlrev_b32 v14, 4, v1
	s_and_b32 s68, s6, s3
	v_mul_u32_u24_e32 v57, 0x210, v1
	s_and_b32 s71, s4, s3
	s_and_b32 s72, s2, s5
	v_add_nc_u32_e32 v58, 64, v11
	v_cmp_gt_u32_e64 s4, 64, v3
	v_cmp_eq_u32_e64 s5, 0, v12
	v_cmp_ne_u32_e64 s6, 0, v12
	s_and_b32 s69, s7, s3
	v_dual_lshlrev_b32 v59, 4, v12 :: v_dual_sub_nc_u32 v15, v57, v14
	v_cmp_eq_u32_e64 s7, 1, v12
	s_and_b32 s73, s5, s4
	s_and_b32 s74, s6, s4
	v_cmp_lt_u32_e64 s5, 2, v12
	v_cmp_eq_u32_e64 s6, 3, v12
	v_dual_add_nc_u32 v63, v15, v59 :: v_dual_bitop2_b32 v0, 15, v0 bitop3:0x40
	s_and_b32 s75, s7, s4
	v_cmp_lt_u32_e64 s7, 3, v12
	s_and_b32 s78, s5, s4
	s_and_b32 s79, s6, s4
	v_cmp_eq_u32_e64 s5, 5, v12
	v_cmp_lt_u32_e64 s6, 5, v12
	s_and_b32 s70, s8, s3
	v_cmp_lt_u32_e64 s8, 1, v12
	s_and_b32 s80, s7, s4
	v_cmp_eq_u32_e64 s7, 6, v12
	s_and_b32 s83, s5, s4
	s_and_b32 s84, s6, s4
	v_cmp_gt_u32_e64 s5, 0x100, v3
	v_cmp_eq_u32_e64 s6, 0, v0
	v_cmp_eq_u32_e64 s9, 2, v12
	s_and_b32 s76, s8, s4
	v_cmp_eq_u32_e64 s8, 4, v12
	s_and_b32 s85, s7, s4
	v_cmp_ne_u32_e64 s7, 0, v0
	s_and_b32 s6, s6, s5
	s_and_b32 s77, s9, s4
	v_writelane_b32 v212, s6, 0
	v_cmp_lt_u32_e64 s9, 4, v12
	s_and_b32 s81, s8, s4
	v_cmp_eq_u32_e64 s8, 7, v12
	v_cmp_eq_u32_e64 s6, 1, v0
	s_and_b32 s7, s7, s5
	s_and_b32 s82, s9, s4
	v_writelane_b32 v212, s7, 1
	v_cmp_gt_u32_e64 s9, 8, v22
	s_and_b32 s86, s8, s4
	v_cmp_lt_u32_e64 s8, 1, v0
	s_and_b32 s6, s6, s5
	v_cmp_lt_u32_e64 s10, 2, v0
	v_writelane_b32 v212, s6, 2
	s_and_b32 s87, s2, s9
	v_cmp_eq_u32_e64 s9, 2, v0
	s_and_b32 s6, s8, s5
	v_cmp_lt_u32_e64 s7, 3, v0
	v_writelane_b32 v212, s6, 3
	v_cmp_eq_u32_e64 s8, 4, v0
	s_and_b32 s6, s9, s5
	v_cmp_lt_u32_e64 s9, 4, v0
	v_lshl_or_b32 v62, v1, 9, v59
	v_writelane_b32 v212, s6, 4
	s_and_b32 s6, s10, s5
	v_cmp_eq_u32_e64 s10, 5, v0
	v_dual_lshlrev_b32 v1, 5, v3 :: v_dual_lshlrev_b32 v73, 4, v0
	v_writelane_b32 v212, s6, 5
	v_cmp_eq_u32_e64 s6, 3, v0
	v_mad_i32_i24 v86, 0xfffffe10, v22, v11
	s_xor_b32 s62, vcc_lo, -1
	v_cmp_gt_i32_e32 vcc_lo, s11, v22
	v_and_b32_e32 v72, 0xfffffe00, v1
	s_and_b32 s6, s6, s5
	v_mad_u32_u24 v26, v24, s0, v22
	v_writelane_b32 v212, s6, 6
	s_and_b32 s6, s7, s5
	v_cmp_eq_u32_e64 s7, 6, v0
	v_cmp_gt_i32_e64 s0, s52, v6
	v_mul_u64_e32 v[30:31], s[42:43], v[6:7]
	v_writelane_b32 v212, s6, 7
	s_and_b32 s6, s8, s5
	v_cmp_lt_u32_e64 s8, 6, v0
	v_add_nc_u32_e32 v60, 0x70, v11
	v_add_nc_u32_e32 v64, 0x80, v10
	v_writelane_b32 v212, s6, 8
	s_and_b32 s6, s9, s5
	v_cmp_eq_u32_e64 s9, 7, v0
	v_add_nc_u32_e32 v65, 0x90, v10
	v_add_nc_u32_e32 v66, 0xa0, v10
	v_writelane_b32 v212, s6, 9
	s_and_b32 s6, s10, s5
	v_cmp_lt_u32_e64 s10, 7, v0
	v_add_nc_u32_e32 v67, 0xb0, v10
	v_add_nc_u32_e32 v68, 0xc0, v10
	v_writelane_b32 v212, s6, 10
	v_cmp_lt_u32_e64 s6, 5, v0
	s_and_b32 s103, s10, s5
	v_cmp_eq_u32_e64 s10, 10, v0
	v_add_nc_u32_e32 v69, 0xd0, v10
	v_add_nc_u32_e32 v70, 0xe0, v10
	s_and_b32 s6, s6, s5
	v_add_nc_u32_e32 v71, 0xf0, v10
	v_writelane_b32 v212, s6, 11
	s_and_b32 s6, s7, s5
	v_cmp_lt_u32_e64 s7, 8, v0
	s_and_b32 s20, s10, s5
	v_cmp_lt_u32_e64 s10, 12, v0
	v_writelane_b32 v212, s6, 12
	s_and_b32 s6, s8, s5
	v_cmp_eq_u32_e64 s8, 9, v0
	s_and_b32 vcc_hi, s7, s5
	v_cmp_eq_u32_e64 s7, 11, v0
	v_writelane_b32 v212, s6, 13
	s_and_b32 s6, s9, s5
	v_cmp_lt_u32_e64 s9, 9, v0
	s_and_b32 s18, s8, s5
	v_cmp_lt_u32_e64 s8, 11, v0
	v_writelane_b32 v212, s6, 14
	v_cmp_eq_u32_e64 s6, 8, v0
	s_and_b32 s19, s9, s5
	v_cmp_eq_u32_e64 s9, 12, v0
	s_and_b32 s23, s8, s5
	;; [unrolled: 2-line block ×3, first 2 shown]
	v_cmp_lt_u32_e64 s6, 10, v0
	s_and_b32 s22, s7, s5
	s_and_b32 s24, s9, s5
	;; [unrolled: 1-line block ×3, first 2 shown]
	v_cmp_lt_u32_e64 s7, 13, v0
	s_and_b32 s21, s6, s5
	v_cmp_eq_u32_e64 s6, 13, v0
	v_cmp_eq_u32_e64 s9, 15, v0
	v_cmp_gt_u32_e64 s10, 16, v22
	v_dual_add_nc_u32 v0, 48, v5 :: v_dual_lshlrev_b32 v5, 9, v22
	s_and_b32 s26, s6, s5
	v_cmp_le_i32_e64 s6, s11, v22
	s_and_b32 s89, s8, s5
	s_and_b32 s88, s7, s5
	;; [unrolled: 1-line block ×5, first 2 shown]
	v_cmp_gt_i32_e64 s7, s52, v0
	s_xor_b32 s8, s92, -1
	v_mad_u32_u24 v0, 0x1f0, v22, v86
	s_and_b32 s93, s2, s8
	s_cmp_gt_i32 s58, 0
	v_cmp_le_i32_e64 s8, s11, v24
	s_cselect_b32 s94, -1, 0
	v_cmp_le_i32_e64 s9, s11, v4
	s_and_b32 s11, s2, vcc_lo
	v_cmp_gt_u32_e64 s27, 0xf0, v3
	v_writelane_b32 v212, s11, 15
	v_mad_i32_i24 v97, 0xfffffe10, v22, v0
	v_add_nc_u32_e32 v95, 0x860, v0
	v_add_nc_u32_e32 v96, 0x870, v0
	v_add_nc_u32_e32 v98, 0x10c0, v0
	v_writelane_b32 v212, s27, 16
	v_cmp_gt_u32_e64 s27, 0xe0, v3
	v_mad_u32_u24 v1, 0x1f0, v22, v97
	v_add_nc_u32_e32 v99, 0x10f0, v0
	v_add_nc_u32_e32 v100, 0x10e0, v0
	;; [unrolled: 1-line block ×3, first 2 shown]
	v_writelane_b32 v212, s27, 17
	v_cmp_gt_u32_e64 s27, 0xd0, v3
	v_add_nc_u32_e32 v102, 0x2960, v0
	v_add_nc_u32_e32 v103, 0x2970, v0
	;; [unrolled: 1-line block ×6, first 2 shown]
	v_mad_i32_i24 v0, 0xfffffe10, v22, v1
	v_writelane_b32 v212, s27, 18
	v_cmp_gt_u32_e64 s27, 0xc0, v3
	v_add_nc_u32_e32 v108, 0x18e0, v1
	v_add_nc_u32_e32 v109, 0x18f0, v1
	;; [unrolled: 1-line block ×8, first 2 shown]
	v_mul_u64_e32 v[0:1], s[12:13], v[6:7]
	v_dual_lshlrev_b32 v6, 4, v24 :: v_dual_lshlrev_b32 v151, 4, v9
	v_writelane_b32 v212, s27, 19
	v_cmp_gt_u32_e64 s27, 0xb0, v3
	v_add_nc_u32_e32 v74, 0x2120, v10
	s_delay_alu instid0(VALU_DEP_4)
	v_dual_add_nc_u32 v132, v5, v6 :: v_dual_lshlrev_b32 v150, 4, v8
	v_add_nc_u32_e32 v133, 0x6000, v6
	v_add_nc_u64_e32 v[6:7], s[16:17], v[26:27]
	v_add_nc_u32_e32 v75, 0x2130, v10
	v_add_nc_u32_e32 v76, 0x2180, v10
	;; [unrolled: 1-line block ×9, first 2 shown]
	v_or_b32_e32 v116, 0x100, v5
	v_mad_i32_i24 v10, 0xfffffe10, v22, v5
	v_or_b32_e32 v117, 0x110, v5
	v_or_b32_e32 v118, 0x120, v5
	;; [unrolled: 1-line block ×15, first 2 shown]
	v_mov_b32_e32 v5, v2
	v_writelane_b32 v212, s27, 20
	v_cmp_gt_u32_e64 s27, 0xa0, v3
	v_mul_u64_e32 v[32:33], s[42:43], v[6:7]
	v_mul_u64_e32 v[36:37], s[12:13], v[24:25]
	;; [unrolled: 1-line block ×3, first 2 shown]
	v_cmp_gt_i32_e64 s10, s52, v28
	v_writelane_b32 v212, s27, 21
	v_cmp_gt_u32_e64 s27, 0x90, v3
	s_or_b32 s8, s8, s6
	s_or_b32 s9, s9, s6
	v_cmp_le_u32_e64 s6, v22, v24
	s_and_b32 s16, s7, s0
	v_writelane_b32 v212, s27, 22
	v_cmp_gt_u32_e64 s27, 0x80, v3
	v_dual_add_nc_u32 v202, v133, v48 :: v_dual_bitop2_b32 v8, v4, v22 bitop3:0x54
	v_dual_lshlrev_b32 v38, 4, v22 :: v_dual_bitop2_b32 v170, -16, v3 bitop3:0x40
	s_delay_alu instid0(VALU_DEP_3)
	v_writelane_b32 v212, s27, 23
	v_cmp_gt_u32_e64 s27, 0x70, v3
	v_cmp_le_u32_e64 s7, v22, v4
	v_add_nc_u32_e32 v61, 0x4000, v14
	v_add_nc_u32_e32 v84, 0x60, v11
	;; [unrolled: 1-line block ×3, first 2 shown]
	v_writelane_b32 v212, s27, 24
	v_cmp_gt_u32_e64 s27, 0x60, v3
	v_add_nc_u32_e32 v87, 0x10a0, v11
	v_add_nc_u32_e32 v88, 0x10b0, v11
	;; [unrolled: 1-line block ×4, first 2 shown]
	v_writelane_b32 v212, s27, 25
	v_cmp_gt_u32_e64 s27, 0x50, v3
	v_add_nc_u32_e32 v91, 0x2160, v11
	v_add_nc_u32_e32 v92, 0x2150, v11
	;; [unrolled: 1-line block ×20, first 2 shown]
	v_lshl_add_u32 v149, v24, 9, v10
	s_and_b32 s17, s10, s0
	s_or_b32 s96, s8, s6
	v_add_nc_u32_e32 v152, 0x400, v53
	v_add_nc_u32_e32 v153, 0x600, v53
	;; [unrolled: 1-line block ×23, first 2 shown]
	v_or_b32_e32 v176, v72, v73
	v_add_nc_u32_e32 v177, 0x2500, v53
	v_add_nc_u32_e32 v178, 0x2700, v53
	;; [unrolled: 1-line block ×22, first 2 shown]
	v_lshl_add_u32 v199, v26, 4, 0x6000
	v_lshl_add_u32 v200, v3, 4, 0x4000
	v_add_nc_u32_e32 v201, 0x4000, v48
	s_or_b32 s97, s9, s7
	s_lshl_b64 s[56:57], s[14:15], 4
	v_add_nc_u32_e32 v203, 0x3c00, v48
	v_subrev_nc_u32_e32 v25, 31, v22
	v_cmp_gt_u32_e64 s8, 2, v3
	v_cmp_gt_u32_e64 s9, 12, v3
	;; [unrolled: 1-line block ×8, first 2 shown]
	v_writelane_b32 v212, s27, 26
	v_cmp_eq_u32_e64 s27, 0, v13
	v_cmp_gt_u32_e64 s28, 32, v13
	v_cmp_gt_u32_e64 s29, 32, v8
	v_cmp_eq_u32_e64 s30, 0, v26
	v_cmp_gt_u32_e64 s31, 32, v26
	s_add_co_i32 s95, s95, 1
	s_lshl_b64 s[46:47], s[46:47], 4
	s_lshl_b64 s[40:41], s[40:41], 4
                                        ; implicit-def: $vgpr6_vgpr7
                                        ; implicit-def: $vgpr10_vgpr11
	s_branch .LBB176_3
.LBB176_2:                              ;   in Loop: Header=BB176_3 Depth=1
	s_wait_xcnt 0x0
	s_or_b32 exec_lo, exec_lo, s48
	s_add_co_i32 s34, s34, 0x10000
	global_wb scope:SCOPE_DEV
	s_wait_storecnt 0x0
	global_inv scope:SCOPE_DEV
	s_cmp_lt_u32 s34, s33
	s_cbranch_scc0 .LBB176_542
.LBB176_3:                              ; =>This Loop Header: Depth=1
                                        ;     Child Loop BB176_453 Depth 2
                                        ;       Child Loop BB176_455 Depth 3
                                        ;     Child Loop BB176_486 Depth 2
	v_mov_b32_e32 v3, s34
	s_and_not1_b32 vcc_lo, exec_lo, s61
	s_clause 0x1
	global_load_b64 v[4:5], v3, s[44:45] scale_offset
	global_load_b64 v[42:43], v3, s[38:39] scale_offset
	global_load_b128 v[14:17], v2, s[36:37]
	s_wait_loadcnt 0x2
	v_add_nc_u64_e32 v[4:5], s[46:47], v[4:5]
	s_delay_alu instid0(VALU_DEP_1)
	v_lshl_add_u64 v[40:41], v[0:1], 4, v[4:5]
	s_cbranch_vccnz .LBB176_9
; %bb.4:                                ;   in Loop: Header=BB176_3 Depth=1
	v_mov_b64_e32 v[12:13], 0
	v_mov_b64_e32 v[6:7], 0
	;; [unrolled: 1-line block ×3, first 2 shown]
	v_lshl_add_u64 v[18:19], v[28:29], 4, v[40:41]
	s_wait_loadcnt 0x0
	s_barrier_signal -1
	s_barrier_wait -1
	s_wait_xcnt 0x0
	s_and_saveexec_b32 s48, s17
	s_cbranch_execz .LBB176_6
; %bb.5:                                ;   in Loop: Header=BB176_3 Depth=1
	flat_load_b128 v[6:9], v[18:19]
.LBB176_6:                              ;   in Loop: Header=BB176_3 Depth=1
	s_wait_xcnt 0x0
	s_or_b32 exec_lo, exec_lo, s48
	v_mov_b64_e32 v[10:11], 0
	s_wait_loadcnt_dscnt 0x0
	s_barrier_signal -1
	s_barrier_wait -1
	s_and_saveexec_b32 s48, s16
	s_cbranch_execz .LBB176_8
; %bb.7:                                ;   in Loop: Header=BB176_3 Depth=1
	flat_load_b128 v[10:13], v[18:19] offset:256
.LBB176_8:                              ;   in Loop: Header=BB176_3 Depth=1
	s_wait_xcnt 0x0
	s_or_b32 exec_lo, exec_lo, s48
.LBB176_9:                              ;   in Loop: Header=BB176_3 Depth=1
	v_add_nc_u64_e32 v[4:5], s[56:57], v[4:5]
	v_mov_b32_e32 v39, v2
	s_and_not1_b32 vcc_lo, exec_lo, s60
	s_mov_b32 s48, -1
	s_delay_alu instid0(VALU_DEP_1)
	v_add_nc_u64_e32 v[18:19], v[4:5], v[38:39]
	s_cbranch_vccnz .LBB176_16
; %bb.10:                               ;   in Loop: Header=BB176_3 Depth=1
	s_wait_xcnt 0x0
	s_and_saveexec_b32 s48, s6
	s_delay_alu instid0(SALU_CYCLE_1)
	s_xor_b32 s48, exec_lo, s48
	s_cbranch_execnz .LBB176_500
; %bb.11:                               ;   in Loop: Header=BB176_3 Depth=1
	s_and_not1_saveexec_b32 s48, s48
	s_cbranch_execnz .LBB176_503
.LBB176_12:                             ;   in Loop: Header=BB176_3 Depth=1
	s_or_b32 exec_lo, exec_lo, s48
	s_and_saveexec_b32 s48, s7
	s_delay_alu instid0(SALU_CYCLE_1)
	s_xor_b32 s48, exec_lo, s48
	s_cbranch_execnz .LBB176_504
.LBB176_13:                             ;   in Loop: Header=BB176_3 Depth=1
	s_and_not1_saveexec_b32 s48, s48
	s_cbranch_execz .LBB176_15
.LBB176_14:                             ;   in Loop: Header=BB176_3 Depth=1
	v_lshl_add_u64 v[4:5], v[34:35], 4, v[18:19]
	flat_load_b128 v[204:207], v[4:5]
	s_wait_loadcnt_dscnt 0x0
	v_xor_b32_e32 v205, 0x80000000, v205
	v_xor_b32_e32 v207, 0x80000000, v207
	ds_store_b128 v151, v[204:207]
.LBB176_15:                             ;   in Loop: Header=BB176_3 Depth=1
	s_or_b32 exec_lo, exec_lo, s48
	s_mov_b32 s48, 0
.LBB176_16:                             ;   in Loop: Header=BB176_3 Depth=1
	s_delay_alu instid0(SALU_CYCLE_1)
	s_and_b32 vcc_lo, exec_lo, s48
	s_cbranch_vccz .LBB176_23
; %bb.17:                               ;   in Loop: Header=BB176_3 Depth=1
	s_wait_xcnt 0x0
	s_and_saveexec_b32 s48, s96
	s_delay_alu instid0(SALU_CYCLE_1)
	s_xor_b32 s48, exec_lo, s48
	s_cbranch_execnz .LBB176_507
; %bb.18:                               ;   in Loop: Header=BB176_3 Depth=1
	s_and_not1_saveexec_b32 s48, s48
	s_cbranch_execnz .LBB176_510
.LBB176_19:                             ;   in Loop: Header=BB176_3 Depth=1
	s_or_b32 exec_lo, exec_lo, s48
	s_and_saveexec_b32 s48, s97
	s_delay_alu instid0(SALU_CYCLE_1)
	s_xor_b32 s48, exec_lo, s48
	s_cbranch_execnz .LBB176_511
.LBB176_20:                             ;   in Loop: Header=BB176_3 Depth=1
	s_and_not1_saveexec_b32 s48, s48
	s_cbranch_execz .LBB176_22
.LBB176_21:                             ;   in Loop: Header=BB176_3 Depth=1
	v_lshl_add_u64 v[4:5], v[34:35], 4, v[18:19]
	flat_load_b128 v[18:21], v[4:5]
	s_wait_loadcnt_dscnt 0x0
	v_xor_b32_e32 v19, 0x80000000, v19
	v_xor_b32_e32 v21, 0x80000000, v21
	ds_store_b128 v151, v[18:21]
.LBB176_22:                             ;   in Loop: Header=BB176_3 Depth=1
	s_or_b32 exec_lo, exec_lo, s48
.LBB176_23:                             ;   in Loop: Header=BB176_3 Depth=1
	s_delay_alu instid0(SALU_CYCLE_1)
	s_and_not1_b32 vcc_lo, exec_lo, s62
	s_wait_loadcnt_dscnt 0x0
	s_barrier_signal -1
	s_barrier_wait -1
	s_cbranch_vccnz .LBB176_447
; %bb.24:                               ;   in Loop: Header=BB176_3 Depth=1
	s_wait_xcnt 0x0
	s_and_saveexec_b32 s98, s27
	s_cbranch_execz .LBB176_26
; %bb.25:                               ;   in Loop: Header=BB176_3 Depth=1
	s_mov_b32 s48, s35
	s_mov_b32 s50, s35
	;; [unrolled: 1-line block ×3, first 2 shown]
	v_mov_b64_e32 v[18:19], s[48:49]
	v_mov_b64_e32 v[20:21], s[50:51]
	ds_store_b128 v2, v[18:21]
	ds_store_b128 v2, v[18:21] offset:528
	ds_load_b128 v[18:21], v2 offset:16
	s_wait_dscnt 0x0
	ds_store_b128 v2, v[18:21] offset:512
.LBB176_26:                             ;   in Loop: Header=BB176_3 Depth=1
	s_or_b32 exec_lo, exec_lo, s98
	v_mov_b64_e32 v[20:21], 0
	v_mov_b64_e32 v[18:19], 0
	s_wait_dscnt 0x0
	s_barrier_signal -1
	s_barrier_wait -1
	s_and_saveexec_b32 s48, s1
	s_cbranch_execz .LBB176_30
; %bb.27:                               ;   in Loop: Header=BB176_3 Depth=1
	ds_load_b128 v[18:21], v47
	ds_load_b128 v[204:207], v46 offset:32
	s_wait_dscnt 0x0
	v_mul_f64_e32 v[4:5], v[20:21], v[206:207]
	v_mul_f64_e32 v[44:45], v[18:19], v[206:207]
	s_delay_alu instid0(VALU_DEP_2) | instskip(NEXT) | instid1(VALU_DEP_2)
	v_fma_f64 v[4:5], v[18:19], v[204:205], -v[4:5]
	v_fmac_f64_e32 v[44:45], v[20:21], v[204:205]
	s_delay_alu instid0(VALU_DEP_2) | instskip(NEXT) | instid1(VALU_DEP_2)
	v_add_f64_e32 v[18:19], 0, v[4:5]
	v_add_f64_e32 v[20:21], 0, v[44:45]
	s_and_saveexec_b32 s50, s8
	s_cbranch_execz .LBB176_29
; %bb.28:                               ;   in Loop: Header=BB176_3 Depth=1
	ds_load_b128 v[204:207], v2 offset:16
	ds_load_b128 v[208:211], v48 offset:544
	s_wait_dscnt 0x0
	v_mul_f64_e32 v[4:5], v[206:207], v[210:211]
	v_mul_f64_e32 v[44:45], v[204:205], v[210:211]
	s_delay_alu instid0(VALU_DEP_2) | instskip(NEXT) | instid1(VALU_DEP_2)
	v_fma_f64 v[4:5], v[204:205], v[208:209], -v[4:5]
	v_fmac_f64_e32 v[44:45], v[206:207], v[208:209]
	s_delay_alu instid0(VALU_DEP_2) | instskip(NEXT) | instid1(VALU_DEP_2)
	v_add_f64_e32 v[18:19], v[18:19], v[4:5]
	v_add_f64_e32 v[20:21], v[20:21], v[44:45]
.LBB176_29:                             ;   in Loop: Header=BB176_3 Depth=1
	s_or_b32 exec_lo, exec_lo, s50
	s_delay_alu instid0(VALU_DEP_2) | instskip(NEXT) | instid1(VALU_DEP_2)
	v_xor_b32_e32 v19, 0x80000000, v19
	v_xor_b32_e32 v21, 0x80000000, v21
.LBB176_30:                             ;   in Loop: Header=BB176_3 Depth=1
	s_or_b32 exec_lo, exec_lo, s48
	s_and_saveexec_b32 s48, s63
; %bb.31:                               ;   in Loop: Header=BB176_3 Depth=1
	ds_store_b128 v23, v[18:21]
; %bb.32:                               ;   in Loop: Header=BB176_3 Depth=1
	s_or_b32 exec_lo, exec_lo, s48
	s_wait_dscnt 0x0
	s_barrier_signal -1
	s_barrier_wait -1
	s_and_saveexec_b32 s48, s64
	s_cbranch_execz .LBB176_34
; %bb.33:                               ;   in Loop: Header=BB176_3 Depth=1
	ds_load_b128 v[204:207], v23
	ds_load_b128 v[208:211], v2 offset:1072
	s_wait_dscnt 0x0
	v_mul_f64_e32 v[4:5], v[206:207], v[210:211]
	v_mul_f64_e32 v[44:45], v[204:205], v[210:211]
	s_delay_alu instid0(VALU_DEP_2) | instskip(NEXT) | instid1(VALU_DEP_2)
	v_fma_f64 v[4:5], v[204:205], v[208:209], -v[4:5]
	v_fmac_f64_e32 v[44:45], v[206:207], v[208:209]
	s_delay_alu instid0(VALU_DEP_2) | instskip(NEXT) | instid1(VALU_DEP_2)
	v_add_f64_e32 v[18:19], v[18:19], v[4:5]
	v_add_f64_e32 v[20:21], v[20:21], v[44:45]
.LBB176_34:                             ;   in Loop: Header=BB176_3 Depth=1
	s_or_b32 exec_lo, exec_lo, s48
	s_barrier_signal -1
	s_barrier_wait -1
	s_and_saveexec_b32 s48, s64
; %bb.35:                               ;   in Loop: Header=BB176_3 Depth=1
	ds_store_b128 v23, v[18:21]
; %bb.36:                               ;   in Loop: Header=BB176_3 Depth=1
	s_or_b32 exec_lo, exec_lo, s48
	s_wait_dscnt 0x0
	s_barrier_signal -1
	s_barrier_wait -1
	s_barrier_signal -1
	s_barrier_wait -1
	s_and_saveexec_b32 s48, s1
; %bb.37:                               ;   in Loop: Header=BB176_3 Depth=1
	v_xor_b32_e32 v19, 0x80000000, v19
	v_xor_b32_e32 v21, 0x80000000, v21
	ds_store_b128 v46, v[18:21] offset:32
; %bb.38:                               ;   in Loop: Header=BB176_3 Depth=1
	s_or_b32 exec_lo, exec_lo, s48
	s_wait_dscnt 0x0
	s_barrier_signal -1
	s_barrier_wait -1
	s_barrier_signal -1
	s_barrier_wait -1
	s_and_saveexec_b32 s48, s65
	s_cbranch_execz .LBB176_40
; %bb.39:                               ;   in Loop: Header=BB176_3 Depth=1
	ds_load_b128 v[18:21], v50
	s_wait_dscnt 0x0
	ds_store_b128 v152, v[18:21]
	ds_load_b128 v[18:21], v51
	s_wait_dscnt 0x0
	ds_store_b128 v153, v[18:21]
.LBB176_40:                             ;   in Loop: Header=BB176_3 Depth=1
	s_or_b32 exec_lo, exec_lo, s48
	s_wait_dscnt 0x0
	s_barrier_signal -1
	s_barrier_wait -1
	s_and_saveexec_b32 s98, s27
	s_cbranch_execz .LBB176_42
; %bb.41:                               ;   in Loop: Header=BB176_3 Depth=1
	s_mov_b32 s48, s35
	s_mov_b32 s50, s35
	;; [unrolled: 1-line block ×3, first 2 shown]
	v_mov_b64_e32 v[18:19], s[48:49]
	v_mov_b64_e32 v[20:21], s[50:51]
	ds_store_b128 v2, v[18:21] offset:1056
	ds_store_b128 v2, v[18:21] offset:1584
	ds_load_b128 v[18:21], v2 offset:1072
	s_wait_dscnt 0x0
	ds_store_b128 v2, v[18:21] offset:1568
.LBB176_42:                             ;   in Loop: Header=BB176_3 Depth=1
	s_or_b32 exec_lo, exec_lo, s98
	v_mov_b64_e32 v[20:21], 0
	v_mov_b64_e32 v[18:19], 0
	s_wait_dscnt 0x0
	s_barrier_signal -1
	s_barrier_wait -1
	s_and_saveexec_b32 s48, s3
	s_cbranch_execz .LBB176_48
; %bb.43:                               ;   in Loop: Header=BB176_3 Depth=1
	ds_load_b128 v[18:21], v49
	ds_load_b128 v[204:207], v55 offset:64
	s_wait_dscnt 0x0
	v_mul_f64_e32 v[4:5], v[20:21], v[206:207]
	v_mul_f64_e32 v[44:45], v[18:19], v[206:207]
	s_delay_alu instid0(VALU_DEP_2) | instskip(NEXT) | instid1(VALU_DEP_2)
	v_fma_f64 v[4:5], v[18:19], v[204:205], -v[4:5]
	v_fmac_f64_e32 v[44:45], v[20:21], v[204:205]
	s_delay_alu instid0(VALU_DEP_2) | instskip(NEXT) | instid1(VALU_DEP_2)
	v_add_f64_e32 v[18:19], 0, v[4:5]
	v_add_f64_e32 v[20:21], 0, v[44:45]
	s_and_saveexec_b32 s50, s9
	s_cbranch_execnz .LBB176_518
; %bb.44:                               ;   in Loop: Header=BB176_3 Depth=1
	s_or_b32 exec_lo, exec_lo, s50
	s_and_saveexec_b32 s50, s10
	s_cbranch_execnz .LBB176_519
.LBB176_45:                             ;   in Loop: Header=BB176_3 Depth=1
	s_or_b32 exec_lo, exec_lo, s50
	s_and_saveexec_b32 s50, s1
	s_cbranch_execz .LBB176_47
.LBB176_46:                             ;   in Loop: Header=BB176_3 Depth=1
	ds_load_b128 v[204:207], v2 offset:48
	ds_load_b128 v[208:211], v53 offset:1600
	s_wait_dscnt 0x0
	v_mul_f64_e32 v[4:5], v[206:207], v[210:211]
	v_mul_f64_e32 v[44:45], v[204:205], v[210:211]
	s_delay_alu instid0(VALU_DEP_2) | instskip(NEXT) | instid1(VALU_DEP_2)
	v_fma_f64 v[4:5], v[204:205], v[208:209], -v[4:5]
	v_fmac_f64_e32 v[44:45], v[206:207], v[208:209]
	s_delay_alu instid0(VALU_DEP_2) | instskip(NEXT) | instid1(VALU_DEP_2)
	v_add_f64_e32 v[18:19], v[18:19], v[4:5]
	v_add_f64_e32 v[20:21], v[20:21], v[44:45]
.LBB176_47:                             ;   in Loop: Header=BB176_3 Depth=1
	s_or_b32 exec_lo, exec_lo, s50
	s_delay_alu instid0(VALU_DEP_2) | instskip(NEXT) | instid1(VALU_DEP_2)
	v_xor_b32_e32 v19, 0x80000000, v19
	v_xor_b32_e32 v21, 0x80000000, v21
.LBB176_48:                             ;   in Loop: Header=BB176_3 Depth=1
	s_or_b32 exec_lo, exec_lo, s48
	s_and_saveexec_b32 s48, s66
; %bb.49:                               ;   in Loop: Header=BB176_3 Depth=1
	ds_store_b128 v54, v[18:21]
; %bb.50:                               ;   in Loop: Header=BB176_3 Depth=1
	s_or_b32 exec_lo, exec_lo, s48
	s_wait_dscnt 0x0
	s_barrier_signal -1
	s_barrier_wait -1
	s_and_saveexec_b32 s48, s67
	s_cbranch_execz .LBB176_52
; %bb.51:                               ;   in Loop: Header=BB176_3 Depth=1
	ds_load_b128 v[204:207], v54
	ds_load_b128 v[208:211], v52 offset:2112
	s_wait_dscnt 0x0
	v_mul_f64_e32 v[4:5], v[206:207], v[210:211]
	v_mul_f64_e32 v[44:45], v[204:205], v[210:211]
	s_delay_alu instid0(VALU_DEP_2) | instskip(NEXT) | instid1(VALU_DEP_2)
	v_fma_f64 v[4:5], v[204:205], v[208:209], -v[4:5]
	v_fmac_f64_e32 v[44:45], v[206:207], v[208:209]
	s_delay_alu instid0(VALU_DEP_2) | instskip(NEXT) | instid1(VALU_DEP_2)
	v_add_f64_e32 v[18:19], v[18:19], v[4:5]
	v_add_f64_e32 v[20:21], v[20:21], v[44:45]
.LBB176_52:                             ;   in Loop: Header=BB176_3 Depth=1
	s_or_b32 exec_lo, exec_lo, s48
	s_barrier_signal -1
	s_barrier_wait -1
	s_and_saveexec_b32 s48, s68
; %bb.53:                               ;   in Loop: Header=BB176_3 Depth=1
	ds_store_b128 v54, v[18:21]
; %bb.54:                               ;   in Loop: Header=BB176_3 Depth=1
	s_or_b32 exec_lo, exec_lo, s48
	s_wait_dscnt 0x0
	s_barrier_signal -1
	s_barrier_wait -1
	s_and_saveexec_b32 s48, s69
	s_cbranch_execz .LBB176_56
; %bb.55:                               ;   in Loop: Header=BB176_3 Depth=1
	ds_load_b128 v[204:207], v54
	ds_load_b128 v[208:211], v52 offset:2624
	s_wait_dscnt 0x0
	v_mul_f64_e32 v[4:5], v[206:207], v[210:211]
	v_mul_f64_e32 v[44:45], v[204:205], v[210:211]
	s_delay_alu instid0(VALU_DEP_2) | instskip(NEXT) | instid1(VALU_DEP_2)
	v_fma_f64 v[4:5], v[204:205], v[208:209], -v[4:5]
	v_fmac_f64_e32 v[44:45], v[206:207], v[208:209]
	s_delay_alu instid0(VALU_DEP_2) | instskip(NEXT) | instid1(VALU_DEP_2)
	v_add_f64_e32 v[18:19], v[18:19], v[4:5]
	v_add_f64_e32 v[20:21], v[20:21], v[44:45]
.LBB176_56:                             ;   in Loop: Header=BB176_3 Depth=1
	s_or_b32 exec_lo, exec_lo, s48
	s_barrier_signal -1
	s_barrier_wait -1
	;; [unrolled: 26-line block ×3, first 2 shown]
	s_and_saveexec_b32 s48, s71
; %bb.61:                               ;   in Loop: Header=BB176_3 Depth=1
	ds_store_b128 v54, v[18:21]
; %bb.62:                               ;   in Loop: Header=BB176_3 Depth=1
	s_or_b32 exec_lo, exec_lo, s48
	s_wait_dscnt 0x0
	s_barrier_signal -1
	s_barrier_wait -1
	s_barrier_signal -1
	s_barrier_wait -1
	s_and_saveexec_b32 s48, s3
; %bb.63:                               ;   in Loop: Header=BB176_3 Depth=1
	v_xor_b32_e32 v21, 0x80000000, v21
	v_xor_b32_e32 v19, 0x80000000, v19
	ds_store_b128 v55, v[18:21] offset:64
; %bb.64:                               ;   in Loop: Header=BB176_3 Depth=1
	s_or_b32 exec_lo, exec_lo, s48
	s_wait_dscnt 0x0
	s_barrier_signal -1
	s_barrier_wait -1
	s_barrier_signal -1
	s_barrier_wait -1
	s_and_saveexec_b32 s48, s72
	s_cbranch_execz .LBB176_66
; %bb.65:                               ;   in Loop: Header=BB176_3 Depth=1
	ds_load_b128 v[18:21], v58
	s_wait_dscnt 0x0
	ds_store_b128 v154, v[18:21]
	ds_load_b128 v[18:21], v85
	s_wait_dscnt 0x0
	ds_store_b128 v157, v[18:21]
	;; [unrolled: 3-line block ×4, first 2 shown]
.LBB176_66:                             ;   in Loop: Header=BB176_3 Depth=1
	s_or_b32 exec_lo, exec_lo, s48
	s_wait_dscnt 0x0
	s_barrier_signal -1
	s_barrier_wait -1
	s_and_saveexec_b32 s98, s27
	s_cbranch_execz .LBB176_68
; %bb.67:                               ;   in Loop: Header=BB176_3 Depth=1
	s_mov_b32 s48, s35
	s_mov_b32 s50, s35
	;; [unrolled: 1-line block ×3, first 2 shown]
	v_mov_b64_e32 v[18:19], s[48:49]
	v_mov_b64_e32 v[20:21], s[50:51]
	ds_store_b128 v2, v[18:21] offset:2112
	ds_store_b128 v2, v[18:21] offset:2640
	ds_load_b128 v[18:21], v2 offset:2128
	s_wait_dscnt 0x0
	ds_store_b128 v2, v[18:21] offset:2624
.LBB176_68:                             ;   in Loop: Header=BB176_3 Depth=1
	s_or_b32 exec_lo, exec_lo, s98
	v_mov_b64_e32 v[20:21], 0
	v_mov_b64_e32 v[18:19], 0
	s_wait_dscnt 0x0
	s_barrier_signal -1
	s_barrier_wait -1
	s_and_saveexec_b32 s48, s1
	s_cbranch_execz .LBB176_72
; %bb.69:                               ;   in Loop: Header=BB176_3 Depth=1
	ds_load_b128 v[18:21], v47 offset:2112
	ds_load_b128 v[204:207], v46 offset:2144
	s_wait_dscnt 0x0
	v_mul_f64_e32 v[4:5], v[20:21], v[206:207]
	v_mul_f64_e32 v[44:45], v[18:19], v[206:207]
	s_delay_alu instid0(VALU_DEP_2) | instskip(NEXT) | instid1(VALU_DEP_2)
	v_fma_f64 v[4:5], v[18:19], v[204:205], -v[4:5]
	v_fmac_f64_e32 v[44:45], v[20:21], v[204:205]
	s_delay_alu instid0(VALU_DEP_2) | instskip(NEXT) | instid1(VALU_DEP_2)
	v_add_f64_e32 v[18:19], 0, v[4:5]
	v_add_f64_e32 v[20:21], 0, v[44:45]
	s_and_saveexec_b32 s50, s8
	s_cbranch_execz .LBB176_71
; %bb.70:                               ;   in Loop: Header=BB176_3 Depth=1
	ds_load_b128 v[204:207], v2 offset:2128
	ds_load_b128 v[208:211], v86 offset:2656
	s_wait_dscnt 0x0
	v_mul_f64_e32 v[4:5], v[206:207], v[210:211]
	v_mul_f64_e32 v[44:45], v[204:205], v[210:211]
	s_delay_alu instid0(VALU_DEP_2) | instskip(NEXT) | instid1(VALU_DEP_2)
	v_fma_f64 v[4:5], v[204:205], v[208:209], -v[4:5]
	v_fmac_f64_e32 v[44:45], v[206:207], v[208:209]
	s_delay_alu instid0(VALU_DEP_2) | instskip(NEXT) | instid1(VALU_DEP_2)
	v_add_f64_e32 v[18:19], v[18:19], v[4:5]
	v_add_f64_e32 v[20:21], v[20:21], v[44:45]
.LBB176_71:                             ;   in Loop: Header=BB176_3 Depth=1
	s_or_b32 exec_lo, exec_lo, s50
	s_delay_alu instid0(VALU_DEP_2) | instskip(NEXT) | instid1(VALU_DEP_2)
	v_xor_b32_e32 v19, 0x80000000, v19
	v_xor_b32_e32 v21, 0x80000000, v21
.LBB176_72:                             ;   in Loop: Header=BB176_3 Depth=1
	s_or_b32 exec_lo, exec_lo, s48
	s_and_saveexec_b32 s48, s63
; %bb.73:                               ;   in Loop: Header=BB176_3 Depth=1
	ds_store_b128 v23, v[18:21]
; %bb.74:                               ;   in Loop: Header=BB176_3 Depth=1
	s_or_b32 exec_lo, exec_lo, s48
	s_wait_dscnt 0x0
	s_barrier_signal -1
	s_barrier_wait -1
	s_and_saveexec_b32 s48, s64
	s_cbranch_execz .LBB176_76
; %bb.75:                               ;   in Loop: Header=BB176_3 Depth=1
	ds_load_b128 v[204:207], v23
	ds_load_b128 v[208:211], v2 offset:3184
	s_wait_dscnt 0x0
	v_mul_f64_e32 v[4:5], v[206:207], v[210:211]
	v_mul_f64_e32 v[44:45], v[204:205], v[210:211]
	s_delay_alu instid0(VALU_DEP_2) | instskip(NEXT) | instid1(VALU_DEP_2)
	v_fma_f64 v[4:5], v[204:205], v[208:209], -v[4:5]
	v_fmac_f64_e32 v[44:45], v[206:207], v[208:209]
	s_delay_alu instid0(VALU_DEP_2) | instskip(NEXT) | instid1(VALU_DEP_2)
	v_add_f64_e32 v[18:19], v[18:19], v[4:5]
	v_add_f64_e32 v[20:21], v[20:21], v[44:45]
.LBB176_76:                             ;   in Loop: Header=BB176_3 Depth=1
	s_or_b32 exec_lo, exec_lo, s48
	s_barrier_signal -1
	s_barrier_wait -1
	s_and_saveexec_b32 s48, s64
; %bb.77:                               ;   in Loop: Header=BB176_3 Depth=1
	ds_store_b128 v23, v[18:21]
; %bb.78:                               ;   in Loop: Header=BB176_3 Depth=1
	s_or_b32 exec_lo, exec_lo, s48
	s_wait_dscnt 0x0
	s_barrier_signal -1
	s_barrier_wait -1
	s_barrier_signal -1
	s_barrier_wait -1
	s_and_saveexec_b32 s48, s1
; %bb.79:                               ;   in Loop: Header=BB176_3 Depth=1
	v_xor_b32_e32 v19, 0x80000000, v19
	v_xor_b32_e32 v21, 0x80000000, v21
	ds_store_b128 v46, v[18:21] offset:2144
; %bb.80:                               ;   in Loop: Header=BB176_3 Depth=1
	s_or_b32 exec_lo, exec_lo, s48
	s_wait_dscnt 0x0
	s_barrier_signal -1
	s_barrier_wait -1
	s_barrier_signal -1
	s_barrier_wait -1
	s_and_saveexec_b32 s48, s65
	s_cbranch_execz .LBB176_82
; %bb.81:                               ;   in Loop: Header=BB176_3 Depth=1
	ds_load_b128 v[18:21], v95
	s_wait_dscnt 0x0
	ds_store_b128 v158, v[18:21]
	ds_load_b128 v[18:21], v96
	s_wait_dscnt 0x0
	ds_store_b128 v159, v[18:21]
.LBB176_82:                             ;   in Loop: Header=BB176_3 Depth=1
	s_or_b32 exec_lo, exec_lo, s48
	s_wait_dscnt 0x0
	s_barrier_signal -1
	s_barrier_wait -1
	s_and_saveexec_b32 s98, s27
	s_cbranch_execz .LBB176_84
; %bb.83:                               ;   in Loop: Header=BB176_3 Depth=1
	s_mov_b32 s48, s35
	s_mov_b32 s50, s35
	;; [unrolled: 1-line block ×3, first 2 shown]
	v_mov_b64_e32 v[18:19], s[48:49]
	v_mov_b64_e32 v[20:21], s[50:51]
	ds_store_b128 v2, v[18:21] offset:3168
	ds_store_b128 v2, v[18:21] offset:3696
	ds_load_b128 v[18:21], v2 offset:3184
	s_wait_dscnt 0x0
	ds_store_b128 v2, v[18:21] offset:3680
.LBB176_84:                             ;   in Loop: Header=BB176_3 Depth=1
	s_or_b32 exec_lo, exec_lo, s98
	v_mov_b64_e32 v[20:21], 0
	v_mov_b64_e32 v[18:19], 0
	s_wait_dscnt 0x0
	s_barrier_signal -1
	s_barrier_wait -1
	s_and_saveexec_b32 s48, s4
	s_cbranch_execz .LBB176_94
; %bb.85:                               ;   in Loop: Header=BB176_3 Depth=1
	ds_load_b128 v[18:21], v57
	ds_load_b128 v[204:207], v62 offset:128
	s_wait_dscnt 0x0
	v_mul_f64_e32 v[4:5], v[20:21], v[206:207]
	v_mul_f64_e32 v[44:45], v[18:19], v[206:207]
	s_delay_alu instid0(VALU_DEP_2) | instskip(NEXT) | instid1(VALU_DEP_2)
	v_fma_f64 v[4:5], v[18:19], v[204:205], -v[4:5]
	v_fmac_f64_e32 v[44:45], v[20:21], v[204:205]
	s_delay_alu instid0(VALU_DEP_2) | instskip(NEXT) | instid1(VALU_DEP_2)
	v_add_f64_e32 v[18:19], 0, v[4:5]
	v_add_f64_e32 v[20:21], 0, v[44:45]
	s_and_saveexec_b32 s50, s11
	s_cbranch_execnz .LBB176_520
; %bb.86:                               ;   in Loop: Header=BB176_3 Depth=1
	s_or_b32 exec_lo, exec_lo, s50
	s_and_saveexec_b32 s50, s12
	s_cbranch_execnz .LBB176_521
.LBB176_87:                             ;   in Loop: Header=BB176_3 Depth=1
	s_or_b32 exec_lo, exec_lo, s50
	s_and_saveexec_b32 s50, s13
	s_cbranch_execnz .LBB176_522
.LBB176_88:                             ;   in Loop: Header=BB176_3 Depth=1
	s_or_b32 exec_lo, exec_lo, s50
	s_and_saveexec_b32 s50, s14
	s_cbranch_execnz .LBB176_523
.LBB176_89:                             ;   in Loop: Header=BB176_3 Depth=1
	s_or_b32 exec_lo, exec_lo, s50
	s_and_saveexec_b32 s50, s15
	s_cbranch_execnz .LBB176_524
.LBB176_90:                             ;   in Loop: Header=BB176_3 Depth=1
	s_or_b32 exec_lo, exec_lo, s50
	s_and_saveexec_b32 s50, s3
	s_cbranch_execnz .LBB176_525
.LBB176_91:                             ;   in Loop: Header=BB176_3 Depth=1
	s_or_b32 exec_lo, exec_lo, s50
	s_and_saveexec_b32 s50, s10
	s_cbranch_execz .LBB176_93
.LBB176_92:                             ;   in Loop: Header=BB176_3 Depth=1
	ds_load_b128 v[204:207], v2 offset:112
	ds_load_b128 v[208:211], v48 offset:3712
	s_wait_dscnt 0x0
	v_mul_f64_e32 v[4:5], v[206:207], v[210:211]
	v_mul_f64_e32 v[44:45], v[204:205], v[210:211]
	s_delay_alu instid0(VALU_DEP_2) | instskip(NEXT) | instid1(VALU_DEP_2)
	v_fma_f64 v[4:5], v[204:205], v[208:209], -v[4:5]
	v_fmac_f64_e32 v[44:45], v[206:207], v[208:209]
	s_delay_alu instid0(VALU_DEP_2) | instskip(NEXT) | instid1(VALU_DEP_2)
	v_add_f64_e32 v[18:19], v[18:19], v[4:5]
	v_add_f64_e32 v[20:21], v[20:21], v[44:45]
.LBB176_93:                             ;   in Loop: Header=BB176_3 Depth=1
	s_or_b32 exec_lo, exec_lo, s50
	s_delay_alu instid0(VALU_DEP_2) | instskip(NEXT) | instid1(VALU_DEP_2)
	v_xor_b32_e32 v19, 0x80000000, v19
	v_xor_b32_e32 v21, 0x80000000, v21
.LBB176_94:                             ;   in Loop: Header=BB176_3 Depth=1
	s_or_b32 exec_lo, exec_lo, s48
	s_and_saveexec_b32 s48, s73
; %bb.95:                               ;   in Loop: Header=BB176_3 Depth=1
	ds_store_b128 v61, v[18:21]
; %bb.96:                               ;   in Loop: Header=BB176_3 Depth=1
	s_or_b32 exec_lo, exec_lo, s48
	s_wait_dscnt 0x0
	s_barrier_signal -1
	s_barrier_wait -1
	s_and_saveexec_b32 s48, s74
	s_cbranch_execz .LBB176_98
; %bb.97:                               ;   in Loop: Header=BB176_3 Depth=1
	ds_load_b128 v[204:207], v61
	ds_load_b128 v[208:211], v59 offset:4224
	s_wait_dscnt 0x0
	v_mul_f64_e32 v[4:5], v[206:207], v[210:211]
	v_mul_f64_e32 v[44:45], v[204:205], v[210:211]
	s_delay_alu instid0(VALU_DEP_2) | instskip(NEXT) | instid1(VALU_DEP_2)
	v_fma_f64 v[4:5], v[204:205], v[208:209], -v[4:5]
	v_fmac_f64_e32 v[44:45], v[206:207], v[208:209]
	s_delay_alu instid0(VALU_DEP_2) | instskip(NEXT) | instid1(VALU_DEP_2)
	v_add_f64_e32 v[18:19], v[18:19], v[4:5]
	v_add_f64_e32 v[20:21], v[20:21], v[44:45]
.LBB176_98:                             ;   in Loop: Header=BB176_3 Depth=1
	s_or_b32 exec_lo, exec_lo, s48
	s_barrier_signal -1
	s_barrier_wait -1
	s_and_saveexec_b32 s48, s75
; %bb.99:                               ;   in Loop: Header=BB176_3 Depth=1
	ds_store_b128 v61, v[18:21]
; %bb.100:                              ;   in Loop: Header=BB176_3 Depth=1
	s_or_b32 exec_lo, exec_lo, s48
	s_wait_dscnt 0x0
	s_barrier_signal -1
	s_barrier_wait -1
	s_and_saveexec_b32 s48, s76
	s_cbranch_execz .LBB176_102
; %bb.101:                              ;   in Loop: Header=BB176_3 Depth=1
	ds_load_b128 v[204:207], v61
	ds_load_b128 v[208:211], v59 offset:4736
	s_wait_dscnt 0x0
	v_mul_f64_e32 v[4:5], v[206:207], v[210:211]
	v_mul_f64_e32 v[44:45], v[204:205], v[210:211]
	s_delay_alu instid0(VALU_DEP_2) | instskip(NEXT) | instid1(VALU_DEP_2)
	v_fma_f64 v[4:5], v[204:205], v[208:209], -v[4:5]
	v_fmac_f64_e32 v[44:45], v[206:207], v[208:209]
	s_delay_alu instid0(VALU_DEP_2) | instskip(NEXT) | instid1(VALU_DEP_2)
	v_add_f64_e32 v[18:19], v[18:19], v[4:5]
	v_add_f64_e32 v[20:21], v[20:21], v[44:45]
.LBB176_102:                            ;   in Loop: Header=BB176_3 Depth=1
	s_or_b32 exec_lo, exec_lo, s48
	s_barrier_signal -1
	s_barrier_wait -1
	s_and_saveexec_b32 s48, s77
; %bb.103:                              ;   in Loop: Header=BB176_3 Depth=1
	ds_store_b128 v61, v[18:21]
; %bb.104:                              ;   in Loop: Header=BB176_3 Depth=1
	s_or_b32 exec_lo, exec_lo, s48
	s_wait_dscnt 0x0
	s_barrier_signal -1
	s_barrier_wait -1
	s_and_saveexec_b32 s48, s78
	s_cbranch_execz .LBB176_106
; %bb.105:                              ;   in Loop: Header=BB176_3 Depth=1
	ds_load_b128 v[204:207], v61
	ds_load_b128 v[208:211], v59 offset:5248
	s_wait_dscnt 0x0
	v_mul_f64_e32 v[4:5], v[206:207], v[210:211]
	v_mul_f64_e32 v[44:45], v[204:205], v[210:211]
	s_delay_alu instid0(VALU_DEP_2) | instskip(NEXT) | instid1(VALU_DEP_2)
	v_fma_f64 v[4:5], v[204:205], v[208:209], -v[4:5]
	v_fmac_f64_e32 v[44:45], v[206:207], v[208:209]
	s_delay_alu instid0(VALU_DEP_2) | instskip(NEXT) | instid1(VALU_DEP_2)
	v_add_f64_e32 v[18:19], v[18:19], v[4:5]
	v_add_f64_e32 v[20:21], v[20:21], v[44:45]
.LBB176_106:                            ;   in Loop: Header=BB176_3 Depth=1
	s_or_b32 exec_lo, exec_lo, s48
	s_barrier_signal -1
	s_barrier_wait -1
	s_and_saveexec_b32 s48, s79
; %bb.107:                              ;   in Loop: Header=BB176_3 Depth=1
	;; [unrolled: 26-line block ×6, first 2 shown]
	ds_store_b128 v61, v[18:21]
; %bb.124:                              ;   in Loop: Header=BB176_3 Depth=1
	s_or_b32 exec_lo, exec_lo, s48
	s_wait_dscnt 0x0
	s_barrier_signal -1
	s_barrier_wait -1
	s_barrier_signal -1
	s_barrier_wait -1
	s_and_saveexec_b32 s48, s4
; %bb.125:                              ;   in Loop: Header=BB176_3 Depth=1
	v_xor_b32_e32 v19, 0x80000000, v19
	v_xor_b32_e32 v21, 0x80000000, v21
	ds_store_b128 v62, v[18:21] offset:128
; %bb.126:                              ;   in Loop: Header=BB176_3 Depth=1
	s_or_b32 exec_lo, exec_lo, s48
	s_wait_dscnt 0x0
	s_barrier_signal -1
	s_barrier_wait -1
	s_barrier_signal -1
	s_barrier_wait -1
	s_and_saveexec_b32 s48, s87
	s_cbranch_execz .LBB176_128
; %bb.127:                              ;   in Loop: Header=BB176_3 Depth=1
	ds_load_b128 v[18:21], v64
	s_wait_dscnt 0x0
	ds_store_b128 v160, v[18:21]
	ds_load_b128 v[18:21], v65
	s_wait_dscnt 0x0
	ds_store_b128 v161, v[18:21]
	;; [unrolled: 3-line block ×8, first 2 shown]
.LBB176_128:                            ;   in Loop: Header=BB176_3 Depth=1
	s_or_b32 exec_lo, exec_lo, s48
	s_wait_dscnt 0x0
	s_barrier_signal -1
	s_barrier_wait -1
	s_and_saveexec_b32 s98, s27
	s_cbranch_execz .LBB176_130
; %bb.129:                              ;   in Loop: Header=BB176_3 Depth=1
	s_mov_b32 s48, s35
	s_mov_b32 s50, s35
	;; [unrolled: 1-line block ×3, first 2 shown]
	v_mov_b64_e32 v[18:19], s[48:49]
	v_mov_b64_e32 v[20:21], s[50:51]
	ds_store_b128 v2, v[18:21] offset:4224
	ds_store_b128 v2, v[18:21] offset:4752
	ds_load_b128 v[18:21], v2 offset:4240
	s_wait_dscnt 0x0
	ds_store_b128 v2, v[18:21] offset:4736
.LBB176_130:                            ;   in Loop: Header=BB176_3 Depth=1
	s_or_b32 exec_lo, exec_lo, s98
	v_mov_b64_e32 v[20:21], 0
	v_mov_b64_e32 v[18:19], 0
	s_wait_dscnt 0x0
	s_barrier_signal -1
	s_barrier_wait -1
	s_and_saveexec_b32 s48, s1
	s_cbranch_execz .LBB176_134
; %bb.131:                              ;   in Loop: Header=BB176_3 Depth=1
	ds_load_b128 v[18:21], v47 offset:4224
	ds_load_b128 v[204:207], v46 offset:4256
	s_wait_dscnt 0x0
	v_mul_f64_e32 v[4:5], v[20:21], v[206:207]
	v_mul_f64_e32 v[44:45], v[18:19], v[206:207]
	s_delay_alu instid0(VALU_DEP_2) | instskip(NEXT) | instid1(VALU_DEP_2)
	v_fma_f64 v[4:5], v[18:19], v[204:205], -v[4:5]
	v_fmac_f64_e32 v[44:45], v[20:21], v[204:205]
	s_delay_alu instid0(VALU_DEP_2) | instskip(NEXT) | instid1(VALU_DEP_2)
	v_add_f64_e32 v[18:19], 0, v[4:5]
	v_add_f64_e32 v[20:21], 0, v[44:45]
	s_and_saveexec_b32 s50, s8
	s_cbranch_execz .LBB176_133
; %bb.132:                              ;   in Loop: Header=BB176_3 Depth=1
	ds_load_b128 v[204:207], v2 offset:4240
	ds_load_b128 v[208:211], v53 offset:4768
	s_wait_dscnt 0x0
	v_mul_f64_e32 v[4:5], v[206:207], v[210:211]
	v_mul_f64_e32 v[44:45], v[204:205], v[210:211]
	s_delay_alu instid0(VALU_DEP_2) | instskip(NEXT) | instid1(VALU_DEP_2)
	v_fma_f64 v[4:5], v[204:205], v[208:209], -v[4:5]
	v_fmac_f64_e32 v[44:45], v[206:207], v[208:209]
	s_delay_alu instid0(VALU_DEP_2) | instskip(NEXT) | instid1(VALU_DEP_2)
	v_add_f64_e32 v[18:19], v[18:19], v[4:5]
	v_add_f64_e32 v[20:21], v[20:21], v[44:45]
.LBB176_133:                            ;   in Loop: Header=BB176_3 Depth=1
	s_or_b32 exec_lo, exec_lo, s50
	s_delay_alu instid0(VALU_DEP_2) | instskip(NEXT) | instid1(VALU_DEP_2)
	v_xor_b32_e32 v19, 0x80000000, v19
	v_xor_b32_e32 v21, 0x80000000, v21
.LBB176_134:                            ;   in Loop: Header=BB176_3 Depth=1
	s_or_b32 exec_lo, exec_lo, s48
	s_and_saveexec_b32 s48, s63
; %bb.135:                              ;   in Loop: Header=BB176_3 Depth=1
	ds_store_b128 v23, v[18:21]
; %bb.136:                              ;   in Loop: Header=BB176_3 Depth=1
	s_or_b32 exec_lo, exec_lo, s48
	s_wait_dscnt 0x0
	s_barrier_signal -1
	s_barrier_wait -1
	s_and_saveexec_b32 s48, s64
	s_cbranch_execz .LBB176_138
; %bb.137:                              ;   in Loop: Header=BB176_3 Depth=1
	ds_load_b128 v[204:207], v23
	ds_load_b128 v[208:211], v2 offset:5296
	s_wait_dscnt 0x0
	v_mul_f64_e32 v[4:5], v[206:207], v[210:211]
	v_mul_f64_e32 v[44:45], v[204:205], v[210:211]
	s_delay_alu instid0(VALU_DEP_2) | instskip(NEXT) | instid1(VALU_DEP_2)
	v_fma_f64 v[4:5], v[204:205], v[208:209], -v[4:5]
	v_fmac_f64_e32 v[44:45], v[206:207], v[208:209]
	s_delay_alu instid0(VALU_DEP_2) | instskip(NEXT) | instid1(VALU_DEP_2)
	v_add_f64_e32 v[18:19], v[18:19], v[4:5]
	v_add_f64_e32 v[20:21], v[20:21], v[44:45]
.LBB176_138:                            ;   in Loop: Header=BB176_3 Depth=1
	s_or_b32 exec_lo, exec_lo, s48
	s_barrier_signal -1
	s_barrier_wait -1
	s_and_saveexec_b32 s48, s64
; %bb.139:                              ;   in Loop: Header=BB176_3 Depth=1
	ds_store_b128 v23, v[18:21]
; %bb.140:                              ;   in Loop: Header=BB176_3 Depth=1
	s_or_b32 exec_lo, exec_lo, s48
	s_wait_dscnt 0x0
	s_barrier_signal -1
	s_barrier_wait -1
	s_barrier_signal -1
	s_barrier_wait -1
	s_and_saveexec_b32 s48, s1
; %bb.141:                              ;   in Loop: Header=BB176_3 Depth=1
	v_xor_b32_e32 v19, 0x80000000, v19
	v_xor_b32_e32 v21, 0x80000000, v21
	ds_store_b128 v46, v[18:21] offset:4256
; %bb.142:                              ;   in Loop: Header=BB176_3 Depth=1
	s_or_b32 exec_lo, exec_lo, s48
	s_wait_dscnt 0x0
	s_barrier_signal -1
	s_barrier_wait -1
	s_barrier_signal -1
	s_barrier_wait -1
	s_and_saveexec_b32 s48, s65
	s_cbranch_execz .LBB176_144
; %bb.143:                              ;   in Loop: Header=BB176_3 Depth=1
	ds_load_b128 v[18:21], v87
	s_wait_dscnt 0x0
	ds_store_b128 v168, v[18:21]
	ds_load_b128 v[18:21], v88
	s_wait_dscnt 0x0
	ds_store_b128 v169, v[18:21]
.LBB176_144:                            ;   in Loop: Header=BB176_3 Depth=1
	s_or_b32 exec_lo, exec_lo, s48
	s_wait_dscnt 0x0
	s_barrier_signal -1
	s_barrier_wait -1
	s_and_saveexec_b32 s98, s27
	s_cbranch_execz .LBB176_146
; %bb.145:                              ;   in Loop: Header=BB176_3 Depth=1
	s_mov_b32 s48, s35
	s_mov_b32 s50, s35
	s_mov_b32 s51, s35
	v_mov_b64_e32 v[18:19], s[48:49]
	v_mov_b64_e32 v[20:21], s[50:51]
	ds_store_b128 v2, v[18:21] offset:5280
	ds_store_b128 v2, v[18:21] offset:5808
	ds_load_b128 v[18:21], v2 offset:5296
	s_wait_dscnt 0x0
	ds_store_b128 v2, v[18:21] offset:5792
.LBB176_146:                            ;   in Loop: Header=BB176_3 Depth=1
	s_or_b32 exec_lo, exec_lo, s98
	v_mov_b64_e32 v[20:21], 0
	v_mov_b64_e32 v[18:19], 0
	s_wait_dscnt 0x0
	s_barrier_signal -1
	s_barrier_wait -1
	s_and_saveexec_b32 s48, s3
	s_cbranch_execz .LBB176_152
; %bb.147:                              ;   in Loop: Header=BB176_3 Depth=1
	ds_load_b128 v[18:21], v49 offset:4224
	ds_load_b128 v[204:207], v55 offset:4288
	s_wait_dscnt 0x0
	v_mul_f64_e32 v[4:5], v[20:21], v[206:207]
	v_mul_f64_e32 v[44:45], v[18:19], v[206:207]
	s_delay_alu instid0(VALU_DEP_2) | instskip(NEXT) | instid1(VALU_DEP_2)
	v_fma_f64 v[4:5], v[18:19], v[204:205], -v[4:5]
	v_fmac_f64_e32 v[44:45], v[20:21], v[204:205]
	s_delay_alu instid0(VALU_DEP_2) | instskip(NEXT) | instid1(VALU_DEP_2)
	v_add_f64_e32 v[18:19], 0, v[4:5]
	v_add_f64_e32 v[20:21], 0, v[44:45]
	s_and_saveexec_b32 s50, s9
	s_cbranch_execnz .LBB176_526
; %bb.148:                              ;   in Loop: Header=BB176_3 Depth=1
	s_or_b32 exec_lo, exec_lo, s50
	s_and_saveexec_b32 s50, s10
	s_cbranch_execnz .LBB176_527
.LBB176_149:                            ;   in Loop: Header=BB176_3 Depth=1
	s_or_b32 exec_lo, exec_lo, s50
	s_and_saveexec_b32 s50, s1
	s_cbranch_execz .LBB176_151
.LBB176_150:                            ;   in Loop: Header=BB176_3 Depth=1
	ds_load_b128 v[204:207], v2 offset:4272
	ds_load_b128 v[208:211], v86 offset:5824
	s_wait_dscnt 0x0
	v_mul_f64_e32 v[4:5], v[206:207], v[210:211]
	v_mul_f64_e32 v[44:45], v[204:205], v[210:211]
	s_delay_alu instid0(VALU_DEP_2) | instskip(NEXT) | instid1(VALU_DEP_2)
	v_fma_f64 v[4:5], v[204:205], v[208:209], -v[4:5]
	v_fmac_f64_e32 v[44:45], v[206:207], v[208:209]
	s_delay_alu instid0(VALU_DEP_2) | instskip(NEXT) | instid1(VALU_DEP_2)
	v_add_f64_e32 v[18:19], v[18:19], v[4:5]
	v_add_f64_e32 v[20:21], v[20:21], v[44:45]
.LBB176_151:                            ;   in Loop: Header=BB176_3 Depth=1
	s_or_b32 exec_lo, exec_lo, s50
	s_delay_alu instid0(VALU_DEP_2) | instskip(NEXT) | instid1(VALU_DEP_2)
	v_xor_b32_e32 v19, 0x80000000, v19
	v_xor_b32_e32 v21, 0x80000000, v21
.LBB176_152:                            ;   in Loop: Header=BB176_3 Depth=1
	s_or_b32 exec_lo, exec_lo, s48
	s_and_saveexec_b32 s48, s66
; %bb.153:                              ;   in Loop: Header=BB176_3 Depth=1
	ds_store_b128 v54, v[18:21]
; %bb.154:                              ;   in Loop: Header=BB176_3 Depth=1
	s_or_b32 exec_lo, exec_lo, s48
	s_wait_dscnt 0x0
	s_barrier_signal -1
	s_barrier_wait -1
	s_and_saveexec_b32 s48, s67
	s_cbranch_execz .LBB176_156
; %bb.155:                              ;   in Loop: Header=BB176_3 Depth=1
	ds_load_b128 v[204:207], v54
	ds_load_b128 v[208:211], v52 offset:6336
	s_wait_dscnt 0x0
	v_mul_f64_e32 v[4:5], v[206:207], v[210:211]
	v_mul_f64_e32 v[44:45], v[204:205], v[210:211]
	s_delay_alu instid0(VALU_DEP_2) | instskip(NEXT) | instid1(VALU_DEP_2)
	v_fma_f64 v[4:5], v[204:205], v[208:209], -v[4:5]
	v_fmac_f64_e32 v[44:45], v[206:207], v[208:209]
	s_delay_alu instid0(VALU_DEP_2) | instskip(NEXT) | instid1(VALU_DEP_2)
	v_add_f64_e32 v[18:19], v[18:19], v[4:5]
	v_add_f64_e32 v[20:21], v[20:21], v[44:45]
.LBB176_156:                            ;   in Loop: Header=BB176_3 Depth=1
	s_or_b32 exec_lo, exec_lo, s48
	s_barrier_signal -1
	s_barrier_wait -1
	s_and_saveexec_b32 s48, s68
; %bb.157:                              ;   in Loop: Header=BB176_3 Depth=1
	ds_store_b128 v54, v[18:21]
; %bb.158:                              ;   in Loop: Header=BB176_3 Depth=1
	s_or_b32 exec_lo, exec_lo, s48
	s_wait_dscnt 0x0
	s_barrier_signal -1
	s_barrier_wait -1
	s_and_saveexec_b32 s48, s69
	s_cbranch_execz .LBB176_160
; %bb.159:                              ;   in Loop: Header=BB176_3 Depth=1
	ds_load_b128 v[204:207], v54
	ds_load_b128 v[208:211], v52 offset:6848
	s_wait_dscnt 0x0
	v_mul_f64_e32 v[4:5], v[206:207], v[210:211]
	v_mul_f64_e32 v[44:45], v[204:205], v[210:211]
	s_delay_alu instid0(VALU_DEP_2) | instskip(NEXT) | instid1(VALU_DEP_2)
	v_fma_f64 v[4:5], v[204:205], v[208:209], -v[4:5]
	v_fmac_f64_e32 v[44:45], v[206:207], v[208:209]
	s_delay_alu instid0(VALU_DEP_2) | instskip(NEXT) | instid1(VALU_DEP_2)
	v_add_f64_e32 v[18:19], v[18:19], v[4:5]
	v_add_f64_e32 v[20:21], v[20:21], v[44:45]
.LBB176_160:                            ;   in Loop: Header=BB176_3 Depth=1
	s_or_b32 exec_lo, exec_lo, s48
	s_barrier_signal -1
	s_barrier_wait -1
	;; [unrolled: 26-line block ×3, first 2 shown]
	s_and_saveexec_b32 s48, s71
; %bb.165:                              ;   in Loop: Header=BB176_3 Depth=1
	ds_store_b128 v54, v[18:21]
; %bb.166:                              ;   in Loop: Header=BB176_3 Depth=1
	s_or_b32 exec_lo, exec_lo, s48
	s_wait_dscnt 0x0
	s_barrier_signal -1
	s_barrier_wait -1
	s_barrier_signal -1
	s_barrier_wait -1
	s_and_saveexec_b32 s48, s3
; %bb.167:                              ;   in Loop: Header=BB176_3 Depth=1
	v_xor_b32_e32 v21, 0x80000000, v21
	v_xor_b32_e32 v19, 0x80000000, v19
	ds_store_b128 v55, v[18:21] offset:4288
; %bb.168:                              ;   in Loop: Header=BB176_3 Depth=1
	s_or_b32 exec_lo, exec_lo, s48
	s_wait_dscnt 0x0
	s_barrier_signal -1
	s_barrier_wait -1
	s_barrier_signal -1
	s_barrier_wait -1
	s_and_saveexec_b32 s48, s72
	s_cbranch_execz .LBB176_170
; %bb.169:                              ;   in Loop: Header=BB176_3 Depth=1
	ds_load_b128 v[18:21], v98
	s_wait_dscnt 0x0
	ds_store_b128 v171, v[18:21]
	ds_load_b128 v[18:21], v101
	s_wait_dscnt 0x0
	ds_store_b128 v174, v[18:21]
	;; [unrolled: 3-line block ×4, first 2 shown]
.LBB176_170:                            ;   in Loop: Header=BB176_3 Depth=1
	s_or_b32 exec_lo, exec_lo, s48
	s_wait_dscnt 0x0
	s_barrier_signal -1
	s_barrier_wait -1
	s_and_saveexec_b32 s98, s27
	s_cbranch_execz .LBB176_172
; %bb.171:                              ;   in Loop: Header=BB176_3 Depth=1
	s_mov_b32 s48, s35
	s_mov_b32 s50, s35
	;; [unrolled: 1-line block ×3, first 2 shown]
	v_mov_b64_e32 v[18:19], s[48:49]
	v_mov_b64_e32 v[20:21], s[50:51]
	ds_store_b128 v2, v[18:21] offset:6336
	ds_store_b128 v2, v[18:21] offset:6864
	ds_load_b128 v[18:21], v2 offset:6352
	s_wait_dscnt 0x0
	ds_store_b128 v2, v[18:21] offset:6848
.LBB176_172:                            ;   in Loop: Header=BB176_3 Depth=1
	s_or_b32 exec_lo, exec_lo, s98
	v_mov_b64_e32 v[20:21], 0
	v_mov_b64_e32 v[18:19], 0
	s_wait_dscnt 0x0
	s_barrier_signal -1
	s_barrier_wait -1
	s_and_saveexec_b32 s48, s1
	s_cbranch_execz .LBB176_176
; %bb.173:                              ;   in Loop: Header=BB176_3 Depth=1
	ds_load_b128 v[18:21], v47 offset:6336
	ds_load_b128 v[204:207], v46 offset:6368
	s_wait_dscnt 0x0
	v_mul_f64_e32 v[4:5], v[20:21], v[206:207]
	v_mul_f64_e32 v[44:45], v[18:19], v[206:207]
	s_delay_alu instid0(VALU_DEP_2) | instskip(NEXT) | instid1(VALU_DEP_2)
	v_fma_f64 v[4:5], v[18:19], v[204:205], -v[4:5]
	v_fmac_f64_e32 v[44:45], v[20:21], v[204:205]
	s_delay_alu instid0(VALU_DEP_2) | instskip(NEXT) | instid1(VALU_DEP_2)
	v_add_f64_e32 v[18:19], 0, v[4:5]
	v_add_f64_e32 v[20:21], 0, v[44:45]
	s_and_saveexec_b32 s50, s8
	s_cbranch_execz .LBB176_175
; %bb.174:                              ;   in Loop: Header=BB176_3 Depth=1
	ds_load_b128 v[204:207], v2 offset:6352
	ds_load_b128 v[208:211], v97 offset:6880
	s_wait_dscnt 0x0
	v_mul_f64_e32 v[4:5], v[206:207], v[210:211]
	v_mul_f64_e32 v[44:45], v[204:205], v[210:211]
	s_delay_alu instid0(VALU_DEP_2) | instskip(NEXT) | instid1(VALU_DEP_2)
	v_fma_f64 v[4:5], v[204:205], v[208:209], -v[4:5]
	v_fmac_f64_e32 v[44:45], v[206:207], v[208:209]
	s_delay_alu instid0(VALU_DEP_2) | instskip(NEXT) | instid1(VALU_DEP_2)
	v_add_f64_e32 v[18:19], v[18:19], v[4:5]
	v_add_f64_e32 v[20:21], v[20:21], v[44:45]
.LBB176_175:                            ;   in Loop: Header=BB176_3 Depth=1
	s_or_b32 exec_lo, exec_lo, s50
	s_delay_alu instid0(VALU_DEP_2) | instskip(NEXT) | instid1(VALU_DEP_2)
	v_xor_b32_e32 v19, 0x80000000, v19
	v_xor_b32_e32 v21, 0x80000000, v21
.LBB176_176:                            ;   in Loop: Header=BB176_3 Depth=1
	s_or_b32 exec_lo, exec_lo, s48
	s_and_saveexec_b32 s48, s63
; %bb.177:                              ;   in Loop: Header=BB176_3 Depth=1
	ds_store_b128 v23, v[18:21]
; %bb.178:                              ;   in Loop: Header=BB176_3 Depth=1
	s_or_b32 exec_lo, exec_lo, s48
	s_wait_dscnt 0x0
	s_barrier_signal -1
	s_barrier_wait -1
	s_and_saveexec_b32 s48, s64
	s_cbranch_execz .LBB176_180
; %bb.179:                              ;   in Loop: Header=BB176_3 Depth=1
	ds_load_b128 v[204:207], v23
	ds_load_b128 v[208:211], v2 offset:7408
	s_wait_dscnt 0x0
	v_mul_f64_e32 v[4:5], v[206:207], v[210:211]
	v_mul_f64_e32 v[44:45], v[204:205], v[210:211]
	s_delay_alu instid0(VALU_DEP_2) | instskip(NEXT) | instid1(VALU_DEP_2)
	v_fma_f64 v[4:5], v[204:205], v[208:209], -v[4:5]
	v_fmac_f64_e32 v[44:45], v[206:207], v[208:209]
	s_delay_alu instid0(VALU_DEP_2) | instskip(NEXT) | instid1(VALU_DEP_2)
	v_add_f64_e32 v[18:19], v[18:19], v[4:5]
	v_add_f64_e32 v[20:21], v[20:21], v[44:45]
.LBB176_180:                            ;   in Loop: Header=BB176_3 Depth=1
	s_or_b32 exec_lo, exec_lo, s48
	s_barrier_signal -1
	s_barrier_wait -1
	s_and_saveexec_b32 s48, s64
; %bb.181:                              ;   in Loop: Header=BB176_3 Depth=1
	ds_store_b128 v23, v[18:21]
; %bb.182:                              ;   in Loop: Header=BB176_3 Depth=1
	s_or_b32 exec_lo, exec_lo, s48
	s_wait_dscnt 0x0
	s_barrier_signal -1
	s_barrier_wait -1
	s_barrier_signal -1
	s_barrier_wait -1
	s_and_saveexec_b32 s48, s1
; %bb.183:                              ;   in Loop: Header=BB176_3 Depth=1
	v_xor_b32_e32 v19, 0x80000000, v19
	v_xor_b32_e32 v21, 0x80000000, v21
	ds_store_b128 v46, v[18:21] offset:6368
; %bb.184:                              ;   in Loop: Header=BB176_3 Depth=1
	s_or_b32 exec_lo, exec_lo, s48
	s_wait_dscnt 0x0
	s_barrier_signal -1
	s_barrier_wait -1
	s_barrier_signal -1
	s_barrier_wait -1
	s_and_saveexec_b32 s48, s65
	s_cbranch_execz .LBB176_186
; %bb.185:                              ;   in Loop: Header=BB176_3 Depth=1
	ds_load_b128 v[18:21], v108
	s_wait_dscnt 0x0
	ds_store_b128 v112, v[18:21]
	ds_load_b128 v[18:21], v109
	s_wait_dscnt 0x0
	ds_store_b128 v113, v[18:21]
.LBB176_186:                            ;   in Loop: Header=BB176_3 Depth=1
	s_or_b32 exec_lo, exec_lo, s48
	s_wait_dscnt 0x0
	s_barrier_signal -1
	s_barrier_wait -1
	s_and_saveexec_b32 s98, s27
	s_cbranch_execz .LBB176_188
; %bb.187:                              ;   in Loop: Header=BB176_3 Depth=1
	s_mov_b32 s48, s35
	s_mov_b32 s50, s35
	;; [unrolled: 1-line block ×3, first 2 shown]
	v_mov_b64_e32 v[18:19], s[48:49]
	v_mov_b64_e32 v[20:21], s[50:51]
	ds_store_b128 v2, v[18:21] offset:7392
	ds_store_b128 v2, v[18:21] offset:7920
	ds_load_b128 v[18:21], v2 offset:7408
	s_wait_dscnt 0x0
	ds_store_b128 v2, v[18:21] offset:7904
.LBB176_188:                            ;   in Loop: Header=BB176_3 Depth=1
	s_or_b32 exec_lo, exec_lo, s98
	v_mov_b64_e32 v[20:21], 0
	v_mov_b64_e32 v[18:19], 0
	s_wait_dscnt 0x0
	s_barrier_signal -1
	s_barrier_wait -1
	s_and_saveexec_b32 s48, s5
	s_cbranch_execz .LBB176_216
; %bb.189:                              ;   in Loop: Header=BB176_3 Depth=1
	v_add_nc_u32_e32 v3, v72, v170
	ds_load_b128 v[18:21], v3
	ds_load_b128 v[204:207], v176 offset:256
	s_wait_dscnt 0x0
	v_mul_f64_e32 v[4:5], v[20:21], v[206:207]
	v_mul_f64_e32 v[44:45], v[18:19], v[206:207]
	s_delay_alu instid0(VALU_DEP_2) | instskip(NEXT) | instid1(VALU_DEP_2)
	v_fma_f64 v[4:5], v[18:19], v[204:205], -v[4:5]
	v_fmac_f64_e32 v[44:45], v[20:21], v[204:205]
	s_delay_alu instid0(VALU_DEP_2) | instskip(NEXT) | instid1(VALU_DEP_2)
	v_add_f64_e32 v[18:19], 0, v[4:5]
	v_add_f64_e32 v[20:21], 0, v[44:45]
	s_mov_b32 s50, exec_lo
	v_readlane_b32 s51, v212, 16
	s_and_b32 s51, s50, s51
	s_delay_alu instid0(SALU_CYCLE_1)
	s_mov_b32 exec_lo, s51
	s_cbranch_execz .LBB176_191
; %bb.190:                              ;   in Loop: Header=BB176_3 Depth=1
	ds_load_b128 v[204:207], v3 offset:16
	ds_load_b128 v[208:211], v176 offset:768
	s_wait_dscnt 0x0
	v_mul_f64_e32 v[4:5], v[206:207], v[210:211]
	v_mul_f64_e32 v[44:45], v[204:205], v[210:211]
	s_delay_alu instid0(VALU_DEP_2) | instskip(NEXT) | instid1(VALU_DEP_2)
	v_fma_f64 v[4:5], v[204:205], v[208:209], -v[4:5]
	v_fmac_f64_e32 v[44:45], v[206:207], v[208:209]
	s_delay_alu instid0(VALU_DEP_2) | instskip(NEXT) | instid1(VALU_DEP_2)
	v_add_f64_e32 v[18:19], v[18:19], v[4:5]
	v_add_f64_e32 v[20:21], v[20:21], v[44:45]
.LBB176_191:                            ;   in Loop: Header=BB176_3 Depth=1
	s_or_b32 exec_lo, exec_lo, s50
	s_delay_alu instid0(SALU_CYCLE_1) | instskip(SKIP_2) | instid1(SALU_CYCLE_1)
	s_mov_b32 s50, exec_lo
	v_readlane_b32 s51, v212, 17
	s_and_b32 s51, s50, s51
	s_mov_b32 exec_lo, s51
	s_cbranch_execz .LBB176_193
; %bb.192:                              ;   in Loop: Header=BB176_3 Depth=1
	ds_load_b128 v[204:207], v3 offset:32
	ds_load_b128 v[208:211], v176 offset:1280
	s_wait_dscnt 0x0
	v_mul_f64_e32 v[4:5], v[206:207], v[210:211]
	v_mul_f64_e32 v[44:45], v[204:205], v[210:211]
	s_delay_alu instid0(VALU_DEP_2) | instskip(NEXT) | instid1(VALU_DEP_2)
	v_fma_f64 v[4:5], v[204:205], v[208:209], -v[4:5]
	v_fmac_f64_e32 v[44:45], v[206:207], v[208:209]
	s_delay_alu instid0(VALU_DEP_2) | instskip(NEXT) | instid1(VALU_DEP_2)
	v_add_f64_e32 v[18:19], v[18:19], v[4:5]
	v_add_f64_e32 v[20:21], v[20:21], v[44:45]
.LBB176_193:                            ;   in Loop: Header=BB176_3 Depth=1
	s_or_b32 exec_lo, exec_lo, s50
	s_delay_alu instid0(SALU_CYCLE_1) | instskip(SKIP_2) | instid1(SALU_CYCLE_1)
	s_mov_b32 s50, exec_lo
	v_readlane_b32 s51, v212, 18
	s_and_b32 s51, s50, s51
	;; [unrolled: 20-line block ×10, first 2 shown]
	s_mov_b32 exec_lo, s51
	s_cbranch_execnz .LBB176_528
; %bb.210:                              ;   in Loop: Header=BB176_3 Depth=1
	s_or_b32 exec_lo, exec_lo, s50
	s_and_saveexec_b32 s50, s4
	s_cbranch_execnz .LBB176_529
.LBB176_211:                            ;   in Loop: Header=BB176_3 Depth=1
	s_or_b32 exec_lo, exec_lo, s50
	s_and_saveexec_b32 s50, s12
	s_cbranch_execnz .LBB176_530
.LBB176_212:                            ;   in Loop: Header=BB176_3 Depth=1
	s_or_b32 exec_lo, exec_lo, s50
	s_and_saveexec_b32 s50, s14
	s_cbranch_execnz .LBB176_531
.LBB176_213:                            ;   in Loop: Header=BB176_3 Depth=1
	s_or_b32 exec_lo, exec_lo, s50
	s_and_saveexec_b32 s50, s3
	s_cbranch_execz .LBB176_215
.LBB176_214:                            ;   in Loop: Header=BB176_3 Depth=1
	ds_load_b128 v[204:207], v2 offset:240
	ds_load_b128 v[208:211], v48 offset:7936
	s_wait_dscnt 0x0
	v_mul_f64_e32 v[4:5], v[206:207], v[210:211]
	v_mul_f64_e32 v[44:45], v[204:205], v[210:211]
	s_delay_alu instid0(VALU_DEP_2) | instskip(NEXT) | instid1(VALU_DEP_2)
	v_fma_f64 v[4:5], v[204:205], v[208:209], -v[4:5]
	v_fmac_f64_e32 v[44:45], v[206:207], v[208:209]
	s_delay_alu instid0(VALU_DEP_2) | instskip(NEXT) | instid1(VALU_DEP_2)
	v_add_f64_e32 v[18:19], v[18:19], v[4:5]
	v_add_f64_e32 v[20:21], v[20:21], v[44:45]
.LBB176_215:                            ;   in Loop: Header=BB176_3 Depth=1
	s_or_b32 exec_lo, exec_lo, s50
	s_delay_alu instid0(VALU_DEP_2) | instskip(NEXT) | instid1(VALU_DEP_2)
	v_xor_b32_e32 v19, 0x80000000, v19
	v_xor_b32_e32 v21, 0x80000000, v21
.LBB176_216:                            ;   in Loop: Header=BB176_3 Depth=1
	s_or_b32 exec_lo, exec_lo, s48
	s_delay_alu instid0(SALU_CYCLE_1) | instskip(SKIP_2) | instid1(SALU_CYCLE_1)
	s_mov_b32 s48, exec_lo
	v_readlane_b32 s50, v212, 0
	s_and_b32 s50, s48, s50
	s_mov_b32 exec_lo, s50
; %bb.217:                              ;   in Loop: Header=BB176_3 Depth=1
	ds_store_b128 v175, v[18:21]
; %bb.218:                              ;   in Loop: Header=BB176_3 Depth=1
	s_or_b32 exec_lo, exec_lo, s48
	s_wait_dscnt 0x0
	s_barrier_signal -1
	s_barrier_wait -1
	s_mov_b32 s48, exec_lo
	v_readlane_b32 s50, v212, 1
	s_and_b32 s50, s48, s50
	s_delay_alu instid0(SALU_CYCLE_1)
	s_mov_b32 exec_lo, s50
	s_cbranch_execz .LBB176_220
; %bb.219:                              ;   in Loop: Header=BB176_3 Depth=1
	ds_load_b128 v[204:207], v175
	ds_load_b128 v[208:211], v73 offset:8448
	s_wait_dscnt 0x0
	v_mul_f64_e32 v[4:5], v[206:207], v[210:211]
	v_mul_f64_e32 v[44:45], v[204:205], v[210:211]
	s_delay_alu instid0(VALU_DEP_2) | instskip(NEXT) | instid1(VALU_DEP_2)
	v_fma_f64 v[4:5], v[204:205], v[208:209], -v[4:5]
	v_fmac_f64_e32 v[44:45], v[206:207], v[208:209]
	s_delay_alu instid0(VALU_DEP_2) | instskip(NEXT) | instid1(VALU_DEP_2)
	v_add_f64_e32 v[18:19], v[18:19], v[4:5]
	v_add_f64_e32 v[20:21], v[20:21], v[44:45]
.LBB176_220:                            ;   in Loop: Header=BB176_3 Depth=1
	s_or_b32 exec_lo, exec_lo, s48
	s_barrier_signal -1
	s_barrier_wait -1
	s_mov_b32 s48, exec_lo
	v_readlane_b32 s50, v212, 2
	s_and_b32 s50, s48, s50
	s_delay_alu instid0(SALU_CYCLE_1)
	s_mov_b32 exec_lo, s50
; %bb.221:                              ;   in Loop: Header=BB176_3 Depth=1
	ds_store_b128 v175, v[18:21]
; %bb.222:                              ;   in Loop: Header=BB176_3 Depth=1
	s_or_b32 exec_lo, exec_lo, s48
	s_wait_dscnt 0x0
	s_barrier_signal -1
	s_barrier_wait -1
	s_mov_b32 s48, exec_lo
	v_readlane_b32 s50, v212, 3
	s_and_b32 s50, s48, s50
	s_delay_alu instid0(SALU_CYCLE_1)
	s_mov_b32 exec_lo, s50
	s_cbranch_execz .LBB176_224
; %bb.223:                              ;   in Loop: Header=BB176_3 Depth=1
	ds_load_b128 v[204:207], v175
	ds_load_b128 v[208:211], v73 offset:8960
	s_wait_dscnt 0x0
	v_mul_f64_e32 v[4:5], v[206:207], v[210:211]
	v_mul_f64_e32 v[44:45], v[204:205], v[210:211]
	s_delay_alu instid0(VALU_DEP_2) | instskip(NEXT) | instid1(VALU_DEP_2)
	v_fma_f64 v[4:5], v[204:205], v[208:209], -v[4:5]
	v_fmac_f64_e32 v[44:45], v[206:207], v[208:209]
	s_delay_alu instid0(VALU_DEP_2) | instskip(NEXT) | instid1(VALU_DEP_2)
	v_add_f64_e32 v[18:19], v[18:19], v[4:5]
	v_add_f64_e32 v[20:21], v[20:21], v[44:45]
.LBB176_224:                            ;   in Loop: Header=BB176_3 Depth=1
	s_or_b32 exec_lo, exec_lo, s48
	s_barrier_signal -1
	s_barrier_wait -1
	s_mov_b32 s48, exec_lo
	v_readlane_b32 s50, v212, 4
	s_and_b32 s50, s48, s50
	s_delay_alu instid0(SALU_CYCLE_1)
	s_mov_b32 exec_lo, s50
; %bb.225:                              ;   in Loop: Header=BB176_3 Depth=1
	ds_store_b128 v175, v[18:21]
; %bb.226:                              ;   in Loop: Header=BB176_3 Depth=1
	s_or_b32 exec_lo, exec_lo, s48
	s_wait_dscnt 0x0
	s_barrier_signal -1
	s_barrier_wait -1
	s_mov_b32 s48, exec_lo
	v_readlane_b32 s50, v212, 5
	s_and_b32 s50, s48, s50
	s_delay_alu instid0(SALU_CYCLE_1)
	s_mov_b32 exec_lo, s50
	s_cbranch_execz .LBB176_228
; %bb.227:                              ;   in Loop: Header=BB176_3 Depth=1
	ds_load_b128 v[204:207], v175
	ds_load_b128 v[208:211], v73 offset:9472
	s_wait_dscnt 0x0
	v_mul_f64_e32 v[4:5], v[206:207], v[210:211]
	v_mul_f64_e32 v[44:45], v[204:205], v[210:211]
	s_delay_alu instid0(VALU_DEP_2) | instskip(NEXT) | instid1(VALU_DEP_2)
	v_fma_f64 v[4:5], v[204:205], v[208:209], -v[4:5]
	v_fmac_f64_e32 v[44:45], v[206:207], v[208:209]
	s_delay_alu instid0(VALU_DEP_2) | instskip(NEXT) | instid1(VALU_DEP_2)
	v_add_f64_e32 v[18:19], v[18:19], v[4:5]
	v_add_f64_e32 v[20:21], v[20:21], v[44:45]
.LBB176_228:                            ;   in Loop: Header=BB176_3 Depth=1
	s_or_b32 exec_lo, exec_lo, s48
	s_barrier_signal -1
	s_barrier_wait -1
	s_mov_b32 s48, exec_lo
	v_readlane_b32 s50, v212, 6
	s_and_b32 s50, s48, s50
	s_delay_alu instid0(SALU_CYCLE_1)
	s_mov_b32 exec_lo, s50
; %bb.229:                              ;   in Loop: Header=BB176_3 Depth=1
	ds_store_b128 v175, v[18:21]
; %bb.230:                              ;   in Loop: Header=BB176_3 Depth=1
	s_or_b32 exec_lo, exec_lo, s48
	s_wait_dscnt 0x0
	s_barrier_signal -1
	s_barrier_wait -1
	s_mov_b32 s48, exec_lo
	v_readlane_b32 s50, v212, 7
	s_and_b32 s50, s48, s50
	s_delay_alu instid0(SALU_CYCLE_1)
	s_mov_b32 exec_lo, s50
	s_cbranch_execz .LBB176_232
; %bb.231:                              ;   in Loop: Header=BB176_3 Depth=1
	ds_load_b128 v[204:207], v175
	ds_load_b128 v[208:211], v73 offset:9984
	s_wait_dscnt 0x0
	v_mul_f64_e32 v[4:5], v[206:207], v[210:211]
	v_mul_f64_e32 v[44:45], v[204:205], v[210:211]
	s_delay_alu instid0(VALU_DEP_2) | instskip(NEXT) | instid1(VALU_DEP_2)
	v_fma_f64 v[4:5], v[204:205], v[208:209], -v[4:5]
	v_fmac_f64_e32 v[44:45], v[206:207], v[208:209]
	s_delay_alu instid0(VALU_DEP_2) | instskip(NEXT) | instid1(VALU_DEP_2)
	v_add_f64_e32 v[18:19], v[18:19], v[4:5]
	v_add_f64_e32 v[20:21], v[20:21], v[44:45]
.LBB176_232:                            ;   in Loop: Header=BB176_3 Depth=1
	s_or_b32 exec_lo, exec_lo, s48
	s_barrier_signal -1
	s_barrier_wait -1
	s_mov_b32 s48, exec_lo
	v_readlane_b32 s50, v212, 8
	s_and_b32 s50, s48, s50
	s_delay_alu instid0(SALU_CYCLE_1)
	s_mov_b32 exec_lo, s50
; %bb.233:                              ;   in Loop: Header=BB176_3 Depth=1
	ds_store_b128 v175, v[18:21]
; %bb.234:                              ;   in Loop: Header=BB176_3 Depth=1
	s_or_b32 exec_lo, exec_lo, s48
	s_wait_dscnt 0x0
	s_barrier_signal -1
	s_barrier_wait -1
	s_mov_b32 s48, exec_lo
	v_readlane_b32 s50, v212, 9
	s_and_b32 s50, s48, s50
	s_delay_alu instid0(SALU_CYCLE_1)
	s_mov_b32 exec_lo, s50
	s_cbranch_execz .LBB176_236
; %bb.235:                              ;   in Loop: Header=BB176_3 Depth=1
	ds_load_b128 v[204:207], v175
	ds_load_b128 v[208:211], v73 offset:10496
	s_wait_dscnt 0x0
	v_mul_f64_e32 v[4:5], v[206:207], v[210:211]
	v_mul_f64_e32 v[44:45], v[204:205], v[210:211]
	s_delay_alu instid0(VALU_DEP_2) | instskip(NEXT) | instid1(VALU_DEP_2)
	v_fma_f64 v[4:5], v[204:205], v[208:209], -v[4:5]
	v_fmac_f64_e32 v[44:45], v[206:207], v[208:209]
	s_delay_alu instid0(VALU_DEP_2) | instskip(NEXT) | instid1(VALU_DEP_2)
	v_add_f64_e32 v[18:19], v[18:19], v[4:5]
	v_add_f64_e32 v[20:21], v[20:21], v[44:45]
.LBB176_236:                            ;   in Loop: Header=BB176_3 Depth=1
	s_or_b32 exec_lo, exec_lo, s48
	s_barrier_signal -1
	s_barrier_wait -1
	s_mov_b32 s48, exec_lo
	v_readlane_b32 s50, v212, 10
	s_and_b32 s50, s48, s50
	s_delay_alu instid0(SALU_CYCLE_1)
	s_mov_b32 exec_lo, s50
; %bb.237:                              ;   in Loop: Header=BB176_3 Depth=1
	ds_store_b128 v175, v[18:21]
; %bb.238:                              ;   in Loop: Header=BB176_3 Depth=1
	s_or_b32 exec_lo, exec_lo, s48
	s_wait_dscnt 0x0
	s_barrier_signal -1
	s_barrier_wait -1
	s_mov_b32 s48, exec_lo
	v_readlane_b32 s50, v212, 11
	s_and_b32 s50, s48, s50
	s_delay_alu instid0(SALU_CYCLE_1)
	s_mov_b32 exec_lo, s50
	s_cbranch_execz .LBB176_240
; %bb.239:                              ;   in Loop: Header=BB176_3 Depth=1
	ds_load_b128 v[204:207], v175
	ds_load_b128 v[208:211], v73 offset:11008
	s_wait_dscnt 0x0
	v_mul_f64_e32 v[4:5], v[206:207], v[210:211]
	v_mul_f64_e32 v[44:45], v[204:205], v[210:211]
	s_delay_alu instid0(VALU_DEP_2) | instskip(NEXT) | instid1(VALU_DEP_2)
	v_fma_f64 v[4:5], v[204:205], v[208:209], -v[4:5]
	v_fmac_f64_e32 v[44:45], v[206:207], v[208:209]
	s_delay_alu instid0(VALU_DEP_2) | instskip(NEXT) | instid1(VALU_DEP_2)
	v_add_f64_e32 v[18:19], v[18:19], v[4:5]
	v_add_f64_e32 v[20:21], v[20:21], v[44:45]
.LBB176_240:                            ;   in Loop: Header=BB176_3 Depth=1
	s_or_b32 exec_lo, exec_lo, s48
	s_barrier_signal -1
	s_barrier_wait -1
	s_mov_b32 s48, exec_lo
	v_readlane_b32 s50, v212, 12
	s_and_b32 s50, s48, s50
	s_delay_alu instid0(SALU_CYCLE_1)
	s_mov_b32 exec_lo, s50
; %bb.241:                              ;   in Loop: Header=BB176_3 Depth=1
	ds_store_b128 v175, v[18:21]
; %bb.242:                              ;   in Loop: Header=BB176_3 Depth=1
	s_or_b32 exec_lo, exec_lo, s48
	s_wait_dscnt 0x0
	s_barrier_signal -1
	s_barrier_wait -1
	s_mov_b32 s48, exec_lo
	v_readlane_b32 s50, v212, 13
	s_and_b32 s50, s48, s50
	s_delay_alu instid0(SALU_CYCLE_1)
	s_mov_b32 exec_lo, s50
	s_cbranch_execz .LBB176_244
; %bb.243:                              ;   in Loop: Header=BB176_3 Depth=1
	ds_load_b128 v[204:207], v175
	ds_load_b128 v[208:211], v73 offset:11520
	s_wait_dscnt 0x0
	v_mul_f64_e32 v[4:5], v[206:207], v[210:211]
	v_mul_f64_e32 v[44:45], v[204:205], v[210:211]
	s_delay_alu instid0(VALU_DEP_2) | instskip(NEXT) | instid1(VALU_DEP_2)
	v_fma_f64 v[4:5], v[204:205], v[208:209], -v[4:5]
	v_fmac_f64_e32 v[44:45], v[206:207], v[208:209]
	s_delay_alu instid0(VALU_DEP_2) | instskip(NEXT) | instid1(VALU_DEP_2)
	v_add_f64_e32 v[18:19], v[18:19], v[4:5]
	v_add_f64_e32 v[20:21], v[20:21], v[44:45]
.LBB176_244:                            ;   in Loop: Header=BB176_3 Depth=1
	s_or_b32 exec_lo, exec_lo, s48
	s_barrier_signal -1
	s_barrier_wait -1
	s_mov_b32 s48, exec_lo
	v_readlane_b32 s50, v212, 14
	s_and_b32 s50, s48, s50
	s_delay_alu instid0(SALU_CYCLE_1)
	s_mov_b32 exec_lo, s50
; %bb.245:                              ;   in Loop: Header=BB176_3 Depth=1
	ds_store_b128 v175, v[18:21]
; %bb.246:                              ;   in Loop: Header=BB176_3 Depth=1
	s_or_b32 exec_lo, exec_lo, s48
	s_wait_dscnt 0x0
	s_barrier_signal -1
	s_barrier_wait -1
	s_and_saveexec_b32 s48, s103
	s_cbranch_execz .LBB176_248
; %bb.247:                              ;   in Loop: Header=BB176_3 Depth=1
	ds_load_b128 v[204:207], v175
	ds_load_b128 v[208:211], v73 offset:12032
	s_wait_dscnt 0x0
	v_mul_f64_e32 v[4:5], v[206:207], v[210:211]
	v_mul_f64_e32 v[44:45], v[204:205], v[210:211]
	s_delay_alu instid0(VALU_DEP_2) | instskip(NEXT) | instid1(VALU_DEP_2)
	v_fma_f64 v[4:5], v[204:205], v[208:209], -v[4:5]
	v_fmac_f64_e32 v[44:45], v[206:207], v[208:209]
	s_delay_alu instid0(VALU_DEP_2) | instskip(NEXT) | instid1(VALU_DEP_2)
	v_add_f64_e32 v[18:19], v[18:19], v[4:5]
	v_add_f64_e32 v[20:21], v[20:21], v[44:45]
.LBB176_248:                            ;   in Loop: Header=BB176_3 Depth=1
	s_or_b32 exec_lo, exec_lo, s48
	s_barrier_signal -1
	s_barrier_wait -1
	s_and_saveexec_b32 s48, s104
; %bb.249:                              ;   in Loop: Header=BB176_3 Depth=1
	ds_store_b128 v175, v[18:21]
; %bb.250:                              ;   in Loop: Header=BB176_3 Depth=1
	s_or_b32 exec_lo, exec_lo, s48
	s_wait_dscnt 0x0
	s_barrier_signal -1
	s_barrier_wait -1
	s_and_saveexec_b32 s48, vcc_hi
	s_cbranch_execz .LBB176_252
; %bb.251:                              ;   in Loop: Header=BB176_3 Depth=1
	ds_load_b128 v[204:207], v175
	ds_load_b128 v[208:211], v73 offset:12544
	s_wait_dscnt 0x0
	v_mul_f64_e32 v[4:5], v[206:207], v[210:211]
	v_mul_f64_e32 v[44:45], v[204:205], v[210:211]
	s_delay_alu instid0(VALU_DEP_2) | instskip(NEXT) | instid1(VALU_DEP_2)
	v_fma_f64 v[4:5], v[204:205], v[208:209], -v[4:5]
	v_fmac_f64_e32 v[44:45], v[206:207], v[208:209]
	s_delay_alu instid0(VALU_DEP_2) | instskip(NEXT) | instid1(VALU_DEP_2)
	v_add_f64_e32 v[18:19], v[18:19], v[4:5]
	v_add_f64_e32 v[20:21], v[20:21], v[44:45]
.LBB176_252:                            ;   in Loop: Header=BB176_3 Depth=1
	s_or_b32 exec_lo, exec_lo, s48
	s_barrier_signal -1
	s_barrier_wait -1
	s_and_saveexec_b32 s48, s18
; %bb.253:                              ;   in Loop: Header=BB176_3 Depth=1
	ds_store_b128 v175, v[18:21]
; %bb.254:                              ;   in Loop: Header=BB176_3 Depth=1
	s_or_b32 exec_lo, exec_lo, s48
	s_wait_dscnt 0x0
	s_barrier_signal -1
	s_barrier_wait -1
	s_and_saveexec_b32 s48, s19
	s_cbranch_execz .LBB176_256
; %bb.255:                              ;   in Loop: Header=BB176_3 Depth=1
	ds_load_b128 v[204:207], v175
	ds_load_b128 v[208:211], v73 offset:13056
	s_wait_dscnt 0x0
	v_mul_f64_e32 v[4:5], v[206:207], v[210:211]
	v_mul_f64_e32 v[44:45], v[204:205], v[210:211]
	s_delay_alu instid0(VALU_DEP_2) | instskip(NEXT) | instid1(VALU_DEP_2)
	v_fma_f64 v[4:5], v[204:205], v[208:209], -v[4:5]
	v_fmac_f64_e32 v[44:45], v[206:207], v[208:209]
	s_delay_alu instid0(VALU_DEP_2) | instskip(NEXT) | instid1(VALU_DEP_2)
	v_add_f64_e32 v[18:19], v[18:19], v[4:5]
	v_add_f64_e32 v[20:21], v[20:21], v[44:45]
.LBB176_256:                            ;   in Loop: Header=BB176_3 Depth=1
	s_or_b32 exec_lo, exec_lo, s48
	s_barrier_signal -1
	s_barrier_wait -1
	s_and_saveexec_b32 s48, s20
; %bb.257:                              ;   in Loop: Header=BB176_3 Depth=1
	ds_store_b128 v175, v[18:21]
; %bb.258:                              ;   in Loop: Header=BB176_3 Depth=1
	s_or_b32 exec_lo, exec_lo, s48
	s_wait_dscnt 0x0
	s_barrier_signal -1
	s_barrier_wait -1
	s_and_saveexec_b32 s48, s21
	;; [unrolled: 26-line block ×6, first 2 shown]
	s_cbranch_execz .LBB176_276
; %bb.275:                              ;   in Loop: Header=BB176_3 Depth=1
	ds_load_b128 v[204:207], v175
	ds_load_b128 v[208:211], v2 offset:15856
	s_wait_dscnt 0x0
	v_mul_f64_e32 v[4:5], v[206:207], v[210:211]
	v_mul_f64_e32 v[44:45], v[204:205], v[210:211]
	s_delay_alu instid0(VALU_DEP_2) | instskip(NEXT) | instid1(VALU_DEP_2)
	v_fma_f64 v[4:5], v[204:205], v[208:209], -v[4:5]
	v_fmac_f64_e32 v[44:45], v[206:207], v[208:209]
	s_delay_alu instid0(VALU_DEP_2) | instskip(NEXT) | instid1(VALU_DEP_2)
	v_add_f64_e32 v[18:19], v[18:19], v[4:5]
	v_add_f64_e32 v[20:21], v[20:21], v[44:45]
.LBB176_276:                            ;   in Loop: Header=BB176_3 Depth=1
	s_or_b32 exec_lo, exec_lo, s48
	s_barrier_signal -1
	s_barrier_wait -1
	s_and_saveexec_b32 s48, s90
; %bb.277:                              ;   in Loop: Header=BB176_3 Depth=1
	ds_store_b128 v175, v[18:21]
; %bb.278:                              ;   in Loop: Header=BB176_3 Depth=1
	s_or_b32 exec_lo, exec_lo, s48
	s_wait_dscnt 0x0
	s_barrier_signal -1
	s_barrier_wait -1
	s_barrier_signal -1
	s_barrier_wait -1
	s_and_saveexec_b32 s48, s5
; %bb.279:                              ;   in Loop: Header=BB176_3 Depth=1
	v_xor_b32_e32 v21, 0x80000000, v21
	v_xor_b32_e32 v19, 0x80000000, v19
	ds_store_b128 v176, v[18:21] offset:256
; %bb.280:                              ;   in Loop: Header=BB176_3 Depth=1
	s_or_b32 exec_lo, exec_lo, s48
	s_wait_dscnt 0x0
	s_barrier_signal -1
	s_barrier_wait -1
	s_barrier_signal -1
	s_barrier_wait -1
	s_and_saveexec_b32 s48, s91
	s_cbranch_execz .LBB176_282
; %bb.281:                              ;   in Loop: Header=BB176_3 Depth=1
	ds_load_b128 v[18:21], v116
	s_wait_dscnt 0x0
	ds_store_b128 v134, v[18:21]
	ds_load_b128 v[18:21], v117
	s_wait_dscnt 0x0
	ds_store_b128 v135, v[18:21]
	;; [unrolled: 3-line block ×16, first 2 shown]
.LBB176_282:                            ;   in Loop: Header=BB176_3 Depth=1
	s_or_b32 exec_lo, exec_lo, s48
	s_wait_dscnt 0x0
	s_barrier_signal -1
	s_barrier_wait -1
	s_and_saveexec_b32 s98, s27
	s_cbranch_execz .LBB176_284
; %bb.283:                              ;   in Loop: Header=BB176_3 Depth=1
	s_mov_b32 s48, s35
	s_mov_b32 s50, s35
	;; [unrolled: 1-line block ×3, first 2 shown]
	v_mov_b64_e32 v[18:19], s[48:49]
	v_mov_b64_e32 v[20:21], s[50:51]
	ds_store_b128 v2, v[18:21] offset:8448
	ds_store_b128 v2, v[18:21] offset:8976
	ds_load_b128 v[18:21], v2 offset:8464
	s_wait_dscnt 0x0
	ds_store_b128 v2, v[18:21] offset:8960
.LBB176_284:                            ;   in Loop: Header=BB176_3 Depth=1
	s_or_b32 exec_lo, exec_lo, s98
	v_mov_b64_e32 v[20:21], 0
	v_mov_b64_e32 v[18:19], 0
	s_wait_dscnt 0x0
	s_barrier_signal -1
	s_barrier_wait -1
	s_and_saveexec_b32 s48, s1
	s_cbranch_execz .LBB176_288
; %bb.285:                              ;   in Loop: Header=BB176_3 Depth=1
	ds_load_b128 v[18:21], v47 offset:8448
	ds_load_b128 v[204:207], v46 offset:8480
	s_wait_dscnt 0x0
	v_mul_f64_e32 v[4:5], v[20:21], v[206:207]
	v_mul_f64_e32 v[44:45], v[18:19], v[206:207]
	s_delay_alu instid0(VALU_DEP_2) | instskip(NEXT) | instid1(VALU_DEP_2)
	v_fma_f64 v[4:5], v[18:19], v[204:205], -v[4:5]
	v_fmac_f64_e32 v[44:45], v[20:21], v[204:205]
	s_delay_alu instid0(VALU_DEP_2) | instskip(NEXT) | instid1(VALU_DEP_2)
	v_add_f64_e32 v[18:19], 0, v[4:5]
	v_add_f64_e32 v[20:21], 0, v[44:45]
	s_and_saveexec_b32 s50, s8
	s_cbranch_execz .LBB176_287
; %bb.286:                              ;   in Loop: Header=BB176_3 Depth=1
	ds_load_b128 v[204:207], v2 offset:8464
	ds_load_b128 v[208:211], v48 offset:8992
	s_wait_dscnt 0x0
	v_mul_f64_e32 v[4:5], v[206:207], v[210:211]
	v_mul_f64_e32 v[44:45], v[204:205], v[210:211]
	s_delay_alu instid0(VALU_DEP_2) | instskip(NEXT) | instid1(VALU_DEP_2)
	v_fma_f64 v[4:5], v[204:205], v[208:209], -v[4:5]
	v_fmac_f64_e32 v[44:45], v[206:207], v[208:209]
	s_delay_alu instid0(VALU_DEP_2) | instskip(NEXT) | instid1(VALU_DEP_2)
	v_add_f64_e32 v[18:19], v[18:19], v[4:5]
	v_add_f64_e32 v[20:21], v[20:21], v[44:45]
.LBB176_287:                            ;   in Loop: Header=BB176_3 Depth=1
	s_or_b32 exec_lo, exec_lo, s50
	s_delay_alu instid0(VALU_DEP_2) | instskip(NEXT) | instid1(VALU_DEP_2)
	v_xor_b32_e32 v19, 0x80000000, v19
	v_xor_b32_e32 v21, 0x80000000, v21
.LBB176_288:                            ;   in Loop: Header=BB176_3 Depth=1
	s_or_b32 exec_lo, exec_lo, s48
	s_and_saveexec_b32 s48, s63
; %bb.289:                              ;   in Loop: Header=BB176_3 Depth=1
	ds_store_b128 v23, v[18:21]
; %bb.290:                              ;   in Loop: Header=BB176_3 Depth=1
	s_or_b32 exec_lo, exec_lo, s48
	s_wait_dscnt 0x0
	s_barrier_signal -1
	s_barrier_wait -1
	s_and_saveexec_b32 s48, s64
	s_cbranch_execz .LBB176_292
; %bb.291:                              ;   in Loop: Header=BB176_3 Depth=1
	ds_load_b128 v[204:207], v23
	ds_load_b128 v[208:211], v2 offset:9520
	s_wait_dscnt 0x0
	v_mul_f64_e32 v[4:5], v[206:207], v[210:211]
	v_mul_f64_e32 v[44:45], v[204:205], v[210:211]
	s_delay_alu instid0(VALU_DEP_2) | instskip(NEXT) | instid1(VALU_DEP_2)
	v_fma_f64 v[4:5], v[204:205], v[208:209], -v[4:5]
	v_fmac_f64_e32 v[44:45], v[206:207], v[208:209]
	s_delay_alu instid0(VALU_DEP_2) | instskip(NEXT) | instid1(VALU_DEP_2)
	v_add_f64_e32 v[18:19], v[18:19], v[4:5]
	v_add_f64_e32 v[20:21], v[20:21], v[44:45]
.LBB176_292:                            ;   in Loop: Header=BB176_3 Depth=1
	s_or_b32 exec_lo, exec_lo, s48
	s_barrier_signal -1
	s_barrier_wait -1
	s_and_saveexec_b32 s48, s64
; %bb.293:                              ;   in Loop: Header=BB176_3 Depth=1
	ds_store_b128 v23, v[18:21]
; %bb.294:                              ;   in Loop: Header=BB176_3 Depth=1
	s_or_b32 exec_lo, exec_lo, s48
	s_wait_dscnt 0x0
	s_barrier_signal -1
	s_barrier_wait -1
	s_barrier_signal -1
	s_barrier_wait -1
	s_and_saveexec_b32 s48, s1
; %bb.295:                              ;   in Loop: Header=BB176_3 Depth=1
	v_xor_b32_e32 v19, 0x80000000, v19
	v_xor_b32_e32 v21, 0x80000000, v21
	ds_store_b128 v46, v[18:21] offset:8480
; %bb.296:                              ;   in Loop: Header=BB176_3 Depth=1
	s_or_b32 exec_lo, exec_lo, s48
	s_wait_dscnt 0x0
	s_barrier_signal -1
	s_barrier_wait -1
	s_barrier_signal -1
	s_barrier_wait -1
	s_and_saveexec_b32 s48, s65
	s_cbranch_execz .LBB176_298
; %bb.297:                              ;   in Loop: Header=BB176_3 Depth=1
	ds_load_b128 v[18:21], v74
	s_wait_dscnt 0x0
	ds_store_b128 v177, v[18:21]
	ds_load_b128 v[18:21], v75
	s_wait_dscnt 0x0
	ds_store_b128 v178, v[18:21]
.LBB176_298:                            ;   in Loop: Header=BB176_3 Depth=1
	s_or_b32 exec_lo, exec_lo, s48
	s_wait_dscnt 0x0
	s_barrier_signal -1
	s_barrier_wait -1
	s_and_saveexec_b32 s98, s27
	s_cbranch_execz .LBB176_300
; %bb.299:                              ;   in Loop: Header=BB176_3 Depth=1
	s_mov_b32 s48, s35
	s_mov_b32 s50, s35
	;; [unrolled: 1-line block ×3, first 2 shown]
	v_mov_b64_e32 v[18:19], s[48:49]
	v_mov_b64_e32 v[20:21], s[50:51]
	ds_store_b128 v2, v[18:21] offset:9504
	ds_store_b128 v2, v[18:21] offset:10032
	ds_load_b128 v[18:21], v2 offset:9520
	s_wait_dscnt 0x0
	ds_store_b128 v2, v[18:21] offset:10016
.LBB176_300:                            ;   in Loop: Header=BB176_3 Depth=1
	s_or_b32 exec_lo, exec_lo, s98
	v_mov_b64_e32 v[20:21], 0
	v_mov_b64_e32 v[18:19], 0
	s_wait_dscnt 0x0
	s_barrier_signal -1
	s_barrier_wait -1
	s_and_saveexec_b32 s48, s3
	s_cbranch_execz .LBB176_306
; %bb.301:                              ;   in Loop: Header=BB176_3 Depth=1
	ds_load_b128 v[18:21], v49 offset:8448
	ds_load_b128 v[204:207], v55 offset:8512
	s_wait_dscnt 0x0
	v_mul_f64_e32 v[4:5], v[20:21], v[206:207]
	v_mul_f64_e32 v[44:45], v[18:19], v[206:207]
	s_delay_alu instid0(VALU_DEP_2) | instskip(NEXT) | instid1(VALU_DEP_2)
	v_fma_f64 v[4:5], v[18:19], v[204:205], -v[4:5]
	v_fmac_f64_e32 v[44:45], v[20:21], v[204:205]
	s_delay_alu instid0(VALU_DEP_2) | instskip(NEXT) | instid1(VALU_DEP_2)
	v_add_f64_e32 v[18:19], 0, v[4:5]
	v_add_f64_e32 v[20:21], 0, v[44:45]
	s_and_saveexec_b32 s50, s9
	s_cbranch_execnz .LBB176_532
; %bb.302:                              ;   in Loop: Header=BB176_3 Depth=1
	s_or_b32 exec_lo, exec_lo, s50
	s_and_saveexec_b32 s50, s10
	s_cbranch_execnz .LBB176_533
.LBB176_303:                            ;   in Loop: Header=BB176_3 Depth=1
	s_or_b32 exec_lo, exec_lo, s50
	s_and_saveexec_b32 s50, s1
	s_cbranch_execz .LBB176_305
.LBB176_304:                            ;   in Loop: Header=BB176_3 Depth=1
	ds_load_b128 v[204:207], v2 offset:8496
	ds_load_b128 v[208:211], v53 offset:10048
	s_wait_dscnt 0x0
	v_mul_f64_e32 v[4:5], v[206:207], v[210:211]
	v_mul_f64_e32 v[44:45], v[204:205], v[210:211]
	s_delay_alu instid0(VALU_DEP_2) | instskip(NEXT) | instid1(VALU_DEP_2)
	v_fma_f64 v[4:5], v[204:205], v[208:209], -v[4:5]
	v_fmac_f64_e32 v[44:45], v[206:207], v[208:209]
	s_delay_alu instid0(VALU_DEP_2) | instskip(NEXT) | instid1(VALU_DEP_2)
	v_add_f64_e32 v[18:19], v[18:19], v[4:5]
	v_add_f64_e32 v[20:21], v[20:21], v[44:45]
.LBB176_305:                            ;   in Loop: Header=BB176_3 Depth=1
	s_or_b32 exec_lo, exec_lo, s50
	s_delay_alu instid0(VALU_DEP_2) | instskip(NEXT) | instid1(VALU_DEP_2)
	v_xor_b32_e32 v19, 0x80000000, v19
	v_xor_b32_e32 v21, 0x80000000, v21
.LBB176_306:                            ;   in Loop: Header=BB176_3 Depth=1
	s_or_b32 exec_lo, exec_lo, s48
	s_and_saveexec_b32 s48, s66
; %bb.307:                              ;   in Loop: Header=BB176_3 Depth=1
	ds_store_b128 v54, v[18:21]
; %bb.308:                              ;   in Loop: Header=BB176_3 Depth=1
	s_or_b32 exec_lo, exec_lo, s48
	s_wait_dscnt 0x0
	s_barrier_signal -1
	s_barrier_wait -1
	s_and_saveexec_b32 s48, s67
	s_cbranch_execz .LBB176_310
; %bb.309:                              ;   in Loop: Header=BB176_3 Depth=1
	ds_load_b128 v[204:207], v54
	ds_load_b128 v[208:211], v52 offset:10560
	s_wait_dscnt 0x0
	v_mul_f64_e32 v[4:5], v[206:207], v[210:211]
	v_mul_f64_e32 v[44:45], v[204:205], v[210:211]
	s_delay_alu instid0(VALU_DEP_2) | instskip(NEXT) | instid1(VALU_DEP_2)
	v_fma_f64 v[4:5], v[204:205], v[208:209], -v[4:5]
	v_fmac_f64_e32 v[44:45], v[206:207], v[208:209]
	s_delay_alu instid0(VALU_DEP_2) | instskip(NEXT) | instid1(VALU_DEP_2)
	v_add_f64_e32 v[18:19], v[18:19], v[4:5]
	v_add_f64_e32 v[20:21], v[20:21], v[44:45]
.LBB176_310:                            ;   in Loop: Header=BB176_3 Depth=1
	s_or_b32 exec_lo, exec_lo, s48
	s_barrier_signal -1
	s_barrier_wait -1
	s_and_saveexec_b32 s48, s68
; %bb.311:                              ;   in Loop: Header=BB176_3 Depth=1
	ds_store_b128 v54, v[18:21]
; %bb.312:                              ;   in Loop: Header=BB176_3 Depth=1
	s_or_b32 exec_lo, exec_lo, s48
	s_wait_dscnt 0x0
	s_barrier_signal -1
	s_barrier_wait -1
	s_and_saveexec_b32 s48, s69
	s_cbranch_execz .LBB176_314
; %bb.313:                              ;   in Loop: Header=BB176_3 Depth=1
	ds_load_b128 v[204:207], v54
	ds_load_b128 v[208:211], v52 offset:11072
	s_wait_dscnt 0x0
	v_mul_f64_e32 v[4:5], v[206:207], v[210:211]
	v_mul_f64_e32 v[44:45], v[204:205], v[210:211]
	s_delay_alu instid0(VALU_DEP_2) | instskip(NEXT) | instid1(VALU_DEP_2)
	v_fma_f64 v[4:5], v[204:205], v[208:209], -v[4:5]
	v_fmac_f64_e32 v[44:45], v[206:207], v[208:209]
	s_delay_alu instid0(VALU_DEP_2) | instskip(NEXT) | instid1(VALU_DEP_2)
	v_add_f64_e32 v[18:19], v[18:19], v[4:5]
	v_add_f64_e32 v[20:21], v[20:21], v[44:45]
.LBB176_314:                            ;   in Loop: Header=BB176_3 Depth=1
	s_or_b32 exec_lo, exec_lo, s48
	s_barrier_signal -1
	s_barrier_wait -1
	;; [unrolled: 26-line block ×3, first 2 shown]
	s_and_saveexec_b32 s48, s71
; %bb.319:                              ;   in Loop: Header=BB176_3 Depth=1
	ds_store_b128 v54, v[18:21]
; %bb.320:                              ;   in Loop: Header=BB176_3 Depth=1
	s_or_b32 exec_lo, exec_lo, s48
	s_wait_dscnt 0x0
	s_barrier_signal -1
	s_barrier_wait -1
	s_barrier_signal -1
	s_barrier_wait -1
	s_and_saveexec_b32 s48, s3
; %bb.321:                              ;   in Loop: Header=BB176_3 Depth=1
	v_xor_b32_e32 v21, 0x80000000, v21
	v_xor_b32_e32 v19, 0x80000000, v19
	ds_store_b128 v55, v[18:21] offset:8512
; %bb.322:                              ;   in Loop: Header=BB176_3 Depth=1
	s_or_b32 exec_lo, exec_lo, s48
	s_wait_dscnt 0x0
	s_barrier_signal -1
	s_barrier_wait -1
	s_barrier_signal -1
	s_barrier_wait -1
	s_and_saveexec_b32 s48, s72
	s_cbranch_execz .LBB176_324
; %bb.323:                              ;   in Loop: Header=BB176_3 Depth=1
	ds_load_b128 v[18:21], v89
	s_wait_dscnt 0x0
	ds_store_b128 v179, v[18:21]
	ds_load_b128 v[18:21], v92
	s_wait_dscnt 0x0
	ds_store_b128 v182, v[18:21]
	;; [unrolled: 3-line block ×4, first 2 shown]
.LBB176_324:                            ;   in Loop: Header=BB176_3 Depth=1
	s_or_b32 exec_lo, exec_lo, s48
	s_wait_dscnt 0x0
	s_barrier_signal -1
	s_barrier_wait -1
	s_and_saveexec_b32 s98, s27
	s_cbranch_execz .LBB176_326
; %bb.325:                              ;   in Loop: Header=BB176_3 Depth=1
	s_mov_b32 s48, s35
	s_mov_b32 s50, s35
	;; [unrolled: 1-line block ×3, first 2 shown]
	v_mov_b64_e32 v[18:19], s[48:49]
	v_mov_b64_e32 v[20:21], s[50:51]
	ds_store_b128 v2, v[18:21] offset:10560
	ds_store_b128 v2, v[18:21] offset:11088
	ds_load_b128 v[18:21], v2 offset:10576
	s_wait_dscnt 0x0
	ds_store_b128 v2, v[18:21] offset:11072
.LBB176_326:                            ;   in Loop: Header=BB176_3 Depth=1
	s_or_b32 exec_lo, exec_lo, s98
	v_mov_b64_e32 v[20:21], 0
	v_mov_b64_e32 v[18:19], 0
	s_wait_dscnt 0x0
	s_barrier_signal -1
	s_barrier_wait -1
	s_and_saveexec_b32 s48, s1
	s_cbranch_execz .LBB176_330
; %bb.327:                              ;   in Loop: Header=BB176_3 Depth=1
	ds_load_b128 v[18:21], v47 offset:10560
	ds_load_b128 v[204:207], v46 offset:10592
	s_wait_dscnt 0x0
	v_mul_f64_e32 v[4:5], v[20:21], v[206:207]
	v_mul_f64_e32 v[44:45], v[18:19], v[206:207]
	s_delay_alu instid0(VALU_DEP_2) | instskip(NEXT) | instid1(VALU_DEP_2)
	v_fma_f64 v[4:5], v[18:19], v[204:205], -v[4:5]
	v_fmac_f64_e32 v[44:45], v[20:21], v[204:205]
	s_delay_alu instid0(VALU_DEP_2) | instskip(NEXT) | instid1(VALU_DEP_2)
	v_add_f64_e32 v[18:19], 0, v[4:5]
	v_add_f64_e32 v[20:21], 0, v[44:45]
	s_and_saveexec_b32 s50, s8
	s_cbranch_execz .LBB176_329
; %bb.328:                              ;   in Loop: Header=BB176_3 Depth=1
	ds_load_b128 v[204:207], v2 offset:10576
	ds_load_b128 v[208:211], v86 offset:11104
	s_wait_dscnt 0x0
	v_mul_f64_e32 v[4:5], v[206:207], v[210:211]
	v_mul_f64_e32 v[44:45], v[204:205], v[210:211]
	s_delay_alu instid0(VALU_DEP_2) | instskip(NEXT) | instid1(VALU_DEP_2)
	v_fma_f64 v[4:5], v[204:205], v[208:209], -v[4:5]
	v_fmac_f64_e32 v[44:45], v[206:207], v[208:209]
	s_delay_alu instid0(VALU_DEP_2) | instskip(NEXT) | instid1(VALU_DEP_2)
	v_add_f64_e32 v[18:19], v[18:19], v[4:5]
	v_add_f64_e32 v[20:21], v[20:21], v[44:45]
.LBB176_329:                            ;   in Loop: Header=BB176_3 Depth=1
	s_or_b32 exec_lo, exec_lo, s50
	s_delay_alu instid0(VALU_DEP_2) | instskip(NEXT) | instid1(VALU_DEP_2)
	v_xor_b32_e32 v19, 0x80000000, v19
	v_xor_b32_e32 v21, 0x80000000, v21
.LBB176_330:                            ;   in Loop: Header=BB176_3 Depth=1
	s_or_b32 exec_lo, exec_lo, s48
	s_and_saveexec_b32 s48, s63
; %bb.331:                              ;   in Loop: Header=BB176_3 Depth=1
	ds_store_b128 v23, v[18:21]
; %bb.332:                              ;   in Loop: Header=BB176_3 Depth=1
	s_or_b32 exec_lo, exec_lo, s48
	s_wait_dscnt 0x0
	s_barrier_signal -1
	s_barrier_wait -1
	s_and_saveexec_b32 s48, s64
	s_cbranch_execz .LBB176_334
; %bb.333:                              ;   in Loop: Header=BB176_3 Depth=1
	ds_load_b128 v[204:207], v23
	ds_load_b128 v[208:211], v2 offset:11632
	s_wait_dscnt 0x0
	v_mul_f64_e32 v[4:5], v[206:207], v[210:211]
	v_mul_f64_e32 v[44:45], v[204:205], v[210:211]
	s_delay_alu instid0(VALU_DEP_2) | instskip(NEXT) | instid1(VALU_DEP_2)
	v_fma_f64 v[4:5], v[204:205], v[208:209], -v[4:5]
	v_fmac_f64_e32 v[44:45], v[206:207], v[208:209]
	s_delay_alu instid0(VALU_DEP_2) | instskip(NEXT) | instid1(VALU_DEP_2)
	v_add_f64_e32 v[18:19], v[18:19], v[4:5]
	v_add_f64_e32 v[20:21], v[20:21], v[44:45]
.LBB176_334:                            ;   in Loop: Header=BB176_3 Depth=1
	s_or_b32 exec_lo, exec_lo, s48
	s_barrier_signal -1
	s_barrier_wait -1
	s_and_saveexec_b32 s48, s64
; %bb.335:                              ;   in Loop: Header=BB176_3 Depth=1
	ds_store_b128 v23, v[18:21]
; %bb.336:                              ;   in Loop: Header=BB176_3 Depth=1
	s_or_b32 exec_lo, exec_lo, s48
	s_wait_dscnt 0x0
	s_barrier_signal -1
	s_barrier_wait -1
	s_barrier_signal -1
	s_barrier_wait -1
	s_and_saveexec_b32 s48, s1
; %bb.337:                              ;   in Loop: Header=BB176_3 Depth=1
	v_xor_b32_e32 v19, 0x80000000, v19
	v_xor_b32_e32 v21, 0x80000000, v21
	ds_store_b128 v46, v[18:21] offset:10592
; %bb.338:                              ;   in Loop: Header=BB176_3 Depth=1
	s_or_b32 exec_lo, exec_lo, s48
	s_wait_dscnt 0x0
	s_barrier_signal -1
	s_barrier_wait -1
	s_barrier_signal -1
	s_barrier_wait -1
	s_and_saveexec_b32 s48, s65
	s_cbranch_execz .LBB176_340
; %bb.339:                              ;   in Loop: Header=BB176_3 Depth=1
	ds_load_b128 v[18:21], v102
	s_wait_dscnt 0x0
	ds_store_b128 v183, v[18:21]
	ds_load_b128 v[18:21], v103
	s_wait_dscnt 0x0
	ds_store_b128 v184, v[18:21]
.LBB176_340:                            ;   in Loop: Header=BB176_3 Depth=1
	s_or_b32 exec_lo, exec_lo, s48
	s_wait_dscnt 0x0
	s_barrier_signal -1
	s_barrier_wait -1
	s_and_saveexec_b32 s98, s27
	s_cbranch_execz .LBB176_342
; %bb.341:                              ;   in Loop: Header=BB176_3 Depth=1
	s_mov_b32 s48, s35
	s_mov_b32 s50, s35
	;; [unrolled: 1-line block ×3, first 2 shown]
	v_mov_b64_e32 v[18:19], s[48:49]
	v_mov_b64_e32 v[20:21], s[50:51]
	ds_store_b128 v2, v[18:21] offset:11616
	ds_store_b128 v2, v[18:21] offset:12144
	ds_load_b128 v[18:21], v2 offset:11632
	s_wait_dscnt 0x0
	ds_store_b128 v2, v[18:21] offset:12128
.LBB176_342:                            ;   in Loop: Header=BB176_3 Depth=1
	s_or_b32 exec_lo, exec_lo, s98
	v_mov_b64_e32 v[20:21], 0
	v_mov_b64_e32 v[18:19], 0
	s_wait_dscnt 0x0
	s_barrier_signal -1
	s_barrier_wait -1
	s_and_saveexec_b32 s48, s4
	s_cbranch_execz .LBB176_352
; %bb.343:                              ;   in Loop: Header=BB176_3 Depth=1
	ds_load_b128 v[18:21], v57 offset:8448
	ds_load_b128 v[204:207], v62 offset:8576
	s_wait_dscnt 0x0
	v_mul_f64_e32 v[4:5], v[20:21], v[206:207]
	v_mul_f64_e32 v[44:45], v[18:19], v[206:207]
	s_delay_alu instid0(VALU_DEP_2) | instskip(NEXT) | instid1(VALU_DEP_2)
	v_fma_f64 v[4:5], v[18:19], v[204:205], -v[4:5]
	v_fmac_f64_e32 v[44:45], v[20:21], v[204:205]
	s_delay_alu instid0(VALU_DEP_2) | instskip(NEXT) | instid1(VALU_DEP_2)
	v_add_f64_e32 v[18:19], 0, v[4:5]
	v_add_f64_e32 v[20:21], 0, v[44:45]
	s_and_saveexec_b32 s50, s11
	s_cbranch_execnz .LBB176_534
; %bb.344:                              ;   in Loop: Header=BB176_3 Depth=1
	s_or_b32 exec_lo, exec_lo, s50
	s_and_saveexec_b32 s50, s12
	s_cbranch_execnz .LBB176_535
.LBB176_345:                            ;   in Loop: Header=BB176_3 Depth=1
	s_or_b32 exec_lo, exec_lo, s50
	s_and_saveexec_b32 s50, s13
	s_cbranch_execnz .LBB176_536
.LBB176_346:                            ;   in Loop: Header=BB176_3 Depth=1
	s_or_b32 exec_lo, exec_lo, s50
	s_and_saveexec_b32 s50, s14
	s_cbranch_execnz .LBB176_537
.LBB176_347:                            ;   in Loop: Header=BB176_3 Depth=1
	s_or_b32 exec_lo, exec_lo, s50
	s_and_saveexec_b32 s50, s15
	s_cbranch_execnz .LBB176_538
.LBB176_348:                            ;   in Loop: Header=BB176_3 Depth=1
	s_or_b32 exec_lo, exec_lo, s50
	s_and_saveexec_b32 s50, s3
	s_cbranch_execnz .LBB176_539
.LBB176_349:                            ;   in Loop: Header=BB176_3 Depth=1
	s_or_b32 exec_lo, exec_lo, s50
	s_and_saveexec_b32 s50, s10
	s_cbranch_execz .LBB176_351
.LBB176_350:                            ;   in Loop: Header=BB176_3 Depth=1
	ds_load_b128 v[204:207], v2 offset:8560
	ds_load_b128 v[208:211], v48 offset:12160
	s_wait_dscnt 0x0
	v_mul_f64_e32 v[4:5], v[206:207], v[210:211]
	v_mul_f64_e32 v[44:45], v[204:205], v[210:211]
	s_delay_alu instid0(VALU_DEP_2) | instskip(NEXT) | instid1(VALU_DEP_2)
	v_fma_f64 v[4:5], v[204:205], v[208:209], -v[4:5]
	v_fmac_f64_e32 v[44:45], v[206:207], v[208:209]
	s_delay_alu instid0(VALU_DEP_2) | instskip(NEXT) | instid1(VALU_DEP_2)
	v_add_f64_e32 v[18:19], v[18:19], v[4:5]
	v_add_f64_e32 v[20:21], v[20:21], v[44:45]
.LBB176_351:                            ;   in Loop: Header=BB176_3 Depth=1
	s_or_b32 exec_lo, exec_lo, s50
	s_delay_alu instid0(VALU_DEP_2) | instskip(NEXT) | instid1(VALU_DEP_2)
	v_xor_b32_e32 v19, 0x80000000, v19
	v_xor_b32_e32 v21, 0x80000000, v21
.LBB176_352:                            ;   in Loop: Header=BB176_3 Depth=1
	s_or_b32 exec_lo, exec_lo, s48
	s_and_saveexec_b32 s48, s73
; %bb.353:                              ;   in Loop: Header=BB176_3 Depth=1
	ds_store_b128 v61, v[18:21]
; %bb.354:                              ;   in Loop: Header=BB176_3 Depth=1
	s_or_b32 exec_lo, exec_lo, s48
	s_wait_dscnt 0x0
	s_barrier_signal -1
	s_barrier_wait -1
	s_and_saveexec_b32 s48, s74
	s_cbranch_execz .LBB176_356
; %bb.355:                              ;   in Loop: Header=BB176_3 Depth=1
	ds_load_b128 v[204:207], v61
	ds_load_b128 v[208:211], v59 offset:12672
	s_wait_dscnt 0x0
	v_mul_f64_e32 v[4:5], v[206:207], v[210:211]
	v_mul_f64_e32 v[44:45], v[204:205], v[210:211]
	s_delay_alu instid0(VALU_DEP_2) | instskip(NEXT) | instid1(VALU_DEP_2)
	v_fma_f64 v[4:5], v[204:205], v[208:209], -v[4:5]
	v_fmac_f64_e32 v[44:45], v[206:207], v[208:209]
	s_delay_alu instid0(VALU_DEP_2) | instskip(NEXT) | instid1(VALU_DEP_2)
	v_add_f64_e32 v[18:19], v[18:19], v[4:5]
	v_add_f64_e32 v[20:21], v[20:21], v[44:45]
.LBB176_356:                            ;   in Loop: Header=BB176_3 Depth=1
	s_or_b32 exec_lo, exec_lo, s48
	s_barrier_signal -1
	s_barrier_wait -1
	s_and_saveexec_b32 s48, s75
; %bb.357:                              ;   in Loop: Header=BB176_3 Depth=1
	ds_store_b128 v61, v[18:21]
; %bb.358:                              ;   in Loop: Header=BB176_3 Depth=1
	s_or_b32 exec_lo, exec_lo, s48
	s_wait_dscnt 0x0
	s_barrier_signal -1
	s_barrier_wait -1
	s_and_saveexec_b32 s48, s76
	s_cbranch_execz .LBB176_360
; %bb.359:                              ;   in Loop: Header=BB176_3 Depth=1
	ds_load_b128 v[204:207], v61
	ds_load_b128 v[208:211], v59 offset:13184
	s_wait_dscnt 0x0
	v_mul_f64_e32 v[4:5], v[206:207], v[210:211]
	v_mul_f64_e32 v[44:45], v[204:205], v[210:211]
	s_delay_alu instid0(VALU_DEP_2) | instskip(NEXT) | instid1(VALU_DEP_2)
	v_fma_f64 v[4:5], v[204:205], v[208:209], -v[4:5]
	v_fmac_f64_e32 v[44:45], v[206:207], v[208:209]
	s_delay_alu instid0(VALU_DEP_2) | instskip(NEXT) | instid1(VALU_DEP_2)
	v_add_f64_e32 v[18:19], v[18:19], v[4:5]
	v_add_f64_e32 v[20:21], v[20:21], v[44:45]
.LBB176_360:                            ;   in Loop: Header=BB176_3 Depth=1
	s_or_b32 exec_lo, exec_lo, s48
	s_barrier_signal -1
	s_barrier_wait -1
	;; [unrolled: 26-line block ×7, first 2 shown]
	s_and_saveexec_b32 s48, s86
; %bb.381:                              ;   in Loop: Header=BB176_3 Depth=1
	ds_store_b128 v61, v[18:21]
; %bb.382:                              ;   in Loop: Header=BB176_3 Depth=1
	s_or_b32 exec_lo, exec_lo, s48
	s_wait_dscnt 0x0
	s_barrier_signal -1
	s_barrier_wait -1
	s_barrier_signal -1
	s_barrier_wait -1
	s_and_saveexec_b32 s48, s4
; %bb.383:                              ;   in Loop: Header=BB176_3 Depth=1
	v_xor_b32_e32 v19, 0x80000000, v19
	v_xor_b32_e32 v21, 0x80000000, v21
	ds_store_b128 v62, v[18:21] offset:8576
; %bb.384:                              ;   in Loop: Header=BB176_3 Depth=1
	s_or_b32 exec_lo, exec_lo, s48
	s_wait_dscnt 0x0
	s_barrier_signal -1
	s_barrier_wait -1
	s_barrier_signal -1
	s_barrier_wait -1
	s_and_saveexec_b32 s48, s87
	s_cbranch_execz .LBB176_386
; %bb.385:                              ;   in Loop: Header=BB176_3 Depth=1
	ds_load_b128 v[18:21], v76
	s_wait_dscnt 0x0
	ds_store_b128 v185, v[18:21]
	ds_load_b128 v[18:21], v77
	s_wait_dscnt 0x0
	ds_store_b128 v186, v[18:21]
	;; [unrolled: 3-line block ×8, first 2 shown]
.LBB176_386:                            ;   in Loop: Header=BB176_3 Depth=1
	s_or_b32 exec_lo, exec_lo, s48
	s_wait_dscnt 0x0
	s_barrier_signal -1
	s_barrier_wait -1
	s_and_saveexec_b32 s98, s27
	s_cbranch_execz .LBB176_388
; %bb.387:                              ;   in Loop: Header=BB176_3 Depth=1
	s_mov_b32 s48, s35
	s_mov_b32 s50, s35
	;; [unrolled: 1-line block ×3, first 2 shown]
	v_mov_b64_e32 v[18:19], s[48:49]
	v_mov_b64_e32 v[20:21], s[50:51]
	ds_store_b128 v2, v[18:21] offset:12672
	ds_store_b128 v2, v[18:21] offset:13200
	ds_load_b128 v[18:21], v2 offset:12688
	s_wait_dscnt 0x0
	ds_store_b128 v2, v[18:21] offset:13184
.LBB176_388:                            ;   in Loop: Header=BB176_3 Depth=1
	s_or_b32 exec_lo, exec_lo, s98
	v_mov_b64_e32 v[20:21], 0
	v_mov_b64_e32 v[18:19], 0
	s_wait_dscnt 0x0
	s_barrier_signal -1
	s_barrier_wait -1
	s_and_saveexec_b32 s48, s1
	s_cbranch_execz .LBB176_392
; %bb.389:                              ;   in Loop: Header=BB176_3 Depth=1
	ds_load_b128 v[18:21], v47 offset:12672
	ds_load_b128 v[204:207], v46 offset:12704
	s_wait_dscnt 0x0
	v_mul_f64_e32 v[4:5], v[20:21], v[206:207]
	v_mul_f64_e32 v[44:45], v[18:19], v[206:207]
	s_delay_alu instid0(VALU_DEP_2) | instskip(NEXT) | instid1(VALU_DEP_2)
	v_fma_f64 v[4:5], v[18:19], v[204:205], -v[4:5]
	v_fmac_f64_e32 v[44:45], v[20:21], v[204:205]
	s_delay_alu instid0(VALU_DEP_2) | instskip(NEXT) | instid1(VALU_DEP_2)
	v_add_f64_e32 v[18:19], 0, v[4:5]
	v_add_f64_e32 v[20:21], 0, v[44:45]
	s_and_saveexec_b32 s50, s8
	s_cbranch_execz .LBB176_391
; %bb.390:                              ;   in Loop: Header=BB176_3 Depth=1
	ds_load_b128 v[204:207], v2 offset:12688
	ds_load_b128 v[208:211], v53 offset:13216
	s_wait_dscnt 0x0
	v_mul_f64_e32 v[4:5], v[206:207], v[210:211]
	v_mul_f64_e32 v[44:45], v[204:205], v[210:211]
	s_delay_alu instid0(VALU_DEP_2) | instskip(NEXT) | instid1(VALU_DEP_2)
	v_fma_f64 v[4:5], v[204:205], v[208:209], -v[4:5]
	v_fmac_f64_e32 v[44:45], v[206:207], v[208:209]
	s_delay_alu instid0(VALU_DEP_2) | instskip(NEXT) | instid1(VALU_DEP_2)
	v_add_f64_e32 v[18:19], v[18:19], v[4:5]
	v_add_f64_e32 v[20:21], v[20:21], v[44:45]
.LBB176_391:                            ;   in Loop: Header=BB176_3 Depth=1
	s_or_b32 exec_lo, exec_lo, s50
	s_delay_alu instid0(VALU_DEP_2) | instskip(NEXT) | instid1(VALU_DEP_2)
	v_xor_b32_e32 v19, 0x80000000, v19
	v_xor_b32_e32 v21, 0x80000000, v21
.LBB176_392:                            ;   in Loop: Header=BB176_3 Depth=1
	s_or_b32 exec_lo, exec_lo, s48
	s_and_saveexec_b32 s48, s63
; %bb.393:                              ;   in Loop: Header=BB176_3 Depth=1
	ds_store_b128 v23, v[18:21]
; %bb.394:                              ;   in Loop: Header=BB176_3 Depth=1
	s_or_b32 exec_lo, exec_lo, s48
	s_wait_dscnt 0x0
	s_barrier_signal -1
	s_barrier_wait -1
	s_and_saveexec_b32 s48, s64
	s_cbranch_execz .LBB176_396
; %bb.395:                              ;   in Loop: Header=BB176_3 Depth=1
	ds_load_b128 v[204:207], v23
	ds_load_b128 v[208:211], v2 offset:13744
	s_wait_dscnt 0x0
	v_mul_f64_e32 v[4:5], v[206:207], v[210:211]
	v_mul_f64_e32 v[44:45], v[204:205], v[210:211]
	s_delay_alu instid0(VALU_DEP_2) | instskip(NEXT) | instid1(VALU_DEP_2)
	v_fma_f64 v[4:5], v[204:205], v[208:209], -v[4:5]
	v_fmac_f64_e32 v[44:45], v[206:207], v[208:209]
	s_delay_alu instid0(VALU_DEP_2) | instskip(NEXT) | instid1(VALU_DEP_2)
	v_add_f64_e32 v[18:19], v[18:19], v[4:5]
	v_add_f64_e32 v[20:21], v[20:21], v[44:45]
.LBB176_396:                            ;   in Loop: Header=BB176_3 Depth=1
	s_or_b32 exec_lo, exec_lo, s48
	s_barrier_signal -1
	s_barrier_wait -1
	s_and_saveexec_b32 s48, s64
; %bb.397:                              ;   in Loop: Header=BB176_3 Depth=1
	ds_store_b128 v23, v[18:21]
; %bb.398:                              ;   in Loop: Header=BB176_3 Depth=1
	s_or_b32 exec_lo, exec_lo, s48
	s_wait_dscnt 0x0
	s_barrier_signal -1
	s_barrier_wait -1
	s_barrier_signal -1
	s_barrier_wait -1
	s_and_saveexec_b32 s48, s1
; %bb.399:                              ;   in Loop: Header=BB176_3 Depth=1
	v_xor_b32_e32 v19, 0x80000000, v19
	v_xor_b32_e32 v21, 0x80000000, v21
	ds_store_b128 v46, v[18:21] offset:12704
; %bb.400:                              ;   in Loop: Header=BB176_3 Depth=1
	s_or_b32 exec_lo, exec_lo, s48
	s_wait_dscnt 0x0
	s_barrier_signal -1
	s_barrier_wait -1
	s_barrier_signal -1
	s_barrier_wait -1
	s_and_saveexec_b32 s48, s65
	s_cbranch_execz .LBB176_402
; %bb.401:                              ;   in Loop: Header=BB176_3 Depth=1
	ds_load_b128 v[18:21], v93
	s_wait_dscnt 0x0
	ds_store_b128 v193, v[18:21]
	ds_load_b128 v[18:21], v94
	s_wait_dscnt 0x0
	ds_store_b128 v194, v[18:21]
.LBB176_402:                            ;   in Loop: Header=BB176_3 Depth=1
	s_or_b32 exec_lo, exec_lo, s48
	s_wait_dscnt 0x0
	s_barrier_signal -1
	s_barrier_wait -1
	s_and_saveexec_b32 s98, s27
	s_cbranch_execz .LBB176_404
; %bb.403:                              ;   in Loop: Header=BB176_3 Depth=1
	s_mov_b32 s48, s35
	s_mov_b32 s50, s35
	;; [unrolled: 1-line block ×3, first 2 shown]
	v_mov_b64_e32 v[18:19], s[48:49]
	v_mov_b64_e32 v[20:21], s[50:51]
	ds_store_b128 v2, v[18:21] offset:13728
	ds_store_b128 v2, v[18:21] offset:14256
	ds_load_b128 v[18:21], v2 offset:13744
	s_wait_dscnt 0x0
	ds_store_b128 v2, v[18:21] offset:14240
.LBB176_404:                            ;   in Loop: Header=BB176_3 Depth=1
	s_or_b32 exec_lo, exec_lo, s98
	v_mov_b64_e32 v[20:21], 0
	v_mov_b64_e32 v[18:19], 0
	s_wait_dscnt 0x0
	s_barrier_signal -1
	s_barrier_wait -1
	s_and_saveexec_b32 s48, s3
	s_cbranch_execz .LBB176_410
; %bb.405:                              ;   in Loop: Header=BB176_3 Depth=1
	ds_load_b128 v[18:21], v49 offset:12672
	ds_load_b128 v[204:207], v55 offset:12736
	s_wait_dscnt 0x0
	v_mul_f64_e32 v[4:5], v[20:21], v[206:207]
	v_mul_f64_e32 v[44:45], v[18:19], v[206:207]
	s_delay_alu instid0(VALU_DEP_2) | instskip(NEXT) | instid1(VALU_DEP_2)
	v_fma_f64 v[4:5], v[18:19], v[204:205], -v[4:5]
	v_fmac_f64_e32 v[44:45], v[20:21], v[204:205]
	s_delay_alu instid0(VALU_DEP_2) | instskip(NEXT) | instid1(VALU_DEP_2)
	v_add_f64_e32 v[18:19], 0, v[4:5]
	v_add_f64_e32 v[20:21], 0, v[44:45]
	s_and_saveexec_b32 s50, s9
	s_cbranch_execnz .LBB176_540
; %bb.406:                              ;   in Loop: Header=BB176_3 Depth=1
	s_or_b32 exec_lo, exec_lo, s50
	s_and_saveexec_b32 s50, s10
	s_cbranch_execnz .LBB176_541
.LBB176_407:                            ;   in Loop: Header=BB176_3 Depth=1
	s_or_b32 exec_lo, exec_lo, s50
	s_and_saveexec_b32 s50, s1
	s_cbranch_execz .LBB176_409
.LBB176_408:                            ;   in Loop: Header=BB176_3 Depth=1
	ds_load_b128 v[204:207], v2 offset:12720
	ds_load_b128 v[208:211], v86 offset:14272
	s_wait_dscnt 0x0
	v_mul_f64_e32 v[4:5], v[206:207], v[210:211]
	v_mul_f64_e32 v[44:45], v[204:205], v[210:211]
	s_delay_alu instid0(VALU_DEP_2) | instskip(NEXT) | instid1(VALU_DEP_2)
	v_fma_f64 v[4:5], v[204:205], v[208:209], -v[4:5]
	v_fmac_f64_e32 v[44:45], v[206:207], v[208:209]
	s_delay_alu instid0(VALU_DEP_2) | instskip(NEXT) | instid1(VALU_DEP_2)
	v_add_f64_e32 v[18:19], v[18:19], v[4:5]
	v_add_f64_e32 v[20:21], v[20:21], v[44:45]
.LBB176_409:                            ;   in Loop: Header=BB176_3 Depth=1
	s_or_b32 exec_lo, exec_lo, s50
	s_delay_alu instid0(VALU_DEP_2) | instskip(NEXT) | instid1(VALU_DEP_2)
	v_xor_b32_e32 v19, 0x80000000, v19
	v_xor_b32_e32 v21, 0x80000000, v21
.LBB176_410:                            ;   in Loop: Header=BB176_3 Depth=1
	s_or_b32 exec_lo, exec_lo, s48
	s_and_saveexec_b32 s48, s66
; %bb.411:                              ;   in Loop: Header=BB176_3 Depth=1
	ds_store_b128 v54, v[18:21]
; %bb.412:                              ;   in Loop: Header=BB176_3 Depth=1
	s_or_b32 exec_lo, exec_lo, s48
	s_wait_dscnt 0x0
	s_barrier_signal -1
	s_barrier_wait -1
	s_and_saveexec_b32 s48, s67
	s_cbranch_execz .LBB176_414
; %bb.413:                              ;   in Loop: Header=BB176_3 Depth=1
	ds_load_b128 v[204:207], v54
	ds_load_b128 v[208:211], v52 offset:14784
	s_wait_dscnt 0x0
	v_mul_f64_e32 v[4:5], v[206:207], v[210:211]
	v_mul_f64_e32 v[44:45], v[204:205], v[210:211]
	s_delay_alu instid0(VALU_DEP_2) | instskip(NEXT) | instid1(VALU_DEP_2)
	v_fma_f64 v[4:5], v[204:205], v[208:209], -v[4:5]
	v_fmac_f64_e32 v[44:45], v[206:207], v[208:209]
	s_delay_alu instid0(VALU_DEP_2) | instskip(NEXT) | instid1(VALU_DEP_2)
	v_add_f64_e32 v[18:19], v[18:19], v[4:5]
	v_add_f64_e32 v[20:21], v[20:21], v[44:45]
.LBB176_414:                            ;   in Loop: Header=BB176_3 Depth=1
	s_or_b32 exec_lo, exec_lo, s48
	s_barrier_signal -1
	s_barrier_wait -1
	s_and_saveexec_b32 s48, s68
; %bb.415:                              ;   in Loop: Header=BB176_3 Depth=1
	ds_store_b128 v54, v[18:21]
; %bb.416:                              ;   in Loop: Header=BB176_3 Depth=1
	s_or_b32 exec_lo, exec_lo, s48
	s_wait_dscnt 0x0
	s_barrier_signal -1
	s_barrier_wait -1
	s_and_saveexec_b32 s48, s69
	s_cbranch_execz .LBB176_418
; %bb.417:                              ;   in Loop: Header=BB176_3 Depth=1
	ds_load_b128 v[204:207], v54
	ds_load_b128 v[208:211], v52 offset:15296
	s_wait_dscnt 0x0
	v_mul_f64_e32 v[4:5], v[206:207], v[210:211]
	v_mul_f64_e32 v[44:45], v[204:205], v[210:211]
	s_delay_alu instid0(VALU_DEP_2) | instskip(NEXT) | instid1(VALU_DEP_2)
	v_fma_f64 v[4:5], v[204:205], v[208:209], -v[4:5]
	v_fmac_f64_e32 v[44:45], v[206:207], v[208:209]
	s_delay_alu instid0(VALU_DEP_2) | instskip(NEXT) | instid1(VALU_DEP_2)
	v_add_f64_e32 v[18:19], v[18:19], v[4:5]
	v_add_f64_e32 v[20:21], v[20:21], v[44:45]
.LBB176_418:                            ;   in Loop: Header=BB176_3 Depth=1
	s_or_b32 exec_lo, exec_lo, s48
	s_barrier_signal -1
	s_barrier_wait -1
	;; [unrolled: 26-line block ×3, first 2 shown]
	s_and_saveexec_b32 s48, s71
; %bb.423:                              ;   in Loop: Header=BB176_3 Depth=1
	ds_store_b128 v54, v[18:21]
; %bb.424:                              ;   in Loop: Header=BB176_3 Depth=1
	s_or_b32 exec_lo, exec_lo, s48
	s_wait_dscnt 0x0
	s_barrier_signal -1
	s_barrier_wait -1
	s_barrier_signal -1
	s_barrier_wait -1
	s_and_saveexec_b32 s48, s3
; %bb.425:                              ;   in Loop: Header=BB176_3 Depth=1
	v_xor_b32_e32 v21, 0x80000000, v21
	v_xor_b32_e32 v19, 0x80000000, v19
	ds_store_b128 v55, v[18:21] offset:12736
; %bb.426:                              ;   in Loop: Header=BB176_3 Depth=1
	s_or_b32 exec_lo, exec_lo, s48
	s_wait_dscnt 0x0
	s_barrier_signal -1
	s_barrier_wait -1
	s_barrier_signal -1
	s_barrier_wait -1
	s_and_saveexec_b32 s48, s72
	s_cbranch_execz .LBB176_428
; %bb.427:                              ;   in Loop: Header=BB176_3 Depth=1
	ds_load_b128 v[18:21], v104
	s_wait_dscnt 0x0
	ds_store_b128 v195, v[18:21]
	ds_load_b128 v[18:21], v107
	s_wait_dscnt 0x0
	ds_store_b128 v198, v[18:21]
	;; [unrolled: 3-line block ×4, first 2 shown]
.LBB176_428:                            ;   in Loop: Header=BB176_3 Depth=1
	s_or_b32 exec_lo, exec_lo, s48
	s_wait_dscnt 0x0
	s_barrier_signal -1
	s_barrier_wait -1
	s_and_saveexec_b32 s98, s27
	s_cbranch_execz .LBB176_430
; %bb.429:                              ;   in Loop: Header=BB176_3 Depth=1
	s_mov_b32 s48, s35
	s_mov_b32 s50, s35
	;; [unrolled: 1-line block ×3, first 2 shown]
	v_mov_b64_e32 v[18:19], s[48:49]
	v_mov_b64_e32 v[20:21], s[50:51]
	ds_store_b128 v2, v[18:21] offset:14784
	ds_store_b128 v2, v[18:21] offset:15312
	ds_load_b128 v[18:21], v2 offset:14800
	s_wait_dscnt 0x0
	ds_store_b128 v2, v[18:21] offset:15296
.LBB176_430:                            ;   in Loop: Header=BB176_3 Depth=1
	s_or_b32 exec_lo, exec_lo, s98
	v_mov_b64_e32 v[20:21], 0
	v_mov_b64_e32 v[18:19], 0
	s_wait_dscnt 0x0
	s_barrier_signal -1
	s_barrier_wait -1
	s_and_saveexec_b32 s48, s1
	s_cbranch_execz .LBB176_434
; %bb.431:                              ;   in Loop: Header=BB176_3 Depth=1
	ds_load_b128 v[18:21], v47 offset:14784
	ds_load_b128 v[204:207], v46 offset:14816
	s_wait_dscnt 0x0
	v_mul_f64_e32 v[4:5], v[20:21], v[206:207]
	v_mul_f64_e32 v[44:45], v[18:19], v[206:207]
	s_delay_alu instid0(VALU_DEP_2) | instskip(NEXT) | instid1(VALU_DEP_2)
	v_fma_f64 v[4:5], v[18:19], v[204:205], -v[4:5]
	v_fmac_f64_e32 v[44:45], v[20:21], v[204:205]
	s_delay_alu instid0(VALU_DEP_2) | instskip(NEXT) | instid1(VALU_DEP_2)
	v_add_f64_e32 v[18:19], 0, v[4:5]
	v_add_f64_e32 v[20:21], 0, v[44:45]
	s_and_saveexec_b32 s50, s8
	s_cbranch_execz .LBB176_433
; %bb.432:                              ;   in Loop: Header=BB176_3 Depth=1
	ds_load_b128 v[204:207], v2 offset:14800
	ds_load_b128 v[208:211], v97 offset:15328
	s_wait_dscnt 0x0
	v_mul_f64_e32 v[4:5], v[206:207], v[210:211]
	v_mul_f64_e32 v[44:45], v[204:205], v[210:211]
	s_delay_alu instid0(VALU_DEP_2) | instskip(NEXT) | instid1(VALU_DEP_2)
	v_fma_f64 v[4:5], v[204:205], v[208:209], -v[4:5]
	v_fmac_f64_e32 v[44:45], v[206:207], v[208:209]
	s_delay_alu instid0(VALU_DEP_2) | instskip(NEXT) | instid1(VALU_DEP_2)
	v_add_f64_e32 v[18:19], v[18:19], v[4:5]
	v_add_f64_e32 v[20:21], v[20:21], v[44:45]
.LBB176_433:                            ;   in Loop: Header=BB176_3 Depth=1
	s_or_b32 exec_lo, exec_lo, s50
	s_delay_alu instid0(VALU_DEP_2) | instskip(NEXT) | instid1(VALU_DEP_2)
	v_xor_b32_e32 v19, 0x80000000, v19
	v_xor_b32_e32 v21, 0x80000000, v21
.LBB176_434:                            ;   in Loop: Header=BB176_3 Depth=1
	s_or_b32 exec_lo, exec_lo, s48
	s_and_saveexec_b32 s48, s63
; %bb.435:                              ;   in Loop: Header=BB176_3 Depth=1
	ds_store_b128 v23, v[18:21]
; %bb.436:                              ;   in Loop: Header=BB176_3 Depth=1
	s_or_b32 exec_lo, exec_lo, s48
	s_wait_dscnt 0x0
	s_barrier_signal -1
	s_barrier_wait -1
	s_and_saveexec_b32 s48, s64
	s_cbranch_execz .LBB176_438
; %bb.437:                              ;   in Loop: Header=BB176_3 Depth=1
	ds_load_b128 v[204:207], v23
	ds_load_b128 v[208:211], v2 offset:15856
	s_wait_dscnt 0x0
	v_mul_f64_e32 v[4:5], v[206:207], v[210:211]
	v_mul_f64_e32 v[44:45], v[204:205], v[210:211]
	s_delay_alu instid0(VALU_DEP_2) | instskip(NEXT) | instid1(VALU_DEP_2)
	v_fma_f64 v[4:5], v[204:205], v[208:209], -v[4:5]
	v_fmac_f64_e32 v[44:45], v[206:207], v[208:209]
	s_delay_alu instid0(VALU_DEP_2) | instskip(NEXT) | instid1(VALU_DEP_2)
	v_add_f64_e32 v[18:19], v[18:19], v[4:5]
	v_add_f64_e32 v[20:21], v[20:21], v[44:45]
.LBB176_438:                            ;   in Loop: Header=BB176_3 Depth=1
	s_or_b32 exec_lo, exec_lo, s48
	s_barrier_signal -1
	s_barrier_wait -1
	s_and_saveexec_b32 s48, s64
; %bb.439:                              ;   in Loop: Header=BB176_3 Depth=1
	ds_store_b128 v23, v[18:21]
; %bb.440:                              ;   in Loop: Header=BB176_3 Depth=1
	s_or_b32 exec_lo, exec_lo, s48
	s_wait_dscnt 0x0
	s_barrier_signal -1
	s_barrier_wait -1
	s_barrier_signal -1
	s_barrier_wait -1
	s_and_saveexec_b32 s48, s1
; %bb.441:                              ;   in Loop: Header=BB176_3 Depth=1
	v_xor_b32_e32 v19, 0x80000000, v19
	v_xor_b32_e32 v21, 0x80000000, v21
	ds_store_b128 v46, v[18:21] offset:14816
; %bb.442:                              ;   in Loop: Header=BB176_3 Depth=1
	s_or_b32 exec_lo, exec_lo, s48
	s_wait_dscnt 0x0
	s_barrier_signal -1
	s_barrier_wait -1
	s_barrier_signal -1
	s_barrier_wait -1
	s_and_saveexec_b32 s48, s65
	s_cbranch_execz .LBB176_444
; %bb.443:                              ;   in Loop: Header=BB176_3 Depth=1
	ds_load_b128 v[18:21], v110
	s_wait_dscnt 0x0
	ds_store_b128 v114, v[18:21]
	ds_load_b128 v[18:21], v111
	s_wait_dscnt 0x0
	ds_store_b128 v115, v[18:21]
.LBB176_444:                            ;   in Loop: Header=BB176_3 Depth=1
	s_or_b32 exec_lo, exec_lo, s48
	s_wait_dscnt 0x0
	s_barrier_signal -1
	s_barrier_wait -1
	s_and_saveexec_b32 s98, s27
	s_cbranch_execz .LBB176_446
; %bb.445:                              ;   in Loop: Header=BB176_3 Depth=1
	s_mov_b32 s48, s35
	s_mov_b32 s50, s35
	;; [unrolled: 1-line block ×3, first 2 shown]
	v_mov_b64_e32 v[18:19], s[48:49]
	v_mov_b64_e32 v[20:21], s[50:51]
	ds_store_b128 v2, v[18:21] offset:15840
	ds_store_b128 v2, v[18:21] offset:16368
	ds_load_b128 v[18:21], v2 offset:15856
	s_wait_dscnt 0x0
	ds_store_b128 v2, v[18:21] offset:16352
.LBB176_446:                            ;   in Loop: Header=BB176_3 Depth=1
	s_or_b32 exec_lo, exec_lo, s98
.LBB176_447:                            ;   in Loop: Header=BB176_3 Depth=1
	v_mov_b64_e32 v[18:19], 0
	v_add_nc_u64_e32 v[42:43], s[40:41], v[42:43]
	s_wait_dscnt 0x0
	s_barrier_signal -1
	s_barrier_wait -1
	s_delay_alu instid0(VALU_DEP_2)
	v_mov_b64_e32 v[20:21], v[18:19]
	s_wait_xcnt 0x0
	s_and_saveexec_b32 s48, s93
	s_cbranch_execz .LBB176_449
; %bb.448:                              ;   in Loop: Header=BB176_3 Depth=1
	v_lshl_add_u64 v[4:5], v[30:31], 4, v[42:43]
	flat_load_b128 v[204:207], v[4:5]
	s_wait_loadcnt_dscnt 0x0
	v_mul_f64_e32 v[4:5], v[14:15], v[204:205]
	s_delay_alu instid0(VALU_DEP_1) | instskip(SKIP_1) | instid1(VALU_DEP_1)
	v_fma_f64 v[18:19], v[16:17], v[206:207], -v[4:5]
	v_mul_f64_e32 v[4:5], v[14:15], v[206:207]
	v_fma_f64 v[20:21], v[204:205], -v[16:17], -v[4:5]
.LBB176_449:                            ;   in Loop: Header=BB176_3 Depth=1
	s_or_b32 exec_lo, exec_lo, s48
	s_delay_alu instid0(SALU_CYCLE_1)
	s_and_not1_b32 vcc_lo, exec_lo, s94
	s_cbranch_vccnz .LBB176_472
; %bb.450:                              ;   in Loop: Header=BB176_3 Depth=1
	v_mov_b32_e32 v39, -1
	s_lshl_b64 s[50:51], s[34:35], 2
	s_mov_b32 s48, 0
	s_add_nc_u64 s[50:51], s[54:55], s[50:51]
	s_branch .LBB176_453
.LBB176_451:                            ;   in Loop: Header=BB176_453 Depth=2
	ds_load_b128 v[204:207], v133 offset:256
	s_wait_loadcnt_dscnt 0x0
	v_mul_f64_e32 v[4:5], v[16:17], v[206:207]
	s_delay_alu instid0(VALU_DEP_1) | instskip(SKIP_1) | instid1(VALU_DEP_2)
	v_fma_f64 v[4:5], v[14:15], v[204:205], -v[4:5]
	v_mul_f64_e32 v[14:15], v[14:15], v[206:207]
	v_add_f64_e32 v[18:19], v[18:19], v[4:5]
	s_delay_alu instid0(VALU_DEP_2) | instskip(NEXT) | instid1(VALU_DEP_1)
	v_fmac_f64_e32 v[14:15], v[16:17], v[204:205]
	v_add_f64_e32 v[20:21], v[20:21], v[14:15]
.LBB176_452:                            ;   in Loop: Header=BB176_453 Depth=2
	s_or_b32 exec_lo, exec_lo, s98
	s_add_co_i32 s48, s48, 1
	s_delay_alu instid0(SALU_CYCLE_1)
	s_cmp_eq_u32 s48, s58
	s_cbranch_scc1 .LBB176_472
.LBB176_453:                            ;   Parent Loop BB176_3 Depth=1
                                        ; =>  This Loop Header: Depth=2
                                        ;       Child Loop BB176_455 Depth 3
	v_cmp_gt_i32_e32 vcc_lo, s48, v39
	s_and_b32 s99, s30, vcc_lo
	s_delay_alu instid0(SALU_CYCLE_1)
	s_and_saveexec_b32 s98, s99
	s_cbranch_execz .LBB176_456
; %bb.454:                              ;   in Loop: Header=BB176_453 Depth=2
	global_load_b32 v39, v2, s[50:51]
	s_wait_loadcnt 0x0
	v_cmp_le_i32_e32 vcc_lo, s48, v39
	s_cbranch_vccnz .LBB176_456
.LBB176_455:                            ;   Parent Loop BB176_3 Depth=1
                                        ;     Parent Loop BB176_453 Depth=2
                                        ; =>    This Inner Loop Header: Depth=3
	global_wb scope:SCOPE_DEV
	s_wait_storecnt 0x0
	global_inv scope:SCOPE_DEV
	global_load_b32 v39, v2, s[50:51]
	s_wait_loadcnt 0x0
	v_cmp_gt_i32_e32 vcc_lo, s48, v39
	s_cbranch_vccnz .LBB176_455
.LBB176_456:                            ;   in Loop: Header=BB176_453 Depth=2
	s_or_b32 exec_lo, exec_lo, s98
	s_sub_co_i32 s98, s59, s48
	global_wb scope:SCOPE_DEV
	s_wait_storecnt 0x0
	global_inv scope:SCOPE_DEV
	s_lshl_b32 s99, s98, 5
	s_wait_loadcnt 0x0
	s_barrier_signal -1
	s_barrier_wait -1
	s_and_saveexec_b32 s100, s31
	s_cbranch_execz .LBB176_461
; %bb.457:                              ;   in Loop: Header=BB176_453 Depth=2
	s_ashr_i32 vcc_lo, s99, 31
	s_delay_alu instid0(SALU_CYCLE_1) | instskip(NEXT) | instid1(VALU_DEP_1)
	v_dual_mov_b32 v5, vcc_lo :: v_dual_bitop2_b32 v4, s99, v26 bitop3:0x54
	v_cmp_le_i64_e32 vcc_lo, s[52:53], v[4:5]
	s_and_saveexec_b32 s101, vcc_lo
	s_delay_alu instid0(SALU_CYCLE_1)
	s_xor_b32 vcc_lo, exec_lo, s101
; %bb.458:                              ;   in Loop: Header=BB176_453 Depth=2
	v_dual_mov_b32 v3, v2 :: v_dual_mov_b32 v4, v2
	v_mov_b32_e32 v5, v2
	ds_store_b128 v199, v[2:5]
                                        ; implicit-def: $vgpr4_vgpr5
; %bb.459:                              ;   in Loop: Header=BB176_453 Depth=2
	s_and_not1_saveexec_b32 s101, vcc_lo
	s_cbranch_execz .LBB176_461
; %bb.460:                              ;   in Loop: Header=BB176_453 Depth=2
	v_mul_u64_e32 v[4:5], s[42:43], v[4:5]
	s_delay_alu instid0(VALU_DEP_1)
	v_lshl_add_u64 v[4:5], v[4:5], 4, v[42:43]
	flat_load_b128 v[14:17], v[4:5]
	s_wait_loadcnt_dscnt 0x0
	ds_store_2addr_b64 v199, v[14:15], v[16:17] offset1:1
.LBB176_461:                            ;   in Loop: Header=BB176_453 Depth=2
	s_or_b32 exec_lo, exec_lo, s100
	v_add_nc_u32_e32 v14, s99, v24
	s_cmp_lg_u32 s98, s95
	s_wait_dscnt 0x0
	s_cselect_b32 s99, -1, 0
	s_barrier_signal -1
	v_ashrrev_i32_e32 v15, 31, v14
	v_cmp_gt_i32_e32 vcc_lo, s52, v14
	v_cndmask_b32_e64 v3, 0, 1, s99
	s_barrier_wait -1
	s_delay_alu instid0(VALU_DEP_3) | instskip(SKIP_1) | instid1(SALU_CYCLE_1)
	v_lshl_add_u64 v[4:5], v[14:15], 4, v[40:41]
	s_and_b32 s100, vcc_lo, s0
	s_and_saveexec_b32 s98, s100
	s_cbranch_execz .LBB176_467
; %bb.462:                              ;   in Loop: Header=BB176_453 Depth=2
	v_mov_b64_e32 v[16:17], v[6:7]
	s_and_not1_b32 vcc_lo, exec_lo, s99
	s_cbranch_vccnz .LBB176_464
; %bb.463:                              ;   in Loop: Header=BB176_453 Depth=2
	flat_load_b64 v[16:17], v[4:5]
.LBB176_464:                            ;   in Loop: Header=BB176_453 Depth=2
	v_cmp_ne_u32_e32 vcc_lo, 1, v3
	v_mov_b64_e32 v[44:45], v[8:9]
	s_cbranch_vccnz .LBB176_466
; %bb.465:                              ;   in Loop: Header=BB176_453 Depth=2
	flat_load_b64 v[44:45], v[4:5] offset:8
.LBB176_466:                            ;   in Loop: Header=BB176_453 Depth=2
	ds_load_b128 v[204:207], v133
	s_wait_loadcnt_dscnt 0x0
	v_mul_f64_e32 v[208:209], v[44:45], v[206:207]
	s_delay_alu instid0(VALU_DEP_1) | instskip(SKIP_1) | instid1(VALU_DEP_2)
	v_fma_f64 v[208:209], v[16:17], v[204:205], -v[208:209]
	v_mul_f64_e32 v[16:17], v[16:17], v[206:207]
	v_add_f64_e32 v[18:19], v[18:19], v[208:209]
	s_delay_alu instid0(VALU_DEP_2) | instskip(NEXT) | instid1(VALU_DEP_1)
	v_fmac_f64_e32 v[16:17], v[44:45], v[204:205]
	v_add_f64_e32 v[20:21], v[20:21], v[16:17]
.LBB176_467:                            ;   in Loop: Header=BB176_453 Depth=2
	s_or_b32 exec_lo, exec_lo, s98
	v_add_nc_u32_e32 v14, 16, v14
	s_delay_alu instid0(VALU_DEP_1) | instskip(SKIP_1) | instid1(SALU_CYCLE_1)
	v_cmp_gt_i32_e32 vcc_lo, s52, v14
	s_and_b32 s99, vcc_lo, s0
	s_and_saveexec_b32 s98, s99
	s_cbranch_execz .LBB176_452
; %bb.468:                              ;   in Loop: Header=BB176_453 Depth=2
	v_cmp_ne_u32_e32 vcc_lo, 1, v3
	v_mov_b64_e32 v[14:15], v[10:11]
	s_cbranch_vccnz .LBB176_470
; %bb.469:                              ;   in Loop: Header=BB176_453 Depth=2
	flat_load_b64 v[14:15], v[4:5] offset:256
.LBB176_470:                            ;   in Loop: Header=BB176_453 Depth=2
	v_cmp_ne_u32_e32 vcc_lo, 1, v3
	v_mov_b64_e32 v[16:17], v[12:13]
	s_cbranch_vccnz .LBB176_451
; %bb.471:                              ;   in Loop: Header=BB176_453 Depth=2
	flat_load_b64 v[16:17], v[4:5] offset:264
	s_branch .LBB176_451
.LBB176_472:                            ;   in Loop: Header=BB176_3 Depth=1
	ds_store_b128 v200, v[18:21]
	s_wait_dscnt 0x0
	s_barrier_signal -1
	s_barrier_wait -1
	s_and_saveexec_b32 s48, s2
	s_cbranch_execz .LBB176_474
; %bb.473:                              ;   in Loop: Header=BB176_3 Depth=1
	ds_load_b128 v[14:17], v201 offset:512
	s_wait_dscnt 0x0
	v_add_f64_e32 v[4:5], v[18:19], v[14:15]
	v_add_f64_e32 v[18:19], v[20:21], v[16:17]
	ds_load_b128 v[14:17], v201 offset:1024
	s_wait_dscnt 0x0
	v_add_f64_e32 v[4:5], v[4:5], v[14:15]
	v_add_f64_e32 v[18:19], v[18:19], v[16:17]
	;; [unrolled: 4-line block ×15, first 2 shown]
	s_delay_alu instid0(VALU_DEP_2) | instskip(NEXT) | instid1(VALU_DEP_2)
	v_xor_b32_e32 v3, 0x80000000, v5
	v_xor_b32_e32 v5, 0x80000000, v15
	s_delay_alu instid0(VALU_DEP_4) | instskip(NEXT) | instid1(VALU_DEP_4)
	v_cndmask_b32_e64 v18, v4, 0, s92
	v_cndmask_b32_e64 v20, v14, 0, s92
	s_delay_alu instid0(VALU_DEP_4) | instskip(NEXT) | instid1(VALU_DEP_4)
	v_cndmask_b32_e64 v19, v3, 0, s92
	v_cndmask_b32_e64 v21, v5, 0, s92
.LBB176_474:                            ;   in Loop: Header=BB176_3 Depth=1
	s_or_b32 exec_lo, exec_lo, s48
	s_delay_alu instid0(SALU_CYCLE_1)
	s_and_not1_b32 vcc_lo, exec_lo, s62
	s_cbranch_vccnz .LBB176_483
; %bb.475:                              ;   in Loop: Header=BB176_3 Depth=1
	s_and_saveexec_b32 s48, s2
; %bb.476:                              ;   in Loop: Header=BB176_3 Depth=1
	ds_store_b128 v202, v[18:21]
; %bb.477:                              ;   in Loop: Header=BB176_3 Depth=1
	s_or_b32 exec_lo, exec_lo, s48
	v_mov_b64_e32 v[14:15], 0
	v_mov_b64_e32 v[16:17], 0
	s_wait_dscnt 0x0
	s_barrier_signal -1
	s_barrier_wait -1
	s_and_saveexec_b32 s48, s6
	s_cbranch_execz .LBB176_479
; %bb.478:                              ;   in Loop: Header=BB176_3 Depth=1
	ds_load_b128 v[14:17], v133
	ds_load_b128 v[204:207], v149
	s_wait_dscnt 0x0
	v_mul_f64_e32 v[4:5], v[16:17], v[206:207]
	v_mul_f64_e32 v[40:41], v[14:15], v[206:207]
	s_delay_alu instid0(VALU_DEP_2) | instskip(NEXT) | instid1(VALU_DEP_2)
	v_fma_f64 v[4:5], v[14:15], v[204:205], -v[4:5]
	v_fmac_f64_e32 v[40:41], v[16:17], v[204:205]
	s_delay_alu instid0(VALU_DEP_2) | instskip(NEXT) | instid1(VALU_DEP_2)
	v_add_f64_e32 v[14:15], 0, v[4:5]
	v_add_f64_e32 v[16:17], 0, v[40:41]
.LBB176_479:                            ;   in Loop: Header=BB176_3 Depth=1
	s_or_b32 exec_lo, exec_lo, s48
	s_and_saveexec_b32 s48, s7
	s_cbranch_execz .LBB176_481
; %bb.480:                              ;   in Loop: Header=BB176_3 Depth=1
	ds_load_b128 v[204:207], v133 offset:256
	ds_load_b128 v[208:211], v149 offset:8192
	s_wait_dscnt 0x0
	v_mul_f64_e32 v[4:5], v[206:207], v[210:211]
	v_mul_f64_e32 v[40:41], v[204:205], v[210:211]
	s_delay_alu instid0(VALU_DEP_2) | instskip(NEXT) | instid1(VALU_DEP_2)
	v_fma_f64 v[4:5], v[204:205], v[208:209], -v[4:5]
	v_fmac_f64_e32 v[40:41], v[206:207], v[208:209]
	s_delay_alu instid0(VALU_DEP_2) | instskip(NEXT) | instid1(VALU_DEP_2)
	v_add_f64_e32 v[14:15], v[14:15], v[4:5]
	v_add_f64_e32 v[16:17], v[16:17], v[40:41]
.LBB176_481:                            ;   in Loop: Header=BB176_3 Depth=1
	s_or_b32 exec_lo, exec_lo, s48
	s_mov_b32 s50, 0
	s_mov_b32 s48, 0
	ds_store_b128 v200, v[14:17]
	s_wait_dscnt 0x0
	s_barrier_signal -1
	s_barrier_wait -1
                                        ; implicit-def: $vgpr4_vgpr5
                                        ; implicit-def: $vgpr40_vgpr41
	s_and_saveexec_b32 s51, s2
	s_cbranch_execz .LBB176_514
; %bb.482:                              ;   in Loop: Header=BB176_3 Depth=1
	ds_load_b128 v[204:207], v201 offset:512
	s_mov_b32 s48, exec_lo
	s_wait_dscnt 0x0
	v_add_f64_e32 v[4:5], v[14:15], v[204:205]
	v_add_f64_e32 v[40:41], v[16:17], v[206:207]
	ds_load_b128 v[14:17], v201 offset:1024
	s_wait_dscnt 0x0
	v_add_f64_e32 v[4:5], v[4:5], v[14:15]
	v_add_f64_e32 v[40:41], v[40:41], v[16:17]
	ds_load_b128 v[14:17], v201 offset:1536
	;; [unrolled: 4-line block ×14, first 2 shown]
	s_wait_dscnt 0x0
	v_add_f64_e32 v[40:41], v[4:5], v[14:15]
	v_add_f64_e32 v[4:5], v[44:45], v[16:17]
	s_or_b32 exec_lo, exec_lo, s51
	s_delay_alu instid0(SALU_CYCLE_1)
	s_and_b32 vcc_lo, exec_lo, s50
	s_cbranch_vccnz .LBB176_484
	s_branch .LBB176_515
.LBB176_483:                            ;   in Loop: Header=BB176_3 Depth=1
	s_mov_b32 s48, 0
                                        ; implicit-def: $vgpr4_vgpr5
                                        ; implicit-def: $vgpr40_vgpr41
	s_cbranch_execz .LBB176_515
.LBB176_484:                            ;   in Loop: Header=BB176_3 Depth=1
	v_dual_mov_b32 v3, v25 :: v_dual_mov_b32 v4, v203
	s_mov_b32 s50, 31
	s_branch .LBB176_486
.LBB176_485:                            ;   in Loop: Header=BB176_486 Depth=2
	s_or_b32 exec_lo, exec_lo, s98
	v_add_nc_u32_e32 v4, 0xfffffc00, v4
	v_add_nc_u32_e32 v3, 2, v3
	s_add_co_i32 s50, s50, -2
	s_cmp_lg_u32 s51, 0
	s_barrier_signal -1
	s_barrier_wait -1
	s_cbranch_scc0 .LBB176_494
.LBB176_486:                            ;   Parent Loop BB176_3 Depth=1
                                        ; =>  This Inner Loop Header: Depth=2
	s_delay_alu instid0(VALU_DEP_1) | instskip(SKIP_1) | instid1(SALU_CYCLE_1)
	v_cmp_eq_u32_e32 vcc_lo, 0, v3
	s_and_b32 s98, s2, vcc_lo
	s_and_saveexec_b32 s51, s98
; %bb.487:                              ;   in Loop: Header=BB176_486 Depth=2
	ds_store_b128 v2, v[18:21] offset:25088
; %bb.488:                              ;   in Loop: Header=BB176_486 Depth=2
	s_or_b32 exec_lo, exec_lo, s51
	v_cmp_gt_u32_e32 vcc_lo, s50, v22
	s_wait_dscnt 0x0
	s_barrier_signal -1
	s_barrier_wait -1
	s_and_b32 s98, s2, vcc_lo
	s_delay_alu instid0(SALU_CYCLE_1)
	s_and_saveexec_b32 s51, s98
	s_cbranch_execz .LBB176_490
; %bb.489:                              ;   in Loop: Header=BB176_486 Depth=2
	ds_load_b128 v[14:17], v2 offset:25088
	ds_load_b128 v[204:207], v4 offset:512
	s_wait_dscnt 0x0
	v_mul_f64_e32 v[40:41], v[16:17], v[206:207]
	s_delay_alu instid0(VALU_DEP_1) | instskip(SKIP_1) | instid1(VALU_DEP_2)
	v_fma_f64 v[40:41], v[14:15], v[204:205], -v[40:41]
	v_mul_f64_e32 v[14:15], v[14:15], v[206:207]
	v_add_f64_e32 v[18:19], v[18:19], v[40:41]
	s_delay_alu instid0(VALU_DEP_2) | instskip(NEXT) | instid1(VALU_DEP_1)
	v_fmac_f64_e32 v[14:15], v[16:17], v[204:205]
	v_add_f64_e32 v[20:21], v[20:21], v[14:15]
.LBB176_490:                            ;   in Loop: Header=BB176_486 Depth=2
	s_or_b32 exec_lo, exec_lo, s51
	s_add_co_i32 s51, s50, -1
	s_delay_alu instid0(SALU_CYCLE_1) | instskip(SKIP_3) | instid1(SALU_CYCLE_1)
	v_cmp_eq_u32_e32 vcc_lo, s51, v22
	s_barrier_signal -1
	s_barrier_wait -1
	s_and_b32 s99, s2, vcc_lo
	s_and_saveexec_b32 s98, s99
; %bb.491:                              ;   in Loop: Header=BB176_486 Depth=2
	ds_store_b128 v2, v[18:21] offset:25088
; %bb.492:                              ;   in Loop: Header=BB176_486 Depth=2
	s_or_b32 exec_lo, exec_lo, s98
	v_cmp_gt_u32_e32 vcc_lo, s51, v22
	s_wait_dscnt 0x0
	s_barrier_signal -1
	s_barrier_wait -1
	s_and_b32 s99, s2, vcc_lo
	s_delay_alu instid0(SALU_CYCLE_1)
	s_and_saveexec_b32 s98, s99
	s_cbranch_execz .LBB176_485
; %bb.493:                              ;   in Loop: Header=BB176_486 Depth=2
	ds_load_b128 v[14:17], v2 offset:25088
	ds_load_b128 v[204:207], v4
	s_wait_dscnt 0x0
	v_mul_f64_e32 v[40:41], v[16:17], v[206:207]
	s_delay_alu instid0(VALU_DEP_1) | instskip(SKIP_1) | instid1(VALU_DEP_2)
	v_fma_f64 v[40:41], v[14:15], v[204:205], -v[40:41]
	v_mul_f64_e32 v[14:15], v[14:15], v[206:207]
	v_add_f64_e32 v[18:19], v[18:19], v[40:41]
	s_delay_alu instid0(VALU_DEP_2) | instskip(NEXT) | instid1(VALU_DEP_1)
	v_fmac_f64_e32 v[14:15], v[16:17], v[204:205]
	v_add_f64_e32 v[20:21], v[20:21], v[14:15]
	s_branch .LBB176_485
.LBB176_494:                            ;   in Loop: Header=BB176_3 Depth=1
	s_and_b32 vcc_lo, exec_lo, s60
	s_mov_b32 s50, -1
	s_cbranch_vccnz .LBB176_516
; %bb.495:                              ;   in Loop: Header=BB176_3 Depth=1
	s_and_not1_b32 vcc_lo, exec_lo, s50
	s_cbranch_vccz .LBB176_517
.LBB176_496:                            ;   in Loop: Header=BB176_3 Depth=1
	s_and_saveexec_b32 s50, s48
	s_cbranch_execz .LBB176_498
.LBB176_497:                            ;   in Loop: Header=BB176_3 Depth=1
	v_lshl_add_u64 v[4:5], v[32:33], 4, v[42:43]
	flat_store_b128 v[4:5], v[18:21]
.LBB176_498:                            ;   in Loop: Header=BB176_3 Depth=1
	s_wait_xcnt 0x0
	s_or_b32 exec_lo, exec_lo, s50
	global_wb scope:SCOPE_DEV
	s_wait_storecnt_dscnt 0x0
	global_inv scope:SCOPE_DEV
	s_wait_loadcnt 0x0
	s_barrier_signal -1
	s_barrier_wait -1
	s_and_saveexec_b32 s48, s30
	s_cbranch_execz .LBB176_2
; %bb.499:                              ;   in Loop: Header=BB176_3 Depth=1
	s_lshl_b64 s[50:51], s[34:35], 2
	s_delay_alu instid0(SALU_CYCLE_1)
	s_add_nc_u64 s[50:51], s[54:55], s[50:51]
	global_load_b32 v3, v2, s[50:51]
	s_wait_loadcnt 0x0
	v_add_nc_u32_e32 v3, 1, v3
	global_store_b32 v2, v3, s[50:51]
	s_branch .LBB176_2
.LBB176_500:                            ;   in Loop: Header=BB176_3 Depth=1
	s_and_saveexec_b32 s50, s28
; %bb.501:                              ;   in Loop: Header=BB176_3 Depth=1
	v_dual_mov_b32 v3, v2 :: v_dual_mov_b32 v4, v2
	v_mov_b32_e32 v5, v2
	ds_store_b128 v150, v[2:5]
; %bb.502:                              ;   in Loop: Header=BB176_3 Depth=1
	s_or_b32 exec_lo, exec_lo, s50
	s_and_not1_saveexec_b32 s48, s48
	s_cbranch_execz .LBB176_12
.LBB176_503:                            ;   in Loop: Header=BB176_3 Depth=1
	v_lshl_add_u64 v[4:5], v[36:37], 4, v[18:19]
	flat_load_b128 v[204:207], v[4:5]
	s_wait_loadcnt_dscnt 0x0
	v_xor_b32_e32 v205, 0x80000000, v205
	v_xor_b32_e32 v207, 0x80000000, v207
	ds_store_b128 v150, v[204:207]
	s_or_b32 exec_lo, exec_lo, s48
	s_and_saveexec_b32 s48, s7
	s_delay_alu instid0(SALU_CYCLE_1)
	s_xor_b32 s48, exec_lo, s48
	s_cbranch_execz .LBB176_13
.LBB176_504:                            ;   in Loop: Header=BB176_3 Depth=1
	s_and_saveexec_b32 s50, s29
; %bb.505:                              ;   in Loop: Header=BB176_3 Depth=1
	v_dual_mov_b32 v3, v2 :: v_dual_mov_b32 v4, v2
	v_mov_b32_e32 v5, v2
	ds_store_b128 v151, v[2:5]
; %bb.506:                              ;   in Loop: Header=BB176_3 Depth=1
	s_or_b32 exec_lo, exec_lo, s50
	s_and_not1_saveexec_b32 s48, s48
	s_cbranch_execnz .LBB176_14
	s_branch .LBB176_15
.LBB176_507:                            ;   in Loop: Header=BB176_3 Depth=1
	s_and_saveexec_b32 s50, s28
; %bb.508:                              ;   in Loop: Header=BB176_3 Depth=1
	v_dual_mov_b32 v3, v2 :: v_dual_mov_b32 v4, v2
	v_mov_b32_e32 v5, v2
	ds_store_b128 v132, v[2:5]
; %bb.509:                              ;   in Loop: Header=BB176_3 Depth=1
	s_or_b32 exec_lo, exec_lo, s50
	s_and_not1_saveexec_b32 s48, s48
	s_cbranch_execz .LBB176_19
.LBB176_510:                            ;   in Loop: Header=BB176_3 Depth=1
	v_lshl_add_u64 v[4:5], v[36:37], 4, v[18:19]
	flat_load_b128 v[204:207], v[4:5]
	s_wait_loadcnt_dscnt 0x0
	v_xor_b32_e32 v205, 0x80000000, v205
	v_xor_b32_e32 v207, 0x80000000, v207
	ds_store_b128 v132, v[204:207]
	s_or_b32 exec_lo, exec_lo, s48
	s_and_saveexec_b32 s48, s97
	s_delay_alu instid0(SALU_CYCLE_1)
	s_xor_b32 s48, exec_lo, s48
	s_cbranch_execz .LBB176_20
.LBB176_511:                            ;   in Loop: Header=BB176_3 Depth=1
	s_and_saveexec_b32 s50, s29
; %bb.512:                              ;   in Loop: Header=BB176_3 Depth=1
	v_dual_mov_b32 v3, v2 :: v_dual_mov_b32 v4, v2
	v_mov_b32_e32 v5, v2
	ds_store_b128 v151, v[2:5]
; %bb.513:                              ;   in Loop: Header=BB176_3 Depth=1
	s_or_b32 exec_lo, exec_lo, s50
                                        ; implicit-def: $vgpr18_vgpr19
	s_and_not1_saveexec_b32 s48, s48
	s_cbranch_execnz .LBB176_21
	s_branch .LBB176_22
.LBB176_514:                            ;   in Loop: Header=BB176_3 Depth=1
	s_or_b32 exec_lo, exec_lo, s51
	s_delay_alu instid0(SALU_CYCLE_1)
	s_and_b32 vcc_lo, exec_lo, s50
	s_cbranch_vccnz .LBB176_484
.LBB176_515:                            ;   in Loop: Header=BB176_3 Depth=1
	s_delay_alu instid0(VALU_DEP_1) | instskip(NEXT) | instid1(VALU_DEP_3)
	v_mov_b64_e32 v[20:21], v[4:5]
	v_mov_b64_e32 v[18:19], v[40:41]
	s_and_saveexec_b32 s50, s48
	s_cbranch_execnz .LBB176_497
	s_branch .LBB176_498
.LBB176_516:                            ;   in Loop: Header=BB176_3 Depth=1
	s_and_not1_b32 s48, s48, exec_lo
	s_and_b32 s51, s2, exec_lo
	s_delay_alu instid0(SALU_CYCLE_1)
	s_or_b32 s48, s48, s51
	s_cbranch_execnz .LBB176_496
.LBB176_517:                            ;   in Loop: Header=BB176_3 Depth=1
	v_readlane_b32 s50, v212, 15
	s_and_not1_b32 s48, s48, exec_lo
	s_and_b32 s50, s50, exec_lo
	s_delay_alu instid0(SALU_CYCLE_1) | instskip(NEXT) | instid1(SALU_CYCLE_1)
	s_or_b32 s48, s48, s50
	s_and_saveexec_b32 s50, s48
	s_cbranch_execnz .LBB176_497
	s_branch .LBB176_498
.LBB176_518:                            ;   in Loop: Header=BB176_3 Depth=1
	ds_load_b128 v[204:207], v49 offset:16
	ds_load_b128 v[208:211], v56 offset:576
	s_wait_dscnt 0x0
	v_mul_f64_e32 v[4:5], v[206:207], v[210:211]
	v_mul_f64_e32 v[44:45], v[204:205], v[210:211]
	s_delay_alu instid0(VALU_DEP_2) | instskip(NEXT) | instid1(VALU_DEP_2)
	v_fma_f64 v[4:5], v[204:205], v[208:209], -v[4:5]
	v_fmac_f64_e32 v[44:45], v[206:207], v[208:209]
	s_delay_alu instid0(VALU_DEP_2) | instskip(NEXT) | instid1(VALU_DEP_2)
	v_add_f64_e32 v[18:19], v[18:19], v[4:5]
	v_add_f64_e32 v[20:21], v[20:21], v[44:45]
	s_or_b32 exec_lo, exec_lo, s50
	s_and_saveexec_b32 s50, s10
	s_cbranch_execz .LBB176_45
.LBB176_519:                            ;   in Loop: Header=BB176_3 Depth=1
	ds_load_b128 v[204:207], v49 offset:32
	ds_load_b128 v[208:211], v55 offset:1088
	s_wait_dscnt 0x0
	v_mul_f64_e32 v[4:5], v[206:207], v[210:211]
	v_mul_f64_e32 v[44:45], v[204:205], v[210:211]
	s_delay_alu instid0(VALU_DEP_2) | instskip(NEXT) | instid1(VALU_DEP_2)
	v_fma_f64 v[4:5], v[204:205], v[208:209], -v[4:5]
	v_fmac_f64_e32 v[44:45], v[206:207], v[208:209]
	s_delay_alu instid0(VALU_DEP_2) | instskip(NEXT) | instid1(VALU_DEP_2)
	v_add_f64_e32 v[18:19], v[18:19], v[4:5]
	v_add_f64_e32 v[20:21], v[20:21], v[44:45]
	s_or_b32 exec_lo, exec_lo, s50
	s_and_saveexec_b32 s50, s1
	s_cbranch_execnz .LBB176_46
	s_branch .LBB176_47
.LBB176_520:                            ;   in Loop: Header=BB176_3 Depth=1
	ds_load_b128 v[204:207], v57 offset:16
	ds_load_b128 v[208:211], v63 offset:640
	s_wait_dscnt 0x0
	v_mul_f64_e32 v[4:5], v[206:207], v[210:211]
	v_mul_f64_e32 v[44:45], v[204:205], v[210:211]
	s_delay_alu instid0(VALU_DEP_2) | instskip(NEXT) | instid1(VALU_DEP_2)
	v_fma_f64 v[4:5], v[204:205], v[208:209], -v[4:5]
	v_fmac_f64_e32 v[44:45], v[206:207], v[208:209]
	s_delay_alu instid0(VALU_DEP_2) | instskip(NEXT) | instid1(VALU_DEP_2)
	v_add_f64_e32 v[18:19], v[18:19], v[4:5]
	v_add_f64_e32 v[20:21], v[20:21], v[44:45]
	s_or_b32 exec_lo, exec_lo, s50
	s_and_saveexec_b32 s50, s12
	s_cbranch_execz .LBB176_87
.LBB176_521:                            ;   in Loop: Header=BB176_3 Depth=1
	ds_load_b128 v[204:207], v57 offset:32
	ds_load_b128 v[208:211], v63 offset:1152
	s_wait_dscnt 0x0
	v_mul_f64_e32 v[4:5], v[206:207], v[210:211]
	v_mul_f64_e32 v[44:45], v[204:205], v[210:211]
	s_delay_alu instid0(VALU_DEP_2) | instskip(NEXT) | instid1(VALU_DEP_2)
	v_fma_f64 v[4:5], v[204:205], v[208:209], -v[4:5]
	v_fmac_f64_e32 v[44:45], v[206:207], v[208:209]
	s_delay_alu instid0(VALU_DEP_2) | instskip(NEXT) | instid1(VALU_DEP_2)
	v_add_f64_e32 v[18:19], v[18:19], v[4:5]
	v_add_f64_e32 v[20:21], v[20:21], v[44:45]
	s_or_b32 exec_lo, exec_lo, s50
	s_and_saveexec_b32 s50, s13
	s_cbranch_execz .LBB176_88
.LBB176_522:                            ;   in Loop: Header=BB176_3 Depth=1
	ds_load_b128 v[204:207], v57 offset:48
	ds_load_b128 v[208:211], v63 offset:1664
	s_wait_dscnt 0x0
	v_mul_f64_e32 v[4:5], v[206:207], v[210:211]
	v_mul_f64_e32 v[44:45], v[204:205], v[210:211]
	s_delay_alu instid0(VALU_DEP_2) | instskip(NEXT) | instid1(VALU_DEP_2)
	v_fma_f64 v[4:5], v[204:205], v[208:209], -v[4:5]
	v_fmac_f64_e32 v[44:45], v[206:207], v[208:209]
	s_delay_alu instid0(VALU_DEP_2) | instskip(NEXT) | instid1(VALU_DEP_2)
	v_add_f64_e32 v[18:19], v[18:19], v[4:5]
	v_add_f64_e32 v[20:21], v[20:21], v[44:45]
	s_or_b32 exec_lo, exec_lo, s50
	s_and_saveexec_b32 s50, s14
	s_cbranch_execz .LBB176_89
.LBB176_523:                            ;   in Loop: Header=BB176_3 Depth=1
	ds_load_b128 v[204:207], v57 offset:64
	ds_load_b128 v[208:211], v62 offset:2176
	s_wait_dscnt 0x0
	v_mul_f64_e32 v[4:5], v[206:207], v[210:211]
	v_mul_f64_e32 v[44:45], v[204:205], v[210:211]
	s_delay_alu instid0(VALU_DEP_2) | instskip(NEXT) | instid1(VALU_DEP_2)
	v_fma_f64 v[4:5], v[204:205], v[208:209], -v[4:5]
	v_fmac_f64_e32 v[44:45], v[206:207], v[208:209]
	s_delay_alu instid0(VALU_DEP_2) | instskip(NEXT) | instid1(VALU_DEP_2)
	v_add_f64_e32 v[18:19], v[18:19], v[4:5]
	v_add_f64_e32 v[20:21], v[20:21], v[44:45]
	s_or_b32 exec_lo, exec_lo, s50
	s_and_saveexec_b32 s50, s15
	s_cbranch_execz .LBB176_90
.LBB176_524:                            ;   in Loop: Header=BB176_3 Depth=1
	ds_load_b128 v[204:207], v57 offset:80
	ds_load_b128 v[208:211], v63 offset:2688
	s_wait_dscnt 0x0
	v_mul_f64_e32 v[4:5], v[206:207], v[210:211]
	v_mul_f64_e32 v[44:45], v[204:205], v[210:211]
	s_delay_alu instid0(VALU_DEP_2) | instskip(NEXT) | instid1(VALU_DEP_2)
	v_fma_f64 v[4:5], v[204:205], v[208:209], -v[4:5]
	v_fmac_f64_e32 v[44:45], v[206:207], v[208:209]
	s_delay_alu instid0(VALU_DEP_2) | instskip(NEXT) | instid1(VALU_DEP_2)
	v_add_f64_e32 v[18:19], v[18:19], v[4:5]
	v_add_f64_e32 v[20:21], v[20:21], v[44:45]
	s_or_b32 exec_lo, exec_lo, s50
	s_and_saveexec_b32 s50, s3
	s_cbranch_execz .LBB176_91
.LBB176_525:                            ;   in Loop: Header=BB176_3 Depth=1
	ds_load_b128 v[204:207], v57 offset:96
	ds_load_b128 v[208:211], v62 offset:3200
	s_wait_dscnt 0x0
	v_mul_f64_e32 v[4:5], v[206:207], v[210:211]
	v_mul_f64_e32 v[44:45], v[204:205], v[210:211]
	s_delay_alu instid0(VALU_DEP_2) | instskip(NEXT) | instid1(VALU_DEP_2)
	v_fma_f64 v[4:5], v[204:205], v[208:209], -v[4:5]
	v_fmac_f64_e32 v[44:45], v[206:207], v[208:209]
	s_delay_alu instid0(VALU_DEP_2) | instskip(NEXT) | instid1(VALU_DEP_2)
	v_add_f64_e32 v[18:19], v[18:19], v[4:5]
	v_add_f64_e32 v[20:21], v[20:21], v[44:45]
	s_or_b32 exec_lo, exec_lo, s50
	s_and_saveexec_b32 s50, s10
	s_cbranch_execnz .LBB176_92
	s_branch .LBB176_93
.LBB176_526:                            ;   in Loop: Header=BB176_3 Depth=1
	ds_load_b128 v[204:207], v49 offset:4240
	ds_load_b128 v[208:211], v56 offset:4800
	s_wait_dscnt 0x0
	v_mul_f64_e32 v[4:5], v[206:207], v[210:211]
	v_mul_f64_e32 v[44:45], v[204:205], v[210:211]
	s_delay_alu instid0(VALU_DEP_2) | instskip(NEXT) | instid1(VALU_DEP_2)
	v_fma_f64 v[4:5], v[204:205], v[208:209], -v[4:5]
	v_fmac_f64_e32 v[44:45], v[206:207], v[208:209]
	s_delay_alu instid0(VALU_DEP_2) | instskip(NEXT) | instid1(VALU_DEP_2)
	v_add_f64_e32 v[18:19], v[18:19], v[4:5]
	v_add_f64_e32 v[20:21], v[20:21], v[44:45]
	s_or_b32 exec_lo, exec_lo, s50
	s_and_saveexec_b32 s50, s10
	s_cbranch_execz .LBB176_149
.LBB176_527:                            ;   in Loop: Header=BB176_3 Depth=1
	ds_load_b128 v[204:207], v49 offset:4256
	ds_load_b128 v[208:211], v55 offset:5312
	s_wait_dscnt 0x0
	v_mul_f64_e32 v[4:5], v[206:207], v[210:211]
	v_mul_f64_e32 v[44:45], v[204:205], v[210:211]
	s_delay_alu instid0(VALU_DEP_2) | instskip(NEXT) | instid1(VALU_DEP_2)
	v_fma_f64 v[4:5], v[204:205], v[208:209], -v[4:5]
	v_fmac_f64_e32 v[44:45], v[206:207], v[208:209]
	s_delay_alu instid0(VALU_DEP_2) | instskip(NEXT) | instid1(VALU_DEP_2)
	v_add_f64_e32 v[18:19], v[18:19], v[4:5]
	v_add_f64_e32 v[20:21], v[20:21], v[44:45]
	s_or_b32 exec_lo, exec_lo, s50
	s_and_saveexec_b32 s50, s1
	s_cbranch_execnz .LBB176_150
	s_branch .LBB176_151
.LBB176_528:                            ;   in Loop: Header=BB176_3 Depth=1
	ds_load_b128 v[204:207], v3 offset:176
	ds_load_b128 v[208:211], v176 offset:5888
	s_wait_dscnt 0x0
	v_mul_f64_e32 v[4:5], v[206:207], v[210:211]
	v_mul_f64_e32 v[44:45], v[204:205], v[210:211]
	s_delay_alu instid0(VALU_DEP_2) | instskip(NEXT) | instid1(VALU_DEP_2)
	v_fma_f64 v[4:5], v[204:205], v[208:209], -v[4:5]
	v_fmac_f64_e32 v[44:45], v[206:207], v[208:209]
	s_delay_alu instid0(VALU_DEP_2) | instskip(NEXT) | instid1(VALU_DEP_2)
	v_add_f64_e32 v[18:19], v[18:19], v[4:5]
	v_add_f64_e32 v[20:21], v[20:21], v[44:45]
	s_or_b32 exec_lo, exec_lo, s50
	s_and_saveexec_b32 s50, s4
	s_cbranch_execz .LBB176_211
.LBB176_529:                            ;   in Loop: Header=BB176_3 Depth=1
	ds_load_b128 v[204:207], v3 offset:192
	ds_load_b128 v[208:211], v176 offset:6400
	s_wait_dscnt 0x0
	v_mul_f64_e32 v[4:5], v[206:207], v[210:211]
	v_mul_f64_e32 v[44:45], v[204:205], v[210:211]
	s_delay_alu instid0(VALU_DEP_2) | instskip(NEXT) | instid1(VALU_DEP_2)
	v_fma_f64 v[4:5], v[204:205], v[208:209], -v[4:5]
	v_fmac_f64_e32 v[44:45], v[206:207], v[208:209]
	s_delay_alu instid0(VALU_DEP_2) | instskip(NEXT) | instid1(VALU_DEP_2)
	v_add_f64_e32 v[18:19], v[18:19], v[4:5]
	v_add_f64_e32 v[20:21], v[20:21], v[44:45]
	s_or_b32 exec_lo, exec_lo, s50
	s_and_saveexec_b32 s50, s12
	s_cbranch_execz .LBB176_212
.LBB176_530:                            ;   in Loop: Header=BB176_3 Depth=1
	ds_load_b128 v[204:207], v3 offset:208
	ds_load_b128 v[208:211], v176 offset:6912
	s_wait_dscnt 0x0
	v_mul_f64_e32 v[4:5], v[206:207], v[210:211]
	v_mul_f64_e32 v[44:45], v[204:205], v[210:211]
	s_delay_alu instid0(VALU_DEP_2) | instskip(NEXT) | instid1(VALU_DEP_2)
	v_fma_f64 v[4:5], v[204:205], v[208:209], -v[4:5]
	v_fmac_f64_e32 v[44:45], v[206:207], v[208:209]
	s_delay_alu instid0(VALU_DEP_2) | instskip(NEXT) | instid1(VALU_DEP_2)
	v_add_f64_e32 v[18:19], v[18:19], v[4:5]
	v_add_f64_e32 v[20:21], v[20:21], v[44:45]
	s_or_b32 exec_lo, exec_lo, s50
	s_and_saveexec_b32 s50, s14
	s_cbranch_execz .LBB176_213
.LBB176_531:                            ;   in Loop: Header=BB176_3 Depth=1
	ds_load_b128 v[204:207], v3 offset:224
	ds_load_b128 v[208:211], v176 offset:7424
	s_wait_dscnt 0x0
	v_mul_f64_e32 v[4:5], v[206:207], v[210:211]
	v_mul_f64_e32 v[44:45], v[204:205], v[210:211]
	s_delay_alu instid0(VALU_DEP_2) | instskip(NEXT) | instid1(VALU_DEP_2)
	v_fma_f64 v[4:5], v[204:205], v[208:209], -v[4:5]
	v_fmac_f64_e32 v[44:45], v[206:207], v[208:209]
	s_delay_alu instid0(VALU_DEP_2) | instskip(NEXT) | instid1(VALU_DEP_2)
	v_add_f64_e32 v[18:19], v[18:19], v[4:5]
	v_add_f64_e32 v[20:21], v[20:21], v[44:45]
	s_or_b32 exec_lo, exec_lo, s50
	s_and_saveexec_b32 s50, s3
	s_cbranch_execnz .LBB176_214
	s_branch .LBB176_215
.LBB176_532:                            ;   in Loop: Header=BB176_3 Depth=1
	ds_load_b128 v[204:207], v49 offset:8464
	ds_load_b128 v[208:211], v56 offset:9024
	s_wait_dscnt 0x0
	v_mul_f64_e32 v[4:5], v[206:207], v[210:211]
	v_mul_f64_e32 v[44:45], v[204:205], v[210:211]
	s_delay_alu instid0(VALU_DEP_2) | instskip(NEXT) | instid1(VALU_DEP_2)
	v_fma_f64 v[4:5], v[204:205], v[208:209], -v[4:5]
	v_fmac_f64_e32 v[44:45], v[206:207], v[208:209]
	s_delay_alu instid0(VALU_DEP_2) | instskip(NEXT) | instid1(VALU_DEP_2)
	v_add_f64_e32 v[18:19], v[18:19], v[4:5]
	v_add_f64_e32 v[20:21], v[20:21], v[44:45]
	s_or_b32 exec_lo, exec_lo, s50
	s_and_saveexec_b32 s50, s10
	s_cbranch_execz .LBB176_303
.LBB176_533:                            ;   in Loop: Header=BB176_3 Depth=1
	ds_load_b128 v[204:207], v49 offset:8480
	ds_load_b128 v[208:211], v55 offset:9536
	s_wait_dscnt 0x0
	v_mul_f64_e32 v[4:5], v[206:207], v[210:211]
	v_mul_f64_e32 v[44:45], v[204:205], v[210:211]
	s_delay_alu instid0(VALU_DEP_2) | instskip(NEXT) | instid1(VALU_DEP_2)
	v_fma_f64 v[4:5], v[204:205], v[208:209], -v[4:5]
	v_fmac_f64_e32 v[44:45], v[206:207], v[208:209]
	s_delay_alu instid0(VALU_DEP_2) | instskip(NEXT) | instid1(VALU_DEP_2)
	v_add_f64_e32 v[18:19], v[18:19], v[4:5]
	v_add_f64_e32 v[20:21], v[20:21], v[44:45]
	s_or_b32 exec_lo, exec_lo, s50
	s_and_saveexec_b32 s50, s1
	s_cbranch_execnz .LBB176_304
	s_branch .LBB176_305
.LBB176_534:                            ;   in Loop: Header=BB176_3 Depth=1
	ds_load_b128 v[204:207], v57 offset:8464
	ds_load_b128 v[208:211], v63 offset:9088
	s_wait_dscnt 0x0
	v_mul_f64_e32 v[4:5], v[206:207], v[210:211]
	v_mul_f64_e32 v[44:45], v[204:205], v[210:211]
	s_delay_alu instid0(VALU_DEP_2) | instskip(NEXT) | instid1(VALU_DEP_2)
	v_fma_f64 v[4:5], v[204:205], v[208:209], -v[4:5]
	v_fmac_f64_e32 v[44:45], v[206:207], v[208:209]
	s_delay_alu instid0(VALU_DEP_2) | instskip(NEXT) | instid1(VALU_DEP_2)
	v_add_f64_e32 v[18:19], v[18:19], v[4:5]
	v_add_f64_e32 v[20:21], v[20:21], v[44:45]
	s_or_b32 exec_lo, exec_lo, s50
	s_and_saveexec_b32 s50, s12
	s_cbranch_execz .LBB176_345
.LBB176_535:                            ;   in Loop: Header=BB176_3 Depth=1
	ds_load_b128 v[204:207], v57 offset:8480
	ds_load_b128 v[208:211], v63 offset:9600
	s_wait_dscnt 0x0
	v_mul_f64_e32 v[4:5], v[206:207], v[210:211]
	v_mul_f64_e32 v[44:45], v[204:205], v[210:211]
	s_delay_alu instid0(VALU_DEP_2) | instskip(NEXT) | instid1(VALU_DEP_2)
	v_fma_f64 v[4:5], v[204:205], v[208:209], -v[4:5]
	v_fmac_f64_e32 v[44:45], v[206:207], v[208:209]
	s_delay_alu instid0(VALU_DEP_2) | instskip(NEXT) | instid1(VALU_DEP_2)
	v_add_f64_e32 v[18:19], v[18:19], v[4:5]
	v_add_f64_e32 v[20:21], v[20:21], v[44:45]
	s_or_b32 exec_lo, exec_lo, s50
	s_and_saveexec_b32 s50, s13
	s_cbranch_execz .LBB176_346
.LBB176_536:                            ;   in Loop: Header=BB176_3 Depth=1
	ds_load_b128 v[204:207], v57 offset:8496
	ds_load_b128 v[208:211], v63 offset:10112
	s_wait_dscnt 0x0
	v_mul_f64_e32 v[4:5], v[206:207], v[210:211]
	v_mul_f64_e32 v[44:45], v[204:205], v[210:211]
	s_delay_alu instid0(VALU_DEP_2) | instskip(NEXT) | instid1(VALU_DEP_2)
	v_fma_f64 v[4:5], v[204:205], v[208:209], -v[4:5]
	v_fmac_f64_e32 v[44:45], v[206:207], v[208:209]
	s_delay_alu instid0(VALU_DEP_2) | instskip(NEXT) | instid1(VALU_DEP_2)
	v_add_f64_e32 v[18:19], v[18:19], v[4:5]
	v_add_f64_e32 v[20:21], v[20:21], v[44:45]
	s_or_b32 exec_lo, exec_lo, s50
	s_and_saveexec_b32 s50, s14
	s_cbranch_execz .LBB176_347
.LBB176_537:                            ;   in Loop: Header=BB176_3 Depth=1
	ds_load_b128 v[204:207], v57 offset:8512
	ds_load_b128 v[208:211], v62 offset:10624
	s_wait_dscnt 0x0
	v_mul_f64_e32 v[4:5], v[206:207], v[210:211]
	v_mul_f64_e32 v[44:45], v[204:205], v[210:211]
	s_delay_alu instid0(VALU_DEP_2) | instskip(NEXT) | instid1(VALU_DEP_2)
	v_fma_f64 v[4:5], v[204:205], v[208:209], -v[4:5]
	v_fmac_f64_e32 v[44:45], v[206:207], v[208:209]
	s_delay_alu instid0(VALU_DEP_2) | instskip(NEXT) | instid1(VALU_DEP_2)
	v_add_f64_e32 v[18:19], v[18:19], v[4:5]
	v_add_f64_e32 v[20:21], v[20:21], v[44:45]
	s_or_b32 exec_lo, exec_lo, s50
	s_and_saveexec_b32 s50, s15
	s_cbranch_execz .LBB176_348
.LBB176_538:                            ;   in Loop: Header=BB176_3 Depth=1
	ds_load_b128 v[204:207], v57 offset:8528
	ds_load_b128 v[208:211], v63 offset:11136
	s_wait_dscnt 0x0
	v_mul_f64_e32 v[4:5], v[206:207], v[210:211]
	v_mul_f64_e32 v[44:45], v[204:205], v[210:211]
	s_delay_alu instid0(VALU_DEP_2) | instskip(NEXT) | instid1(VALU_DEP_2)
	v_fma_f64 v[4:5], v[204:205], v[208:209], -v[4:5]
	v_fmac_f64_e32 v[44:45], v[206:207], v[208:209]
	s_delay_alu instid0(VALU_DEP_2) | instskip(NEXT) | instid1(VALU_DEP_2)
	v_add_f64_e32 v[18:19], v[18:19], v[4:5]
	v_add_f64_e32 v[20:21], v[20:21], v[44:45]
	s_or_b32 exec_lo, exec_lo, s50
	s_and_saveexec_b32 s50, s3
	s_cbranch_execz .LBB176_349
.LBB176_539:                            ;   in Loop: Header=BB176_3 Depth=1
	ds_load_b128 v[204:207], v57 offset:8544
	ds_load_b128 v[208:211], v62 offset:11648
	s_wait_dscnt 0x0
	v_mul_f64_e32 v[4:5], v[206:207], v[210:211]
	v_mul_f64_e32 v[44:45], v[204:205], v[210:211]
	s_delay_alu instid0(VALU_DEP_2) | instskip(NEXT) | instid1(VALU_DEP_2)
	v_fma_f64 v[4:5], v[204:205], v[208:209], -v[4:5]
	v_fmac_f64_e32 v[44:45], v[206:207], v[208:209]
	s_delay_alu instid0(VALU_DEP_2) | instskip(NEXT) | instid1(VALU_DEP_2)
	v_add_f64_e32 v[18:19], v[18:19], v[4:5]
	v_add_f64_e32 v[20:21], v[20:21], v[44:45]
	s_or_b32 exec_lo, exec_lo, s50
	s_and_saveexec_b32 s50, s10
	s_cbranch_execnz .LBB176_350
	s_branch .LBB176_351
.LBB176_540:                            ;   in Loop: Header=BB176_3 Depth=1
	ds_load_b128 v[204:207], v49 offset:12688
	ds_load_b128 v[208:211], v56 offset:13248
	s_wait_dscnt 0x0
	v_mul_f64_e32 v[4:5], v[206:207], v[210:211]
	v_mul_f64_e32 v[44:45], v[204:205], v[210:211]
	s_delay_alu instid0(VALU_DEP_2) | instskip(NEXT) | instid1(VALU_DEP_2)
	v_fma_f64 v[4:5], v[204:205], v[208:209], -v[4:5]
	v_fmac_f64_e32 v[44:45], v[206:207], v[208:209]
	s_delay_alu instid0(VALU_DEP_2) | instskip(NEXT) | instid1(VALU_DEP_2)
	v_add_f64_e32 v[18:19], v[18:19], v[4:5]
	v_add_f64_e32 v[20:21], v[20:21], v[44:45]
	s_or_b32 exec_lo, exec_lo, s50
	s_and_saveexec_b32 s50, s10
	s_cbranch_execz .LBB176_407
.LBB176_541:                            ;   in Loop: Header=BB176_3 Depth=1
	ds_load_b128 v[204:207], v49 offset:12704
	ds_load_b128 v[208:211], v55 offset:13760
	s_wait_dscnt 0x0
	v_mul_f64_e32 v[4:5], v[206:207], v[210:211]
	v_mul_f64_e32 v[44:45], v[204:205], v[210:211]
	s_delay_alu instid0(VALU_DEP_2) | instskip(NEXT) | instid1(VALU_DEP_2)
	v_fma_f64 v[4:5], v[204:205], v[208:209], -v[4:5]
	v_fmac_f64_e32 v[44:45], v[206:207], v[208:209]
	s_delay_alu instid0(VALU_DEP_2) | instskip(NEXT) | instid1(VALU_DEP_2)
	v_add_f64_e32 v[18:19], v[18:19], v[4:5]
	v_add_f64_e32 v[20:21], v[20:21], v[44:45]
	s_or_b32 exec_lo, exec_lo, s50
	s_and_saveexec_b32 s50, s1
	s_cbranch_execnz .LBB176_408
	s_branch .LBB176_409
.LBB176_542:
	s_endpgm
	.section	.rodata,"a",@progbits
	.p2align	6, 0x0
	.amdhsa_kernel _ZL19rocblas_trsv_deviceILi32ELi16ELb1ELb1ELb0ELb1E19rocblas_complex_numIdEPKS1_PKS3_PKPS1_EviT7_lllT6_T8_lllPii
		.amdhsa_group_segment_fixed_size 25104
		.amdhsa_private_segment_fixed_size 0
		.amdhsa_kernarg_size 352
		.amdhsa_user_sgpr_count 2
		.amdhsa_user_sgpr_dispatch_ptr 0
		.amdhsa_user_sgpr_queue_ptr 0
		.amdhsa_user_sgpr_kernarg_segment_ptr 1
		.amdhsa_user_sgpr_dispatch_id 0
		.amdhsa_user_sgpr_kernarg_preload_length 0
		.amdhsa_user_sgpr_kernarg_preload_offset 0
		.amdhsa_user_sgpr_private_segment_size 0
		.amdhsa_wavefront_size32 1
		.amdhsa_uses_dynamic_stack 0
		.amdhsa_enable_private_segment 0
		.amdhsa_system_sgpr_workgroup_id_x 1
		.amdhsa_system_sgpr_workgroup_id_y 0
		.amdhsa_system_sgpr_workgroup_id_z 1
		.amdhsa_system_sgpr_workgroup_info 0
		.amdhsa_system_vgpr_workitem_id 1
		.amdhsa_next_free_vgpr 213
		.amdhsa_next_free_sgpr 105
		.amdhsa_named_barrier_count 0
		.amdhsa_reserve_vcc 1
		.amdhsa_float_round_mode_32 0
		.amdhsa_float_round_mode_16_64 0
		.amdhsa_float_denorm_mode_32 3
		.amdhsa_float_denorm_mode_16_64 3
		.amdhsa_fp16_overflow 0
		.amdhsa_memory_ordered 1
		.amdhsa_forward_progress 1
		.amdhsa_inst_pref_size 166
		.amdhsa_round_robin_scheduling 0
		.amdhsa_exception_fp_ieee_invalid_op 0
		.amdhsa_exception_fp_denorm_src 0
		.amdhsa_exception_fp_ieee_div_zero 0
		.amdhsa_exception_fp_ieee_overflow 0
		.amdhsa_exception_fp_ieee_underflow 0
		.amdhsa_exception_fp_ieee_inexact 0
		.amdhsa_exception_int_div_zero 0
	.end_amdhsa_kernel
	.section	.text._ZL19rocblas_trsv_deviceILi32ELi16ELb1ELb1ELb0ELb1E19rocblas_complex_numIdEPKS1_PKS3_PKPS1_EviT7_lllT6_T8_lllPii,"axG",@progbits,_ZL19rocblas_trsv_deviceILi32ELi16ELb1ELb1ELb0ELb1E19rocblas_complex_numIdEPKS1_PKS3_PKPS1_EviT7_lllT6_T8_lllPii,comdat
.Lfunc_end176:
	.size	_ZL19rocblas_trsv_deviceILi32ELi16ELb1ELb1ELb0ELb1E19rocblas_complex_numIdEPKS1_PKS3_PKPS1_EviT7_lllT6_T8_lllPii, .Lfunc_end176-_ZL19rocblas_trsv_deviceILi32ELi16ELb1ELb1ELb0ELb1E19rocblas_complex_numIdEPKS1_PKS3_PKPS1_EviT7_lllT6_T8_lllPii
                                        ; -- End function
	.set _ZL19rocblas_trsv_deviceILi32ELi16ELb1ELb1ELb0ELb1E19rocblas_complex_numIdEPKS1_PKS3_PKPS1_EviT7_lllT6_T8_lllPii.num_vgpr, 213
	.set _ZL19rocblas_trsv_deviceILi32ELi16ELb1ELb1ELb0ELb1E19rocblas_complex_numIdEPKS1_PKS3_PKPS1_EviT7_lllT6_T8_lllPii.num_agpr, 0
	.set _ZL19rocblas_trsv_deviceILi32ELi16ELb1ELb1ELb0ELb1E19rocblas_complex_numIdEPKS1_PKS3_PKPS1_EviT7_lllT6_T8_lllPii.numbered_sgpr, 105
	.set _ZL19rocblas_trsv_deviceILi32ELi16ELb1ELb1ELb0ELb1E19rocblas_complex_numIdEPKS1_PKS3_PKPS1_EviT7_lllT6_T8_lllPii.num_named_barrier, 0
	.set _ZL19rocblas_trsv_deviceILi32ELi16ELb1ELb1ELb0ELb1E19rocblas_complex_numIdEPKS1_PKS3_PKPS1_EviT7_lllT6_T8_lllPii.private_seg_size, 0
	.set _ZL19rocblas_trsv_deviceILi32ELi16ELb1ELb1ELb0ELb1E19rocblas_complex_numIdEPKS1_PKS3_PKPS1_EviT7_lllT6_T8_lllPii.uses_vcc, 1
	.set _ZL19rocblas_trsv_deviceILi32ELi16ELb1ELb1ELb0ELb1E19rocblas_complex_numIdEPKS1_PKS3_PKPS1_EviT7_lllT6_T8_lllPii.uses_flat_scratch, 0
	.set _ZL19rocblas_trsv_deviceILi32ELi16ELb1ELb1ELb0ELb1E19rocblas_complex_numIdEPKS1_PKS3_PKPS1_EviT7_lllT6_T8_lllPii.has_dyn_sized_stack, 0
	.set _ZL19rocblas_trsv_deviceILi32ELi16ELb1ELb1ELb0ELb1E19rocblas_complex_numIdEPKS1_PKS3_PKPS1_EviT7_lllT6_T8_lllPii.has_recursion, 0
	.set _ZL19rocblas_trsv_deviceILi32ELi16ELb1ELb1ELb0ELb1E19rocblas_complex_numIdEPKS1_PKS3_PKPS1_EviT7_lllT6_T8_lllPii.has_indirect_call, 0
	.section	.AMDGPU.csdata,"",@progbits
; Kernel info:
; codeLenInByte = 21160
; TotalNumSgprs: 107
; NumVgprs: 213
; ScratchSize: 0
; MemoryBound: 1
; FloatMode: 240
; IeeeMode: 1
; LDSByteSize: 25104 bytes/workgroup (compile time only)
; SGPRBlocks: 0
; VGPRBlocks: 13
; NumSGPRsForWavesPerEU: 107
; NumVGPRsForWavesPerEU: 213
; NamedBarCnt: 0
; Occupancy: 4
; WaveLimiterHint : 1
; COMPUTE_PGM_RSRC2:SCRATCH_EN: 0
; COMPUTE_PGM_RSRC2:USER_SGPR: 2
; COMPUTE_PGM_RSRC2:TRAP_HANDLER: 0
; COMPUTE_PGM_RSRC2:TGID_X_EN: 1
; COMPUTE_PGM_RSRC2:TGID_Y_EN: 0
; COMPUTE_PGM_RSRC2:TGID_Z_EN: 1
; COMPUTE_PGM_RSRC2:TIDIG_COMP_CNT: 1
	.section	.text._ZL19rocblas_trsv_deviceILi32ELi16ELb1ELb1ELb1ELb1E19rocblas_complex_numIdEPKS1_PKS3_PKPS1_EviT7_lllT6_T8_lllPii,"axG",@progbits,_ZL19rocblas_trsv_deviceILi32ELi16ELb1ELb1ELb1ELb1E19rocblas_complex_numIdEPKS1_PKS3_PKPS1_EviT7_lllT6_T8_lllPii,comdat
	.globl	_ZL19rocblas_trsv_deviceILi32ELi16ELb1ELb1ELb1ELb1E19rocblas_complex_numIdEPKS1_PKS3_PKPS1_EviT7_lllT6_T8_lllPii ; -- Begin function _ZL19rocblas_trsv_deviceILi32ELi16ELb1ELb1ELb1ELb1E19rocblas_complex_numIdEPKS1_PKS3_PKPS1_EviT7_lllT6_T8_lllPii
	.p2align	8
	.type	_ZL19rocblas_trsv_deviceILi32ELi16ELb1ELb1ELb1ELb1E19rocblas_complex_numIdEPKS1_PKS3_PKPS1_EviT7_lllT6_T8_lllPii,@function
_ZL19rocblas_trsv_deviceILi32ELi16ELb1ELb1ELb1ELb1E19rocblas_complex_numIdEPKS1_PKS3_PKPS1_EviT7_lllT6_T8_lllPii: ; @_ZL19rocblas_trsv_deviceILi32ELi16ELb1ELb1ELb1ELb1E19rocblas_complex_numIdEPKS1_PKS3_PKPS1_EviT7_lllT6_T8_lllPii
; %bb.0:
	s_load_b32 s33, s[0:1], 0x58
	s_bfe_u32 s2, ttmp6, 0x40014
	s_lshr_b32 s3, ttmp7, 16
	s_add_co_i32 s2, s2, 1
	s_bfe_u32 s5, ttmp6, 0x40008
	s_mul_i32 s4, s3, s2
	s_getreg_b32 s2, hwreg(HW_REG_IB_STS2, 6, 4)
	s_add_co_i32 s5, s5, s4
	s_cmp_eq_u32 s2, 0
	s_mov_b32 s35, 0
	s_cselect_b32 s34, s3, s5
	s_wait_kmcnt 0x0
	s_cmp_ge_u32 s34, s33
	s_cbranch_scc1 .LBB177_542
; %bb.1:
	s_clause 0x2
	s_load_b32 s3, s[0:1], 0x6c
	s_load_b32 s59, s[0:1], 0x60
	;; [unrolled: 1-line block ×3, first 2 shown]
	s_bfe_u32 s5, ttmp6, 0x4000c
	s_and_b32 s4, ttmp6, 15
	s_add_co_i32 s5, s5, 1
	s_clause 0x1
	s_load_b64 s[12:13], s[0:1], 0x18
	s_load_b128 s[44:47], s[0:1], 0x8
	s_mul_i32 s5, ttmp9, s5
	s_load_b256 s[36:43], s[0:1], 0x28
	s_add_co_i32 s4, s4, s5
	s_cmp_eq_u32 s2, 0
	s_load_b64 s[54:55], s[0:1], 0x50
	s_cselect_b32 s58, ttmp9, s4
	v_and_b32_e32 v22, 0x3ff, v0
	v_mov_b32_e32 v2, 0
	v_bfe_u32 v24, v0, 10, 10
                                        ; implicit-def: $vgpr212 : SGPR spill to VGPR lane
	s_mov_b32 s49, 0x3ff00000
	s_delay_alu instid0(VALU_DEP_3)
	v_dual_lshrrev_b32 v10, 10, v0 :: v_dual_lshlrev_b32 v1, 5, v22
	s_wait_kmcnt 0x0
	s_and_b32 s0, s3, 0xffff
	s_add_co_i32 s59, s59, -1
	s_add_co_i32 s1, s52, -1
	s_ashr_i32 s53, s52, 31
	s_ashr_i32 s2, s1, 31
	s_lshr_b32 s3, s53, 27
	s_lshr_b32 s2, s2, 27
	s_add_co_i32 s3, s52, s3
	s_add_co_i32 s1, s1, s2
	s_and_not1_b32 s3, s3, 31
	s_sub_co_i32 s95, s59, s58
	s_ashr_i32 s1, s1, 5
	s_sub_co_i32 s11, s52, s3
	s_cmp_eq_u32 s1, s95
	v_dual_mov_b32 v27, v2 :: v_dual_add_nc_u32 v4, 16, v24
	s_cselect_b32 s1, -1, 0
	s_cmp_lg_u32 s11, 0
	v_lshl_add_u32 v3, v24, 5, v22
	s_cselect_b32 s2, -1, 0
	v_add_nc_u32_e32 v8, v24, v1
	s_and_b32 s27, s2, s1
	v_lshl_add_u32 v9, v4, 5, v22
	s_xor_b32 s60, s27, -1
	s_cmp_lg_u32 s58, 0
	s_add_nc_u64 s[2:3], s[12:13], 1
	s_cselect_b32 s61, -1, 0
	s_lshl_b32 s16, s95, 5
	s_cmp_lt_i32 s58, 5
	v_dual_add_nc_u32 v5, s16, v24 :: v_dual_add_nc_u32 v1, v4, v1
	v_add_nc_u32_e32 v6, s16, v22
	s_cselect_b32 vcc_lo, -1, 0
	s_ashr_i32 s17, s16, 31
	s_delay_alu instid0(VALU_DEP_2) | instskip(SKIP_2) | instid1(VALU_DEP_2)
	v_dual_add_nc_u32 v28, 32, v5 :: v_dual_cndmask_b32 v8, v3, v8, vcc_lo
	v_lshrrev_b32_e32 v11, 1, v3
	s_or_b32 vcc_lo, vcc_lo, s27
	v_dual_ashrrev_i32 v7, 31, v6 :: v_dual_ashrrev_i32 v29, 31, v28
	v_dual_cndmask_b32 v9, v9, v1, vcc_lo :: v_dual_bitop2_b32 v1, 1, v0 bitop3:0x40
	s_mul_u64 s[14:15], s[2:3], s[16:17]
	v_cmp_gt_u32_e64 s1, 4, v3
	v_lshlrev_b32_e32 v48, 4, v22
	v_bitop3_b32 v13, v0, v10, 0x3ff bitop3:0xa8
	v_cmp_eq_u32_e64 s2, 1, v1
	v_lshlrev_b32_e32 v12, 4, v1
	v_lshl_add_u32 v23, v11, 4, 0x4000
	v_mul_u32_u24_e32 v47, 0x210, v11
	v_lshrrev_b32_e32 v1, 2, v3
	s_xor_b32 s3, s2, -1
	v_lshl_or_b32 v46, v11, 9, v12
	s_and_b32 s63, s3, s1
	s_and_b32 s64, s2, s1
	v_cmp_eq_u32_e64 s2, 0, v24
	v_cmp_gt_u32_e64 s3, 2, v22
	v_mad_u32_u24 v10, 0x1f0, v22, v48
	v_dual_lshlrev_b32 v12, 4, v1 :: v_dual_bitop2_b32 v11, 3, v0 bitop3:0x40
	v_mul_u32_u24_e32 v49, 0x210, v1
	s_and_b32 s65, s2, s3
	s_delay_alu instid0(VALU_DEP_2)
	v_dual_add_nc_u32 v51, 48, v10 :: v_dual_lshlrev_b32 v52, 4, v11
	v_mad_i32_i24 v53, 0xfffffe10, v22, v10
	v_cmp_gt_u32_e64 s3, 16, v3
	v_cmp_eq_u32_e64 s4, 0, v11
	v_cmp_ne_u32_e64 s5, 0, v11
	v_dual_add_nc_u32 v50, 32, v10 :: v_dual_sub_nc_u32 v14, v49, v12
	v_dual_mov_b32 v25, v2 :: v_dual_add_nc_u32 v54, 0x4000, v12
	v_lshl_or_b32 v55, v1, 9, v52
	v_cmp_eq_u32_e64 s6, 1, v11
	v_cmp_lt_u32_e64 s7, 1, v11
	v_cmp_eq_u32_e64 s8, 2, v11
	s_and_b32 s66, s4, s3
	s_and_b32 s67, s5, s3
	v_lshrrev_b32_e32 v1, 3, v3
	v_cmp_eq_u32_e64 s4, 3, v11
	v_cmp_gt_u32_e64 s5, 4, v22
	v_mad_u32_u24 v11, 0x1f0, v22, v53
	v_and_b32_e32 v12, 7, v0
	v_dual_add_nc_u32 v56, v14, v52 :: v_dual_lshlrev_b32 v14, 4, v1
	s_and_b32 s68, s6, s3
	v_mul_u32_u24_e32 v57, 0x210, v1
	s_and_b32 s71, s4, s3
	s_and_b32 s72, s2, s5
	v_add_nc_u32_e32 v58, 64, v11
	v_cmp_gt_u32_e64 s4, 64, v3
	v_cmp_eq_u32_e64 s5, 0, v12
	v_cmp_ne_u32_e64 s6, 0, v12
	s_and_b32 s69, s7, s3
	v_dual_lshlrev_b32 v59, 4, v12 :: v_dual_sub_nc_u32 v15, v57, v14
	v_cmp_eq_u32_e64 s7, 1, v12
	s_and_b32 s73, s5, s4
	s_and_b32 s74, s6, s4
	v_cmp_lt_u32_e64 s5, 2, v12
	v_cmp_eq_u32_e64 s6, 3, v12
	v_dual_add_nc_u32 v63, v15, v59 :: v_dual_bitop2_b32 v0, 15, v0 bitop3:0x40
	s_and_b32 s75, s7, s4
	v_cmp_lt_u32_e64 s7, 3, v12
	s_and_b32 s78, s5, s4
	s_and_b32 s79, s6, s4
	v_cmp_eq_u32_e64 s5, 5, v12
	v_cmp_lt_u32_e64 s6, 5, v12
	s_and_b32 s70, s8, s3
	v_cmp_lt_u32_e64 s8, 1, v12
	s_and_b32 s80, s7, s4
	v_cmp_eq_u32_e64 s7, 6, v12
	s_and_b32 s83, s5, s4
	s_and_b32 s84, s6, s4
	v_cmp_gt_u32_e64 s5, 0x100, v3
	v_cmp_eq_u32_e64 s6, 0, v0
	v_cmp_eq_u32_e64 s9, 2, v12
	s_and_b32 s76, s8, s4
	v_cmp_eq_u32_e64 s8, 4, v12
	s_and_b32 s85, s7, s4
	v_cmp_ne_u32_e64 s7, 0, v0
	s_and_b32 s6, s6, s5
	s_and_b32 s77, s9, s4
	v_writelane_b32 v212, s6, 0
	v_cmp_lt_u32_e64 s9, 4, v12
	s_and_b32 s81, s8, s4
	v_cmp_eq_u32_e64 s8, 7, v12
	v_cmp_eq_u32_e64 s6, 1, v0
	s_and_b32 s7, s7, s5
	s_and_b32 s82, s9, s4
	v_writelane_b32 v212, s7, 1
	v_cmp_gt_u32_e64 s9, 8, v22
	s_and_b32 s86, s8, s4
	v_cmp_lt_u32_e64 s8, 1, v0
	s_and_b32 s6, s6, s5
	v_cmp_lt_u32_e64 s10, 2, v0
	v_writelane_b32 v212, s6, 2
	s_and_b32 s87, s2, s9
	v_cmp_eq_u32_e64 s9, 2, v0
	s_and_b32 s6, s8, s5
	v_cmp_lt_u32_e64 s7, 3, v0
	v_writelane_b32 v212, s6, 3
	v_cmp_eq_u32_e64 s8, 4, v0
	s_and_b32 s6, s9, s5
	v_cmp_lt_u32_e64 s9, 4, v0
	v_lshl_or_b32 v62, v1, 9, v59
	v_writelane_b32 v212, s6, 4
	s_and_b32 s6, s10, s5
	v_cmp_eq_u32_e64 s10, 5, v0
	v_dual_lshlrev_b32 v1, 5, v3 :: v_dual_lshlrev_b32 v73, 4, v0
	v_writelane_b32 v212, s6, 5
	v_cmp_eq_u32_e64 s6, 3, v0
	v_mad_i32_i24 v86, 0xfffffe10, v22, v11
	s_xor_b32 s62, vcc_lo, -1
	v_cmp_gt_i32_e32 vcc_lo, s11, v22
	v_and_b32_e32 v72, 0xfffffe00, v1
	s_and_b32 s6, s6, s5
	v_mad_u32_u24 v26, v24, s0, v22
	v_writelane_b32 v212, s6, 6
	s_and_b32 s6, s7, s5
	v_cmp_eq_u32_e64 s7, 6, v0
	v_cmp_gt_i32_e64 s0, s52, v6
	v_mul_u64_e32 v[30:31], s[42:43], v[6:7]
	v_writelane_b32 v212, s6, 7
	s_and_b32 s6, s8, s5
	v_cmp_lt_u32_e64 s8, 6, v0
	v_add_nc_u32_e32 v60, 0x70, v11
	v_add_nc_u32_e32 v64, 0x80, v10
	v_writelane_b32 v212, s6, 8
	s_and_b32 s6, s9, s5
	v_cmp_eq_u32_e64 s9, 7, v0
	v_add_nc_u32_e32 v65, 0x90, v10
	v_add_nc_u32_e32 v66, 0xa0, v10
	v_writelane_b32 v212, s6, 9
	s_and_b32 s6, s10, s5
	v_cmp_lt_u32_e64 s10, 7, v0
	v_add_nc_u32_e32 v67, 0xb0, v10
	v_add_nc_u32_e32 v68, 0xc0, v10
	v_writelane_b32 v212, s6, 10
	v_cmp_lt_u32_e64 s6, 5, v0
	s_and_b32 s103, s10, s5
	v_cmp_eq_u32_e64 s10, 10, v0
	v_add_nc_u32_e32 v69, 0xd0, v10
	v_add_nc_u32_e32 v70, 0xe0, v10
	s_and_b32 s6, s6, s5
	v_add_nc_u32_e32 v71, 0xf0, v10
	v_writelane_b32 v212, s6, 11
	s_and_b32 s6, s7, s5
	v_cmp_lt_u32_e64 s7, 8, v0
	s_and_b32 s20, s10, s5
	v_cmp_lt_u32_e64 s10, 12, v0
	v_writelane_b32 v212, s6, 12
	s_and_b32 s6, s8, s5
	v_cmp_eq_u32_e64 s8, 9, v0
	s_and_b32 vcc_hi, s7, s5
	v_cmp_eq_u32_e64 s7, 11, v0
	v_writelane_b32 v212, s6, 13
	s_and_b32 s6, s9, s5
	v_cmp_lt_u32_e64 s9, 9, v0
	s_and_b32 s18, s8, s5
	v_cmp_lt_u32_e64 s8, 11, v0
	v_writelane_b32 v212, s6, 14
	v_cmp_eq_u32_e64 s6, 8, v0
	s_and_b32 s19, s9, s5
	v_cmp_eq_u32_e64 s9, 12, v0
	s_and_b32 s23, s8, s5
	;; [unrolled: 2-line block ×3, first 2 shown]
	v_cmp_lt_u32_e64 s6, 10, v0
	s_and_b32 s22, s7, s5
	s_and_b32 s24, s9, s5
	;; [unrolled: 1-line block ×3, first 2 shown]
	v_cmp_lt_u32_e64 s7, 13, v0
	s_and_b32 s21, s6, s5
	v_cmp_eq_u32_e64 s6, 13, v0
	v_cmp_eq_u32_e64 s9, 15, v0
	v_cmp_gt_u32_e64 s10, 16, v22
	v_dual_add_nc_u32 v0, 48, v5 :: v_dual_lshlrev_b32 v5, 9, v22
	s_and_b32 s26, s6, s5
	v_cmp_le_i32_e64 s6, s11, v22
	s_and_b32 s89, s8, s5
	s_and_b32 s88, s7, s5
	;; [unrolled: 1-line block ×5, first 2 shown]
	v_cmp_gt_i32_e64 s7, s52, v0
	s_xor_b32 s8, s92, -1
	v_mad_u32_u24 v0, 0x1f0, v22, v86
	s_and_b32 s93, s2, s8
	s_cmp_gt_i32 s58, 0
	v_cmp_le_i32_e64 s8, s11, v24
	s_cselect_b32 s94, -1, 0
	v_cmp_le_i32_e64 s9, s11, v4
	s_and_b32 s11, s2, vcc_lo
	v_cmp_gt_u32_e64 s27, 0xf0, v3
	v_writelane_b32 v212, s11, 15
	v_mad_i32_i24 v97, 0xfffffe10, v22, v0
	v_add_nc_u32_e32 v95, 0x860, v0
	v_add_nc_u32_e32 v96, 0x870, v0
	;; [unrolled: 1-line block ×3, first 2 shown]
	v_writelane_b32 v212, s27, 16
	v_cmp_gt_u32_e64 s27, 0xe0, v3
	v_mad_u32_u24 v1, 0x1f0, v22, v97
	v_add_nc_u32_e32 v99, 0x10f0, v0
	v_add_nc_u32_e32 v100, 0x10e0, v0
	;; [unrolled: 1-line block ×3, first 2 shown]
	v_writelane_b32 v212, s27, 17
	v_cmp_gt_u32_e64 s27, 0xd0, v3
	v_add_nc_u32_e32 v102, 0x2960, v0
	v_add_nc_u32_e32 v103, 0x2970, v0
	;; [unrolled: 1-line block ×6, first 2 shown]
	v_mad_i32_i24 v0, 0xfffffe10, v22, v1
	v_writelane_b32 v212, s27, 18
	v_cmp_gt_u32_e64 s27, 0xc0, v3
	v_add_nc_u32_e32 v108, 0x18e0, v1
	v_add_nc_u32_e32 v109, 0x18f0, v1
	;; [unrolled: 1-line block ×8, first 2 shown]
	v_mul_u64_e32 v[0:1], s[12:13], v[6:7]
	v_dual_lshlrev_b32 v6, 4, v24 :: v_dual_lshlrev_b32 v151, 4, v9
	v_writelane_b32 v212, s27, 19
	v_cmp_gt_u32_e64 s27, 0xb0, v3
	v_add_nc_u32_e32 v74, 0x2120, v10
	s_delay_alu instid0(VALU_DEP_4)
	v_dual_add_nc_u32 v132, v5, v6 :: v_dual_lshlrev_b32 v150, 4, v8
	v_add_nc_u32_e32 v133, 0x6000, v6
	v_add_nc_u64_e32 v[6:7], s[16:17], v[26:27]
	v_add_nc_u32_e32 v75, 0x2130, v10
	v_add_nc_u32_e32 v76, 0x2180, v10
	;; [unrolled: 1-line block ×9, first 2 shown]
	v_or_b32_e32 v116, 0x100, v5
	v_mad_i32_i24 v10, 0xfffffe10, v22, v5
	v_or_b32_e32 v117, 0x110, v5
	v_or_b32_e32 v118, 0x120, v5
	;; [unrolled: 1-line block ×15, first 2 shown]
	v_mov_b32_e32 v5, v2
	v_writelane_b32 v212, s27, 20
	v_cmp_gt_u32_e64 s27, 0xa0, v3
	v_mul_u64_e32 v[32:33], s[42:43], v[6:7]
	v_mul_u64_e32 v[36:37], s[12:13], v[24:25]
	;; [unrolled: 1-line block ×3, first 2 shown]
	v_cmp_gt_i32_e64 s10, s52, v28
	v_writelane_b32 v212, s27, 21
	v_cmp_gt_u32_e64 s27, 0x90, v3
	s_or_b32 s8, s8, s6
	s_or_b32 s9, s9, s6
	v_cmp_le_u32_e64 s6, v22, v24
	s_and_b32 s16, s7, s0
	v_writelane_b32 v212, s27, 22
	v_cmp_gt_u32_e64 s27, 0x80, v3
	v_dual_add_nc_u32 v202, v133, v48 :: v_dual_bitop2_b32 v8, v4, v22 bitop3:0x54
	v_dual_lshlrev_b32 v38, 4, v22 :: v_dual_bitop2_b32 v170, -16, v3 bitop3:0x40
	s_delay_alu instid0(VALU_DEP_3)
	v_writelane_b32 v212, s27, 23
	v_cmp_gt_u32_e64 s27, 0x70, v3
	v_cmp_le_u32_e64 s7, v22, v4
	v_add_nc_u32_e32 v61, 0x4000, v14
	v_add_nc_u32_e32 v84, 0x60, v11
	;; [unrolled: 1-line block ×3, first 2 shown]
	v_writelane_b32 v212, s27, 24
	v_cmp_gt_u32_e64 s27, 0x60, v3
	v_add_nc_u32_e32 v87, 0x10a0, v11
	v_add_nc_u32_e32 v88, 0x10b0, v11
	;; [unrolled: 1-line block ×4, first 2 shown]
	v_writelane_b32 v212, s27, 25
	v_cmp_gt_u32_e64 s27, 0x50, v3
	v_add_nc_u32_e32 v91, 0x2160, v11
	v_add_nc_u32_e32 v92, 0x2150, v11
	;; [unrolled: 1-line block ×20, first 2 shown]
	v_lshl_add_u32 v149, v24, 9, v10
	s_and_b32 s17, s10, s0
	s_or_b32 s96, s8, s6
	v_add_nc_u32_e32 v152, 0x400, v53
	v_add_nc_u32_e32 v153, 0x600, v53
	;; [unrolled: 1-line block ×23, first 2 shown]
	v_or_b32_e32 v176, v72, v73
	v_add_nc_u32_e32 v177, 0x2500, v53
	v_add_nc_u32_e32 v178, 0x2700, v53
	;; [unrolled: 1-line block ×22, first 2 shown]
	v_lshl_add_u32 v199, v26, 4, 0x6000
	v_lshl_add_u32 v200, v3, 4, 0x4000
	v_add_nc_u32_e32 v201, 0x4000, v48
	s_or_b32 s97, s9, s7
	s_lshl_b64 s[56:57], s[14:15], 4
	v_add_nc_u32_e32 v203, 0x3c00, v48
	v_subrev_nc_u32_e32 v25, 31, v22
	v_cmp_gt_u32_e64 s8, 2, v3
	v_cmp_gt_u32_e64 s9, 12, v3
	;; [unrolled: 1-line block ×8, first 2 shown]
	v_writelane_b32 v212, s27, 26
	v_cmp_eq_u32_e64 s27, 0, v13
	v_cmp_gt_u32_e64 s28, 32, v13
	v_cmp_gt_u32_e64 s29, 32, v8
	v_cmp_eq_u32_e64 s30, 0, v26
	v_cmp_gt_u32_e64 s31, 32, v26
	s_add_co_i32 s95, s95, 1
	s_lshl_b64 s[46:47], s[46:47], 4
	s_lshl_b64 s[40:41], s[40:41], 4
                                        ; implicit-def: $vgpr6_vgpr7
                                        ; implicit-def: $vgpr10_vgpr11
	s_branch .LBB177_3
.LBB177_2:                              ;   in Loop: Header=BB177_3 Depth=1
	s_wait_xcnt 0x0
	s_or_b32 exec_lo, exec_lo, s48
	s_add_co_i32 s34, s34, 0x10000
	global_wb scope:SCOPE_DEV
	s_wait_storecnt 0x0
	global_inv scope:SCOPE_DEV
	s_cmp_lt_u32 s34, s33
	s_cbranch_scc0 .LBB177_542
.LBB177_3:                              ; =>This Loop Header: Depth=1
                                        ;     Child Loop BB177_453 Depth 2
                                        ;       Child Loop BB177_455 Depth 3
                                        ;     Child Loop BB177_486 Depth 2
	v_mov_b32_e32 v3, s34
	s_and_not1_b32 vcc_lo, exec_lo, s61
	s_clause 0x1
	global_load_b64 v[4:5], v3, s[44:45] scale_offset
	global_load_b64 v[42:43], v3, s[38:39] scale_offset
	global_load_b128 v[14:17], v2, s[36:37]
	s_wait_loadcnt 0x2
	v_add_nc_u64_e32 v[4:5], s[46:47], v[4:5]
	s_delay_alu instid0(VALU_DEP_1)
	v_lshl_add_u64 v[40:41], v[0:1], 4, v[4:5]
	s_cbranch_vccnz .LBB177_9
; %bb.4:                                ;   in Loop: Header=BB177_3 Depth=1
	v_mov_b64_e32 v[12:13], 0
	v_mov_b64_e32 v[6:7], 0
	;; [unrolled: 1-line block ×3, first 2 shown]
	v_lshl_add_u64 v[18:19], v[28:29], 4, v[40:41]
	s_wait_loadcnt 0x0
	s_barrier_signal -1
	s_barrier_wait -1
	s_wait_xcnt 0x0
	s_and_saveexec_b32 s48, s17
	s_cbranch_execz .LBB177_6
; %bb.5:                                ;   in Loop: Header=BB177_3 Depth=1
	flat_load_b128 v[6:9], v[18:19]
.LBB177_6:                              ;   in Loop: Header=BB177_3 Depth=1
	s_wait_xcnt 0x0
	s_or_b32 exec_lo, exec_lo, s48
	v_mov_b64_e32 v[10:11], 0
	s_wait_loadcnt_dscnt 0x0
	s_barrier_signal -1
	s_barrier_wait -1
	s_and_saveexec_b32 s48, s16
	s_cbranch_execz .LBB177_8
; %bb.7:                                ;   in Loop: Header=BB177_3 Depth=1
	flat_load_b128 v[10:13], v[18:19] offset:256
.LBB177_8:                              ;   in Loop: Header=BB177_3 Depth=1
	s_wait_xcnt 0x0
	s_or_b32 exec_lo, exec_lo, s48
.LBB177_9:                              ;   in Loop: Header=BB177_3 Depth=1
	v_add_nc_u64_e32 v[4:5], s[56:57], v[4:5]
	v_mov_b32_e32 v39, v2
	s_and_not1_b32 vcc_lo, exec_lo, s60
	s_mov_b32 s48, -1
	s_delay_alu instid0(VALU_DEP_1)
	v_add_nc_u64_e32 v[18:19], v[4:5], v[38:39]
	s_cbranch_vccnz .LBB177_16
; %bb.10:                               ;   in Loop: Header=BB177_3 Depth=1
	s_wait_xcnt 0x0
	s_and_saveexec_b32 s48, s6
	s_delay_alu instid0(SALU_CYCLE_1)
	s_xor_b32 s48, exec_lo, s48
	s_cbranch_execnz .LBB177_500
; %bb.11:                               ;   in Loop: Header=BB177_3 Depth=1
	s_and_not1_saveexec_b32 s48, s48
	s_cbranch_execnz .LBB177_503
.LBB177_12:                             ;   in Loop: Header=BB177_3 Depth=1
	s_or_b32 exec_lo, exec_lo, s48
	s_and_saveexec_b32 s48, s7
	s_delay_alu instid0(SALU_CYCLE_1)
	s_xor_b32 s48, exec_lo, s48
	s_cbranch_execnz .LBB177_504
.LBB177_13:                             ;   in Loop: Header=BB177_3 Depth=1
	s_and_not1_saveexec_b32 s48, s48
	s_cbranch_execz .LBB177_15
.LBB177_14:                             ;   in Loop: Header=BB177_3 Depth=1
	v_lshl_add_u64 v[4:5], v[34:35], 4, v[18:19]
	flat_load_b128 v[204:207], v[4:5]
	s_wait_loadcnt_dscnt 0x0
	v_xor_b32_e32 v205, 0x80000000, v205
	ds_store_b128 v151, v[204:207]
.LBB177_15:                             ;   in Loop: Header=BB177_3 Depth=1
	s_or_b32 exec_lo, exec_lo, s48
	s_mov_b32 s48, 0
.LBB177_16:                             ;   in Loop: Header=BB177_3 Depth=1
	s_delay_alu instid0(SALU_CYCLE_1)
	s_and_b32 vcc_lo, exec_lo, s48
	s_cbranch_vccz .LBB177_23
; %bb.17:                               ;   in Loop: Header=BB177_3 Depth=1
	s_wait_xcnt 0x0
	s_and_saveexec_b32 s48, s96
	s_delay_alu instid0(SALU_CYCLE_1)
	s_xor_b32 s48, exec_lo, s48
	s_cbranch_execnz .LBB177_507
; %bb.18:                               ;   in Loop: Header=BB177_3 Depth=1
	s_and_not1_saveexec_b32 s48, s48
	s_cbranch_execnz .LBB177_510
.LBB177_19:                             ;   in Loop: Header=BB177_3 Depth=1
	s_or_b32 exec_lo, exec_lo, s48
	s_and_saveexec_b32 s48, s97
	s_delay_alu instid0(SALU_CYCLE_1)
	s_xor_b32 s48, exec_lo, s48
	s_cbranch_execnz .LBB177_511
.LBB177_20:                             ;   in Loop: Header=BB177_3 Depth=1
	s_and_not1_saveexec_b32 s48, s48
	s_cbranch_execz .LBB177_22
.LBB177_21:                             ;   in Loop: Header=BB177_3 Depth=1
	v_lshl_add_u64 v[4:5], v[34:35], 4, v[18:19]
	flat_load_b128 v[18:21], v[4:5]
	s_wait_loadcnt_dscnt 0x0
	v_xor_b32_e32 v19, 0x80000000, v19
	ds_store_b128 v151, v[18:21]
.LBB177_22:                             ;   in Loop: Header=BB177_3 Depth=1
	s_or_b32 exec_lo, exec_lo, s48
.LBB177_23:                             ;   in Loop: Header=BB177_3 Depth=1
	s_delay_alu instid0(SALU_CYCLE_1)
	s_and_not1_b32 vcc_lo, exec_lo, s62
	s_wait_loadcnt_dscnt 0x0
	s_barrier_signal -1
	s_barrier_wait -1
	s_cbranch_vccnz .LBB177_447
; %bb.24:                               ;   in Loop: Header=BB177_3 Depth=1
	s_wait_xcnt 0x0
	s_and_saveexec_b32 s98, s27
	s_cbranch_execz .LBB177_26
; %bb.25:                               ;   in Loop: Header=BB177_3 Depth=1
	s_mov_b32 s48, s35
	s_mov_b32 s50, s35
	;; [unrolled: 1-line block ×3, first 2 shown]
	v_mov_b64_e32 v[18:19], s[48:49]
	v_mov_b64_e32 v[20:21], s[50:51]
	ds_store_b128 v2, v[18:21]
	ds_store_b128 v2, v[18:21] offset:528
	ds_load_b128 v[18:21], v2 offset:16
	s_wait_dscnt 0x0
	ds_store_b128 v2, v[18:21] offset:512
.LBB177_26:                             ;   in Loop: Header=BB177_3 Depth=1
	s_or_b32 exec_lo, exec_lo, s98
	v_mov_b64_e32 v[20:21], 0
	v_mov_b64_e32 v[18:19], 0
	s_wait_dscnt 0x0
	s_barrier_signal -1
	s_barrier_wait -1
	s_and_saveexec_b32 s48, s1
	s_cbranch_execz .LBB177_30
; %bb.27:                               ;   in Loop: Header=BB177_3 Depth=1
	ds_load_b128 v[18:21], v47
	ds_load_b128 v[204:207], v46 offset:32
	s_wait_dscnt 0x0
	v_mul_f64_e32 v[4:5], v[20:21], v[206:207]
	v_mul_f64_e32 v[44:45], v[18:19], v[206:207]
	s_delay_alu instid0(VALU_DEP_2) | instskip(NEXT) | instid1(VALU_DEP_2)
	v_fma_f64 v[4:5], v[18:19], v[204:205], -v[4:5]
	v_fmac_f64_e32 v[44:45], v[20:21], v[204:205]
	s_delay_alu instid0(VALU_DEP_2) | instskip(NEXT) | instid1(VALU_DEP_2)
	v_add_f64_e32 v[18:19], 0, v[4:5]
	v_add_f64_e32 v[20:21], 0, v[44:45]
	s_and_saveexec_b32 s50, s8
	s_cbranch_execz .LBB177_29
; %bb.28:                               ;   in Loop: Header=BB177_3 Depth=1
	ds_load_b128 v[204:207], v2 offset:16
	ds_load_b128 v[208:211], v48 offset:544
	s_wait_dscnt 0x0
	v_mul_f64_e32 v[4:5], v[206:207], v[210:211]
	v_mul_f64_e32 v[44:45], v[204:205], v[210:211]
	s_delay_alu instid0(VALU_DEP_2) | instskip(NEXT) | instid1(VALU_DEP_2)
	v_fma_f64 v[4:5], v[204:205], v[208:209], -v[4:5]
	v_fmac_f64_e32 v[44:45], v[206:207], v[208:209]
	s_delay_alu instid0(VALU_DEP_2) | instskip(NEXT) | instid1(VALU_DEP_2)
	v_add_f64_e32 v[18:19], v[18:19], v[4:5]
	v_add_f64_e32 v[20:21], v[20:21], v[44:45]
.LBB177_29:                             ;   in Loop: Header=BB177_3 Depth=1
	s_or_b32 exec_lo, exec_lo, s50
	s_delay_alu instid0(VALU_DEP_2) | instskip(NEXT) | instid1(VALU_DEP_2)
	v_xor_b32_e32 v19, 0x80000000, v19
	v_xor_b32_e32 v21, 0x80000000, v21
.LBB177_30:                             ;   in Loop: Header=BB177_3 Depth=1
	s_or_b32 exec_lo, exec_lo, s48
	s_and_saveexec_b32 s48, s63
; %bb.31:                               ;   in Loop: Header=BB177_3 Depth=1
	ds_store_b128 v23, v[18:21]
; %bb.32:                               ;   in Loop: Header=BB177_3 Depth=1
	s_or_b32 exec_lo, exec_lo, s48
	s_wait_dscnt 0x0
	s_barrier_signal -1
	s_barrier_wait -1
	s_and_saveexec_b32 s48, s64
	s_cbranch_execz .LBB177_34
; %bb.33:                               ;   in Loop: Header=BB177_3 Depth=1
	ds_load_b128 v[204:207], v23
	ds_load_b128 v[208:211], v2 offset:1072
	s_wait_dscnt 0x0
	v_mul_f64_e32 v[4:5], v[206:207], v[210:211]
	v_mul_f64_e32 v[44:45], v[204:205], v[210:211]
	s_delay_alu instid0(VALU_DEP_2) | instskip(NEXT) | instid1(VALU_DEP_2)
	v_fma_f64 v[4:5], v[204:205], v[208:209], -v[4:5]
	v_fmac_f64_e32 v[44:45], v[206:207], v[208:209]
	s_delay_alu instid0(VALU_DEP_2) | instskip(NEXT) | instid1(VALU_DEP_2)
	v_add_f64_e32 v[18:19], v[18:19], v[4:5]
	v_add_f64_e32 v[20:21], v[20:21], v[44:45]
.LBB177_34:                             ;   in Loop: Header=BB177_3 Depth=1
	s_or_b32 exec_lo, exec_lo, s48
	s_barrier_signal -1
	s_barrier_wait -1
	s_and_saveexec_b32 s48, s64
; %bb.35:                               ;   in Loop: Header=BB177_3 Depth=1
	ds_store_b128 v23, v[18:21]
; %bb.36:                               ;   in Loop: Header=BB177_3 Depth=1
	s_or_b32 exec_lo, exec_lo, s48
	s_wait_dscnt 0x0
	s_barrier_signal -1
	s_barrier_wait -1
	s_barrier_signal -1
	s_barrier_wait -1
	s_and_saveexec_b32 s48, s1
; %bb.37:                               ;   in Loop: Header=BB177_3 Depth=1
	v_xor_b32_e32 v19, 0x80000000, v19
	v_xor_b32_e32 v21, 0x80000000, v21
	ds_store_b128 v46, v[18:21] offset:32
; %bb.38:                               ;   in Loop: Header=BB177_3 Depth=1
	s_or_b32 exec_lo, exec_lo, s48
	s_wait_dscnt 0x0
	s_barrier_signal -1
	s_barrier_wait -1
	s_barrier_signal -1
	s_barrier_wait -1
	s_and_saveexec_b32 s48, s65
	s_cbranch_execz .LBB177_40
; %bb.39:                               ;   in Loop: Header=BB177_3 Depth=1
	ds_load_b128 v[18:21], v50
	s_wait_dscnt 0x0
	ds_store_b128 v152, v[18:21]
	ds_load_b128 v[18:21], v51
	s_wait_dscnt 0x0
	ds_store_b128 v153, v[18:21]
.LBB177_40:                             ;   in Loop: Header=BB177_3 Depth=1
	s_or_b32 exec_lo, exec_lo, s48
	s_wait_dscnt 0x0
	s_barrier_signal -1
	s_barrier_wait -1
	s_and_saveexec_b32 s98, s27
	s_cbranch_execz .LBB177_42
; %bb.41:                               ;   in Loop: Header=BB177_3 Depth=1
	s_mov_b32 s48, s35
	s_mov_b32 s50, s35
	;; [unrolled: 1-line block ×3, first 2 shown]
	v_mov_b64_e32 v[18:19], s[48:49]
	v_mov_b64_e32 v[20:21], s[50:51]
	ds_store_b128 v2, v[18:21] offset:1056
	ds_store_b128 v2, v[18:21] offset:1584
	ds_load_b128 v[18:21], v2 offset:1072
	s_wait_dscnt 0x0
	ds_store_b128 v2, v[18:21] offset:1568
.LBB177_42:                             ;   in Loop: Header=BB177_3 Depth=1
	s_or_b32 exec_lo, exec_lo, s98
	v_mov_b64_e32 v[20:21], 0
	v_mov_b64_e32 v[18:19], 0
	s_wait_dscnt 0x0
	s_barrier_signal -1
	s_barrier_wait -1
	s_and_saveexec_b32 s48, s3
	s_cbranch_execz .LBB177_48
; %bb.43:                               ;   in Loop: Header=BB177_3 Depth=1
	ds_load_b128 v[18:21], v49
	ds_load_b128 v[204:207], v55 offset:64
	s_wait_dscnt 0x0
	v_mul_f64_e32 v[4:5], v[20:21], v[206:207]
	v_mul_f64_e32 v[44:45], v[18:19], v[206:207]
	s_delay_alu instid0(VALU_DEP_2) | instskip(NEXT) | instid1(VALU_DEP_2)
	v_fma_f64 v[4:5], v[18:19], v[204:205], -v[4:5]
	v_fmac_f64_e32 v[44:45], v[20:21], v[204:205]
	s_delay_alu instid0(VALU_DEP_2) | instskip(NEXT) | instid1(VALU_DEP_2)
	v_add_f64_e32 v[18:19], 0, v[4:5]
	v_add_f64_e32 v[20:21], 0, v[44:45]
	s_and_saveexec_b32 s50, s9
	s_cbranch_execnz .LBB177_518
; %bb.44:                               ;   in Loop: Header=BB177_3 Depth=1
	s_or_b32 exec_lo, exec_lo, s50
	s_and_saveexec_b32 s50, s10
	s_cbranch_execnz .LBB177_519
.LBB177_45:                             ;   in Loop: Header=BB177_3 Depth=1
	s_or_b32 exec_lo, exec_lo, s50
	s_and_saveexec_b32 s50, s1
	s_cbranch_execz .LBB177_47
.LBB177_46:                             ;   in Loop: Header=BB177_3 Depth=1
	ds_load_b128 v[204:207], v2 offset:48
	ds_load_b128 v[208:211], v53 offset:1600
	s_wait_dscnt 0x0
	v_mul_f64_e32 v[4:5], v[206:207], v[210:211]
	v_mul_f64_e32 v[44:45], v[204:205], v[210:211]
	s_delay_alu instid0(VALU_DEP_2) | instskip(NEXT) | instid1(VALU_DEP_2)
	v_fma_f64 v[4:5], v[204:205], v[208:209], -v[4:5]
	v_fmac_f64_e32 v[44:45], v[206:207], v[208:209]
	s_delay_alu instid0(VALU_DEP_2) | instskip(NEXT) | instid1(VALU_DEP_2)
	v_add_f64_e32 v[18:19], v[18:19], v[4:5]
	v_add_f64_e32 v[20:21], v[20:21], v[44:45]
.LBB177_47:                             ;   in Loop: Header=BB177_3 Depth=1
	s_or_b32 exec_lo, exec_lo, s50
	s_delay_alu instid0(VALU_DEP_2) | instskip(NEXT) | instid1(VALU_DEP_2)
	v_xor_b32_e32 v19, 0x80000000, v19
	v_xor_b32_e32 v21, 0x80000000, v21
.LBB177_48:                             ;   in Loop: Header=BB177_3 Depth=1
	s_or_b32 exec_lo, exec_lo, s48
	s_and_saveexec_b32 s48, s66
; %bb.49:                               ;   in Loop: Header=BB177_3 Depth=1
	ds_store_b128 v54, v[18:21]
; %bb.50:                               ;   in Loop: Header=BB177_3 Depth=1
	s_or_b32 exec_lo, exec_lo, s48
	s_wait_dscnt 0x0
	s_barrier_signal -1
	s_barrier_wait -1
	s_and_saveexec_b32 s48, s67
	s_cbranch_execz .LBB177_52
; %bb.51:                               ;   in Loop: Header=BB177_3 Depth=1
	ds_load_b128 v[204:207], v54
	ds_load_b128 v[208:211], v52 offset:2112
	s_wait_dscnt 0x0
	v_mul_f64_e32 v[4:5], v[206:207], v[210:211]
	v_mul_f64_e32 v[44:45], v[204:205], v[210:211]
	s_delay_alu instid0(VALU_DEP_2) | instskip(NEXT) | instid1(VALU_DEP_2)
	v_fma_f64 v[4:5], v[204:205], v[208:209], -v[4:5]
	v_fmac_f64_e32 v[44:45], v[206:207], v[208:209]
	s_delay_alu instid0(VALU_DEP_2) | instskip(NEXT) | instid1(VALU_DEP_2)
	v_add_f64_e32 v[18:19], v[18:19], v[4:5]
	v_add_f64_e32 v[20:21], v[20:21], v[44:45]
.LBB177_52:                             ;   in Loop: Header=BB177_3 Depth=1
	s_or_b32 exec_lo, exec_lo, s48
	s_barrier_signal -1
	s_barrier_wait -1
	s_and_saveexec_b32 s48, s68
; %bb.53:                               ;   in Loop: Header=BB177_3 Depth=1
	ds_store_b128 v54, v[18:21]
; %bb.54:                               ;   in Loop: Header=BB177_3 Depth=1
	s_or_b32 exec_lo, exec_lo, s48
	s_wait_dscnt 0x0
	s_barrier_signal -1
	s_barrier_wait -1
	s_and_saveexec_b32 s48, s69
	s_cbranch_execz .LBB177_56
; %bb.55:                               ;   in Loop: Header=BB177_3 Depth=1
	ds_load_b128 v[204:207], v54
	ds_load_b128 v[208:211], v52 offset:2624
	s_wait_dscnt 0x0
	v_mul_f64_e32 v[4:5], v[206:207], v[210:211]
	v_mul_f64_e32 v[44:45], v[204:205], v[210:211]
	s_delay_alu instid0(VALU_DEP_2) | instskip(NEXT) | instid1(VALU_DEP_2)
	v_fma_f64 v[4:5], v[204:205], v[208:209], -v[4:5]
	v_fmac_f64_e32 v[44:45], v[206:207], v[208:209]
	s_delay_alu instid0(VALU_DEP_2) | instskip(NEXT) | instid1(VALU_DEP_2)
	v_add_f64_e32 v[18:19], v[18:19], v[4:5]
	v_add_f64_e32 v[20:21], v[20:21], v[44:45]
.LBB177_56:                             ;   in Loop: Header=BB177_3 Depth=1
	s_or_b32 exec_lo, exec_lo, s48
	s_barrier_signal -1
	s_barrier_wait -1
	;; [unrolled: 26-line block ×3, first 2 shown]
	s_and_saveexec_b32 s48, s71
; %bb.61:                               ;   in Loop: Header=BB177_3 Depth=1
	ds_store_b128 v54, v[18:21]
; %bb.62:                               ;   in Loop: Header=BB177_3 Depth=1
	s_or_b32 exec_lo, exec_lo, s48
	s_wait_dscnt 0x0
	s_barrier_signal -1
	s_barrier_wait -1
	s_barrier_signal -1
	s_barrier_wait -1
	s_and_saveexec_b32 s48, s3
; %bb.63:                               ;   in Loop: Header=BB177_3 Depth=1
	v_xor_b32_e32 v21, 0x80000000, v21
	v_xor_b32_e32 v19, 0x80000000, v19
	ds_store_b128 v55, v[18:21] offset:64
; %bb.64:                               ;   in Loop: Header=BB177_3 Depth=1
	s_or_b32 exec_lo, exec_lo, s48
	s_wait_dscnt 0x0
	s_barrier_signal -1
	s_barrier_wait -1
	s_barrier_signal -1
	s_barrier_wait -1
	s_and_saveexec_b32 s48, s72
	s_cbranch_execz .LBB177_66
; %bb.65:                               ;   in Loop: Header=BB177_3 Depth=1
	ds_load_b128 v[18:21], v58
	s_wait_dscnt 0x0
	ds_store_b128 v154, v[18:21]
	ds_load_b128 v[18:21], v85
	s_wait_dscnt 0x0
	ds_store_b128 v157, v[18:21]
	;; [unrolled: 3-line block ×4, first 2 shown]
.LBB177_66:                             ;   in Loop: Header=BB177_3 Depth=1
	s_or_b32 exec_lo, exec_lo, s48
	s_wait_dscnt 0x0
	s_barrier_signal -1
	s_barrier_wait -1
	s_and_saveexec_b32 s98, s27
	s_cbranch_execz .LBB177_68
; %bb.67:                               ;   in Loop: Header=BB177_3 Depth=1
	s_mov_b32 s48, s35
	s_mov_b32 s50, s35
	;; [unrolled: 1-line block ×3, first 2 shown]
	v_mov_b64_e32 v[18:19], s[48:49]
	v_mov_b64_e32 v[20:21], s[50:51]
	ds_store_b128 v2, v[18:21] offset:2112
	ds_store_b128 v2, v[18:21] offset:2640
	ds_load_b128 v[18:21], v2 offset:2128
	s_wait_dscnt 0x0
	ds_store_b128 v2, v[18:21] offset:2624
.LBB177_68:                             ;   in Loop: Header=BB177_3 Depth=1
	s_or_b32 exec_lo, exec_lo, s98
	v_mov_b64_e32 v[20:21], 0
	v_mov_b64_e32 v[18:19], 0
	s_wait_dscnt 0x0
	s_barrier_signal -1
	s_barrier_wait -1
	s_and_saveexec_b32 s48, s1
	s_cbranch_execz .LBB177_72
; %bb.69:                               ;   in Loop: Header=BB177_3 Depth=1
	ds_load_b128 v[18:21], v47 offset:2112
	ds_load_b128 v[204:207], v46 offset:2144
	s_wait_dscnt 0x0
	v_mul_f64_e32 v[4:5], v[20:21], v[206:207]
	v_mul_f64_e32 v[44:45], v[18:19], v[206:207]
	s_delay_alu instid0(VALU_DEP_2) | instskip(NEXT) | instid1(VALU_DEP_2)
	v_fma_f64 v[4:5], v[18:19], v[204:205], -v[4:5]
	v_fmac_f64_e32 v[44:45], v[20:21], v[204:205]
	s_delay_alu instid0(VALU_DEP_2) | instskip(NEXT) | instid1(VALU_DEP_2)
	v_add_f64_e32 v[18:19], 0, v[4:5]
	v_add_f64_e32 v[20:21], 0, v[44:45]
	s_and_saveexec_b32 s50, s8
	s_cbranch_execz .LBB177_71
; %bb.70:                               ;   in Loop: Header=BB177_3 Depth=1
	ds_load_b128 v[204:207], v2 offset:2128
	ds_load_b128 v[208:211], v86 offset:2656
	s_wait_dscnt 0x0
	v_mul_f64_e32 v[4:5], v[206:207], v[210:211]
	v_mul_f64_e32 v[44:45], v[204:205], v[210:211]
	s_delay_alu instid0(VALU_DEP_2) | instskip(NEXT) | instid1(VALU_DEP_2)
	v_fma_f64 v[4:5], v[204:205], v[208:209], -v[4:5]
	v_fmac_f64_e32 v[44:45], v[206:207], v[208:209]
	s_delay_alu instid0(VALU_DEP_2) | instskip(NEXT) | instid1(VALU_DEP_2)
	v_add_f64_e32 v[18:19], v[18:19], v[4:5]
	v_add_f64_e32 v[20:21], v[20:21], v[44:45]
.LBB177_71:                             ;   in Loop: Header=BB177_3 Depth=1
	s_or_b32 exec_lo, exec_lo, s50
	s_delay_alu instid0(VALU_DEP_2) | instskip(NEXT) | instid1(VALU_DEP_2)
	v_xor_b32_e32 v19, 0x80000000, v19
	v_xor_b32_e32 v21, 0x80000000, v21
.LBB177_72:                             ;   in Loop: Header=BB177_3 Depth=1
	s_or_b32 exec_lo, exec_lo, s48
	s_and_saveexec_b32 s48, s63
; %bb.73:                               ;   in Loop: Header=BB177_3 Depth=1
	ds_store_b128 v23, v[18:21]
; %bb.74:                               ;   in Loop: Header=BB177_3 Depth=1
	s_or_b32 exec_lo, exec_lo, s48
	s_wait_dscnt 0x0
	s_barrier_signal -1
	s_barrier_wait -1
	s_and_saveexec_b32 s48, s64
	s_cbranch_execz .LBB177_76
; %bb.75:                               ;   in Loop: Header=BB177_3 Depth=1
	ds_load_b128 v[204:207], v23
	ds_load_b128 v[208:211], v2 offset:3184
	s_wait_dscnt 0x0
	v_mul_f64_e32 v[4:5], v[206:207], v[210:211]
	v_mul_f64_e32 v[44:45], v[204:205], v[210:211]
	s_delay_alu instid0(VALU_DEP_2) | instskip(NEXT) | instid1(VALU_DEP_2)
	v_fma_f64 v[4:5], v[204:205], v[208:209], -v[4:5]
	v_fmac_f64_e32 v[44:45], v[206:207], v[208:209]
	s_delay_alu instid0(VALU_DEP_2) | instskip(NEXT) | instid1(VALU_DEP_2)
	v_add_f64_e32 v[18:19], v[18:19], v[4:5]
	v_add_f64_e32 v[20:21], v[20:21], v[44:45]
.LBB177_76:                             ;   in Loop: Header=BB177_3 Depth=1
	s_or_b32 exec_lo, exec_lo, s48
	s_barrier_signal -1
	s_barrier_wait -1
	s_and_saveexec_b32 s48, s64
; %bb.77:                               ;   in Loop: Header=BB177_3 Depth=1
	ds_store_b128 v23, v[18:21]
; %bb.78:                               ;   in Loop: Header=BB177_3 Depth=1
	s_or_b32 exec_lo, exec_lo, s48
	s_wait_dscnt 0x0
	s_barrier_signal -1
	s_barrier_wait -1
	s_barrier_signal -1
	s_barrier_wait -1
	s_and_saveexec_b32 s48, s1
; %bb.79:                               ;   in Loop: Header=BB177_3 Depth=1
	v_xor_b32_e32 v19, 0x80000000, v19
	v_xor_b32_e32 v21, 0x80000000, v21
	ds_store_b128 v46, v[18:21] offset:2144
; %bb.80:                               ;   in Loop: Header=BB177_3 Depth=1
	s_or_b32 exec_lo, exec_lo, s48
	s_wait_dscnt 0x0
	s_barrier_signal -1
	s_barrier_wait -1
	s_barrier_signal -1
	s_barrier_wait -1
	s_and_saveexec_b32 s48, s65
	s_cbranch_execz .LBB177_82
; %bb.81:                               ;   in Loop: Header=BB177_3 Depth=1
	ds_load_b128 v[18:21], v95
	s_wait_dscnt 0x0
	ds_store_b128 v158, v[18:21]
	ds_load_b128 v[18:21], v96
	s_wait_dscnt 0x0
	ds_store_b128 v159, v[18:21]
.LBB177_82:                             ;   in Loop: Header=BB177_3 Depth=1
	s_or_b32 exec_lo, exec_lo, s48
	s_wait_dscnt 0x0
	s_barrier_signal -1
	s_barrier_wait -1
	s_and_saveexec_b32 s98, s27
	s_cbranch_execz .LBB177_84
; %bb.83:                               ;   in Loop: Header=BB177_3 Depth=1
	s_mov_b32 s48, s35
	s_mov_b32 s50, s35
	s_mov_b32 s51, s35
	v_mov_b64_e32 v[18:19], s[48:49]
	v_mov_b64_e32 v[20:21], s[50:51]
	ds_store_b128 v2, v[18:21] offset:3168
	ds_store_b128 v2, v[18:21] offset:3696
	ds_load_b128 v[18:21], v2 offset:3184
	s_wait_dscnt 0x0
	ds_store_b128 v2, v[18:21] offset:3680
.LBB177_84:                             ;   in Loop: Header=BB177_3 Depth=1
	s_or_b32 exec_lo, exec_lo, s98
	v_mov_b64_e32 v[20:21], 0
	v_mov_b64_e32 v[18:19], 0
	s_wait_dscnt 0x0
	s_barrier_signal -1
	s_barrier_wait -1
	s_and_saveexec_b32 s48, s4
	s_cbranch_execz .LBB177_94
; %bb.85:                               ;   in Loop: Header=BB177_3 Depth=1
	ds_load_b128 v[18:21], v57
	ds_load_b128 v[204:207], v62 offset:128
	s_wait_dscnt 0x0
	v_mul_f64_e32 v[4:5], v[20:21], v[206:207]
	v_mul_f64_e32 v[44:45], v[18:19], v[206:207]
	s_delay_alu instid0(VALU_DEP_2) | instskip(NEXT) | instid1(VALU_DEP_2)
	v_fma_f64 v[4:5], v[18:19], v[204:205], -v[4:5]
	v_fmac_f64_e32 v[44:45], v[20:21], v[204:205]
	s_delay_alu instid0(VALU_DEP_2) | instskip(NEXT) | instid1(VALU_DEP_2)
	v_add_f64_e32 v[18:19], 0, v[4:5]
	v_add_f64_e32 v[20:21], 0, v[44:45]
	s_and_saveexec_b32 s50, s11
	s_cbranch_execnz .LBB177_520
; %bb.86:                               ;   in Loop: Header=BB177_3 Depth=1
	s_or_b32 exec_lo, exec_lo, s50
	s_and_saveexec_b32 s50, s12
	s_cbranch_execnz .LBB177_521
.LBB177_87:                             ;   in Loop: Header=BB177_3 Depth=1
	s_or_b32 exec_lo, exec_lo, s50
	s_and_saveexec_b32 s50, s13
	s_cbranch_execnz .LBB177_522
.LBB177_88:                             ;   in Loop: Header=BB177_3 Depth=1
	s_or_b32 exec_lo, exec_lo, s50
	s_and_saveexec_b32 s50, s14
	s_cbranch_execnz .LBB177_523
.LBB177_89:                             ;   in Loop: Header=BB177_3 Depth=1
	s_or_b32 exec_lo, exec_lo, s50
	s_and_saveexec_b32 s50, s15
	s_cbranch_execnz .LBB177_524
.LBB177_90:                             ;   in Loop: Header=BB177_3 Depth=1
	s_or_b32 exec_lo, exec_lo, s50
	s_and_saveexec_b32 s50, s3
	s_cbranch_execnz .LBB177_525
.LBB177_91:                             ;   in Loop: Header=BB177_3 Depth=1
	s_or_b32 exec_lo, exec_lo, s50
	s_and_saveexec_b32 s50, s10
	s_cbranch_execz .LBB177_93
.LBB177_92:                             ;   in Loop: Header=BB177_3 Depth=1
	ds_load_b128 v[204:207], v2 offset:112
	ds_load_b128 v[208:211], v48 offset:3712
	s_wait_dscnt 0x0
	v_mul_f64_e32 v[4:5], v[206:207], v[210:211]
	v_mul_f64_e32 v[44:45], v[204:205], v[210:211]
	s_delay_alu instid0(VALU_DEP_2) | instskip(NEXT) | instid1(VALU_DEP_2)
	v_fma_f64 v[4:5], v[204:205], v[208:209], -v[4:5]
	v_fmac_f64_e32 v[44:45], v[206:207], v[208:209]
	s_delay_alu instid0(VALU_DEP_2) | instskip(NEXT) | instid1(VALU_DEP_2)
	v_add_f64_e32 v[18:19], v[18:19], v[4:5]
	v_add_f64_e32 v[20:21], v[20:21], v[44:45]
.LBB177_93:                             ;   in Loop: Header=BB177_3 Depth=1
	s_or_b32 exec_lo, exec_lo, s50
	s_delay_alu instid0(VALU_DEP_2) | instskip(NEXT) | instid1(VALU_DEP_2)
	v_xor_b32_e32 v19, 0x80000000, v19
	v_xor_b32_e32 v21, 0x80000000, v21
.LBB177_94:                             ;   in Loop: Header=BB177_3 Depth=1
	s_or_b32 exec_lo, exec_lo, s48
	s_and_saveexec_b32 s48, s73
; %bb.95:                               ;   in Loop: Header=BB177_3 Depth=1
	ds_store_b128 v61, v[18:21]
; %bb.96:                               ;   in Loop: Header=BB177_3 Depth=1
	s_or_b32 exec_lo, exec_lo, s48
	s_wait_dscnt 0x0
	s_barrier_signal -1
	s_barrier_wait -1
	s_and_saveexec_b32 s48, s74
	s_cbranch_execz .LBB177_98
; %bb.97:                               ;   in Loop: Header=BB177_3 Depth=1
	ds_load_b128 v[204:207], v61
	ds_load_b128 v[208:211], v59 offset:4224
	s_wait_dscnt 0x0
	v_mul_f64_e32 v[4:5], v[206:207], v[210:211]
	v_mul_f64_e32 v[44:45], v[204:205], v[210:211]
	s_delay_alu instid0(VALU_DEP_2) | instskip(NEXT) | instid1(VALU_DEP_2)
	v_fma_f64 v[4:5], v[204:205], v[208:209], -v[4:5]
	v_fmac_f64_e32 v[44:45], v[206:207], v[208:209]
	s_delay_alu instid0(VALU_DEP_2) | instskip(NEXT) | instid1(VALU_DEP_2)
	v_add_f64_e32 v[18:19], v[18:19], v[4:5]
	v_add_f64_e32 v[20:21], v[20:21], v[44:45]
.LBB177_98:                             ;   in Loop: Header=BB177_3 Depth=1
	s_or_b32 exec_lo, exec_lo, s48
	s_barrier_signal -1
	s_barrier_wait -1
	s_and_saveexec_b32 s48, s75
; %bb.99:                               ;   in Loop: Header=BB177_3 Depth=1
	ds_store_b128 v61, v[18:21]
; %bb.100:                              ;   in Loop: Header=BB177_3 Depth=1
	s_or_b32 exec_lo, exec_lo, s48
	s_wait_dscnt 0x0
	s_barrier_signal -1
	s_barrier_wait -1
	s_and_saveexec_b32 s48, s76
	s_cbranch_execz .LBB177_102
; %bb.101:                              ;   in Loop: Header=BB177_3 Depth=1
	ds_load_b128 v[204:207], v61
	ds_load_b128 v[208:211], v59 offset:4736
	s_wait_dscnt 0x0
	v_mul_f64_e32 v[4:5], v[206:207], v[210:211]
	v_mul_f64_e32 v[44:45], v[204:205], v[210:211]
	s_delay_alu instid0(VALU_DEP_2) | instskip(NEXT) | instid1(VALU_DEP_2)
	v_fma_f64 v[4:5], v[204:205], v[208:209], -v[4:5]
	v_fmac_f64_e32 v[44:45], v[206:207], v[208:209]
	s_delay_alu instid0(VALU_DEP_2) | instskip(NEXT) | instid1(VALU_DEP_2)
	v_add_f64_e32 v[18:19], v[18:19], v[4:5]
	v_add_f64_e32 v[20:21], v[20:21], v[44:45]
.LBB177_102:                            ;   in Loop: Header=BB177_3 Depth=1
	s_or_b32 exec_lo, exec_lo, s48
	s_barrier_signal -1
	s_barrier_wait -1
	s_and_saveexec_b32 s48, s77
; %bb.103:                              ;   in Loop: Header=BB177_3 Depth=1
	ds_store_b128 v61, v[18:21]
; %bb.104:                              ;   in Loop: Header=BB177_3 Depth=1
	s_or_b32 exec_lo, exec_lo, s48
	s_wait_dscnt 0x0
	s_barrier_signal -1
	s_barrier_wait -1
	s_and_saveexec_b32 s48, s78
	s_cbranch_execz .LBB177_106
; %bb.105:                              ;   in Loop: Header=BB177_3 Depth=1
	ds_load_b128 v[204:207], v61
	ds_load_b128 v[208:211], v59 offset:5248
	s_wait_dscnt 0x0
	v_mul_f64_e32 v[4:5], v[206:207], v[210:211]
	v_mul_f64_e32 v[44:45], v[204:205], v[210:211]
	s_delay_alu instid0(VALU_DEP_2) | instskip(NEXT) | instid1(VALU_DEP_2)
	v_fma_f64 v[4:5], v[204:205], v[208:209], -v[4:5]
	v_fmac_f64_e32 v[44:45], v[206:207], v[208:209]
	s_delay_alu instid0(VALU_DEP_2) | instskip(NEXT) | instid1(VALU_DEP_2)
	v_add_f64_e32 v[18:19], v[18:19], v[4:5]
	v_add_f64_e32 v[20:21], v[20:21], v[44:45]
.LBB177_106:                            ;   in Loop: Header=BB177_3 Depth=1
	s_or_b32 exec_lo, exec_lo, s48
	s_barrier_signal -1
	s_barrier_wait -1
	s_and_saveexec_b32 s48, s79
; %bb.107:                              ;   in Loop: Header=BB177_3 Depth=1
	;; [unrolled: 26-line block ×6, first 2 shown]
	ds_store_b128 v61, v[18:21]
; %bb.124:                              ;   in Loop: Header=BB177_3 Depth=1
	s_or_b32 exec_lo, exec_lo, s48
	s_wait_dscnt 0x0
	s_barrier_signal -1
	s_barrier_wait -1
	s_barrier_signal -1
	s_barrier_wait -1
	s_and_saveexec_b32 s48, s4
; %bb.125:                              ;   in Loop: Header=BB177_3 Depth=1
	v_xor_b32_e32 v19, 0x80000000, v19
	v_xor_b32_e32 v21, 0x80000000, v21
	ds_store_b128 v62, v[18:21] offset:128
; %bb.126:                              ;   in Loop: Header=BB177_3 Depth=1
	s_or_b32 exec_lo, exec_lo, s48
	s_wait_dscnt 0x0
	s_barrier_signal -1
	s_barrier_wait -1
	s_barrier_signal -1
	s_barrier_wait -1
	s_and_saveexec_b32 s48, s87
	s_cbranch_execz .LBB177_128
; %bb.127:                              ;   in Loop: Header=BB177_3 Depth=1
	ds_load_b128 v[18:21], v64
	s_wait_dscnt 0x0
	ds_store_b128 v160, v[18:21]
	ds_load_b128 v[18:21], v65
	s_wait_dscnt 0x0
	ds_store_b128 v161, v[18:21]
	;; [unrolled: 3-line block ×8, first 2 shown]
.LBB177_128:                            ;   in Loop: Header=BB177_3 Depth=1
	s_or_b32 exec_lo, exec_lo, s48
	s_wait_dscnt 0x0
	s_barrier_signal -1
	s_barrier_wait -1
	s_and_saveexec_b32 s98, s27
	s_cbranch_execz .LBB177_130
; %bb.129:                              ;   in Loop: Header=BB177_3 Depth=1
	s_mov_b32 s48, s35
	s_mov_b32 s50, s35
	s_mov_b32 s51, s35
	v_mov_b64_e32 v[18:19], s[48:49]
	v_mov_b64_e32 v[20:21], s[50:51]
	ds_store_b128 v2, v[18:21] offset:4224
	ds_store_b128 v2, v[18:21] offset:4752
	ds_load_b128 v[18:21], v2 offset:4240
	s_wait_dscnt 0x0
	ds_store_b128 v2, v[18:21] offset:4736
.LBB177_130:                            ;   in Loop: Header=BB177_3 Depth=1
	s_or_b32 exec_lo, exec_lo, s98
	v_mov_b64_e32 v[20:21], 0
	v_mov_b64_e32 v[18:19], 0
	s_wait_dscnt 0x0
	s_barrier_signal -1
	s_barrier_wait -1
	s_and_saveexec_b32 s48, s1
	s_cbranch_execz .LBB177_134
; %bb.131:                              ;   in Loop: Header=BB177_3 Depth=1
	ds_load_b128 v[18:21], v47 offset:4224
	ds_load_b128 v[204:207], v46 offset:4256
	s_wait_dscnt 0x0
	v_mul_f64_e32 v[4:5], v[20:21], v[206:207]
	v_mul_f64_e32 v[44:45], v[18:19], v[206:207]
	s_delay_alu instid0(VALU_DEP_2) | instskip(NEXT) | instid1(VALU_DEP_2)
	v_fma_f64 v[4:5], v[18:19], v[204:205], -v[4:5]
	v_fmac_f64_e32 v[44:45], v[20:21], v[204:205]
	s_delay_alu instid0(VALU_DEP_2) | instskip(NEXT) | instid1(VALU_DEP_2)
	v_add_f64_e32 v[18:19], 0, v[4:5]
	v_add_f64_e32 v[20:21], 0, v[44:45]
	s_and_saveexec_b32 s50, s8
	s_cbranch_execz .LBB177_133
; %bb.132:                              ;   in Loop: Header=BB177_3 Depth=1
	ds_load_b128 v[204:207], v2 offset:4240
	ds_load_b128 v[208:211], v53 offset:4768
	s_wait_dscnt 0x0
	v_mul_f64_e32 v[4:5], v[206:207], v[210:211]
	v_mul_f64_e32 v[44:45], v[204:205], v[210:211]
	s_delay_alu instid0(VALU_DEP_2) | instskip(NEXT) | instid1(VALU_DEP_2)
	v_fma_f64 v[4:5], v[204:205], v[208:209], -v[4:5]
	v_fmac_f64_e32 v[44:45], v[206:207], v[208:209]
	s_delay_alu instid0(VALU_DEP_2) | instskip(NEXT) | instid1(VALU_DEP_2)
	v_add_f64_e32 v[18:19], v[18:19], v[4:5]
	v_add_f64_e32 v[20:21], v[20:21], v[44:45]
.LBB177_133:                            ;   in Loop: Header=BB177_3 Depth=1
	s_or_b32 exec_lo, exec_lo, s50
	s_delay_alu instid0(VALU_DEP_2) | instskip(NEXT) | instid1(VALU_DEP_2)
	v_xor_b32_e32 v19, 0x80000000, v19
	v_xor_b32_e32 v21, 0x80000000, v21
.LBB177_134:                            ;   in Loop: Header=BB177_3 Depth=1
	s_or_b32 exec_lo, exec_lo, s48
	s_and_saveexec_b32 s48, s63
; %bb.135:                              ;   in Loop: Header=BB177_3 Depth=1
	ds_store_b128 v23, v[18:21]
; %bb.136:                              ;   in Loop: Header=BB177_3 Depth=1
	s_or_b32 exec_lo, exec_lo, s48
	s_wait_dscnt 0x0
	s_barrier_signal -1
	s_barrier_wait -1
	s_and_saveexec_b32 s48, s64
	s_cbranch_execz .LBB177_138
; %bb.137:                              ;   in Loop: Header=BB177_3 Depth=1
	ds_load_b128 v[204:207], v23
	ds_load_b128 v[208:211], v2 offset:5296
	s_wait_dscnt 0x0
	v_mul_f64_e32 v[4:5], v[206:207], v[210:211]
	v_mul_f64_e32 v[44:45], v[204:205], v[210:211]
	s_delay_alu instid0(VALU_DEP_2) | instskip(NEXT) | instid1(VALU_DEP_2)
	v_fma_f64 v[4:5], v[204:205], v[208:209], -v[4:5]
	v_fmac_f64_e32 v[44:45], v[206:207], v[208:209]
	s_delay_alu instid0(VALU_DEP_2) | instskip(NEXT) | instid1(VALU_DEP_2)
	v_add_f64_e32 v[18:19], v[18:19], v[4:5]
	v_add_f64_e32 v[20:21], v[20:21], v[44:45]
.LBB177_138:                            ;   in Loop: Header=BB177_3 Depth=1
	s_or_b32 exec_lo, exec_lo, s48
	s_barrier_signal -1
	s_barrier_wait -1
	s_and_saveexec_b32 s48, s64
; %bb.139:                              ;   in Loop: Header=BB177_3 Depth=1
	ds_store_b128 v23, v[18:21]
; %bb.140:                              ;   in Loop: Header=BB177_3 Depth=1
	s_or_b32 exec_lo, exec_lo, s48
	s_wait_dscnt 0x0
	s_barrier_signal -1
	s_barrier_wait -1
	s_barrier_signal -1
	s_barrier_wait -1
	s_and_saveexec_b32 s48, s1
; %bb.141:                              ;   in Loop: Header=BB177_3 Depth=1
	v_xor_b32_e32 v19, 0x80000000, v19
	v_xor_b32_e32 v21, 0x80000000, v21
	ds_store_b128 v46, v[18:21] offset:4256
; %bb.142:                              ;   in Loop: Header=BB177_3 Depth=1
	s_or_b32 exec_lo, exec_lo, s48
	s_wait_dscnt 0x0
	s_barrier_signal -1
	s_barrier_wait -1
	s_barrier_signal -1
	s_barrier_wait -1
	s_and_saveexec_b32 s48, s65
	s_cbranch_execz .LBB177_144
; %bb.143:                              ;   in Loop: Header=BB177_3 Depth=1
	ds_load_b128 v[18:21], v87
	s_wait_dscnt 0x0
	ds_store_b128 v168, v[18:21]
	ds_load_b128 v[18:21], v88
	s_wait_dscnt 0x0
	ds_store_b128 v169, v[18:21]
.LBB177_144:                            ;   in Loop: Header=BB177_3 Depth=1
	s_or_b32 exec_lo, exec_lo, s48
	s_wait_dscnt 0x0
	s_barrier_signal -1
	s_barrier_wait -1
	s_and_saveexec_b32 s98, s27
	s_cbranch_execz .LBB177_146
; %bb.145:                              ;   in Loop: Header=BB177_3 Depth=1
	s_mov_b32 s48, s35
	s_mov_b32 s50, s35
	;; [unrolled: 1-line block ×3, first 2 shown]
	v_mov_b64_e32 v[18:19], s[48:49]
	v_mov_b64_e32 v[20:21], s[50:51]
	ds_store_b128 v2, v[18:21] offset:5280
	ds_store_b128 v2, v[18:21] offset:5808
	ds_load_b128 v[18:21], v2 offset:5296
	s_wait_dscnt 0x0
	ds_store_b128 v2, v[18:21] offset:5792
.LBB177_146:                            ;   in Loop: Header=BB177_3 Depth=1
	s_or_b32 exec_lo, exec_lo, s98
	v_mov_b64_e32 v[20:21], 0
	v_mov_b64_e32 v[18:19], 0
	s_wait_dscnt 0x0
	s_barrier_signal -1
	s_barrier_wait -1
	s_and_saveexec_b32 s48, s3
	s_cbranch_execz .LBB177_152
; %bb.147:                              ;   in Loop: Header=BB177_3 Depth=1
	ds_load_b128 v[18:21], v49 offset:4224
	ds_load_b128 v[204:207], v55 offset:4288
	s_wait_dscnt 0x0
	v_mul_f64_e32 v[4:5], v[20:21], v[206:207]
	v_mul_f64_e32 v[44:45], v[18:19], v[206:207]
	s_delay_alu instid0(VALU_DEP_2) | instskip(NEXT) | instid1(VALU_DEP_2)
	v_fma_f64 v[4:5], v[18:19], v[204:205], -v[4:5]
	v_fmac_f64_e32 v[44:45], v[20:21], v[204:205]
	s_delay_alu instid0(VALU_DEP_2) | instskip(NEXT) | instid1(VALU_DEP_2)
	v_add_f64_e32 v[18:19], 0, v[4:5]
	v_add_f64_e32 v[20:21], 0, v[44:45]
	s_and_saveexec_b32 s50, s9
	s_cbranch_execnz .LBB177_526
; %bb.148:                              ;   in Loop: Header=BB177_3 Depth=1
	s_or_b32 exec_lo, exec_lo, s50
	s_and_saveexec_b32 s50, s10
	s_cbranch_execnz .LBB177_527
.LBB177_149:                            ;   in Loop: Header=BB177_3 Depth=1
	s_or_b32 exec_lo, exec_lo, s50
	s_and_saveexec_b32 s50, s1
	s_cbranch_execz .LBB177_151
.LBB177_150:                            ;   in Loop: Header=BB177_3 Depth=1
	ds_load_b128 v[204:207], v2 offset:4272
	ds_load_b128 v[208:211], v86 offset:5824
	s_wait_dscnt 0x0
	v_mul_f64_e32 v[4:5], v[206:207], v[210:211]
	v_mul_f64_e32 v[44:45], v[204:205], v[210:211]
	s_delay_alu instid0(VALU_DEP_2) | instskip(NEXT) | instid1(VALU_DEP_2)
	v_fma_f64 v[4:5], v[204:205], v[208:209], -v[4:5]
	v_fmac_f64_e32 v[44:45], v[206:207], v[208:209]
	s_delay_alu instid0(VALU_DEP_2) | instskip(NEXT) | instid1(VALU_DEP_2)
	v_add_f64_e32 v[18:19], v[18:19], v[4:5]
	v_add_f64_e32 v[20:21], v[20:21], v[44:45]
.LBB177_151:                            ;   in Loop: Header=BB177_3 Depth=1
	s_or_b32 exec_lo, exec_lo, s50
	s_delay_alu instid0(VALU_DEP_2) | instskip(NEXT) | instid1(VALU_DEP_2)
	v_xor_b32_e32 v19, 0x80000000, v19
	v_xor_b32_e32 v21, 0x80000000, v21
.LBB177_152:                            ;   in Loop: Header=BB177_3 Depth=1
	s_or_b32 exec_lo, exec_lo, s48
	s_and_saveexec_b32 s48, s66
; %bb.153:                              ;   in Loop: Header=BB177_3 Depth=1
	ds_store_b128 v54, v[18:21]
; %bb.154:                              ;   in Loop: Header=BB177_3 Depth=1
	s_or_b32 exec_lo, exec_lo, s48
	s_wait_dscnt 0x0
	s_barrier_signal -1
	s_barrier_wait -1
	s_and_saveexec_b32 s48, s67
	s_cbranch_execz .LBB177_156
; %bb.155:                              ;   in Loop: Header=BB177_3 Depth=1
	ds_load_b128 v[204:207], v54
	ds_load_b128 v[208:211], v52 offset:6336
	s_wait_dscnt 0x0
	v_mul_f64_e32 v[4:5], v[206:207], v[210:211]
	v_mul_f64_e32 v[44:45], v[204:205], v[210:211]
	s_delay_alu instid0(VALU_DEP_2) | instskip(NEXT) | instid1(VALU_DEP_2)
	v_fma_f64 v[4:5], v[204:205], v[208:209], -v[4:5]
	v_fmac_f64_e32 v[44:45], v[206:207], v[208:209]
	s_delay_alu instid0(VALU_DEP_2) | instskip(NEXT) | instid1(VALU_DEP_2)
	v_add_f64_e32 v[18:19], v[18:19], v[4:5]
	v_add_f64_e32 v[20:21], v[20:21], v[44:45]
.LBB177_156:                            ;   in Loop: Header=BB177_3 Depth=1
	s_or_b32 exec_lo, exec_lo, s48
	s_barrier_signal -1
	s_barrier_wait -1
	s_and_saveexec_b32 s48, s68
; %bb.157:                              ;   in Loop: Header=BB177_3 Depth=1
	ds_store_b128 v54, v[18:21]
; %bb.158:                              ;   in Loop: Header=BB177_3 Depth=1
	s_or_b32 exec_lo, exec_lo, s48
	s_wait_dscnt 0x0
	s_barrier_signal -1
	s_barrier_wait -1
	s_and_saveexec_b32 s48, s69
	s_cbranch_execz .LBB177_160
; %bb.159:                              ;   in Loop: Header=BB177_3 Depth=1
	ds_load_b128 v[204:207], v54
	ds_load_b128 v[208:211], v52 offset:6848
	s_wait_dscnt 0x0
	v_mul_f64_e32 v[4:5], v[206:207], v[210:211]
	v_mul_f64_e32 v[44:45], v[204:205], v[210:211]
	s_delay_alu instid0(VALU_DEP_2) | instskip(NEXT) | instid1(VALU_DEP_2)
	v_fma_f64 v[4:5], v[204:205], v[208:209], -v[4:5]
	v_fmac_f64_e32 v[44:45], v[206:207], v[208:209]
	s_delay_alu instid0(VALU_DEP_2) | instskip(NEXT) | instid1(VALU_DEP_2)
	v_add_f64_e32 v[18:19], v[18:19], v[4:5]
	v_add_f64_e32 v[20:21], v[20:21], v[44:45]
.LBB177_160:                            ;   in Loop: Header=BB177_3 Depth=1
	s_or_b32 exec_lo, exec_lo, s48
	s_barrier_signal -1
	s_barrier_wait -1
	;; [unrolled: 26-line block ×3, first 2 shown]
	s_and_saveexec_b32 s48, s71
; %bb.165:                              ;   in Loop: Header=BB177_3 Depth=1
	ds_store_b128 v54, v[18:21]
; %bb.166:                              ;   in Loop: Header=BB177_3 Depth=1
	s_or_b32 exec_lo, exec_lo, s48
	s_wait_dscnt 0x0
	s_barrier_signal -1
	s_barrier_wait -1
	s_barrier_signal -1
	s_barrier_wait -1
	s_and_saveexec_b32 s48, s3
; %bb.167:                              ;   in Loop: Header=BB177_3 Depth=1
	v_xor_b32_e32 v21, 0x80000000, v21
	v_xor_b32_e32 v19, 0x80000000, v19
	ds_store_b128 v55, v[18:21] offset:4288
; %bb.168:                              ;   in Loop: Header=BB177_3 Depth=1
	s_or_b32 exec_lo, exec_lo, s48
	s_wait_dscnt 0x0
	s_barrier_signal -1
	s_barrier_wait -1
	s_barrier_signal -1
	s_barrier_wait -1
	s_and_saveexec_b32 s48, s72
	s_cbranch_execz .LBB177_170
; %bb.169:                              ;   in Loop: Header=BB177_3 Depth=1
	ds_load_b128 v[18:21], v98
	s_wait_dscnt 0x0
	ds_store_b128 v171, v[18:21]
	ds_load_b128 v[18:21], v101
	s_wait_dscnt 0x0
	ds_store_b128 v174, v[18:21]
	;; [unrolled: 3-line block ×4, first 2 shown]
.LBB177_170:                            ;   in Loop: Header=BB177_3 Depth=1
	s_or_b32 exec_lo, exec_lo, s48
	s_wait_dscnt 0x0
	s_barrier_signal -1
	s_barrier_wait -1
	s_and_saveexec_b32 s98, s27
	s_cbranch_execz .LBB177_172
; %bb.171:                              ;   in Loop: Header=BB177_3 Depth=1
	s_mov_b32 s48, s35
	s_mov_b32 s50, s35
	;; [unrolled: 1-line block ×3, first 2 shown]
	v_mov_b64_e32 v[18:19], s[48:49]
	v_mov_b64_e32 v[20:21], s[50:51]
	ds_store_b128 v2, v[18:21] offset:6336
	ds_store_b128 v2, v[18:21] offset:6864
	ds_load_b128 v[18:21], v2 offset:6352
	s_wait_dscnt 0x0
	ds_store_b128 v2, v[18:21] offset:6848
.LBB177_172:                            ;   in Loop: Header=BB177_3 Depth=1
	s_or_b32 exec_lo, exec_lo, s98
	v_mov_b64_e32 v[20:21], 0
	v_mov_b64_e32 v[18:19], 0
	s_wait_dscnt 0x0
	s_barrier_signal -1
	s_barrier_wait -1
	s_and_saveexec_b32 s48, s1
	s_cbranch_execz .LBB177_176
; %bb.173:                              ;   in Loop: Header=BB177_3 Depth=1
	ds_load_b128 v[18:21], v47 offset:6336
	ds_load_b128 v[204:207], v46 offset:6368
	s_wait_dscnt 0x0
	v_mul_f64_e32 v[4:5], v[20:21], v[206:207]
	v_mul_f64_e32 v[44:45], v[18:19], v[206:207]
	s_delay_alu instid0(VALU_DEP_2) | instskip(NEXT) | instid1(VALU_DEP_2)
	v_fma_f64 v[4:5], v[18:19], v[204:205], -v[4:5]
	v_fmac_f64_e32 v[44:45], v[20:21], v[204:205]
	s_delay_alu instid0(VALU_DEP_2) | instskip(NEXT) | instid1(VALU_DEP_2)
	v_add_f64_e32 v[18:19], 0, v[4:5]
	v_add_f64_e32 v[20:21], 0, v[44:45]
	s_and_saveexec_b32 s50, s8
	s_cbranch_execz .LBB177_175
; %bb.174:                              ;   in Loop: Header=BB177_3 Depth=1
	ds_load_b128 v[204:207], v2 offset:6352
	ds_load_b128 v[208:211], v97 offset:6880
	s_wait_dscnt 0x0
	v_mul_f64_e32 v[4:5], v[206:207], v[210:211]
	v_mul_f64_e32 v[44:45], v[204:205], v[210:211]
	s_delay_alu instid0(VALU_DEP_2) | instskip(NEXT) | instid1(VALU_DEP_2)
	v_fma_f64 v[4:5], v[204:205], v[208:209], -v[4:5]
	v_fmac_f64_e32 v[44:45], v[206:207], v[208:209]
	s_delay_alu instid0(VALU_DEP_2) | instskip(NEXT) | instid1(VALU_DEP_2)
	v_add_f64_e32 v[18:19], v[18:19], v[4:5]
	v_add_f64_e32 v[20:21], v[20:21], v[44:45]
.LBB177_175:                            ;   in Loop: Header=BB177_3 Depth=1
	s_or_b32 exec_lo, exec_lo, s50
	s_delay_alu instid0(VALU_DEP_2) | instskip(NEXT) | instid1(VALU_DEP_2)
	v_xor_b32_e32 v19, 0x80000000, v19
	v_xor_b32_e32 v21, 0x80000000, v21
.LBB177_176:                            ;   in Loop: Header=BB177_3 Depth=1
	s_or_b32 exec_lo, exec_lo, s48
	s_and_saveexec_b32 s48, s63
; %bb.177:                              ;   in Loop: Header=BB177_3 Depth=1
	ds_store_b128 v23, v[18:21]
; %bb.178:                              ;   in Loop: Header=BB177_3 Depth=1
	s_or_b32 exec_lo, exec_lo, s48
	s_wait_dscnt 0x0
	s_barrier_signal -1
	s_barrier_wait -1
	s_and_saveexec_b32 s48, s64
	s_cbranch_execz .LBB177_180
; %bb.179:                              ;   in Loop: Header=BB177_3 Depth=1
	ds_load_b128 v[204:207], v23
	ds_load_b128 v[208:211], v2 offset:7408
	s_wait_dscnt 0x0
	v_mul_f64_e32 v[4:5], v[206:207], v[210:211]
	v_mul_f64_e32 v[44:45], v[204:205], v[210:211]
	s_delay_alu instid0(VALU_DEP_2) | instskip(NEXT) | instid1(VALU_DEP_2)
	v_fma_f64 v[4:5], v[204:205], v[208:209], -v[4:5]
	v_fmac_f64_e32 v[44:45], v[206:207], v[208:209]
	s_delay_alu instid0(VALU_DEP_2) | instskip(NEXT) | instid1(VALU_DEP_2)
	v_add_f64_e32 v[18:19], v[18:19], v[4:5]
	v_add_f64_e32 v[20:21], v[20:21], v[44:45]
.LBB177_180:                            ;   in Loop: Header=BB177_3 Depth=1
	s_or_b32 exec_lo, exec_lo, s48
	s_barrier_signal -1
	s_barrier_wait -1
	s_and_saveexec_b32 s48, s64
; %bb.181:                              ;   in Loop: Header=BB177_3 Depth=1
	ds_store_b128 v23, v[18:21]
; %bb.182:                              ;   in Loop: Header=BB177_3 Depth=1
	s_or_b32 exec_lo, exec_lo, s48
	s_wait_dscnt 0x0
	s_barrier_signal -1
	s_barrier_wait -1
	s_barrier_signal -1
	s_barrier_wait -1
	s_and_saveexec_b32 s48, s1
; %bb.183:                              ;   in Loop: Header=BB177_3 Depth=1
	v_xor_b32_e32 v19, 0x80000000, v19
	v_xor_b32_e32 v21, 0x80000000, v21
	ds_store_b128 v46, v[18:21] offset:6368
; %bb.184:                              ;   in Loop: Header=BB177_3 Depth=1
	s_or_b32 exec_lo, exec_lo, s48
	s_wait_dscnt 0x0
	s_barrier_signal -1
	s_barrier_wait -1
	s_barrier_signal -1
	s_barrier_wait -1
	s_and_saveexec_b32 s48, s65
	s_cbranch_execz .LBB177_186
; %bb.185:                              ;   in Loop: Header=BB177_3 Depth=1
	ds_load_b128 v[18:21], v108
	s_wait_dscnt 0x0
	ds_store_b128 v112, v[18:21]
	ds_load_b128 v[18:21], v109
	s_wait_dscnt 0x0
	ds_store_b128 v113, v[18:21]
.LBB177_186:                            ;   in Loop: Header=BB177_3 Depth=1
	s_or_b32 exec_lo, exec_lo, s48
	s_wait_dscnt 0x0
	s_barrier_signal -1
	s_barrier_wait -1
	s_and_saveexec_b32 s98, s27
	s_cbranch_execz .LBB177_188
; %bb.187:                              ;   in Loop: Header=BB177_3 Depth=1
	s_mov_b32 s48, s35
	s_mov_b32 s50, s35
	;; [unrolled: 1-line block ×3, first 2 shown]
	v_mov_b64_e32 v[18:19], s[48:49]
	v_mov_b64_e32 v[20:21], s[50:51]
	ds_store_b128 v2, v[18:21] offset:7392
	ds_store_b128 v2, v[18:21] offset:7920
	ds_load_b128 v[18:21], v2 offset:7408
	s_wait_dscnt 0x0
	ds_store_b128 v2, v[18:21] offset:7904
.LBB177_188:                            ;   in Loop: Header=BB177_3 Depth=1
	s_or_b32 exec_lo, exec_lo, s98
	v_mov_b64_e32 v[20:21], 0
	v_mov_b64_e32 v[18:19], 0
	s_wait_dscnt 0x0
	s_barrier_signal -1
	s_barrier_wait -1
	s_and_saveexec_b32 s48, s5
	s_cbranch_execz .LBB177_216
; %bb.189:                              ;   in Loop: Header=BB177_3 Depth=1
	v_add_nc_u32_e32 v3, v72, v170
	ds_load_b128 v[18:21], v3
	ds_load_b128 v[204:207], v176 offset:256
	s_wait_dscnt 0x0
	v_mul_f64_e32 v[4:5], v[20:21], v[206:207]
	v_mul_f64_e32 v[44:45], v[18:19], v[206:207]
	s_delay_alu instid0(VALU_DEP_2) | instskip(NEXT) | instid1(VALU_DEP_2)
	v_fma_f64 v[4:5], v[18:19], v[204:205], -v[4:5]
	v_fmac_f64_e32 v[44:45], v[20:21], v[204:205]
	s_delay_alu instid0(VALU_DEP_2) | instskip(NEXT) | instid1(VALU_DEP_2)
	v_add_f64_e32 v[18:19], 0, v[4:5]
	v_add_f64_e32 v[20:21], 0, v[44:45]
	s_mov_b32 s50, exec_lo
	v_readlane_b32 s51, v212, 16
	s_and_b32 s51, s50, s51
	s_delay_alu instid0(SALU_CYCLE_1)
	s_mov_b32 exec_lo, s51
	s_cbranch_execz .LBB177_191
; %bb.190:                              ;   in Loop: Header=BB177_3 Depth=1
	ds_load_b128 v[204:207], v3 offset:16
	ds_load_b128 v[208:211], v176 offset:768
	s_wait_dscnt 0x0
	v_mul_f64_e32 v[4:5], v[206:207], v[210:211]
	v_mul_f64_e32 v[44:45], v[204:205], v[210:211]
	s_delay_alu instid0(VALU_DEP_2) | instskip(NEXT) | instid1(VALU_DEP_2)
	v_fma_f64 v[4:5], v[204:205], v[208:209], -v[4:5]
	v_fmac_f64_e32 v[44:45], v[206:207], v[208:209]
	s_delay_alu instid0(VALU_DEP_2) | instskip(NEXT) | instid1(VALU_DEP_2)
	v_add_f64_e32 v[18:19], v[18:19], v[4:5]
	v_add_f64_e32 v[20:21], v[20:21], v[44:45]
.LBB177_191:                            ;   in Loop: Header=BB177_3 Depth=1
	s_or_b32 exec_lo, exec_lo, s50
	s_delay_alu instid0(SALU_CYCLE_1) | instskip(SKIP_2) | instid1(SALU_CYCLE_1)
	s_mov_b32 s50, exec_lo
	v_readlane_b32 s51, v212, 17
	s_and_b32 s51, s50, s51
	s_mov_b32 exec_lo, s51
	s_cbranch_execz .LBB177_193
; %bb.192:                              ;   in Loop: Header=BB177_3 Depth=1
	ds_load_b128 v[204:207], v3 offset:32
	ds_load_b128 v[208:211], v176 offset:1280
	s_wait_dscnt 0x0
	v_mul_f64_e32 v[4:5], v[206:207], v[210:211]
	v_mul_f64_e32 v[44:45], v[204:205], v[210:211]
	s_delay_alu instid0(VALU_DEP_2) | instskip(NEXT) | instid1(VALU_DEP_2)
	v_fma_f64 v[4:5], v[204:205], v[208:209], -v[4:5]
	v_fmac_f64_e32 v[44:45], v[206:207], v[208:209]
	s_delay_alu instid0(VALU_DEP_2) | instskip(NEXT) | instid1(VALU_DEP_2)
	v_add_f64_e32 v[18:19], v[18:19], v[4:5]
	v_add_f64_e32 v[20:21], v[20:21], v[44:45]
.LBB177_193:                            ;   in Loop: Header=BB177_3 Depth=1
	s_or_b32 exec_lo, exec_lo, s50
	s_delay_alu instid0(SALU_CYCLE_1) | instskip(SKIP_2) | instid1(SALU_CYCLE_1)
	s_mov_b32 s50, exec_lo
	v_readlane_b32 s51, v212, 18
	s_and_b32 s51, s50, s51
	;; [unrolled: 20-line block ×10, first 2 shown]
	s_mov_b32 exec_lo, s51
	s_cbranch_execnz .LBB177_528
; %bb.210:                              ;   in Loop: Header=BB177_3 Depth=1
	s_or_b32 exec_lo, exec_lo, s50
	s_and_saveexec_b32 s50, s4
	s_cbranch_execnz .LBB177_529
.LBB177_211:                            ;   in Loop: Header=BB177_3 Depth=1
	s_or_b32 exec_lo, exec_lo, s50
	s_and_saveexec_b32 s50, s12
	s_cbranch_execnz .LBB177_530
.LBB177_212:                            ;   in Loop: Header=BB177_3 Depth=1
	s_or_b32 exec_lo, exec_lo, s50
	s_and_saveexec_b32 s50, s14
	s_cbranch_execnz .LBB177_531
.LBB177_213:                            ;   in Loop: Header=BB177_3 Depth=1
	s_or_b32 exec_lo, exec_lo, s50
	s_and_saveexec_b32 s50, s3
	s_cbranch_execz .LBB177_215
.LBB177_214:                            ;   in Loop: Header=BB177_3 Depth=1
	ds_load_b128 v[204:207], v2 offset:240
	ds_load_b128 v[208:211], v48 offset:7936
	s_wait_dscnt 0x0
	v_mul_f64_e32 v[4:5], v[206:207], v[210:211]
	v_mul_f64_e32 v[44:45], v[204:205], v[210:211]
	s_delay_alu instid0(VALU_DEP_2) | instskip(NEXT) | instid1(VALU_DEP_2)
	v_fma_f64 v[4:5], v[204:205], v[208:209], -v[4:5]
	v_fmac_f64_e32 v[44:45], v[206:207], v[208:209]
	s_delay_alu instid0(VALU_DEP_2) | instskip(NEXT) | instid1(VALU_DEP_2)
	v_add_f64_e32 v[18:19], v[18:19], v[4:5]
	v_add_f64_e32 v[20:21], v[20:21], v[44:45]
.LBB177_215:                            ;   in Loop: Header=BB177_3 Depth=1
	s_or_b32 exec_lo, exec_lo, s50
	s_delay_alu instid0(VALU_DEP_2) | instskip(NEXT) | instid1(VALU_DEP_2)
	v_xor_b32_e32 v19, 0x80000000, v19
	v_xor_b32_e32 v21, 0x80000000, v21
.LBB177_216:                            ;   in Loop: Header=BB177_3 Depth=1
	s_or_b32 exec_lo, exec_lo, s48
	s_delay_alu instid0(SALU_CYCLE_1) | instskip(SKIP_2) | instid1(SALU_CYCLE_1)
	s_mov_b32 s48, exec_lo
	v_readlane_b32 s50, v212, 0
	s_and_b32 s50, s48, s50
	s_mov_b32 exec_lo, s50
; %bb.217:                              ;   in Loop: Header=BB177_3 Depth=1
	ds_store_b128 v175, v[18:21]
; %bb.218:                              ;   in Loop: Header=BB177_3 Depth=1
	s_or_b32 exec_lo, exec_lo, s48
	s_wait_dscnt 0x0
	s_barrier_signal -1
	s_barrier_wait -1
	s_mov_b32 s48, exec_lo
	v_readlane_b32 s50, v212, 1
	s_and_b32 s50, s48, s50
	s_delay_alu instid0(SALU_CYCLE_1)
	s_mov_b32 exec_lo, s50
	s_cbranch_execz .LBB177_220
; %bb.219:                              ;   in Loop: Header=BB177_3 Depth=1
	ds_load_b128 v[204:207], v175
	ds_load_b128 v[208:211], v73 offset:8448
	s_wait_dscnt 0x0
	v_mul_f64_e32 v[4:5], v[206:207], v[210:211]
	v_mul_f64_e32 v[44:45], v[204:205], v[210:211]
	s_delay_alu instid0(VALU_DEP_2) | instskip(NEXT) | instid1(VALU_DEP_2)
	v_fma_f64 v[4:5], v[204:205], v[208:209], -v[4:5]
	v_fmac_f64_e32 v[44:45], v[206:207], v[208:209]
	s_delay_alu instid0(VALU_DEP_2) | instskip(NEXT) | instid1(VALU_DEP_2)
	v_add_f64_e32 v[18:19], v[18:19], v[4:5]
	v_add_f64_e32 v[20:21], v[20:21], v[44:45]
.LBB177_220:                            ;   in Loop: Header=BB177_3 Depth=1
	s_or_b32 exec_lo, exec_lo, s48
	s_barrier_signal -1
	s_barrier_wait -1
	s_mov_b32 s48, exec_lo
	v_readlane_b32 s50, v212, 2
	s_and_b32 s50, s48, s50
	s_delay_alu instid0(SALU_CYCLE_1)
	s_mov_b32 exec_lo, s50
; %bb.221:                              ;   in Loop: Header=BB177_3 Depth=1
	ds_store_b128 v175, v[18:21]
; %bb.222:                              ;   in Loop: Header=BB177_3 Depth=1
	s_or_b32 exec_lo, exec_lo, s48
	s_wait_dscnt 0x0
	s_barrier_signal -1
	s_barrier_wait -1
	s_mov_b32 s48, exec_lo
	v_readlane_b32 s50, v212, 3
	s_and_b32 s50, s48, s50
	s_delay_alu instid0(SALU_CYCLE_1)
	s_mov_b32 exec_lo, s50
	s_cbranch_execz .LBB177_224
; %bb.223:                              ;   in Loop: Header=BB177_3 Depth=1
	ds_load_b128 v[204:207], v175
	ds_load_b128 v[208:211], v73 offset:8960
	s_wait_dscnt 0x0
	v_mul_f64_e32 v[4:5], v[206:207], v[210:211]
	v_mul_f64_e32 v[44:45], v[204:205], v[210:211]
	s_delay_alu instid0(VALU_DEP_2) | instskip(NEXT) | instid1(VALU_DEP_2)
	v_fma_f64 v[4:5], v[204:205], v[208:209], -v[4:5]
	v_fmac_f64_e32 v[44:45], v[206:207], v[208:209]
	s_delay_alu instid0(VALU_DEP_2) | instskip(NEXT) | instid1(VALU_DEP_2)
	v_add_f64_e32 v[18:19], v[18:19], v[4:5]
	v_add_f64_e32 v[20:21], v[20:21], v[44:45]
.LBB177_224:                            ;   in Loop: Header=BB177_3 Depth=1
	s_or_b32 exec_lo, exec_lo, s48
	s_barrier_signal -1
	s_barrier_wait -1
	s_mov_b32 s48, exec_lo
	v_readlane_b32 s50, v212, 4
	s_and_b32 s50, s48, s50
	s_delay_alu instid0(SALU_CYCLE_1)
	;; [unrolled: 34-line block ×7, first 2 shown]
	s_mov_b32 exec_lo, s50
; %bb.245:                              ;   in Loop: Header=BB177_3 Depth=1
	ds_store_b128 v175, v[18:21]
; %bb.246:                              ;   in Loop: Header=BB177_3 Depth=1
	s_or_b32 exec_lo, exec_lo, s48
	s_wait_dscnt 0x0
	s_barrier_signal -1
	s_barrier_wait -1
	s_and_saveexec_b32 s48, s103
	s_cbranch_execz .LBB177_248
; %bb.247:                              ;   in Loop: Header=BB177_3 Depth=1
	ds_load_b128 v[204:207], v175
	ds_load_b128 v[208:211], v73 offset:12032
	s_wait_dscnt 0x0
	v_mul_f64_e32 v[4:5], v[206:207], v[210:211]
	v_mul_f64_e32 v[44:45], v[204:205], v[210:211]
	s_delay_alu instid0(VALU_DEP_2) | instskip(NEXT) | instid1(VALU_DEP_2)
	v_fma_f64 v[4:5], v[204:205], v[208:209], -v[4:5]
	v_fmac_f64_e32 v[44:45], v[206:207], v[208:209]
	s_delay_alu instid0(VALU_DEP_2) | instskip(NEXT) | instid1(VALU_DEP_2)
	v_add_f64_e32 v[18:19], v[18:19], v[4:5]
	v_add_f64_e32 v[20:21], v[20:21], v[44:45]
.LBB177_248:                            ;   in Loop: Header=BB177_3 Depth=1
	s_or_b32 exec_lo, exec_lo, s48
	s_barrier_signal -1
	s_barrier_wait -1
	s_and_saveexec_b32 s48, s104
; %bb.249:                              ;   in Loop: Header=BB177_3 Depth=1
	ds_store_b128 v175, v[18:21]
; %bb.250:                              ;   in Loop: Header=BB177_3 Depth=1
	s_or_b32 exec_lo, exec_lo, s48
	s_wait_dscnt 0x0
	s_barrier_signal -1
	s_barrier_wait -1
	s_and_saveexec_b32 s48, vcc_hi
	s_cbranch_execz .LBB177_252
; %bb.251:                              ;   in Loop: Header=BB177_3 Depth=1
	ds_load_b128 v[204:207], v175
	ds_load_b128 v[208:211], v73 offset:12544
	s_wait_dscnt 0x0
	v_mul_f64_e32 v[4:5], v[206:207], v[210:211]
	v_mul_f64_e32 v[44:45], v[204:205], v[210:211]
	s_delay_alu instid0(VALU_DEP_2) | instskip(NEXT) | instid1(VALU_DEP_2)
	v_fma_f64 v[4:5], v[204:205], v[208:209], -v[4:5]
	v_fmac_f64_e32 v[44:45], v[206:207], v[208:209]
	s_delay_alu instid0(VALU_DEP_2) | instskip(NEXT) | instid1(VALU_DEP_2)
	v_add_f64_e32 v[18:19], v[18:19], v[4:5]
	v_add_f64_e32 v[20:21], v[20:21], v[44:45]
.LBB177_252:                            ;   in Loop: Header=BB177_3 Depth=1
	s_or_b32 exec_lo, exec_lo, s48
	s_barrier_signal -1
	s_barrier_wait -1
	s_and_saveexec_b32 s48, s18
; %bb.253:                              ;   in Loop: Header=BB177_3 Depth=1
	ds_store_b128 v175, v[18:21]
; %bb.254:                              ;   in Loop: Header=BB177_3 Depth=1
	s_or_b32 exec_lo, exec_lo, s48
	s_wait_dscnt 0x0
	s_barrier_signal -1
	s_barrier_wait -1
	s_and_saveexec_b32 s48, s19
	s_cbranch_execz .LBB177_256
; %bb.255:                              ;   in Loop: Header=BB177_3 Depth=1
	ds_load_b128 v[204:207], v175
	ds_load_b128 v[208:211], v73 offset:13056
	s_wait_dscnt 0x0
	v_mul_f64_e32 v[4:5], v[206:207], v[210:211]
	v_mul_f64_e32 v[44:45], v[204:205], v[210:211]
	s_delay_alu instid0(VALU_DEP_2) | instskip(NEXT) | instid1(VALU_DEP_2)
	v_fma_f64 v[4:5], v[204:205], v[208:209], -v[4:5]
	v_fmac_f64_e32 v[44:45], v[206:207], v[208:209]
	s_delay_alu instid0(VALU_DEP_2) | instskip(NEXT) | instid1(VALU_DEP_2)
	v_add_f64_e32 v[18:19], v[18:19], v[4:5]
	v_add_f64_e32 v[20:21], v[20:21], v[44:45]
.LBB177_256:                            ;   in Loop: Header=BB177_3 Depth=1
	s_or_b32 exec_lo, exec_lo, s48
	s_barrier_signal -1
	s_barrier_wait -1
	s_and_saveexec_b32 s48, s20
; %bb.257:                              ;   in Loop: Header=BB177_3 Depth=1
	ds_store_b128 v175, v[18:21]
; %bb.258:                              ;   in Loop: Header=BB177_3 Depth=1
	s_or_b32 exec_lo, exec_lo, s48
	s_wait_dscnt 0x0
	s_barrier_signal -1
	s_barrier_wait -1
	s_and_saveexec_b32 s48, s21
	;; [unrolled: 26-line block ×6, first 2 shown]
	s_cbranch_execz .LBB177_276
; %bb.275:                              ;   in Loop: Header=BB177_3 Depth=1
	ds_load_b128 v[204:207], v175
	ds_load_b128 v[208:211], v2 offset:15856
	s_wait_dscnt 0x0
	v_mul_f64_e32 v[4:5], v[206:207], v[210:211]
	v_mul_f64_e32 v[44:45], v[204:205], v[210:211]
	s_delay_alu instid0(VALU_DEP_2) | instskip(NEXT) | instid1(VALU_DEP_2)
	v_fma_f64 v[4:5], v[204:205], v[208:209], -v[4:5]
	v_fmac_f64_e32 v[44:45], v[206:207], v[208:209]
	s_delay_alu instid0(VALU_DEP_2) | instskip(NEXT) | instid1(VALU_DEP_2)
	v_add_f64_e32 v[18:19], v[18:19], v[4:5]
	v_add_f64_e32 v[20:21], v[20:21], v[44:45]
.LBB177_276:                            ;   in Loop: Header=BB177_3 Depth=1
	s_or_b32 exec_lo, exec_lo, s48
	s_barrier_signal -1
	s_barrier_wait -1
	s_and_saveexec_b32 s48, s90
; %bb.277:                              ;   in Loop: Header=BB177_3 Depth=1
	ds_store_b128 v175, v[18:21]
; %bb.278:                              ;   in Loop: Header=BB177_3 Depth=1
	s_or_b32 exec_lo, exec_lo, s48
	s_wait_dscnt 0x0
	s_barrier_signal -1
	s_barrier_wait -1
	s_barrier_signal -1
	s_barrier_wait -1
	s_and_saveexec_b32 s48, s5
; %bb.279:                              ;   in Loop: Header=BB177_3 Depth=1
	v_xor_b32_e32 v21, 0x80000000, v21
	v_xor_b32_e32 v19, 0x80000000, v19
	ds_store_b128 v176, v[18:21] offset:256
; %bb.280:                              ;   in Loop: Header=BB177_3 Depth=1
	s_or_b32 exec_lo, exec_lo, s48
	s_wait_dscnt 0x0
	s_barrier_signal -1
	s_barrier_wait -1
	s_barrier_signal -1
	s_barrier_wait -1
	s_and_saveexec_b32 s48, s91
	s_cbranch_execz .LBB177_282
; %bb.281:                              ;   in Loop: Header=BB177_3 Depth=1
	ds_load_b128 v[18:21], v116
	s_wait_dscnt 0x0
	ds_store_b128 v134, v[18:21]
	ds_load_b128 v[18:21], v117
	s_wait_dscnt 0x0
	ds_store_b128 v135, v[18:21]
	;; [unrolled: 3-line block ×16, first 2 shown]
.LBB177_282:                            ;   in Loop: Header=BB177_3 Depth=1
	s_or_b32 exec_lo, exec_lo, s48
	s_wait_dscnt 0x0
	s_barrier_signal -1
	s_barrier_wait -1
	s_and_saveexec_b32 s98, s27
	s_cbranch_execz .LBB177_284
; %bb.283:                              ;   in Loop: Header=BB177_3 Depth=1
	s_mov_b32 s48, s35
	s_mov_b32 s50, s35
	;; [unrolled: 1-line block ×3, first 2 shown]
	v_mov_b64_e32 v[18:19], s[48:49]
	v_mov_b64_e32 v[20:21], s[50:51]
	ds_store_b128 v2, v[18:21] offset:8448
	ds_store_b128 v2, v[18:21] offset:8976
	ds_load_b128 v[18:21], v2 offset:8464
	s_wait_dscnt 0x0
	ds_store_b128 v2, v[18:21] offset:8960
.LBB177_284:                            ;   in Loop: Header=BB177_3 Depth=1
	s_or_b32 exec_lo, exec_lo, s98
	v_mov_b64_e32 v[20:21], 0
	v_mov_b64_e32 v[18:19], 0
	s_wait_dscnt 0x0
	s_barrier_signal -1
	s_barrier_wait -1
	s_and_saveexec_b32 s48, s1
	s_cbranch_execz .LBB177_288
; %bb.285:                              ;   in Loop: Header=BB177_3 Depth=1
	ds_load_b128 v[18:21], v47 offset:8448
	ds_load_b128 v[204:207], v46 offset:8480
	s_wait_dscnt 0x0
	v_mul_f64_e32 v[4:5], v[20:21], v[206:207]
	v_mul_f64_e32 v[44:45], v[18:19], v[206:207]
	s_delay_alu instid0(VALU_DEP_2) | instskip(NEXT) | instid1(VALU_DEP_2)
	v_fma_f64 v[4:5], v[18:19], v[204:205], -v[4:5]
	v_fmac_f64_e32 v[44:45], v[20:21], v[204:205]
	s_delay_alu instid0(VALU_DEP_2) | instskip(NEXT) | instid1(VALU_DEP_2)
	v_add_f64_e32 v[18:19], 0, v[4:5]
	v_add_f64_e32 v[20:21], 0, v[44:45]
	s_and_saveexec_b32 s50, s8
	s_cbranch_execz .LBB177_287
; %bb.286:                              ;   in Loop: Header=BB177_3 Depth=1
	ds_load_b128 v[204:207], v2 offset:8464
	ds_load_b128 v[208:211], v48 offset:8992
	s_wait_dscnt 0x0
	v_mul_f64_e32 v[4:5], v[206:207], v[210:211]
	v_mul_f64_e32 v[44:45], v[204:205], v[210:211]
	s_delay_alu instid0(VALU_DEP_2) | instskip(NEXT) | instid1(VALU_DEP_2)
	v_fma_f64 v[4:5], v[204:205], v[208:209], -v[4:5]
	v_fmac_f64_e32 v[44:45], v[206:207], v[208:209]
	s_delay_alu instid0(VALU_DEP_2) | instskip(NEXT) | instid1(VALU_DEP_2)
	v_add_f64_e32 v[18:19], v[18:19], v[4:5]
	v_add_f64_e32 v[20:21], v[20:21], v[44:45]
.LBB177_287:                            ;   in Loop: Header=BB177_3 Depth=1
	s_or_b32 exec_lo, exec_lo, s50
	s_delay_alu instid0(VALU_DEP_2) | instskip(NEXT) | instid1(VALU_DEP_2)
	v_xor_b32_e32 v19, 0x80000000, v19
	v_xor_b32_e32 v21, 0x80000000, v21
.LBB177_288:                            ;   in Loop: Header=BB177_3 Depth=1
	s_or_b32 exec_lo, exec_lo, s48
	s_and_saveexec_b32 s48, s63
; %bb.289:                              ;   in Loop: Header=BB177_3 Depth=1
	ds_store_b128 v23, v[18:21]
; %bb.290:                              ;   in Loop: Header=BB177_3 Depth=1
	s_or_b32 exec_lo, exec_lo, s48
	s_wait_dscnt 0x0
	s_barrier_signal -1
	s_barrier_wait -1
	s_and_saveexec_b32 s48, s64
	s_cbranch_execz .LBB177_292
; %bb.291:                              ;   in Loop: Header=BB177_3 Depth=1
	ds_load_b128 v[204:207], v23
	ds_load_b128 v[208:211], v2 offset:9520
	s_wait_dscnt 0x0
	v_mul_f64_e32 v[4:5], v[206:207], v[210:211]
	v_mul_f64_e32 v[44:45], v[204:205], v[210:211]
	s_delay_alu instid0(VALU_DEP_2) | instskip(NEXT) | instid1(VALU_DEP_2)
	v_fma_f64 v[4:5], v[204:205], v[208:209], -v[4:5]
	v_fmac_f64_e32 v[44:45], v[206:207], v[208:209]
	s_delay_alu instid0(VALU_DEP_2) | instskip(NEXT) | instid1(VALU_DEP_2)
	v_add_f64_e32 v[18:19], v[18:19], v[4:5]
	v_add_f64_e32 v[20:21], v[20:21], v[44:45]
.LBB177_292:                            ;   in Loop: Header=BB177_3 Depth=1
	s_or_b32 exec_lo, exec_lo, s48
	s_barrier_signal -1
	s_barrier_wait -1
	s_and_saveexec_b32 s48, s64
; %bb.293:                              ;   in Loop: Header=BB177_3 Depth=1
	ds_store_b128 v23, v[18:21]
; %bb.294:                              ;   in Loop: Header=BB177_3 Depth=1
	s_or_b32 exec_lo, exec_lo, s48
	s_wait_dscnt 0x0
	s_barrier_signal -1
	s_barrier_wait -1
	s_barrier_signal -1
	s_barrier_wait -1
	s_and_saveexec_b32 s48, s1
; %bb.295:                              ;   in Loop: Header=BB177_3 Depth=1
	v_xor_b32_e32 v19, 0x80000000, v19
	v_xor_b32_e32 v21, 0x80000000, v21
	ds_store_b128 v46, v[18:21] offset:8480
; %bb.296:                              ;   in Loop: Header=BB177_3 Depth=1
	s_or_b32 exec_lo, exec_lo, s48
	s_wait_dscnt 0x0
	s_barrier_signal -1
	s_barrier_wait -1
	s_barrier_signal -1
	s_barrier_wait -1
	s_and_saveexec_b32 s48, s65
	s_cbranch_execz .LBB177_298
; %bb.297:                              ;   in Loop: Header=BB177_3 Depth=1
	ds_load_b128 v[18:21], v74
	s_wait_dscnt 0x0
	ds_store_b128 v177, v[18:21]
	ds_load_b128 v[18:21], v75
	s_wait_dscnt 0x0
	ds_store_b128 v178, v[18:21]
.LBB177_298:                            ;   in Loop: Header=BB177_3 Depth=1
	s_or_b32 exec_lo, exec_lo, s48
	s_wait_dscnt 0x0
	s_barrier_signal -1
	s_barrier_wait -1
	s_and_saveexec_b32 s98, s27
	s_cbranch_execz .LBB177_300
; %bb.299:                              ;   in Loop: Header=BB177_3 Depth=1
	s_mov_b32 s48, s35
	s_mov_b32 s50, s35
	;; [unrolled: 1-line block ×3, first 2 shown]
	v_mov_b64_e32 v[18:19], s[48:49]
	v_mov_b64_e32 v[20:21], s[50:51]
	ds_store_b128 v2, v[18:21] offset:9504
	ds_store_b128 v2, v[18:21] offset:10032
	ds_load_b128 v[18:21], v2 offset:9520
	s_wait_dscnt 0x0
	ds_store_b128 v2, v[18:21] offset:10016
.LBB177_300:                            ;   in Loop: Header=BB177_3 Depth=1
	s_or_b32 exec_lo, exec_lo, s98
	v_mov_b64_e32 v[20:21], 0
	v_mov_b64_e32 v[18:19], 0
	s_wait_dscnt 0x0
	s_barrier_signal -1
	s_barrier_wait -1
	s_and_saveexec_b32 s48, s3
	s_cbranch_execz .LBB177_306
; %bb.301:                              ;   in Loop: Header=BB177_3 Depth=1
	ds_load_b128 v[18:21], v49 offset:8448
	ds_load_b128 v[204:207], v55 offset:8512
	s_wait_dscnt 0x0
	v_mul_f64_e32 v[4:5], v[20:21], v[206:207]
	v_mul_f64_e32 v[44:45], v[18:19], v[206:207]
	s_delay_alu instid0(VALU_DEP_2) | instskip(NEXT) | instid1(VALU_DEP_2)
	v_fma_f64 v[4:5], v[18:19], v[204:205], -v[4:5]
	v_fmac_f64_e32 v[44:45], v[20:21], v[204:205]
	s_delay_alu instid0(VALU_DEP_2) | instskip(NEXT) | instid1(VALU_DEP_2)
	v_add_f64_e32 v[18:19], 0, v[4:5]
	v_add_f64_e32 v[20:21], 0, v[44:45]
	s_and_saveexec_b32 s50, s9
	s_cbranch_execnz .LBB177_532
; %bb.302:                              ;   in Loop: Header=BB177_3 Depth=1
	s_or_b32 exec_lo, exec_lo, s50
	s_and_saveexec_b32 s50, s10
	s_cbranch_execnz .LBB177_533
.LBB177_303:                            ;   in Loop: Header=BB177_3 Depth=1
	s_or_b32 exec_lo, exec_lo, s50
	s_and_saveexec_b32 s50, s1
	s_cbranch_execz .LBB177_305
.LBB177_304:                            ;   in Loop: Header=BB177_3 Depth=1
	ds_load_b128 v[204:207], v2 offset:8496
	ds_load_b128 v[208:211], v53 offset:10048
	s_wait_dscnt 0x0
	v_mul_f64_e32 v[4:5], v[206:207], v[210:211]
	v_mul_f64_e32 v[44:45], v[204:205], v[210:211]
	s_delay_alu instid0(VALU_DEP_2) | instskip(NEXT) | instid1(VALU_DEP_2)
	v_fma_f64 v[4:5], v[204:205], v[208:209], -v[4:5]
	v_fmac_f64_e32 v[44:45], v[206:207], v[208:209]
	s_delay_alu instid0(VALU_DEP_2) | instskip(NEXT) | instid1(VALU_DEP_2)
	v_add_f64_e32 v[18:19], v[18:19], v[4:5]
	v_add_f64_e32 v[20:21], v[20:21], v[44:45]
.LBB177_305:                            ;   in Loop: Header=BB177_3 Depth=1
	s_or_b32 exec_lo, exec_lo, s50
	s_delay_alu instid0(VALU_DEP_2) | instskip(NEXT) | instid1(VALU_DEP_2)
	v_xor_b32_e32 v19, 0x80000000, v19
	v_xor_b32_e32 v21, 0x80000000, v21
.LBB177_306:                            ;   in Loop: Header=BB177_3 Depth=1
	s_or_b32 exec_lo, exec_lo, s48
	s_and_saveexec_b32 s48, s66
; %bb.307:                              ;   in Loop: Header=BB177_3 Depth=1
	ds_store_b128 v54, v[18:21]
; %bb.308:                              ;   in Loop: Header=BB177_3 Depth=1
	s_or_b32 exec_lo, exec_lo, s48
	s_wait_dscnt 0x0
	s_barrier_signal -1
	s_barrier_wait -1
	s_and_saveexec_b32 s48, s67
	s_cbranch_execz .LBB177_310
; %bb.309:                              ;   in Loop: Header=BB177_3 Depth=1
	ds_load_b128 v[204:207], v54
	ds_load_b128 v[208:211], v52 offset:10560
	s_wait_dscnt 0x0
	v_mul_f64_e32 v[4:5], v[206:207], v[210:211]
	v_mul_f64_e32 v[44:45], v[204:205], v[210:211]
	s_delay_alu instid0(VALU_DEP_2) | instskip(NEXT) | instid1(VALU_DEP_2)
	v_fma_f64 v[4:5], v[204:205], v[208:209], -v[4:5]
	v_fmac_f64_e32 v[44:45], v[206:207], v[208:209]
	s_delay_alu instid0(VALU_DEP_2) | instskip(NEXT) | instid1(VALU_DEP_2)
	v_add_f64_e32 v[18:19], v[18:19], v[4:5]
	v_add_f64_e32 v[20:21], v[20:21], v[44:45]
.LBB177_310:                            ;   in Loop: Header=BB177_3 Depth=1
	s_or_b32 exec_lo, exec_lo, s48
	s_barrier_signal -1
	s_barrier_wait -1
	s_and_saveexec_b32 s48, s68
; %bb.311:                              ;   in Loop: Header=BB177_3 Depth=1
	ds_store_b128 v54, v[18:21]
; %bb.312:                              ;   in Loop: Header=BB177_3 Depth=1
	s_or_b32 exec_lo, exec_lo, s48
	s_wait_dscnt 0x0
	s_barrier_signal -1
	s_barrier_wait -1
	s_and_saveexec_b32 s48, s69
	s_cbranch_execz .LBB177_314
; %bb.313:                              ;   in Loop: Header=BB177_3 Depth=1
	ds_load_b128 v[204:207], v54
	ds_load_b128 v[208:211], v52 offset:11072
	s_wait_dscnt 0x0
	v_mul_f64_e32 v[4:5], v[206:207], v[210:211]
	v_mul_f64_e32 v[44:45], v[204:205], v[210:211]
	s_delay_alu instid0(VALU_DEP_2) | instskip(NEXT) | instid1(VALU_DEP_2)
	v_fma_f64 v[4:5], v[204:205], v[208:209], -v[4:5]
	v_fmac_f64_e32 v[44:45], v[206:207], v[208:209]
	s_delay_alu instid0(VALU_DEP_2) | instskip(NEXT) | instid1(VALU_DEP_2)
	v_add_f64_e32 v[18:19], v[18:19], v[4:5]
	v_add_f64_e32 v[20:21], v[20:21], v[44:45]
.LBB177_314:                            ;   in Loop: Header=BB177_3 Depth=1
	s_or_b32 exec_lo, exec_lo, s48
	s_barrier_signal -1
	s_barrier_wait -1
	;; [unrolled: 26-line block ×3, first 2 shown]
	s_and_saveexec_b32 s48, s71
; %bb.319:                              ;   in Loop: Header=BB177_3 Depth=1
	ds_store_b128 v54, v[18:21]
; %bb.320:                              ;   in Loop: Header=BB177_3 Depth=1
	s_or_b32 exec_lo, exec_lo, s48
	s_wait_dscnt 0x0
	s_barrier_signal -1
	s_barrier_wait -1
	s_barrier_signal -1
	s_barrier_wait -1
	s_and_saveexec_b32 s48, s3
; %bb.321:                              ;   in Loop: Header=BB177_3 Depth=1
	v_xor_b32_e32 v21, 0x80000000, v21
	v_xor_b32_e32 v19, 0x80000000, v19
	ds_store_b128 v55, v[18:21] offset:8512
; %bb.322:                              ;   in Loop: Header=BB177_3 Depth=1
	s_or_b32 exec_lo, exec_lo, s48
	s_wait_dscnt 0x0
	s_barrier_signal -1
	s_barrier_wait -1
	s_barrier_signal -1
	s_barrier_wait -1
	s_and_saveexec_b32 s48, s72
	s_cbranch_execz .LBB177_324
; %bb.323:                              ;   in Loop: Header=BB177_3 Depth=1
	ds_load_b128 v[18:21], v89
	s_wait_dscnt 0x0
	ds_store_b128 v179, v[18:21]
	ds_load_b128 v[18:21], v92
	s_wait_dscnt 0x0
	ds_store_b128 v182, v[18:21]
	;; [unrolled: 3-line block ×4, first 2 shown]
.LBB177_324:                            ;   in Loop: Header=BB177_3 Depth=1
	s_or_b32 exec_lo, exec_lo, s48
	s_wait_dscnt 0x0
	s_barrier_signal -1
	s_barrier_wait -1
	s_and_saveexec_b32 s98, s27
	s_cbranch_execz .LBB177_326
; %bb.325:                              ;   in Loop: Header=BB177_3 Depth=1
	s_mov_b32 s48, s35
	s_mov_b32 s50, s35
	;; [unrolled: 1-line block ×3, first 2 shown]
	v_mov_b64_e32 v[18:19], s[48:49]
	v_mov_b64_e32 v[20:21], s[50:51]
	ds_store_b128 v2, v[18:21] offset:10560
	ds_store_b128 v2, v[18:21] offset:11088
	ds_load_b128 v[18:21], v2 offset:10576
	s_wait_dscnt 0x0
	ds_store_b128 v2, v[18:21] offset:11072
.LBB177_326:                            ;   in Loop: Header=BB177_3 Depth=1
	s_or_b32 exec_lo, exec_lo, s98
	v_mov_b64_e32 v[20:21], 0
	v_mov_b64_e32 v[18:19], 0
	s_wait_dscnt 0x0
	s_barrier_signal -1
	s_barrier_wait -1
	s_and_saveexec_b32 s48, s1
	s_cbranch_execz .LBB177_330
; %bb.327:                              ;   in Loop: Header=BB177_3 Depth=1
	ds_load_b128 v[18:21], v47 offset:10560
	ds_load_b128 v[204:207], v46 offset:10592
	s_wait_dscnt 0x0
	v_mul_f64_e32 v[4:5], v[20:21], v[206:207]
	v_mul_f64_e32 v[44:45], v[18:19], v[206:207]
	s_delay_alu instid0(VALU_DEP_2) | instskip(NEXT) | instid1(VALU_DEP_2)
	v_fma_f64 v[4:5], v[18:19], v[204:205], -v[4:5]
	v_fmac_f64_e32 v[44:45], v[20:21], v[204:205]
	s_delay_alu instid0(VALU_DEP_2) | instskip(NEXT) | instid1(VALU_DEP_2)
	v_add_f64_e32 v[18:19], 0, v[4:5]
	v_add_f64_e32 v[20:21], 0, v[44:45]
	s_and_saveexec_b32 s50, s8
	s_cbranch_execz .LBB177_329
; %bb.328:                              ;   in Loop: Header=BB177_3 Depth=1
	ds_load_b128 v[204:207], v2 offset:10576
	ds_load_b128 v[208:211], v86 offset:11104
	s_wait_dscnt 0x0
	v_mul_f64_e32 v[4:5], v[206:207], v[210:211]
	v_mul_f64_e32 v[44:45], v[204:205], v[210:211]
	s_delay_alu instid0(VALU_DEP_2) | instskip(NEXT) | instid1(VALU_DEP_2)
	v_fma_f64 v[4:5], v[204:205], v[208:209], -v[4:5]
	v_fmac_f64_e32 v[44:45], v[206:207], v[208:209]
	s_delay_alu instid0(VALU_DEP_2) | instskip(NEXT) | instid1(VALU_DEP_2)
	v_add_f64_e32 v[18:19], v[18:19], v[4:5]
	v_add_f64_e32 v[20:21], v[20:21], v[44:45]
.LBB177_329:                            ;   in Loop: Header=BB177_3 Depth=1
	s_or_b32 exec_lo, exec_lo, s50
	s_delay_alu instid0(VALU_DEP_2) | instskip(NEXT) | instid1(VALU_DEP_2)
	v_xor_b32_e32 v19, 0x80000000, v19
	v_xor_b32_e32 v21, 0x80000000, v21
.LBB177_330:                            ;   in Loop: Header=BB177_3 Depth=1
	s_or_b32 exec_lo, exec_lo, s48
	s_and_saveexec_b32 s48, s63
; %bb.331:                              ;   in Loop: Header=BB177_3 Depth=1
	ds_store_b128 v23, v[18:21]
; %bb.332:                              ;   in Loop: Header=BB177_3 Depth=1
	s_or_b32 exec_lo, exec_lo, s48
	s_wait_dscnt 0x0
	s_barrier_signal -1
	s_barrier_wait -1
	s_and_saveexec_b32 s48, s64
	s_cbranch_execz .LBB177_334
; %bb.333:                              ;   in Loop: Header=BB177_3 Depth=1
	ds_load_b128 v[204:207], v23
	ds_load_b128 v[208:211], v2 offset:11632
	s_wait_dscnt 0x0
	v_mul_f64_e32 v[4:5], v[206:207], v[210:211]
	v_mul_f64_e32 v[44:45], v[204:205], v[210:211]
	s_delay_alu instid0(VALU_DEP_2) | instskip(NEXT) | instid1(VALU_DEP_2)
	v_fma_f64 v[4:5], v[204:205], v[208:209], -v[4:5]
	v_fmac_f64_e32 v[44:45], v[206:207], v[208:209]
	s_delay_alu instid0(VALU_DEP_2) | instskip(NEXT) | instid1(VALU_DEP_2)
	v_add_f64_e32 v[18:19], v[18:19], v[4:5]
	v_add_f64_e32 v[20:21], v[20:21], v[44:45]
.LBB177_334:                            ;   in Loop: Header=BB177_3 Depth=1
	s_or_b32 exec_lo, exec_lo, s48
	s_barrier_signal -1
	s_barrier_wait -1
	s_and_saveexec_b32 s48, s64
; %bb.335:                              ;   in Loop: Header=BB177_3 Depth=1
	ds_store_b128 v23, v[18:21]
; %bb.336:                              ;   in Loop: Header=BB177_3 Depth=1
	s_or_b32 exec_lo, exec_lo, s48
	s_wait_dscnt 0x0
	s_barrier_signal -1
	s_barrier_wait -1
	s_barrier_signal -1
	s_barrier_wait -1
	s_and_saveexec_b32 s48, s1
; %bb.337:                              ;   in Loop: Header=BB177_3 Depth=1
	v_xor_b32_e32 v19, 0x80000000, v19
	v_xor_b32_e32 v21, 0x80000000, v21
	ds_store_b128 v46, v[18:21] offset:10592
; %bb.338:                              ;   in Loop: Header=BB177_3 Depth=1
	s_or_b32 exec_lo, exec_lo, s48
	s_wait_dscnt 0x0
	s_barrier_signal -1
	s_barrier_wait -1
	s_barrier_signal -1
	s_barrier_wait -1
	s_and_saveexec_b32 s48, s65
	s_cbranch_execz .LBB177_340
; %bb.339:                              ;   in Loop: Header=BB177_3 Depth=1
	ds_load_b128 v[18:21], v102
	s_wait_dscnt 0x0
	ds_store_b128 v183, v[18:21]
	ds_load_b128 v[18:21], v103
	s_wait_dscnt 0x0
	ds_store_b128 v184, v[18:21]
.LBB177_340:                            ;   in Loop: Header=BB177_3 Depth=1
	s_or_b32 exec_lo, exec_lo, s48
	s_wait_dscnt 0x0
	s_barrier_signal -1
	s_barrier_wait -1
	s_and_saveexec_b32 s98, s27
	s_cbranch_execz .LBB177_342
; %bb.341:                              ;   in Loop: Header=BB177_3 Depth=1
	s_mov_b32 s48, s35
	s_mov_b32 s50, s35
	;; [unrolled: 1-line block ×3, first 2 shown]
	v_mov_b64_e32 v[18:19], s[48:49]
	v_mov_b64_e32 v[20:21], s[50:51]
	ds_store_b128 v2, v[18:21] offset:11616
	ds_store_b128 v2, v[18:21] offset:12144
	ds_load_b128 v[18:21], v2 offset:11632
	s_wait_dscnt 0x0
	ds_store_b128 v2, v[18:21] offset:12128
.LBB177_342:                            ;   in Loop: Header=BB177_3 Depth=1
	s_or_b32 exec_lo, exec_lo, s98
	v_mov_b64_e32 v[20:21], 0
	v_mov_b64_e32 v[18:19], 0
	s_wait_dscnt 0x0
	s_barrier_signal -1
	s_barrier_wait -1
	s_and_saveexec_b32 s48, s4
	s_cbranch_execz .LBB177_352
; %bb.343:                              ;   in Loop: Header=BB177_3 Depth=1
	ds_load_b128 v[18:21], v57 offset:8448
	ds_load_b128 v[204:207], v62 offset:8576
	s_wait_dscnt 0x0
	v_mul_f64_e32 v[4:5], v[20:21], v[206:207]
	v_mul_f64_e32 v[44:45], v[18:19], v[206:207]
	s_delay_alu instid0(VALU_DEP_2) | instskip(NEXT) | instid1(VALU_DEP_2)
	v_fma_f64 v[4:5], v[18:19], v[204:205], -v[4:5]
	v_fmac_f64_e32 v[44:45], v[20:21], v[204:205]
	s_delay_alu instid0(VALU_DEP_2) | instskip(NEXT) | instid1(VALU_DEP_2)
	v_add_f64_e32 v[18:19], 0, v[4:5]
	v_add_f64_e32 v[20:21], 0, v[44:45]
	s_and_saveexec_b32 s50, s11
	s_cbranch_execnz .LBB177_534
; %bb.344:                              ;   in Loop: Header=BB177_3 Depth=1
	s_or_b32 exec_lo, exec_lo, s50
	s_and_saveexec_b32 s50, s12
	s_cbranch_execnz .LBB177_535
.LBB177_345:                            ;   in Loop: Header=BB177_3 Depth=1
	s_or_b32 exec_lo, exec_lo, s50
	s_and_saveexec_b32 s50, s13
	s_cbranch_execnz .LBB177_536
.LBB177_346:                            ;   in Loop: Header=BB177_3 Depth=1
	s_or_b32 exec_lo, exec_lo, s50
	s_and_saveexec_b32 s50, s14
	s_cbranch_execnz .LBB177_537
.LBB177_347:                            ;   in Loop: Header=BB177_3 Depth=1
	s_or_b32 exec_lo, exec_lo, s50
	s_and_saveexec_b32 s50, s15
	s_cbranch_execnz .LBB177_538
.LBB177_348:                            ;   in Loop: Header=BB177_3 Depth=1
	s_or_b32 exec_lo, exec_lo, s50
	s_and_saveexec_b32 s50, s3
	s_cbranch_execnz .LBB177_539
.LBB177_349:                            ;   in Loop: Header=BB177_3 Depth=1
	s_or_b32 exec_lo, exec_lo, s50
	s_and_saveexec_b32 s50, s10
	s_cbranch_execz .LBB177_351
.LBB177_350:                            ;   in Loop: Header=BB177_3 Depth=1
	ds_load_b128 v[204:207], v2 offset:8560
	ds_load_b128 v[208:211], v48 offset:12160
	s_wait_dscnt 0x0
	v_mul_f64_e32 v[4:5], v[206:207], v[210:211]
	v_mul_f64_e32 v[44:45], v[204:205], v[210:211]
	s_delay_alu instid0(VALU_DEP_2) | instskip(NEXT) | instid1(VALU_DEP_2)
	v_fma_f64 v[4:5], v[204:205], v[208:209], -v[4:5]
	v_fmac_f64_e32 v[44:45], v[206:207], v[208:209]
	s_delay_alu instid0(VALU_DEP_2) | instskip(NEXT) | instid1(VALU_DEP_2)
	v_add_f64_e32 v[18:19], v[18:19], v[4:5]
	v_add_f64_e32 v[20:21], v[20:21], v[44:45]
.LBB177_351:                            ;   in Loop: Header=BB177_3 Depth=1
	s_or_b32 exec_lo, exec_lo, s50
	s_delay_alu instid0(VALU_DEP_2) | instskip(NEXT) | instid1(VALU_DEP_2)
	v_xor_b32_e32 v19, 0x80000000, v19
	v_xor_b32_e32 v21, 0x80000000, v21
.LBB177_352:                            ;   in Loop: Header=BB177_3 Depth=1
	s_or_b32 exec_lo, exec_lo, s48
	s_and_saveexec_b32 s48, s73
; %bb.353:                              ;   in Loop: Header=BB177_3 Depth=1
	ds_store_b128 v61, v[18:21]
; %bb.354:                              ;   in Loop: Header=BB177_3 Depth=1
	s_or_b32 exec_lo, exec_lo, s48
	s_wait_dscnt 0x0
	s_barrier_signal -1
	s_barrier_wait -1
	s_and_saveexec_b32 s48, s74
	s_cbranch_execz .LBB177_356
; %bb.355:                              ;   in Loop: Header=BB177_3 Depth=1
	ds_load_b128 v[204:207], v61
	ds_load_b128 v[208:211], v59 offset:12672
	s_wait_dscnt 0x0
	v_mul_f64_e32 v[4:5], v[206:207], v[210:211]
	v_mul_f64_e32 v[44:45], v[204:205], v[210:211]
	s_delay_alu instid0(VALU_DEP_2) | instskip(NEXT) | instid1(VALU_DEP_2)
	v_fma_f64 v[4:5], v[204:205], v[208:209], -v[4:5]
	v_fmac_f64_e32 v[44:45], v[206:207], v[208:209]
	s_delay_alu instid0(VALU_DEP_2) | instskip(NEXT) | instid1(VALU_DEP_2)
	v_add_f64_e32 v[18:19], v[18:19], v[4:5]
	v_add_f64_e32 v[20:21], v[20:21], v[44:45]
.LBB177_356:                            ;   in Loop: Header=BB177_3 Depth=1
	s_or_b32 exec_lo, exec_lo, s48
	s_barrier_signal -1
	s_barrier_wait -1
	s_and_saveexec_b32 s48, s75
; %bb.357:                              ;   in Loop: Header=BB177_3 Depth=1
	ds_store_b128 v61, v[18:21]
; %bb.358:                              ;   in Loop: Header=BB177_3 Depth=1
	s_or_b32 exec_lo, exec_lo, s48
	s_wait_dscnt 0x0
	s_barrier_signal -1
	s_barrier_wait -1
	s_and_saveexec_b32 s48, s76
	s_cbranch_execz .LBB177_360
; %bb.359:                              ;   in Loop: Header=BB177_3 Depth=1
	ds_load_b128 v[204:207], v61
	ds_load_b128 v[208:211], v59 offset:13184
	s_wait_dscnt 0x0
	v_mul_f64_e32 v[4:5], v[206:207], v[210:211]
	v_mul_f64_e32 v[44:45], v[204:205], v[210:211]
	s_delay_alu instid0(VALU_DEP_2) | instskip(NEXT) | instid1(VALU_DEP_2)
	v_fma_f64 v[4:5], v[204:205], v[208:209], -v[4:5]
	v_fmac_f64_e32 v[44:45], v[206:207], v[208:209]
	s_delay_alu instid0(VALU_DEP_2) | instskip(NEXT) | instid1(VALU_DEP_2)
	v_add_f64_e32 v[18:19], v[18:19], v[4:5]
	v_add_f64_e32 v[20:21], v[20:21], v[44:45]
.LBB177_360:                            ;   in Loop: Header=BB177_3 Depth=1
	s_or_b32 exec_lo, exec_lo, s48
	s_barrier_signal -1
	s_barrier_wait -1
	;; [unrolled: 26-line block ×7, first 2 shown]
	s_and_saveexec_b32 s48, s86
; %bb.381:                              ;   in Loop: Header=BB177_3 Depth=1
	ds_store_b128 v61, v[18:21]
; %bb.382:                              ;   in Loop: Header=BB177_3 Depth=1
	s_or_b32 exec_lo, exec_lo, s48
	s_wait_dscnt 0x0
	s_barrier_signal -1
	s_barrier_wait -1
	s_barrier_signal -1
	s_barrier_wait -1
	s_and_saveexec_b32 s48, s4
; %bb.383:                              ;   in Loop: Header=BB177_3 Depth=1
	v_xor_b32_e32 v19, 0x80000000, v19
	v_xor_b32_e32 v21, 0x80000000, v21
	ds_store_b128 v62, v[18:21] offset:8576
; %bb.384:                              ;   in Loop: Header=BB177_3 Depth=1
	s_or_b32 exec_lo, exec_lo, s48
	s_wait_dscnt 0x0
	s_barrier_signal -1
	s_barrier_wait -1
	s_barrier_signal -1
	s_barrier_wait -1
	s_and_saveexec_b32 s48, s87
	s_cbranch_execz .LBB177_386
; %bb.385:                              ;   in Loop: Header=BB177_3 Depth=1
	ds_load_b128 v[18:21], v76
	s_wait_dscnt 0x0
	ds_store_b128 v185, v[18:21]
	ds_load_b128 v[18:21], v77
	s_wait_dscnt 0x0
	ds_store_b128 v186, v[18:21]
	ds_load_b128 v[18:21], v78
	s_wait_dscnt 0x0
	ds_store_b128 v187, v[18:21]
	ds_load_b128 v[18:21], v79
	s_wait_dscnt 0x0
	ds_store_b128 v188, v[18:21]
	ds_load_b128 v[18:21], v80
	s_wait_dscnt 0x0
	ds_store_b128 v189, v[18:21]
	ds_load_b128 v[18:21], v81
	s_wait_dscnt 0x0
	ds_store_b128 v190, v[18:21]
	ds_load_b128 v[18:21], v82
	s_wait_dscnt 0x0
	ds_store_b128 v191, v[18:21]
	ds_load_b128 v[18:21], v83
	s_wait_dscnt 0x0
	ds_store_b128 v192, v[18:21]
.LBB177_386:                            ;   in Loop: Header=BB177_3 Depth=1
	s_or_b32 exec_lo, exec_lo, s48
	s_wait_dscnt 0x0
	s_barrier_signal -1
	s_barrier_wait -1
	s_and_saveexec_b32 s98, s27
	s_cbranch_execz .LBB177_388
; %bb.387:                              ;   in Loop: Header=BB177_3 Depth=1
	s_mov_b32 s48, s35
	s_mov_b32 s50, s35
	;; [unrolled: 1-line block ×3, first 2 shown]
	v_mov_b64_e32 v[18:19], s[48:49]
	v_mov_b64_e32 v[20:21], s[50:51]
	ds_store_b128 v2, v[18:21] offset:12672
	ds_store_b128 v2, v[18:21] offset:13200
	ds_load_b128 v[18:21], v2 offset:12688
	s_wait_dscnt 0x0
	ds_store_b128 v2, v[18:21] offset:13184
.LBB177_388:                            ;   in Loop: Header=BB177_3 Depth=1
	s_or_b32 exec_lo, exec_lo, s98
	v_mov_b64_e32 v[20:21], 0
	v_mov_b64_e32 v[18:19], 0
	s_wait_dscnt 0x0
	s_barrier_signal -1
	s_barrier_wait -1
	s_and_saveexec_b32 s48, s1
	s_cbranch_execz .LBB177_392
; %bb.389:                              ;   in Loop: Header=BB177_3 Depth=1
	ds_load_b128 v[18:21], v47 offset:12672
	ds_load_b128 v[204:207], v46 offset:12704
	s_wait_dscnt 0x0
	v_mul_f64_e32 v[4:5], v[20:21], v[206:207]
	v_mul_f64_e32 v[44:45], v[18:19], v[206:207]
	s_delay_alu instid0(VALU_DEP_2) | instskip(NEXT) | instid1(VALU_DEP_2)
	v_fma_f64 v[4:5], v[18:19], v[204:205], -v[4:5]
	v_fmac_f64_e32 v[44:45], v[20:21], v[204:205]
	s_delay_alu instid0(VALU_DEP_2) | instskip(NEXT) | instid1(VALU_DEP_2)
	v_add_f64_e32 v[18:19], 0, v[4:5]
	v_add_f64_e32 v[20:21], 0, v[44:45]
	s_and_saveexec_b32 s50, s8
	s_cbranch_execz .LBB177_391
; %bb.390:                              ;   in Loop: Header=BB177_3 Depth=1
	ds_load_b128 v[204:207], v2 offset:12688
	ds_load_b128 v[208:211], v53 offset:13216
	s_wait_dscnt 0x0
	v_mul_f64_e32 v[4:5], v[206:207], v[210:211]
	v_mul_f64_e32 v[44:45], v[204:205], v[210:211]
	s_delay_alu instid0(VALU_DEP_2) | instskip(NEXT) | instid1(VALU_DEP_2)
	v_fma_f64 v[4:5], v[204:205], v[208:209], -v[4:5]
	v_fmac_f64_e32 v[44:45], v[206:207], v[208:209]
	s_delay_alu instid0(VALU_DEP_2) | instskip(NEXT) | instid1(VALU_DEP_2)
	v_add_f64_e32 v[18:19], v[18:19], v[4:5]
	v_add_f64_e32 v[20:21], v[20:21], v[44:45]
.LBB177_391:                            ;   in Loop: Header=BB177_3 Depth=1
	s_or_b32 exec_lo, exec_lo, s50
	s_delay_alu instid0(VALU_DEP_2) | instskip(NEXT) | instid1(VALU_DEP_2)
	v_xor_b32_e32 v19, 0x80000000, v19
	v_xor_b32_e32 v21, 0x80000000, v21
.LBB177_392:                            ;   in Loop: Header=BB177_3 Depth=1
	s_or_b32 exec_lo, exec_lo, s48
	s_and_saveexec_b32 s48, s63
; %bb.393:                              ;   in Loop: Header=BB177_3 Depth=1
	ds_store_b128 v23, v[18:21]
; %bb.394:                              ;   in Loop: Header=BB177_3 Depth=1
	s_or_b32 exec_lo, exec_lo, s48
	s_wait_dscnt 0x0
	s_barrier_signal -1
	s_barrier_wait -1
	s_and_saveexec_b32 s48, s64
	s_cbranch_execz .LBB177_396
; %bb.395:                              ;   in Loop: Header=BB177_3 Depth=1
	ds_load_b128 v[204:207], v23
	ds_load_b128 v[208:211], v2 offset:13744
	s_wait_dscnt 0x0
	v_mul_f64_e32 v[4:5], v[206:207], v[210:211]
	v_mul_f64_e32 v[44:45], v[204:205], v[210:211]
	s_delay_alu instid0(VALU_DEP_2) | instskip(NEXT) | instid1(VALU_DEP_2)
	v_fma_f64 v[4:5], v[204:205], v[208:209], -v[4:5]
	v_fmac_f64_e32 v[44:45], v[206:207], v[208:209]
	s_delay_alu instid0(VALU_DEP_2) | instskip(NEXT) | instid1(VALU_DEP_2)
	v_add_f64_e32 v[18:19], v[18:19], v[4:5]
	v_add_f64_e32 v[20:21], v[20:21], v[44:45]
.LBB177_396:                            ;   in Loop: Header=BB177_3 Depth=1
	s_or_b32 exec_lo, exec_lo, s48
	s_barrier_signal -1
	s_barrier_wait -1
	s_and_saveexec_b32 s48, s64
; %bb.397:                              ;   in Loop: Header=BB177_3 Depth=1
	ds_store_b128 v23, v[18:21]
; %bb.398:                              ;   in Loop: Header=BB177_3 Depth=1
	s_or_b32 exec_lo, exec_lo, s48
	s_wait_dscnt 0x0
	s_barrier_signal -1
	s_barrier_wait -1
	s_barrier_signal -1
	s_barrier_wait -1
	s_and_saveexec_b32 s48, s1
; %bb.399:                              ;   in Loop: Header=BB177_3 Depth=1
	v_xor_b32_e32 v19, 0x80000000, v19
	v_xor_b32_e32 v21, 0x80000000, v21
	ds_store_b128 v46, v[18:21] offset:12704
; %bb.400:                              ;   in Loop: Header=BB177_3 Depth=1
	s_or_b32 exec_lo, exec_lo, s48
	s_wait_dscnt 0x0
	s_barrier_signal -1
	s_barrier_wait -1
	s_barrier_signal -1
	s_barrier_wait -1
	s_and_saveexec_b32 s48, s65
	s_cbranch_execz .LBB177_402
; %bb.401:                              ;   in Loop: Header=BB177_3 Depth=1
	ds_load_b128 v[18:21], v93
	s_wait_dscnt 0x0
	ds_store_b128 v193, v[18:21]
	ds_load_b128 v[18:21], v94
	s_wait_dscnt 0x0
	ds_store_b128 v194, v[18:21]
.LBB177_402:                            ;   in Loop: Header=BB177_3 Depth=1
	s_or_b32 exec_lo, exec_lo, s48
	s_wait_dscnt 0x0
	s_barrier_signal -1
	s_barrier_wait -1
	s_and_saveexec_b32 s98, s27
	s_cbranch_execz .LBB177_404
; %bb.403:                              ;   in Loop: Header=BB177_3 Depth=1
	s_mov_b32 s48, s35
	s_mov_b32 s50, s35
	;; [unrolled: 1-line block ×3, first 2 shown]
	v_mov_b64_e32 v[18:19], s[48:49]
	v_mov_b64_e32 v[20:21], s[50:51]
	ds_store_b128 v2, v[18:21] offset:13728
	ds_store_b128 v2, v[18:21] offset:14256
	ds_load_b128 v[18:21], v2 offset:13744
	s_wait_dscnt 0x0
	ds_store_b128 v2, v[18:21] offset:14240
.LBB177_404:                            ;   in Loop: Header=BB177_3 Depth=1
	s_or_b32 exec_lo, exec_lo, s98
	v_mov_b64_e32 v[20:21], 0
	v_mov_b64_e32 v[18:19], 0
	s_wait_dscnt 0x0
	s_barrier_signal -1
	s_barrier_wait -1
	s_and_saveexec_b32 s48, s3
	s_cbranch_execz .LBB177_410
; %bb.405:                              ;   in Loop: Header=BB177_3 Depth=1
	ds_load_b128 v[18:21], v49 offset:12672
	ds_load_b128 v[204:207], v55 offset:12736
	s_wait_dscnt 0x0
	v_mul_f64_e32 v[4:5], v[20:21], v[206:207]
	v_mul_f64_e32 v[44:45], v[18:19], v[206:207]
	s_delay_alu instid0(VALU_DEP_2) | instskip(NEXT) | instid1(VALU_DEP_2)
	v_fma_f64 v[4:5], v[18:19], v[204:205], -v[4:5]
	v_fmac_f64_e32 v[44:45], v[20:21], v[204:205]
	s_delay_alu instid0(VALU_DEP_2) | instskip(NEXT) | instid1(VALU_DEP_2)
	v_add_f64_e32 v[18:19], 0, v[4:5]
	v_add_f64_e32 v[20:21], 0, v[44:45]
	s_and_saveexec_b32 s50, s9
	s_cbranch_execnz .LBB177_540
; %bb.406:                              ;   in Loop: Header=BB177_3 Depth=1
	s_or_b32 exec_lo, exec_lo, s50
	s_and_saveexec_b32 s50, s10
	s_cbranch_execnz .LBB177_541
.LBB177_407:                            ;   in Loop: Header=BB177_3 Depth=1
	s_or_b32 exec_lo, exec_lo, s50
	s_and_saveexec_b32 s50, s1
	s_cbranch_execz .LBB177_409
.LBB177_408:                            ;   in Loop: Header=BB177_3 Depth=1
	ds_load_b128 v[204:207], v2 offset:12720
	ds_load_b128 v[208:211], v86 offset:14272
	s_wait_dscnt 0x0
	v_mul_f64_e32 v[4:5], v[206:207], v[210:211]
	v_mul_f64_e32 v[44:45], v[204:205], v[210:211]
	s_delay_alu instid0(VALU_DEP_2) | instskip(NEXT) | instid1(VALU_DEP_2)
	v_fma_f64 v[4:5], v[204:205], v[208:209], -v[4:5]
	v_fmac_f64_e32 v[44:45], v[206:207], v[208:209]
	s_delay_alu instid0(VALU_DEP_2) | instskip(NEXT) | instid1(VALU_DEP_2)
	v_add_f64_e32 v[18:19], v[18:19], v[4:5]
	v_add_f64_e32 v[20:21], v[20:21], v[44:45]
.LBB177_409:                            ;   in Loop: Header=BB177_3 Depth=1
	s_or_b32 exec_lo, exec_lo, s50
	s_delay_alu instid0(VALU_DEP_2) | instskip(NEXT) | instid1(VALU_DEP_2)
	v_xor_b32_e32 v19, 0x80000000, v19
	v_xor_b32_e32 v21, 0x80000000, v21
.LBB177_410:                            ;   in Loop: Header=BB177_3 Depth=1
	s_or_b32 exec_lo, exec_lo, s48
	s_and_saveexec_b32 s48, s66
; %bb.411:                              ;   in Loop: Header=BB177_3 Depth=1
	ds_store_b128 v54, v[18:21]
; %bb.412:                              ;   in Loop: Header=BB177_3 Depth=1
	s_or_b32 exec_lo, exec_lo, s48
	s_wait_dscnt 0x0
	s_barrier_signal -1
	s_barrier_wait -1
	s_and_saveexec_b32 s48, s67
	s_cbranch_execz .LBB177_414
; %bb.413:                              ;   in Loop: Header=BB177_3 Depth=1
	ds_load_b128 v[204:207], v54
	ds_load_b128 v[208:211], v52 offset:14784
	s_wait_dscnt 0x0
	v_mul_f64_e32 v[4:5], v[206:207], v[210:211]
	v_mul_f64_e32 v[44:45], v[204:205], v[210:211]
	s_delay_alu instid0(VALU_DEP_2) | instskip(NEXT) | instid1(VALU_DEP_2)
	v_fma_f64 v[4:5], v[204:205], v[208:209], -v[4:5]
	v_fmac_f64_e32 v[44:45], v[206:207], v[208:209]
	s_delay_alu instid0(VALU_DEP_2) | instskip(NEXT) | instid1(VALU_DEP_2)
	v_add_f64_e32 v[18:19], v[18:19], v[4:5]
	v_add_f64_e32 v[20:21], v[20:21], v[44:45]
.LBB177_414:                            ;   in Loop: Header=BB177_3 Depth=1
	s_or_b32 exec_lo, exec_lo, s48
	s_barrier_signal -1
	s_barrier_wait -1
	s_and_saveexec_b32 s48, s68
; %bb.415:                              ;   in Loop: Header=BB177_3 Depth=1
	ds_store_b128 v54, v[18:21]
; %bb.416:                              ;   in Loop: Header=BB177_3 Depth=1
	s_or_b32 exec_lo, exec_lo, s48
	s_wait_dscnt 0x0
	s_barrier_signal -1
	s_barrier_wait -1
	s_and_saveexec_b32 s48, s69
	s_cbranch_execz .LBB177_418
; %bb.417:                              ;   in Loop: Header=BB177_3 Depth=1
	ds_load_b128 v[204:207], v54
	ds_load_b128 v[208:211], v52 offset:15296
	s_wait_dscnt 0x0
	v_mul_f64_e32 v[4:5], v[206:207], v[210:211]
	v_mul_f64_e32 v[44:45], v[204:205], v[210:211]
	s_delay_alu instid0(VALU_DEP_2) | instskip(NEXT) | instid1(VALU_DEP_2)
	v_fma_f64 v[4:5], v[204:205], v[208:209], -v[4:5]
	v_fmac_f64_e32 v[44:45], v[206:207], v[208:209]
	s_delay_alu instid0(VALU_DEP_2) | instskip(NEXT) | instid1(VALU_DEP_2)
	v_add_f64_e32 v[18:19], v[18:19], v[4:5]
	v_add_f64_e32 v[20:21], v[20:21], v[44:45]
.LBB177_418:                            ;   in Loop: Header=BB177_3 Depth=1
	s_or_b32 exec_lo, exec_lo, s48
	s_barrier_signal -1
	s_barrier_wait -1
	;; [unrolled: 26-line block ×3, first 2 shown]
	s_and_saveexec_b32 s48, s71
; %bb.423:                              ;   in Loop: Header=BB177_3 Depth=1
	ds_store_b128 v54, v[18:21]
; %bb.424:                              ;   in Loop: Header=BB177_3 Depth=1
	s_or_b32 exec_lo, exec_lo, s48
	s_wait_dscnt 0x0
	s_barrier_signal -1
	s_barrier_wait -1
	s_barrier_signal -1
	s_barrier_wait -1
	s_and_saveexec_b32 s48, s3
; %bb.425:                              ;   in Loop: Header=BB177_3 Depth=1
	v_xor_b32_e32 v21, 0x80000000, v21
	v_xor_b32_e32 v19, 0x80000000, v19
	ds_store_b128 v55, v[18:21] offset:12736
; %bb.426:                              ;   in Loop: Header=BB177_3 Depth=1
	s_or_b32 exec_lo, exec_lo, s48
	s_wait_dscnt 0x0
	s_barrier_signal -1
	s_barrier_wait -1
	s_barrier_signal -1
	s_barrier_wait -1
	s_and_saveexec_b32 s48, s72
	s_cbranch_execz .LBB177_428
; %bb.427:                              ;   in Loop: Header=BB177_3 Depth=1
	ds_load_b128 v[18:21], v104
	s_wait_dscnt 0x0
	ds_store_b128 v195, v[18:21]
	ds_load_b128 v[18:21], v107
	s_wait_dscnt 0x0
	ds_store_b128 v198, v[18:21]
	;; [unrolled: 3-line block ×4, first 2 shown]
.LBB177_428:                            ;   in Loop: Header=BB177_3 Depth=1
	s_or_b32 exec_lo, exec_lo, s48
	s_wait_dscnt 0x0
	s_barrier_signal -1
	s_barrier_wait -1
	s_and_saveexec_b32 s98, s27
	s_cbranch_execz .LBB177_430
; %bb.429:                              ;   in Loop: Header=BB177_3 Depth=1
	s_mov_b32 s48, s35
	s_mov_b32 s50, s35
	;; [unrolled: 1-line block ×3, first 2 shown]
	v_mov_b64_e32 v[18:19], s[48:49]
	v_mov_b64_e32 v[20:21], s[50:51]
	ds_store_b128 v2, v[18:21] offset:14784
	ds_store_b128 v2, v[18:21] offset:15312
	ds_load_b128 v[18:21], v2 offset:14800
	s_wait_dscnt 0x0
	ds_store_b128 v2, v[18:21] offset:15296
.LBB177_430:                            ;   in Loop: Header=BB177_3 Depth=1
	s_or_b32 exec_lo, exec_lo, s98
	v_mov_b64_e32 v[20:21], 0
	v_mov_b64_e32 v[18:19], 0
	s_wait_dscnt 0x0
	s_barrier_signal -1
	s_barrier_wait -1
	s_and_saveexec_b32 s48, s1
	s_cbranch_execz .LBB177_434
; %bb.431:                              ;   in Loop: Header=BB177_3 Depth=1
	ds_load_b128 v[18:21], v47 offset:14784
	ds_load_b128 v[204:207], v46 offset:14816
	s_wait_dscnt 0x0
	v_mul_f64_e32 v[4:5], v[20:21], v[206:207]
	v_mul_f64_e32 v[44:45], v[18:19], v[206:207]
	s_delay_alu instid0(VALU_DEP_2) | instskip(NEXT) | instid1(VALU_DEP_2)
	v_fma_f64 v[4:5], v[18:19], v[204:205], -v[4:5]
	v_fmac_f64_e32 v[44:45], v[20:21], v[204:205]
	s_delay_alu instid0(VALU_DEP_2) | instskip(NEXT) | instid1(VALU_DEP_2)
	v_add_f64_e32 v[18:19], 0, v[4:5]
	v_add_f64_e32 v[20:21], 0, v[44:45]
	s_and_saveexec_b32 s50, s8
	s_cbranch_execz .LBB177_433
; %bb.432:                              ;   in Loop: Header=BB177_3 Depth=1
	ds_load_b128 v[204:207], v2 offset:14800
	ds_load_b128 v[208:211], v97 offset:15328
	s_wait_dscnt 0x0
	v_mul_f64_e32 v[4:5], v[206:207], v[210:211]
	v_mul_f64_e32 v[44:45], v[204:205], v[210:211]
	s_delay_alu instid0(VALU_DEP_2) | instskip(NEXT) | instid1(VALU_DEP_2)
	v_fma_f64 v[4:5], v[204:205], v[208:209], -v[4:5]
	v_fmac_f64_e32 v[44:45], v[206:207], v[208:209]
	s_delay_alu instid0(VALU_DEP_2) | instskip(NEXT) | instid1(VALU_DEP_2)
	v_add_f64_e32 v[18:19], v[18:19], v[4:5]
	v_add_f64_e32 v[20:21], v[20:21], v[44:45]
.LBB177_433:                            ;   in Loop: Header=BB177_3 Depth=1
	s_or_b32 exec_lo, exec_lo, s50
	s_delay_alu instid0(VALU_DEP_2) | instskip(NEXT) | instid1(VALU_DEP_2)
	v_xor_b32_e32 v19, 0x80000000, v19
	v_xor_b32_e32 v21, 0x80000000, v21
.LBB177_434:                            ;   in Loop: Header=BB177_3 Depth=1
	s_or_b32 exec_lo, exec_lo, s48
	s_and_saveexec_b32 s48, s63
; %bb.435:                              ;   in Loop: Header=BB177_3 Depth=1
	ds_store_b128 v23, v[18:21]
; %bb.436:                              ;   in Loop: Header=BB177_3 Depth=1
	s_or_b32 exec_lo, exec_lo, s48
	s_wait_dscnt 0x0
	s_barrier_signal -1
	s_barrier_wait -1
	s_and_saveexec_b32 s48, s64
	s_cbranch_execz .LBB177_438
; %bb.437:                              ;   in Loop: Header=BB177_3 Depth=1
	ds_load_b128 v[204:207], v23
	ds_load_b128 v[208:211], v2 offset:15856
	s_wait_dscnt 0x0
	v_mul_f64_e32 v[4:5], v[206:207], v[210:211]
	v_mul_f64_e32 v[44:45], v[204:205], v[210:211]
	s_delay_alu instid0(VALU_DEP_2) | instskip(NEXT) | instid1(VALU_DEP_2)
	v_fma_f64 v[4:5], v[204:205], v[208:209], -v[4:5]
	v_fmac_f64_e32 v[44:45], v[206:207], v[208:209]
	s_delay_alu instid0(VALU_DEP_2) | instskip(NEXT) | instid1(VALU_DEP_2)
	v_add_f64_e32 v[18:19], v[18:19], v[4:5]
	v_add_f64_e32 v[20:21], v[20:21], v[44:45]
.LBB177_438:                            ;   in Loop: Header=BB177_3 Depth=1
	s_or_b32 exec_lo, exec_lo, s48
	s_barrier_signal -1
	s_barrier_wait -1
	s_and_saveexec_b32 s48, s64
; %bb.439:                              ;   in Loop: Header=BB177_3 Depth=1
	ds_store_b128 v23, v[18:21]
; %bb.440:                              ;   in Loop: Header=BB177_3 Depth=1
	s_or_b32 exec_lo, exec_lo, s48
	s_wait_dscnt 0x0
	s_barrier_signal -1
	s_barrier_wait -1
	s_barrier_signal -1
	s_barrier_wait -1
	s_and_saveexec_b32 s48, s1
; %bb.441:                              ;   in Loop: Header=BB177_3 Depth=1
	v_xor_b32_e32 v19, 0x80000000, v19
	v_xor_b32_e32 v21, 0x80000000, v21
	ds_store_b128 v46, v[18:21] offset:14816
; %bb.442:                              ;   in Loop: Header=BB177_3 Depth=1
	s_or_b32 exec_lo, exec_lo, s48
	s_wait_dscnt 0x0
	s_barrier_signal -1
	s_barrier_wait -1
	s_barrier_signal -1
	s_barrier_wait -1
	s_and_saveexec_b32 s48, s65
	s_cbranch_execz .LBB177_444
; %bb.443:                              ;   in Loop: Header=BB177_3 Depth=1
	ds_load_b128 v[18:21], v110
	s_wait_dscnt 0x0
	ds_store_b128 v114, v[18:21]
	ds_load_b128 v[18:21], v111
	s_wait_dscnt 0x0
	ds_store_b128 v115, v[18:21]
.LBB177_444:                            ;   in Loop: Header=BB177_3 Depth=1
	s_or_b32 exec_lo, exec_lo, s48
	s_wait_dscnt 0x0
	s_barrier_signal -1
	s_barrier_wait -1
	s_and_saveexec_b32 s98, s27
	s_cbranch_execz .LBB177_446
; %bb.445:                              ;   in Loop: Header=BB177_3 Depth=1
	s_mov_b32 s48, s35
	s_mov_b32 s50, s35
	;; [unrolled: 1-line block ×3, first 2 shown]
	v_mov_b64_e32 v[18:19], s[48:49]
	v_mov_b64_e32 v[20:21], s[50:51]
	ds_store_b128 v2, v[18:21] offset:15840
	ds_store_b128 v2, v[18:21] offset:16368
	ds_load_b128 v[18:21], v2 offset:15856
	s_wait_dscnt 0x0
	ds_store_b128 v2, v[18:21] offset:16352
.LBB177_446:                            ;   in Loop: Header=BB177_3 Depth=1
	s_or_b32 exec_lo, exec_lo, s98
.LBB177_447:                            ;   in Loop: Header=BB177_3 Depth=1
	v_mov_b64_e32 v[18:19], 0
	v_add_nc_u64_e32 v[42:43], s[40:41], v[42:43]
	s_wait_dscnt 0x0
	s_barrier_signal -1
	s_barrier_wait -1
	s_delay_alu instid0(VALU_DEP_2)
	v_mov_b64_e32 v[20:21], v[18:19]
	s_wait_xcnt 0x0
	s_and_saveexec_b32 s48, s93
	s_cbranch_execz .LBB177_449
; %bb.448:                              ;   in Loop: Header=BB177_3 Depth=1
	v_lshl_add_u64 v[4:5], v[30:31], 4, v[42:43]
	flat_load_b128 v[204:207], v[4:5]
	s_wait_loadcnt_dscnt 0x0
	v_mul_f64_e32 v[4:5], v[14:15], v[204:205]
	s_delay_alu instid0(VALU_DEP_1) | instskip(SKIP_1) | instid1(VALU_DEP_1)
	v_fma_f64 v[18:19], v[16:17], v[206:207], -v[4:5]
	v_mul_f64_e32 v[4:5], v[14:15], v[206:207]
	v_fma_f64 v[20:21], v[204:205], -v[16:17], -v[4:5]
.LBB177_449:                            ;   in Loop: Header=BB177_3 Depth=1
	s_or_b32 exec_lo, exec_lo, s48
	s_delay_alu instid0(SALU_CYCLE_1)
	s_and_not1_b32 vcc_lo, exec_lo, s94
	s_cbranch_vccnz .LBB177_472
; %bb.450:                              ;   in Loop: Header=BB177_3 Depth=1
	v_mov_b32_e32 v39, -1
	s_lshl_b64 s[50:51], s[34:35], 2
	s_mov_b32 s48, 0
	s_add_nc_u64 s[50:51], s[54:55], s[50:51]
	s_branch .LBB177_453
.LBB177_451:                            ;   in Loop: Header=BB177_453 Depth=2
	ds_load_b128 v[204:207], v133 offset:256
	s_wait_loadcnt_dscnt 0x0
	v_mul_f64_e32 v[4:5], v[16:17], v[206:207]
	v_mul_f64_e32 v[16:17], v[16:17], v[204:205]
	s_delay_alu instid0(VALU_DEP_2) | instskip(NEXT) | instid1(VALU_DEP_2)
	v_fmac_f64_e32 v[4:5], v[14:15], v[204:205]
	v_fma_f64 v[14:15], v[14:15], v[206:207], -v[16:17]
	s_delay_alu instid0(VALU_DEP_2) | instskip(NEXT) | instid1(VALU_DEP_2)
	v_add_f64_e32 v[18:19], v[18:19], v[4:5]
	v_add_f64_e32 v[20:21], v[20:21], v[14:15]
.LBB177_452:                            ;   in Loop: Header=BB177_453 Depth=2
	s_or_b32 exec_lo, exec_lo, s98
	s_add_co_i32 s48, s48, 1
	s_delay_alu instid0(SALU_CYCLE_1)
	s_cmp_eq_u32 s48, s58
	s_cbranch_scc1 .LBB177_472
.LBB177_453:                            ;   Parent Loop BB177_3 Depth=1
                                        ; =>  This Loop Header: Depth=2
                                        ;       Child Loop BB177_455 Depth 3
	v_cmp_gt_i32_e32 vcc_lo, s48, v39
	s_and_b32 s99, s30, vcc_lo
	s_delay_alu instid0(SALU_CYCLE_1)
	s_and_saveexec_b32 s98, s99
	s_cbranch_execz .LBB177_456
; %bb.454:                              ;   in Loop: Header=BB177_453 Depth=2
	global_load_b32 v39, v2, s[50:51]
	s_wait_loadcnt 0x0
	v_cmp_le_i32_e32 vcc_lo, s48, v39
	s_cbranch_vccnz .LBB177_456
.LBB177_455:                            ;   Parent Loop BB177_3 Depth=1
                                        ;     Parent Loop BB177_453 Depth=2
                                        ; =>    This Inner Loop Header: Depth=3
	global_wb scope:SCOPE_DEV
	s_wait_storecnt 0x0
	global_inv scope:SCOPE_DEV
	global_load_b32 v39, v2, s[50:51]
	s_wait_loadcnt 0x0
	v_cmp_gt_i32_e32 vcc_lo, s48, v39
	s_cbranch_vccnz .LBB177_455
.LBB177_456:                            ;   in Loop: Header=BB177_453 Depth=2
	s_or_b32 exec_lo, exec_lo, s98
	s_sub_co_i32 s98, s59, s48
	global_wb scope:SCOPE_DEV
	s_wait_storecnt 0x0
	global_inv scope:SCOPE_DEV
	s_lshl_b32 s99, s98, 5
	s_wait_loadcnt 0x0
	s_barrier_signal -1
	s_barrier_wait -1
	s_and_saveexec_b32 s100, s31
	s_cbranch_execz .LBB177_461
; %bb.457:                              ;   in Loop: Header=BB177_453 Depth=2
	s_ashr_i32 vcc_lo, s99, 31
	s_delay_alu instid0(SALU_CYCLE_1) | instskip(NEXT) | instid1(VALU_DEP_1)
	v_dual_mov_b32 v5, vcc_lo :: v_dual_bitop2_b32 v4, s99, v26 bitop3:0x54
	v_cmp_le_i64_e32 vcc_lo, s[52:53], v[4:5]
	s_and_saveexec_b32 s101, vcc_lo
	s_delay_alu instid0(SALU_CYCLE_1)
	s_xor_b32 vcc_lo, exec_lo, s101
; %bb.458:                              ;   in Loop: Header=BB177_453 Depth=2
	v_dual_mov_b32 v3, v2 :: v_dual_mov_b32 v4, v2
	v_mov_b32_e32 v5, v2
	ds_store_b128 v199, v[2:5]
                                        ; implicit-def: $vgpr4_vgpr5
; %bb.459:                              ;   in Loop: Header=BB177_453 Depth=2
	s_and_not1_saveexec_b32 s101, vcc_lo
	s_cbranch_execz .LBB177_461
; %bb.460:                              ;   in Loop: Header=BB177_453 Depth=2
	v_mul_u64_e32 v[4:5], s[42:43], v[4:5]
	s_delay_alu instid0(VALU_DEP_1)
	v_lshl_add_u64 v[4:5], v[4:5], 4, v[42:43]
	flat_load_b128 v[14:17], v[4:5]
	s_wait_loadcnt_dscnt 0x0
	ds_store_2addr_b64 v199, v[14:15], v[16:17] offset1:1
.LBB177_461:                            ;   in Loop: Header=BB177_453 Depth=2
	s_or_b32 exec_lo, exec_lo, s100
	v_add_nc_u32_e32 v14, s99, v24
	s_cmp_lg_u32 s98, s95
	s_wait_dscnt 0x0
	s_cselect_b32 s99, -1, 0
	s_barrier_signal -1
	v_ashrrev_i32_e32 v15, 31, v14
	v_cmp_gt_i32_e32 vcc_lo, s52, v14
	v_cndmask_b32_e64 v3, 0, 1, s99
	s_barrier_wait -1
	s_delay_alu instid0(VALU_DEP_3) | instskip(SKIP_1) | instid1(SALU_CYCLE_1)
	v_lshl_add_u64 v[4:5], v[14:15], 4, v[40:41]
	s_and_b32 s100, vcc_lo, s0
	s_and_saveexec_b32 s98, s100
	s_cbranch_execz .LBB177_467
; %bb.462:                              ;   in Loop: Header=BB177_453 Depth=2
	v_mov_b64_e32 v[16:17], v[6:7]
	s_and_not1_b32 vcc_lo, exec_lo, s99
	s_cbranch_vccnz .LBB177_464
; %bb.463:                              ;   in Loop: Header=BB177_453 Depth=2
	flat_load_b64 v[16:17], v[4:5]
.LBB177_464:                            ;   in Loop: Header=BB177_453 Depth=2
	v_cmp_ne_u32_e32 vcc_lo, 1, v3
	v_mov_b64_e32 v[44:45], v[8:9]
	s_cbranch_vccnz .LBB177_466
; %bb.465:                              ;   in Loop: Header=BB177_453 Depth=2
	flat_load_b64 v[44:45], v[4:5] offset:8
.LBB177_466:                            ;   in Loop: Header=BB177_453 Depth=2
	ds_load_b128 v[204:207], v133
	s_wait_loadcnt_dscnt 0x0
	v_mul_f64_e32 v[208:209], v[44:45], v[206:207]
	v_mul_f64_e32 v[44:45], v[44:45], v[204:205]
	s_delay_alu instid0(VALU_DEP_2) | instskip(NEXT) | instid1(VALU_DEP_2)
	v_fmac_f64_e32 v[208:209], v[16:17], v[204:205]
	v_fma_f64 v[16:17], v[16:17], v[206:207], -v[44:45]
	s_delay_alu instid0(VALU_DEP_2) | instskip(NEXT) | instid1(VALU_DEP_2)
	v_add_f64_e32 v[18:19], v[18:19], v[208:209]
	v_add_f64_e32 v[20:21], v[20:21], v[16:17]
.LBB177_467:                            ;   in Loop: Header=BB177_453 Depth=2
	s_or_b32 exec_lo, exec_lo, s98
	v_add_nc_u32_e32 v14, 16, v14
	s_delay_alu instid0(VALU_DEP_1) | instskip(SKIP_1) | instid1(SALU_CYCLE_1)
	v_cmp_gt_i32_e32 vcc_lo, s52, v14
	s_and_b32 s99, vcc_lo, s0
	s_and_saveexec_b32 s98, s99
	s_cbranch_execz .LBB177_452
; %bb.468:                              ;   in Loop: Header=BB177_453 Depth=2
	v_cmp_ne_u32_e32 vcc_lo, 1, v3
	v_mov_b64_e32 v[14:15], v[10:11]
	s_cbranch_vccnz .LBB177_470
; %bb.469:                              ;   in Loop: Header=BB177_453 Depth=2
	flat_load_b64 v[14:15], v[4:5] offset:256
.LBB177_470:                            ;   in Loop: Header=BB177_453 Depth=2
	v_cmp_ne_u32_e32 vcc_lo, 1, v3
	v_mov_b64_e32 v[16:17], v[12:13]
	s_cbranch_vccnz .LBB177_451
; %bb.471:                              ;   in Loop: Header=BB177_453 Depth=2
	flat_load_b64 v[16:17], v[4:5] offset:264
	s_branch .LBB177_451
.LBB177_472:                            ;   in Loop: Header=BB177_3 Depth=1
	ds_store_b128 v200, v[18:21]
	s_wait_dscnt 0x0
	s_barrier_signal -1
	s_barrier_wait -1
	s_and_saveexec_b32 s48, s2
	s_cbranch_execz .LBB177_474
; %bb.473:                              ;   in Loop: Header=BB177_3 Depth=1
	ds_load_b128 v[14:17], v201 offset:512
	s_wait_dscnt 0x0
	v_add_f64_e32 v[4:5], v[18:19], v[14:15]
	v_add_f64_e32 v[18:19], v[20:21], v[16:17]
	ds_load_b128 v[14:17], v201 offset:1024
	s_wait_dscnt 0x0
	v_add_f64_e32 v[4:5], v[4:5], v[14:15]
	v_add_f64_e32 v[18:19], v[18:19], v[16:17]
	;; [unrolled: 4-line block ×15, first 2 shown]
	s_delay_alu instid0(VALU_DEP_2) | instskip(NEXT) | instid1(VALU_DEP_2)
	v_xor_b32_e32 v3, 0x80000000, v5
	v_xor_b32_e32 v5, 0x80000000, v15
	s_delay_alu instid0(VALU_DEP_4) | instskip(NEXT) | instid1(VALU_DEP_4)
	v_cndmask_b32_e64 v18, v4, 0, s92
	v_cndmask_b32_e64 v20, v14, 0, s92
	s_delay_alu instid0(VALU_DEP_4) | instskip(NEXT) | instid1(VALU_DEP_4)
	v_cndmask_b32_e64 v19, v3, 0, s92
	v_cndmask_b32_e64 v21, v5, 0, s92
.LBB177_474:                            ;   in Loop: Header=BB177_3 Depth=1
	s_or_b32 exec_lo, exec_lo, s48
	s_delay_alu instid0(SALU_CYCLE_1)
	s_and_not1_b32 vcc_lo, exec_lo, s62
	s_cbranch_vccnz .LBB177_483
; %bb.475:                              ;   in Loop: Header=BB177_3 Depth=1
	s_and_saveexec_b32 s48, s2
; %bb.476:                              ;   in Loop: Header=BB177_3 Depth=1
	ds_store_b128 v202, v[18:21]
; %bb.477:                              ;   in Loop: Header=BB177_3 Depth=1
	s_or_b32 exec_lo, exec_lo, s48
	v_mov_b64_e32 v[14:15], 0
	v_mov_b64_e32 v[16:17], 0
	s_wait_dscnt 0x0
	s_barrier_signal -1
	s_barrier_wait -1
	s_and_saveexec_b32 s48, s6
	s_cbranch_execz .LBB177_479
; %bb.478:                              ;   in Loop: Header=BB177_3 Depth=1
	ds_load_b128 v[14:17], v133
	ds_load_b128 v[204:207], v149
	s_wait_dscnt 0x0
	v_mul_f64_e32 v[4:5], v[16:17], v[206:207]
	v_mul_f64_e32 v[40:41], v[14:15], v[206:207]
	s_delay_alu instid0(VALU_DEP_2) | instskip(NEXT) | instid1(VALU_DEP_2)
	v_fma_f64 v[4:5], v[14:15], v[204:205], -v[4:5]
	v_fmac_f64_e32 v[40:41], v[16:17], v[204:205]
	s_delay_alu instid0(VALU_DEP_2) | instskip(NEXT) | instid1(VALU_DEP_2)
	v_add_f64_e32 v[14:15], 0, v[4:5]
	v_add_f64_e32 v[16:17], 0, v[40:41]
.LBB177_479:                            ;   in Loop: Header=BB177_3 Depth=1
	s_or_b32 exec_lo, exec_lo, s48
	s_and_saveexec_b32 s48, s7
	s_cbranch_execz .LBB177_481
; %bb.480:                              ;   in Loop: Header=BB177_3 Depth=1
	ds_load_b128 v[204:207], v133 offset:256
	ds_load_b128 v[208:211], v149 offset:8192
	s_wait_dscnt 0x0
	v_mul_f64_e32 v[4:5], v[206:207], v[210:211]
	v_mul_f64_e32 v[40:41], v[204:205], v[210:211]
	s_delay_alu instid0(VALU_DEP_2) | instskip(NEXT) | instid1(VALU_DEP_2)
	v_fma_f64 v[4:5], v[204:205], v[208:209], -v[4:5]
	v_fmac_f64_e32 v[40:41], v[206:207], v[208:209]
	s_delay_alu instid0(VALU_DEP_2) | instskip(NEXT) | instid1(VALU_DEP_2)
	v_add_f64_e32 v[14:15], v[14:15], v[4:5]
	v_add_f64_e32 v[16:17], v[16:17], v[40:41]
.LBB177_481:                            ;   in Loop: Header=BB177_3 Depth=1
	s_or_b32 exec_lo, exec_lo, s48
	s_mov_b32 s50, 0
	s_mov_b32 s48, 0
	ds_store_b128 v200, v[14:17]
	s_wait_dscnt 0x0
	s_barrier_signal -1
	s_barrier_wait -1
                                        ; implicit-def: $vgpr4_vgpr5
                                        ; implicit-def: $vgpr40_vgpr41
	s_and_saveexec_b32 s51, s2
	s_cbranch_execz .LBB177_514
; %bb.482:                              ;   in Loop: Header=BB177_3 Depth=1
	ds_load_b128 v[204:207], v201 offset:512
	s_mov_b32 s48, exec_lo
	s_wait_dscnt 0x0
	v_add_f64_e32 v[4:5], v[14:15], v[204:205]
	v_add_f64_e32 v[40:41], v[16:17], v[206:207]
	ds_load_b128 v[14:17], v201 offset:1024
	s_wait_dscnt 0x0
	v_add_f64_e32 v[4:5], v[4:5], v[14:15]
	v_add_f64_e32 v[40:41], v[40:41], v[16:17]
	ds_load_b128 v[14:17], v201 offset:1536
	s_wait_dscnt 0x0
	v_add_f64_e32 v[4:5], v[4:5], v[14:15]
	v_add_f64_e32 v[40:41], v[40:41], v[16:17]
	ds_load_b128 v[14:17], v201 offset:2048
	s_wait_dscnt 0x0
	v_add_f64_e32 v[4:5], v[4:5], v[14:15]
	v_add_f64_e32 v[40:41], v[40:41], v[16:17]
	ds_load_b128 v[14:17], v201 offset:2560
	s_wait_dscnt 0x0
	v_add_f64_e32 v[4:5], v[4:5], v[14:15]
	v_add_f64_e32 v[40:41], v[40:41], v[16:17]
	ds_load_b128 v[14:17], v201 offset:3072
	s_wait_dscnt 0x0
	v_add_f64_e32 v[4:5], v[4:5], v[14:15]
	v_add_f64_e32 v[40:41], v[40:41], v[16:17]
	ds_load_b128 v[14:17], v201 offset:3584
	s_wait_dscnt 0x0
	v_add_f64_e32 v[4:5], v[4:5], v[14:15]
	v_add_f64_e32 v[40:41], v[40:41], v[16:17]
	ds_load_b128 v[14:17], v201 offset:4096
	s_wait_dscnt 0x0
	v_add_f64_e32 v[4:5], v[4:5], v[14:15]
	v_add_f64_e32 v[40:41], v[40:41], v[16:17]
	ds_load_b128 v[14:17], v201 offset:4608
	s_wait_dscnt 0x0
	v_add_f64_e32 v[4:5], v[4:5], v[14:15]
	v_add_f64_e32 v[40:41], v[40:41], v[16:17]
	ds_load_b128 v[14:17], v201 offset:5120
	s_wait_dscnt 0x0
	v_add_f64_e32 v[4:5], v[4:5], v[14:15]
	v_add_f64_e32 v[40:41], v[40:41], v[16:17]
	ds_load_b128 v[14:17], v201 offset:5632
	s_wait_dscnt 0x0
	v_add_f64_e32 v[4:5], v[4:5], v[14:15]
	v_add_f64_e32 v[40:41], v[40:41], v[16:17]
	ds_load_b128 v[14:17], v201 offset:6144
	s_wait_dscnt 0x0
	v_add_f64_e32 v[4:5], v[4:5], v[14:15]
	v_add_f64_e32 v[40:41], v[40:41], v[16:17]
	ds_load_b128 v[14:17], v201 offset:6656
	s_wait_dscnt 0x0
	v_add_f64_e32 v[4:5], v[4:5], v[14:15]
	v_add_f64_e32 v[40:41], v[40:41], v[16:17]
	ds_load_b128 v[14:17], v201 offset:7168
	s_wait_dscnt 0x0
	v_add_f64_e32 v[4:5], v[4:5], v[14:15]
	v_add_f64_e32 v[44:45], v[40:41], v[16:17]
	ds_load_b128 v[14:17], v201 offset:7680
	s_wait_dscnt 0x0
	v_add_f64_e32 v[40:41], v[4:5], v[14:15]
	v_add_f64_e32 v[4:5], v[44:45], v[16:17]
	s_or_b32 exec_lo, exec_lo, s51
	s_delay_alu instid0(SALU_CYCLE_1)
	s_and_b32 vcc_lo, exec_lo, s50
	s_cbranch_vccnz .LBB177_484
	s_branch .LBB177_515
.LBB177_483:                            ;   in Loop: Header=BB177_3 Depth=1
	s_mov_b32 s48, 0
                                        ; implicit-def: $vgpr4_vgpr5
                                        ; implicit-def: $vgpr40_vgpr41
	s_cbranch_execz .LBB177_515
.LBB177_484:                            ;   in Loop: Header=BB177_3 Depth=1
	v_dual_mov_b32 v3, v25 :: v_dual_mov_b32 v4, v203
	s_mov_b32 s50, 31
	s_branch .LBB177_486
.LBB177_485:                            ;   in Loop: Header=BB177_486 Depth=2
	s_or_b32 exec_lo, exec_lo, s98
	v_add_nc_u32_e32 v4, 0xfffffc00, v4
	v_add_nc_u32_e32 v3, 2, v3
	s_add_co_i32 s50, s50, -2
	s_cmp_lg_u32 s51, 0
	s_barrier_signal -1
	s_barrier_wait -1
	s_cbranch_scc0 .LBB177_494
.LBB177_486:                            ;   Parent Loop BB177_3 Depth=1
                                        ; =>  This Inner Loop Header: Depth=2
	s_delay_alu instid0(VALU_DEP_1) | instskip(SKIP_1) | instid1(SALU_CYCLE_1)
	v_cmp_eq_u32_e32 vcc_lo, 0, v3
	s_and_b32 s98, s2, vcc_lo
	s_and_saveexec_b32 s51, s98
; %bb.487:                              ;   in Loop: Header=BB177_486 Depth=2
	ds_store_b128 v2, v[18:21] offset:25088
; %bb.488:                              ;   in Loop: Header=BB177_486 Depth=2
	s_or_b32 exec_lo, exec_lo, s51
	v_cmp_gt_u32_e32 vcc_lo, s50, v22
	s_wait_dscnt 0x0
	s_barrier_signal -1
	s_barrier_wait -1
	s_and_b32 s98, s2, vcc_lo
	s_delay_alu instid0(SALU_CYCLE_1)
	s_and_saveexec_b32 s51, s98
	s_cbranch_execz .LBB177_490
; %bb.489:                              ;   in Loop: Header=BB177_486 Depth=2
	ds_load_b128 v[14:17], v2 offset:25088
	ds_load_b128 v[204:207], v4 offset:512
	s_wait_dscnt 0x0
	v_mul_f64_e32 v[40:41], v[16:17], v[206:207]
	s_delay_alu instid0(VALU_DEP_1) | instskip(SKIP_1) | instid1(VALU_DEP_2)
	v_fma_f64 v[40:41], v[14:15], v[204:205], -v[40:41]
	v_mul_f64_e32 v[14:15], v[14:15], v[206:207]
	v_add_f64_e32 v[18:19], v[18:19], v[40:41]
	s_delay_alu instid0(VALU_DEP_2) | instskip(NEXT) | instid1(VALU_DEP_1)
	v_fmac_f64_e32 v[14:15], v[16:17], v[204:205]
	v_add_f64_e32 v[20:21], v[20:21], v[14:15]
.LBB177_490:                            ;   in Loop: Header=BB177_486 Depth=2
	s_or_b32 exec_lo, exec_lo, s51
	s_add_co_i32 s51, s50, -1
	s_delay_alu instid0(SALU_CYCLE_1) | instskip(SKIP_3) | instid1(SALU_CYCLE_1)
	v_cmp_eq_u32_e32 vcc_lo, s51, v22
	s_barrier_signal -1
	s_barrier_wait -1
	s_and_b32 s99, s2, vcc_lo
	s_and_saveexec_b32 s98, s99
; %bb.491:                              ;   in Loop: Header=BB177_486 Depth=2
	ds_store_b128 v2, v[18:21] offset:25088
; %bb.492:                              ;   in Loop: Header=BB177_486 Depth=2
	s_or_b32 exec_lo, exec_lo, s98
	v_cmp_gt_u32_e32 vcc_lo, s51, v22
	s_wait_dscnt 0x0
	s_barrier_signal -1
	s_barrier_wait -1
	s_and_b32 s99, s2, vcc_lo
	s_delay_alu instid0(SALU_CYCLE_1)
	s_and_saveexec_b32 s98, s99
	s_cbranch_execz .LBB177_485
; %bb.493:                              ;   in Loop: Header=BB177_486 Depth=2
	ds_load_b128 v[14:17], v2 offset:25088
	ds_load_b128 v[204:207], v4
	s_wait_dscnt 0x0
	v_mul_f64_e32 v[40:41], v[16:17], v[206:207]
	s_delay_alu instid0(VALU_DEP_1) | instskip(SKIP_1) | instid1(VALU_DEP_2)
	v_fma_f64 v[40:41], v[14:15], v[204:205], -v[40:41]
	v_mul_f64_e32 v[14:15], v[14:15], v[206:207]
	v_add_f64_e32 v[18:19], v[18:19], v[40:41]
	s_delay_alu instid0(VALU_DEP_2) | instskip(NEXT) | instid1(VALU_DEP_1)
	v_fmac_f64_e32 v[14:15], v[16:17], v[204:205]
	v_add_f64_e32 v[20:21], v[20:21], v[14:15]
	s_branch .LBB177_485
.LBB177_494:                            ;   in Loop: Header=BB177_3 Depth=1
	s_and_b32 vcc_lo, exec_lo, s60
	s_mov_b32 s50, -1
	s_cbranch_vccnz .LBB177_516
; %bb.495:                              ;   in Loop: Header=BB177_3 Depth=1
	s_and_not1_b32 vcc_lo, exec_lo, s50
	s_cbranch_vccz .LBB177_517
.LBB177_496:                            ;   in Loop: Header=BB177_3 Depth=1
	s_and_saveexec_b32 s50, s48
	s_cbranch_execz .LBB177_498
.LBB177_497:                            ;   in Loop: Header=BB177_3 Depth=1
	v_lshl_add_u64 v[4:5], v[32:33], 4, v[42:43]
	flat_store_b128 v[4:5], v[18:21]
.LBB177_498:                            ;   in Loop: Header=BB177_3 Depth=1
	s_wait_xcnt 0x0
	s_or_b32 exec_lo, exec_lo, s50
	global_wb scope:SCOPE_DEV
	s_wait_storecnt_dscnt 0x0
	global_inv scope:SCOPE_DEV
	s_wait_loadcnt 0x0
	s_barrier_signal -1
	s_barrier_wait -1
	s_and_saveexec_b32 s48, s30
	s_cbranch_execz .LBB177_2
; %bb.499:                              ;   in Loop: Header=BB177_3 Depth=1
	s_lshl_b64 s[50:51], s[34:35], 2
	s_delay_alu instid0(SALU_CYCLE_1)
	s_add_nc_u64 s[50:51], s[54:55], s[50:51]
	global_load_b32 v3, v2, s[50:51]
	s_wait_loadcnt 0x0
	v_add_nc_u32_e32 v3, 1, v3
	global_store_b32 v2, v3, s[50:51]
	s_branch .LBB177_2
.LBB177_500:                            ;   in Loop: Header=BB177_3 Depth=1
	s_and_saveexec_b32 s50, s28
; %bb.501:                              ;   in Loop: Header=BB177_3 Depth=1
	v_dual_mov_b32 v3, v2 :: v_dual_mov_b32 v4, v2
	v_mov_b32_e32 v5, v2
	ds_store_b128 v150, v[2:5]
; %bb.502:                              ;   in Loop: Header=BB177_3 Depth=1
	s_or_b32 exec_lo, exec_lo, s50
	s_and_not1_saveexec_b32 s48, s48
	s_cbranch_execz .LBB177_12
.LBB177_503:                            ;   in Loop: Header=BB177_3 Depth=1
	v_lshl_add_u64 v[4:5], v[36:37], 4, v[18:19]
	flat_load_b128 v[204:207], v[4:5]
	s_wait_loadcnt_dscnt 0x0
	v_xor_b32_e32 v205, 0x80000000, v205
	ds_store_b128 v150, v[204:207]
	s_or_b32 exec_lo, exec_lo, s48
	s_and_saveexec_b32 s48, s7
	s_delay_alu instid0(SALU_CYCLE_1)
	s_xor_b32 s48, exec_lo, s48
	s_cbranch_execz .LBB177_13
.LBB177_504:                            ;   in Loop: Header=BB177_3 Depth=1
	s_and_saveexec_b32 s50, s29
; %bb.505:                              ;   in Loop: Header=BB177_3 Depth=1
	v_dual_mov_b32 v3, v2 :: v_dual_mov_b32 v4, v2
	v_mov_b32_e32 v5, v2
	ds_store_b128 v151, v[2:5]
; %bb.506:                              ;   in Loop: Header=BB177_3 Depth=1
	s_or_b32 exec_lo, exec_lo, s50
	s_and_not1_saveexec_b32 s48, s48
	s_cbranch_execnz .LBB177_14
	s_branch .LBB177_15
.LBB177_507:                            ;   in Loop: Header=BB177_3 Depth=1
	s_and_saveexec_b32 s50, s28
; %bb.508:                              ;   in Loop: Header=BB177_3 Depth=1
	v_dual_mov_b32 v3, v2 :: v_dual_mov_b32 v4, v2
	v_mov_b32_e32 v5, v2
	ds_store_b128 v132, v[2:5]
; %bb.509:                              ;   in Loop: Header=BB177_3 Depth=1
	s_or_b32 exec_lo, exec_lo, s50
	s_and_not1_saveexec_b32 s48, s48
	s_cbranch_execz .LBB177_19
.LBB177_510:                            ;   in Loop: Header=BB177_3 Depth=1
	v_lshl_add_u64 v[4:5], v[36:37], 4, v[18:19]
	flat_load_b128 v[204:207], v[4:5]
	s_wait_loadcnt_dscnt 0x0
	v_xor_b32_e32 v205, 0x80000000, v205
	ds_store_b128 v132, v[204:207]
	s_or_b32 exec_lo, exec_lo, s48
	s_and_saveexec_b32 s48, s97
	s_delay_alu instid0(SALU_CYCLE_1)
	s_xor_b32 s48, exec_lo, s48
	s_cbranch_execz .LBB177_20
.LBB177_511:                            ;   in Loop: Header=BB177_3 Depth=1
	s_and_saveexec_b32 s50, s29
; %bb.512:                              ;   in Loop: Header=BB177_3 Depth=1
	v_dual_mov_b32 v3, v2 :: v_dual_mov_b32 v4, v2
	v_mov_b32_e32 v5, v2
	ds_store_b128 v151, v[2:5]
; %bb.513:                              ;   in Loop: Header=BB177_3 Depth=1
	s_or_b32 exec_lo, exec_lo, s50
                                        ; implicit-def: $vgpr18_vgpr19
	s_and_not1_saveexec_b32 s48, s48
	s_cbranch_execnz .LBB177_21
	s_branch .LBB177_22
.LBB177_514:                            ;   in Loop: Header=BB177_3 Depth=1
	s_or_b32 exec_lo, exec_lo, s51
	s_delay_alu instid0(SALU_CYCLE_1)
	s_and_b32 vcc_lo, exec_lo, s50
	s_cbranch_vccnz .LBB177_484
.LBB177_515:                            ;   in Loop: Header=BB177_3 Depth=1
	s_delay_alu instid0(VALU_DEP_1) | instskip(NEXT) | instid1(VALU_DEP_3)
	v_mov_b64_e32 v[20:21], v[4:5]
	v_mov_b64_e32 v[18:19], v[40:41]
	s_and_saveexec_b32 s50, s48
	s_cbranch_execnz .LBB177_497
	s_branch .LBB177_498
.LBB177_516:                            ;   in Loop: Header=BB177_3 Depth=1
	s_and_not1_b32 s48, s48, exec_lo
	s_and_b32 s51, s2, exec_lo
	s_delay_alu instid0(SALU_CYCLE_1)
	s_or_b32 s48, s48, s51
	s_cbranch_execnz .LBB177_496
.LBB177_517:                            ;   in Loop: Header=BB177_3 Depth=1
	v_readlane_b32 s50, v212, 15
	s_and_not1_b32 s48, s48, exec_lo
	s_and_b32 s50, s50, exec_lo
	s_delay_alu instid0(SALU_CYCLE_1) | instskip(NEXT) | instid1(SALU_CYCLE_1)
	s_or_b32 s48, s48, s50
	s_and_saveexec_b32 s50, s48
	s_cbranch_execnz .LBB177_497
	s_branch .LBB177_498
.LBB177_518:                            ;   in Loop: Header=BB177_3 Depth=1
	ds_load_b128 v[204:207], v49 offset:16
	ds_load_b128 v[208:211], v56 offset:576
	s_wait_dscnt 0x0
	v_mul_f64_e32 v[4:5], v[206:207], v[210:211]
	v_mul_f64_e32 v[44:45], v[204:205], v[210:211]
	s_delay_alu instid0(VALU_DEP_2) | instskip(NEXT) | instid1(VALU_DEP_2)
	v_fma_f64 v[4:5], v[204:205], v[208:209], -v[4:5]
	v_fmac_f64_e32 v[44:45], v[206:207], v[208:209]
	s_delay_alu instid0(VALU_DEP_2) | instskip(NEXT) | instid1(VALU_DEP_2)
	v_add_f64_e32 v[18:19], v[18:19], v[4:5]
	v_add_f64_e32 v[20:21], v[20:21], v[44:45]
	s_or_b32 exec_lo, exec_lo, s50
	s_and_saveexec_b32 s50, s10
	s_cbranch_execz .LBB177_45
.LBB177_519:                            ;   in Loop: Header=BB177_3 Depth=1
	ds_load_b128 v[204:207], v49 offset:32
	ds_load_b128 v[208:211], v55 offset:1088
	s_wait_dscnt 0x0
	v_mul_f64_e32 v[4:5], v[206:207], v[210:211]
	v_mul_f64_e32 v[44:45], v[204:205], v[210:211]
	s_delay_alu instid0(VALU_DEP_2) | instskip(NEXT) | instid1(VALU_DEP_2)
	v_fma_f64 v[4:5], v[204:205], v[208:209], -v[4:5]
	v_fmac_f64_e32 v[44:45], v[206:207], v[208:209]
	s_delay_alu instid0(VALU_DEP_2) | instskip(NEXT) | instid1(VALU_DEP_2)
	v_add_f64_e32 v[18:19], v[18:19], v[4:5]
	v_add_f64_e32 v[20:21], v[20:21], v[44:45]
	s_or_b32 exec_lo, exec_lo, s50
	s_and_saveexec_b32 s50, s1
	s_cbranch_execnz .LBB177_46
	s_branch .LBB177_47
.LBB177_520:                            ;   in Loop: Header=BB177_3 Depth=1
	ds_load_b128 v[204:207], v57 offset:16
	ds_load_b128 v[208:211], v63 offset:640
	s_wait_dscnt 0x0
	v_mul_f64_e32 v[4:5], v[206:207], v[210:211]
	v_mul_f64_e32 v[44:45], v[204:205], v[210:211]
	s_delay_alu instid0(VALU_DEP_2) | instskip(NEXT) | instid1(VALU_DEP_2)
	v_fma_f64 v[4:5], v[204:205], v[208:209], -v[4:5]
	v_fmac_f64_e32 v[44:45], v[206:207], v[208:209]
	s_delay_alu instid0(VALU_DEP_2) | instskip(NEXT) | instid1(VALU_DEP_2)
	v_add_f64_e32 v[18:19], v[18:19], v[4:5]
	v_add_f64_e32 v[20:21], v[20:21], v[44:45]
	s_or_b32 exec_lo, exec_lo, s50
	s_and_saveexec_b32 s50, s12
	s_cbranch_execz .LBB177_87
.LBB177_521:                            ;   in Loop: Header=BB177_3 Depth=1
	ds_load_b128 v[204:207], v57 offset:32
	ds_load_b128 v[208:211], v63 offset:1152
	s_wait_dscnt 0x0
	v_mul_f64_e32 v[4:5], v[206:207], v[210:211]
	v_mul_f64_e32 v[44:45], v[204:205], v[210:211]
	s_delay_alu instid0(VALU_DEP_2) | instskip(NEXT) | instid1(VALU_DEP_2)
	v_fma_f64 v[4:5], v[204:205], v[208:209], -v[4:5]
	v_fmac_f64_e32 v[44:45], v[206:207], v[208:209]
	s_delay_alu instid0(VALU_DEP_2) | instskip(NEXT) | instid1(VALU_DEP_2)
	v_add_f64_e32 v[18:19], v[18:19], v[4:5]
	v_add_f64_e32 v[20:21], v[20:21], v[44:45]
	s_or_b32 exec_lo, exec_lo, s50
	s_and_saveexec_b32 s50, s13
	s_cbranch_execz .LBB177_88
.LBB177_522:                            ;   in Loop: Header=BB177_3 Depth=1
	ds_load_b128 v[204:207], v57 offset:48
	ds_load_b128 v[208:211], v63 offset:1664
	s_wait_dscnt 0x0
	v_mul_f64_e32 v[4:5], v[206:207], v[210:211]
	v_mul_f64_e32 v[44:45], v[204:205], v[210:211]
	s_delay_alu instid0(VALU_DEP_2) | instskip(NEXT) | instid1(VALU_DEP_2)
	v_fma_f64 v[4:5], v[204:205], v[208:209], -v[4:5]
	v_fmac_f64_e32 v[44:45], v[206:207], v[208:209]
	s_delay_alu instid0(VALU_DEP_2) | instskip(NEXT) | instid1(VALU_DEP_2)
	v_add_f64_e32 v[18:19], v[18:19], v[4:5]
	v_add_f64_e32 v[20:21], v[20:21], v[44:45]
	s_or_b32 exec_lo, exec_lo, s50
	s_and_saveexec_b32 s50, s14
	s_cbranch_execz .LBB177_89
.LBB177_523:                            ;   in Loop: Header=BB177_3 Depth=1
	ds_load_b128 v[204:207], v57 offset:64
	ds_load_b128 v[208:211], v62 offset:2176
	s_wait_dscnt 0x0
	v_mul_f64_e32 v[4:5], v[206:207], v[210:211]
	v_mul_f64_e32 v[44:45], v[204:205], v[210:211]
	s_delay_alu instid0(VALU_DEP_2) | instskip(NEXT) | instid1(VALU_DEP_2)
	v_fma_f64 v[4:5], v[204:205], v[208:209], -v[4:5]
	v_fmac_f64_e32 v[44:45], v[206:207], v[208:209]
	s_delay_alu instid0(VALU_DEP_2) | instskip(NEXT) | instid1(VALU_DEP_2)
	v_add_f64_e32 v[18:19], v[18:19], v[4:5]
	v_add_f64_e32 v[20:21], v[20:21], v[44:45]
	s_or_b32 exec_lo, exec_lo, s50
	s_and_saveexec_b32 s50, s15
	s_cbranch_execz .LBB177_90
.LBB177_524:                            ;   in Loop: Header=BB177_3 Depth=1
	ds_load_b128 v[204:207], v57 offset:80
	ds_load_b128 v[208:211], v63 offset:2688
	s_wait_dscnt 0x0
	v_mul_f64_e32 v[4:5], v[206:207], v[210:211]
	v_mul_f64_e32 v[44:45], v[204:205], v[210:211]
	s_delay_alu instid0(VALU_DEP_2) | instskip(NEXT) | instid1(VALU_DEP_2)
	v_fma_f64 v[4:5], v[204:205], v[208:209], -v[4:5]
	v_fmac_f64_e32 v[44:45], v[206:207], v[208:209]
	s_delay_alu instid0(VALU_DEP_2) | instskip(NEXT) | instid1(VALU_DEP_2)
	v_add_f64_e32 v[18:19], v[18:19], v[4:5]
	v_add_f64_e32 v[20:21], v[20:21], v[44:45]
	s_or_b32 exec_lo, exec_lo, s50
	s_and_saveexec_b32 s50, s3
	s_cbranch_execz .LBB177_91
.LBB177_525:                            ;   in Loop: Header=BB177_3 Depth=1
	ds_load_b128 v[204:207], v57 offset:96
	ds_load_b128 v[208:211], v62 offset:3200
	s_wait_dscnt 0x0
	v_mul_f64_e32 v[4:5], v[206:207], v[210:211]
	v_mul_f64_e32 v[44:45], v[204:205], v[210:211]
	s_delay_alu instid0(VALU_DEP_2) | instskip(NEXT) | instid1(VALU_DEP_2)
	v_fma_f64 v[4:5], v[204:205], v[208:209], -v[4:5]
	v_fmac_f64_e32 v[44:45], v[206:207], v[208:209]
	s_delay_alu instid0(VALU_DEP_2) | instskip(NEXT) | instid1(VALU_DEP_2)
	v_add_f64_e32 v[18:19], v[18:19], v[4:5]
	v_add_f64_e32 v[20:21], v[20:21], v[44:45]
	s_or_b32 exec_lo, exec_lo, s50
	s_and_saveexec_b32 s50, s10
	s_cbranch_execnz .LBB177_92
	s_branch .LBB177_93
.LBB177_526:                            ;   in Loop: Header=BB177_3 Depth=1
	ds_load_b128 v[204:207], v49 offset:4240
	ds_load_b128 v[208:211], v56 offset:4800
	s_wait_dscnt 0x0
	v_mul_f64_e32 v[4:5], v[206:207], v[210:211]
	v_mul_f64_e32 v[44:45], v[204:205], v[210:211]
	s_delay_alu instid0(VALU_DEP_2) | instskip(NEXT) | instid1(VALU_DEP_2)
	v_fma_f64 v[4:5], v[204:205], v[208:209], -v[4:5]
	v_fmac_f64_e32 v[44:45], v[206:207], v[208:209]
	s_delay_alu instid0(VALU_DEP_2) | instskip(NEXT) | instid1(VALU_DEP_2)
	v_add_f64_e32 v[18:19], v[18:19], v[4:5]
	v_add_f64_e32 v[20:21], v[20:21], v[44:45]
	s_or_b32 exec_lo, exec_lo, s50
	s_and_saveexec_b32 s50, s10
	s_cbranch_execz .LBB177_149
.LBB177_527:                            ;   in Loop: Header=BB177_3 Depth=1
	ds_load_b128 v[204:207], v49 offset:4256
	ds_load_b128 v[208:211], v55 offset:5312
	s_wait_dscnt 0x0
	v_mul_f64_e32 v[4:5], v[206:207], v[210:211]
	v_mul_f64_e32 v[44:45], v[204:205], v[210:211]
	s_delay_alu instid0(VALU_DEP_2) | instskip(NEXT) | instid1(VALU_DEP_2)
	v_fma_f64 v[4:5], v[204:205], v[208:209], -v[4:5]
	v_fmac_f64_e32 v[44:45], v[206:207], v[208:209]
	s_delay_alu instid0(VALU_DEP_2) | instskip(NEXT) | instid1(VALU_DEP_2)
	v_add_f64_e32 v[18:19], v[18:19], v[4:5]
	v_add_f64_e32 v[20:21], v[20:21], v[44:45]
	s_or_b32 exec_lo, exec_lo, s50
	s_and_saveexec_b32 s50, s1
	s_cbranch_execnz .LBB177_150
	s_branch .LBB177_151
.LBB177_528:                            ;   in Loop: Header=BB177_3 Depth=1
	ds_load_b128 v[204:207], v3 offset:176
	ds_load_b128 v[208:211], v176 offset:5888
	s_wait_dscnt 0x0
	v_mul_f64_e32 v[4:5], v[206:207], v[210:211]
	v_mul_f64_e32 v[44:45], v[204:205], v[210:211]
	s_delay_alu instid0(VALU_DEP_2) | instskip(NEXT) | instid1(VALU_DEP_2)
	v_fma_f64 v[4:5], v[204:205], v[208:209], -v[4:5]
	v_fmac_f64_e32 v[44:45], v[206:207], v[208:209]
	s_delay_alu instid0(VALU_DEP_2) | instskip(NEXT) | instid1(VALU_DEP_2)
	v_add_f64_e32 v[18:19], v[18:19], v[4:5]
	v_add_f64_e32 v[20:21], v[20:21], v[44:45]
	s_or_b32 exec_lo, exec_lo, s50
	s_and_saveexec_b32 s50, s4
	s_cbranch_execz .LBB177_211
.LBB177_529:                            ;   in Loop: Header=BB177_3 Depth=1
	ds_load_b128 v[204:207], v3 offset:192
	ds_load_b128 v[208:211], v176 offset:6400
	s_wait_dscnt 0x0
	v_mul_f64_e32 v[4:5], v[206:207], v[210:211]
	v_mul_f64_e32 v[44:45], v[204:205], v[210:211]
	s_delay_alu instid0(VALU_DEP_2) | instskip(NEXT) | instid1(VALU_DEP_2)
	v_fma_f64 v[4:5], v[204:205], v[208:209], -v[4:5]
	v_fmac_f64_e32 v[44:45], v[206:207], v[208:209]
	s_delay_alu instid0(VALU_DEP_2) | instskip(NEXT) | instid1(VALU_DEP_2)
	v_add_f64_e32 v[18:19], v[18:19], v[4:5]
	v_add_f64_e32 v[20:21], v[20:21], v[44:45]
	s_or_b32 exec_lo, exec_lo, s50
	s_and_saveexec_b32 s50, s12
	s_cbranch_execz .LBB177_212
.LBB177_530:                            ;   in Loop: Header=BB177_3 Depth=1
	ds_load_b128 v[204:207], v3 offset:208
	ds_load_b128 v[208:211], v176 offset:6912
	s_wait_dscnt 0x0
	v_mul_f64_e32 v[4:5], v[206:207], v[210:211]
	v_mul_f64_e32 v[44:45], v[204:205], v[210:211]
	s_delay_alu instid0(VALU_DEP_2) | instskip(NEXT) | instid1(VALU_DEP_2)
	v_fma_f64 v[4:5], v[204:205], v[208:209], -v[4:5]
	v_fmac_f64_e32 v[44:45], v[206:207], v[208:209]
	s_delay_alu instid0(VALU_DEP_2) | instskip(NEXT) | instid1(VALU_DEP_2)
	v_add_f64_e32 v[18:19], v[18:19], v[4:5]
	v_add_f64_e32 v[20:21], v[20:21], v[44:45]
	s_or_b32 exec_lo, exec_lo, s50
	s_and_saveexec_b32 s50, s14
	s_cbranch_execz .LBB177_213
.LBB177_531:                            ;   in Loop: Header=BB177_3 Depth=1
	ds_load_b128 v[204:207], v3 offset:224
	ds_load_b128 v[208:211], v176 offset:7424
	s_wait_dscnt 0x0
	v_mul_f64_e32 v[4:5], v[206:207], v[210:211]
	v_mul_f64_e32 v[44:45], v[204:205], v[210:211]
	s_delay_alu instid0(VALU_DEP_2) | instskip(NEXT) | instid1(VALU_DEP_2)
	v_fma_f64 v[4:5], v[204:205], v[208:209], -v[4:5]
	v_fmac_f64_e32 v[44:45], v[206:207], v[208:209]
	s_delay_alu instid0(VALU_DEP_2) | instskip(NEXT) | instid1(VALU_DEP_2)
	v_add_f64_e32 v[18:19], v[18:19], v[4:5]
	v_add_f64_e32 v[20:21], v[20:21], v[44:45]
	s_or_b32 exec_lo, exec_lo, s50
	s_and_saveexec_b32 s50, s3
	s_cbranch_execnz .LBB177_214
	s_branch .LBB177_215
.LBB177_532:                            ;   in Loop: Header=BB177_3 Depth=1
	ds_load_b128 v[204:207], v49 offset:8464
	ds_load_b128 v[208:211], v56 offset:9024
	s_wait_dscnt 0x0
	v_mul_f64_e32 v[4:5], v[206:207], v[210:211]
	v_mul_f64_e32 v[44:45], v[204:205], v[210:211]
	s_delay_alu instid0(VALU_DEP_2) | instskip(NEXT) | instid1(VALU_DEP_2)
	v_fma_f64 v[4:5], v[204:205], v[208:209], -v[4:5]
	v_fmac_f64_e32 v[44:45], v[206:207], v[208:209]
	s_delay_alu instid0(VALU_DEP_2) | instskip(NEXT) | instid1(VALU_DEP_2)
	v_add_f64_e32 v[18:19], v[18:19], v[4:5]
	v_add_f64_e32 v[20:21], v[20:21], v[44:45]
	s_or_b32 exec_lo, exec_lo, s50
	s_and_saveexec_b32 s50, s10
	s_cbranch_execz .LBB177_303
.LBB177_533:                            ;   in Loop: Header=BB177_3 Depth=1
	ds_load_b128 v[204:207], v49 offset:8480
	ds_load_b128 v[208:211], v55 offset:9536
	s_wait_dscnt 0x0
	v_mul_f64_e32 v[4:5], v[206:207], v[210:211]
	v_mul_f64_e32 v[44:45], v[204:205], v[210:211]
	s_delay_alu instid0(VALU_DEP_2) | instskip(NEXT) | instid1(VALU_DEP_2)
	v_fma_f64 v[4:5], v[204:205], v[208:209], -v[4:5]
	v_fmac_f64_e32 v[44:45], v[206:207], v[208:209]
	s_delay_alu instid0(VALU_DEP_2) | instskip(NEXT) | instid1(VALU_DEP_2)
	v_add_f64_e32 v[18:19], v[18:19], v[4:5]
	v_add_f64_e32 v[20:21], v[20:21], v[44:45]
	s_or_b32 exec_lo, exec_lo, s50
	s_and_saveexec_b32 s50, s1
	s_cbranch_execnz .LBB177_304
	s_branch .LBB177_305
.LBB177_534:                            ;   in Loop: Header=BB177_3 Depth=1
	ds_load_b128 v[204:207], v57 offset:8464
	ds_load_b128 v[208:211], v63 offset:9088
	s_wait_dscnt 0x0
	v_mul_f64_e32 v[4:5], v[206:207], v[210:211]
	v_mul_f64_e32 v[44:45], v[204:205], v[210:211]
	s_delay_alu instid0(VALU_DEP_2) | instskip(NEXT) | instid1(VALU_DEP_2)
	v_fma_f64 v[4:5], v[204:205], v[208:209], -v[4:5]
	v_fmac_f64_e32 v[44:45], v[206:207], v[208:209]
	s_delay_alu instid0(VALU_DEP_2) | instskip(NEXT) | instid1(VALU_DEP_2)
	v_add_f64_e32 v[18:19], v[18:19], v[4:5]
	v_add_f64_e32 v[20:21], v[20:21], v[44:45]
	s_or_b32 exec_lo, exec_lo, s50
	s_and_saveexec_b32 s50, s12
	s_cbranch_execz .LBB177_345
.LBB177_535:                            ;   in Loop: Header=BB177_3 Depth=1
	ds_load_b128 v[204:207], v57 offset:8480
	ds_load_b128 v[208:211], v63 offset:9600
	s_wait_dscnt 0x0
	v_mul_f64_e32 v[4:5], v[206:207], v[210:211]
	v_mul_f64_e32 v[44:45], v[204:205], v[210:211]
	s_delay_alu instid0(VALU_DEP_2) | instskip(NEXT) | instid1(VALU_DEP_2)
	v_fma_f64 v[4:5], v[204:205], v[208:209], -v[4:5]
	v_fmac_f64_e32 v[44:45], v[206:207], v[208:209]
	s_delay_alu instid0(VALU_DEP_2) | instskip(NEXT) | instid1(VALU_DEP_2)
	v_add_f64_e32 v[18:19], v[18:19], v[4:5]
	v_add_f64_e32 v[20:21], v[20:21], v[44:45]
	s_or_b32 exec_lo, exec_lo, s50
	s_and_saveexec_b32 s50, s13
	s_cbranch_execz .LBB177_346
.LBB177_536:                            ;   in Loop: Header=BB177_3 Depth=1
	ds_load_b128 v[204:207], v57 offset:8496
	ds_load_b128 v[208:211], v63 offset:10112
	s_wait_dscnt 0x0
	v_mul_f64_e32 v[4:5], v[206:207], v[210:211]
	v_mul_f64_e32 v[44:45], v[204:205], v[210:211]
	s_delay_alu instid0(VALU_DEP_2) | instskip(NEXT) | instid1(VALU_DEP_2)
	v_fma_f64 v[4:5], v[204:205], v[208:209], -v[4:5]
	v_fmac_f64_e32 v[44:45], v[206:207], v[208:209]
	s_delay_alu instid0(VALU_DEP_2) | instskip(NEXT) | instid1(VALU_DEP_2)
	v_add_f64_e32 v[18:19], v[18:19], v[4:5]
	v_add_f64_e32 v[20:21], v[20:21], v[44:45]
	s_or_b32 exec_lo, exec_lo, s50
	s_and_saveexec_b32 s50, s14
	s_cbranch_execz .LBB177_347
.LBB177_537:                            ;   in Loop: Header=BB177_3 Depth=1
	ds_load_b128 v[204:207], v57 offset:8512
	ds_load_b128 v[208:211], v62 offset:10624
	s_wait_dscnt 0x0
	v_mul_f64_e32 v[4:5], v[206:207], v[210:211]
	v_mul_f64_e32 v[44:45], v[204:205], v[210:211]
	s_delay_alu instid0(VALU_DEP_2) | instskip(NEXT) | instid1(VALU_DEP_2)
	v_fma_f64 v[4:5], v[204:205], v[208:209], -v[4:5]
	v_fmac_f64_e32 v[44:45], v[206:207], v[208:209]
	s_delay_alu instid0(VALU_DEP_2) | instskip(NEXT) | instid1(VALU_DEP_2)
	v_add_f64_e32 v[18:19], v[18:19], v[4:5]
	v_add_f64_e32 v[20:21], v[20:21], v[44:45]
	s_or_b32 exec_lo, exec_lo, s50
	s_and_saveexec_b32 s50, s15
	s_cbranch_execz .LBB177_348
.LBB177_538:                            ;   in Loop: Header=BB177_3 Depth=1
	ds_load_b128 v[204:207], v57 offset:8528
	ds_load_b128 v[208:211], v63 offset:11136
	s_wait_dscnt 0x0
	v_mul_f64_e32 v[4:5], v[206:207], v[210:211]
	v_mul_f64_e32 v[44:45], v[204:205], v[210:211]
	s_delay_alu instid0(VALU_DEP_2) | instskip(NEXT) | instid1(VALU_DEP_2)
	v_fma_f64 v[4:5], v[204:205], v[208:209], -v[4:5]
	v_fmac_f64_e32 v[44:45], v[206:207], v[208:209]
	s_delay_alu instid0(VALU_DEP_2) | instskip(NEXT) | instid1(VALU_DEP_2)
	v_add_f64_e32 v[18:19], v[18:19], v[4:5]
	v_add_f64_e32 v[20:21], v[20:21], v[44:45]
	s_or_b32 exec_lo, exec_lo, s50
	s_and_saveexec_b32 s50, s3
	s_cbranch_execz .LBB177_349
.LBB177_539:                            ;   in Loop: Header=BB177_3 Depth=1
	ds_load_b128 v[204:207], v57 offset:8544
	ds_load_b128 v[208:211], v62 offset:11648
	s_wait_dscnt 0x0
	v_mul_f64_e32 v[4:5], v[206:207], v[210:211]
	v_mul_f64_e32 v[44:45], v[204:205], v[210:211]
	s_delay_alu instid0(VALU_DEP_2) | instskip(NEXT) | instid1(VALU_DEP_2)
	v_fma_f64 v[4:5], v[204:205], v[208:209], -v[4:5]
	v_fmac_f64_e32 v[44:45], v[206:207], v[208:209]
	s_delay_alu instid0(VALU_DEP_2) | instskip(NEXT) | instid1(VALU_DEP_2)
	v_add_f64_e32 v[18:19], v[18:19], v[4:5]
	v_add_f64_e32 v[20:21], v[20:21], v[44:45]
	s_or_b32 exec_lo, exec_lo, s50
	s_and_saveexec_b32 s50, s10
	s_cbranch_execnz .LBB177_350
	s_branch .LBB177_351
.LBB177_540:                            ;   in Loop: Header=BB177_3 Depth=1
	ds_load_b128 v[204:207], v49 offset:12688
	ds_load_b128 v[208:211], v56 offset:13248
	s_wait_dscnt 0x0
	v_mul_f64_e32 v[4:5], v[206:207], v[210:211]
	v_mul_f64_e32 v[44:45], v[204:205], v[210:211]
	s_delay_alu instid0(VALU_DEP_2) | instskip(NEXT) | instid1(VALU_DEP_2)
	v_fma_f64 v[4:5], v[204:205], v[208:209], -v[4:5]
	v_fmac_f64_e32 v[44:45], v[206:207], v[208:209]
	s_delay_alu instid0(VALU_DEP_2) | instskip(NEXT) | instid1(VALU_DEP_2)
	v_add_f64_e32 v[18:19], v[18:19], v[4:5]
	v_add_f64_e32 v[20:21], v[20:21], v[44:45]
	s_or_b32 exec_lo, exec_lo, s50
	s_and_saveexec_b32 s50, s10
	s_cbranch_execz .LBB177_407
.LBB177_541:                            ;   in Loop: Header=BB177_3 Depth=1
	ds_load_b128 v[204:207], v49 offset:12704
	ds_load_b128 v[208:211], v55 offset:13760
	s_wait_dscnt 0x0
	v_mul_f64_e32 v[4:5], v[206:207], v[210:211]
	v_mul_f64_e32 v[44:45], v[204:205], v[210:211]
	s_delay_alu instid0(VALU_DEP_2) | instskip(NEXT) | instid1(VALU_DEP_2)
	v_fma_f64 v[4:5], v[204:205], v[208:209], -v[4:5]
	v_fmac_f64_e32 v[44:45], v[206:207], v[208:209]
	s_delay_alu instid0(VALU_DEP_2) | instskip(NEXT) | instid1(VALU_DEP_2)
	v_add_f64_e32 v[18:19], v[18:19], v[4:5]
	v_add_f64_e32 v[20:21], v[20:21], v[44:45]
	s_or_b32 exec_lo, exec_lo, s50
	s_and_saveexec_b32 s50, s1
	s_cbranch_execnz .LBB177_408
	s_branch .LBB177_409
.LBB177_542:
	s_endpgm
	.section	.rodata,"a",@progbits
	.p2align	6, 0x0
	.amdhsa_kernel _ZL19rocblas_trsv_deviceILi32ELi16ELb1ELb1ELb1ELb1E19rocblas_complex_numIdEPKS1_PKS3_PKPS1_EviT7_lllT6_T8_lllPii
		.amdhsa_group_segment_fixed_size 25104
		.amdhsa_private_segment_fixed_size 0
		.amdhsa_kernarg_size 352
		.amdhsa_user_sgpr_count 2
		.amdhsa_user_sgpr_dispatch_ptr 0
		.amdhsa_user_sgpr_queue_ptr 0
		.amdhsa_user_sgpr_kernarg_segment_ptr 1
		.amdhsa_user_sgpr_dispatch_id 0
		.amdhsa_user_sgpr_kernarg_preload_length 0
		.amdhsa_user_sgpr_kernarg_preload_offset 0
		.amdhsa_user_sgpr_private_segment_size 0
		.amdhsa_wavefront_size32 1
		.amdhsa_uses_dynamic_stack 0
		.amdhsa_enable_private_segment 0
		.amdhsa_system_sgpr_workgroup_id_x 1
		.amdhsa_system_sgpr_workgroup_id_y 0
		.amdhsa_system_sgpr_workgroup_id_z 1
		.amdhsa_system_sgpr_workgroup_info 0
		.amdhsa_system_vgpr_workitem_id 1
		.amdhsa_next_free_vgpr 213
		.amdhsa_next_free_sgpr 105
		.amdhsa_named_barrier_count 0
		.amdhsa_reserve_vcc 1
		.amdhsa_float_round_mode_32 0
		.amdhsa_float_round_mode_16_64 0
		.amdhsa_float_denorm_mode_32 3
		.amdhsa_float_denorm_mode_16_64 3
		.amdhsa_fp16_overflow 0
		.amdhsa_memory_ordered 1
		.amdhsa_forward_progress 1
		.amdhsa_inst_pref_size 166
		.amdhsa_round_robin_scheduling 0
		.amdhsa_exception_fp_ieee_invalid_op 0
		.amdhsa_exception_fp_denorm_src 0
		.amdhsa_exception_fp_ieee_div_zero 0
		.amdhsa_exception_fp_ieee_overflow 0
		.amdhsa_exception_fp_ieee_underflow 0
		.amdhsa_exception_fp_ieee_inexact 0
		.amdhsa_exception_int_div_zero 0
	.end_amdhsa_kernel
	.section	.text._ZL19rocblas_trsv_deviceILi32ELi16ELb1ELb1ELb1ELb1E19rocblas_complex_numIdEPKS1_PKS3_PKPS1_EviT7_lllT6_T8_lllPii,"axG",@progbits,_ZL19rocblas_trsv_deviceILi32ELi16ELb1ELb1ELb1ELb1E19rocblas_complex_numIdEPKS1_PKS3_PKPS1_EviT7_lllT6_T8_lllPii,comdat
.Lfunc_end177:
	.size	_ZL19rocblas_trsv_deviceILi32ELi16ELb1ELb1ELb1ELb1E19rocblas_complex_numIdEPKS1_PKS3_PKPS1_EviT7_lllT6_T8_lllPii, .Lfunc_end177-_ZL19rocblas_trsv_deviceILi32ELi16ELb1ELb1ELb1ELb1E19rocblas_complex_numIdEPKS1_PKS3_PKPS1_EviT7_lllT6_T8_lllPii
                                        ; -- End function
	.set _ZL19rocblas_trsv_deviceILi32ELi16ELb1ELb1ELb1ELb1E19rocblas_complex_numIdEPKS1_PKS3_PKPS1_EviT7_lllT6_T8_lllPii.num_vgpr, 213
	.set _ZL19rocblas_trsv_deviceILi32ELi16ELb1ELb1ELb1ELb1E19rocblas_complex_numIdEPKS1_PKS3_PKPS1_EviT7_lllT6_T8_lllPii.num_agpr, 0
	.set _ZL19rocblas_trsv_deviceILi32ELi16ELb1ELb1ELb1ELb1E19rocblas_complex_numIdEPKS1_PKS3_PKPS1_EviT7_lllT6_T8_lllPii.numbered_sgpr, 105
	.set _ZL19rocblas_trsv_deviceILi32ELi16ELb1ELb1ELb1ELb1E19rocblas_complex_numIdEPKS1_PKS3_PKPS1_EviT7_lllT6_T8_lllPii.num_named_barrier, 0
	.set _ZL19rocblas_trsv_deviceILi32ELi16ELb1ELb1ELb1ELb1E19rocblas_complex_numIdEPKS1_PKS3_PKPS1_EviT7_lllT6_T8_lllPii.private_seg_size, 0
	.set _ZL19rocblas_trsv_deviceILi32ELi16ELb1ELb1ELb1ELb1E19rocblas_complex_numIdEPKS1_PKS3_PKPS1_EviT7_lllT6_T8_lllPii.uses_vcc, 1
	.set _ZL19rocblas_trsv_deviceILi32ELi16ELb1ELb1ELb1ELb1E19rocblas_complex_numIdEPKS1_PKS3_PKPS1_EviT7_lllT6_T8_lllPii.uses_flat_scratch, 0
	.set _ZL19rocblas_trsv_deviceILi32ELi16ELb1ELb1ELb1ELb1E19rocblas_complex_numIdEPKS1_PKS3_PKPS1_EviT7_lllT6_T8_lllPii.has_dyn_sized_stack, 0
	.set _ZL19rocblas_trsv_deviceILi32ELi16ELb1ELb1ELb1ELb1E19rocblas_complex_numIdEPKS1_PKS3_PKPS1_EviT7_lllT6_T8_lllPii.has_recursion, 0
	.set _ZL19rocblas_trsv_deviceILi32ELi16ELb1ELb1ELb1ELb1E19rocblas_complex_numIdEPKS1_PKS3_PKPS1_EviT7_lllT6_T8_lllPii.has_indirect_call, 0
	.section	.AMDGPU.csdata,"",@progbits
; Kernel info:
; codeLenInByte = 21128
; TotalNumSgprs: 107
; NumVgprs: 213
; ScratchSize: 0
; MemoryBound: 1
; FloatMode: 240
; IeeeMode: 1
; LDSByteSize: 25104 bytes/workgroup (compile time only)
; SGPRBlocks: 0
; VGPRBlocks: 13
; NumSGPRsForWavesPerEU: 107
; NumVGPRsForWavesPerEU: 213
; NamedBarCnt: 0
; Occupancy: 4
; WaveLimiterHint : 1
; COMPUTE_PGM_RSRC2:SCRATCH_EN: 0
; COMPUTE_PGM_RSRC2:USER_SGPR: 2
; COMPUTE_PGM_RSRC2:TRAP_HANDLER: 0
; COMPUTE_PGM_RSRC2:TGID_X_EN: 1
; COMPUTE_PGM_RSRC2:TGID_Y_EN: 0
; COMPUTE_PGM_RSRC2:TGID_Z_EN: 1
; COMPUTE_PGM_RSRC2:TIDIG_COMP_CNT: 1
	.section	.text._ZL19rocblas_trsv_deviceILi32ELi16ELb1ELb0ELb0ELb0E19rocblas_complex_numIdEPKS1_PKS3_PKPS1_EviT7_lllT6_T8_lllPii,"axG",@progbits,_ZL19rocblas_trsv_deviceILi32ELi16ELb1ELb0ELb0ELb0E19rocblas_complex_numIdEPKS1_PKS3_PKPS1_EviT7_lllT6_T8_lllPii,comdat
	.globl	_ZL19rocblas_trsv_deviceILi32ELi16ELb1ELb0ELb0ELb0E19rocblas_complex_numIdEPKS1_PKS3_PKPS1_EviT7_lllT6_T8_lllPii ; -- Begin function _ZL19rocblas_trsv_deviceILi32ELi16ELb1ELb0ELb0ELb0E19rocblas_complex_numIdEPKS1_PKS3_PKPS1_EviT7_lllT6_T8_lllPii
	.p2align	8
	.type	_ZL19rocblas_trsv_deviceILi32ELi16ELb1ELb0ELb0ELb0E19rocblas_complex_numIdEPKS1_PKS3_PKPS1_EviT7_lllT6_T8_lllPii,@function
_ZL19rocblas_trsv_deviceILi32ELi16ELb1ELb0ELb0ELb0E19rocblas_complex_numIdEPKS1_PKS3_PKPS1_EviT7_lllT6_T8_lllPii: ; @_ZL19rocblas_trsv_deviceILi32ELi16ELb1ELb0ELb0ELb0E19rocblas_complex_numIdEPKS1_PKS3_PKPS1_EviT7_lllT6_T8_lllPii
; %bb.0:
	s_load_b32 s60, s[0:1], 0x58
	s_bfe_u32 s2, ttmp6, 0x40014
	s_lshr_b32 s3, ttmp7, 16
	s_add_co_i32 s2, s2, 1
	s_bfe_u32 s5, ttmp6, 0x40008
	s_mul_i32 s4, s3, s2
	s_getreg_b32 s2, hwreg(HW_REG_IB_STS2, 6, 4)
	s_add_co_i32 s5, s5, s4
	s_cmp_eq_u32 s2, 0
	s_mov_b32 s39, 0
	s_cselect_b32 s38, s3, s5
	s_wait_kmcnt 0x0
	s_cmp_ge_u32 s38, s60
	s_cbranch_scc1 .LBB178_544
; %bb.1:
	s_clause 0x3
	s_load_b32 s3, s[0:1], 0x6c
	s_load_b32 s61, s[0:1], 0x0
	s_load_b64 s[52:53], s[0:1], 0x18
	s_load_b256 s[40:47], s[0:1], 0x28
	s_bfe_u32 s5, ttmp6, 0x4000c
	s_and_b32 s4, ttmp6, 15
	s_add_co_i32 s5, s5, 1
	s_clause 0x1
	s_load_b64 s[54:55], s[0:1], 0x50
	s_load_b128 s[48:51], s[0:1], 0x8
	s_wait_xcnt 0x0
	s_mul_i32 s0, ttmp9, s5
	v_bfe_u32 v46, v0, 10, 10
	s_add_co_i32 s4, s4, s0
	s_cmp_eq_u32 s2, 0
	v_and_b32_e32 v24, 0x3ff, v0
	s_cselect_b32 s62, ttmp9, s4
	v_dual_mov_b32 v1, 0 :: v_dual_lshlrev_b32 v6, 5, v46
	v_and_b32_e32 v9, 1, v0
	s_delay_alu instid0(VALU_DEP_3)
	v_lshlrev_b32_e32 v50, 4, v24
	v_sub_co_u32 v47, s5, s62, 1
	s_wait_kmcnt 0x0
	s_add_co_i32 s0, s61, -1
	s_ashr_i32 s1, s61, 31
	s_and_b32 s2, s3, 0xffff
	s_ashr_i32 s3, s0, 31
	s_lshr_b32 s1, s1, 27
	s_lshr_b32 s3, s3, 27
	s_add_co_i32 s1, s61, s1
	s_add_co_i32 s0, s0, s3
	s_and_not1_b32 s1, s1, 31
	s_ashr_i32 s0, s0, 5
	s_sub_co_i32 s18, s61, s1
	s_cmp_eq_u32 s0, s62
	v_add_nc_u16 v7, v6, v24
	s_cselect_b32 s3, -1, 0
	s_cmp_lg_u32 s18, 0
	v_dual_mov_b32 v27, v1 :: v_dual_mov_b32 v25, v1
	s_cselect_b32 s4, -1, 0
	s_lshl_b32 s16, s62, 5
	v_lshrrev_b16 v7, 1, v7
	v_dual_add_nc_u32 v8, s16, v46 :: v_dual_add_nc_u32 v28, s16, v24
	v_add_nc_u32_e32 v11, v6, v24
	s_add_nc_u64 s[0:1], s[52:53], 1
	s_ashr_i32 s17, s16, 31
	s_delay_alu instid0(VALU_DEP_2)
	v_subrev_nc_u32_e32 v4, 32, v8
	v_lshlrev_b32_e32 v6, 4, v9
	v_mad_nc_u64_u32 v[2:3], s0, s16, v[24:25]
	v_ashrrev_i32_e32 v29, 31, v28
	v_mad_u32_u24 v26, v46, s2, v24
	v_ashrrev_i32_e32 v5, 31, v4
	s_mul_i32 s1, s1, s16
	s_mul_i32 s2, s0, s17
	s_and_b32 s14, s4, s3
	s_xor_b32 s63, s5, -1
	v_mul_u64_e32 v[30:31], s[52:53], v[4:5]
	v_lshrrev_b32_e32 v5, 10, v0
	s_xor_b32 s64, s14, -1
	v_add3_u32 v3, s2, s1, v3
	v_cmp_gt_u32_e64 s2, 4, v11
	s_cmp_gt_i32 s62, 4
	v_bitop3_b32 v10, v0, v5, 0x3ff bitop3:0xa8
	v_and_b32_e32 v5, 0xffff, v7
	s_cselect_b32 s1, -1, 0
                                        ; implicit-def: $vgpr78 : SGPR spill to VGPR lane
	v_cmp_le_i32_e64 s15, s18, v24
	v_cmp_gt_i32_e32 vcc_lo, s18, v24
	s_and_b32 s65, s1, s64
	v_lshl_add_u32 v25, v5, 4, 0x4000
	v_lshl_or_b32 v48, v5, 9, v6
	v_mul_u32_u24_e32 v49, 0x210, v5
	v_dual_lshrrev_b32 v5, 2, v11 :: v_dual_bitop2_b32 v6, 3, v0 bitop3:0x40
	s_and_b32 s29, s15, s14
	v_cmp_gt_i32_e64 s0, s61, v28
	v_cmp_ne_u32_e64 s30, v24, v46
	s_delay_alu instid0(VALU_DEP_3)
	v_lshlrev_b32_e32 v7, 4, v5
	v_cmp_eq_u32_e64 s4, 1, v9
	v_mul_u32_u24_e32 v52, 0x210, v5
	v_lshlrev_b32_e32 v51, 4, v6
	v_cmp_eq_u32_e64 s7, 0, v6
	v_cmp_ne_u32_e64 s8, 0, v6
	s_xor_b32 s5, s4, -1
	s_and_b32 s67, s4, s2
	v_cmp_gt_u32_e64 s4, 16, v11
	v_lshl_or_b32 v54, v5, 9, v51
	v_sub_nc_u32_e32 v5, v52, v7
	v_cmp_eq_u32_e64 s9, 1, v6
	v_add_nc_u32_e32 v53, 0x4000, v7
	s_and_b32 s68, s7, s4
	s_and_b32 s69, s8, s4
	v_add_nc_u32_e32 v55, v5, v51
	s_and_b32 s70, s9, s4
	v_cmp_lt_u32_e64 s7, 1, v6
	v_cmp_eq_u32_e64 s8, 2, v6
	v_cmp_eq_u32_e64 s9, 3, v6
	v_dual_lshrrev_b32 v5, 3, v11 :: v_dual_bitop2_b32 v6, 7, v0 bitop3:0x40
	s_and_b32 s71, s7, s4
	v_cmp_gt_u32_e64 s7, 64, v11
	s_and_b32 s73, s9, s4
	v_cmp_eq_u32_e64 s9, 0, v6
	v_cmp_ne_u32_e64 s10, 0, v6
	v_dual_lshlrev_b32 v57, 4, v6 :: v_dual_lshlrev_b32 v7, 4, v5
	v_mul_u32_u24_e32 v56, 0x210, v5
	s_and_b32 s74, s9, s7
	v_cmp_eq_u32_e64 s9, 1, v6
	s_and_b32 s75, s10, s7
	v_cmp_eq_u32_e64 s10, 2, v6
	v_cmp_lt_u32_e64 s11, 1, v6
	v_lshl_or_b32 v59, v5, 9, v57
	s_and_b32 s76, s9, s7
	v_cmp_eq_u32_e64 s9, 3, v6
	s_and_b32 s78, s10, s7
	v_cmp_lt_u32_e64 s10, 3, v6
	s_and_b32 s77, s11, s7
	v_cmp_eq_u32_e64 s11, 4, v6
	s_and_b32 s80, s9, s7
	v_cmp_lt_u32_e64 s9, 4, v6
	s_and_b32 s81, s10, s7
	v_cmp_lt_u32_e64 s10, 5, v6
	v_lshlrev_b32_e32 v5, 5, v11
	v_dual_sub_nc_u32 v9, v56, v7 :: v_dual_bitop2_b32 v0, 15, v0 bitop3:0x40
	s_and_b32 s83, s9, s7
	v_cmp_eq_u32_e64 s9, 6, v6
	s_and_b32 s72, s8, s4
	v_cmp_gt_u32_e64 s8, 56, v11
	v_cmp_lt_u32_e64 s12, 2, v6
	s_and_b32 s82, s11, s7
	v_cmp_eq_u32_e64 s11, 7, v6
	s_and_b32 s85, s10, s7
	s_and_b32 s86, s9, s7
	v_cmp_gt_u32_e64 s9, 0x100, v11
	v_cmp_eq_u32_e64 s10, 0, v0
	v_writelane_b32 v78, s8, 0
	s_and_b32 s79, s12, s7
	v_cmp_eq_u32_e64 s12, 5, v6
	s_and_b32 s87, s11, s7
	v_cmp_ne_u32_e64 s11, 0, v0
	s_and_b32 s8, s10, s9
	v_cmp_lt_u32_e64 s10, 1, v0
	v_writelane_b32 v78, s8, 1
	s_and_b32 s84, s12, s7
	v_cmp_eq_u32_e64 s12, 1, v0
	s_and_b32 s8, s11, s9
	v_cmp_eq_u32_e64 s11, 2, v0
	v_writelane_b32 v78, s8, 2
	v_cmp_eq_u32_e64 s13, 3, v0
	s_and_b32 s8, s12, s9
	v_cmp_lt_u32_e64 s12, 2, v0
	s_and_b32 s66, s5, s2
	v_writelane_b32 v78, s8, 3
	s_and_b32 s8, s10, s9
	v_cmp_lt_u32_e64 s10, 3, v0
	v_dual_add_nc_u32 v60, v9, v57 :: v_dual_lshlrev_b32 v63, 4, v0
	v_writelane_b32 v78, s8, 4
	s_and_b32 s8, s11, s9
	v_cmp_eq_u32_e64 s11, 4, v0
	s_and_b32 s95, s10, s9
	v_cmp_eq_u32_e64 s10, 5, v0
	v_writelane_b32 v78, s8, 5
	s_and_b32 s8, s12, s9
	s_and_b32 s96, s11, s9
	v_cmp_eq_u32_e64 s11, 6, v0
	s_and_b32 s98, s10, s9
	v_cmp_lt_u32_e64 s10, 6, v0
	v_cmp_lt_u32_e64 s12, 4, v0
	v_writelane_b32 v78, s8, 6
	s_and_b32 s100, s11, s9
	v_cmp_lt_u32_e64 s11, 7, v0
	s_and_b32 s101, s10, s9
	v_cmp_lt_u32_e64 s10, 8, v0
	;; [unrolled: 2-line block ×3, first 2 shown]
	s_and_b32 s97, s12, s9
	v_cmp_eq_u32_e64 s12, 7, v0
	s_and_b32 s103, s11, s9
	v_cmp_eq_u32_e64 s11, 9, v0
	s_and_b32 vcc_hi, s10, s9
	v_cmp_eq_u32_e64 s10, 10, v0
	s_and_b32 s99, s13, s9
	v_cmp_eq_u32_e64 s13, 8, v0
	s_and_b32 s102, s12, s9
	v_cmp_lt_u32_e64 s12, 9, v0
	s_and_b32 s19, s11, s9
	v_cmp_eq_u32_e64 s11, 11, v0
	s_and_b32 s21, s10, s9
	v_cmp_lt_u32_e64 s10, 11, v0
	s_and_b32 s104, s13, s9
	v_cmp_lt_u32_e64 s13, 10, v0
	s_and_b32 s20, s12, s9
	v_cmp_eq_u32_e64 s12, 12, v0
	s_and_b32 s23, s11, s9
	v_cmp_lt_u32_e64 s11, 12, v0
	s_and_b32 s24, s10, s9
	v_cmp_lt_u32_e64 s10, 13, v0
	s_and_b32 s22, s13, s9
	v_cmp_eq_u32_e64 s13, 13, v0
	s_and_b32 s25, s12, s9
	s_and_b32 s26, s11, s9
	v_cmp_eq_u32_e64 s11, 14, v0
	s_and_b32 s28, s10, s9
	v_cmp_eq_u32_e64 s12, 15, v0
	v_cmp_eq_u32_e64 s10, 0, v46
	v_writelane_b32 v78, s8, 7
	s_xor_b32 s8, s29, -1
	s_and_b32 s27, s13, s9
	s_and_b32 s35, s11, s9
	;; [unrolled: 1-line block ×4, first 2 shown]
	s_cmp_gt_i32 s62, 0
	v_cmp_gt_i32_e64 s11, s61, v4
	s_cselect_b32 s8, -1, 0
	s_and_b32 s13, s10, vcc_lo
	v_and_b32_e32 v62, 0xfffffe00, v5
	v_writelane_b32 v78, s13, 8
	v_cmp_le_i32_e32 vcc_lo, s18, v46
	s_and_b32 s88, s0, s11
	v_cmp_le_u32_e64 s11, v24, v46
	v_dual_add_nc_u32 v12, 16, v46 :: v_dual_bitop2_b32 v65, v62, v63 bitop3:0x54
	v_writelane_b32 v78, s30, 9
	v_add_nc_u32_e32 v58, 0x4000, v7
	v_add_nc_u64_e32 v[6:7], s[16:17], v[26:27]
	s_or_b32 s17, vcc_lo, s15
	v_cmp_ne_u32_e64 s31, v24, v12
	s_or_b32 s89, s17, s11
	s_or_b32 s17, s15, s30
	v_dual_add_nc_u32 v0, s16, v26 :: v_dual_add_nc_u32 v8, -16, v8
	v_writelane_b32 v78, s17, 10
	v_cmp_le_i32_e64 s16, s18, v12
	v_cmp_gt_u32_e64 s30, 0xf0, v11
	v_mul_u64_e32 v[32:33], s[46:47], v[28:29]
	v_mul_u64_e32 v[36:37], s[46:47], v[0:1]
	v_writelane_b32 v78, s31, 11
	s_or_b32 s16, s16, s15
	s_or_b32 s15, s15, s31
	v_mul_u64_e32 v[40:41], s[46:47], v[6:7]
	v_mad_nc_u64_u32 v[34:35], s52, v46, v[2:3]
	v_writelane_b32 v78, s15, 12
	v_mad_nc_u64_u32 v[38:39], s52, v12, v[2:3]
	v_lshl_add_u32 v66, v46, 4, 0x6000
	v_mul_u32_u24_e32 v72, 0x210, v24
	v_lshlrev_b32_e32 v5, 9, v24
	v_writelane_b32 v78, s30, 13
	v_cmp_gt_u32_e64 s30, 0xe0, v11
	v_add_nc_u32_e32 v71, v66, v50
	v_and_b32_e32 v61, 0x7ff0, v11
	v_sub_nc_u32_e32 v27, v72, v5
	v_mad_u32 v35, s53, v46, v35
	v_writelane_b32 v78, s30, 14
	v_cmp_gt_u32_e64 s30, 0xd0, v11
	v_mad_u32 v39, s53, v12, v39
	v_cmp_le_u32_e64 s13, v24, v12
	v_or_b32_e32 v0, v12, v24
	v_cmp_gt_u32_e64 s37, 32, v10
	v_writelane_b32 v78, s30, 15
	v_cmp_gt_u32_e64 s30, 0xc0, v11
	v_cmp_gt_i32_e64 s12, s61, v8
	v_cmp_eq_u32_e64 s1, 0, v10
	v_cmp_gt_u32_e64 s3, 2, v11
	v_cmp_gt_u32_e64 s5, 12, v11
	v_writelane_b32 v78, s30, 16
	v_cmp_gt_u32_e64 s30, 0xb0, v11
	v_cmp_gt_u32_e64 s6, 8, v11
	v_add_nc_u32_e32 v64, 0x4000, v61
	v_lshl_add_u32 v67, v26, 4, 0x6000
	v_lshl_add_u32 v68, v11, 4, 0x4000
	v_writelane_b32 v78, s30, 17
	v_cmp_gt_u32_e64 s30, 0xa0, v11
	v_add_nc_u32_e32 v69, 0x4000, v50
	v_lshl_add_u32 v70, v46, 9, v50
	v_lshl_add_u32 v73, v12, 9, v27
	s_or_b32 s90, s16, s13
	v_writelane_b32 v78, s30, 18
	v_cmp_gt_u32_e64 s30, 0x90, v11
	v_cmp_gt_u32_e64 s15, 48, v11
	v_cmp_gt_u32_e64 s16, 40, v11
	v_cmp_gt_u32_e64 s17, 32, v11
	v_cmp_gt_u32_e64 s18, 24, v11
	v_writelane_b32 v78, s30, 19
	v_cmp_gt_u32_e64 s30, 0x80, v11
	v_cmp_gt_u32_e64 s31, 32, v26
	v_cmp_ge_u32_e64 s33, v24, v46
	v_cmp_ge_u32_e64 s34, v24, v12
	s_and_b32 s12, s0, s12
	v_writelane_b32 v78, s30, 20
	v_cmp_gt_u32_e64 s30, 0x70, v11
	s_lshl_b64 s[56:57], s[52:53], 8
	s_lshl_b64 s[50:51], s[50:51], 4
	;; [unrolled: 1-line block ×3, first 2 shown]
                                        ; implicit-def: $vgpr4_vgpr5
                                        ; implicit-def: $vgpr8_vgpr9
	v_writelane_b32 v78, s30, 21
	v_cmp_gt_u32_e64 s30, 0x60, v11
	s_delay_alu instid0(VALU_DEP_1) | instskip(SKIP_1) | instid1(VALU_DEP_1)
	v_writelane_b32 v78, s30, 22
	v_cmp_gt_u32_e64 s30, 0x50, v11
	v_writelane_b32 v78, s30, 23
	v_cmp_eq_u32_e64 s30, 0, v26
	v_writelane_b32 v78, s37, 24
	v_cmp_gt_u32_e64 s37, 32, v0
	s_delay_alu instid0(VALU_DEP_1)
	v_writelane_b32 v78, s37, 25
	s_branch .LBB178_3
.LBB178_2:                              ;   in Loop: Header=BB178_3 Depth=1
	s_wait_xcnt 0x0
	s_or_b32 exec_lo, exec_lo, s37
	s_add_co_i32 s38, s38, 0x10000
	global_wb scope:SCOPE_DEV
	s_wait_storecnt 0x0
	global_inv scope:SCOPE_DEV
	s_cmp_lt_u32 s38, s60
	s_cbranch_scc0 .LBB178_544
.LBB178_3:                              ; =>This Loop Header: Depth=1
                                        ;     Child Loop BB178_425 Depth 2
                                        ;       Child Loop BB178_427 Depth 3
                                        ;     Child Loop BB178_458 Depth 2
	v_mov_b32_e32 v0, s38
	s_and_not1_b32 vcc_lo, exec_lo, s63
	s_clause 0x1
	global_load_b64 v[2:3], v0, s[48:49] scale_offset
	global_load_b64 v[44:45], v0, s[42:43] scale_offset
	global_load_b128 v[12:15], v1, s[40:41]
	s_wait_loadcnt 0x2
	v_add_nc_u64_e32 v[42:43], s[50:51], v[2:3]
	s_cbranch_vccz .LBB178_6
; %bb.4:                                ;   in Loop: Header=BB178_3 Depth=1
	s_and_not1_b32 vcc_lo, exec_lo, s64
	s_mov_b32 s37, -1
	s_cbranch_vccz .LBB178_11
.LBB178_5:                              ;   in Loop: Header=BB178_3 Depth=1
	s_and_b32 vcc_lo, exec_lo, s37
	s_cbranch_vccnz .LBB178_18
	s_branch .LBB178_25
.LBB178_6:                              ;   in Loop: Header=BB178_3 Depth=1
	s_delay_alu instid0(VALU_DEP_1)
	v_lshl_add_u64 v[2:3], v[30:31], 4, v[42:43]
	v_mov_b64_e32 v[10:11], 0
	v_mov_b64_e32 v[4:5], 0
	;; [unrolled: 1-line block ×3, first 2 shown]
	s_wait_loadcnt 0x0
	v_lshl_add_u64 v[2:3], v[28:29], 4, v[2:3]
	s_barrier_signal -1
	s_barrier_wait -1
	s_wait_xcnt 0x0
	s_and_saveexec_b32 s37, s88
	s_cbranch_execz .LBB178_8
; %bb.7:                                ;   in Loop: Header=BB178_3 Depth=1
	flat_load_b128 v[4:7], v[2:3]
.LBB178_8:                              ;   in Loop: Header=BB178_3 Depth=1
	s_wait_xcnt 0x0
	s_or_b32 exec_lo, exec_lo, s37
	v_mov_b64_e32 v[8:9], 0
	s_wait_loadcnt_dscnt 0x0
	s_barrier_signal -1
	s_barrier_wait -1
	s_and_saveexec_b32 s37, s12
	s_cbranch_execz .LBB178_10
; %bb.9:                                ;   in Loop: Header=BB178_3 Depth=1
	v_add_nc_u64_e32 v[2:3], s[56:57], v[2:3]
	flat_load_b128 v[8:11], v[2:3]
.LBB178_10:                             ;   in Loop: Header=BB178_3 Depth=1
	s_wait_xcnt 0x0
	s_or_b32 exec_lo, exec_lo, s37
	s_delay_alu instid0(SALU_CYCLE_1)
	s_and_not1_b32 vcc_lo, exec_lo, s64
	s_mov_b32 s37, -1
	s_cbranch_vccnz .LBB178_5
.LBB178_11:                             ;   in Loop: Header=BB178_3 Depth=1
	s_mov_b32 s58, 0
                                        ; implicit-def: $vgpr18_vgpr19
	s_wait_xcnt 0x0
	s_and_saveexec_b32 s37, s11
	s_delay_alu instid0(SALU_CYCLE_1)
	s_xor_b32 s37, exec_lo, s37
	s_cbranch_execnz .LBB178_471
; %bb.12:                               ;   in Loop: Header=BB178_3 Depth=1
	s_and_not1_saveexec_b32 s37, s37
	s_cbranch_execnz .LBB178_480
.LBB178_13:                             ;   in Loop: Header=BB178_3 Depth=1
	s_or_b32 exec_lo, exec_lo, s37
	s_and_saveexec_b32 s37, s58
	s_cbranch_execnz .LBB178_481
.LBB178_14:                             ;   in Loop: Header=BB178_3 Depth=1
	s_or_b32 exec_lo, exec_lo, s37
	s_and_saveexec_b32 s37, s13
	s_delay_alu instid0(SALU_CYCLE_1)
	s_xor_b32 s37, exec_lo, s37
	s_cbranch_execnz .LBB178_482
.LBB178_15:                             ;   in Loop: Header=BB178_3 Depth=1
	s_and_not1_saveexec_b32 s37, s37
	s_cbranch_execz .LBB178_17
.LBB178_16:                             ;   in Loop: Header=BB178_3 Depth=1
	v_lshl_add_u64 v[2:3], v[38:39], 4, v[42:43]
	flat_load_b128 v[16:19], v[2:3]
	s_wait_loadcnt_dscnt 0x0
	v_xor_b32_e32 v17, 0x80000000, v17
	v_xor_b32_e32 v19, 0x80000000, v19
	ds_store_b128 v73, v[16:19]
.LBB178_17:                             ;   in Loop: Header=BB178_3 Depth=1
	s_or_b32 exec_lo, exec_lo, s37
	s_branch .LBB178_25
.LBB178_18:                             ;   in Loop: Header=BB178_3 Depth=1
	s_mov_b32 s58, 0
                                        ; implicit-def: $vgpr18_vgpr19
	s_wait_xcnt 0x0
	s_and_saveexec_b32 s37, s89
	s_delay_alu instid0(SALU_CYCLE_1)
	s_xor_b32 s37, exec_lo, s37
	s_cbranch_execnz .LBB178_493
; %bb.19:                               ;   in Loop: Header=BB178_3 Depth=1
	s_and_not1_saveexec_b32 s37, s37
	s_cbranch_execnz .LBB178_502
.LBB178_20:                             ;   in Loop: Header=BB178_3 Depth=1
	s_or_b32 exec_lo, exec_lo, s37
	s_and_saveexec_b32 s37, s58
	s_cbranch_execnz .LBB178_503
.LBB178_21:                             ;   in Loop: Header=BB178_3 Depth=1
	s_or_b32 exec_lo, exec_lo, s37
	s_and_saveexec_b32 s37, s90
	s_delay_alu instid0(SALU_CYCLE_1)
	s_xor_b32 s37, exec_lo, s37
	s_cbranch_execnz .LBB178_504
.LBB178_22:                             ;   in Loop: Header=BB178_3 Depth=1
	s_and_not1_saveexec_b32 s37, s37
	s_cbranch_execz .LBB178_24
.LBB178_23:                             ;   in Loop: Header=BB178_3 Depth=1
	v_lshl_add_u64 v[2:3], v[38:39], 4, v[42:43]
	flat_load_b128 v[16:19], v[2:3]
	s_wait_loadcnt_dscnt 0x0
	v_xor_b32_e32 v17, 0x80000000, v17
	v_xor_b32_e32 v19, 0x80000000, v19
	ds_store_b128 v73, v[16:19]
.LBB178_24:                             ;   in Loop: Header=BB178_3 Depth=1
	s_or_b32 exec_lo, exec_lo, s37
.LBB178_25:                             ;   in Loop: Header=BB178_3 Depth=1
	s_delay_alu instid0(SALU_CYCLE_1)
	s_and_not1_b32 vcc_lo, exec_lo, s65
	s_wait_loadcnt_dscnt 0x0
	s_barrier_signal -1
	s_barrier_wait -1
	s_cbranch_vccnz .LBB178_419
; %bb.26:                               ;   in Loop: Header=BB178_3 Depth=1
	s_wait_xcnt 0x0
	s_and_saveexec_b32 s37, s1
	s_cbranch_execz .LBB178_28
; %bb.27:                               ;   in Loop: Header=BB178_3 Depth=1
	ds_load_b128 v[16:19], v1 offset:528
	ds_load_b128 v[20:23], v1
	ds_load_b128 v[74:77], v1 offset:16
	s_wait_dscnt 0x1
	v_mul_f64_e32 v[2:3], v[16:17], v[22:23]
	v_mul_f64_e32 v[22:23], v[18:19], v[22:23]
	s_delay_alu instid0(VALU_DEP_2) | instskip(NEXT) | instid1(VALU_DEP_2)
	v_fmac_f64_e32 v[2:3], v[18:19], v[20:21]
	v_fma_f64 v[16:17], v[16:17], v[20:21], -v[22:23]
	s_wait_dscnt 0x0
	s_delay_alu instid0(VALU_DEP_2) | instskip(NEXT) | instid1(VALU_DEP_2)
	v_mul_f64_e32 v[20:21], v[2:3], v[76:77]
	v_mul_f64_e32 v[18:19], v[16:17], v[76:77]
	s_delay_alu instid0(VALU_DEP_2) | instskip(NEXT) | instid1(VALU_DEP_2)
	v_fma_f64 v[16:17], v[74:75], v[16:17], -v[20:21]
	v_fmac_f64_e32 v[18:19], v[74:75], v[2:3]
	ds_store_b128 v1, v[16:19] offset:16
.LBB178_28:                             ;   in Loop: Header=BB178_3 Depth=1
	s_or_b32 exec_lo, exec_lo, s37
	v_mov_b64_e32 v[18:19], 0
	v_mov_b64_e32 v[16:17], 0
	s_wait_dscnt 0x0
	s_barrier_signal -1
	s_barrier_wait -1
	s_and_saveexec_b32 s37, s2
	s_cbranch_execz .LBB178_32
; %bb.29:                               ;   in Loop: Header=BB178_3 Depth=1
	ds_load_b128 v[16:19], v49
	ds_load_b128 v[20:23], v48 offset:32
	s_wait_dscnt 0x0
	v_mul_f64_e32 v[2:3], v[18:19], v[22:23]
	v_mul_f64_e32 v[22:23], v[16:17], v[22:23]
	s_delay_alu instid0(VALU_DEP_2) | instskip(NEXT) | instid1(VALU_DEP_2)
	v_fma_f64 v[2:3], v[16:17], v[20:21], -v[2:3]
	v_fmac_f64_e32 v[22:23], v[18:19], v[20:21]
	s_delay_alu instid0(VALU_DEP_2) | instskip(NEXT) | instid1(VALU_DEP_2)
	v_add_f64_e32 v[16:17], 0, v[2:3]
	v_add_f64_e32 v[18:19], 0, v[22:23]
	s_and_saveexec_b32 s58, s3
	s_cbranch_execz .LBB178_31
; %bb.30:                               ;   in Loop: Header=BB178_3 Depth=1
	ds_load_b128 v[20:23], v1 offset:16
	ds_load_b128 v[74:77], v50 offset:544
	s_wait_dscnt 0x0
	v_mul_f64_e32 v[2:3], v[22:23], v[76:77]
	v_mul_f64_e32 v[76:77], v[20:21], v[76:77]
	s_delay_alu instid0(VALU_DEP_2) | instskip(NEXT) | instid1(VALU_DEP_2)
	v_fma_f64 v[2:3], v[20:21], v[74:75], -v[2:3]
	v_fmac_f64_e32 v[76:77], v[22:23], v[74:75]
	s_delay_alu instid0(VALU_DEP_2) | instskip(NEXT) | instid1(VALU_DEP_2)
	v_add_f64_e32 v[16:17], v[16:17], v[2:3]
	v_add_f64_e32 v[18:19], v[18:19], v[76:77]
.LBB178_31:                             ;   in Loop: Header=BB178_3 Depth=1
	s_or_b32 exec_lo, exec_lo, s58
	s_delay_alu instid0(VALU_DEP_2) | instskip(NEXT) | instid1(VALU_DEP_2)
	v_xor_b32_e32 v17, 0x80000000, v17
	v_xor_b32_e32 v19, 0x80000000, v19
.LBB178_32:                             ;   in Loop: Header=BB178_3 Depth=1
	s_or_b32 exec_lo, exec_lo, s37
	s_and_saveexec_b32 s37, s66
	s_cbranch_execz .LBB178_34
; %bb.33:                               ;   in Loop: Header=BB178_3 Depth=1
	ds_load_b128 v[20:23], v1 offset:1056
	s_wait_dscnt 0x0
	v_mul_f64_e32 v[2:3], v[18:19], v[22:23]
	v_mul_f64_e32 v[76:77], v[16:17], v[22:23]
	s_delay_alu instid0(VALU_DEP_2) | instskip(NEXT) | instid1(VALU_DEP_2)
	v_fma_f64 v[74:75], v[16:17], v[20:21], -v[2:3]
	v_fmac_f64_e32 v[76:77], v[18:19], v[20:21]
	s_delay_alu instid0(VALU_DEP_2) | instskip(NEXT) | instid1(VALU_DEP_2)
	v_mov_b64_e32 v[16:17], v[74:75]
	v_mov_b64_e32 v[18:19], v[76:77]
	ds_store_b128 v25, v[74:77]
.LBB178_34:                             ;   in Loop: Header=BB178_3 Depth=1
	s_or_b32 exec_lo, exec_lo, s37
	s_wait_dscnt 0x0
	s_barrier_signal -1
	s_barrier_wait -1
	s_and_saveexec_b32 s37, s67
	s_cbranch_execz .LBB178_36
; %bb.35:                               ;   in Loop: Header=BB178_3 Depth=1
	ds_load_b128 v[20:23], v25
	ds_load_b128 v[74:77], v1 offset:1072
	s_wait_dscnt 0x0
	v_mul_f64_e32 v[2:3], v[22:23], v[76:77]
	v_mul_f64_e32 v[76:77], v[20:21], v[76:77]
	s_delay_alu instid0(VALU_DEP_2) | instskip(NEXT) | instid1(VALU_DEP_2)
	v_fma_f64 v[2:3], v[20:21], v[74:75], -v[2:3]
	v_fmac_f64_e32 v[76:77], v[22:23], v[74:75]
	s_delay_alu instid0(VALU_DEP_2) | instskip(NEXT) | instid1(VALU_DEP_2)
	v_add_f64_e32 v[16:17], v[16:17], v[2:3]
	v_add_f64_e32 v[18:19], v[18:19], v[76:77]
.LBB178_36:                             ;   in Loop: Header=BB178_3 Depth=1
	s_or_b32 exec_lo, exec_lo, s37
	s_barrier_signal -1
	s_barrier_wait -1
	s_and_saveexec_b32 s37, s67
	s_cbranch_execz .LBB178_38
; %bb.37:                               ;   in Loop: Header=BB178_3 Depth=1
	ds_load_b128 v[20:23], v1 offset:1584
	s_wait_dscnt 0x0
	v_mul_f64_e32 v[2:3], v[18:19], v[22:23]
	v_mul_f64_e32 v[76:77], v[16:17], v[22:23]
	s_delay_alu instid0(VALU_DEP_2) | instskip(NEXT) | instid1(VALU_DEP_2)
	v_fma_f64 v[74:75], v[16:17], v[20:21], -v[2:3]
	v_fmac_f64_e32 v[76:77], v[18:19], v[20:21]
	s_delay_alu instid0(VALU_DEP_2) | instskip(NEXT) | instid1(VALU_DEP_2)
	v_mov_b64_e32 v[16:17], v[74:75]
	v_mov_b64_e32 v[18:19], v[76:77]
	ds_store_b128 v25, v[74:77]
.LBB178_38:                             ;   in Loop: Header=BB178_3 Depth=1
	s_or_b32 exec_lo, exec_lo, s37
	s_wait_dscnt 0x0
	s_barrier_signal -1
	s_barrier_wait -1
	s_barrier_signal -1
	s_barrier_wait -1
	s_and_saveexec_b32 s37, s2
; %bb.39:                               ;   in Loop: Header=BB178_3 Depth=1
	s_delay_alu instid0(VALU_DEP_2) | instskip(NEXT) | instid1(VALU_DEP_2)
	v_xor_b32_e32 v17, 0x80000000, v17
	v_xor_b32_e32 v19, 0x80000000, v19
	ds_store_b128 v48, v[16:19] offset:32
; %bb.40:                               ;   in Loop: Header=BB178_3 Depth=1
	s_or_b32 exec_lo, exec_lo, s37
	s_wait_dscnt 0x0
	s_barrier_signal -1
	s_barrier_wait -1
	s_barrier_signal -1
	s_barrier_wait -1
	s_and_saveexec_b32 s37, s1
	s_cbranch_execz .LBB178_42
; %bb.41:                               ;   in Loop: Header=BB178_3 Depth=1
	ds_load_b128 v[16:19], v1 offset:1584
	ds_load_b128 v[20:23], v1 offset:1056
	;; [unrolled: 1-line block ×3, first 2 shown]
	s_wait_dscnt 0x1
	v_mul_f64_e32 v[2:3], v[16:17], v[22:23]
	v_mul_f64_e32 v[22:23], v[18:19], v[22:23]
	s_delay_alu instid0(VALU_DEP_2) | instskip(NEXT) | instid1(VALU_DEP_2)
	v_fmac_f64_e32 v[2:3], v[18:19], v[20:21]
	v_fma_f64 v[16:17], v[16:17], v[20:21], -v[22:23]
	s_wait_dscnt 0x0
	s_delay_alu instid0(VALU_DEP_2) | instskip(NEXT) | instid1(VALU_DEP_2)
	v_mul_f64_e32 v[20:21], v[2:3], v[76:77]
	v_mul_f64_e32 v[18:19], v[16:17], v[76:77]
	s_delay_alu instid0(VALU_DEP_2) | instskip(NEXT) | instid1(VALU_DEP_2)
	v_fma_f64 v[16:17], v[74:75], v[16:17], -v[20:21]
	v_fmac_f64_e32 v[18:19], v[74:75], v[2:3]
	ds_store_b128 v1, v[16:19] offset:1072
.LBB178_42:                             ;   in Loop: Header=BB178_3 Depth=1
	s_or_b32 exec_lo, exec_lo, s37
	v_mov_b64_e32 v[18:19], 0
	v_mov_b64_e32 v[16:17], 0
	s_wait_dscnt 0x0
	s_barrier_signal -1
	s_barrier_wait -1
	s_and_saveexec_b32 s37, s4
	s_cbranch_execz .LBB178_48
; %bb.43:                               ;   in Loop: Header=BB178_3 Depth=1
	ds_load_b128 v[16:19], v52
	ds_load_b128 v[20:23], v54 offset:64
	s_wait_dscnt 0x0
	v_mul_f64_e32 v[2:3], v[18:19], v[22:23]
	v_mul_f64_e32 v[22:23], v[16:17], v[22:23]
	s_delay_alu instid0(VALU_DEP_2) | instskip(NEXT) | instid1(VALU_DEP_2)
	v_fma_f64 v[2:3], v[16:17], v[20:21], -v[2:3]
	v_fmac_f64_e32 v[22:23], v[18:19], v[20:21]
	s_delay_alu instid0(VALU_DEP_2) | instskip(NEXT) | instid1(VALU_DEP_2)
	v_add_f64_e32 v[16:17], 0, v[2:3]
	v_add_f64_e32 v[18:19], 0, v[22:23]
	s_and_saveexec_b32 s58, s5
	s_cbranch_execnz .LBB178_520
; %bb.44:                               ;   in Loop: Header=BB178_3 Depth=1
	s_or_b32 exec_lo, exec_lo, s58
	s_and_saveexec_b32 s58, s6
	s_cbranch_execnz .LBB178_521
.LBB178_45:                             ;   in Loop: Header=BB178_3 Depth=1
	s_or_b32 exec_lo, exec_lo, s58
	s_and_saveexec_b32 s58, s2
	s_cbranch_execz .LBB178_47
.LBB178_46:                             ;   in Loop: Header=BB178_3 Depth=1
	ds_load_b128 v[20:23], v1 offset:48
	ds_load_b128 v[74:77], v50 offset:1600
	s_wait_dscnt 0x0
	v_mul_f64_e32 v[2:3], v[22:23], v[76:77]
	v_mul_f64_e32 v[76:77], v[20:21], v[76:77]
	s_delay_alu instid0(VALU_DEP_2) | instskip(NEXT) | instid1(VALU_DEP_2)
	v_fma_f64 v[2:3], v[20:21], v[74:75], -v[2:3]
	v_fmac_f64_e32 v[76:77], v[22:23], v[74:75]
	s_delay_alu instid0(VALU_DEP_2) | instskip(NEXT) | instid1(VALU_DEP_2)
	v_add_f64_e32 v[16:17], v[16:17], v[2:3]
	v_add_f64_e32 v[18:19], v[18:19], v[76:77]
.LBB178_47:                             ;   in Loop: Header=BB178_3 Depth=1
	s_or_b32 exec_lo, exec_lo, s58
	s_delay_alu instid0(VALU_DEP_2) | instskip(NEXT) | instid1(VALU_DEP_2)
	v_xor_b32_e32 v17, 0x80000000, v17
	v_xor_b32_e32 v19, 0x80000000, v19
.LBB178_48:                             ;   in Loop: Header=BB178_3 Depth=1
	s_or_b32 exec_lo, exec_lo, s37
	s_and_saveexec_b32 s37, s68
	s_cbranch_execz .LBB178_50
; %bb.49:                               ;   in Loop: Header=BB178_3 Depth=1
	ds_load_b128 v[20:23], v1 offset:2112
	s_wait_dscnt 0x0
	v_mul_f64_e32 v[2:3], v[18:19], v[22:23]
	v_mul_f64_e32 v[76:77], v[16:17], v[22:23]
	s_delay_alu instid0(VALU_DEP_2) | instskip(NEXT) | instid1(VALU_DEP_2)
	v_fma_f64 v[74:75], v[16:17], v[20:21], -v[2:3]
	v_fmac_f64_e32 v[76:77], v[18:19], v[20:21]
	s_delay_alu instid0(VALU_DEP_2) | instskip(NEXT) | instid1(VALU_DEP_2)
	v_mov_b64_e32 v[16:17], v[74:75]
	v_mov_b64_e32 v[18:19], v[76:77]
	ds_store_b128 v53, v[74:77]
.LBB178_50:                             ;   in Loop: Header=BB178_3 Depth=1
	s_or_b32 exec_lo, exec_lo, s37
	s_wait_dscnt 0x0
	s_barrier_signal -1
	s_barrier_wait -1
	s_and_saveexec_b32 s37, s69
	s_cbranch_execz .LBB178_52
; %bb.51:                               ;   in Loop: Header=BB178_3 Depth=1
	ds_load_b128 v[20:23], v53
	ds_load_b128 v[74:77], v51 offset:2112
	s_wait_dscnt 0x0
	v_mul_f64_e32 v[2:3], v[22:23], v[76:77]
	v_mul_f64_e32 v[76:77], v[20:21], v[76:77]
	s_delay_alu instid0(VALU_DEP_2) | instskip(NEXT) | instid1(VALU_DEP_2)
	v_fma_f64 v[2:3], v[20:21], v[74:75], -v[2:3]
	v_fmac_f64_e32 v[76:77], v[22:23], v[74:75]
	s_delay_alu instid0(VALU_DEP_2) | instskip(NEXT) | instid1(VALU_DEP_2)
	v_add_f64_e32 v[16:17], v[16:17], v[2:3]
	v_add_f64_e32 v[18:19], v[18:19], v[76:77]
.LBB178_52:                             ;   in Loop: Header=BB178_3 Depth=1
	s_or_b32 exec_lo, exec_lo, s37
	s_barrier_signal -1
	s_barrier_wait -1
	s_and_saveexec_b32 s37, s70
	s_cbranch_execz .LBB178_54
; %bb.53:                               ;   in Loop: Header=BB178_3 Depth=1
	ds_load_b128 v[20:23], v1 offset:2640
	s_wait_dscnt 0x0
	v_mul_f64_e32 v[2:3], v[18:19], v[22:23]
	v_mul_f64_e32 v[76:77], v[16:17], v[22:23]
	s_delay_alu instid0(VALU_DEP_2) | instskip(NEXT) | instid1(VALU_DEP_2)
	v_fma_f64 v[74:75], v[16:17], v[20:21], -v[2:3]
	v_fmac_f64_e32 v[76:77], v[18:19], v[20:21]
	s_delay_alu instid0(VALU_DEP_2) | instskip(NEXT) | instid1(VALU_DEP_2)
	v_mov_b64_e32 v[16:17], v[74:75]
	v_mov_b64_e32 v[18:19], v[76:77]
	ds_store_b128 v53, v[74:77]
.LBB178_54:                             ;   in Loop: Header=BB178_3 Depth=1
	s_or_b32 exec_lo, exec_lo, s37
	s_wait_dscnt 0x0
	s_barrier_signal -1
	s_barrier_wait -1
	s_and_saveexec_b32 s37, s71
	s_cbranch_execz .LBB178_56
; %bb.55:                               ;   in Loop: Header=BB178_3 Depth=1
	ds_load_b128 v[20:23], v53
	ds_load_b128 v[74:77], v51 offset:2624
	s_wait_dscnt 0x0
	v_mul_f64_e32 v[2:3], v[22:23], v[76:77]
	v_mul_f64_e32 v[76:77], v[20:21], v[76:77]
	s_delay_alu instid0(VALU_DEP_2) | instskip(NEXT) | instid1(VALU_DEP_2)
	v_fma_f64 v[2:3], v[20:21], v[74:75], -v[2:3]
	v_fmac_f64_e32 v[76:77], v[22:23], v[74:75]
	s_delay_alu instid0(VALU_DEP_2) | instskip(NEXT) | instid1(VALU_DEP_2)
	v_add_f64_e32 v[16:17], v[16:17], v[2:3]
	v_add_f64_e32 v[18:19], v[18:19], v[76:77]
.LBB178_56:                             ;   in Loop: Header=BB178_3 Depth=1
	s_or_b32 exec_lo, exec_lo, s37
	s_barrier_signal -1
	s_barrier_wait -1
	s_and_saveexec_b32 s37, s72
	s_cbranch_execz .LBB178_58
; %bb.57:                               ;   in Loop: Header=BB178_3 Depth=1
	ds_load_b128 v[20:23], v1 offset:3168
	s_wait_dscnt 0x0
	v_mul_f64_e32 v[2:3], v[18:19], v[22:23]
	v_mul_f64_e32 v[76:77], v[16:17], v[22:23]
	s_delay_alu instid0(VALU_DEP_2) | instskip(NEXT) | instid1(VALU_DEP_2)
	v_fma_f64 v[74:75], v[16:17], v[20:21], -v[2:3]
	v_fmac_f64_e32 v[76:77], v[18:19], v[20:21]
	s_delay_alu instid0(VALU_DEP_2) | instskip(NEXT) | instid1(VALU_DEP_2)
	v_mov_b64_e32 v[16:17], v[74:75]
	v_mov_b64_e32 v[18:19], v[76:77]
	ds_store_b128 v53, v[74:77]
.LBB178_58:                             ;   in Loop: Header=BB178_3 Depth=1
	s_or_b32 exec_lo, exec_lo, s37
	s_wait_dscnt 0x0
	s_barrier_signal -1
	s_barrier_wait -1
	s_and_saveexec_b32 s37, s73
	s_cbranch_execz .LBB178_60
; %bb.59:                               ;   in Loop: Header=BB178_3 Depth=1
	ds_load_b128 v[20:23], v53
	ds_load_b128 v[74:77], v1 offset:3184
	s_wait_dscnt 0x0
	v_mul_f64_e32 v[2:3], v[22:23], v[76:77]
	v_mul_f64_e32 v[76:77], v[20:21], v[76:77]
	s_delay_alu instid0(VALU_DEP_2) | instskip(NEXT) | instid1(VALU_DEP_2)
	v_fma_f64 v[2:3], v[20:21], v[74:75], -v[2:3]
	v_fmac_f64_e32 v[76:77], v[22:23], v[74:75]
	s_delay_alu instid0(VALU_DEP_2) | instskip(NEXT) | instid1(VALU_DEP_2)
	v_add_f64_e32 v[16:17], v[16:17], v[2:3]
	v_add_f64_e32 v[18:19], v[18:19], v[76:77]
.LBB178_60:                             ;   in Loop: Header=BB178_3 Depth=1
	s_or_b32 exec_lo, exec_lo, s37
	s_barrier_signal -1
	s_barrier_wait -1
	s_and_saveexec_b32 s37, s73
	s_cbranch_execz .LBB178_62
; %bb.61:                               ;   in Loop: Header=BB178_3 Depth=1
	ds_load_b128 v[20:23], v1 offset:3696
	s_wait_dscnt 0x0
	v_mul_f64_e32 v[2:3], v[18:19], v[22:23]
	v_mul_f64_e32 v[76:77], v[16:17], v[22:23]
	s_delay_alu instid0(VALU_DEP_2) | instskip(NEXT) | instid1(VALU_DEP_2)
	v_fma_f64 v[74:75], v[16:17], v[20:21], -v[2:3]
	v_fmac_f64_e32 v[76:77], v[18:19], v[20:21]
	s_delay_alu instid0(VALU_DEP_2) | instskip(NEXT) | instid1(VALU_DEP_2)
	v_mov_b64_e32 v[16:17], v[74:75]
	v_mov_b64_e32 v[18:19], v[76:77]
	ds_store_b128 v53, v[74:77]
.LBB178_62:                             ;   in Loop: Header=BB178_3 Depth=1
	s_or_b32 exec_lo, exec_lo, s37
	s_wait_dscnt 0x0
	s_barrier_signal -1
	s_barrier_wait -1
	s_barrier_signal -1
	s_barrier_wait -1
	s_and_saveexec_b32 s37, s4
; %bb.63:                               ;   in Loop: Header=BB178_3 Depth=1
	s_delay_alu instid0(VALU_DEP_1) | instskip(NEXT) | instid1(VALU_DEP_3)
	v_xor_b32_e32 v19, 0x80000000, v19
	v_xor_b32_e32 v17, 0x80000000, v17
	ds_store_b128 v54, v[16:19] offset:64
; %bb.64:                               ;   in Loop: Header=BB178_3 Depth=1
	s_or_b32 exec_lo, exec_lo, s37
	s_wait_dscnt 0x0
	s_barrier_signal -1
	s_barrier_wait -1
	s_barrier_signal -1
	s_barrier_wait -1
	s_and_saveexec_b32 s37, s1
	s_cbranch_execz .LBB178_66
; %bb.65:                               ;   in Loop: Header=BB178_3 Depth=1
	ds_load_b128 v[16:19], v1 offset:2640
	ds_load_b128 v[20:23], v1 offset:2112
	;; [unrolled: 1-line block ×3, first 2 shown]
	s_wait_dscnt 0x1
	v_mul_f64_e32 v[2:3], v[16:17], v[22:23]
	v_mul_f64_e32 v[22:23], v[18:19], v[22:23]
	s_delay_alu instid0(VALU_DEP_2) | instskip(NEXT) | instid1(VALU_DEP_2)
	v_fmac_f64_e32 v[2:3], v[18:19], v[20:21]
	v_fma_f64 v[16:17], v[16:17], v[20:21], -v[22:23]
	s_wait_dscnt 0x0
	s_delay_alu instid0(VALU_DEP_2) | instskip(NEXT) | instid1(VALU_DEP_2)
	v_mul_f64_e32 v[20:21], v[2:3], v[76:77]
	v_mul_f64_e32 v[18:19], v[16:17], v[76:77]
	s_delay_alu instid0(VALU_DEP_2) | instskip(NEXT) | instid1(VALU_DEP_2)
	v_fma_f64 v[16:17], v[74:75], v[16:17], -v[20:21]
	v_fmac_f64_e32 v[18:19], v[74:75], v[2:3]
	ds_store_b128 v1, v[16:19] offset:2128
.LBB178_66:                             ;   in Loop: Header=BB178_3 Depth=1
	s_or_b32 exec_lo, exec_lo, s37
	v_mov_b64_e32 v[18:19], 0
	v_mov_b64_e32 v[16:17], 0
	s_wait_dscnt 0x0
	s_barrier_signal -1
	s_barrier_wait -1
	s_and_saveexec_b32 s37, s2
	s_cbranch_execz .LBB178_70
; %bb.67:                               ;   in Loop: Header=BB178_3 Depth=1
	ds_load_b128 v[16:19], v49 offset:2112
	ds_load_b128 v[20:23], v48 offset:2144
	s_wait_dscnt 0x0
	v_mul_f64_e32 v[2:3], v[18:19], v[22:23]
	v_mul_f64_e32 v[22:23], v[16:17], v[22:23]
	s_delay_alu instid0(VALU_DEP_2) | instskip(NEXT) | instid1(VALU_DEP_2)
	v_fma_f64 v[2:3], v[16:17], v[20:21], -v[2:3]
	v_fmac_f64_e32 v[22:23], v[18:19], v[20:21]
	s_delay_alu instid0(VALU_DEP_2) | instskip(NEXT) | instid1(VALU_DEP_2)
	v_add_f64_e32 v[16:17], 0, v[2:3]
	v_add_f64_e32 v[18:19], 0, v[22:23]
	s_and_saveexec_b32 s58, s3
	s_cbranch_execz .LBB178_69
; %bb.68:                               ;   in Loop: Header=BB178_3 Depth=1
	ds_load_b128 v[20:23], v1 offset:2128
	ds_load_b128 v[74:77], v50 offset:2656
	s_wait_dscnt 0x0
	v_mul_f64_e32 v[2:3], v[22:23], v[76:77]
	v_mul_f64_e32 v[76:77], v[20:21], v[76:77]
	s_delay_alu instid0(VALU_DEP_2) | instskip(NEXT) | instid1(VALU_DEP_2)
	v_fma_f64 v[2:3], v[20:21], v[74:75], -v[2:3]
	v_fmac_f64_e32 v[76:77], v[22:23], v[74:75]
	s_delay_alu instid0(VALU_DEP_2) | instskip(NEXT) | instid1(VALU_DEP_2)
	v_add_f64_e32 v[16:17], v[16:17], v[2:3]
	v_add_f64_e32 v[18:19], v[18:19], v[76:77]
.LBB178_69:                             ;   in Loop: Header=BB178_3 Depth=1
	s_or_b32 exec_lo, exec_lo, s58
	s_delay_alu instid0(VALU_DEP_2) | instskip(NEXT) | instid1(VALU_DEP_2)
	v_xor_b32_e32 v17, 0x80000000, v17
	v_xor_b32_e32 v19, 0x80000000, v19
.LBB178_70:                             ;   in Loop: Header=BB178_3 Depth=1
	s_or_b32 exec_lo, exec_lo, s37
	s_and_saveexec_b32 s37, s66
	s_cbranch_execz .LBB178_72
; %bb.71:                               ;   in Loop: Header=BB178_3 Depth=1
	ds_load_b128 v[20:23], v1 offset:3168
	s_wait_dscnt 0x0
	v_mul_f64_e32 v[2:3], v[18:19], v[22:23]
	v_mul_f64_e32 v[76:77], v[16:17], v[22:23]
	s_delay_alu instid0(VALU_DEP_2) | instskip(NEXT) | instid1(VALU_DEP_2)
	v_fma_f64 v[74:75], v[16:17], v[20:21], -v[2:3]
	v_fmac_f64_e32 v[76:77], v[18:19], v[20:21]
	s_delay_alu instid0(VALU_DEP_2) | instskip(NEXT) | instid1(VALU_DEP_2)
	v_mov_b64_e32 v[16:17], v[74:75]
	v_mov_b64_e32 v[18:19], v[76:77]
	ds_store_b128 v25, v[74:77]
.LBB178_72:                             ;   in Loop: Header=BB178_3 Depth=1
	s_or_b32 exec_lo, exec_lo, s37
	s_wait_dscnt 0x0
	s_barrier_signal -1
	s_barrier_wait -1
	s_and_saveexec_b32 s37, s67
	s_cbranch_execz .LBB178_74
; %bb.73:                               ;   in Loop: Header=BB178_3 Depth=1
	ds_load_b128 v[20:23], v25
	ds_load_b128 v[74:77], v1 offset:3184
	s_wait_dscnt 0x0
	v_mul_f64_e32 v[2:3], v[22:23], v[76:77]
	v_mul_f64_e32 v[76:77], v[20:21], v[76:77]
	s_delay_alu instid0(VALU_DEP_2) | instskip(NEXT) | instid1(VALU_DEP_2)
	v_fma_f64 v[2:3], v[20:21], v[74:75], -v[2:3]
	v_fmac_f64_e32 v[76:77], v[22:23], v[74:75]
	s_delay_alu instid0(VALU_DEP_2) | instskip(NEXT) | instid1(VALU_DEP_2)
	v_add_f64_e32 v[16:17], v[16:17], v[2:3]
	v_add_f64_e32 v[18:19], v[18:19], v[76:77]
.LBB178_74:                             ;   in Loop: Header=BB178_3 Depth=1
	s_or_b32 exec_lo, exec_lo, s37
	s_barrier_signal -1
	s_barrier_wait -1
	s_and_saveexec_b32 s37, s67
	s_cbranch_execz .LBB178_76
; %bb.75:                               ;   in Loop: Header=BB178_3 Depth=1
	ds_load_b128 v[20:23], v1 offset:3696
	s_wait_dscnt 0x0
	v_mul_f64_e32 v[2:3], v[18:19], v[22:23]
	v_mul_f64_e32 v[76:77], v[16:17], v[22:23]
	s_delay_alu instid0(VALU_DEP_2) | instskip(NEXT) | instid1(VALU_DEP_2)
	v_fma_f64 v[74:75], v[16:17], v[20:21], -v[2:3]
	v_fmac_f64_e32 v[76:77], v[18:19], v[20:21]
	s_delay_alu instid0(VALU_DEP_2) | instskip(NEXT) | instid1(VALU_DEP_2)
	v_mov_b64_e32 v[16:17], v[74:75]
	v_mov_b64_e32 v[18:19], v[76:77]
	ds_store_b128 v25, v[74:77]
.LBB178_76:                             ;   in Loop: Header=BB178_3 Depth=1
	s_or_b32 exec_lo, exec_lo, s37
	s_wait_dscnt 0x0
	s_barrier_signal -1
	s_barrier_wait -1
	s_barrier_signal -1
	s_barrier_wait -1
	s_and_saveexec_b32 s37, s2
; %bb.77:                               ;   in Loop: Header=BB178_3 Depth=1
	s_delay_alu instid0(VALU_DEP_2) | instskip(NEXT) | instid1(VALU_DEP_2)
	v_xor_b32_e32 v17, 0x80000000, v17
	v_xor_b32_e32 v19, 0x80000000, v19
	ds_store_b128 v48, v[16:19] offset:2144
; %bb.78:                               ;   in Loop: Header=BB178_3 Depth=1
	s_or_b32 exec_lo, exec_lo, s37
	s_wait_dscnt 0x0
	s_barrier_signal -1
	s_barrier_wait -1
	s_barrier_signal -1
	s_barrier_wait -1
	s_and_saveexec_b32 s37, s1
	s_cbranch_execz .LBB178_80
; %bb.79:                               ;   in Loop: Header=BB178_3 Depth=1
	ds_load_b128 v[16:19], v1 offset:3696
	ds_load_b128 v[20:23], v1 offset:3168
	;; [unrolled: 1-line block ×3, first 2 shown]
	s_wait_dscnt 0x1
	v_mul_f64_e32 v[2:3], v[16:17], v[22:23]
	v_mul_f64_e32 v[22:23], v[18:19], v[22:23]
	s_delay_alu instid0(VALU_DEP_2) | instskip(NEXT) | instid1(VALU_DEP_2)
	v_fmac_f64_e32 v[2:3], v[18:19], v[20:21]
	v_fma_f64 v[16:17], v[16:17], v[20:21], -v[22:23]
	s_wait_dscnt 0x0
	s_delay_alu instid0(VALU_DEP_2) | instskip(NEXT) | instid1(VALU_DEP_2)
	v_mul_f64_e32 v[20:21], v[2:3], v[76:77]
	v_mul_f64_e32 v[18:19], v[16:17], v[76:77]
	s_delay_alu instid0(VALU_DEP_2) | instskip(NEXT) | instid1(VALU_DEP_2)
	v_fma_f64 v[16:17], v[74:75], v[16:17], -v[20:21]
	v_fmac_f64_e32 v[18:19], v[74:75], v[2:3]
	ds_store_b128 v1, v[16:19] offset:3184
.LBB178_80:                             ;   in Loop: Header=BB178_3 Depth=1
	s_or_b32 exec_lo, exec_lo, s37
	v_mov_b64_e32 v[18:19], 0
	v_mov_b64_e32 v[16:17], 0
	s_wait_dscnt 0x0
	s_barrier_signal -1
	s_barrier_wait -1
	s_and_saveexec_b32 s37, s7
	s_cbranch_execz .LBB178_90
; %bb.81:                               ;   in Loop: Header=BB178_3 Depth=1
	ds_load_b128 v[16:19], v56
	ds_load_b128 v[20:23], v59 offset:128
	s_wait_dscnt 0x0
	v_mul_f64_e32 v[2:3], v[18:19], v[22:23]
	v_mul_f64_e32 v[22:23], v[16:17], v[22:23]
	s_delay_alu instid0(VALU_DEP_2) | instskip(NEXT) | instid1(VALU_DEP_2)
	v_fma_f64 v[2:3], v[16:17], v[20:21], -v[2:3]
	v_fmac_f64_e32 v[22:23], v[18:19], v[20:21]
	s_delay_alu instid0(VALU_DEP_2) | instskip(NEXT) | instid1(VALU_DEP_2)
	v_add_f64_e32 v[16:17], 0, v[2:3]
	v_add_f64_e32 v[18:19], 0, v[22:23]
	s_mov_b32 s58, exec_lo
	v_readlane_b32 s59, v78, 0
	s_and_b32 s59, s58, s59
	s_delay_alu instid0(SALU_CYCLE_1)
	s_mov_b32 exec_lo, s59
	s_cbranch_execnz .LBB178_522
; %bb.82:                               ;   in Loop: Header=BB178_3 Depth=1
	s_or_b32 exec_lo, exec_lo, s58
	s_and_saveexec_b32 s58, s15
	s_cbranch_execnz .LBB178_523
.LBB178_83:                             ;   in Loop: Header=BB178_3 Depth=1
	s_or_b32 exec_lo, exec_lo, s58
	s_and_saveexec_b32 s58, s16
	s_cbranch_execnz .LBB178_524
.LBB178_84:                             ;   in Loop: Header=BB178_3 Depth=1
	s_or_b32 exec_lo, exec_lo, s58
	s_and_saveexec_b32 s58, s17
	s_cbranch_execnz .LBB178_525
.LBB178_85:                             ;   in Loop: Header=BB178_3 Depth=1
	s_or_b32 exec_lo, exec_lo, s58
	s_and_saveexec_b32 s58, s18
	s_cbranch_execnz .LBB178_526
.LBB178_86:                             ;   in Loop: Header=BB178_3 Depth=1
	s_or_b32 exec_lo, exec_lo, s58
	s_and_saveexec_b32 s58, s4
	s_cbranch_execnz .LBB178_527
.LBB178_87:                             ;   in Loop: Header=BB178_3 Depth=1
	s_or_b32 exec_lo, exec_lo, s58
	s_and_saveexec_b32 s58, s6
	s_cbranch_execz .LBB178_89
.LBB178_88:                             ;   in Loop: Header=BB178_3 Depth=1
	ds_load_b128 v[20:23], v1 offset:112
	ds_load_b128 v[74:77], v50 offset:3712
	s_wait_dscnt 0x0
	v_mul_f64_e32 v[2:3], v[22:23], v[76:77]
	v_mul_f64_e32 v[76:77], v[20:21], v[76:77]
	s_delay_alu instid0(VALU_DEP_2) | instskip(NEXT) | instid1(VALU_DEP_2)
	v_fma_f64 v[2:3], v[20:21], v[74:75], -v[2:3]
	v_fmac_f64_e32 v[76:77], v[22:23], v[74:75]
	s_delay_alu instid0(VALU_DEP_2) | instskip(NEXT) | instid1(VALU_DEP_2)
	v_add_f64_e32 v[16:17], v[16:17], v[2:3]
	v_add_f64_e32 v[18:19], v[18:19], v[76:77]
.LBB178_89:                             ;   in Loop: Header=BB178_3 Depth=1
	s_or_b32 exec_lo, exec_lo, s58
	s_delay_alu instid0(VALU_DEP_2) | instskip(NEXT) | instid1(VALU_DEP_2)
	v_xor_b32_e32 v17, 0x80000000, v17
	v_xor_b32_e32 v19, 0x80000000, v19
.LBB178_90:                             ;   in Loop: Header=BB178_3 Depth=1
	s_or_b32 exec_lo, exec_lo, s37
	s_and_saveexec_b32 s37, s74
	s_cbranch_execz .LBB178_92
; %bb.91:                               ;   in Loop: Header=BB178_3 Depth=1
	ds_load_b128 v[20:23], v1 offset:4224
	s_wait_dscnt 0x0
	v_mul_f64_e32 v[2:3], v[18:19], v[22:23]
	v_mul_f64_e32 v[76:77], v[16:17], v[22:23]
	s_delay_alu instid0(VALU_DEP_2) | instskip(NEXT) | instid1(VALU_DEP_2)
	v_fma_f64 v[74:75], v[16:17], v[20:21], -v[2:3]
	v_fmac_f64_e32 v[76:77], v[18:19], v[20:21]
	s_delay_alu instid0(VALU_DEP_2) | instskip(NEXT) | instid1(VALU_DEP_2)
	v_mov_b64_e32 v[16:17], v[74:75]
	v_mov_b64_e32 v[18:19], v[76:77]
	ds_store_b128 v58, v[74:77]
.LBB178_92:                             ;   in Loop: Header=BB178_3 Depth=1
	s_or_b32 exec_lo, exec_lo, s37
	s_wait_dscnt 0x0
	s_barrier_signal -1
	s_barrier_wait -1
	s_and_saveexec_b32 s37, s75
	s_cbranch_execz .LBB178_94
; %bb.93:                               ;   in Loop: Header=BB178_3 Depth=1
	ds_load_b128 v[20:23], v58
	ds_load_b128 v[74:77], v57 offset:4224
	s_wait_dscnt 0x0
	v_mul_f64_e32 v[2:3], v[22:23], v[76:77]
	v_mul_f64_e32 v[76:77], v[20:21], v[76:77]
	s_delay_alu instid0(VALU_DEP_2) | instskip(NEXT) | instid1(VALU_DEP_2)
	v_fma_f64 v[2:3], v[20:21], v[74:75], -v[2:3]
	v_fmac_f64_e32 v[76:77], v[22:23], v[74:75]
	s_delay_alu instid0(VALU_DEP_2) | instskip(NEXT) | instid1(VALU_DEP_2)
	v_add_f64_e32 v[16:17], v[16:17], v[2:3]
	v_add_f64_e32 v[18:19], v[18:19], v[76:77]
.LBB178_94:                             ;   in Loop: Header=BB178_3 Depth=1
	s_or_b32 exec_lo, exec_lo, s37
	s_barrier_signal -1
	s_barrier_wait -1
	s_and_saveexec_b32 s37, s76
	s_cbranch_execz .LBB178_96
; %bb.95:                               ;   in Loop: Header=BB178_3 Depth=1
	ds_load_b128 v[20:23], v1 offset:4752
	s_wait_dscnt 0x0
	v_mul_f64_e32 v[2:3], v[18:19], v[22:23]
	v_mul_f64_e32 v[76:77], v[16:17], v[22:23]
	s_delay_alu instid0(VALU_DEP_2) | instskip(NEXT) | instid1(VALU_DEP_2)
	v_fma_f64 v[74:75], v[16:17], v[20:21], -v[2:3]
	v_fmac_f64_e32 v[76:77], v[18:19], v[20:21]
	s_delay_alu instid0(VALU_DEP_2) | instskip(NEXT) | instid1(VALU_DEP_2)
	v_mov_b64_e32 v[16:17], v[74:75]
	v_mov_b64_e32 v[18:19], v[76:77]
	ds_store_b128 v58, v[74:77]
.LBB178_96:                             ;   in Loop: Header=BB178_3 Depth=1
	s_or_b32 exec_lo, exec_lo, s37
	s_wait_dscnt 0x0
	s_barrier_signal -1
	s_barrier_wait -1
	s_and_saveexec_b32 s37, s77
	s_cbranch_execz .LBB178_98
; %bb.97:                               ;   in Loop: Header=BB178_3 Depth=1
	ds_load_b128 v[20:23], v58
	ds_load_b128 v[74:77], v57 offset:4736
	s_wait_dscnt 0x0
	v_mul_f64_e32 v[2:3], v[22:23], v[76:77]
	v_mul_f64_e32 v[76:77], v[20:21], v[76:77]
	s_delay_alu instid0(VALU_DEP_2) | instskip(NEXT) | instid1(VALU_DEP_2)
	v_fma_f64 v[2:3], v[20:21], v[74:75], -v[2:3]
	v_fmac_f64_e32 v[76:77], v[22:23], v[74:75]
	s_delay_alu instid0(VALU_DEP_2) | instskip(NEXT) | instid1(VALU_DEP_2)
	v_add_f64_e32 v[16:17], v[16:17], v[2:3]
	v_add_f64_e32 v[18:19], v[18:19], v[76:77]
.LBB178_98:                             ;   in Loop: Header=BB178_3 Depth=1
	s_or_b32 exec_lo, exec_lo, s37
	s_barrier_signal -1
	s_barrier_wait -1
	s_and_saveexec_b32 s37, s78
	s_cbranch_execz .LBB178_100
; %bb.99:                               ;   in Loop: Header=BB178_3 Depth=1
	ds_load_b128 v[20:23], v1 offset:5280
	s_wait_dscnt 0x0
	v_mul_f64_e32 v[2:3], v[18:19], v[22:23]
	v_mul_f64_e32 v[76:77], v[16:17], v[22:23]
	s_delay_alu instid0(VALU_DEP_2) | instskip(NEXT) | instid1(VALU_DEP_2)
	v_fma_f64 v[74:75], v[16:17], v[20:21], -v[2:3]
	v_fmac_f64_e32 v[76:77], v[18:19], v[20:21]
	s_delay_alu instid0(VALU_DEP_2) | instskip(NEXT) | instid1(VALU_DEP_2)
	v_mov_b64_e32 v[16:17], v[74:75]
	v_mov_b64_e32 v[18:19], v[76:77]
	ds_store_b128 v58, v[74:77]
.LBB178_100:                            ;   in Loop: Header=BB178_3 Depth=1
	s_or_b32 exec_lo, exec_lo, s37
	s_wait_dscnt 0x0
	s_barrier_signal -1
	s_barrier_wait -1
	s_and_saveexec_b32 s37, s79
	s_cbranch_execz .LBB178_102
; %bb.101:                              ;   in Loop: Header=BB178_3 Depth=1
	ds_load_b128 v[20:23], v58
	ds_load_b128 v[74:77], v57 offset:5248
	s_wait_dscnt 0x0
	v_mul_f64_e32 v[2:3], v[22:23], v[76:77]
	v_mul_f64_e32 v[76:77], v[20:21], v[76:77]
	s_delay_alu instid0(VALU_DEP_2) | instskip(NEXT) | instid1(VALU_DEP_2)
	v_fma_f64 v[2:3], v[20:21], v[74:75], -v[2:3]
	v_fmac_f64_e32 v[76:77], v[22:23], v[74:75]
	s_delay_alu instid0(VALU_DEP_2) | instskip(NEXT) | instid1(VALU_DEP_2)
	v_add_f64_e32 v[16:17], v[16:17], v[2:3]
	v_add_f64_e32 v[18:19], v[18:19], v[76:77]
.LBB178_102:                            ;   in Loop: Header=BB178_3 Depth=1
	s_or_b32 exec_lo, exec_lo, s37
	s_barrier_signal -1
	s_barrier_wait -1
	s_and_saveexec_b32 s37, s80
	s_cbranch_execz .LBB178_104
; %bb.103:                              ;   in Loop: Header=BB178_3 Depth=1
	ds_load_b128 v[20:23], v1 offset:5808
	s_wait_dscnt 0x0
	v_mul_f64_e32 v[2:3], v[18:19], v[22:23]
	v_mul_f64_e32 v[76:77], v[16:17], v[22:23]
	s_delay_alu instid0(VALU_DEP_2) | instskip(NEXT) | instid1(VALU_DEP_2)
	v_fma_f64 v[74:75], v[16:17], v[20:21], -v[2:3]
	v_fmac_f64_e32 v[76:77], v[18:19], v[20:21]
	s_delay_alu instid0(VALU_DEP_2) | instskip(NEXT) | instid1(VALU_DEP_2)
	v_mov_b64_e32 v[16:17], v[74:75]
	v_mov_b64_e32 v[18:19], v[76:77]
	ds_store_b128 v58, v[74:77]
.LBB178_104:                            ;   in Loop: Header=BB178_3 Depth=1
	s_or_b32 exec_lo, exec_lo, s37
	s_wait_dscnt 0x0
	s_barrier_signal -1
	s_barrier_wait -1
	s_and_saveexec_b32 s37, s81
	s_cbranch_execz .LBB178_106
; %bb.105:                              ;   in Loop: Header=BB178_3 Depth=1
	ds_load_b128 v[20:23], v58
	ds_load_b128 v[74:77], v57 offset:5760
	s_wait_dscnt 0x0
	v_mul_f64_e32 v[2:3], v[22:23], v[76:77]
	v_mul_f64_e32 v[76:77], v[20:21], v[76:77]
	s_delay_alu instid0(VALU_DEP_2) | instskip(NEXT) | instid1(VALU_DEP_2)
	v_fma_f64 v[2:3], v[20:21], v[74:75], -v[2:3]
	v_fmac_f64_e32 v[76:77], v[22:23], v[74:75]
	s_delay_alu instid0(VALU_DEP_2) | instskip(NEXT) | instid1(VALU_DEP_2)
	v_add_f64_e32 v[16:17], v[16:17], v[2:3]
	v_add_f64_e32 v[18:19], v[18:19], v[76:77]
.LBB178_106:                            ;   in Loop: Header=BB178_3 Depth=1
	s_or_b32 exec_lo, exec_lo, s37
	s_barrier_signal -1
	s_barrier_wait -1
	s_and_saveexec_b32 s37, s82
	s_cbranch_execz .LBB178_108
; %bb.107:                              ;   in Loop: Header=BB178_3 Depth=1
	ds_load_b128 v[20:23], v1 offset:6336
	s_wait_dscnt 0x0
	v_mul_f64_e32 v[2:3], v[18:19], v[22:23]
	v_mul_f64_e32 v[76:77], v[16:17], v[22:23]
	s_delay_alu instid0(VALU_DEP_2) | instskip(NEXT) | instid1(VALU_DEP_2)
	v_fma_f64 v[74:75], v[16:17], v[20:21], -v[2:3]
	v_fmac_f64_e32 v[76:77], v[18:19], v[20:21]
	s_delay_alu instid0(VALU_DEP_2) | instskip(NEXT) | instid1(VALU_DEP_2)
	v_mov_b64_e32 v[16:17], v[74:75]
	v_mov_b64_e32 v[18:19], v[76:77]
	ds_store_b128 v58, v[74:77]
.LBB178_108:                            ;   in Loop: Header=BB178_3 Depth=1
	;; [unrolled: 37-line block ×5, first 2 shown]
	s_or_b32 exec_lo, exec_lo, s37
	s_wait_dscnt 0x0
	s_barrier_signal -1
	s_barrier_wait -1
	s_barrier_signal -1
	s_barrier_wait -1
	s_and_saveexec_b32 s37, s7
; %bb.121:                              ;   in Loop: Header=BB178_3 Depth=1
	s_delay_alu instid0(VALU_DEP_2) | instskip(NEXT) | instid1(VALU_DEP_2)
	v_xor_b32_e32 v17, 0x80000000, v17
	v_xor_b32_e32 v19, 0x80000000, v19
	ds_store_b128 v59, v[16:19] offset:128
; %bb.122:                              ;   in Loop: Header=BB178_3 Depth=1
	s_or_b32 exec_lo, exec_lo, s37
	s_wait_dscnt 0x0
	s_barrier_signal -1
	s_barrier_wait -1
	s_barrier_signal -1
	s_barrier_wait -1
	s_and_saveexec_b32 s37, s1
	s_cbranch_execz .LBB178_124
; %bb.123:                              ;   in Loop: Header=BB178_3 Depth=1
	ds_load_b128 v[16:19], v1 offset:4752
	ds_load_b128 v[20:23], v1 offset:4224
	;; [unrolled: 1-line block ×3, first 2 shown]
	s_wait_dscnt 0x1
	v_mul_f64_e32 v[2:3], v[16:17], v[22:23]
	v_mul_f64_e32 v[22:23], v[18:19], v[22:23]
	s_delay_alu instid0(VALU_DEP_2) | instskip(NEXT) | instid1(VALU_DEP_2)
	v_fmac_f64_e32 v[2:3], v[18:19], v[20:21]
	v_fma_f64 v[16:17], v[16:17], v[20:21], -v[22:23]
	s_wait_dscnt 0x0
	s_delay_alu instid0(VALU_DEP_2) | instskip(NEXT) | instid1(VALU_DEP_2)
	v_mul_f64_e32 v[20:21], v[2:3], v[76:77]
	v_mul_f64_e32 v[18:19], v[16:17], v[76:77]
	s_delay_alu instid0(VALU_DEP_2) | instskip(NEXT) | instid1(VALU_DEP_2)
	v_fma_f64 v[16:17], v[74:75], v[16:17], -v[20:21]
	v_fmac_f64_e32 v[18:19], v[74:75], v[2:3]
	ds_store_b128 v1, v[16:19] offset:4240
.LBB178_124:                            ;   in Loop: Header=BB178_3 Depth=1
	s_or_b32 exec_lo, exec_lo, s37
	v_mov_b64_e32 v[18:19], 0
	v_mov_b64_e32 v[16:17], 0
	s_wait_dscnt 0x0
	s_barrier_signal -1
	s_barrier_wait -1
	s_and_saveexec_b32 s37, s2
	s_cbranch_execz .LBB178_128
; %bb.125:                              ;   in Loop: Header=BB178_3 Depth=1
	ds_load_b128 v[16:19], v49 offset:4224
	ds_load_b128 v[20:23], v48 offset:4256
	s_wait_dscnt 0x0
	v_mul_f64_e32 v[2:3], v[18:19], v[22:23]
	v_mul_f64_e32 v[22:23], v[16:17], v[22:23]
	s_delay_alu instid0(VALU_DEP_2) | instskip(NEXT) | instid1(VALU_DEP_2)
	v_fma_f64 v[2:3], v[16:17], v[20:21], -v[2:3]
	v_fmac_f64_e32 v[22:23], v[18:19], v[20:21]
	s_delay_alu instid0(VALU_DEP_2) | instskip(NEXT) | instid1(VALU_DEP_2)
	v_add_f64_e32 v[16:17], 0, v[2:3]
	v_add_f64_e32 v[18:19], 0, v[22:23]
	s_and_saveexec_b32 s58, s3
	s_cbranch_execz .LBB178_127
; %bb.126:                              ;   in Loop: Header=BB178_3 Depth=1
	ds_load_b128 v[20:23], v1 offset:4240
	ds_load_b128 v[74:77], v50 offset:4768
	s_wait_dscnt 0x0
	v_mul_f64_e32 v[2:3], v[22:23], v[76:77]
	v_mul_f64_e32 v[76:77], v[20:21], v[76:77]
	s_delay_alu instid0(VALU_DEP_2) | instskip(NEXT) | instid1(VALU_DEP_2)
	v_fma_f64 v[2:3], v[20:21], v[74:75], -v[2:3]
	v_fmac_f64_e32 v[76:77], v[22:23], v[74:75]
	s_delay_alu instid0(VALU_DEP_2) | instskip(NEXT) | instid1(VALU_DEP_2)
	v_add_f64_e32 v[16:17], v[16:17], v[2:3]
	v_add_f64_e32 v[18:19], v[18:19], v[76:77]
.LBB178_127:                            ;   in Loop: Header=BB178_3 Depth=1
	s_or_b32 exec_lo, exec_lo, s58
	s_delay_alu instid0(VALU_DEP_2) | instskip(NEXT) | instid1(VALU_DEP_2)
	v_xor_b32_e32 v17, 0x80000000, v17
	v_xor_b32_e32 v19, 0x80000000, v19
.LBB178_128:                            ;   in Loop: Header=BB178_3 Depth=1
	s_or_b32 exec_lo, exec_lo, s37
	s_and_saveexec_b32 s37, s66
	s_cbranch_execz .LBB178_130
; %bb.129:                              ;   in Loop: Header=BB178_3 Depth=1
	ds_load_b128 v[20:23], v1 offset:5280
	s_wait_dscnt 0x0
	v_mul_f64_e32 v[2:3], v[18:19], v[22:23]
	v_mul_f64_e32 v[76:77], v[16:17], v[22:23]
	s_delay_alu instid0(VALU_DEP_2) | instskip(NEXT) | instid1(VALU_DEP_2)
	v_fma_f64 v[74:75], v[16:17], v[20:21], -v[2:3]
	v_fmac_f64_e32 v[76:77], v[18:19], v[20:21]
	s_delay_alu instid0(VALU_DEP_2) | instskip(NEXT) | instid1(VALU_DEP_2)
	v_mov_b64_e32 v[16:17], v[74:75]
	v_mov_b64_e32 v[18:19], v[76:77]
	ds_store_b128 v25, v[74:77]
.LBB178_130:                            ;   in Loop: Header=BB178_3 Depth=1
	s_or_b32 exec_lo, exec_lo, s37
	s_wait_dscnt 0x0
	s_barrier_signal -1
	s_barrier_wait -1
	s_and_saveexec_b32 s37, s67
	s_cbranch_execz .LBB178_132
; %bb.131:                              ;   in Loop: Header=BB178_3 Depth=1
	ds_load_b128 v[20:23], v25
	ds_load_b128 v[74:77], v1 offset:5296
	s_wait_dscnt 0x0
	v_mul_f64_e32 v[2:3], v[22:23], v[76:77]
	v_mul_f64_e32 v[76:77], v[20:21], v[76:77]
	s_delay_alu instid0(VALU_DEP_2) | instskip(NEXT) | instid1(VALU_DEP_2)
	v_fma_f64 v[2:3], v[20:21], v[74:75], -v[2:3]
	v_fmac_f64_e32 v[76:77], v[22:23], v[74:75]
	s_delay_alu instid0(VALU_DEP_2) | instskip(NEXT) | instid1(VALU_DEP_2)
	v_add_f64_e32 v[16:17], v[16:17], v[2:3]
	v_add_f64_e32 v[18:19], v[18:19], v[76:77]
.LBB178_132:                            ;   in Loop: Header=BB178_3 Depth=1
	s_or_b32 exec_lo, exec_lo, s37
	s_barrier_signal -1
	s_barrier_wait -1
	s_and_saveexec_b32 s37, s67
	s_cbranch_execz .LBB178_134
; %bb.133:                              ;   in Loop: Header=BB178_3 Depth=1
	ds_load_b128 v[20:23], v1 offset:5808
	s_wait_dscnt 0x0
	v_mul_f64_e32 v[2:3], v[18:19], v[22:23]
	v_mul_f64_e32 v[76:77], v[16:17], v[22:23]
	s_delay_alu instid0(VALU_DEP_2) | instskip(NEXT) | instid1(VALU_DEP_2)
	v_fma_f64 v[74:75], v[16:17], v[20:21], -v[2:3]
	v_fmac_f64_e32 v[76:77], v[18:19], v[20:21]
	s_delay_alu instid0(VALU_DEP_2) | instskip(NEXT) | instid1(VALU_DEP_2)
	v_mov_b64_e32 v[16:17], v[74:75]
	v_mov_b64_e32 v[18:19], v[76:77]
	ds_store_b128 v25, v[74:77]
.LBB178_134:                            ;   in Loop: Header=BB178_3 Depth=1
	s_or_b32 exec_lo, exec_lo, s37
	s_wait_dscnt 0x0
	s_barrier_signal -1
	s_barrier_wait -1
	s_barrier_signal -1
	s_barrier_wait -1
	s_and_saveexec_b32 s37, s2
; %bb.135:                              ;   in Loop: Header=BB178_3 Depth=1
	s_delay_alu instid0(VALU_DEP_2) | instskip(NEXT) | instid1(VALU_DEP_2)
	v_xor_b32_e32 v17, 0x80000000, v17
	v_xor_b32_e32 v19, 0x80000000, v19
	ds_store_b128 v48, v[16:19] offset:4256
; %bb.136:                              ;   in Loop: Header=BB178_3 Depth=1
	s_or_b32 exec_lo, exec_lo, s37
	s_wait_dscnt 0x0
	s_barrier_signal -1
	s_barrier_wait -1
	s_barrier_signal -1
	s_barrier_wait -1
	s_and_saveexec_b32 s37, s1
	s_cbranch_execz .LBB178_138
; %bb.137:                              ;   in Loop: Header=BB178_3 Depth=1
	ds_load_b128 v[16:19], v1 offset:5808
	ds_load_b128 v[20:23], v1 offset:5280
	;; [unrolled: 1-line block ×3, first 2 shown]
	s_wait_dscnt 0x1
	v_mul_f64_e32 v[2:3], v[16:17], v[22:23]
	v_mul_f64_e32 v[22:23], v[18:19], v[22:23]
	s_delay_alu instid0(VALU_DEP_2) | instskip(NEXT) | instid1(VALU_DEP_2)
	v_fmac_f64_e32 v[2:3], v[18:19], v[20:21]
	v_fma_f64 v[16:17], v[16:17], v[20:21], -v[22:23]
	s_wait_dscnt 0x0
	s_delay_alu instid0(VALU_DEP_2) | instskip(NEXT) | instid1(VALU_DEP_2)
	v_mul_f64_e32 v[20:21], v[2:3], v[76:77]
	v_mul_f64_e32 v[18:19], v[16:17], v[76:77]
	s_delay_alu instid0(VALU_DEP_2) | instskip(NEXT) | instid1(VALU_DEP_2)
	v_fma_f64 v[16:17], v[74:75], v[16:17], -v[20:21]
	v_fmac_f64_e32 v[18:19], v[74:75], v[2:3]
	ds_store_b128 v1, v[16:19] offset:5296
.LBB178_138:                            ;   in Loop: Header=BB178_3 Depth=1
	s_or_b32 exec_lo, exec_lo, s37
	v_mov_b64_e32 v[18:19], 0
	v_mov_b64_e32 v[16:17], 0
	s_wait_dscnt 0x0
	s_barrier_signal -1
	s_barrier_wait -1
	s_and_saveexec_b32 s37, s4
	s_cbranch_execz .LBB178_144
; %bb.139:                              ;   in Loop: Header=BB178_3 Depth=1
	ds_load_b128 v[16:19], v52 offset:4224
	ds_load_b128 v[20:23], v54 offset:4288
	s_wait_dscnt 0x0
	v_mul_f64_e32 v[2:3], v[18:19], v[22:23]
	v_mul_f64_e32 v[22:23], v[16:17], v[22:23]
	s_delay_alu instid0(VALU_DEP_2) | instskip(NEXT) | instid1(VALU_DEP_2)
	v_fma_f64 v[2:3], v[16:17], v[20:21], -v[2:3]
	v_fmac_f64_e32 v[22:23], v[18:19], v[20:21]
	s_delay_alu instid0(VALU_DEP_2) | instskip(NEXT) | instid1(VALU_DEP_2)
	v_add_f64_e32 v[16:17], 0, v[2:3]
	v_add_f64_e32 v[18:19], 0, v[22:23]
	s_and_saveexec_b32 s58, s5
	s_cbranch_execnz .LBB178_528
; %bb.140:                              ;   in Loop: Header=BB178_3 Depth=1
	s_or_b32 exec_lo, exec_lo, s58
	s_and_saveexec_b32 s58, s6
	s_cbranch_execnz .LBB178_529
.LBB178_141:                            ;   in Loop: Header=BB178_3 Depth=1
	s_or_b32 exec_lo, exec_lo, s58
	s_and_saveexec_b32 s58, s2
	s_cbranch_execz .LBB178_143
.LBB178_142:                            ;   in Loop: Header=BB178_3 Depth=1
	ds_load_b128 v[20:23], v1 offset:4272
	ds_load_b128 v[74:77], v50 offset:5824
	s_wait_dscnt 0x0
	v_mul_f64_e32 v[2:3], v[22:23], v[76:77]
	v_mul_f64_e32 v[76:77], v[20:21], v[76:77]
	s_delay_alu instid0(VALU_DEP_2) | instskip(NEXT) | instid1(VALU_DEP_2)
	v_fma_f64 v[2:3], v[20:21], v[74:75], -v[2:3]
	v_fmac_f64_e32 v[76:77], v[22:23], v[74:75]
	s_delay_alu instid0(VALU_DEP_2) | instskip(NEXT) | instid1(VALU_DEP_2)
	v_add_f64_e32 v[16:17], v[16:17], v[2:3]
	v_add_f64_e32 v[18:19], v[18:19], v[76:77]
.LBB178_143:                            ;   in Loop: Header=BB178_3 Depth=1
	s_or_b32 exec_lo, exec_lo, s58
	s_delay_alu instid0(VALU_DEP_2) | instskip(NEXT) | instid1(VALU_DEP_2)
	v_xor_b32_e32 v17, 0x80000000, v17
	v_xor_b32_e32 v19, 0x80000000, v19
.LBB178_144:                            ;   in Loop: Header=BB178_3 Depth=1
	s_or_b32 exec_lo, exec_lo, s37
	s_and_saveexec_b32 s37, s68
	s_cbranch_execz .LBB178_146
; %bb.145:                              ;   in Loop: Header=BB178_3 Depth=1
	ds_load_b128 v[20:23], v1 offset:6336
	s_wait_dscnt 0x0
	v_mul_f64_e32 v[2:3], v[18:19], v[22:23]
	v_mul_f64_e32 v[76:77], v[16:17], v[22:23]
	s_delay_alu instid0(VALU_DEP_2) | instskip(NEXT) | instid1(VALU_DEP_2)
	v_fma_f64 v[74:75], v[16:17], v[20:21], -v[2:3]
	v_fmac_f64_e32 v[76:77], v[18:19], v[20:21]
	s_delay_alu instid0(VALU_DEP_2) | instskip(NEXT) | instid1(VALU_DEP_2)
	v_mov_b64_e32 v[16:17], v[74:75]
	v_mov_b64_e32 v[18:19], v[76:77]
	ds_store_b128 v53, v[74:77]
.LBB178_146:                            ;   in Loop: Header=BB178_3 Depth=1
	s_or_b32 exec_lo, exec_lo, s37
	s_wait_dscnt 0x0
	s_barrier_signal -1
	s_barrier_wait -1
	s_and_saveexec_b32 s37, s69
	s_cbranch_execz .LBB178_148
; %bb.147:                              ;   in Loop: Header=BB178_3 Depth=1
	ds_load_b128 v[20:23], v53
	ds_load_b128 v[74:77], v51 offset:6336
	s_wait_dscnt 0x0
	v_mul_f64_e32 v[2:3], v[22:23], v[76:77]
	v_mul_f64_e32 v[76:77], v[20:21], v[76:77]
	s_delay_alu instid0(VALU_DEP_2) | instskip(NEXT) | instid1(VALU_DEP_2)
	v_fma_f64 v[2:3], v[20:21], v[74:75], -v[2:3]
	v_fmac_f64_e32 v[76:77], v[22:23], v[74:75]
	s_delay_alu instid0(VALU_DEP_2) | instskip(NEXT) | instid1(VALU_DEP_2)
	v_add_f64_e32 v[16:17], v[16:17], v[2:3]
	v_add_f64_e32 v[18:19], v[18:19], v[76:77]
.LBB178_148:                            ;   in Loop: Header=BB178_3 Depth=1
	s_or_b32 exec_lo, exec_lo, s37
	s_barrier_signal -1
	s_barrier_wait -1
	s_and_saveexec_b32 s37, s70
	s_cbranch_execz .LBB178_150
; %bb.149:                              ;   in Loop: Header=BB178_3 Depth=1
	ds_load_b128 v[20:23], v1 offset:6864
	s_wait_dscnt 0x0
	v_mul_f64_e32 v[2:3], v[18:19], v[22:23]
	v_mul_f64_e32 v[76:77], v[16:17], v[22:23]
	s_delay_alu instid0(VALU_DEP_2) | instskip(NEXT) | instid1(VALU_DEP_2)
	v_fma_f64 v[74:75], v[16:17], v[20:21], -v[2:3]
	v_fmac_f64_e32 v[76:77], v[18:19], v[20:21]
	s_delay_alu instid0(VALU_DEP_2) | instskip(NEXT) | instid1(VALU_DEP_2)
	v_mov_b64_e32 v[16:17], v[74:75]
	v_mov_b64_e32 v[18:19], v[76:77]
	ds_store_b128 v53, v[74:77]
.LBB178_150:                            ;   in Loop: Header=BB178_3 Depth=1
	s_or_b32 exec_lo, exec_lo, s37
	s_wait_dscnt 0x0
	s_barrier_signal -1
	s_barrier_wait -1
	s_and_saveexec_b32 s37, s71
	s_cbranch_execz .LBB178_152
; %bb.151:                              ;   in Loop: Header=BB178_3 Depth=1
	ds_load_b128 v[20:23], v53
	ds_load_b128 v[74:77], v51 offset:6848
	s_wait_dscnt 0x0
	v_mul_f64_e32 v[2:3], v[22:23], v[76:77]
	v_mul_f64_e32 v[76:77], v[20:21], v[76:77]
	s_delay_alu instid0(VALU_DEP_2) | instskip(NEXT) | instid1(VALU_DEP_2)
	v_fma_f64 v[2:3], v[20:21], v[74:75], -v[2:3]
	v_fmac_f64_e32 v[76:77], v[22:23], v[74:75]
	s_delay_alu instid0(VALU_DEP_2) | instskip(NEXT) | instid1(VALU_DEP_2)
	v_add_f64_e32 v[16:17], v[16:17], v[2:3]
	v_add_f64_e32 v[18:19], v[18:19], v[76:77]
.LBB178_152:                            ;   in Loop: Header=BB178_3 Depth=1
	s_or_b32 exec_lo, exec_lo, s37
	s_barrier_signal -1
	s_barrier_wait -1
	s_and_saveexec_b32 s37, s72
	s_cbranch_execz .LBB178_154
; %bb.153:                              ;   in Loop: Header=BB178_3 Depth=1
	ds_load_b128 v[20:23], v1 offset:7392
	s_wait_dscnt 0x0
	v_mul_f64_e32 v[2:3], v[18:19], v[22:23]
	v_mul_f64_e32 v[76:77], v[16:17], v[22:23]
	s_delay_alu instid0(VALU_DEP_2) | instskip(NEXT) | instid1(VALU_DEP_2)
	v_fma_f64 v[74:75], v[16:17], v[20:21], -v[2:3]
	v_fmac_f64_e32 v[76:77], v[18:19], v[20:21]
	s_delay_alu instid0(VALU_DEP_2) | instskip(NEXT) | instid1(VALU_DEP_2)
	v_mov_b64_e32 v[16:17], v[74:75]
	v_mov_b64_e32 v[18:19], v[76:77]
	ds_store_b128 v53, v[74:77]
.LBB178_154:                            ;   in Loop: Header=BB178_3 Depth=1
	s_or_b32 exec_lo, exec_lo, s37
	s_wait_dscnt 0x0
	s_barrier_signal -1
	s_barrier_wait -1
	s_and_saveexec_b32 s37, s73
	s_cbranch_execz .LBB178_156
; %bb.155:                              ;   in Loop: Header=BB178_3 Depth=1
	ds_load_b128 v[20:23], v53
	ds_load_b128 v[74:77], v1 offset:7408
	s_wait_dscnt 0x0
	v_mul_f64_e32 v[2:3], v[22:23], v[76:77]
	v_mul_f64_e32 v[76:77], v[20:21], v[76:77]
	s_delay_alu instid0(VALU_DEP_2) | instskip(NEXT) | instid1(VALU_DEP_2)
	v_fma_f64 v[2:3], v[20:21], v[74:75], -v[2:3]
	v_fmac_f64_e32 v[76:77], v[22:23], v[74:75]
	s_delay_alu instid0(VALU_DEP_2) | instskip(NEXT) | instid1(VALU_DEP_2)
	v_add_f64_e32 v[16:17], v[16:17], v[2:3]
	v_add_f64_e32 v[18:19], v[18:19], v[76:77]
.LBB178_156:                            ;   in Loop: Header=BB178_3 Depth=1
	s_or_b32 exec_lo, exec_lo, s37
	s_barrier_signal -1
	s_barrier_wait -1
	s_and_saveexec_b32 s37, s73
	s_cbranch_execz .LBB178_158
; %bb.157:                              ;   in Loop: Header=BB178_3 Depth=1
	ds_load_b128 v[20:23], v1 offset:7920
	s_wait_dscnt 0x0
	v_mul_f64_e32 v[2:3], v[18:19], v[22:23]
	v_mul_f64_e32 v[76:77], v[16:17], v[22:23]
	s_delay_alu instid0(VALU_DEP_2) | instskip(NEXT) | instid1(VALU_DEP_2)
	v_fma_f64 v[74:75], v[16:17], v[20:21], -v[2:3]
	v_fmac_f64_e32 v[76:77], v[18:19], v[20:21]
	s_delay_alu instid0(VALU_DEP_2) | instskip(NEXT) | instid1(VALU_DEP_2)
	v_mov_b64_e32 v[16:17], v[74:75]
	v_mov_b64_e32 v[18:19], v[76:77]
	ds_store_b128 v53, v[74:77]
.LBB178_158:                            ;   in Loop: Header=BB178_3 Depth=1
	s_or_b32 exec_lo, exec_lo, s37
	s_wait_dscnt 0x0
	s_barrier_signal -1
	s_barrier_wait -1
	s_barrier_signal -1
	s_barrier_wait -1
	s_and_saveexec_b32 s37, s4
; %bb.159:                              ;   in Loop: Header=BB178_3 Depth=1
	s_delay_alu instid0(VALU_DEP_1) | instskip(NEXT) | instid1(VALU_DEP_3)
	v_xor_b32_e32 v19, 0x80000000, v19
	v_xor_b32_e32 v17, 0x80000000, v17
	ds_store_b128 v54, v[16:19] offset:4288
; %bb.160:                              ;   in Loop: Header=BB178_3 Depth=1
	s_or_b32 exec_lo, exec_lo, s37
	s_wait_dscnt 0x0
	s_barrier_signal -1
	s_barrier_wait -1
	s_barrier_signal -1
	s_barrier_wait -1
	s_and_saveexec_b32 s37, s1
	s_cbranch_execz .LBB178_162
; %bb.161:                              ;   in Loop: Header=BB178_3 Depth=1
	ds_load_b128 v[16:19], v1 offset:6864
	ds_load_b128 v[20:23], v1 offset:6336
	ds_load_b128 v[74:77], v1 offset:6352
	s_wait_dscnt 0x1
	v_mul_f64_e32 v[2:3], v[16:17], v[22:23]
	v_mul_f64_e32 v[22:23], v[18:19], v[22:23]
	s_delay_alu instid0(VALU_DEP_2) | instskip(NEXT) | instid1(VALU_DEP_2)
	v_fmac_f64_e32 v[2:3], v[18:19], v[20:21]
	v_fma_f64 v[16:17], v[16:17], v[20:21], -v[22:23]
	s_wait_dscnt 0x0
	s_delay_alu instid0(VALU_DEP_2) | instskip(NEXT) | instid1(VALU_DEP_2)
	v_mul_f64_e32 v[20:21], v[2:3], v[76:77]
	v_mul_f64_e32 v[18:19], v[16:17], v[76:77]
	s_delay_alu instid0(VALU_DEP_2) | instskip(NEXT) | instid1(VALU_DEP_2)
	v_fma_f64 v[16:17], v[74:75], v[16:17], -v[20:21]
	v_fmac_f64_e32 v[18:19], v[74:75], v[2:3]
	ds_store_b128 v1, v[16:19] offset:6352
.LBB178_162:                            ;   in Loop: Header=BB178_3 Depth=1
	s_or_b32 exec_lo, exec_lo, s37
	v_mov_b64_e32 v[18:19], 0
	v_mov_b64_e32 v[16:17], 0
	s_wait_dscnt 0x0
	s_barrier_signal -1
	s_barrier_wait -1
	s_and_saveexec_b32 s37, s2
	s_cbranch_execz .LBB178_166
; %bb.163:                              ;   in Loop: Header=BB178_3 Depth=1
	ds_load_b128 v[16:19], v49 offset:6336
	ds_load_b128 v[20:23], v48 offset:6368
	s_wait_dscnt 0x0
	v_mul_f64_e32 v[2:3], v[18:19], v[22:23]
	v_mul_f64_e32 v[22:23], v[16:17], v[22:23]
	s_delay_alu instid0(VALU_DEP_2) | instskip(NEXT) | instid1(VALU_DEP_2)
	v_fma_f64 v[2:3], v[16:17], v[20:21], -v[2:3]
	v_fmac_f64_e32 v[22:23], v[18:19], v[20:21]
	s_delay_alu instid0(VALU_DEP_2) | instskip(NEXT) | instid1(VALU_DEP_2)
	v_add_f64_e32 v[16:17], 0, v[2:3]
	v_add_f64_e32 v[18:19], 0, v[22:23]
	s_and_saveexec_b32 s58, s3
	s_cbranch_execz .LBB178_165
; %bb.164:                              ;   in Loop: Header=BB178_3 Depth=1
	ds_load_b128 v[20:23], v1 offset:6352
	ds_load_b128 v[74:77], v50 offset:6880
	s_wait_dscnt 0x0
	v_mul_f64_e32 v[2:3], v[22:23], v[76:77]
	v_mul_f64_e32 v[76:77], v[20:21], v[76:77]
	s_delay_alu instid0(VALU_DEP_2) | instskip(NEXT) | instid1(VALU_DEP_2)
	v_fma_f64 v[2:3], v[20:21], v[74:75], -v[2:3]
	v_fmac_f64_e32 v[76:77], v[22:23], v[74:75]
	s_delay_alu instid0(VALU_DEP_2) | instskip(NEXT) | instid1(VALU_DEP_2)
	v_add_f64_e32 v[16:17], v[16:17], v[2:3]
	v_add_f64_e32 v[18:19], v[18:19], v[76:77]
.LBB178_165:                            ;   in Loop: Header=BB178_3 Depth=1
	s_or_b32 exec_lo, exec_lo, s58
	s_delay_alu instid0(VALU_DEP_2) | instskip(NEXT) | instid1(VALU_DEP_2)
	v_xor_b32_e32 v17, 0x80000000, v17
	v_xor_b32_e32 v19, 0x80000000, v19
.LBB178_166:                            ;   in Loop: Header=BB178_3 Depth=1
	s_or_b32 exec_lo, exec_lo, s37
	s_and_saveexec_b32 s37, s66
	s_cbranch_execz .LBB178_168
; %bb.167:                              ;   in Loop: Header=BB178_3 Depth=1
	ds_load_b128 v[20:23], v1 offset:7392
	s_wait_dscnt 0x0
	v_mul_f64_e32 v[2:3], v[18:19], v[22:23]
	v_mul_f64_e32 v[76:77], v[16:17], v[22:23]
	s_delay_alu instid0(VALU_DEP_2) | instskip(NEXT) | instid1(VALU_DEP_2)
	v_fma_f64 v[74:75], v[16:17], v[20:21], -v[2:3]
	v_fmac_f64_e32 v[76:77], v[18:19], v[20:21]
	s_delay_alu instid0(VALU_DEP_2) | instskip(NEXT) | instid1(VALU_DEP_2)
	v_mov_b64_e32 v[16:17], v[74:75]
	v_mov_b64_e32 v[18:19], v[76:77]
	ds_store_b128 v25, v[74:77]
.LBB178_168:                            ;   in Loop: Header=BB178_3 Depth=1
	s_or_b32 exec_lo, exec_lo, s37
	s_wait_dscnt 0x0
	s_barrier_signal -1
	s_barrier_wait -1
	s_and_saveexec_b32 s37, s67
	s_cbranch_execz .LBB178_170
; %bb.169:                              ;   in Loop: Header=BB178_3 Depth=1
	ds_load_b128 v[20:23], v25
	ds_load_b128 v[74:77], v1 offset:7408
	s_wait_dscnt 0x0
	v_mul_f64_e32 v[2:3], v[22:23], v[76:77]
	v_mul_f64_e32 v[76:77], v[20:21], v[76:77]
	s_delay_alu instid0(VALU_DEP_2) | instskip(NEXT) | instid1(VALU_DEP_2)
	v_fma_f64 v[2:3], v[20:21], v[74:75], -v[2:3]
	v_fmac_f64_e32 v[76:77], v[22:23], v[74:75]
	s_delay_alu instid0(VALU_DEP_2) | instskip(NEXT) | instid1(VALU_DEP_2)
	v_add_f64_e32 v[16:17], v[16:17], v[2:3]
	v_add_f64_e32 v[18:19], v[18:19], v[76:77]
.LBB178_170:                            ;   in Loop: Header=BB178_3 Depth=1
	s_or_b32 exec_lo, exec_lo, s37
	s_barrier_signal -1
	s_barrier_wait -1
	s_and_saveexec_b32 s37, s67
	s_cbranch_execz .LBB178_172
; %bb.171:                              ;   in Loop: Header=BB178_3 Depth=1
	ds_load_b128 v[20:23], v1 offset:7920
	s_wait_dscnt 0x0
	v_mul_f64_e32 v[2:3], v[18:19], v[22:23]
	v_mul_f64_e32 v[76:77], v[16:17], v[22:23]
	s_delay_alu instid0(VALU_DEP_2) | instskip(NEXT) | instid1(VALU_DEP_2)
	v_fma_f64 v[74:75], v[16:17], v[20:21], -v[2:3]
	v_fmac_f64_e32 v[76:77], v[18:19], v[20:21]
	s_delay_alu instid0(VALU_DEP_2) | instskip(NEXT) | instid1(VALU_DEP_2)
	v_mov_b64_e32 v[16:17], v[74:75]
	v_mov_b64_e32 v[18:19], v[76:77]
	ds_store_b128 v25, v[74:77]
.LBB178_172:                            ;   in Loop: Header=BB178_3 Depth=1
	s_or_b32 exec_lo, exec_lo, s37
	s_wait_dscnt 0x0
	s_barrier_signal -1
	s_barrier_wait -1
	s_barrier_signal -1
	s_barrier_wait -1
	s_and_saveexec_b32 s37, s2
; %bb.173:                              ;   in Loop: Header=BB178_3 Depth=1
	s_delay_alu instid0(VALU_DEP_2) | instskip(NEXT) | instid1(VALU_DEP_2)
	v_xor_b32_e32 v17, 0x80000000, v17
	v_xor_b32_e32 v19, 0x80000000, v19
	ds_store_b128 v48, v[16:19] offset:6368
; %bb.174:                              ;   in Loop: Header=BB178_3 Depth=1
	s_or_b32 exec_lo, exec_lo, s37
	s_wait_dscnt 0x0
	s_barrier_signal -1
	s_barrier_wait -1
	s_barrier_signal -1
	s_barrier_wait -1
	s_and_saveexec_b32 s37, s1
	s_cbranch_execz .LBB178_176
; %bb.175:                              ;   in Loop: Header=BB178_3 Depth=1
	ds_load_b128 v[16:19], v1 offset:7920
	ds_load_b128 v[20:23], v1 offset:7392
	;; [unrolled: 1-line block ×3, first 2 shown]
	s_wait_dscnt 0x1
	v_mul_f64_e32 v[2:3], v[16:17], v[22:23]
	v_mul_f64_e32 v[22:23], v[18:19], v[22:23]
	s_delay_alu instid0(VALU_DEP_2) | instskip(NEXT) | instid1(VALU_DEP_2)
	v_fmac_f64_e32 v[2:3], v[18:19], v[20:21]
	v_fma_f64 v[16:17], v[16:17], v[20:21], -v[22:23]
	s_wait_dscnt 0x0
	s_delay_alu instid0(VALU_DEP_2) | instskip(NEXT) | instid1(VALU_DEP_2)
	v_mul_f64_e32 v[20:21], v[2:3], v[76:77]
	v_mul_f64_e32 v[18:19], v[16:17], v[76:77]
	s_delay_alu instid0(VALU_DEP_2) | instskip(NEXT) | instid1(VALU_DEP_2)
	v_fma_f64 v[16:17], v[74:75], v[16:17], -v[20:21]
	v_fmac_f64_e32 v[18:19], v[74:75], v[2:3]
	ds_store_b128 v1, v[16:19] offset:7408
.LBB178_176:                            ;   in Loop: Header=BB178_3 Depth=1
	s_or_b32 exec_lo, exec_lo, s37
	v_mov_b64_e32 v[18:19], 0
	v_mov_b64_e32 v[16:17], 0
	s_wait_dscnt 0x0
	s_barrier_signal -1
	s_barrier_wait -1
	s_and_saveexec_b32 s37, s9
	s_cbranch_execz .LBB178_204
; %bb.177:                              ;   in Loop: Header=BB178_3 Depth=1
	v_add_nc_u32_e32 v0, v62, v61
	ds_load_b128 v[16:19], v65 offset:256
	ds_load_b128 v[20:23], v0
	s_wait_dscnt 0x0
	v_mul_f64_e32 v[2:3], v[22:23], v[18:19]
	v_mul_f64_e32 v[18:19], v[20:21], v[18:19]
	s_delay_alu instid0(VALU_DEP_2) | instskip(NEXT) | instid1(VALU_DEP_2)
	v_fma_f64 v[2:3], v[20:21], v[16:17], -v[2:3]
	v_fmac_f64_e32 v[18:19], v[22:23], v[16:17]
	s_delay_alu instid0(VALU_DEP_2) | instskip(NEXT) | instid1(VALU_DEP_2)
	v_add_f64_e32 v[16:17], 0, v[2:3]
	v_add_f64_e32 v[18:19], 0, v[18:19]
	s_mov_b32 s58, exec_lo
	v_readlane_b32 s59, v78, 13
	s_and_b32 s59, s58, s59
	s_delay_alu instid0(SALU_CYCLE_1)
	s_mov_b32 exec_lo, s59
	s_cbranch_execz .LBB178_179
; %bb.178:                              ;   in Loop: Header=BB178_3 Depth=1
	ds_load_b128 v[20:23], v0 offset:16
	ds_load_b128 v[74:77], v65 offset:768
	s_wait_dscnt 0x0
	v_mul_f64_e32 v[2:3], v[22:23], v[76:77]
	v_mul_f64_e32 v[76:77], v[20:21], v[76:77]
	s_delay_alu instid0(VALU_DEP_2) | instskip(NEXT) | instid1(VALU_DEP_2)
	v_fma_f64 v[2:3], v[20:21], v[74:75], -v[2:3]
	v_fmac_f64_e32 v[76:77], v[22:23], v[74:75]
	s_delay_alu instid0(VALU_DEP_2) | instskip(NEXT) | instid1(VALU_DEP_2)
	v_add_f64_e32 v[16:17], v[16:17], v[2:3]
	v_add_f64_e32 v[18:19], v[18:19], v[76:77]
.LBB178_179:                            ;   in Loop: Header=BB178_3 Depth=1
	s_or_b32 exec_lo, exec_lo, s58
	s_delay_alu instid0(SALU_CYCLE_1) | instskip(SKIP_2) | instid1(SALU_CYCLE_1)
	s_mov_b32 s58, exec_lo
	v_readlane_b32 s59, v78, 14
	s_and_b32 s59, s58, s59
	s_mov_b32 exec_lo, s59
	s_cbranch_execz .LBB178_181
; %bb.180:                              ;   in Loop: Header=BB178_3 Depth=1
	ds_load_b128 v[20:23], v0 offset:32
	ds_load_b128 v[74:77], v65 offset:1280
	s_wait_dscnt 0x0
	v_mul_f64_e32 v[2:3], v[22:23], v[76:77]
	v_mul_f64_e32 v[76:77], v[20:21], v[76:77]
	s_delay_alu instid0(VALU_DEP_2) | instskip(NEXT) | instid1(VALU_DEP_2)
	v_fma_f64 v[2:3], v[20:21], v[74:75], -v[2:3]
	v_fmac_f64_e32 v[76:77], v[22:23], v[74:75]
	s_delay_alu instid0(VALU_DEP_2) | instskip(NEXT) | instid1(VALU_DEP_2)
	v_add_f64_e32 v[16:17], v[16:17], v[2:3]
	v_add_f64_e32 v[18:19], v[18:19], v[76:77]
.LBB178_181:                            ;   in Loop: Header=BB178_3 Depth=1
	s_or_b32 exec_lo, exec_lo, s58
	s_delay_alu instid0(SALU_CYCLE_1) | instskip(SKIP_2) | instid1(SALU_CYCLE_1)
	s_mov_b32 s58, exec_lo
	v_readlane_b32 s59, v78, 15
	s_and_b32 s59, s58, s59
	;; [unrolled: 20-line block ×10, first 2 shown]
	s_mov_b32 exec_lo, s59
	s_cbranch_execnz .LBB178_530
; %bb.198:                              ;   in Loop: Header=BB178_3 Depth=1
	s_or_b32 exec_lo, exec_lo, s58
	s_and_saveexec_b32 s58, s7
	s_cbranch_execnz .LBB178_531
.LBB178_199:                            ;   in Loop: Header=BB178_3 Depth=1
	s_or_b32 exec_lo, exec_lo, s58
	s_and_saveexec_b32 s58, s15
	s_cbranch_execnz .LBB178_532
.LBB178_200:                            ;   in Loop: Header=BB178_3 Depth=1
	s_or_b32 exec_lo, exec_lo, s58
	s_and_saveexec_b32 s58, s17
	s_cbranch_execnz .LBB178_533
.LBB178_201:                            ;   in Loop: Header=BB178_3 Depth=1
	s_or_b32 exec_lo, exec_lo, s58
	s_and_saveexec_b32 s58, s4
	s_cbranch_execz .LBB178_203
.LBB178_202:                            ;   in Loop: Header=BB178_3 Depth=1
	ds_load_b128 v[20:23], v1 offset:240
	ds_load_b128 v[74:77], v50 offset:7936
	s_wait_dscnt 0x0
	v_mul_f64_e32 v[2:3], v[22:23], v[76:77]
	v_mul_f64_e32 v[76:77], v[20:21], v[76:77]
	s_delay_alu instid0(VALU_DEP_2) | instskip(NEXT) | instid1(VALU_DEP_2)
	v_fma_f64 v[2:3], v[20:21], v[74:75], -v[2:3]
	v_fmac_f64_e32 v[76:77], v[22:23], v[74:75]
	s_delay_alu instid0(VALU_DEP_2) | instskip(NEXT) | instid1(VALU_DEP_2)
	v_add_f64_e32 v[16:17], v[16:17], v[2:3]
	v_add_f64_e32 v[18:19], v[18:19], v[76:77]
.LBB178_203:                            ;   in Loop: Header=BB178_3 Depth=1
	s_or_b32 exec_lo, exec_lo, s58
	s_delay_alu instid0(VALU_DEP_2) | instskip(NEXT) | instid1(VALU_DEP_2)
	v_xor_b32_e32 v17, 0x80000000, v17
	v_xor_b32_e32 v19, 0x80000000, v19
.LBB178_204:                            ;   in Loop: Header=BB178_3 Depth=1
	s_or_b32 exec_lo, exec_lo, s37
	s_delay_alu instid0(SALU_CYCLE_1) | instskip(SKIP_2) | instid1(SALU_CYCLE_1)
	s_mov_b32 s37, exec_lo
	v_readlane_b32 s58, v78, 1
	s_and_b32 s58, s37, s58
	s_mov_b32 exec_lo, s58
	s_cbranch_execz .LBB178_206
; %bb.205:                              ;   in Loop: Header=BB178_3 Depth=1
	ds_load_b128 v[20:23], v1 offset:8448
	s_wait_dscnt 0x0
	v_mul_f64_e32 v[2:3], v[18:19], v[22:23]
	v_mul_f64_e32 v[76:77], v[16:17], v[22:23]
	s_delay_alu instid0(VALU_DEP_2) | instskip(NEXT) | instid1(VALU_DEP_2)
	v_fma_f64 v[74:75], v[16:17], v[20:21], -v[2:3]
	v_fmac_f64_e32 v[76:77], v[18:19], v[20:21]
	s_delay_alu instid0(VALU_DEP_2) | instskip(NEXT) | instid1(VALU_DEP_2)
	v_mov_b64_e32 v[16:17], v[74:75]
	v_mov_b64_e32 v[18:19], v[76:77]
	ds_store_b128 v64, v[74:77]
.LBB178_206:                            ;   in Loop: Header=BB178_3 Depth=1
	s_or_b32 exec_lo, exec_lo, s37
	s_wait_dscnt 0x0
	s_barrier_signal -1
	s_barrier_wait -1
	s_mov_b32 s37, exec_lo
	v_readlane_b32 s58, v78, 2
	s_and_b32 s58, s37, s58
	s_delay_alu instid0(SALU_CYCLE_1)
	s_mov_b32 exec_lo, s58
	s_cbranch_execz .LBB178_208
; %bb.207:                              ;   in Loop: Header=BB178_3 Depth=1
	ds_load_b128 v[20:23], v64
	ds_load_b128 v[74:77], v63 offset:8448
	s_wait_dscnt 0x0
	v_mul_f64_e32 v[2:3], v[22:23], v[76:77]
	v_mul_f64_e32 v[76:77], v[20:21], v[76:77]
	s_delay_alu instid0(VALU_DEP_2) | instskip(NEXT) | instid1(VALU_DEP_2)
	v_fma_f64 v[2:3], v[20:21], v[74:75], -v[2:3]
	v_fmac_f64_e32 v[76:77], v[22:23], v[74:75]
	s_delay_alu instid0(VALU_DEP_2) | instskip(NEXT) | instid1(VALU_DEP_2)
	v_add_f64_e32 v[16:17], v[16:17], v[2:3]
	v_add_f64_e32 v[18:19], v[18:19], v[76:77]
.LBB178_208:                            ;   in Loop: Header=BB178_3 Depth=1
	s_or_b32 exec_lo, exec_lo, s37
	s_barrier_signal -1
	s_barrier_wait -1
	s_mov_b32 s37, exec_lo
	v_readlane_b32 s58, v78, 3
	s_and_b32 s58, s37, s58
	s_delay_alu instid0(SALU_CYCLE_1)
	s_mov_b32 exec_lo, s58
	s_cbranch_execz .LBB178_210
; %bb.209:                              ;   in Loop: Header=BB178_3 Depth=1
	ds_load_b128 v[20:23], v1 offset:8976
	s_wait_dscnt 0x0
	v_mul_f64_e32 v[2:3], v[18:19], v[22:23]
	v_mul_f64_e32 v[76:77], v[16:17], v[22:23]
	s_delay_alu instid0(VALU_DEP_2) | instskip(NEXT) | instid1(VALU_DEP_2)
	v_fma_f64 v[74:75], v[16:17], v[20:21], -v[2:3]
	v_fmac_f64_e32 v[76:77], v[18:19], v[20:21]
	s_delay_alu instid0(VALU_DEP_2) | instskip(NEXT) | instid1(VALU_DEP_2)
	v_mov_b64_e32 v[16:17], v[74:75]
	v_mov_b64_e32 v[18:19], v[76:77]
	ds_store_b128 v64, v[74:77]
.LBB178_210:                            ;   in Loop: Header=BB178_3 Depth=1
	s_or_b32 exec_lo, exec_lo, s37
	s_wait_dscnt 0x0
	s_barrier_signal -1
	s_barrier_wait -1
	s_mov_b32 s37, exec_lo
	v_readlane_b32 s58, v78, 4
	s_and_b32 s58, s37, s58
	s_delay_alu instid0(SALU_CYCLE_1)
	s_mov_b32 exec_lo, s58
	s_cbranch_execz .LBB178_212
; %bb.211:                              ;   in Loop: Header=BB178_3 Depth=1
	ds_load_b128 v[20:23], v64
	ds_load_b128 v[74:77], v63 offset:8960
	s_wait_dscnt 0x0
	v_mul_f64_e32 v[2:3], v[22:23], v[76:77]
	v_mul_f64_e32 v[76:77], v[20:21], v[76:77]
	s_delay_alu instid0(VALU_DEP_2) | instskip(NEXT) | instid1(VALU_DEP_2)
	v_fma_f64 v[2:3], v[20:21], v[74:75], -v[2:3]
	v_fmac_f64_e32 v[76:77], v[22:23], v[74:75]
	s_delay_alu instid0(VALU_DEP_2) | instskip(NEXT) | instid1(VALU_DEP_2)
	v_add_f64_e32 v[16:17], v[16:17], v[2:3]
	v_add_f64_e32 v[18:19], v[18:19], v[76:77]
.LBB178_212:                            ;   in Loop: Header=BB178_3 Depth=1
	s_or_b32 exec_lo, exec_lo, s37
	s_barrier_signal -1
	s_barrier_wait -1
	s_mov_b32 s37, exec_lo
	v_readlane_b32 s58, v78, 5
	s_and_b32 s58, s37, s58
	s_delay_alu instid0(SALU_CYCLE_1)
	;; [unrolled: 45-line block ×3, first 2 shown]
	s_mov_b32 exec_lo, s58
	s_cbranch_execz .LBB178_218
; %bb.217:                              ;   in Loop: Header=BB178_3 Depth=1
	ds_load_b128 v[20:23], v1 offset:10032
	s_wait_dscnt 0x0
	v_mul_f64_e32 v[2:3], v[18:19], v[22:23]
	v_mul_f64_e32 v[76:77], v[16:17], v[22:23]
	s_delay_alu instid0(VALU_DEP_2) | instskip(NEXT) | instid1(VALU_DEP_2)
	v_fma_f64 v[74:75], v[16:17], v[20:21], -v[2:3]
	v_fmac_f64_e32 v[76:77], v[18:19], v[20:21]
	s_delay_alu instid0(VALU_DEP_2) | instskip(NEXT) | instid1(VALU_DEP_2)
	v_mov_b64_e32 v[16:17], v[74:75]
	v_mov_b64_e32 v[18:19], v[76:77]
	ds_store_b128 v64, v[74:77]
.LBB178_218:                            ;   in Loop: Header=BB178_3 Depth=1
	s_or_b32 exec_lo, exec_lo, s37
	s_wait_dscnt 0x0
	s_barrier_signal -1
	s_barrier_wait -1
	s_and_saveexec_b32 s37, s95
	s_cbranch_execz .LBB178_220
; %bb.219:                              ;   in Loop: Header=BB178_3 Depth=1
	ds_load_b128 v[20:23], v64
	ds_load_b128 v[74:77], v63 offset:9984
	s_wait_dscnt 0x0
	v_mul_f64_e32 v[2:3], v[22:23], v[76:77]
	v_mul_f64_e32 v[76:77], v[20:21], v[76:77]
	s_delay_alu instid0(VALU_DEP_2) | instskip(NEXT) | instid1(VALU_DEP_2)
	v_fma_f64 v[2:3], v[20:21], v[74:75], -v[2:3]
	v_fmac_f64_e32 v[76:77], v[22:23], v[74:75]
	s_delay_alu instid0(VALU_DEP_2) | instskip(NEXT) | instid1(VALU_DEP_2)
	v_add_f64_e32 v[16:17], v[16:17], v[2:3]
	v_add_f64_e32 v[18:19], v[18:19], v[76:77]
.LBB178_220:                            ;   in Loop: Header=BB178_3 Depth=1
	s_or_b32 exec_lo, exec_lo, s37
	s_barrier_signal -1
	s_barrier_wait -1
	s_and_saveexec_b32 s37, s96
	s_cbranch_execz .LBB178_222
; %bb.221:                              ;   in Loop: Header=BB178_3 Depth=1
	ds_load_b128 v[20:23], v1 offset:10560
	s_wait_dscnt 0x0
	v_mul_f64_e32 v[2:3], v[18:19], v[22:23]
	v_mul_f64_e32 v[76:77], v[16:17], v[22:23]
	s_delay_alu instid0(VALU_DEP_2) | instskip(NEXT) | instid1(VALU_DEP_2)
	v_fma_f64 v[74:75], v[16:17], v[20:21], -v[2:3]
	v_fmac_f64_e32 v[76:77], v[18:19], v[20:21]
	s_delay_alu instid0(VALU_DEP_2) | instskip(NEXT) | instid1(VALU_DEP_2)
	v_mov_b64_e32 v[16:17], v[74:75]
	v_mov_b64_e32 v[18:19], v[76:77]
	ds_store_b128 v64, v[74:77]
.LBB178_222:                            ;   in Loop: Header=BB178_3 Depth=1
	s_or_b32 exec_lo, exec_lo, s37
	s_wait_dscnt 0x0
	s_barrier_signal -1
	s_barrier_wait -1
	s_and_saveexec_b32 s37, s97
	s_cbranch_execz .LBB178_224
; %bb.223:                              ;   in Loop: Header=BB178_3 Depth=1
	ds_load_b128 v[20:23], v64
	ds_load_b128 v[74:77], v63 offset:10496
	s_wait_dscnt 0x0
	v_mul_f64_e32 v[2:3], v[22:23], v[76:77]
	v_mul_f64_e32 v[76:77], v[20:21], v[76:77]
	s_delay_alu instid0(VALU_DEP_2) | instskip(NEXT) | instid1(VALU_DEP_2)
	v_fma_f64 v[2:3], v[20:21], v[74:75], -v[2:3]
	v_fmac_f64_e32 v[76:77], v[22:23], v[74:75]
	s_delay_alu instid0(VALU_DEP_2) | instskip(NEXT) | instid1(VALU_DEP_2)
	v_add_f64_e32 v[16:17], v[16:17], v[2:3]
	v_add_f64_e32 v[18:19], v[18:19], v[76:77]
.LBB178_224:                            ;   in Loop: Header=BB178_3 Depth=1
	s_or_b32 exec_lo, exec_lo, s37
	s_barrier_signal -1
	s_barrier_wait -1
	s_and_saveexec_b32 s37, s98
	;; [unrolled: 37-line block ×5, first 2 shown]
	s_cbranch_execz .LBB178_238
; %bb.237:                              ;   in Loop: Header=BB178_3 Depth=1
	ds_load_b128 v[20:23], v1 offset:12672
	s_wait_dscnt 0x0
	v_mul_f64_e32 v[2:3], v[18:19], v[22:23]
	v_mul_f64_e32 v[76:77], v[16:17], v[22:23]
	s_delay_alu instid0(VALU_DEP_2) | instskip(NEXT) | instid1(VALU_DEP_2)
	v_fma_f64 v[74:75], v[16:17], v[20:21], -v[2:3]
	v_fmac_f64_e32 v[76:77], v[18:19], v[20:21]
	s_delay_alu instid0(VALU_DEP_2) | instskip(NEXT) | instid1(VALU_DEP_2)
	v_mov_b64_e32 v[16:17], v[74:75]
	v_mov_b64_e32 v[18:19], v[76:77]
	ds_store_b128 v64, v[74:77]
.LBB178_238:                            ;   in Loop: Header=BB178_3 Depth=1
	s_or_b32 exec_lo, exec_lo, s37
	s_wait_dscnt 0x0
	s_barrier_signal -1
	s_barrier_wait -1
	s_and_saveexec_b32 s37, vcc_hi
	s_cbranch_execz .LBB178_240
; %bb.239:                              ;   in Loop: Header=BB178_3 Depth=1
	ds_load_b128 v[20:23], v64
	ds_load_b128 v[74:77], v63 offset:12544
	s_wait_dscnt 0x0
	v_mul_f64_e32 v[2:3], v[22:23], v[76:77]
	v_mul_f64_e32 v[76:77], v[20:21], v[76:77]
	s_delay_alu instid0(VALU_DEP_2) | instskip(NEXT) | instid1(VALU_DEP_2)
	v_fma_f64 v[2:3], v[20:21], v[74:75], -v[2:3]
	v_fmac_f64_e32 v[76:77], v[22:23], v[74:75]
	s_delay_alu instid0(VALU_DEP_2) | instskip(NEXT) | instid1(VALU_DEP_2)
	v_add_f64_e32 v[16:17], v[16:17], v[2:3]
	v_add_f64_e32 v[18:19], v[18:19], v[76:77]
.LBB178_240:                            ;   in Loop: Header=BB178_3 Depth=1
	s_or_b32 exec_lo, exec_lo, s37
	s_barrier_signal -1
	s_barrier_wait -1
	s_and_saveexec_b32 s37, s19
	s_cbranch_execz .LBB178_242
; %bb.241:                              ;   in Loop: Header=BB178_3 Depth=1
	ds_load_b128 v[20:23], v1 offset:13200
	s_wait_dscnt 0x0
	v_mul_f64_e32 v[2:3], v[18:19], v[22:23]
	v_mul_f64_e32 v[76:77], v[16:17], v[22:23]
	s_delay_alu instid0(VALU_DEP_2) | instskip(NEXT) | instid1(VALU_DEP_2)
	v_fma_f64 v[74:75], v[16:17], v[20:21], -v[2:3]
	v_fmac_f64_e32 v[76:77], v[18:19], v[20:21]
	s_delay_alu instid0(VALU_DEP_2) | instskip(NEXT) | instid1(VALU_DEP_2)
	v_mov_b64_e32 v[16:17], v[74:75]
	v_mov_b64_e32 v[18:19], v[76:77]
	ds_store_b128 v64, v[74:77]
.LBB178_242:                            ;   in Loop: Header=BB178_3 Depth=1
	s_or_b32 exec_lo, exec_lo, s37
	s_wait_dscnt 0x0
	s_barrier_signal -1
	s_barrier_wait -1
	s_and_saveexec_b32 s37, s20
	s_cbranch_execz .LBB178_244
; %bb.243:                              ;   in Loop: Header=BB178_3 Depth=1
	ds_load_b128 v[20:23], v64
	ds_load_b128 v[74:77], v63 offset:13056
	s_wait_dscnt 0x0
	v_mul_f64_e32 v[2:3], v[22:23], v[76:77]
	v_mul_f64_e32 v[76:77], v[20:21], v[76:77]
	s_delay_alu instid0(VALU_DEP_2) | instskip(NEXT) | instid1(VALU_DEP_2)
	v_fma_f64 v[2:3], v[20:21], v[74:75], -v[2:3]
	v_fmac_f64_e32 v[76:77], v[22:23], v[74:75]
	s_delay_alu instid0(VALU_DEP_2) | instskip(NEXT) | instid1(VALU_DEP_2)
	v_add_f64_e32 v[16:17], v[16:17], v[2:3]
	v_add_f64_e32 v[18:19], v[18:19], v[76:77]
.LBB178_244:                            ;   in Loop: Header=BB178_3 Depth=1
	s_or_b32 exec_lo, exec_lo, s37
	s_barrier_signal -1
	s_barrier_wait -1
	s_and_saveexec_b32 s37, s21
	s_cbranch_execz .LBB178_246
; %bb.245:                              ;   in Loop: Header=BB178_3 Depth=1
	ds_load_b128 v[20:23], v1 offset:13728
	s_wait_dscnt 0x0
	v_mul_f64_e32 v[2:3], v[18:19], v[22:23]
	v_mul_f64_e32 v[76:77], v[16:17], v[22:23]
	s_delay_alu instid0(VALU_DEP_2) | instskip(NEXT) | instid1(VALU_DEP_2)
	v_fma_f64 v[74:75], v[16:17], v[20:21], -v[2:3]
	v_fmac_f64_e32 v[76:77], v[18:19], v[20:21]
	s_delay_alu instid0(VALU_DEP_2) | instskip(NEXT) | instid1(VALU_DEP_2)
	v_mov_b64_e32 v[16:17], v[74:75]
	v_mov_b64_e32 v[18:19], v[76:77]
	ds_store_b128 v64, v[74:77]
.LBB178_246:                            ;   in Loop: Header=BB178_3 Depth=1
	s_or_b32 exec_lo, exec_lo, s37
	s_wait_dscnt 0x0
	s_barrier_signal -1
	s_barrier_wait -1
	s_and_saveexec_b32 s37, s22
	;; [unrolled: 37-line block ×6, first 2 shown]
	s_cbranch_execz .LBB178_264
; %bb.263:                              ;   in Loop: Header=BB178_3 Depth=1
	ds_load_b128 v[20:23], v64
	ds_load_b128 v[74:77], v1 offset:15856
	s_wait_dscnt 0x0
	v_mul_f64_e32 v[2:3], v[22:23], v[76:77]
	v_mul_f64_e32 v[76:77], v[20:21], v[76:77]
	s_delay_alu instid0(VALU_DEP_2) | instskip(NEXT) | instid1(VALU_DEP_2)
	v_fma_f64 v[2:3], v[20:21], v[74:75], -v[2:3]
	v_fmac_f64_e32 v[76:77], v[22:23], v[74:75]
	s_delay_alu instid0(VALU_DEP_2) | instskip(NEXT) | instid1(VALU_DEP_2)
	v_add_f64_e32 v[16:17], v[16:17], v[2:3]
	v_add_f64_e32 v[18:19], v[18:19], v[76:77]
.LBB178_264:                            ;   in Loop: Header=BB178_3 Depth=1
	s_or_b32 exec_lo, exec_lo, s37
	s_barrier_signal -1
	s_barrier_wait -1
	s_and_saveexec_b32 s37, s36
	s_cbranch_execz .LBB178_266
; %bb.265:                              ;   in Loop: Header=BB178_3 Depth=1
	ds_load_b128 v[20:23], v1 offset:16368
	s_wait_dscnt 0x0
	v_mul_f64_e32 v[2:3], v[18:19], v[22:23]
	v_mul_f64_e32 v[76:77], v[16:17], v[22:23]
	s_delay_alu instid0(VALU_DEP_2) | instskip(NEXT) | instid1(VALU_DEP_2)
	v_fma_f64 v[74:75], v[16:17], v[20:21], -v[2:3]
	v_fmac_f64_e32 v[76:77], v[18:19], v[20:21]
	s_delay_alu instid0(VALU_DEP_2) | instskip(NEXT) | instid1(VALU_DEP_2)
	v_mov_b64_e32 v[16:17], v[74:75]
	v_mov_b64_e32 v[18:19], v[76:77]
	ds_store_b128 v64, v[74:77]
.LBB178_266:                            ;   in Loop: Header=BB178_3 Depth=1
	s_or_b32 exec_lo, exec_lo, s37
	s_wait_dscnt 0x0
	s_barrier_signal -1
	s_barrier_wait -1
	s_barrier_signal -1
	s_barrier_wait -1
	s_and_saveexec_b32 s37, s9
; %bb.267:                              ;   in Loop: Header=BB178_3 Depth=1
	s_delay_alu instid0(VALU_DEP_1) | instskip(NEXT) | instid1(VALU_DEP_3)
	v_xor_b32_e32 v19, 0x80000000, v19
	v_xor_b32_e32 v17, 0x80000000, v17
	ds_store_b128 v65, v[16:19] offset:256
; %bb.268:                              ;   in Loop: Header=BB178_3 Depth=1
	s_or_b32 exec_lo, exec_lo, s37
	s_wait_dscnt 0x0
	s_barrier_signal -1
	s_barrier_wait -1
	s_barrier_signal -1
	s_barrier_wait -1
	s_and_saveexec_b32 s37, s1
	s_cbranch_execz .LBB178_270
; %bb.269:                              ;   in Loop: Header=BB178_3 Depth=1
	ds_load_b128 v[16:19], v1 offset:8976
	ds_load_b128 v[20:23], v1 offset:8448
	;; [unrolled: 1-line block ×3, first 2 shown]
	s_wait_dscnt 0x1
	v_mul_f64_e32 v[2:3], v[16:17], v[22:23]
	v_mul_f64_e32 v[22:23], v[18:19], v[22:23]
	s_delay_alu instid0(VALU_DEP_2) | instskip(NEXT) | instid1(VALU_DEP_2)
	v_fmac_f64_e32 v[2:3], v[18:19], v[20:21]
	v_fma_f64 v[16:17], v[16:17], v[20:21], -v[22:23]
	s_wait_dscnt 0x0
	s_delay_alu instid0(VALU_DEP_2) | instskip(NEXT) | instid1(VALU_DEP_2)
	v_mul_f64_e32 v[20:21], v[2:3], v[76:77]
	v_mul_f64_e32 v[18:19], v[16:17], v[76:77]
	s_delay_alu instid0(VALU_DEP_2) | instskip(NEXT) | instid1(VALU_DEP_2)
	v_fma_f64 v[16:17], v[74:75], v[16:17], -v[20:21]
	v_fmac_f64_e32 v[18:19], v[74:75], v[2:3]
	ds_store_b128 v1, v[16:19] offset:8464
.LBB178_270:                            ;   in Loop: Header=BB178_3 Depth=1
	s_or_b32 exec_lo, exec_lo, s37
	v_mov_b64_e32 v[18:19], 0
	v_mov_b64_e32 v[16:17], 0
	s_wait_dscnt 0x0
	s_barrier_signal -1
	s_barrier_wait -1
	s_and_saveexec_b32 s37, s2
	s_cbranch_execz .LBB178_274
; %bb.271:                              ;   in Loop: Header=BB178_3 Depth=1
	ds_load_b128 v[16:19], v49 offset:8448
	ds_load_b128 v[20:23], v48 offset:8480
	s_wait_dscnt 0x0
	v_mul_f64_e32 v[2:3], v[18:19], v[22:23]
	v_mul_f64_e32 v[22:23], v[16:17], v[22:23]
	s_delay_alu instid0(VALU_DEP_2) | instskip(NEXT) | instid1(VALU_DEP_2)
	v_fma_f64 v[2:3], v[16:17], v[20:21], -v[2:3]
	v_fmac_f64_e32 v[22:23], v[18:19], v[20:21]
	s_delay_alu instid0(VALU_DEP_2) | instskip(NEXT) | instid1(VALU_DEP_2)
	v_add_f64_e32 v[16:17], 0, v[2:3]
	v_add_f64_e32 v[18:19], 0, v[22:23]
	s_and_saveexec_b32 s58, s3
	s_cbranch_execz .LBB178_273
; %bb.272:                              ;   in Loop: Header=BB178_3 Depth=1
	ds_load_b128 v[20:23], v1 offset:8464
	ds_load_b128 v[74:77], v50 offset:8992
	s_wait_dscnt 0x0
	v_mul_f64_e32 v[2:3], v[22:23], v[76:77]
	v_mul_f64_e32 v[76:77], v[20:21], v[76:77]
	s_delay_alu instid0(VALU_DEP_2) | instskip(NEXT) | instid1(VALU_DEP_2)
	v_fma_f64 v[2:3], v[20:21], v[74:75], -v[2:3]
	v_fmac_f64_e32 v[76:77], v[22:23], v[74:75]
	s_delay_alu instid0(VALU_DEP_2) | instskip(NEXT) | instid1(VALU_DEP_2)
	v_add_f64_e32 v[16:17], v[16:17], v[2:3]
	v_add_f64_e32 v[18:19], v[18:19], v[76:77]
.LBB178_273:                            ;   in Loop: Header=BB178_3 Depth=1
	s_or_b32 exec_lo, exec_lo, s58
	s_delay_alu instid0(VALU_DEP_2) | instskip(NEXT) | instid1(VALU_DEP_2)
	v_xor_b32_e32 v17, 0x80000000, v17
	v_xor_b32_e32 v19, 0x80000000, v19
.LBB178_274:                            ;   in Loop: Header=BB178_3 Depth=1
	s_or_b32 exec_lo, exec_lo, s37
	s_and_saveexec_b32 s37, s66
	s_cbranch_execz .LBB178_276
; %bb.275:                              ;   in Loop: Header=BB178_3 Depth=1
	ds_load_b128 v[20:23], v1 offset:9504
	s_wait_dscnt 0x0
	v_mul_f64_e32 v[2:3], v[18:19], v[22:23]
	v_mul_f64_e32 v[76:77], v[16:17], v[22:23]
	s_delay_alu instid0(VALU_DEP_2) | instskip(NEXT) | instid1(VALU_DEP_2)
	v_fma_f64 v[74:75], v[16:17], v[20:21], -v[2:3]
	v_fmac_f64_e32 v[76:77], v[18:19], v[20:21]
	s_delay_alu instid0(VALU_DEP_2) | instskip(NEXT) | instid1(VALU_DEP_2)
	v_mov_b64_e32 v[16:17], v[74:75]
	v_mov_b64_e32 v[18:19], v[76:77]
	ds_store_b128 v25, v[74:77]
.LBB178_276:                            ;   in Loop: Header=BB178_3 Depth=1
	s_or_b32 exec_lo, exec_lo, s37
	s_wait_dscnt 0x0
	s_barrier_signal -1
	s_barrier_wait -1
	s_and_saveexec_b32 s37, s67
	s_cbranch_execz .LBB178_278
; %bb.277:                              ;   in Loop: Header=BB178_3 Depth=1
	ds_load_b128 v[20:23], v25
	ds_load_b128 v[74:77], v1 offset:9520
	s_wait_dscnt 0x0
	v_mul_f64_e32 v[2:3], v[22:23], v[76:77]
	v_mul_f64_e32 v[76:77], v[20:21], v[76:77]
	s_delay_alu instid0(VALU_DEP_2) | instskip(NEXT) | instid1(VALU_DEP_2)
	v_fma_f64 v[2:3], v[20:21], v[74:75], -v[2:3]
	v_fmac_f64_e32 v[76:77], v[22:23], v[74:75]
	s_delay_alu instid0(VALU_DEP_2) | instskip(NEXT) | instid1(VALU_DEP_2)
	v_add_f64_e32 v[16:17], v[16:17], v[2:3]
	v_add_f64_e32 v[18:19], v[18:19], v[76:77]
.LBB178_278:                            ;   in Loop: Header=BB178_3 Depth=1
	s_or_b32 exec_lo, exec_lo, s37
	s_barrier_signal -1
	s_barrier_wait -1
	s_and_saveexec_b32 s37, s67
	s_cbranch_execz .LBB178_280
; %bb.279:                              ;   in Loop: Header=BB178_3 Depth=1
	ds_load_b128 v[20:23], v1 offset:10032
	s_wait_dscnt 0x0
	v_mul_f64_e32 v[2:3], v[18:19], v[22:23]
	v_mul_f64_e32 v[76:77], v[16:17], v[22:23]
	s_delay_alu instid0(VALU_DEP_2) | instskip(NEXT) | instid1(VALU_DEP_2)
	v_fma_f64 v[74:75], v[16:17], v[20:21], -v[2:3]
	v_fmac_f64_e32 v[76:77], v[18:19], v[20:21]
	s_delay_alu instid0(VALU_DEP_2) | instskip(NEXT) | instid1(VALU_DEP_2)
	v_mov_b64_e32 v[16:17], v[74:75]
	v_mov_b64_e32 v[18:19], v[76:77]
	ds_store_b128 v25, v[74:77]
.LBB178_280:                            ;   in Loop: Header=BB178_3 Depth=1
	s_or_b32 exec_lo, exec_lo, s37
	s_wait_dscnt 0x0
	s_barrier_signal -1
	s_barrier_wait -1
	s_barrier_signal -1
	s_barrier_wait -1
	s_and_saveexec_b32 s37, s2
; %bb.281:                              ;   in Loop: Header=BB178_3 Depth=1
	s_delay_alu instid0(VALU_DEP_2) | instskip(NEXT) | instid1(VALU_DEP_2)
	v_xor_b32_e32 v17, 0x80000000, v17
	v_xor_b32_e32 v19, 0x80000000, v19
	ds_store_b128 v48, v[16:19] offset:8480
; %bb.282:                              ;   in Loop: Header=BB178_3 Depth=1
	s_or_b32 exec_lo, exec_lo, s37
	s_wait_dscnt 0x0
	s_barrier_signal -1
	s_barrier_wait -1
	s_barrier_signal -1
	s_barrier_wait -1
	s_and_saveexec_b32 s37, s1
	s_cbranch_execz .LBB178_284
; %bb.283:                              ;   in Loop: Header=BB178_3 Depth=1
	ds_load_b128 v[16:19], v1 offset:10032
	ds_load_b128 v[20:23], v1 offset:9504
	;; [unrolled: 1-line block ×3, first 2 shown]
	s_wait_dscnt 0x1
	v_mul_f64_e32 v[2:3], v[16:17], v[22:23]
	v_mul_f64_e32 v[22:23], v[18:19], v[22:23]
	s_delay_alu instid0(VALU_DEP_2) | instskip(NEXT) | instid1(VALU_DEP_2)
	v_fmac_f64_e32 v[2:3], v[18:19], v[20:21]
	v_fma_f64 v[16:17], v[16:17], v[20:21], -v[22:23]
	s_wait_dscnt 0x0
	s_delay_alu instid0(VALU_DEP_2) | instskip(NEXT) | instid1(VALU_DEP_2)
	v_mul_f64_e32 v[20:21], v[2:3], v[76:77]
	v_mul_f64_e32 v[18:19], v[16:17], v[76:77]
	s_delay_alu instid0(VALU_DEP_2) | instskip(NEXT) | instid1(VALU_DEP_2)
	v_fma_f64 v[16:17], v[74:75], v[16:17], -v[20:21]
	v_fmac_f64_e32 v[18:19], v[74:75], v[2:3]
	ds_store_b128 v1, v[16:19] offset:9520
.LBB178_284:                            ;   in Loop: Header=BB178_3 Depth=1
	s_or_b32 exec_lo, exec_lo, s37
	v_mov_b64_e32 v[18:19], 0
	v_mov_b64_e32 v[16:17], 0
	s_wait_dscnt 0x0
	s_barrier_signal -1
	s_barrier_wait -1
	s_and_saveexec_b32 s37, s4
	s_cbranch_execz .LBB178_290
; %bb.285:                              ;   in Loop: Header=BB178_3 Depth=1
	ds_load_b128 v[16:19], v52 offset:8448
	ds_load_b128 v[20:23], v54 offset:8512
	s_wait_dscnt 0x0
	v_mul_f64_e32 v[2:3], v[18:19], v[22:23]
	v_mul_f64_e32 v[22:23], v[16:17], v[22:23]
	s_delay_alu instid0(VALU_DEP_2) | instskip(NEXT) | instid1(VALU_DEP_2)
	v_fma_f64 v[2:3], v[16:17], v[20:21], -v[2:3]
	v_fmac_f64_e32 v[22:23], v[18:19], v[20:21]
	s_delay_alu instid0(VALU_DEP_2) | instskip(NEXT) | instid1(VALU_DEP_2)
	v_add_f64_e32 v[16:17], 0, v[2:3]
	v_add_f64_e32 v[18:19], 0, v[22:23]
	s_and_saveexec_b32 s58, s5
	s_cbranch_execnz .LBB178_534
; %bb.286:                              ;   in Loop: Header=BB178_3 Depth=1
	s_or_b32 exec_lo, exec_lo, s58
	s_and_saveexec_b32 s58, s6
	s_cbranch_execnz .LBB178_535
.LBB178_287:                            ;   in Loop: Header=BB178_3 Depth=1
	s_or_b32 exec_lo, exec_lo, s58
	s_and_saveexec_b32 s58, s2
	s_cbranch_execz .LBB178_289
.LBB178_288:                            ;   in Loop: Header=BB178_3 Depth=1
	ds_load_b128 v[20:23], v1 offset:8496
	ds_load_b128 v[74:77], v50 offset:10048
	s_wait_dscnt 0x0
	v_mul_f64_e32 v[2:3], v[22:23], v[76:77]
	v_mul_f64_e32 v[76:77], v[20:21], v[76:77]
	s_delay_alu instid0(VALU_DEP_2) | instskip(NEXT) | instid1(VALU_DEP_2)
	v_fma_f64 v[2:3], v[20:21], v[74:75], -v[2:3]
	v_fmac_f64_e32 v[76:77], v[22:23], v[74:75]
	s_delay_alu instid0(VALU_DEP_2) | instskip(NEXT) | instid1(VALU_DEP_2)
	v_add_f64_e32 v[16:17], v[16:17], v[2:3]
	v_add_f64_e32 v[18:19], v[18:19], v[76:77]
.LBB178_289:                            ;   in Loop: Header=BB178_3 Depth=1
	s_or_b32 exec_lo, exec_lo, s58
	s_delay_alu instid0(VALU_DEP_2) | instskip(NEXT) | instid1(VALU_DEP_2)
	v_xor_b32_e32 v17, 0x80000000, v17
	v_xor_b32_e32 v19, 0x80000000, v19
.LBB178_290:                            ;   in Loop: Header=BB178_3 Depth=1
	s_or_b32 exec_lo, exec_lo, s37
	s_and_saveexec_b32 s37, s68
	s_cbranch_execz .LBB178_292
; %bb.291:                              ;   in Loop: Header=BB178_3 Depth=1
	ds_load_b128 v[20:23], v1 offset:10560
	s_wait_dscnt 0x0
	v_mul_f64_e32 v[2:3], v[18:19], v[22:23]
	v_mul_f64_e32 v[76:77], v[16:17], v[22:23]
	s_delay_alu instid0(VALU_DEP_2) | instskip(NEXT) | instid1(VALU_DEP_2)
	v_fma_f64 v[74:75], v[16:17], v[20:21], -v[2:3]
	v_fmac_f64_e32 v[76:77], v[18:19], v[20:21]
	s_delay_alu instid0(VALU_DEP_2) | instskip(NEXT) | instid1(VALU_DEP_2)
	v_mov_b64_e32 v[16:17], v[74:75]
	v_mov_b64_e32 v[18:19], v[76:77]
	ds_store_b128 v53, v[74:77]
.LBB178_292:                            ;   in Loop: Header=BB178_3 Depth=1
	s_or_b32 exec_lo, exec_lo, s37
	s_wait_dscnt 0x0
	s_barrier_signal -1
	s_barrier_wait -1
	s_and_saveexec_b32 s37, s69
	s_cbranch_execz .LBB178_294
; %bb.293:                              ;   in Loop: Header=BB178_3 Depth=1
	ds_load_b128 v[20:23], v53
	ds_load_b128 v[74:77], v51 offset:10560
	s_wait_dscnt 0x0
	v_mul_f64_e32 v[2:3], v[22:23], v[76:77]
	v_mul_f64_e32 v[76:77], v[20:21], v[76:77]
	s_delay_alu instid0(VALU_DEP_2) | instskip(NEXT) | instid1(VALU_DEP_2)
	v_fma_f64 v[2:3], v[20:21], v[74:75], -v[2:3]
	v_fmac_f64_e32 v[76:77], v[22:23], v[74:75]
	s_delay_alu instid0(VALU_DEP_2) | instskip(NEXT) | instid1(VALU_DEP_2)
	v_add_f64_e32 v[16:17], v[16:17], v[2:3]
	v_add_f64_e32 v[18:19], v[18:19], v[76:77]
.LBB178_294:                            ;   in Loop: Header=BB178_3 Depth=1
	s_or_b32 exec_lo, exec_lo, s37
	s_barrier_signal -1
	s_barrier_wait -1
	s_and_saveexec_b32 s37, s70
	s_cbranch_execz .LBB178_296
; %bb.295:                              ;   in Loop: Header=BB178_3 Depth=1
	ds_load_b128 v[20:23], v1 offset:11088
	s_wait_dscnt 0x0
	v_mul_f64_e32 v[2:3], v[18:19], v[22:23]
	v_mul_f64_e32 v[76:77], v[16:17], v[22:23]
	s_delay_alu instid0(VALU_DEP_2) | instskip(NEXT) | instid1(VALU_DEP_2)
	v_fma_f64 v[74:75], v[16:17], v[20:21], -v[2:3]
	v_fmac_f64_e32 v[76:77], v[18:19], v[20:21]
	s_delay_alu instid0(VALU_DEP_2) | instskip(NEXT) | instid1(VALU_DEP_2)
	v_mov_b64_e32 v[16:17], v[74:75]
	v_mov_b64_e32 v[18:19], v[76:77]
	ds_store_b128 v53, v[74:77]
.LBB178_296:                            ;   in Loop: Header=BB178_3 Depth=1
	s_or_b32 exec_lo, exec_lo, s37
	s_wait_dscnt 0x0
	s_barrier_signal -1
	s_barrier_wait -1
	s_and_saveexec_b32 s37, s71
	s_cbranch_execz .LBB178_298
; %bb.297:                              ;   in Loop: Header=BB178_3 Depth=1
	ds_load_b128 v[20:23], v53
	ds_load_b128 v[74:77], v51 offset:11072
	s_wait_dscnt 0x0
	v_mul_f64_e32 v[2:3], v[22:23], v[76:77]
	v_mul_f64_e32 v[76:77], v[20:21], v[76:77]
	s_delay_alu instid0(VALU_DEP_2) | instskip(NEXT) | instid1(VALU_DEP_2)
	v_fma_f64 v[2:3], v[20:21], v[74:75], -v[2:3]
	v_fmac_f64_e32 v[76:77], v[22:23], v[74:75]
	s_delay_alu instid0(VALU_DEP_2) | instskip(NEXT) | instid1(VALU_DEP_2)
	v_add_f64_e32 v[16:17], v[16:17], v[2:3]
	v_add_f64_e32 v[18:19], v[18:19], v[76:77]
.LBB178_298:                            ;   in Loop: Header=BB178_3 Depth=1
	s_or_b32 exec_lo, exec_lo, s37
	s_barrier_signal -1
	s_barrier_wait -1
	;; [unrolled: 37-line block ×3, first 2 shown]
	s_and_saveexec_b32 s37, s73
	s_cbranch_execz .LBB178_304
; %bb.303:                              ;   in Loop: Header=BB178_3 Depth=1
	ds_load_b128 v[20:23], v1 offset:12144
	s_wait_dscnt 0x0
	v_mul_f64_e32 v[2:3], v[18:19], v[22:23]
	v_mul_f64_e32 v[76:77], v[16:17], v[22:23]
	s_delay_alu instid0(VALU_DEP_2) | instskip(NEXT) | instid1(VALU_DEP_2)
	v_fma_f64 v[74:75], v[16:17], v[20:21], -v[2:3]
	v_fmac_f64_e32 v[76:77], v[18:19], v[20:21]
	s_delay_alu instid0(VALU_DEP_2) | instskip(NEXT) | instid1(VALU_DEP_2)
	v_mov_b64_e32 v[16:17], v[74:75]
	v_mov_b64_e32 v[18:19], v[76:77]
	ds_store_b128 v53, v[74:77]
.LBB178_304:                            ;   in Loop: Header=BB178_3 Depth=1
	s_or_b32 exec_lo, exec_lo, s37
	s_wait_dscnt 0x0
	s_barrier_signal -1
	s_barrier_wait -1
	s_barrier_signal -1
	s_barrier_wait -1
	s_and_saveexec_b32 s37, s4
; %bb.305:                              ;   in Loop: Header=BB178_3 Depth=1
	s_delay_alu instid0(VALU_DEP_1) | instskip(NEXT) | instid1(VALU_DEP_3)
	v_xor_b32_e32 v19, 0x80000000, v19
	v_xor_b32_e32 v17, 0x80000000, v17
	ds_store_b128 v54, v[16:19] offset:8512
; %bb.306:                              ;   in Loop: Header=BB178_3 Depth=1
	s_or_b32 exec_lo, exec_lo, s37
	s_wait_dscnt 0x0
	s_barrier_signal -1
	s_barrier_wait -1
	s_barrier_signal -1
	s_barrier_wait -1
	s_and_saveexec_b32 s37, s1
	s_cbranch_execz .LBB178_308
; %bb.307:                              ;   in Loop: Header=BB178_3 Depth=1
	ds_load_b128 v[16:19], v1 offset:11088
	ds_load_b128 v[20:23], v1 offset:10560
	;; [unrolled: 1-line block ×3, first 2 shown]
	s_wait_dscnt 0x1
	v_mul_f64_e32 v[2:3], v[16:17], v[22:23]
	v_mul_f64_e32 v[22:23], v[18:19], v[22:23]
	s_delay_alu instid0(VALU_DEP_2) | instskip(NEXT) | instid1(VALU_DEP_2)
	v_fmac_f64_e32 v[2:3], v[18:19], v[20:21]
	v_fma_f64 v[16:17], v[16:17], v[20:21], -v[22:23]
	s_wait_dscnt 0x0
	s_delay_alu instid0(VALU_DEP_2) | instskip(NEXT) | instid1(VALU_DEP_2)
	v_mul_f64_e32 v[20:21], v[2:3], v[76:77]
	v_mul_f64_e32 v[18:19], v[16:17], v[76:77]
	s_delay_alu instid0(VALU_DEP_2) | instskip(NEXT) | instid1(VALU_DEP_2)
	v_fma_f64 v[16:17], v[74:75], v[16:17], -v[20:21]
	v_fmac_f64_e32 v[18:19], v[74:75], v[2:3]
	ds_store_b128 v1, v[16:19] offset:10576
.LBB178_308:                            ;   in Loop: Header=BB178_3 Depth=1
	s_or_b32 exec_lo, exec_lo, s37
	v_mov_b64_e32 v[18:19], 0
	v_mov_b64_e32 v[16:17], 0
	s_wait_dscnt 0x0
	s_barrier_signal -1
	s_barrier_wait -1
	s_and_saveexec_b32 s37, s2
	s_cbranch_execz .LBB178_312
; %bb.309:                              ;   in Loop: Header=BB178_3 Depth=1
	ds_load_b128 v[16:19], v49 offset:10560
	ds_load_b128 v[20:23], v48 offset:10592
	s_wait_dscnt 0x0
	v_mul_f64_e32 v[2:3], v[18:19], v[22:23]
	v_mul_f64_e32 v[22:23], v[16:17], v[22:23]
	s_delay_alu instid0(VALU_DEP_2) | instskip(NEXT) | instid1(VALU_DEP_2)
	v_fma_f64 v[2:3], v[16:17], v[20:21], -v[2:3]
	v_fmac_f64_e32 v[22:23], v[18:19], v[20:21]
	s_delay_alu instid0(VALU_DEP_2) | instskip(NEXT) | instid1(VALU_DEP_2)
	v_add_f64_e32 v[16:17], 0, v[2:3]
	v_add_f64_e32 v[18:19], 0, v[22:23]
	s_and_saveexec_b32 s58, s3
	s_cbranch_execz .LBB178_311
; %bb.310:                              ;   in Loop: Header=BB178_3 Depth=1
	ds_load_b128 v[20:23], v1 offset:10576
	ds_load_b128 v[74:77], v50 offset:11104
	s_wait_dscnt 0x0
	v_mul_f64_e32 v[2:3], v[22:23], v[76:77]
	v_mul_f64_e32 v[76:77], v[20:21], v[76:77]
	s_delay_alu instid0(VALU_DEP_2) | instskip(NEXT) | instid1(VALU_DEP_2)
	v_fma_f64 v[2:3], v[20:21], v[74:75], -v[2:3]
	v_fmac_f64_e32 v[76:77], v[22:23], v[74:75]
	s_delay_alu instid0(VALU_DEP_2) | instskip(NEXT) | instid1(VALU_DEP_2)
	v_add_f64_e32 v[16:17], v[16:17], v[2:3]
	v_add_f64_e32 v[18:19], v[18:19], v[76:77]
.LBB178_311:                            ;   in Loop: Header=BB178_3 Depth=1
	s_or_b32 exec_lo, exec_lo, s58
	s_delay_alu instid0(VALU_DEP_2) | instskip(NEXT) | instid1(VALU_DEP_2)
	v_xor_b32_e32 v17, 0x80000000, v17
	v_xor_b32_e32 v19, 0x80000000, v19
.LBB178_312:                            ;   in Loop: Header=BB178_3 Depth=1
	s_or_b32 exec_lo, exec_lo, s37
	s_and_saveexec_b32 s37, s66
	s_cbranch_execz .LBB178_314
; %bb.313:                              ;   in Loop: Header=BB178_3 Depth=1
	ds_load_b128 v[20:23], v1 offset:11616
	s_wait_dscnt 0x0
	v_mul_f64_e32 v[2:3], v[18:19], v[22:23]
	v_mul_f64_e32 v[76:77], v[16:17], v[22:23]
	s_delay_alu instid0(VALU_DEP_2) | instskip(NEXT) | instid1(VALU_DEP_2)
	v_fma_f64 v[74:75], v[16:17], v[20:21], -v[2:3]
	v_fmac_f64_e32 v[76:77], v[18:19], v[20:21]
	s_delay_alu instid0(VALU_DEP_2) | instskip(NEXT) | instid1(VALU_DEP_2)
	v_mov_b64_e32 v[16:17], v[74:75]
	v_mov_b64_e32 v[18:19], v[76:77]
	ds_store_b128 v25, v[74:77]
.LBB178_314:                            ;   in Loop: Header=BB178_3 Depth=1
	s_or_b32 exec_lo, exec_lo, s37
	s_wait_dscnt 0x0
	s_barrier_signal -1
	s_barrier_wait -1
	s_and_saveexec_b32 s37, s67
	s_cbranch_execz .LBB178_316
; %bb.315:                              ;   in Loop: Header=BB178_3 Depth=1
	ds_load_b128 v[20:23], v25
	ds_load_b128 v[74:77], v1 offset:11632
	s_wait_dscnt 0x0
	v_mul_f64_e32 v[2:3], v[22:23], v[76:77]
	v_mul_f64_e32 v[76:77], v[20:21], v[76:77]
	s_delay_alu instid0(VALU_DEP_2) | instskip(NEXT) | instid1(VALU_DEP_2)
	v_fma_f64 v[2:3], v[20:21], v[74:75], -v[2:3]
	v_fmac_f64_e32 v[76:77], v[22:23], v[74:75]
	s_delay_alu instid0(VALU_DEP_2) | instskip(NEXT) | instid1(VALU_DEP_2)
	v_add_f64_e32 v[16:17], v[16:17], v[2:3]
	v_add_f64_e32 v[18:19], v[18:19], v[76:77]
.LBB178_316:                            ;   in Loop: Header=BB178_3 Depth=1
	s_or_b32 exec_lo, exec_lo, s37
	s_barrier_signal -1
	s_barrier_wait -1
	s_and_saveexec_b32 s37, s67
	s_cbranch_execz .LBB178_318
; %bb.317:                              ;   in Loop: Header=BB178_3 Depth=1
	ds_load_b128 v[20:23], v1 offset:12144
	s_wait_dscnt 0x0
	v_mul_f64_e32 v[2:3], v[18:19], v[22:23]
	v_mul_f64_e32 v[76:77], v[16:17], v[22:23]
	s_delay_alu instid0(VALU_DEP_2) | instskip(NEXT) | instid1(VALU_DEP_2)
	v_fma_f64 v[74:75], v[16:17], v[20:21], -v[2:3]
	v_fmac_f64_e32 v[76:77], v[18:19], v[20:21]
	s_delay_alu instid0(VALU_DEP_2) | instskip(NEXT) | instid1(VALU_DEP_2)
	v_mov_b64_e32 v[16:17], v[74:75]
	v_mov_b64_e32 v[18:19], v[76:77]
	ds_store_b128 v25, v[74:77]
.LBB178_318:                            ;   in Loop: Header=BB178_3 Depth=1
	s_or_b32 exec_lo, exec_lo, s37
	s_wait_dscnt 0x0
	s_barrier_signal -1
	s_barrier_wait -1
	s_barrier_signal -1
	s_barrier_wait -1
	s_and_saveexec_b32 s37, s2
; %bb.319:                              ;   in Loop: Header=BB178_3 Depth=1
	s_delay_alu instid0(VALU_DEP_2) | instskip(NEXT) | instid1(VALU_DEP_2)
	v_xor_b32_e32 v17, 0x80000000, v17
	v_xor_b32_e32 v19, 0x80000000, v19
	ds_store_b128 v48, v[16:19] offset:10592
; %bb.320:                              ;   in Loop: Header=BB178_3 Depth=1
	s_or_b32 exec_lo, exec_lo, s37
	s_wait_dscnt 0x0
	s_barrier_signal -1
	s_barrier_wait -1
	s_barrier_signal -1
	s_barrier_wait -1
	s_and_saveexec_b32 s37, s1
	s_cbranch_execz .LBB178_322
; %bb.321:                              ;   in Loop: Header=BB178_3 Depth=1
	ds_load_b128 v[16:19], v1 offset:12144
	ds_load_b128 v[20:23], v1 offset:11616
	ds_load_b128 v[74:77], v1 offset:11632
	s_wait_dscnt 0x1
	v_mul_f64_e32 v[2:3], v[16:17], v[22:23]
	v_mul_f64_e32 v[22:23], v[18:19], v[22:23]
	s_delay_alu instid0(VALU_DEP_2) | instskip(NEXT) | instid1(VALU_DEP_2)
	v_fmac_f64_e32 v[2:3], v[18:19], v[20:21]
	v_fma_f64 v[16:17], v[16:17], v[20:21], -v[22:23]
	s_wait_dscnt 0x0
	s_delay_alu instid0(VALU_DEP_2) | instskip(NEXT) | instid1(VALU_DEP_2)
	v_mul_f64_e32 v[20:21], v[2:3], v[76:77]
	v_mul_f64_e32 v[18:19], v[16:17], v[76:77]
	s_delay_alu instid0(VALU_DEP_2) | instskip(NEXT) | instid1(VALU_DEP_2)
	v_fma_f64 v[16:17], v[74:75], v[16:17], -v[20:21]
	v_fmac_f64_e32 v[18:19], v[74:75], v[2:3]
	ds_store_b128 v1, v[16:19] offset:11632
.LBB178_322:                            ;   in Loop: Header=BB178_3 Depth=1
	s_or_b32 exec_lo, exec_lo, s37
	v_mov_b64_e32 v[18:19], 0
	v_mov_b64_e32 v[16:17], 0
	s_wait_dscnt 0x0
	s_barrier_signal -1
	s_barrier_wait -1
	s_and_saveexec_b32 s37, s7
	s_cbranch_execz .LBB178_332
; %bb.323:                              ;   in Loop: Header=BB178_3 Depth=1
	ds_load_b128 v[16:19], v56 offset:8448
	ds_load_b128 v[20:23], v59 offset:8576
	s_wait_dscnt 0x0
	v_mul_f64_e32 v[2:3], v[18:19], v[22:23]
	v_mul_f64_e32 v[22:23], v[16:17], v[22:23]
	s_delay_alu instid0(VALU_DEP_2) | instskip(NEXT) | instid1(VALU_DEP_2)
	v_fma_f64 v[2:3], v[16:17], v[20:21], -v[2:3]
	v_fmac_f64_e32 v[22:23], v[18:19], v[20:21]
	s_delay_alu instid0(VALU_DEP_2) | instskip(NEXT) | instid1(VALU_DEP_2)
	v_add_f64_e32 v[16:17], 0, v[2:3]
	v_add_f64_e32 v[18:19], 0, v[22:23]
	s_mov_b32 s58, exec_lo
	v_readlane_b32 s59, v78, 0
	s_and_b32 s59, s58, s59
	s_delay_alu instid0(SALU_CYCLE_1)
	s_mov_b32 exec_lo, s59
	s_cbranch_execnz .LBB178_536
; %bb.324:                              ;   in Loop: Header=BB178_3 Depth=1
	s_or_b32 exec_lo, exec_lo, s58
	s_and_saveexec_b32 s58, s15
	s_cbranch_execnz .LBB178_537
.LBB178_325:                            ;   in Loop: Header=BB178_3 Depth=1
	s_or_b32 exec_lo, exec_lo, s58
	s_and_saveexec_b32 s58, s16
	s_cbranch_execnz .LBB178_538
.LBB178_326:                            ;   in Loop: Header=BB178_3 Depth=1
	s_or_b32 exec_lo, exec_lo, s58
	s_and_saveexec_b32 s58, s17
	s_cbranch_execnz .LBB178_539
.LBB178_327:                            ;   in Loop: Header=BB178_3 Depth=1
	s_or_b32 exec_lo, exec_lo, s58
	s_and_saveexec_b32 s58, s18
	s_cbranch_execnz .LBB178_540
.LBB178_328:                            ;   in Loop: Header=BB178_3 Depth=1
	s_or_b32 exec_lo, exec_lo, s58
	s_and_saveexec_b32 s58, s4
	s_cbranch_execnz .LBB178_541
.LBB178_329:                            ;   in Loop: Header=BB178_3 Depth=1
	s_or_b32 exec_lo, exec_lo, s58
	s_and_saveexec_b32 s58, s6
	s_cbranch_execz .LBB178_331
.LBB178_330:                            ;   in Loop: Header=BB178_3 Depth=1
	ds_load_b128 v[20:23], v1 offset:8560
	ds_load_b128 v[74:77], v50 offset:12160
	s_wait_dscnt 0x0
	v_mul_f64_e32 v[2:3], v[22:23], v[76:77]
	v_mul_f64_e32 v[76:77], v[20:21], v[76:77]
	s_delay_alu instid0(VALU_DEP_2) | instskip(NEXT) | instid1(VALU_DEP_2)
	v_fma_f64 v[2:3], v[20:21], v[74:75], -v[2:3]
	v_fmac_f64_e32 v[76:77], v[22:23], v[74:75]
	s_delay_alu instid0(VALU_DEP_2) | instskip(NEXT) | instid1(VALU_DEP_2)
	v_add_f64_e32 v[16:17], v[16:17], v[2:3]
	v_add_f64_e32 v[18:19], v[18:19], v[76:77]
.LBB178_331:                            ;   in Loop: Header=BB178_3 Depth=1
	s_or_b32 exec_lo, exec_lo, s58
	s_delay_alu instid0(VALU_DEP_2) | instskip(NEXT) | instid1(VALU_DEP_2)
	v_xor_b32_e32 v17, 0x80000000, v17
	v_xor_b32_e32 v19, 0x80000000, v19
.LBB178_332:                            ;   in Loop: Header=BB178_3 Depth=1
	s_or_b32 exec_lo, exec_lo, s37
	s_and_saveexec_b32 s37, s74
	s_cbranch_execz .LBB178_334
; %bb.333:                              ;   in Loop: Header=BB178_3 Depth=1
	ds_load_b128 v[20:23], v1 offset:12672
	s_wait_dscnt 0x0
	v_mul_f64_e32 v[2:3], v[18:19], v[22:23]
	v_mul_f64_e32 v[76:77], v[16:17], v[22:23]
	s_delay_alu instid0(VALU_DEP_2) | instskip(NEXT) | instid1(VALU_DEP_2)
	v_fma_f64 v[74:75], v[16:17], v[20:21], -v[2:3]
	v_fmac_f64_e32 v[76:77], v[18:19], v[20:21]
	s_delay_alu instid0(VALU_DEP_2) | instskip(NEXT) | instid1(VALU_DEP_2)
	v_mov_b64_e32 v[16:17], v[74:75]
	v_mov_b64_e32 v[18:19], v[76:77]
	ds_store_b128 v58, v[74:77]
.LBB178_334:                            ;   in Loop: Header=BB178_3 Depth=1
	s_or_b32 exec_lo, exec_lo, s37
	s_wait_dscnt 0x0
	s_barrier_signal -1
	s_barrier_wait -1
	s_and_saveexec_b32 s37, s75
	s_cbranch_execz .LBB178_336
; %bb.335:                              ;   in Loop: Header=BB178_3 Depth=1
	ds_load_b128 v[20:23], v58
	ds_load_b128 v[74:77], v57 offset:12672
	s_wait_dscnt 0x0
	v_mul_f64_e32 v[2:3], v[22:23], v[76:77]
	v_mul_f64_e32 v[76:77], v[20:21], v[76:77]
	s_delay_alu instid0(VALU_DEP_2) | instskip(NEXT) | instid1(VALU_DEP_2)
	v_fma_f64 v[2:3], v[20:21], v[74:75], -v[2:3]
	v_fmac_f64_e32 v[76:77], v[22:23], v[74:75]
	s_delay_alu instid0(VALU_DEP_2) | instskip(NEXT) | instid1(VALU_DEP_2)
	v_add_f64_e32 v[16:17], v[16:17], v[2:3]
	v_add_f64_e32 v[18:19], v[18:19], v[76:77]
.LBB178_336:                            ;   in Loop: Header=BB178_3 Depth=1
	s_or_b32 exec_lo, exec_lo, s37
	s_barrier_signal -1
	s_barrier_wait -1
	s_and_saveexec_b32 s37, s76
	s_cbranch_execz .LBB178_338
; %bb.337:                              ;   in Loop: Header=BB178_3 Depth=1
	ds_load_b128 v[20:23], v1 offset:13200
	s_wait_dscnt 0x0
	v_mul_f64_e32 v[2:3], v[18:19], v[22:23]
	v_mul_f64_e32 v[76:77], v[16:17], v[22:23]
	s_delay_alu instid0(VALU_DEP_2) | instskip(NEXT) | instid1(VALU_DEP_2)
	v_fma_f64 v[74:75], v[16:17], v[20:21], -v[2:3]
	v_fmac_f64_e32 v[76:77], v[18:19], v[20:21]
	s_delay_alu instid0(VALU_DEP_2) | instskip(NEXT) | instid1(VALU_DEP_2)
	v_mov_b64_e32 v[16:17], v[74:75]
	v_mov_b64_e32 v[18:19], v[76:77]
	ds_store_b128 v58, v[74:77]
.LBB178_338:                            ;   in Loop: Header=BB178_3 Depth=1
	s_or_b32 exec_lo, exec_lo, s37
	s_wait_dscnt 0x0
	s_barrier_signal -1
	s_barrier_wait -1
	s_and_saveexec_b32 s37, s77
	s_cbranch_execz .LBB178_340
; %bb.339:                              ;   in Loop: Header=BB178_3 Depth=1
	ds_load_b128 v[20:23], v58
	ds_load_b128 v[74:77], v57 offset:13184
	s_wait_dscnt 0x0
	v_mul_f64_e32 v[2:3], v[22:23], v[76:77]
	v_mul_f64_e32 v[76:77], v[20:21], v[76:77]
	s_delay_alu instid0(VALU_DEP_2) | instskip(NEXT) | instid1(VALU_DEP_2)
	v_fma_f64 v[2:3], v[20:21], v[74:75], -v[2:3]
	v_fmac_f64_e32 v[76:77], v[22:23], v[74:75]
	s_delay_alu instid0(VALU_DEP_2) | instskip(NEXT) | instid1(VALU_DEP_2)
	v_add_f64_e32 v[16:17], v[16:17], v[2:3]
	v_add_f64_e32 v[18:19], v[18:19], v[76:77]
.LBB178_340:                            ;   in Loop: Header=BB178_3 Depth=1
	s_or_b32 exec_lo, exec_lo, s37
	s_barrier_signal -1
	s_barrier_wait -1
	;; [unrolled: 37-line block ×7, first 2 shown]
	s_and_saveexec_b32 s37, s87
	s_cbranch_execz .LBB178_362
; %bb.361:                              ;   in Loop: Header=BB178_3 Depth=1
	ds_load_b128 v[20:23], v1 offset:16368
	s_wait_dscnt 0x0
	v_mul_f64_e32 v[2:3], v[18:19], v[22:23]
	v_mul_f64_e32 v[76:77], v[16:17], v[22:23]
	s_delay_alu instid0(VALU_DEP_2) | instskip(NEXT) | instid1(VALU_DEP_2)
	v_fma_f64 v[74:75], v[16:17], v[20:21], -v[2:3]
	v_fmac_f64_e32 v[76:77], v[18:19], v[20:21]
	s_delay_alu instid0(VALU_DEP_2) | instskip(NEXT) | instid1(VALU_DEP_2)
	v_mov_b64_e32 v[16:17], v[74:75]
	v_mov_b64_e32 v[18:19], v[76:77]
	ds_store_b128 v58, v[74:77]
.LBB178_362:                            ;   in Loop: Header=BB178_3 Depth=1
	s_or_b32 exec_lo, exec_lo, s37
	s_wait_dscnt 0x0
	s_barrier_signal -1
	s_barrier_wait -1
	s_barrier_signal -1
	s_barrier_wait -1
	s_and_saveexec_b32 s37, s7
; %bb.363:                              ;   in Loop: Header=BB178_3 Depth=1
	s_delay_alu instid0(VALU_DEP_2) | instskip(NEXT) | instid1(VALU_DEP_2)
	v_xor_b32_e32 v17, 0x80000000, v17
	v_xor_b32_e32 v19, 0x80000000, v19
	ds_store_b128 v59, v[16:19] offset:8576
; %bb.364:                              ;   in Loop: Header=BB178_3 Depth=1
	s_or_b32 exec_lo, exec_lo, s37
	s_wait_dscnt 0x0
	s_barrier_signal -1
	s_barrier_wait -1
	s_barrier_signal -1
	s_barrier_wait -1
	s_and_saveexec_b32 s37, s1
	s_cbranch_execz .LBB178_366
; %bb.365:                              ;   in Loop: Header=BB178_3 Depth=1
	ds_load_b128 v[16:19], v1 offset:13200
	ds_load_b128 v[20:23], v1 offset:12672
	;; [unrolled: 1-line block ×3, first 2 shown]
	s_wait_dscnt 0x1
	v_mul_f64_e32 v[2:3], v[16:17], v[22:23]
	v_mul_f64_e32 v[22:23], v[18:19], v[22:23]
	s_delay_alu instid0(VALU_DEP_2) | instskip(NEXT) | instid1(VALU_DEP_2)
	v_fmac_f64_e32 v[2:3], v[18:19], v[20:21]
	v_fma_f64 v[16:17], v[16:17], v[20:21], -v[22:23]
	s_wait_dscnt 0x0
	s_delay_alu instid0(VALU_DEP_2) | instskip(NEXT) | instid1(VALU_DEP_2)
	v_mul_f64_e32 v[20:21], v[2:3], v[76:77]
	v_mul_f64_e32 v[18:19], v[16:17], v[76:77]
	s_delay_alu instid0(VALU_DEP_2) | instskip(NEXT) | instid1(VALU_DEP_2)
	v_fma_f64 v[16:17], v[74:75], v[16:17], -v[20:21]
	v_fmac_f64_e32 v[18:19], v[74:75], v[2:3]
	ds_store_b128 v1, v[16:19] offset:12688
.LBB178_366:                            ;   in Loop: Header=BB178_3 Depth=1
	s_or_b32 exec_lo, exec_lo, s37
	v_mov_b64_e32 v[18:19], 0
	v_mov_b64_e32 v[16:17], 0
	s_wait_dscnt 0x0
	s_barrier_signal -1
	s_barrier_wait -1
	s_and_saveexec_b32 s37, s2
	s_cbranch_execz .LBB178_370
; %bb.367:                              ;   in Loop: Header=BB178_3 Depth=1
	ds_load_b128 v[16:19], v49 offset:12672
	ds_load_b128 v[20:23], v48 offset:12704
	s_wait_dscnt 0x0
	v_mul_f64_e32 v[2:3], v[18:19], v[22:23]
	v_mul_f64_e32 v[22:23], v[16:17], v[22:23]
	s_delay_alu instid0(VALU_DEP_2) | instskip(NEXT) | instid1(VALU_DEP_2)
	v_fma_f64 v[2:3], v[16:17], v[20:21], -v[2:3]
	v_fmac_f64_e32 v[22:23], v[18:19], v[20:21]
	s_delay_alu instid0(VALU_DEP_2) | instskip(NEXT) | instid1(VALU_DEP_2)
	v_add_f64_e32 v[16:17], 0, v[2:3]
	v_add_f64_e32 v[18:19], 0, v[22:23]
	s_and_saveexec_b32 s58, s3
	s_cbranch_execz .LBB178_369
; %bb.368:                              ;   in Loop: Header=BB178_3 Depth=1
	ds_load_b128 v[20:23], v1 offset:12688
	ds_load_b128 v[74:77], v50 offset:13216
	s_wait_dscnt 0x0
	v_mul_f64_e32 v[2:3], v[22:23], v[76:77]
	v_mul_f64_e32 v[76:77], v[20:21], v[76:77]
	s_delay_alu instid0(VALU_DEP_2) | instskip(NEXT) | instid1(VALU_DEP_2)
	v_fma_f64 v[2:3], v[20:21], v[74:75], -v[2:3]
	v_fmac_f64_e32 v[76:77], v[22:23], v[74:75]
	s_delay_alu instid0(VALU_DEP_2) | instskip(NEXT) | instid1(VALU_DEP_2)
	v_add_f64_e32 v[16:17], v[16:17], v[2:3]
	v_add_f64_e32 v[18:19], v[18:19], v[76:77]
.LBB178_369:                            ;   in Loop: Header=BB178_3 Depth=1
	s_or_b32 exec_lo, exec_lo, s58
	s_delay_alu instid0(VALU_DEP_2) | instskip(NEXT) | instid1(VALU_DEP_2)
	v_xor_b32_e32 v17, 0x80000000, v17
	v_xor_b32_e32 v19, 0x80000000, v19
.LBB178_370:                            ;   in Loop: Header=BB178_3 Depth=1
	s_or_b32 exec_lo, exec_lo, s37
	s_and_saveexec_b32 s37, s66
	s_cbranch_execz .LBB178_372
; %bb.371:                              ;   in Loop: Header=BB178_3 Depth=1
	ds_load_b128 v[20:23], v1 offset:13728
	s_wait_dscnt 0x0
	v_mul_f64_e32 v[2:3], v[18:19], v[22:23]
	v_mul_f64_e32 v[76:77], v[16:17], v[22:23]
	s_delay_alu instid0(VALU_DEP_2) | instskip(NEXT) | instid1(VALU_DEP_2)
	v_fma_f64 v[74:75], v[16:17], v[20:21], -v[2:3]
	v_fmac_f64_e32 v[76:77], v[18:19], v[20:21]
	s_delay_alu instid0(VALU_DEP_2) | instskip(NEXT) | instid1(VALU_DEP_2)
	v_mov_b64_e32 v[16:17], v[74:75]
	v_mov_b64_e32 v[18:19], v[76:77]
	ds_store_b128 v25, v[74:77]
.LBB178_372:                            ;   in Loop: Header=BB178_3 Depth=1
	s_or_b32 exec_lo, exec_lo, s37
	s_wait_dscnt 0x0
	s_barrier_signal -1
	s_barrier_wait -1
	s_and_saveexec_b32 s37, s67
	s_cbranch_execz .LBB178_374
; %bb.373:                              ;   in Loop: Header=BB178_3 Depth=1
	ds_load_b128 v[20:23], v25
	ds_load_b128 v[74:77], v1 offset:13744
	s_wait_dscnt 0x0
	v_mul_f64_e32 v[2:3], v[22:23], v[76:77]
	v_mul_f64_e32 v[76:77], v[20:21], v[76:77]
	s_delay_alu instid0(VALU_DEP_2) | instskip(NEXT) | instid1(VALU_DEP_2)
	v_fma_f64 v[2:3], v[20:21], v[74:75], -v[2:3]
	v_fmac_f64_e32 v[76:77], v[22:23], v[74:75]
	s_delay_alu instid0(VALU_DEP_2) | instskip(NEXT) | instid1(VALU_DEP_2)
	v_add_f64_e32 v[16:17], v[16:17], v[2:3]
	v_add_f64_e32 v[18:19], v[18:19], v[76:77]
.LBB178_374:                            ;   in Loop: Header=BB178_3 Depth=1
	s_or_b32 exec_lo, exec_lo, s37
	s_barrier_signal -1
	s_barrier_wait -1
	s_and_saveexec_b32 s37, s67
	s_cbranch_execz .LBB178_376
; %bb.375:                              ;   in Loop: Header=BB178_3 Depth=1
	ds_load_b128 v[20:23], v1 offset:14256
	s_wait_dscnt 0x0
	v_mul_f64_e32 v[2:3], v[18:19], v[22:23]
	v_mul_f64_e32 v[76:77], v[16:17], v[22:23]
	s_delay_alu instid0(VALU_DEP_2) | instskip(NEXT) | instid1(VALU_DEP_2)
	v_fma_f64 v[74:75], v[16:17], v[20:21], -v[2:3]
	v_fmac_f64_e32 v[76:77], v[18:19], v[20:21]
	s_delay_alu instid0(VALU_DEP_2) | instskip(NEXT) | instid1(VALU_DEP_2)
	v_mov_b64_e32 v[16:17], v[74:75]
	v_mov_b64_e32 v[18:19], v[76:77]
	ds_store_b128 v25, v[74:77]
.LBB178_376:                            ;   in Loop: Header=BB178_3 Depth=1
	s_or_b32 exec_lo, exec_lo, s37
	s_wait_dscnt 0x0
	s_barrier_signal -1
	s_barrier_wait -1
	s_barrier_signal -1
	s_barrier_wait -1
	s_and_saveexec_b32 s37, s2
; %bb.377:                              ;   in Loop: Header=BB178_3 Depth=1
	s_delay_alu instid0(VALU_DEP_2) | instskip(NEXT) | instid1(VALU_DEP_2)
	v_xor_b32_e32 v17, 0x80000000, v17
	v_xor_b32_e32 v19, 0x80000000, v19
	ds_store_b128 v48, v[16:19] offset:12704
; %bb.378:                              ;   in Loop: Header=BB178_3 Depth=1
	s_or_b32 exec_lo, exec_lo, s37
	s_wait_dscnt 0x0
	s_barrier_signal -1
	s_barrier_wait -1
	s_barrier_signal -1
	s_barrier_wait -1
	s_and_saveexec_b32 s37, s1
	s_cbranch_execz .LBB178_380
; %bb.379:                              ;   in Loop: Header=BB178_3 Depth=1
	ds_load_b128 v[16:19], v1 offset:14256
	ds_load_b128 v[20:23], v1 offset:13728
	;; [unrolled: 1-line block ×3, first 2 shown]
	s_wait_dscnt 0x1
	v_mul_f64_e32 v[2:3], v[16:17], v[22:23]
	v_mul_f64_e32 v[22:23], v[18:19], v[22:23]
	s_delay_alu instid0(VALU_DEP_2) | instskip(NEXT) | instid1(VALU_DEP_2)
	v_fmac_f64_e32 v[2:3], v[18:19], v[20:21]
	v_fma_f64 v[16:17], v[16:17], v[20:21], -v[22:23]
	s_wait_dscnt 0x0
	s_delay_alu instid0(VALU_DEP_2) | instskip(NEXT) | instid1(VALU_DEP_2)
	v_mul_f64_e32 v[20:21], v[2:3], v[76:77]
	v_mul_f64_e32 v[18:19], v[16:17], v[76:77]
	s_delay_alu instid0(VALU_DEP_2) | instskip(NEXT) | instid1(VALU_DEP_2)
	v_fma_f64 v[16:17], v[74:75], v[16:17], -v[20:21]
	v_fmac_f64_e32 v[18:19], v[74:75], v[2:3]
	ds_store_b128 v1, v[16:19] offset:13744
.LBB178_380:                            ;   in Loop: Header=BB178_3 Depth=1
	s_or_b32 exec_lo, exec_lo, s37
	v_mov_b64_e32 v[18:19], 0
	v_mov_b64_e32 v[16:17], 0
	s_wait_dscnt 0x0
	s_barrier_signal -1
	s_barrier_wait -1
	s_and_saveexec_b32 s37, s4
	s_cbranch_execz .LBB178_386
; %bb.381:                              ;   in Loop: Header=BB178_3 Depth=1
	ds_load_b128 v[16:19], v52 offset:12672
	ds_load_b128 v[20:23], v54 offset:12736
	s_wait_dscnt 0x0
	v_mul_f64_e32 v[2:3], v[18:19], v[22:23]
	v_mul_f64_e32 v[22:23], v[16:17], v[22:23]
	s_delay_alu instid0(VALU_DEP_2) | instskip(NEXT) | instid1(VALU_DEP_2)
	v_fma_f64 v[2:3], v[16:17], v[20:21], -v[2:3]
	v_fmac_f64_e32 v[22:23], v[18:19], v[20:21]
	s_delay_alu instid0(VALU_DEP_2) | instskip(NEXT) | instid1(VALU_DEP_2)
	v_add_f64_e32 v[16:17], 0, v[2:3]
	v_add_f64_e32 v[18:19], 0, v[22:23]
	s_and_saveexec_b32 s58, s5
	s_cbranch_execnz .LBB178_542
; %bb.382:                              ;   in Loop: Header=BB178_3 Depth=1
	s_or_b32 exec_lo, exec_lo, s58
	s_and_saveexec_b32 s58, s6
	s_cbranch_execnz .LBB178_543
.LBB178_383:                            ;   in Loop: Header=BB178_3 Depth=1
	s_or_b32 exec_lo, exec_lo, s58
	s_and_saveexec_b32 s58, s2
	s_cbranch_execz .LBB178_385
.LBB178_384:                            ;   in Loop: Header=BB178_3 Depth=1
	ds_load_b128 v[20:23], v1 offset:12720
	ds_load_b128 v[74:77], v50 offset:14272
	s_wait_dscnt 0x0
	v_mul_f64_e32 v[2:3], v[22:23], v[76:77]
	v_mul_f64_e32 v[76:77], v[20:21], v[76:77]
	s_delay_alu instid0(VALU_DEP_2) | instskip(NEXT) | instid1(VALU_DEP_2)
	v_fma_f64 v[2:3], v[20:21], v[74:75], -v[2:3]
	v_fmac_f64_e32 v[76:77], v[22:23], v[74:75]
	s_delay_alu instid0(VALU_DEP_2) | instskip(NEXT) | instid1(VALU_DEP_2)
	v_add_f64_e32 v[16:17], v[16:17], v[2:3]
	v_add_f64_e32 v[18:19], v[18:19], v[76:77]
.LBB178_385:                            ;   in Loop: Header=BB178_3 Depth=1
	s_or_b32 exec_lo, exec_lo, s58
	s_delay_alu instid0(VALU_DEP_2) | instskip(NEXT) | instid1(VALU_DEP_2)
	v_xor_b32_e32 v17, 0x80000000, v17
	v_xor_b32_e32 v19, 0x80000000, v19
.LBB178_386:                            ;   in Loop: Header=BB178_3 Depth=1
	s_or_b32 exec_lo, exec_lo, s37
	s_and_saveexec_b32 s37, s68
	s_cbranch_execz .LBB178_388
; %bb.387:                              ;   in Loop: Header=BB178_3 Depth=1
	ds_load_b128 v[20:23], v1 offset:14784
	s_wait_dscnt 0x0
	v_mul_f64_e32 v[2:3], v[18:19], v[22:23]
	v_mul_f64_e32 v[76:77], v[16:17], v[22:23]
	s_delay_alu instid0(VALU_DEP_2) | instskip(NEXT) | instid1(VALU_DEP_2)
	v_fma_f64 v[74:75], v[16:17], v[20:21], -v[2:3]
	v_fmac_f64_e32 v[76:77], v[18:19], v[20:21]
	s_delay_alu instid0(VALU_DEP_2) | instskip(NEXT) | instid1(VALU_DEP_2)
	v_mov_b64_e32 v[16:17], v[74:75]
	v_mov_b64_e32 v[18:19], v[76:77]
	ds_store_b128 v53, v[74:77]
.LBB178_388:                            ;   in Loop: Header=BB178_3 Depth=1
	s_or_b32 exec_lo, exec_lo, s37
	s_wait_dscnt 0x0
	s_barrier_signal -1
	s_barrier_wait -1
	s_and_saveexec_b32 s37, s69
	s_cbranch_execz .LBB178_390
; %bb.389:                              ;   in Loop: Header=BB178_3 Depth=1
	ds_load_b128 v[20:23], v53
	ds_load_b128 v[74:77], v51 offset:14784
	s_wait_dscnt 0x0
	v_mul_f64_e32 v[2:3], v[22:23], v[76:77]
	v_mul_f64_e32 v[76:77], v[20:21], v[76:77]
	s_delay_alu instid0(VALU_DEP_2) | instskip(NEXT) | instid1(VALU_DEP_2)
	v_fma_f64 v[2:3], v[20:21], v[74:75], -v[2:3]
	v_fmac_f64_e32 v[76:77], v[22:23], v[74:75]
	s_delay_alu instid0(VALU_DEP_2) | instskip(NEXT) | instid1(VALU_DEP_2)
	v_add_f64_e32 v[16:17], v[16:17], v[2:3]
	v_add_f64_e32 v[18:19], v[18:19], v[76:77]
.LBB178_390:                            ;   in Loop: Header=BB178_3 Depth=1
	s_or_b32 exec_lo, exec_lo, s37
	s_barrier_signal -1
	s_barrier_wait -1
	s_and_saveexec_b32 s37, s70
	s_cbranch_execz .LBB178_392
; %bb.391:                              ;   in Loop: Header=BB178_3 Depth=1
	ds_load_b128 v[20:23], v1 offset:15312
	s_wait_dscnt 0x0
	v_mul_f64_e32 v[2:3], v[18:19], v[22:23]
	v_mul_f64_e32 v[76:77], v[16:17], v[22:23]
	s_delay_alu instid0(VALU_DEP_2) | instskip(NEXT) | instid1(VALU_DEP_2)
	v_fma_f64 v[74:75], v[16:17], v[20:21], -v[2:3]
	v_fmac_f64_e32 v[76:77], v[18:19], v[20:21]
	s_delay_alu instid0(VALU_DEP_2) | instskip(NEXT) | instid1(VALU_DEP_2)
	v_mov_b64_e32 v[16:17], v[74:75]
	v_mov_b64_e32 v[18:19], v[76:77]
	ds_store_b128 v53, v[74:77]
.LBB178_392:                            ;   in Loop: Header=BB178_3 Depth=1
	s_or_b32 exec_lo, exec_lo, s37
	s_wait_dscnt 0x0
	s_barrier_signal -1
	s_barrier_wait -1
	s_and_saveexec_b32 s37, s71
	s_cbranch_execz .LBB178_394
; %bb.393:                              ;   in Loop: Header=BB178_3 Depth=1
	ds_load_b128 v[20:23], v53
	ds_load_b128 v[74:77], v51 offset:15296
	s_wait_dscnt 0x0
	v_mul_f64_e32 v[2:3], v[22:23], v[76:77]
	v_mul_f64_e32 v[76:77], v[20:21], v[76:77]
	s_delay_alu instid0(VALU_DEP_2) | instskip(NEXT) | instid1(VALU_DEP_2)
	v_fma_f64 v[2:3], v[20:21], v[74:75], -v[2:3]
	v_fmac_f64_e32 v[76:77], v[22:23], v[74:75]
	s_delay_alu instid0(VALU_DEP_2) | instskip(NEXT) | instid1(VALU_DEP_2)
	v_add_f64_e32 v[16:17], v[16:17], v[2:3]
	v_add_f64_e32 v[18:19], v[18:19], v[76:77]
.LBB178_394:                            ;   in Loop: Header=BB178_3 Depth=1
	s_or_b32 exec_lo, exec_lo, s37
	s_barrier_signal -1
	s_barrier_wait -1
	;; [unrolled: 37-line block ×3, first 2 shown]
	s_and_saveexec_b32 s37, s73
	s_cbranch_execz .LBB178_400
; %bb.399:                              ;   in Loop: Header=BB178_3 Depth=1
	ds_load_b128 v[20:23], v1 offset:16368
	s_wait_dscnt 0x0
	v_mul_f64_e32 v[2:3], v[18:19], v[22:23]
	v_mul_f64_e32 v[76:77], v[16:17], v[22:23]
	s_delay_alu instid0(VALU_DEP_2) | instskip(NEXT) | instid1(VALU_DEP_2)
	v_fma_f64 v[74:75], v[16:17], v[20:21], -v[2:3]
	v_fmac_f64_e32 v[76:77], v[18:19], v[20:21]
	s_delay_alu instid0(VALU_DEP_2) | instskip(NEXT) | instid1(VALU_DEP_2)
	v_mov_b64_e32 v[16:17], v[74:75]
	v_mov_b64_e32 v[18:19], v[76:77]
	ds_store_b128 v53, v[74:77]
.LBB178_400:                            ;   in Loop: Header=BB178_3 Depth=1
	s_or_b32 exec_lo, exec_lo, s37
	s_wait_dscnt 0x0
	s_barrier_signal -1
	s_barrier_wait -1
	s_barrier_signal -1
	s_barrier_wait -1
	s_and_saveexec_b32 s37, s4
; %bb.401:                              ;   in Loop: Header=BB178_3 Depth=1
	s_delay_alu instid0(VALU_DEP_1) | instskip(NEXT) | instid1(VALU_DEP_3)
	v_xor_b32_e32 v19, 0x80000000, v19
	v_xor_b32_e32 v17, 0x80000000, v17
	ds_store_b128 v54, v[16:19] offset:12736
; %bb.402:                              ;   in Loop: Header=BB178_3 Depth=1
	s_or_b32 exec_lo, exec_lo, s37
	s_wait_dscnt 0x0
	s_barrier_signal -1
	s_barrier_wait -1
	s_barrier_signal -1
	s_barrier_wait -1
	s_and_saveexec_b32 s37, s1
	s_cbranch_execz .LBB178_404
; %bb.403:                              ;   in Loop: Header=BB178_3 Depth=1
	ds_load_b128 v[16:19], v1 offset:15312
	ds_load_b128 v[20:23], v1 offset:14784
	;; [unrolled: 1-line block ×3, first 2 shown]
	s_wait_dscnt 0x1
	v_mul_f64_e32 v[2:3], v[16:17], v[22:23]
	v_mul_f64_e32 v[22:23], v[18:19], v[22:23]
	s_delay_alu instid0(VALU_DEP_2) | instskip(NEXT) | instid1(VALU_DEP_2)
	v_fmac_f64_e32 v[2:3], v[18:19], v[20:21]
	v_fma_f64 v[16:17], v[16:17], v[20:21], -v[22:23]
	s_wait_dscnt 0x0
	s_delay_alu instid0(VALU_DEP_2) | instskip(NEXT) | instid1(VALU_DEP_2)
	v_mul_f64_e32 v[20:21], v[2:3], v[76:77]
	v_mul_f64_e32 v[18:19], v[16:17], v[76:77]
	s_delay_alu instid0(VALU_DEP_2) | instskip(NEXT) | instid1(VALU_DEP_2)
	v_fma_f64 v[16:17], v[74:75], v[16:17], -v[20:21]
	v_fmac_f64_e32 v[18:19], v[74:75], v[2:3]
	ds_store_b128 v1, v[16:19] offset:14800
.LBB178_404:                            ;   in Loop: Header=BB178_3 Depth=1
	s_or_b32 exec_lo, exec_lo, s37
	v_mov_b64_e32 v[18:19], 0
	v_mov_b64_e32 v[16:17], 0
	s_wait_dscnt 0x0
	s_barrier_signal -1
	s_barrier_wait -1
	s_and_saveexec_b32 s37, s2
	s_cbranch_execz .LBB178_408
; %bb.405:                              ;   in Loop: Header=BB178_3 Depth=1
	ds_load_b128 v[16:19], v49 offset:14784
	ds_load_b128 v[20:23], v48 offset:14816
	s_wait_dscnt 0x0
	v_mul_f64_e32 v[2:3], v[18:19], v[22:23]
	v_mul_f64_e32 v[22:23], v[16:17], v[22:23]
	s_delay_alu instid0(VALU_DEP_2) | instskip(NEXT) | instid1(VALU_DEP_2)
	v_fma_f64 v[2:3], v[16:17], v[20:21], -v[2:3]
	v_fmac_f64_e32 v[22:23], v[18:19], v[20:21]
	s_delay_alu instid0(VALU_DEP_2) | instskip(NEXT) | instid1(VALU_DEP_2)
	v_add_f64_e32 v[16:17], 0, v[2:3]
	v_add_f64_e32 v[18:19], 0, v[22:23]
	s_and_saveexec_b32 s58, s3
	s_cbranch_execz .LBB178_407
; %bb.406:                              ;   in Loop: Header=BB178_3 Depth=1
	ds_load_b128 v[20:23], v1 offset:14800
	ds_load_b128 v[74:77], v50 offset:15328
	s_wait_dscnt 0x0
	v_mul_f64_e32 v[2:3], v[22:23], v[76:77]
	v_mul_f64_e32 v[76:77], v[20:21], v[76:77]
	s_delay_alu instid0(VALU_DEP_2) | instskip(NEXT) | instid1(VALU_DEP_2)
	v_fma_f64 v[2:3], v[20:21], v[74:75], -v[2:3]
	v_fmac_f64_e32 v[76:77], v[22:23], v[74:75]
	s_delay_alu instid0(VALU_DEP_2) | instskip(NEXT) | instid1(VALU_DEP_2)
	v_add_f64_e32 v[16:17], v[16:17], v[2:3]
	v_add_f64_e32 v[18:19], v[18:19], v[76:77]
.LBB178_407:                            ;   in Loop: Header=BB178_3 Depth=1
	s_or_b32 exec_lo, exec_lo, s58
	s_delay_alu instid0(VALU_DEP_2) | instskip(NEXT) | instid1(VALU_DEP_2)
	v_xor_b32_e32 v17, 0x80000000, v17
	v_xor_b32_e32 v19, 0x80000000, v19
.LBB178_408:                            ;   in Loop: Header=BB178_3 Depth=1
	s_or_b32 exec_lo, exec_lo, s37
	s_and_saveexec_b32 s37, s66
	s_cbranch_execz .LBB178_410
; %bb.409:                              ;   in Loop: Header=BB178_3 Depth=1
	ds_load_b128 v[20:23], v1 offset:15840
	s_wait_dscnt 0x0
	v_mul_f64_e32 v[2:3], v[18:19], v[22:23]
	v_mul_f64_e32 v[76:77], v[16:17], v[22:23]
	s_delay_alu instid0(VALU_DEP_2) | instskip(NEXT) | instid1(VALU_DEP_2)
	v_fma_f64 v[74:75], v[16:17], v[20:21], -v[2:3]
	v_fmac_f64_e32 v[76:77], v[18:19], v[20:21]
	s_delay_alu instid0(VALU_DEP_2) | instskip(NEXT) | instid1(VALU_DEP_2)
	v_mov_b64_e32 v[16:17], v[74:75]
	v_mov_b64_e32 v[18:19], v[76:77]
	ds_store_b128 v25, v[74:77]
.LBB178_410:                            ;   in Loop: Header=BB178_3 Depth=1
	s_or_b32 exec_lo, exec_lo, s37
	s_wait_dscnt 0x0
	s_barrier_signal -1
	s_barrier_wait -1
	s_and_saveexec_b32 s37, s67
	s_cbranch_execz .LBB178_412
; %bb.411:                              ;   in Loop: Header=BB178_3 Depth=1
	ds_load_b128 v[20:23], v25
	ds_load_b128 v[74:77], v1 offset:15856
	s_wait_dscnt 0x0
	v_mul_f64_e32 v[2:3], v[22:23], v[76:77]
	v_mul_f64_e32 v[76:77], v[20:21], v[76:77]
	s_delay_alu instid0(VALU_DEP_2) | instskip(NEXT) | instid1(VALU_DEP_2)
	v_fma_f64 v[2:3], v[20:21], v[74:75], -v[2:3]
	v_fmac_f64_e32 v[76:77], v[22:23], v[74:75]
	s_delay_alu instid0(VALU_DEP_2) | instskip(NEXT) | instid1(VALU_DEP_2)
	v_add_f64_e32 v[16:17], v[16:17], v[2:3]
	v_add_f64_e32 v[18:19], v[18:19], v[76:77]
.LBB178_412:                            ;   in Loop: Header=BB178_3 Depth=1
	s_or_b32 exec_lo, exec_lo, s37
	s_barrier_signal -1
	s_barrier_wait -1
	s_and_saveexec_b32 s37, s67
	s_cbranch_execz .LBB178_414
; %bb.413:                              ;   in Loop: Header=BB178_3 Depth=1
	ds_load_b128 v[20:23], v1 offset:16368
	s_wait_dscnt 0x0
	v_mul_f64_e32 v[2:3], v[18:19], v[22:23]
	v_mul_f64_e32 v[76:77], v[16:17], v[22:23]
	s_delay_alu instid0(VALU_DEP_2) | instskip(NEXT) | instid1(VALU_DEP_2)
	v_fma_f64 v[74:75], v[16:17], v[20:21], -v[2:3]
	v_fmac_f64_e32 v[76:77], v[18:19], v[20:21]
	s_delay_alu instid0(VALU_DEP_2) | instskip(NEXT) | instid1(VALU_DEP_2)
	v_mov_b64_e32 v[16:17], v[74:75]
	v_mov_b64_e32 v[18:19], v[76:77]
	ds_store_b128 v25, v[74:77]
.LBB178_414:                            ;   in Loop: Header=BB178_3 Depth=1
	s_or_b32 exec_lo, exec_lo, s37
	s_wait_dscnt 0x0
	s_barrier_signal -1
	s_barrier_wait -1
	s_barrier_signal -1
	s_barrier_wait -1
	s_and_saveexec_b32 s37, s2
; %bb.415:                              ;   in Loop: Header=BB178_3 Depth=1
	s_delay_alu instid0(VALU_DEP_2) | instskip(NEXT) | instid1(VALU_DEP_2)
	v_xor_b32_e32 v17, 0x80000000, v17
	v_xor_b32_e32 v19, 0x80000000, v19
	ds_store_b128 v48, v[16:19] offset:14816
; %bb.416:                              ;   in Loop: Header=BB178_3 Depth=1
	s_or_b32 exec_lo, exec_lo, s37
	s_wait_dscnt 0x0
	s_barrier_signal -1
	s_barrier_wait -1
	s_barrier_signal -1
	s_barrier_wait -1
	s_and_saveexec_b32 s37, s1
	s_cbranch_execz .LBB178_418
; %bb.417:                              ;   in Loop: Header=BB178_3 Depth=1
	ds_load_b128 v[16:19], v1 offset:16368
	ds_load_b128 v[20:23], v1 offset:15840
	;; [unrolled: 1-line block ×3, first 2 shown]
	s_wait_dscnt 0x1
	v_mul_f64_e32 v[2:3], v[16:17], v[22:23]
	v_mul_f64_e32 v[22:23], v[18:19], v[22:23]
	s_delay_alu instid0(VALU_DEP_2) | instskip(NEXT) | instid1(VALU_DEP_2)
	v_fmac_f64_e32 v[2:3], v[18:19], v[20:21]
	v_fma_f64 v[16:17], v[16:17], v[20:21], -v[22:23]
	s_wait_dscnt 0x0
	s_delay_alu instid0(VALU_DEP_2) | instskip(NEXT) | instid1(VALU_DEP_2)
	v_mul_f64_e32 v[20:21], v[2:3], v[76:77]
	v_mul_f64_e32 v[18:19], v[16:17], v[76:77]
	s_delay_alu instid0(VALU_DEP_2) | instskip(NEXT) | instid1(VALU_DEP_2)
	v_fma_f64 v[16:17], v[74:75], v[16:17], -v[20:21]
	v_fmac_f64_e32 v[18:19], v[74:75], v[2:3]
	ds_store_b128 v1, v[16:19] offset:15856
.LBB178_418:                            ;   in Loop: Header=BB178_3 Depth=1
	s_or_b32 exec_lo, exec_lo, s37
.LBB178_419:                            ;   in Loop: Header=BB178_3 Depth=1
	v_add_nc_u64_e32 v[20:21], s[44:45], v[44:45]
	v_mov_b64_e32 v[16:17], 0
	v_mov_b64_e32 v[18:19], 0
	s_wait_dscnt 0x0
	s_barrier_signal -1
	s_barrier_wait -1
	s_wait_xcnt 0x0
	s_and_saveexec_b32 s37, s14
	s_cbranch_execz .LBB178_421
; %bb.420:                              ;   in Loop: Header=BB178_3 Depth=1
	v_lshl_add_u64 v[2:3], v[32:33], 4, v[20:21]
	flat_load_b128 v[74:77], v[2:3]
	s_wait_loadcnt_dscnt 0x0
	v_mul_f64_e32 v[2:3], v[12:13], v[74:75]
	v_mul_f64_e32 v[12:13], v[12:13], v[76:77]
	s_delay_alu instid0(VALU_DEP_2) | instskip(NEXT) | instid1(VALU_DEP_2)
	v_fma_f64 v[16:17], v[14:15], v[76:77], -v[2:3]
	v_fma_f64 v[18:19], v[74:75], -v[14:15], -v[12:13]
.LBB178_421:                            ;   in Loop: Header=BB178_3 Depth=1
	s_or_b32 exec_lo, exec_lo, s37
	s_delay_alu instid0(SALU_CYCLE_1)
	s_and_not1_b32 vcc_lo, exec_lo, s8
	s_cbranch_vccnz .LBB178_444
; %bb.422:                              ;   in Loop: Header=BB178_3 Depth=1
	v_lshl_add_u64 v[12:13], v[28:29], 4, v[42:43]
	v_mov_b32_e32 v42, -1
	s_lshl_b64 s[58:59], s[38:39], 2
	s_mov_b32 s91, 0
	s_add_nc_u64 s[58:59], s[54:55], s[58:59]
	s_branch .LBB178_425
.LBB178_423:                            ;   in Loop: Header=BB178_425 Depth=2
	ds_load_b128 v[74:77], v66 offset:256
	s_wait_loadcnt_dscnt 0x0
	v_mul_f64_e32 v[14:15], v[22:23], v[76:77]
	v_mul_f64_e32 v[44:45], v[2:3], v[76:77]
	s_delay_alu instid0(VALU_DEP_2) | instskip(NEXT) | instid1(VALU_DEP_2)
	v_fma_f64 v[2:3], v[2:3], v[74:75], -v[14:15]
	v_fmac_f64_e32 v[44:45], v[22:23], v[74:75]
	s_delay_alu instid0(VALU_DEP_2) | instskip(NEXT) | instid1(VALU_DEP_2)
	v_add_f64_e32 v[16:17], v[16:17], v[2:3]
	v_add_f64_e32 v[18:19], v[18:19], v[44:45]
.LBB178_424:                            ;   in Loop: Header=BB178_425 Depth=2
	s_or_b32 exec_lo, exec_lo, s37
	s_add_co_i32 s91, s91, 1
	s_delay_alu instid0(SALU_CYCLE_1)
	s_cmp_eq_u32 s91, s62
	s_cbranch_scc1 .LBB178_444
.LBB178_425:                            ;   Parent Loop BB178_3 Depth=1
                                        ; =>  This Loop Header: Depth=2
                                        ;       Child Loop BB178_427 Depth 3
	v_cmp_gt_i32_e32 vcc_lo, s91, v42
	s_and_b32 s92, s30, vcc_lo
	s_delay_alu instid0(SALU_CYCLE_1)
	s_and_saveexec_b32 s37, s92
	s_cbranch_execz .LBB178_428
; %bb.426:                              ;   in Loop: Header=BB178_425 Depth=2
	global_load_b32 v42, v1, s[58:59]
	s_wait_loadcnt 0x0
	v_cmp_le_i32_e32 vcc_lo, s91, v42
	s_cbranch_vccnz .LBB178_428
.LBB178_427:                            ;   Parent Loop BB178_3 Depth=1
                                        ;     Parent Loop BB178_425 Depth=2
                                        ; =>    This Inner Loop Header: Depth=3
	global_wb scope:SCOPE_DEV
	s_wait_storecnt 0x0
	global_inv scope:SCOPE_DEV
	global_load_b32 v42, v1, s[58:59]
	s_wait_loadcnt 0x0
	v_cmp_gt_i32_e32 vcc_lo, s91, v42
	s_cbranch_vccnz .LBB178_427
.LBB178_428:                            ;   in Loop: Header=BB178_425 Depth=2
	s_or_b32 exec_lo, exec_lo, s37
	s_lshl_b32 s37, s91, 5
	global_wb scope:SCOPE_DEV
	s_wait_storecnt 0x0
	global_inv scope:SCOPE_DEV
	s_wait_loadcnt 0x0
	s_barrier_signal -1
	s_barrier_wait -1
	s_and_saveexec_b32 s92, s31
	s_cbranch_execz .LBB178_433
; %bb.429:                              ;   in Loop: Header=BB178_425 Depth=2
	v_or_b32_e32 v0, s37, v26
	s_delay_alu instid0(VALU_DEP_1) | instskip(SKIP_1) | instid1(SALU_CYCLE_1)
	v_cmp_le_i32_e32 vcc_lo, s61, v0
	s_and_saveexec_b32 s93, vcc_lo
	s_xor_b32 vcc_lo, exec_lo, s93
; %bb.430:                              ;   in Loop: Header=BB178_425 Depth=2
	v_dual_mov_b32 v0, v1 :: v_dual_mov_b32 v2, v1
	v_mov_b32_e32 v3, v1
	ds_store_b128 v67, v[0:3]
; %bb.431:                              ;   in Loop: Header=BB178_425 Depth=2
	s_and_not1_saveexec_b32 s93, vcc_lo
	s_cbranch_execz .LBB178_433
; %bb.432:                              ;   in Loop: Header=BB178_425 Depth=2
	v_mul_u64_e32 v[2:3], s[46:47], v[0:1]
	s_delay_alu instid0(VALU_DEP_1)
	v_lshl_add_u64 v[2:3], v[2:3], 4, v[20:21]
	flat_load_b128 v[74:77], v[2:3]
	s_wait_loadcnt_dscnt 0x0
	ds_store_2addr_b64 v67, v[74:75], v[76:77] offset1:1
.LBB178_433:                            ;   in Loop: Header=BB178_425 Depth=2
	s_or_b32 exec_lo, exec_lo, s92
	v_add_nc_u32_e32 v0, s37, v46
	v_cmp_ne_u32_e32 vcc_lo, s91, v47
	s_wait_dscnt 0x0
	s_barrier_signal -1
	s_barrier_wait -1
	v_mul_u64_e32 v[2:3], s[52:53], v[0:1]
	v_cmp_gt_i32_e64 s37, s61, v0
	v_cndmask_b32_e64 v43, 0, 1, vcc_lo
	s_and_b32 s92, s0, s37
	v_lshl_add_u64 v[2:3], v[2:3], 4, v[12:13]
	s_and_saveexec_b32 s37, s92
	s_cbranch_execz .LBB178_439
; %bb.434:                              ;   in Loop: Header=BB178_425 Depth=2
	v_mov_b64_e32 v[14:15], v[4:5]
	s_and_not1_b32 vcc_lo, exec_lo, vcc_lo
	s_cbranch_vccnz .LBB178_436
; %bb.435:                              ;   in Loop: Header=BB178_425 Depth=2
	flat_load_b64 v[14:15], v[2:3]
.LBB178_436:                            ;   in Loop: Header=BB178_425 Depth=2
	v_cmp_ne_u32_e32 vcc_lo, 1, v43
	v_mov_b64_e32 v[22:23], v[6:7]
	s_cbranch_vccnz .LBB178_438
; %bb.437:                              ;   in Loop: Header=BB178_425 Depth=2
	flat_load_b64 v[22:23], v[2:3] offset:8
.LBB178_438:                            ;   in Loop: Header=BB178_425 Depth=2
	ds_load_b128 v[74:77], v66
	s_wait_loadcnt_dscnt 0x0
	v_mul_f64_e32 v[44:45], v[22:23], v[76:77]
	v_mul_f64_e32 v[76:77], v[14:15], v[76:77]
	s_delay_alu instid0(VALU_DEP_2) | instskip(NEXT) | instid1(VALU_DEP_2)
	v_fma_f64 v[14:15], v[14:15], v[74:75], -v[44:45]
	v_fmac_f64_e32 v[76:77], v[22:23], v[74:75]
	s_delay_alu instid0(VALU_DEP_2) | instskip(NEXT) | instid1(VALU_DEP_2)
	v_add_f64_e32 v[16:17], v[16:17], v[14:15]
	v_add_f64_e32 v[18:19], v[18:19], v[76:77]
.LBB178_439:                            ;   in Loop: Header=BB178_425 Depth=2
	s_or_b32 exec_lo, exec_lo, s37
	v_add_nc_u32_e32 v0, 16, v0
	s_delay_alu instid0(VALU_DEP_1) | instskip(SKIP_1) | instid1(SALU_CYCLE_1)
	v_cmp_gt_i32_e32 vcc_lo, s61, v0
	s_and_b32 s92, s0, vcc_lo
	s_and_saveexec_b32 s37, s92
	s_cbranch_execz .LBB178_424
; %bb.440:                              ;   in Loop: Header=BB178_425 Depth=2
	v_cmp_ne_u32_e32 vcc_lo, 1, v43
	v_add_nc_u64_e32 v[14:15], s[56:57], v[2:3]
	v_mov_b64_e32 v[2:3], v[8:9]
	s_cbranch_vccnz .LBB178_442
; %bb.441:                              ;   in Loop: Header=BB178_425 Depth=2
	flat_load_b64 v[2:3], v[14:15]
.LBB178_442:                            ;   in Loop: Header=BB178_425 Depth=2
	v_cmp_ne_u32_e32 vcc_lo, 1, v43
	v_mov_b64_e32 v[22:23], v[10:11]
	s_cbranch_vccnz .LBB178_423
; %bb.443:                              ;   in Loop: Header=BB178_425 Depth=2
	flat_load_b64 v[22:23], v[14:15] offset:8
	s_branch .LBB178_423
.LBB178_444:                            ;   in Loop: Header=BB178_3 Depth=1
	ds_store_b128 v68, v[16:19]
	s_wait_dscnt 0x0
	s_barrier_signal -1
	s_barrier_wait -1
	s_and_saveexec_b32 s37, s10
	s_cbranch_execz .LBB178_446
; %bb.445:                              ;   in Loop: Header=BB178_3 Depth=1
	ds_load_b128 v[12:15], v69 offset:512
	ds_load_b128 v[42:45], v69 offset:1024
	s_wait_dscnt 0x1
	v_add_f64_e32 v[2:3], v[16:17], v[12:13]
	v_add_f64_e32 v[12:13], v[18:19], v[14:15]
	s_wait_dscnt 0x0
	s_delay_alu instid0(VALU_DEP_2) | instskip(NEXT) | instid1(VALU_DEP_2)
	v_add_f64_e32 v[2:3], v[2:3], v[42:43]
	v_add_f64_e32 v[22:23], v[12:13], v[44:45]
	ds_load_b128 v[12:15], v69 offset:1536
	ds_load_b128 v[16:19], v69 offset:2048
	s_wait_dscnt 0x1
	v_add_f64_e32 v[2:3], v[2:3], v[12:13]
	v_add_f64_e32 v[12:13], v[22:23], v[14:15]
	s_wait_dscnt 0x0
	s_delay_alu instid0(VALU_DEP_2) | instskip(NEXT) | instid1(VALU_DEP_2)
	v_add_f64_e32 v[2:3], v[2:3], v[16:17]
	v_add_f64_e32 v[22:23], v[12:13], v[18:19]
	;; [unrolled: 9-line block ×7, first 2 shown]
	ds_load_b128 v[12:15], v69 offset:7680
	s_wait_dscnt 0x0
	v_add_f64_e32 v[2:3], v[2:3], v[12:13]
	v_add_f64_e32 v[12:13], v[16:17], v[14:15]
	s_delay_alu instid0(VALU_DEP_2) | instskip(NEXT) | instid1(VALU_DEP_2)
	v_xor_b32_e32 v0, 0x80000000, v3
	v_xor_b32_e32 v3, 0x80000000, v13
	s_delay_alu instid0(VALU_DEP_4) | instskip(NEXT) | instid1(VALU_DEP_4)
	v_cndmask_b32_e64 v16, v2, 0, s29
	v_cndmask_b32_e64 v18, v12, 0, s29
	s_delay_alu instid0(VALU_DEP_4) | instskip(NEXT) | instid1(VALU_DEP_4)
	v_cndmask_b32_e64 v17, v0, 0, s29
	v_cndmask_b32_e64 v19, v3, 0, s29
.LBB178_446:                            ;   in Loop: Header=BB178_3 Depth=1
	s_or_b32 exec_lo, exec_lo, s37
	s_delay_alu instid0(SALU_CYCLE_1)
	s_and_not1_b32 vcc_lo, exec_lo, s65
	s_cbranch_vccnz .LBB178_455
; %bb.447:                              ;   in Loop: Header=BB178_3 Depth=1
	s_and_saveexec_b32 s37, s10
; %bb.448:                              ;   in Loop: Header=BB178_3 Depth=1
	ds_store_b128 v71, v[16:19]
; %bb.449:                              ;   in Loop: Header=BB178_3 Depth=1
	s_or_b32 exec_lo, exec_lo, s37
	v_mov_b64_e32 v[12:13], 0
	v_mov_b64_e32 v[14:15], 0
	s_wait_dscnt 0x0
	s_barrier_signal -1
	s_barrier_wait -1
	s_and_saveexec_b32 s37, s33
	s_cbranch_execz .LBB178_451
; %bb.450:                              ;   in Loop: Header=BB178_3 Depth=1
	ds_load_b128 v[12:15], v66
	ds_load_b128 v[42:45], v70
	s_wait_dscnt 0x0
	v_mul_f64_e32 v[2:3], v[14:15], v[44:45]
	v_mul_f64_e32 v[22:23], v[12:13], v[44:45]
	s_delay_alu instid0(VALU_DEP_2) | instskip(NEXT) | instid1(VALU_DEP_2)
	v_fma_f64 v[2:3], v[12:13], v[42:43], -v[2:3]
	v_fmac_f64_e32 v[22:23], v[14:15], v[42:43]
	s_delay_alu instid0(VALU_DEP_2) | instskip(NEXT) | instid1(VALU_DEP_2)
	v_add_f64_e32 v[12:13], 0, v[2:3]
	v_add_f64_e32 v[14:15], 0, v[22:23]
.LBB178_451:                            ;   in Loop: Header=BB178_3 Depth=1
	s_or_b32 exec_lo, exec_lo, s37
	s_and_saveexec_b32 s37, s34
	s_cbranch_execz .LBB178_453
; %bb.452:                              ;   in Loop: Header=BB178_3 Depth=1
	ds_load_b128 v[42:45], v66 offset:256
	ds_load_b128 v[74:77], v70 offset:8192
	s_wait_dscnt 0x0
	v_mul_f64_e32 v[2:3], v[44:45], v[76:77]
	v_mul_f64_e32 v[22:23], v[42:43], v[76:77]
	s_delay_alu instid0(VALU_DEP_2) | instskip(NEXT) | instid1(VALU_DEP_2)
	v_fma_f64 v[2:3], v[42:43], v[74:75], -v[2:3]
	v_fmac_f64_e32 v[22:23], v[44:45], v[74:75]
	s_delay_alu instid0(VALU_DEP_2) | instskip(NEXT) | instid1(VALU_DEP_2)
	v_add_f64_e32 v[12:13], v[12:13], v[2:3]
	v_add_f64_e32 v[14:15], v[14:15], v[22:23]
.LBB178_453:                            ;   in Loop: Header=BB178_3 Depth=1
	s_or_b32 exec_lo, exec_lo, s37
	s_mov_b32 s58, 0
	s_mov_b32 s37, 0
	ds_store_b128 v68, v[12:15]
	s_wait_dscnt 0x0
	s_barrier_signal -1
	s_barrier_wait -1
                                        ; implicit-def: $vgpr2_vgpr3
                                        ; implicit-def: $vgpr22_vgpr23
	s_and_saveexec_b32 s59, s10
	s_cbranch_execz .LBB178_515
; %bb.454:                              ;   in Loop: Header=BB178_3 Depth=1
	ds_load_b128 v[42:45], v69 offset:512
	ds_load_b128 v[74:77], v69 offset:1024
	s_mov_b32 s37, exec_lo
	s_wait_dscnt 0x1
	v_add_f64_e32 v[2:3], v[12:13], v[42:43]
	v_add_f64_e32 v[12:13], v[14:15], v[44:45]
	s_wait_dscnt 0x0
	s_delay_alu instid0(VALU_DEP_2) | instskip(NEXT) | instid1(VALU_DEP_2)
	v_add_f64_e32 v[2:3], v[2:3], v[74:75]
	v_add_f64_e32 v[22:23], v[12:13], v[76:77]
	ds_load_b128 v[12:15], v69 offset:1536
	ds_load_b128 v[42:45], v69 offset:2048
	s_wait_dscnt 0x1
	v_add_f64_e32 v[2:3], v[2:3], v[12:13]
	v_add_f64_e32 v[12:13], v[22:23], v[14:15]
	s_wait_dscnt 0x0
	s_delay_alu instid0(VALU_DEP_2) | instskip(NEXT) | instid1(VALU_DEP_2)
	v_add_f64_e32 v[2:3], v[2:3], v[42:43]
	v_add_f64_e32 v[22:23], v[12:13], v[44:45]
	ds_load_b128 v[12:15], v69 offset:2560
	ds_load_b128 v[42:45], v69 offset:3072
	;; [unrolled: 9-line block ×6, first 2 shown]
	s_wait_dscnt 0x1
	v_add_f64_e32 v[2:3], v[2:3], v[12:13]
	v_add_f64_e32 v[12:13], v[22:23], v[14:15]
	s_wait_dscnt 0x0
	s_delay_alu instid0(VALU_DEP_2) | instskip(NEXT) | instid1(VALU_DEP_2)
	v_add_f64_e32 v[2:3], v[2:3], v[42:43]
	v_add_f64_e32 v[42:43], v[12:13], v[44:45]
	ds_load_b128 v[12:15], v69 offset:7680
	s_wait_dscnt 0x0
	v_add_f64_e32 v[22:23], v[2:3], v[12:13]
	v_add_f64_e32 v[2:3], v[42:43], v[14:15]
	s_or_b32 exec_lo, exec_lo, s59
	s_delay_alu instid0(SALU_CYCLE_1)
	s_and_b32 vcc_lo, exec_lo, s58
	s_cbranch_vccnz .LBB178_456
	s_branch .LBB178_516
.LBB178_455:                            ;   in Loop: Header=BB178_3 Depth=1
	s_mov_b32 s37, 0
                                        ; implicit-def: $vgpr2_vgpr3
                                        ; implicit-def: $vgpr22_vgpr23
	s_cbranch_execz .LBB178_516
.LBB178_456:                            ;   in Loop: Header=BB178_3 Depth=1
	v_dual_mov_b32 v0, v24 :: v_dual_mov_b32 v2, v27
	s_mov_b32 s58, 0
	s_branch .LBB178_458
.LBB178_457:                            ;   in Loop: Header=BB178_458 Depth=2
	s_or_b32 exec_lo, exec_lo, s59
	v_add_nc_u32_e32 v2, 0x400, v2
	v_add_nc_u32_e32 v0, -2, v0
	s_add_co_i32 s58, s58, 2
	s_delay_alu instid0(SALU_CYCLE_1)
	s_cmp_lg_u32 s58, 32
	s_barrier_signal -1
	s_barrier_wait -1
	s_cbranch_scc0 .LBB178_466
.LBB178_458:                            ;   Parent Loop BB178_3 Depth=1
                                        ; =>  This Inner Loop Header: Depth=2
	s_delay_alu instid0(VALU_DEP_1) | instskip(SKIP_1) | instid1(SALU_CYCLE_1)
	v_cmp_eq_u32_e32 vcc_lo, 0, v0
	s_and_b32 s91, s10, vcc_lo
	s_and_saveexec_b32 s59, s91
	s_cbranch_execz .LBB178_460
; %bb.459:                              ;   in Loop: Header=BB178_458 Depth=2
	ds_load_b128 v[12:15], v72
	s_wait_dscnt 0x0
	v_mul_f64_e32 v[22:23], v[18:19], v[14:15]
	v_mul_f64_e32 v[44:45], v[16:17], v[14:15]
	s_delay_alu instid0(VALU_DEP_2) | instskip(NEXT) | instid1(VALU_DEP_2)
	v_fma_f64 v[42:43], v[16:17], v[12:13], -v[22:23]
	v_fmac_f64_e32 v[44:45], v[18:19], v[12:13]
	s_delay_alu instid0(VALU_DEP_2) | instskip(NEXT) | instid1(VALU_DEP_2)
	v_mov_b64_e32 v[16:17], v[42:43]
	v_mov_b64_e32 v[18:19], v[44:45]
	ds_store_b128 v1, v[42:45] offset:25088
.LBB178_460:                            ;   in Loop: Header=BB178_458 Depth=2
	s_or_b32 exec_lo, exec_lo, s59
	v_cmp_lt_u32_e32 vcc_lo, s58, v24
	s_wait_dscnt 0x0
	s_barrier_signal -1
	s_barrier_wait -1
	s_and_b32 s91, s10, vcc_lo
	s_delay_alu instid0(SALU_CYCLE_1)
	s_and_saveexec_b32 s59, s91
	s_cbranch_execz .LBB178_462
; %bb.461:                              ;   in Loop: Header=BB178_458 Depth=2
	ds_load_b128 v[12:15], v1 offset:25088
	ds_load_b128 v[42:45], v2
	s_wait_dscnt 0x0
	v_mul_f64_e32 v[22:23], v[14:15], v[44:45]
	v_mul_f64_e32 v[44:45], v[12:13], v[44:45]
	s_delay_alu instid0(VALU_DEP_2) | instskip(NEXT) | instid1(VALU_DEP_2)
	v_fma_f64 v[12:13], v[12:13], v[42:43], -v[22:23]
	v_fmac_f64_e32 v[44:45], v[14:15], v[42:43]
	s_delay_alu instid0(VALU_DEP_2) | instskip(NEXT) | instid1(VALU_DEP_2)
	v_add_f64_e32 v[16:17], v[16:17], v[12:13]
	v_add_f64_e32 v[18:19], v[18:19], v[44:45]
.LBB178_462:                            ;   in Loop: Header=BB178_458 Depth=2
	s_or_b32 exec_lo, exec_lo, s59
	s_or_b32 s59, s58, 1
	s_delay_alu instid0(SALU_CYCLE_1) | instskip(SKIP_3) | instid1(SALU_CYCLE_1)
	v_cmp_eq_u32_e32 vcc_lo, s59, v24
	s_barrier_signal -1
	s_barrier_wait -1
	s_and_b32 s92, s10, vcc_lo
	s_and_saveexec_b32 s91, s92
	s_cbranch_execz .LBB178_464
; %bb.463:                              ;   in Loop: Header=BB178_458 Depth=2
	ds_load_b128 v[12:15], v72
	s_wait_dscnt 0x0
	v_mul_f64_e32 v[22:23], v[18:19], v[14:15]
	v_mul_f64_e32 v[44:45], v[16:17], v[14:15]
	s_delay_alu instid0(VALU_DEP_2) | instskip(NEXT) | instid1(VALU_DEP_2)
	v_fma_f64 v[42:43], v[16:17], v[12:13], -v[22:23]
	v_fmac_f64_e32 v[44:45], v[18:19], v[12:13]
	s_delay_alu instid0(VALU_DEP_2) | instskip(NEXT) | instid1(VALU_DEP_2)
	v_mov_b64_e32 v[16:17], v[42:43]
	v_mov_b64_e32 v[18:19], v[44:45]
	ds_store_b128 v1, v[42:45] offset:25088
.LBB178_464:                            ;   in Loop: Header=BB178_458 Depth=2
	s_or_b32 exec_lo, exec_lo, s91
	v_cmp_lt_u32_e32 vcc_lo, s59, v24
	s_wait_dscnt 0x0
	s_barrier_signal -1
	s_barrier_wait -1
	s_and_b32 s91, s10, vcc_lo
	s_delay_alu instid0(SALU_CYCLE_1)
	s_and_saveexec_b32 s59, s91
	s_cbranch_execz .LBB178_457
; %bb.465:                              ;   in Loop: Header=BB178_458 Depth=2
	ds_load_b128 v[12:15], v1 offset:25088
	ds_load_b128 v[42:45], v2 offset:512
	s_wait_dscnt 0x0
	v_mul_f64_e32 v[22:23], v[14:15], v[44:45]
	v_mul_f64_e32 v[44:45], v[12:13], v[44:45]
	s_delay_alu instid0(VALU_DEP_2) | instskip(NEXT) | instid1(VALU_DEP_2)
	v_fma_f64 v[12:13], v[12:13], v[42:43], -v[22:23]
	v_fmac_f64_e32 v[44:45], v[14:15], v[42:43]
	s_delay_alu instid0(VALU_DEP_2) | instskip(NEXT) | instid1(VALU_DEP_2)
	v_add_f64_e32 v[16:17], v[16:17], v[12:13]
	v_add_f64_e32 v[18:19], v[18:19], v[44:45]
	s_branch .LBB178_457
.LBB178_466:                            ;   in Loop: Header=BB178_3 Depth=1
	s_and_b32 vcc_lo, exec_lo, s64
	s_mov_b32 s58, -1
	s_cbranch_vccz .LBB178_468
; %bb.467:                              ;   in Loop: Header=BB178_3 Depth=1
	s_and_not1_b32 s37, s37, exec_lo
	s_and_b32 s59, s10, exec_lo
	s_mov_b32 s58, 0
	s_or_b32 s37, s37, s59
.LBB178_468:                            ;   in Loop: Header=BB178_3 Depth=1
	s_and_not1_b32 vcc_lo, exec_lo, s58
	s_cbranch_vccnz .LBB178_470
; %bb.469:                              ;   in Loop: Header=BB178_3 Depth=1
	v_readlane_b32 s58, v78, 8
	s_and_not1_b32 s37, s37, exec_lo
	s_and_b32 s58, s58, exec_lo
	s_delay_alu instid0(SALU_CYCLE_1)
	s_or_b32 s37, s37, s58
.LBB178_470:                            ;   in Loop: Header=BB178_3 Depth=1
	v_mov_b64_e32 v[2:3], v[40:41]
	s_and_saveexec_b32 s58, s37
	s_cbranch_execnz .LBB178_517
	s_branch .LBB178_518
.LBB178_471:                            ;   in Loop: Header=BB178_3 Depth=1
	s_mov_b32 s59, exec_lo
	v_readlane_b32 s91, v78, 9
	s_and_b32 s91, s59, s91
	s_delay_alu instid0(SALU_CYCLE_1)
	s_xor_b32 s59, s91, s59
	s_mov_b32 exec_lo, s91
	s_cbranch_execz .LBB178_473
; %bb.472:                              ;   in Loop: Header=BB178_3 Depth=1
	v_readlane_b32 s58, v78, 24
	s_and_b32 s58, s58, exec_lo
.LBB178_473:                            ;   in Loop: Header=BB178_3 Depth=1
	s_or_saveexec_b32 s59, s59
	v_mov_b64_e32 v[18:19], 0
	v_mov_b64_e32 v[16:17], 0
	s_xor_b32 exec_lo, exec_lo, s59
	s_cbranch_execz .LBB178_479
; %bb.474:                              ;   in Loop: Header=BB178_3 Depth=1
	v_lshl_add_u64 v[2:3], v[34:35], 4, v[42:43]
                                        ; implicit-def: $vgpr18_vgpr19
	flat_load_b128 v[20:23], v[2:3]
	s_wait_loadcnt_dscnt 0x0
	v_cmp_ngt_f64_e64 s91, |v[20:21]|, |v[22:23]|
	s_and_saveexec_b32 s92, s91
	s_delay_alu instid0(SALU_CYCLE_1)
	s_xor_b32 s91, exec_lo, s92
	s_cbranch_execz .LBB178_476
; %bb.475:                              ;   in Loop: Header=BB178_3 Depth=1
	v_div_scale_f64 v[2:3], null, v[22:23], v[22:23], v[20:21]
	v_div_scale_f64 v[74:75], vcc_lo, v[20:21], v[22:23], v[20:21]
	s_delay_alu instid0(VALU_DEP_2) | instskip(SKIP_1) | instid1(TRANS32_DEP_1)
	v_rcp_f64_e32 v[16:17], v[2:3]
	v_nop
	v_fma_f64 v[18:19], -v[2:3], v[16:17], 1.0
	s_delay_alu instid0(VALU_DEP_1) | instskip(NEXT) | instid1(VALU_DEP_1)
	v_fmac_f64_e32 v[16:17], v[16:17], v[18:19]
	v_fma_f64 v[18:19], -v[2:3], v[16:17], 1.0
	s_delay_alu instid0(VALU_DEP_1) | instskip(NEXT) | instid1(VALU_DEP_1)
	v_fmac_f64_e32 v[16:17], v[16:17], v[18:19]
	v_mul_f64_e32 v[18:19], v[74:75], v[16:17]
	s_delay_alu instid0(VALU_DEP_1) | instskip(NEXT) | instid1(VALU_DEP_1)
	v_fma_f64 v[2:3], -v[2:3], v[18:19], v[74:75]
	v_div_fmas_f64 v[2:3], v[2:3], v[16:17], v[18:19]
	s_delay_alu instid0(VALU_DEP_1) | instskip(NEXT) | instid1(VALU_DEP_1)
	v_div_fixup_f64 v[2:3], v[2:3], v[22:23], v[20:21]
	v_fmac_f64_e32 v[22:23], v[20:21], v[2:3]
	s_delay_alu instid0(VALU_DEP_1) | instskip(NEXT) | instid1(VALU_DEP_1)
	v_div_scale_f64 v[16:17], null, v[22:23], v[22:23], 1.0
	v_rcp_f64_e32 v[18:19], v[16:17]
	v_nop
	s_delay_alu instid0(TRANS32_DEP_1) | instskip(NEXT) | instid1(VALU_DEP_1)
	v_fma_f64 v[20:21], -v[16:17], v[18:19], 1.0
	v_fmac_f64_e32 v[18:19], v[18:19], v[20:21]
	s_delay_alu instid0(VALU_DEP_1) | instskip(NEXT) | instid1(VALU_DEP_1)
	v_fma_f64 v[20:21], -v[16:17], v[18:19], 1.0
	v_fmac_f64_e32 v[18:19], v[18:19], v[20:21]
	v_div_scale_f64 v[20:21], vcc_lo, 1.0, v[22:23], 1.0
	s_delay_alu instid0(VALU_DEP_1) | instskip(NEXT) | instid1(VALU_DEP_1)
	v_mul_f64_e32 v[74:75], v[20:21], v[18:19]
	v_fma_f64 v[16:17], -v[16:17], v[74:75], v[20:21]
	s_delay_alu instid0(VALU_DEP_1) | instskip(NEXT) | instid1(VALU_DEP_1)
	v_div_fmas_f64 v[16:17], v[16:17], v[18:19], v[74:75]
	v_div_fixup_f64 v[18:19], v[16:17], v[22:23], 1.0
                                        ; implicit-def: $vgpr20_vgpr21
	s_delay_alu instid0(VALU_DEP_1)
	v_mul_f64_e32 v[16:17], v[2:3], v[18:19]
	v_xor_b32_e32 v19, 0x80000000, v19
.LBB178_476:                            ;   in Loop: Header=BB178_3 Depth=1
	s_and_not1_saveexec_b32 s91, s91
	s_cbranch_execz .LBB178_478
; %bb.477:                              ;   in Loop: Header=BB178_3 Depth=1
	v_div_scale_f64 v[2:3], null, v[20:21], v[20:21], v[22:23]
	v_div_scale_f64 v[74:75], vcc_lo, v[22:23], v[20:21], v[22:23]
	s_delay_alu instid0(VALU_DEP_2) | instskip(SKIP_1) | instid1(TRANS32_DEP_1)
	v_rcp_f64_e32 v[16:17], v[2:3]
	v_nop
	v_fma_f64 v[18:19], -v[2:3], v[16:17], 1.0
	s_delay_alu instid0(VALU_DEP_1) | instskip(NEXT) | instid1(VALU_DEP_1)
	v_fmac_f64_e32 v[16:17], v[16:17], v[18:19]
	v_fma_f64 v[18:19], -v[2:3], v[16:17], 1.0
	s_delay_alu instid0(VALU_DEP_1) | instskip(NEXT) | instid1(VALU_DEP_1)
	v_fmac_f64_e32 v[16:17], v[16:17], v[18:19]
	v_mul_f64_e32 v[18:19], v[74:75], v[16:17]
	s_delay_alu instid0(VALU_DEP_1) | instskip(NEXT) | instid1(VALU_DEP_1)
	v_fma_f64 v[2:3], -v[2:3], v[18:19], v[74:75]
	v_div_fmas_f64 v[2:3], v[2:3], v[16:17], v[18:19]
	s_delay_alu instid0(VALU_DEP_1) | instskip(NEXT) | instid1(VALU_DEP_1)
	v_div_fixup_f64 v[2:3], v[2:3], v[20:21], v[22:23]
	v_fmac_f64_e32 v[20:21], v[22:23], v[2:3]
	s_delay_alu instid0(VALU_DEP_1) | instskip(NEXT) | instid1(VALU_DEP_1)
	v_div_scale_f64 v[16:17], null, v[20:21], v[20:21], 1.0
	v_rcp_f64_e32 v[18:19], v[16:17]
	v_nop
	s_delay_alu instid0(TRANS32_DEP_1) | instskip(NEXT) | instid1(VALU_DEP_1)
	v_fma_f64 v[22:23], -v[16:17], v[18:19], 1.0
	v_fmac_f64_e32 v[18:19], v[18:19], v[22:23]
	s_delay_alu instid0(VALU_DEP_1) | instskip(NEXT) | instid1(VALU_DEP_1)
	v_fma_f64 v[22:23], -v[16:17], v[18:19], 1.0
	v_fmac_f64_e32 v[18:19], v[18:19], v[22:23]
	v_div_scale_f64 v[22:23], vcc_lo, 1.0, v[20:21], 1.0
	s_delay_alu instid0(VALU_DEP_1) | instskip(NEXT) | instid1(VALU_DEP_1)
	v_mul_f64_e32 v[74:75], v[22:23], v[18:19]
	v_fma_f64 v[16:17], -v[16:17], v[74:75], v[22:23]
	s_delay_alu instid0(VALU_DEP_1) | instskip(NEXT) | instid1(VALU_DEP_1)
	v_div_fmas_f64 v[16:17], v[16:17], v[18:19], v[74:75]
	v_div_fixup_f64 v[16:17], v[16:17], v[20:21], 1.0
	s_delay_alu instid0(VALU_DEP_1)
	v_mul_f64_e64 v[18:19], v[2:3], -v[16:17]
.LBB178_478:                            ;   in Loop: Header=BB178_3 Depth=1
	s_or_b32 exec_lo, exec_lo, s91
	s_delay_alu instid0(SALU_CYCLE_1)
	s_or_b32 s58, s58, exec_lo
.LBB178_479:                            ;   in Loop: Header=BB178_3 Depth=1
	s_or_b32 exec_lo, exec_lo, s59
	s_delay_alu instid0(SALU_CYCLE_1)
	s_and_b32 s58, s58, exec_lo
	s_and_not1_saveexec_b32 s37, s37
	s_cbranch_execz .LBB178_13
.LBB178_480:                            ;   in Loop: Header=BB178_3 Depth=1
	v_lshl_add_u64 v[2:3], v[34:35], 4, v[42:43]
	s_or_b32 s58, s58, exec_lo
	flat_load_b128 v[16:19], v[2:3]
	s_wait_loadcnt_dscnt 0x0
	v_xor_b32_e32 v17, 0x80000000, v17
	v_xor_b32_e32 v19, 0x80000000, v19
	s_or_b32 exec_lo, exec_lo, s37
	s_and_saveexec_b32 s37, s58
	s_cbranch_execz .LBB178_14
.LBB178_481:                            ;   in Loop: Header=BB178_3 Depth=1
	ds_store_b128 v70, v[16:19]
	s_or_b32 exec_lo, exec_lo, s37
	s_and_saveexec_b32 s37, s13
	s_delay_alu instid0(SALU_CYCLE_1)
	s_xor_b32 s37, exec_lo, s37
	s_cbranch_execz .LBB178_15
.LBB178_482:                            ;   in Loop: Header=BB178_3 Depth=1
	s_mov_b32 s58, exec_lo
	v_readlane_b32 s59, v78, 11
	s_and_b32 s59, s58, s59
	s_delay_alu instid0(SALU_CYCLE_1)
	s_xor_b32 s58, s59, s58
	s_mov_b32 exec_lo, s59
	s_cbranch_execz .LBB178_486
; %bb.483:                              ;   in Loop: Header=BB178_3 Depth=1
	s_mov_b32 s59, exec_lo
	v_readlane_b32 s91, v78, 25
	s_and_b32 s91, s59, s91
	s_delay_alu instid0(SALU_CYCLE_1)
	s_mov_b32 exec_lo, s91
; %bb.484:                              ;   in Loop: Header=BB178_3 Depth=1
	v_dual_mov_b32 v0, v1 :: v_dual_mov_b32 v2, v1
	v_mov_b32_e32 v3, v1
	ds_store_b128 v73, v[0:3]
; %bb.485:                              ;   in Loop: Header=BB178_3 Depth=1
	s_or_b32 exec_lo, exec_lo, s59
.LBB178_486:                            ;   in Loop: Header=BB178_3 Depth=1
	s_and_not1_saveexec_b32 s58, s58
	s_cbranch_execz .LBB178_492
; %bb.487:                              ;   in Loop: Header=BB178_3 Depth=1
	v_lshl_add_u64 v[2:3], v[38:39], 4, v[42:43]
                                        ; implicit-def: $vgpr20_vgpr21
	flat_load_b128 v[16:19], v[2:3]
	s_wait_loadcnt_dscnt 0x0
	v_cmp_ngt_f64_e64 s59, |v[16:17]|, |v[18:19]|
	s_and_saveexec_b32 s91, s59
	s_delay_alu instid0(SALU_CYCLE_1)
	s_xor_b32 s59, exec_lo, s91
	s_cbranch_execz .LBB178_489
; %bb.488:                              ;   in Loop: Header=BB178_3 Depth=1
	v_div_scale_f64 v[2:3], null, v[18:19], v[18:19], v[16:17]
	v_div_scale_f64 v[74:75], vcc_lo, v[16:17], v[18:19], v[16:17]
	s_delay_alu instid0(VALU_DEP_2) | instskip(SKIP_1) | instid1(TRANS32_DEP_1)
	v_rcp_f64_e32 v[20:21], v[2:3]
	v_nop
	v_fma_f64 v[22:23], -v[2:3], v[20:21], 1.0
	s_delay_alu instid0(VALU_DEP_1) | instskip(NEXT) | instid1(VALU_DEP_1)
	v_fmac_f64_e32 v[20:21], v[20:21], v[22:23]
	v_fma_f64 v[22:23], -v[2:3], v[20:21], 1.0
	s_delay_alu instid0(VALU_DEP_1) | instskip(NEXT) | instid1(VALU_DEP_1)
	v_fmac_f64_e32 v[20:21], v[20:21], v[22:23]
	v_mul_f64_e32 v[22:23], v[74:75], v[20:21]
	s_delay_alu instid0(VALU_DEP_1) | instskip(NEXT) | instid1(VALU_DEP_1)
	v_fma_f64 v[2:3], -v[2:3], v[22:23], v[74:75]
	v_div_fmas_f64 v[2:3], v[2:3], v[20:21], v[22:23]
	s_delay_alu instid0(VALU_DEP_1) | instskip(NEXT) | instid1(VALU_DEP_1)
	v_div_fixup_f64 v[2:3], v[2:3], v[18:19], v[16:17]
	v_fmac_f64_e32 v[18:19], v[16:17], v[2:3]
	s_delay_alu instid0(VALU_DEP_1) | instskip(NEXT) | instid1(VALU_DEP_1)
	v_div_scale_f64 v[16:17], null, v[18:19], v[18:19], 1.0
	v_rcp_f64_e32 v[20:21], v[16:17]
	v_nop
	s_delay_alu instid0(TRANS32_DEP_1) | instskip(NEXT) | instid1(VALU_DEP_1)
	v_fma_f64 v[22:23], -v[16:17], v[20:21], 1.0
	v_fmac_f64_e32 v[20:21], v[20:21], v[22:23]
	s_delay_alu instid0(VALU_DEP_1) | instskip(NEXT) | instid1(VALU_DEP_1)
	v_fma_f64 v[22:23], -v[16:17], v[20:21], 1.0
	v_fmac_f64_e32 v[20:21], v[20:21], v[22:23]
	v_div_scale_f64 v[22:23], vcc_lo, 1.0, v[18:19], 1.0
	s_delay_alu instid0(VALU_DEP_1) | instskip(NEXT) | instid1(VALU_DEP_1)
	v_mul_f64_e32 v[74:75], v[22:23], v[20:21]
	v_fma_f64 v[16:17], -v[16:17], v[74:75], v[22:23]
	s_delay_alu instid0(VALU_DEP_1) | instskip(NEXT) | instid1(VALU_DEP_1)
	v_div_fmas_f64 v[16:17], v[16:17], v[20:21], v[74:75]
	v_div_fixup_f64 v[22:23], v[16:17], v[18:19], 1.0
                                        ; implicit-def: $vgpr16_vgpr17
	s_delay_alu instid0(VALU_DEP_1)
	v_mul_f64_e32 v[20:21], v[2:3], v[22:23]
	v_xor_b32_e32 v23, 0x80000000, v23
.LBB178_489:                            ;   in Loop: Header=BB178_3 Depth=1
	s_and_not1_saveexec_b32 s59, s59
	s_cbranch_execz .LBB178_491
; %bb.490:                              ;   in Loop: Header=BB178_3 Depth=1
	v_div_scale_f64 v[2:3], null, v[16:17], v[16:17], v[18:19]
	v_div_scale_f64 v[74:75], vcc_lo, v[18:19], v[16:17], v[18:19]
	s_delay_alu instid0(VALU_DEP_2) | instskip(SKIP_1) | instid1(TRANS32_DEP_1)
	v_rcp_f64_e32 v[20:21], v[2:3]
	v_nop
	v_fma_f64 v[22:23], -v[2:3], v[20:21], 1.0
	s_delay_alu instid0(VALU_DEP_1) | instskip(NEXT) | instid1(VALU_DEP_1)
	v_fmac_f64_e32 v[20:21], v[20:21], v[22:23]
	v_fma_f64 v[22:23], -v[2:3], v[20:21], 1.0
	s_delay_alu instid0(VALU_DEP_1) | instskip(NEXT) | instid1(VALU_DEP_1)
	v_fmac_f64_e32 v[20:21], v[20:21], v[22:23]
	v_mul_f64_e32 v[22:23], v[74:75], v[20:21]
	s_delay_alu instid0(VALU_DEP_1) | instskip(NEXT) | instid1(VALU_DEP_1)
	v_fma_f64 v[2:3], -v[2:3], v[22:23], v[74:75]
	v_div_fmas_f64 v[2:3], v[2:3], v[20:21], v[22:23]
	s_delay_alu instid0(VALU_DEP_1) | instskip(NEXT) | instid1(VALU_DEP_1)
	v_div_fixup_f64 v[2:3], v[2:3], v[16:17], v[18:19]
	v_fmac_f64_e32 v[16:17], v[18:19], v[2:3]
	s_delay_alu instid0(VALU_DEP_1) | instskip(NEXT) | instid1(VALU_DEP_1)
	v_div_scale_f64 v[18:19], null, v[16:17], v[16:17], 1.0
	v_rcp_f64_e32 v[20:21], v[18:19]
	v_nop
	s_delay_alu instid0(TRANS32_DEP_1) | instskip(NEXT) | instid1(VALU_DEP_1)
	v_fma_f64 v[22:23], -v[18:19], v[20:21], 1.0
	v_fmac_f64_e32 v[20:21], v[20:21], v[22:23]
	s_delay_alu instid0(VALU_DEP_1) | instskip(NEXT) | instid1(VALU_DEP_1)
	v_fma_f64 v[22:23], -v[18:19], v[20:21], 1.0
	v_fmac_f64_e32 v[20:21], v[20:21], v[22:23]
	v_div_scale_f64 v[22:23], vcc_lo, 1.0, v[16:17], 1.0
	s_delay_alu instid0(VALU_DEP_1) | instskip(NEXT) | instid1(VALU_DEP_1)
	v_mul_f64_e32 v[74:75], v[22:23], v[20:21]
	v_fma_f64 v[18:19], -v[18:19], v[74:75], v[22:23]
	s_delay_alu instid0(VALU_DEP_1) | instskip(NEXT) | instid1(VALU_DEP_1)
	v_div_fmas_f64 v[18:19], v[18:19], v[20:21], v[74:75]
	v_div_fixup_f64 v[20:21], v[18:19], v[16:17], 1.0
	s_delay_alu instid0(VALU_DEP_1)
	v_mul_f64_e64 v[22:23], v[2:3], -v[20:21]
.LBB178_491:                            ;   in Loop: Header=BB178_3 Depth=1
	s_or_b32 exec_lo, exec_lo, s59
	ds_store_b128 v73, v[20:23]
.LBB178_492:                            ;   in Loop: Header=BB178_3 Depth=1
	s_or_b32 exec_lo, exec_lo, s58
	s_and_not1_saveexec_b32 s37, s37
	s_cbranch_execnz .LBB178_16
	s_branch .LBB178_17
.LBB178_493:                            ;   in Loop: Header=BB178_3 Depth=1
	s_mov_b32 s59, exec_lo
	v_readlane_b32 s91, v78, 10
	s_and_b32 s91, s59, s91
	s_delay_alu instid0(SALU_CYCLE_1)
	s_xor_b32 s59, s91, s59
	s_mov_b32 exec_lo, s91
	s_cbranch_execz .LBB178_495
; %bb.494:                              ;   in Loop: Header=BB178_3 Depth=1
	v_readlane_b32 s58, v78, 24
	s_and_b32 s58, s58, exec_lo
.LBB178_495:                            ;   in Loop: Header=BB178_3 Depth=1
	s_or_saveexec_b32 s59, s59
	v_mov_b64_e32 v[18:19], 0
	v_mov_b64_e32 v[16:17], 0
	s_xor_b32 exec_lo, exec_lo, s59
	s_cbranch_execz .LBB178_501
; %bb.496:                              ;   in Loop: Header=BB178_3 Depth=1
	v_lshl_add_u64 v[2:3], v[34:35], 4, v[42:43]
                                        ; implicit-def: $vgpr18_vgpr19
	flat_load_b128 v[20:23], v[2:3]
	s_wait_loadcnt_dscnt 0x0
	v_cmp_ngt_f64_e64 s91, |v[20:21]|, |v[22:23]|
	s_and_saveexec_b32 s92, s91
	s_delay_alu instid0(SALU_CYCLE_1)
	s_xor_b32 s91, exec_lo, s92
	s_cbranch_execz .LBB178_498
; %bb.497:                              ;   in Loop: Header=BB178_3 Depth=1
	v_div_scale_f64 v[2:3], null, v[22:23], v[22:23], v[20:21]
	v_div_scale_f64 v[74:75], vcc_lo, v[20:21], v[22:23], v[20:21]
	s_delay_alu instid0(VALU_DEP_2) | instskip(SKIP_1) | instid1(TRANS32_DEP_1)
	v_rcp_f64_e32 v[16:17], v[2:3]
	v_nop
	v_fma_f64 v[18:19], -v[2:3], v[16:17], 1.0
	s_delay_alu instid0(VALU_DEP_1) | instskip(NEXT) | instid1(VALU_DEP_1)
	v_fmac_f64_e32 v[16:17], v[16:17], v[18:19]
	v_fma_f64 v[18:19], -v[2:3], v[16:17], 1.0
	s_delay_alu instid0(VALU_DEP_1) | instskip(NEXT) | instid1(VALU_DEP_1)
	v_fmac_f64_e32 v[16:17], v[16:17], v[18:19]
	v_mul_f64_e32 v[18:19], v[74:75], v[16:17]
	s_delay_alu instid0(VALU_DEP_1) | instskip(NEXT) | instid1(VALU_DEP_1)
	v_fma_f64 v[2:3], -v[2:3], v[18:19], v[74:75]
	v_div_fmas_f64 v[2:3], v[2:3], v[16:17], v[18:19]
	s_delay_alu instid0(VALU_DEP_1) | instskip(NEXT) | instid1(VALU_DEP_1)
	v_div_fixup_f64 v[2:3], v[2:3], v[22:23], v[20:21]
	v_fmac_f64_e32 v[22:23], v[20:21], v[2:3]
	s_delay_alu instid0(VALU_DEP_1) | instskip(NEXT) | instid1(VALU_DEP_1)
	v_div_scale_f64 v[16:17], null, v[22:23], v[22:23], 1.0
	v_rcp_f64_e32 v[18:19], v[16:17]
	v_nop
	s_delay_alu instid0(TRANS32_DEP_1) | instskip(NEXT) | instid1(VALU_DEP_1)
	v_fma_f64 v[20:21], -v[16:17], v[18:19], 1.0
	v_fmac_f64_e32 v[18:19], v[18:19], v[20:21]
	s_delay_alu instid0(VALU_DEP_1) | instskip(NEXT) | instid1(VALU_DEP_1)
	v_fma_f64 v[20:21], -v[16:17], v[18:19], 1.0
	v_fmac_f64_e32 v[18:19], v[18:19], v[20:21]
	v_div_scale_f64 v[20:21], vcc_lo, 1.0, v[22:23], 1.0
	s_delay_alu instid0(VALU_DEP_1) | instskip(NEXT) | instid1(VALU_DEP_1)
	v_mul_f64_e32 v[74:75], v[20:21], v[18:19]
	v_fma_f64 v[16:17], -v[16:17], v[74:75], v[20:21]
	s_delay_alu instid0(VALU_DEP_1) | instskip(NEXT) | instid1(VALU_DEP_1)
	v_div_fmas_f64 v[16:17], v[16:17], v[18:19], v[74:75]
	v_div_fixup_f64 v[18:19], v[16:17], v[22:23], 1.0
                                        ; implicit-def: $vgpr20_vgpr21
	s_delay_alu instid0(VALU_DEP_1)
	v_mul_f64_e32 v[16:17], v[2:3], v[18:19]
	v_xor_b32_e32 v19, 0x80000000, v19
.LBB178_498:                            ;   in Loop: Header=BB178_3 Depth=1
	s_and_not1_saveexec_b32 s91, s91
	s_cbranch_execz .LBB178_500
; %bb.499:                              ;   in Loop: Header=BB178_3 Depth=1
	v_div_scale_f64 v[2:3], null, v[20:21], v[20:21], v[22:23]
	v_div_scale_f64 v[74:75], vcc_lo, v[22:23], v[20:21], v[22:23]
	s_delay_alu instid0(VALU_DEP_2) | instskip(SKIP_1) | instid1(TRANS32_DEP_1)
	v_rcp_f64_e32 v[16:17], v[2:3]
	v_nop
	v_fma_f64 v[18:19], -v[2:3], v[16:17], 1.0
	s_delay_alu instid0(VALU_DEP_1) | instskip(NEXT) | instid1(VALU_DEP_1)
	v_fmac_f64_e32 v[16:17], v[16:17], v[18:19]
	v_fma_f64 v[18:19], -v[2:3], v[16:17], 1.0
	s_delay_alu instid0(VALU_DEP_1) | instskip(NEXT) | instid1(VALU_DEP_1)
	v_fmac_f64_e32 v[16:17], v[16:17], v[18:19]
	v_mul_f64_e32 v[18:19], v[74:75], v[16:17]
	s_delay_alu instid0(VALU_DEP_1) | instskip(NEXT) | instid1(VALU_DEP_1)
	v_fma_f64 v[2:3], -v[2:3], v[18:19], v[74:75]
	v_div_fmas_f64 v[2:3], v[2:3], v[16:17], v[18:19]
	s_delay_alu instid0(VALU_DEP_1) | instskip(NEXT) | instid1(VALU_DEP_1)
	v_div_fixup_f64 v[2:3], v[2:3], v[20:21], v[22:23]
	v_fmac_f64_e32 v[20:21], v[22:23], v[2:3]
	s_delay_alu instid0(VALU_DEP_1) | instskip(NEXT) | instid1(VALU_DEP_1)
	v_div_scale_f64 v[16:17], null, v[20:21], v[20:21], 1.0
	v_rcp_f64_e32 v[18:19], v[16:17]
	v_nop
	s_delay_alu instid0(TRANS32_DEP_1) | instskip(NEXT) | instid1(VALU_DEP_1)
	v_fma_f64 v[22:23], -v[16:17], v[18:19], 1.0
	v_fmac_f64_e32 v[18:19], v[18:19], v[22:23]
	s_delay_alu instid0(VALU_DEP_1) | instskip(NEXT) | instid1(VALU_DEP_1)
	v_fma_f64 v[22:23], -v[16:17], v[18:19], 1.0
	v_fmac_f64_e32 v[18:19], v[18:19], v[22:23]
	v_div_scale_f64 v[22:23], vcc_lo, 1.0, v[20:21], 1.0
	s_delay_alu instid0(VALU_DEP_1) | instskip(NEXT) | instid1(VALU_DEP_1)
	v_mul_f64_e32 v[74:75], v[22:23], v[18:19]
	v_fma_f64 v[16:17], -v[16:17], v[74:75], v[22:23]
	s_delay_alu instid0(VALU_DEP_1) | instskip(NEXT) | instid1(VALU_DEP_1)
	v_div_fmas_f64 v[16:17], v[16:17], v[18:19], v[74:75]
	v_div_fixup_f64 v[16:17], v[16:17], v[20:21], 1.0
	s_delay_alu instid0(VALU_DEP_1)
	v_mul_f64_e64 v[18:19], v[2:3], -v[16:17]
.LBB178_500:                            ;   in Loop: Header=BB178_3 Depth=1
	s_or_b32 exec_lo, exec_lo, s91
	s_delay_alu instid0(SALU_CYCLE_1)
	s_or_b32 s58, s58, exec_lo
.LBB178_501:                            ;   in Loop: Header=BB178_3 Depth=1
	s_or_b32 exec_lo, exec_lo, s59
	s_delay_alu instid0(SALU_CYCLE_1)
	s_and_b32 s58, s58, exec_lo
	s_and_not1_saveexec_b32 s37, s37
	s_cbranch_execz .LBB178_20
.LBB178_502:                            ;   in Loop: Header=BB178_3 Depth=1
	v_lshl_add_u64 v[2:3], v[34:35], 4, v[42:43]
	s_or_b32 s58, s58, exec_lo
	flat_load_b128 v[16:19], v[2:3]
	s_wait_loadcnt_dscnt 0x0
	v_xor_b32_e32 v17, 0x80000000, v17
	v_xor_b32_e32 v19, 0x80000000, v19
	s_or_b32 exec_lo, exec_lo, s37
	s_and_saveexec_b32 s37, s58
	s_cbranch_execz .LBB178_21
.LBB178_503:                            ;   in Loop: Header=BB178_3 Depth=1
	ds_store_b128 v70, v[16:19]
	s_or_b32 exec_lo, exec_lo, s37
	s_and_saveexec_b32 s37, s90
	s_delay_alu instid0(SALU_CYCLE_1)
	s_xor_b32 s37, exec_lo, s37
	s_cbranch_execz .LBB178_22
.LBB178_504:                            ;   in Loop: Header=BB178_3 Depth=1
	s_mov_b32 s58, exec_lo
	v_readlane_b32 s59, v78, 12
	s_and_b32 s59, s58, s59
	s_delay_alu instid0(SALU_CYCLE_1)
	s_xor_b32 s58, s59, s58
	s_mov_b32 exec_lo, s59
	s_cbranch_execz .LBB178_508
; %bb.505:                              ;   in Loop: Header=BB178_3 Depth=1
	s_mov_b32 s59, exec_lo
	v_readlane_b32 s91, v78, 25
	s_and_b32 s91, s59, s91
	s_delay_alu instid0(SALU_CYCLE_1)
	s_mov_b32 exec_lo, s91
; %bb.506:                              ;   in Loop: Header=BB178_3 Depth=1
	v_dual_mov_b32 v0, v1 :: v_dual_mov_b32 v2, v1
	v_mov_b32_e32 v3, v1
	ds_store_b128 v73, v[0:3]
; %bb.507:                              ;   in Loop: Header=BB178_3 Depth=1
	s_or_b32 exec_lo, exec_lo, s59
.LBB178_508:                            ;   in Loop: Header=BB178_3 Depth=1
	s_and_not1_saveexec_b32 s58, s58
	s_cbranch_execz .LBB178_514
; %bb.509:                              ;   in Loop: Header=BB178_3 Depth=1
	v_lshl_add_u64 v[2:3], v[38:39], 4, v[42:43]
                                        ; implicit-def: $vgpr20_vgpr21
	flat_load_b128 v[16:19], v[2:3]
	s_wait_loadcnt_dscnt 0x0
	v_cmp_ngt_f64_e64 s59, |v[16:17]|, |v[18:19]|
	s_and_saveexec_b32 s91, s59
	s_delay_alu instid0(SALU_CYCLE_1)
	s_xor_b32 s59, exec_lo, s91
	s_cbranch_execz .LBB178_511
; %bb.510:                              ;   in Loop: Header=BB178_3 Depth=1
	v_div_scale_f64 v[2:3], null, v[18:19], v[18:19], v[16:17]
	v_div_scale_f64 v[74:75], vcc_lo, v[16:17], v[18:19], v[16:17]
	s_delay_alu instid0(VALU_DEP_2) | instskip(SKIP_1) | instid1(TRANS32_DEP_1)
	v_rcp_f64_e32 v[20:21], v[2:3]
	v_nop
	v_fma_f64 v[22:23], -v[2:3], v[20:21], 1.0
	s_delay_alu instid0(VALU_DEP_1) | instskip(NEXT) | instid1(VALU_DEP_1)
	v_fmac_f64_e32 v[20:21], v[20:21], v[22:23]
	v_fma_f64 v[22:23], -v[2:3], v[20:21], 1.0
	s_delay_alu instid0(VALU_DEP_1) | instskip(NEXT) | instid1(VALU_DEP_1)
	v_fmac_f64_e32 v[20:21], v[20:21], v[22:23]
	v_mul_f64_e32 v[22:23], v[74:75], v[20:21]
	s_delay_alu instid0(VALU_DEP_1) | instskip(NEXT) | instid1(VALU_DEP_1)
	v_fma_f64 v[2:3], -v[2:3], v[22:23], v[74:75]
	v_div_fmas_f64 v[2:3], v[2:3], v[20:21], v[22:23]
	s_delay_alu instid0(VALU_DEP_1) | instskip(NEXT) | instid1(VALU_DEP_1)
	v_div_fixup_f64 v[2:3], v[2:3], v[18:19], v[16:17]
	v_fmac_f64_e32 v[18:19], v[16:17], v[2:3]
	s_delay_alu instid0(VALU_DEP_1) | instskip(NEXT) | instid1(VALU_DEP_1)
	v_div_scale_f64 v[16:17], null, v[18:19], v[18:19], 1.0
	v_rcp_f64_e32 v[20:21], v[16:17]
	v_nop
	s_delay_alu instid0(TRANS32_DEP_1) | instskip(NEXT) | instid1(VALU_DEP_1)
	v_fma_f64 v[22:23], -v[16:17], v[20:21], 1.0
	v_fmac_f64_e32 v[20:21], v[20:21], v[22:23]
	s_delay_alu instid0(VALU_DEP_1) | instskip(NEXT) | instid1(VALU_DEP_1)
	v_fma_f64 v[22:23], -v[16:17], v[20:21], 1.0
	v_fmac_f64_e32 v[20:21], v[20:21], v[22:23]
	v_div_scale_f64 v[22:23], vcc_lo, 1.0, v[18:19], 1.0
	s_delay_alu instid0(VALU_DEP_1) | instskip(NEXT) | instid1(VALU_DEP_1)
	v_mul_f64_e32 v[74:75], v[22:23], v[20:21]
	v_fma_f64 v[16:17], -v[16:17], v[74:75], v[22:23]
	s_delay_alu instid0(VALU_DEP_1) | instskip(NEXT) | instid1(VALU_DEP_1)
	v_div_fmas_f64 v[16:17], v[16:17], v[20:21], v[74:75]
	v_div_fixup_f64 v[22:23], v[16:17], v[18:19], 1.0
                                        ; implicit-def: $vgpr16_vgpr17
	s_delay_alu instid0(VALU_DEP_1)
	v_mul_f64_e32 v[20:21], v[2:3], v[22:23]
	v_xor_b32_e32 v23, 0x80000000, v23
.LBB178_511:                            ;   in Loop: Header=BB178_3 Depth=1
	s_and_not1_saveexec_b32 s59, s59
	s_cbranch_execz .LBB178_513
; %bb.512:                              ;   in Loop: Header=BB178_3 Depth=1
	v_div_scale_f64 v[2:3], null, v[16:17], v[16:17], v[18:19]
	v_div_scale_f64 v[74:75], vcc_lo, v[18:19], v[16:17], v[18:19]
	s_delay_alu instid0(VALU_DEP_2) | instskip(SKIP_1) | instid1(TRANS32_DEP_1)
	v_rcp_f64_e32 v[20:21], v[2:3]
	v_nop
	v_fma_f64 v[22:23], -v[2:3], v[20:21], 1.0
	s_delay_alu instid0(VALU_DEP_1) | instskip(NEXT) | instid1(VALU_DEP_1)
	v_fmac_f64_e32 v[20:21], v[20:21], v[22:23]
	v_fma_f64 v[22:23], -v[2:3], v[20:21], 1.0
	s_delay_alu instid0(VALU_DEP_1) | instskip(NEXT) | instid1(VALU_DEP_1)
	v_fmac_f64_e32 v[20:21], v[20:21], v[22:23]
	v_mul_f64_e32 v[22:23], v[74:75], v[20:21]
	s_delay_alu instid0(VALU_DEP_1) | instskip(NEXT) | instid1(VALU_DEP_1)
	v_fma_f64 v[2:3], -v[2:3], v[22:23], v[74:75]
	v_div_fmas_f64 v[2:3], v[2:3], v[20:21], v[22:23]
	s_delay_alu instid0(VALU_DEP_1) | instskip(NEXT) | instid1(VALU_DEP_1)
	v_div_fixup_f64 v[2:3], v[2:3], v[16:17], v[18:19]
	v_fmac_f64_e32 v[16:17], v[18:19], v[2:3]
	s_delay_alu instid0(VALU_DEP_1) | instskip(NEXT) | instid1(VALU_DEP_1)
	v_div_scale_f64 v[18:19], null, v[16:17], v[16:17], 1.0
	v_rcp_f64_e32 v[20:21], v[18:19]
	v_nop
	s_delay_alu instid0(TRANS32_DEP_1) | instskip(NEXT) | instid1(VALU_DEP_1)
	v_fma_f64 v[22:23], -v[18:19], v[20:21], 1.0
	v_fmac_f64_e32 v[20:21], v[20:21], v[22:23]
	s_delay_alu instid0(VALU_DEP_1) | instskip(NEXT) | instid1(VALU_DEP_1)
	v_fma_f64 v[22:23], -v[18:19], v[20:21], 1.0
	v_fmac_f64_e32 v[20:21], v[20:21], v[22:23]
	v_div_scale_f64 v[22:23], vcc_lo, 1.0, v[16:17], 1.0
	s_delay_alu instid0(VALU_DEP_1) | instskip(NEXT) | instid1(VALU_DEP_1)
	v_mul_f64_e32 v[74:75], v[22:23], v[20:21]
	v_fma_f64 v[18:19], -v[18:19], v[74:75], v[22:23]
	s_delay_alu instid0(VALU_DEP_1) | instskip(NEXT) | instid1(VALU_DEP_1)
	v_div_fmas_f64 v[18:19], v[18:19], v[20:21], v[74:75]
	v_div_fixup_f64 v[20:21], v[18:19], v[16:17], 1.0
	s_delay_alu instid0(VALU_DEP_1)
	v_mul_f64_e64 v[22:23], v[2:3], -v[20:21]
.LBB178_513:                            ;   in Loop: Header=BB178_3 Depth=1
	s_or_b32 exec_lo, exec_lo, s59
	ds_store_b128 v73, v[20:23]
.LBB178_514:                            ;   in Loop: Header=BB178_3 Depth=1
	s_or_b32 exec_lo, exec_lo, s58
	s_and_not1_saveexec_b32 s37, s37
	s_cbranch_execnz .LBB178_23
	s_branch .LBB178_24
.LBB178_515:                            ;   in Loop: Header=BB178_3 Depth=1
	s_or_b32 exec_lo, exec_lo, s59
	s_delay_alu instid0(SALU_CYCLE_1)
	s_and_b32 vcc_lo, exec_lo, s58
	s_cbranch_vccnz .LBB178_456
.LBB178_516:                            ;   in Loop: Header=BB178_3 Depth=1
	s_delay_alu instid0(VALU_DEP_1) | instskip(NEXT) | instid1(VALU_DEP_3)
	v_mov_b64_e32 v[18:19], v[2:3]
	v_mov_b64_e32 v[16:17], v[22:23]
	;; [unrolled: 1-line block ×3, first 2 shown]
	s_and_saveexec_b32 s58, s37
	s_cbranch_execz .LBB178_518
.LBB178_517:                            ;   in Loop: Header=BB178_3 Depth=1
	s_delay_alu instid0(VALU_DEP_1)
	v_lshl_add_u64 v[2:3], v[2:3], 4, v[20:21]
	flat_store_b128 v[2:3], v[16:19]
.LBB178_518:                            ;   in Loop: Header=BB178_3 Depth=1
	s_wait_xcnt 0x0
	s_or_b32 exec_lo, exec_lo, s58
	global_wb scope:SCOPE_DEV
	s_wait_storecnt_dscnt 0x0
	global_inv scope:SCOPE_DEV
	s_wait_loadcnt 0x0
	s_barrier_signal -1
	s_barrier_wait -1
	s_and_saveexec_b32 s37, s30
	s_cbranch_execz .LBB178_2
; %bb.519:                              ;   in Loop: Header=BB178_3 Depth=1
	s_lshl_b64 s[58:59], s[38:39], 2
	s_delay_alu instid0(SALU_CYCLE_1)
	s_add_nc_u64 s[58:59], s[54:55], s[58:59]
	global_load_b32 v0, v1, s[58:59]
	s_wait_loadcnt 0x0
	v_add_nc_u32_e32 v0, 1, v0
	global_store_b32 v1, v0, s[58:59]
	s_branch .LBB178_2
.LBB178_520:                            ;   in Loop: Header=BB178_3 Depth=1
	ds_load_b128 v[20:23], v52 offset:16
	ds_load_b128 v[74:77], v55 offset:576
	s_wait_dscnt 0x0
	v_mul_f64_e32 v[2:3], v[22:23], v[76:77]
	v_mul_f64_e32 v[76:77], v[20:21], v[76:77]
	s_delay_alu instid0(VALU_DEP_2) | instskip(NEXT) | instid1(VALU_DEP_2)
	v_fma_f64 v[2:3], v[20:21], v[74:75], -v[2:3]
	v_fmac_f64_e32 v[76:77], v[22:23], v[74:75]
	s_delay_alu instid0(VALU_DEP_2) | instskip(NEXT) | instid1(VALU_DEP_2)
	v_add_f64_e32 v[16:17], v[16:17], v[2:3]
	v_add_f64_e32 v[18:19], v[18:19], v[76:77]
	s_or_b32 exec_lo, exec_lo, s58
	s_and_saveexec_b32 s58, s6
	s_cbranch_execz .LBB178_45
.LBB178_521:                            ;   in Loop: Header=BB178_3 Depth=1
	ds_load_b128 v[20:23], v52 offset:32
	ds_load_b128 v[74:77], v54 offset:1088
	s_wait_dscnt 0x0
	v_mul_f64_e32 v[2:3], v[22:23], v[76:77]
	v_mul_f64_e32 v[76:77], v[20:21], v[76:77]
	s_delay_alu instid0(VALU_DEP_2) | instskip(NEXT) | instid1(VALU_DEP_2)
	v_fma_f64 v[2:3], v[20:21], v[74:75], -v[2:3]
	v_fmac_f64_e32 v[76:77], v[22:23], v[74:75]
	s_delay_alu instid0(VALU_DEP_2) | instskip(NEXT) | instid1(VALU_DEP_2)
	v_add_f64_e32 v[16:17], v[16:17], v[2:3]
	v_add_f64_e32 v[18:19], v[18:19], v[76:77]
	s_or_b32 exec_lo, exec_lo, s58
	s_and_saveexec_b32 s58, s2
	s_cbranch_execnz .LBB178_46
	s_branch .LBB178_47
.LBB178_522:                            ;   in Loop: Header=BB178_3 Depth=1
	ds_load_b128 v[20:23], v56 offset:16
	ds_load_b128 v[74:77], v60 offset:640
	s_wait_dscnt 0x0
	v_mul_f64_e32 v[2:3], v[22:23], v[76:77]
	v_mul_f64_e32 v[76:77], v[20:21], v[76:77]
	s_delay_alu instid0(VALU_DEP_2) | instskip(NEXT) | instid1(VALU_DEP_2)
	v_fma_f64 v[2:3], v[20:21], v[74:75], -v[2:3]
	v_fmac_f64_e32 v[76:77], v[22:23], v[74:75]
	s_delay_alu instid0(VALU_DEP_2) | instskip(NEXT) | instid1(VALU_DEP_2)
	v_add_f64_e32 v[16:17], v[16:17], v[2:3]
	v_add_f64_e32 v[18:19], v[18:19], v[76:77]
	s_or_b32 exec_lo, exec_lo, s58
	s_and_saveexec_b32 s58, s15
	s_cbranch_execz .LBB178_83
.LBB178_523:                            ;   in Loop: Header=BB178_3 Depth=1
	ds_load_b128 v[20:23], v56 offset:32
	ds_load_b128 v[74:77], v60 offset:1152
	s_wait_dscnt 0x0
	v_mul_f64_e32 v[2:3], v[22:23], v[76:77]
	v_mul_f64_e32 v[76:77], v[20:21], v[76:77]
	s_delay_alu instid0(VALU_DEP_2) | instskip(NEXT) | instid1(VALU_DEP_2)
	v_fma_f64 v[2:3], v[20:21], v[74:75], -v[2:3]
	v_fmac_f64_e32 v[76:77], v[22:23], v[74:75]
	s_delay_alu instid0(VALU_DEP_2) | instskip(NEXT) | instid1(VALU_DEP_2)
	v_add_f64_e32 v[16:17], v[16:17], v[2:3]
	v_add_f64_e32 v[18:19], v[18:19], v[76:77]
	s_or_b32 exec_lo, exec_lo, s58
	s_and_saveexec_b32 s58, s16
	s_cbranch_execz .LBB178_84
.LBB178_524:                            ;   in Loop: Header=BB178_3 Depth=1
	ds_load_b128 v[20:23], v56 offset:48
	ds_load_b128 v[74:77], v60 offset:1664
	s_wait_dscnt 0x0
	v_mul_f64_e32 v[2:3], v[22:23], v[76:77]
	v_mul_f64_e32 v[76:77], v[20:21], v[76:77]
	s_delay_alu instid0(VALU_DEP_2) | instskip(NEXT) | instid1(VALU_DEP_2)
	v_fma_f64 v[2:3], v[20:21], v[74:75], -v[2:3]
	v_fmac_f64_e32 v[76:77], v[22:23], v[74:75]
	s_delay_alu instid0(VALU_DEP_2) | instskip(NEXT) | instid1(VALU_DEP_2)
	v_add_f64_e32 v[16:17], v[16:17], v[2:3]
	v_add_f64_e32 v[18:19], v[18:19], v[76:77]
	s_or_b32 exec_lo, exec_lo, s58
	s_and_saveexec_b32 s58, s17
	s_cbranch_execz .LBB178_85
.LBB178_525:                            ;   in Loop: Header=BB178_3 Depth=1
	ds_load_b128 v[20:23], v56 offset:64
	ds_load_b128 v[74:77], v59 offset:2176
	s_wait_dscnt 0x0
	v_mul_f64_e32 v[2:3], v[22:23], v[76:77]
	v_mul_f64_e32 v[76:77], v[20:21], v[76:77]
	s_delay_alu instid0(VALU_DEP_2) | instskip(NEXT) | instid1(VALU_DEP_2)
	v_fma_f64 v[2:3], v[20:21], v[74:75], -v[2:3]
	v_fmac_f64_e32 v[76:77], v[22:23], v[74:75]
	s_delay_alu instid0(VALU_DEP_2) | instskip(NEXT) | instid1(VALU_DEP_2)
	v_add_f64_e32 v[16:17], v[16:17], v[2:3]
	v_add_f64_e32 v[18:19], v[18:19], v[76:77]
	s_or_b32 exec_lo, exec_lo, s58
	s_and_saveexec_b32 s58, s18
	s_cbranch_execz .LBB178_86
.LBB178_526:                            ;   in Loop: Header=BB178_3 Depth=1
	ds_load_b128 v[20:23], v56 offset:80
	ds_load_b128 v[74:77], v60 offset:2688
	s_wait_dscnt 0x0
	v_mul_f64_e32 v[2:3], v[22:23], v[76:77]
	v_mul_f64_e32 v[76:77], v[20:21], v[76:77]
	s_delay_alu instid0(VALU_DEP_2) | instskip(NEXT) | instid1(VALU_DEP_2)
	v_fma_f64 v[2:3], v[20:21], v[74:75], -v[2:3]
	v_fmac_f64_e32 v[76:77], v[22:23], v[74:75]
	s_delay_alu instid0(VALU_DEP_2) | instskip(NEXT) | instid1(VALU_DEP_2)
	v_add_f64_e32 v[16:17], v[16:17], v[2:3]
	v_add_f64_e32 v[18:19], v[18:19], v[76:77]
	s_or_b32 exec_lo, exec_lo, s58
	s_and_saveexec_b32 s58, s4
	s_cbranch_execz .LBB178_87
.LBB178_527:                            ;   in Loop: Header=BB178_3 Depth=1
	ds_load_b128 v[20:23], v56 offset:96
	ds_load_b128 v[74:77], v59 offset:3200
	s_wait_dscnt 0x0
	v_mul_f64_e32 v[2:3], v[22:23], v[76:77]
	v_mul_f64_e32 v[76:77], v[20:21], v[76:77]
	s_delay_alu instid0(VALU_DEP_2) | instskip(NEXT) | instid1(VALU_DEP_2)
	v_fma_f64 v[2:3], v[20:21], v[74:75], -v[2:3]
	v_fmac_f64_e32 v[76:77], v[22:23], v[74:75]
	s_delay_alu instid0(VALU_DEP_2) | instskip(NEXT) | instid1(VALU_DEP_2)
	v_add_f64_e32 v[16:17], v[16:17], v[2:3]
	v_add_f64_e32 v[18:19], v[18:19], v[76:77]
	s_or_b32 exec_lo, exec_lo, s58
	s_and_saveexec_b32 s58, s6
	s_cbranch_execnz .LBB178_88
	s_branch .LBB178_89
.LBB178_528:                            ;   in Loop: Header=BB178_3 Depth=1
	ds_load_b128 v[20:23], v52 offset:4240
	ds_load_b128 v[74:77], v55 offset:4800
	s_wait_dscnt 0x0
	v_mul_f64_e32 v[2:3], v[22:23], v[76:77]
	v_mul_f64_e32 v[76:77], v[20:21], v[76:77]
	s_delay_alu instid0(VALU_DEP_2) | instskip(NEXT) | instid1(VALU_DEP_2)
	v_fma_f64 v[2:3], v[20:21], v[74:75], -v[2:3]
	v_fmac_f64_e32 v[76:77], v[22:23], v[74:75]
	s_delay_alu instid0(VALU_DEP_2) | instskip(NEXT) | instid1(VALU_DEP_2)
	v_add_f64_e32 v[16:17], v[16:17], v[2:3]
	v_add_f64_e32 v[18:19], v[18:19], v[76:77]
	s_or_b32 exec_lo, exec_lo, s58
	s_and_saveexec_b32 s58, s6
	s_cbranch_execz .LBB178_141
.LBB178_529:                            ;   in Loop: Header=BB178_3 Depth=1
	ds_load_b128 v[20:23], v52 offset:4256
	ds_load_b128 v[74:77], v54 offset:5312
	s_wait_dscnt 0x0
	v_mul_f64_e32 v[2:3], v[22:23], v[76:77]
	v_mul_f64_e32 v[76:77], v[20:21], v[76:77]
	s_delay_alu instid0(VALU_DEP_2) | instskip(NEXT) | instid1(VALU_DEP_2)
	v_fma_f64 v[2:3], v[20:21], v[74:75], -v[2:3]
	v_fmac_f64_e32 v[76:77], v[22:23], v[74:75]
	s_delay_alu instid0(VALU_DEP_2) | instskip(NEXT) | instid1(VALU_DEP_2)
	v_add_f64_e32 v[16:17], v[16:17], v[2:3]
	v_add_f64_e32 v[18:19], v[18:19], v[76:77]
	s_or_b32 exec_lo, exec_lo, s58
	s_and_saveexec_b32 s58, s2
	s_cbranch_execnz .LBB178_142
	s_branch .LBB178_143
.LBB178_530:                            ;   in Loop: Header=BB178_3 Depth=1
	ds_load_b128 v[20:23], v0 offset:176
	ds_load_b128 v[74:77], v65 offset:5888
	s_wait_dscnt 0x0
	v_mul_f64_e32 v[2:3], v[22:23], v[76:77]
	v_mul_f64_e32 v[76:77], v[20:21], v[76:77]
	s_delay_alu instid0(VALU_DEP_2) | instskip(NEXT) | instid1(VALU_DEP_2)
	v_fma_f64 v[2:3], v[20:21], v[74:75], -v[2:3]
	v_fmac_f64_e32 v[76:77], v[22:23], v[74:75]
	s_delay_alu instid0(VALU_DEP_2) | instskip(NEXT) | instid1(VALU_DEP_2)
	v_add_f64_e32 v[16:17], v[16:17], v[2:3]
	v_add_f64_e32 v[18:19], v[18:19], v[76:77]
	s_or_b32 exec_lo, exec_lo, s58
	s_and_saveexec_b32 s58, s7
	s_cbranch_execz .LBB178_199
.LBB178_531:                            ;   in Loop: Header=BB178_3 Depth=1
	ds_load_b128 v[20:23], v0 offset:192
	ds_load_b128 v[74:77], v65 offset:6400
	s_wait_dscnt 0x0
	v_mul_f64_e32 v[2:3], v[22:23], v[76:77]
	v_mul_f64_e32 v[76:77], v[20:21], v[76:77]
	s_delay_alu instid0(VALU_DEP_2) | instskip(NEXT) | instid1(VALU_DEP_2)
	v_fma_f64 v[2:3], v[20:21], v[74:75], -v[2:3]
	v_fmac_f64_e32 v[76:77], v[22:23], v[74:75]
	s_delay_alu instid0(VALU_DEP_2) | instskip(NEXT) | instid1(VALU_DEP_2)
	v_add_f64_e32 v[16:17], v[16:17], v[2:3]
	v_add_f64_e32 v[18:19], v[18:19], v[76:77]
	s_or_b32 exec_lo, exec_lo, s58
	s_and_saveexec_b32 s58, s15
	s_cbranch_execz .LBB178_200
.LBB178_532:                            ;   in Loop: Header=BB178_3 Depth=1
	ds_load_b128 v[20:23], v0 offset:208
	ds_load_b128 v[74:77], v65 offset:6912
	s_wait_dscnt 0x0
	v_mul_f64_e32 v[2:3], v[22:23], v[76:77]
	v_mul_f64_e32 v[76:77], v[20:21], v[76:77]
	s_delay_alu instid0(VALU_DEP_2) | instskip(NEXT) | instid1(VALU_DEP_2)
	v_fma_f64 v[2:3], v[20:21], v[74:75], -v[2:3]
	v_fmac_f64_e32 v[76:77], v[22:23], v[74:75]
	s_delay_alu instid0(VALU_DEP_2) | instskip(NEXT) | instid1(VALU_DEP_2)
	v_add_f64_e32 v[16:17], v[16:17], v[2:3]
	v_add_f64_e32 v[18:19], v[18:19], v[76:77]
	s_or_b32 exec_lo, exec_lo, s58
	s_and_saveexec_b32 s58, s17
	s_cbranch_execz .LBB178_201
.LBB178_533:                            ;   in Loop: Header=BB178_3 Depth=1
	ds_load_b128 v[20:23], v0 offset:224
	ds_load_b128 v[74:77], v65 offset:7424
	s_wait_dscnt 0x0
	v_mul_f64_e32 v[2:3], v[22:23], v[76:77]
	v_mul_f64_e32 v[76:77], v[20:21], v[76:77]
	s_delay_alu instid0(VALU_DEP_2) | instskip(NEXT) | instid1(VALU_DEP_2)
	v_fma_f64 v[2:3], v[20:21], v[74:75], -v[2:3]
	v_fmac_f64_e32 v[76:77], v[22:23], v[74:75]
	s_delay_alu instid0(VALU_DEP_2) | instskip(NEXT) | instid1(VALU_DEP_2)
	v_add_f64_e32 v[16:17], v[16:17], v[2:3]
	v_add_f64_e32 v[18:19], v[18:19], v[76:77]
	s_or_b32 exec_lo, exec_lo, s58
	s_and_saveexec_b32 s58, s4
	s_cbranch_execnz .LBB178_202
	s_branch .LBB178_203
.LBB178_534:                            ;   in Loop: Header=BB178_3 Depth=1
	ds_load_b128 v[20:23], v52 offset:8464
	ds_load_b128 v[74:77], v55 offset:9024
	s_wait_dscnt 0x0
	v_mul_f64_e32 v[2:3], v[22:23], v[76:77]
	v_mul_f64_e32 v[76:77], v[20:21], v[76:77]
	s_delay_alu instid0(VALU_DEP_2) | instskip(NEXT) | instid1(VALU_DEP_2)
	v_fma_f64 v[2:3], v[20:21], v[74:75], -v[2:3]
	v_fmac_f64_e32 v[76:77], v[22:23], v[74:75]
	s_delay_alu instid0(VALU_DEP_2) | instskip(NEXT) | instid1(VALU_DEP_2)
	v_add_f64_e32 v[16:17], v[16:17], v[2:3]
	v_add_f64_e32 v[18:19], v[18:19], v[76:77]
	s_or_b32 exec_lo, exec_lo, s58
	s_and_saveexec_b32 s58, s6
	s_cbranch_execz .LBB178_287
.LBB178_535:                            ;   in Loop: Header=BB178_3 Depth=1
	ds_load_b128 v[20:23], v52 offset:8480
	ds_load_b128 v[74:77], v54 offset:9536
	s_wait_dscnt 0x0
	v_mul_f64_e32 v[2:3], v[22:23], v[76:77]
	v_mul_f64_e32 v[76:77], v[20:21], v[76:77]
	s_delay_alu instid0(VALU_DEP_2) | instskip(NEXT) | instid1(VALU_DEP_2)
	v_fma_f64 v[2:3], v[20:21], v[74:75], -v[2:3]
	v_fmac_f64_e32 v[76:77], v[22:23], v[74:75]
	s_delay_alu instid0(VALU_DEP_2) | instskip(NEXT) | instid1(VALU_DEP_2)
	v_add_f64_e32 v[16:17], v[16:17], v[2:3]
	v_add_f64_e32 v[18:19], v[18:19], v[76:77]
	s_or_b32 exec_lo, exec_lo, s58
	s_and_saveexec_b32 s58, s2
	s_cbranch_execnz .LBB178_288
	s_branch .LBB178_289
.LBB178_536:                            ;   in Loop: Header=BB178_3 Depth=1
	ds_load_b128 v[20:23], v56 offset:8464
	ds_load_b128 v[74:77], v60 offset:9088
	s_wait_dscnt 0x0
	v_mul_f64_e32 v[2:3], v[22:23], v[76:77]
	v_mul_f64_e32 v[76:77], v[20:21], v[76:77]
	s_delay_alu instid0(VALU_DEP_2) | instskip(NEXT) | instid1(VALU_DEP_2)
	v_fma_f64 v[2:3], v[20:21], v[74:75], -v[2:3]
	v_fmac_f64_e32 v[76:77], v[22:23], v[74:75]
	s_delay_alu instid0(VALU_DEP_2) | instskip(NEXT) | instid1(VALU_DEP_2)
	v_add_f64_e32 v[16:17], v[16:17], v[2:3]
	v_add_f64_e32 v[18:19], v[18:19], v[76:77]
	s_or_b32 exec_lo, exec_lo, s58
	s_and_saveexec_b32 s58, s15
	s_cbranch_execz .LBB178_325
.LBB178_537:                            ;   in Loop: Header=BB178_3 Depth=1
	ds_load_b128 v[20:23], v56 offset:8480
	ds_load_b128 v[74:77], v60 offset:9600
	s_wait_dscnt 0x0
	v_mul_f64_e32 v[2:3], v[22:23], v[76:77]
	v_mul_f64_e32 v[76:77], v[20:21], v[76:77]
	s_delay_alu instid0(VALU_DEP_2) | instskip(NEXT) | instid1(VALU_DEP_2)
	v_fma_f64 v[2:3], v[20:21], v[74:75], -v[2:3]
	v_fmac_f64_e32 v[76:77], v[22:23], v[74:75]
	s_delay_alu instid0(VALU_DEP_2) | instskip(NEXT) | instid1(VALU_DEP_2)
	v_add_f64_e32 v[16:17], v[16:17], v[2:3]
	v_add_f64_e32 v[18:19], v[18:19], v[76:77]
	s_or_b32 exec_lo, exec_lo, s58
	s_and_saveexec_b32 s58, s16
	s_cbranch_execz .LBB178_326
.LBB178_538:                            ;   in Loop: Header=BB178_3 Depth=1
	ds_load_b128 v[20:23], v56 offset:8496
	ds_load_b128 v[74:77], v60 offset:10112
	s_wait_dscnt 0x0
	v_mul_f64_e32 v[2:3], v[22:23], v[76:77]
	v_mul_f64_e32 v[76:77], v[20:21], v[76:77]
	s_delay_alu instid0(VALU_DEP_2) | instskip(NEXT) | instid1(VALU_DEP_2)
	v_fma_f64 v[2:3], v[20:21], v[74:75], -v[2:3]
	v_fmac_f64_e32 v[76:77], v[22:23], v[74:75]
	s_delay_alu instid0(VALU_DEP_2) | instskip(NEXT) | instid1(VALU_DEP_2)
	v_add_f64_e32 v[16:17], v[16:17], v[2:3]
	v_add_f64_e32 v[18:19], v[18:19], v[76:77]
	s_or_b32 exec_lo, exec_lo, s58
	s_and_saveexec_b32 s58, s17
	s_cbranch_execz .LBB178_327
.LBB178_539:                            ;   in Loop: Header=BB178_3 Depth=1
	ds_load_b128 v[20:23], v56 offset:8512
	ds_load_b128 v[74:77], v59 offset:10624
	s_wait_dscnt 0x0
	v_mul_f64_e32 v[2:3], v[22:23], v[76:77]
	v_mul_f64_e32 v[76:77], v[20:21], v[76:77]
	s_delay_alu instid0(VALU_DEP_2) | instskip(NEXT) | instid1(VALU_DEP_2)
	v_fma_f64 v[2:3], v[20:21], v[74:75], -v[2:3]
	v_fmac_f64_e32 v[76:77], v[22:23], v[74:75]
	s_delay_alu instid0(VALU_DEP_2) | instskip(NEXT) | instid1(VALU_DEP_2)
	v_add_f64_e32 v[16:17], v[16:17], v[2:3]
	v_add_f64_e32 v[18:19], v[18:19], v[76:77]
	s_or_b32 exec_lo, exec_lo, s58
	s_and_saveexec_b32 s58, s18
	s_cbranch_execz .LBB178_328
.LBB178_540:                            ;   in Loop: Header=BB178_3 Depth=1
	ds_load_b128 v[20:23], v56 offset:8528
	ds_load_b128 v[74:77], v60 offset:11136
	s_wait_dscnt 0x0
	v_mul_f64_e32 v[2:3], v[22:23], v[76:77]
	v_mul_f64_e32 v[76:77], v[20:21], v[76:77]
	s_delay_alu instid0(VALU_DEP_2) | instskip(NEXT) | instid1(VALU_DEP_2)
	v_fma_f64 v[2:3], v[20:21], v[74:75], -v[2:3]
	v_fmac_f64_e32 v[76:77], v[22:23], v[74:75]
	s_delay_alu instid0(VALU_DEP_2) | instskip(NEXT) | instid1(VALU_DEP_2)
	v_add_f64_e32 v[16:17], v[16:17], v[2:3]
	v_add_f64_e32 v[18:19], v[18:19], v[76:77]
	s_or_b32 exec_lo, exec_lo, s58
	s_and_saveexec_b32 s58, s4
	s_cbranch_execz .LBB178_329
.LBB178_541:                            ;   in Loop: Header=BB178_3 Depth=1
	ds_load_b128 v[20:23], v56 offset:8544
	ds_load_b128 v[74:77], v59 offset:11648
	s_wait_dscnt 0x0
	v_mul_f64_e32 v[2:3], v[22:23], v[76:77]
	v_mul_f64_e32 v[76:77], v[20:21], v[76:77]
	s_delay_alu instid0(VALU_DEP_2) | instskip(NEXT) | instid1(VALU_DEP_2)
	v_fma_f64 v[2:3], v[20:21], v[74:75], -v[2:3]
	v_fmac_f64_e32 v[76:77], v[22:23], v[74:75]
	s_delay_alu instid0(VALU_DEP_2) | instskip(NEXT) | instid1(VALU_DEP_2)
	v_add_f64_e32 v[16:17], v[16:17], v[2:3]
	v_add_f64_e32 v[18:19], v[18:19], v[76:77]
	s_or_b32 exec_lo, exec_lo, s58
	s_and_saveexec_b32 s58, s6
	s_cbranch_execnz .LBB178_330
	s_branch .LBB178_331
.LBB178_542:                            ;   in Loop: Header=BB178_3 Depth=1
	ds_load_b128 v[20:23], v52 offset:12688
	ds_load_b128 v[74:77], v55 offset:13248
	s_wait_dscnt 0x0
	v_mul_f64_e32 v[2:3], v[22:23], v[76:77]
	v_mul_f64_e32 v[76:77], v[20:21], v[76:77]
	s_delay_alu instid0(VALU_DEP_2) | instskip(NEXT) | instid1(VALU_DEP_2)
	v_fma_f64 v[2:3], v[20:21], v[74:75], -v[2:3]
	v_fmac_f64_e32 v[76:77], v[22:23], v[74:75]
	s_delay_alu instid0(VALU_DEP_2) | instskip(NEXT) | instid1(VALU_DEP_2)
	v_add_f64_e32 v[16:17], v[16:17], v[2:3]
	v_add_f64_e32 v[18:19], v[18:19], v[76:77]
	s_or_b32 exec_lo, exec_lo, s58
	s_and_saveexec_b32 s58, s6
	s_cbranch_execz .LBB178_383
.LBB178_543:                            ;   in Loop: Header=BB178_3 Depth=1
	ds_load_b128 v[20:23], v52 offset:12704
	ds_load_b128 v[74:77], v54 offset:13760
	s_wait_dscnt 0x0
	v_mul_f64_e32 v[2:3], v[22:23], v[76:77]
	v_mul_f64_e32 v[76:77], v[20:21], v[76:77]
	s_delay_alu instid0(VALU_DEP_2) | instskip(NEXT) | instid1(VALU_DEP_2)
	v_fma_f64 v[2:3], v[20:21], v[74:75], -v[2:3]
	v_fmac_f64_e32 v[76:77], v[22:23], v[74:75]
	s_delay_alu instid0(VALU_DEP_2) | instskip(NEXT) | instid1(VALU_DEP_2)
	v_add_f64_e32 v[16:17], v[16:17], v[2:3]
	v_add_f64_e32 v[18:19], v[18:19], v[76:77]
	s_or_b32 exec_lo, exec_lo, s58
	s_and_saveexec_b32 s58, s2
	s_cbranch_execnz .LBB178_384
	s_branch .LBB178_385
.LBB178_544:
	s_endpgm
	.section	.rodata,"a",@progbits
	.p2align	6, 0x0
	.amdhsa_kernel _ZL19rocblas_trsv_deviceILi32ELi16ELb1ELb0ELb0ELb0E19rocblas_complex_numIdEPKS1_PKS3_PKPS1_EviT7_lllT6_T8_lllPii
		.amdhsa_group_segment_fixed_size 25104
		.amdhsa_private_segment_fixed_size 0
		.amdhsa_kernarg_size 352
		.amdhsa_user_sgpr_count 2
		.amdhsa_user_sgpr_dispatch_ptr 0
		.amdhsa_user_sgpr_queue_ptr 0
		.amdhsa_user_sgpr_kernarg_segment_ptr 1
		.amdhsa_user_sgpr_dispatch_id 0
		.amdhsa_user_sgpr_kernarg_preload_length 0
		.amdhsa_user_sgpr_kernarg_preload_offset 0
		.amdhsa_user_sgpr_private_segment_size 0
		.amdhsa_wavefront_size32 1
		.amdhsa_uses_dynamic_stack 0
		.amdhsa_enable_private_segment 0
		.amdhsa_system_sgpr_workgroup_id_x 1
		.amdhsa_system_sgpr_workgroup_id_y 0
		.amdhsa_system_sgpr_workgroup_id_z 1
		.amdhsa_system_sgpr_workgroup_info 0
		.amdhsa_system_vgpr_workitem_id 1
		.amdhsa_next_free_vgpr 79
		.amdhsa_next_free_sgpr 105
		.amdhsa_named_barrier_count 0
		.amdhsa_reserve_vcc 1
		.amdhsa_float_round_mode_32 0
		.amdhsa_float_round_mode_16_64 0
		.amdhsa_float_denorm_mode_32 3
		.amdhsa_float_denorm_mode_16_64 3
		.amdhsa_fp16_overflow 0
		.amdhsa_memory_ordered 1
		.amdhsa_forward_progress 1
		.amdhsa_inst_pref_size 193
		.amdhsa_round_robin_scheduling 0
		.amdhsa_exception_fp_ieee_invalid_op 0
		.amdhsa_exception_fp_denorm_src 0
		.amdhsa_exception_fp_ieee_div_zero 0
		.amdhsa_exception_fp_ieee_overflow 0
		.amdhsa_exception_fp_ieee_underflow 0
		.amdhsa_exception_fp_ieee_inexact 0
		.amdhsa_exception_int_div_zero 0
	.end_amdhsa_kernel
	.section	.text._ZL19rocblas_trsv_deviceILi32ELi16ELb1ELb0ELb0ELb0E19rocblas_complex_numIdEPKS1_PKS3_PKPS1_EviT7_lllT6_T8_lllPii,"axG",@progbits,_ZL19rocblas_trsv_deviceILi32ELi16ELb1ELb0ELb0ELb0E19rocblas_complex_numIdEPKS1_PKS3_PKPS1_EviT7_lllT6_T8_lllPii,comdat
.Lfunc_end178:
	.size	_ZL19rocblas_trsv_deviceILi32ELi16ELb1ELb0ELb0ELb0E19rocblas_complex_numIdEPKS1_PKS3_PKPS1_EviT7_lllT6_T8_lllPii, .Lfunc_end178-_ZL19rocblas_trsv_deviceILi32ELi16ELb1ELb0ELb0ELb0E19rocblas_complex_numIdEPKS1_PKS3_PKPS1_EviT7_lllT6_T8_lllPii
                                        ; -- End function
	.set _ZL19rocblas_trsv_deviceILi32ELi16ELb1ELb0ELb0ELb0E19rocblas_complex_numIdEPKS1_PKS3_PKPS1_EviT7_lllT6_T8_lllPii.num_vgpr, 79
	.set _ZL19rocblas_trsv_deviceILi32ELi16ELb1ELb0ELb0ELb0E19rocblas_complex_numIdEPKS1_PKS3_PKPS1_EviT7_lllT6_T8_lllPii.num_agpr, 0
	.set _ZL19rocblas_trsv_deviceILi32ELi16ELb1ELb0ELb0ELb0E19rocblas_complex_numIdEPKS1_PKS3_PKPS1_EviT7_lllT6_T8_lllPii.numbered_sgpr, 105
	.set _ZL19rocblas_trsv_deviceILi32ELi16ELb1ELb0ELb0ELb0E19rocblas_complex_numIdEPKS1_PKS3_PKPS1_EviT7_lllT6_T8_lllPii.num_named_barrier, 0
	.set _ZL19rocblas_trsv_deviceILi32ELi16ELb1ELb0ELb0ELb0E19rocblas_complex_numIdEPKS1_PKS3_PKPS1_EviT7_lllT6_T8_lllPii.private_seg_size, 0
	.set _ZL19rocblas_trsv_deviceILi32ELi16ELb1ELb0ELb0ELb0E19rocblas_complex_numIdEPKS1_PKS3_PKPS1_EviT7_lllT6_T8_lllPii.uses_vcc, 1
	.set _ZL19rocblas_trsv_deviceILi32ELi16ELb1ELb0ELb0ELb0E19rocblas_complex_numIdEPKS1_PKS3_PKPS1_EviT7_lllT6_T8_lllPii.uses_flat_scratch, 0
	.set _ZL19rocblas_trsv_deviceILi32ELi16ELb1ELb0ELb0ELb0E19rocblas_complex_numIdEPKS1_PKS3_PKPS1_EviT7_lllT6_T8_lllPii.has_dyn_sized_stack, 0
	.set _ZL19rocblas_trsv_deviceILi32ELi16ELb1ELb0ELb0ELb0E19rocblas_complex_numIdEPKS1_PKS3_PKPS1_EviT7_lllT6_T8_lllPii.has_recursion, 0
	.set _ZL19rocblas_trsv_deviceILi32ELi16ELb1ELb0ELb0ELb0E19rocblas_complex_numIdEPKS1_PKS3_PKPS1_EviT7_lllT6_T8_lllPii.has_indirect_call, 0
	.section	.AMDGPU.csdata,"",@progbits
; Kernel info:
; codeLenInByte = 24608
; TotalNumSgprs: 107
; NumVgprs: 79
; ScratchSize: 0
; MemoryBound: 1
; FloatMode: 240
; IeeeMode: 1
; LDSByteSize: 25104 bytes/workgroup (compile time only)
; SGPRBlocks: 0
; VGPRBlocks: 4
; NumSGPRsForWavesPerEU: 107
; NumVGPRsForWavesPerEU: 79
; NamedBarCnt: 0
; Occupancy: 12
; WaveLimiterHint : 1
; COMPUTE_PGM_RSRC2:SCRATCH_EN: 0
; COMPUTE_PGM_RSRC2:USER_SGPR: 2
; COMPUTE_PGM_RSRC2:TRAP_HANDLER: 0
; COMPUTE_PGM_RSRC2:TGID_X_EN: 1
; COMPUTE_PGM_RSRC2:TGID_Y_EN: 0
; COMPUTE_PGM_RSRC2:TGID_Z_EN: 1
; COMPUTE_PGM_RSRC2:TIDIG_COMP_CNT: 1
	.section	.text._ZL19rocblas_trsv_deviceILi32ELi16ELb1ELb1ELb0ELb0E19rocblas_complex_numIdEPKS1_PKS3_PKPS1_EviT7_lllT6_T8_lllPii,"axG",@progbits,_ZL19rocblas_trsv_deviceILi32ELi16ELb1ELb1ELb0ELb0E19rocblas_complex_numIdEPKS1_PKS3_PKPS1_EviT7_lllT6_T8_lllPii,comdat
	.globl	_ZL19rocblas_trsv_deviceILi32ELi16ELb1ELb1ELb0ELb0E19rocblas_complex_numIdEPKS1_PKS3_PKPS1_EviT7_lllT6_T8_lllPii ; -- Begin function _ZL19rocblas_trsv_deviceILi32ELi16ELb1ELb1ELb0ELb0E19rocblas_complex_numIdEPKS1_PKS3_PKPS1_EviT7_lllT6_T8_lllPii
	.p2align	8
	.type	_ZL19rocblas_trsv_deviceILi32ELi16ELb1ELb1ELb0ELb0E19rocblas_complex_numIdEPKS1_PKS3_PKPS1_EviT7_lllT6_T8_lllPii,@function
_ZL19rocblas_trsv_deviceILi32ELi16ELb1ELb1ELb0ELb0E19rocblas_complex_numIdEPKS1_PKS3_PKPS1_EviT7_lllT6_T8_lllPii: ; @_ZL19rocblas_trsv_deviceILi32ELi16ELb1ELb1ELb0ELb0E19rocblas_complex_numIdEPKS1_PKS3_PKPS1_EviT7_lllT6_T8_lllPii
; %bb.0:
	s_load_b32 s37, s[0:1], 0x58
	s_bfe_u32 s2, ttmp6, 0x40014
	s_lshr_b32 s3, ttmp7, 16
	s_add_co_i32 s2, s2, 1
	s_bfe_u32 s5, ttmp6, 0x40008
	s_mul_i32 s4, s3, s2
	s_getreg_b32 s2, hwreg(HW_REG_IB_STS2, 6, 4)
	s_add_co_i32 s5, s5, s4
	s_cmp_eq_u32 s2, 0
	s_mov_b32 s39, 0
	s_cselect_b32 s38, s3, s5
	s_wait_kmcnt 0x0
	s_cmp_ge_u32 s38, s37
	s_cbranch_scc1 .LBB179_574
; %bb.1:
	s_clause 0x2
	s_load_b32 s3, s[0:1], 0x6c
	s_load_b32 s57, s[0:1], 0x60
	;; [unrolled: 1-line block ×3, first 2 shown]
	s_bfe_u32 s4, ttmp6, 0x4000c
	s_and_b32 s5, ttmp6, 15
	s_add_co_i32 s4, s4, 1
	s_load_b64 s[14:15], s[0:1], 0x18
	s_mul_i32 s4, ttmp9, s4
	v_and_b32_e32 v26, 0x3ff, v0
	s_add_co_i32 s5, s5, s4
	s_cmp_eq_u32 s2, 0
	v_mov_b32_e32 v2, 0
	s_cselect_b32 s56, ttmp9, s5
	v_bfe_u32 v46, v0, 10, 10
	v_lshlrev_b32_e32 v1, 5, v26
                                        ; implicit-def: $vgpr207 : SGPR spill to VGPR lane
	s_load_b256 s[40:47], s[0:1], 0x28
	v_dual_mov_b32 v29, v2 :: v_dual_mov_b32 v27, v2
	s_delay_alu instid0(VALU_DEP_2)
	v_dual_add_nc_u32 v8, 16, v46 :: v_dual_add_nc_u32 v9, v46, v1
	s_wait_kmcnt 0x0
	s_and_b32 s2, s3, 0xffff
	s_add_co_i32 s57, s57, -1
	s_add_co_i32 s3, s52, -1
	s_ashr_i32 s53, s52, 31
	s_ashr_i32 s4, s3, 31
	s_lshr_b32 s5, s53, 27
	s_lshr_b32 s4, s4, 27
	s_add_co_i32 s5, s52, s5
	s_add_co_i32 s3, s3, s4
	s_and_not1_b32 s5, s5, 31
	s_sub_co_i32 s87, s57, s56
	s_ashr_i32 s3, s3, 5
	s_sub_co_i32 s13, s52, s5
	s_cmp_eq_u32 s3, s87
	v_lshl_add_u32 v3, v46, 5, v26
	s_cselect_b32 s3, -1, 0
	s_cmp_lg_u32 s13, 0
	v_lshl_add_u32 v11, v8, 5, v26
	s_cselect_b32 s4, -1, 0
	v_lshlrev_b32_e32 v49, 4, v26
	s_and_b32 s18, s4, s3
	s_add_nc_u64 s[4:5], s[14:15], 1
	s_xor_b32 s58, s18, -1
	s_cmp_lg_u32 s56, 0
	v_mad_u32_u24 v28, v46, s2, v26
	s_cselect_b32 s59, -1, 0
	s_lshl_b32 s16, s87, 5
	s_cmp_lt_i32 s56, 5
	v_mad_nc_u64_u32 v[4:5], s4, s16, v[26:27]
	v_dual_add_nc_u32 v10, s16, v46 :: v_dual_add_nc_u32 v1, v8, v1
	s_cselect_b32 vcc_lo, -1, 0
	v_dual_cndmask_b32 v9, v3, v9 :: v_dual_add_nc_u32 v6, s16, v26
	s_or_b32 s3, vcc_lo, s18
	s_delay_alu instid0(VALU_DEP_2) | instid1(SALU_CYCLE_1)
	v_dual_add_nc_u32 v30, 32, v10 :: v_dual_cndmask_b32 v11, v11, v1, s3
	s_delay_alu instid0(VALU_DEP_2)
	v_dual_ashrrev_i32 v7, 31, v6 :: v_dual_bitop2_b32 v1, 1, v0 bitop3:0x40
	s_ashr_i32 s17, s16, 31
	s_xor_b32 s60, s3, -1
	s_mul_i32 s3, s4, s17
	s_mul_i32 s4, s5, s16
	v_dual_lshrrev_b32 v13, 1, v3 :: v_dual_lshlrev_b32 v14, 4, v1
	v_add3_u32 v5, s3, s4, v5
	v_cmp_eq_u32_e64 s4, 1, v1
	v_cmp_gt_u32_e64 s3, 4, v3
	v_lshrrev_b32_e32 v1, 2, v3
	v_lshl_or_b32 v47, v13, 9, v14
	v_and_b32_e32 v14, 3, v0
	s_xor_b32 s5, s4, -1
	s_and_b32 s62, s4, s3
	s_and_b32 s61, s5, s3
	v_cmp_eq_u32_e64 s4, 0, v46
	v_cmp_gt_u32_e64 s5, 2, v26
	v_lshlrev_b32_e32 v15, 4, v1
	v_mul_u32_u24_e32 v50, 0x210, v1
	v_lshlrev_b32_e32 v53, 4, v14
	v_cmp_eq_u32_e64 s6, 0, v14
	s_and_b32 s63, s4, s5
	v_cmp_gt_u32_e64 s5, 16, v3
	v_sub_nc_u32_e32 v16, v50, v15
	v_cmp_ne_u32_e64 s7, 0, v14
	v_add_nc_u32_e32 v55, 0x4000, v15
	v_lshl_or_b32 v56, v1, 9, v53
	v_cmp_eq_u32_e64 s8, 1, v14
	v_dual_add_nc_u32 v57, v16, v53 :: v_dual_lshrrev_b32 v1, 3, v3
	s_and_b32 s64, s6, s5
	s_and_b32 s65, s7, s5
	v_cmp_eq_u32_e64 s6, 3, v14
	v_cmp_gt_u32_e64 s7, 4, v26
	v_dual_lshlrev_b32 v16, 4, v1 :: v_dual_bitop2_b32 v15, 7, v0 bitop3:0x40
	v_cmp_lt_u32_e64 s9, 1, v14
	s_and_b32 s66, s8, s5
	s_and_b32 s69, s6, s5
	;; [unrolled: 1-line block ×3, first 2 shown]
	v_cmp_gt_u32_e64 s6, 64, v3
	v_cmp_eq_u32_e64 s7, 0, v15
	v_cmp_ne_u32_e64 s8, 0, v15
	v_dual_ashrrev_i32 v31, 31, v30 :: v_dual_lshrrev_b32 v12, 10, v0
	s_and_b32 s67, s9, s5
	v_cmp_eq_u32_e64 s9, 1, v15
	s_and_b32 s71, s7, s6
	s_and_b32 s72, s8, s6
	v_cmp_lt_u32_e64 s7, 2, v15
	v_cmp_eq_u32_e64 s8, 3, v15
	v_bitop3_b32 v12, v0, v12, 0x3ff bitop3:0xa8
	v_cmp_eq_u32_e64 s10, 2, v14
	s_and_b32 s73, s9, s6
	v_cmp_lt_u32_e64 s9, 3, v15
	s_and_b32 s76, s7, s6
	s_and_b32 s77, s8, s6
	v_cmp_eq_u32_e64 s7, 5, v15
	v_cmp_lt_u32_e64 s8, 5, v15
	v_and_b32_e32 v0, 15, v0
	s_and_b32 s68, s10, s5
	v_cmp_lt_u32_e64 s10, 1, v15
	s_and_b32 s78, s9, s6
	v_cmp_eq_u32_e64 s9, 6, v15
	s_and_b32 s81, s7, s6
	s_and_b32 s82, s8, s6
	v_cmp_gt_u32_e64 s7, 0x100, v3
	v_cmp_eq_u32_e64 s8, 0, v0
	v_cmp_eq_u32_e64 s11, 2, v15
	s_and_b32 s74, s10, s6
	v_cmp_eq_u32_e64 s10, 4, v15
	s_and_b32 s83, s9, s6
	v_cmp_ne_u32_e64 s9, 0, v0
	s_and_b32 s8, s8, s7
	s_and_b32 s75, s11, s6
	v_writelane_b32 v207, s8, 0
	v_cmp_lt_u32_e64 s11, 4, v15
	s_and_b32 s79, s10, s6
	v_cmp_eq_u32_e64 s10, 7, v15
	v_cmp_eq_u32_e64 s8, 1, v0
	s_and_b32 s9, s9, s7
	s_and_b32 s80, s11, s6
	v_writelane_b32 v207, s9, 1
	v_cmp_gt_u32_e64 s11, 8, v26
	s_and_b32 s84, s10, s6
	v_cmp_lt_u32_e64 s10, 1, v0
	s_and_b32 s8, s8, s7
	v_cmp_lt_u32_e64 s12, 2, v0
	v_writelane_b32 v207, s8, 2
	s_and_b32 s85, s4, s11
	v_cmp_eq_u32_e64 s11, 2, v0
	s_and_b32 s8, s10, s7
	v_cmp_lt_u32_e64 s9, 3, v0
	v_writelane_b32 v207, s8, 3
	v_cmp_eq_u32_e64 s10, 4, v0
	s_and_b32 s8, s11, s7
	v_cmp_lt_u32_e64 s11, 4, v0
	v_lshl_add_u32 v27, v13, 4, 0x4000
	v_writelane_b32 v207, s8, 4
	s_and_b32 s8, s12, s7
	v_mul_u32_u24_e32 v48, 0x210, v13
	v_mad_u32_u24 v13, 0x1f0, v26, v49
	v_cmp_eq_u32_e64 s12, 5, v0
	v_writelane_b32 v207, s8, 5
	v_cmp_eq_u32_e64 s8, 3, v0
	v_mul_u32_u24_e32 v58, 0x210, v1
	v_mad_i32_i24 v54, 0xfffffe10, v26, v13
	s_and_b32 s96, s12, s7
	v_cmp_lt_u32_e64 s12, 7, v0
	s_and_b32 s8, s8, s7
	v_lshlrev_b32_e32 v60, 4, v15
	v_writelane_b32 v207, s8, 6
	s_and_b32 s8, s9, s7
	v_cmp_eq_u32_e64 s9, 6, v0
	v_mad_u32_u24 v14, 0x1f0, v26, v54
	v_sub_nc_u32_e32 v17, v58, v16
	v_writelane_b32 v207, s8, 7
	s_and_b32 s8, s10, s7
	v_cmp_lt_u32_e64 s10, 6, v0
	s_and_b32 s98, s9, s7
	v_cmp_lt_u32_e64 s9, 8, v0
	v_writelane_b32 v207, s8, 8
	s_and_b32 s8, s11, s7
	v_cmp_eq_u32_e64 s11, 7, v0
	s_and_b32 s99, s10, s7
	v_cmp_eq_u32_e64 s10, 9, v0
	v_writelane_b32 v207, s8, 9
	v_cmp_lt_u32_e64 s8, 5, v0
	s_and_b32 s100, s11, s7
	v_cmp_lt_u32_e64 s11, 9, v0
	v_add_nc_u32_e32 v59, 64, v14
	s_and_b32 s101, s12, s7
	s_and_b32 s97, s8, s7
	v_cmp_eq_u32_e64 s8, 8, v0
	v_cmp_eq_u32_e64 s12, 10, v0
	s_and_b32 s103, s9, s7
	s_and_b32 s104, s10, s7
	s_and_b32 vcc_hi, s11, s7
	s_and_b32 s102, s8, s7
	v_cmp_lt_u32_e64 s8, 10, v0
	v_cmp_eq_u32_e64 s9, 11, v0
	v_cmp_lt_u32_e64 s10, 11, v0
	v_cmp_eq_u32_e64 s11, 12, v0
	v_lshl_or_b32 v63, v1, 9, v60
	v_dual_lshlrev_b32 v1, 5, v3 :: v_dual_add_nc_u32 v64, v17, v60
	v_lshlrev_b32_e32 v74, 4, v0
	s_and_b32 s20, s12, s7
	v_cmp_lt_u32_e64 s12, 12, v0
	s_and_b32 s21, s8, s7
	s_and_b32 s22, s9, s7
	;; [unrolled: 1-line block ×4, first 2 shown]
	v_cmp_eq_u32_e64 s8, 13, v0
	v_cmp_lt_u32_e64 s9, 13, v0
	v_cmp_eq_u32_e64 s10, 14, v0
	v_cmp_eq_u32_e64 s11, 15, v0
	v_add_nc_u32_e32 v0, 48, v10
	v_mad_i32_i24 v87, 0xfffffe10, v26, v14
	s_and_b32 s25, s12, s7
	s_and_b32 s28, s10, s7
	v_cmp_gt_u32_e64 s12, 16, v26
	v_cmp_gt_i32_e64 s10, s52, v0
	v_mad_u32_u24 v0, 0x1f0, v26, v87
	v_and_b32_e32 v73, 0xfffffe00, v1
	v_mad_nc_u64_u32 v[36:37], s14, v46, v[4:5]
	s_and_b32 s30, s4, s12
	v_cmp_le_i32_e64 s12, s13, v26
	v_mad_i32_i24 v98, 0xfffffe10, v26, v0
	v_mad_nc_u64_u32 v[38:39], s14, v8, v[4:5]
	v_cmp_gt_i32_e32 vcc_lo, s13, v26
	s_and_b32 s26, s8, s7
	s_and_b32 s33, s12, s18
	v_mad_u32_u24 v1, 0x1f0, v26, v98
	v_add_nc_u32_e32 v96, 0x860, v0
	v_add_nc_u32_e32 v97, 0x870, v0
	;; [unrolled: 1-line block ×12, first 2 shown]
	v_mad_i32_i24 v0, 0xfffffe10, v26, v1
	s_xor_b32 s8, s33, -1
	s_and_b32 s27, s9, s7
	s_and_b32 s29, s11, s7
	;; [unrolled: 1-line block ×3, first 2 shown]
	s_cmp_gt_i32 s56, 0
	v_add_nc_u32_e32 v109, 0x18e0, v1
	v_add_nc_u32_e32 v110, 0x18f0, v1
	v_add_nc_u32_e32 v111, 0x39e0, v1
	v_add_nc_u32_e32 v112, 0x39f0, v1
	v_add_nc_u32_e32 v113, 0x1cc0, v0
	v_add_nc_u32_e32 v114, 0x1ec0, v0
	v_add_nc_u32_e32 v115, 0x3dc0, v0
	v_add_nc_u32_e32 v116, 0x3fc0, v0
	v_mul_u64_e32 v[0:1], s[14:15], v[6:7]
	s_cselect_b32 s86, -1, 0
	s_and_b32 s14, s4, vcc_lo
	v_mad_u32 v37, s15, v46, v37
	v_writelane_b32 v207, s14, 10
	v_mad_u32 v39, s15, v8, v39
	v_cmp_ne_u32_e64 s15, v26, v46
	v_cmp_le_i32_e32 vcc_lo, s13, v46
	v_cmp_le_i32_e64 s13, s13, v8
	v_cmp_le_u32_e64 s9, v26, v8
	v_cmp_gt_i32_e64 s2, s52, v6
	v_writelane_b32 v207, s15, 11
	v_mul_u64_e32 v[32:33], s[46:47], v[6:7]
	s_or_b32 s13, s13, s12
	v_add_nc_u64_e32 v[6:7], s[16:17], v[28:29]
	s_or_b32 s89, s13, s9
	s_or_b32 s13, s12, s15
	v_cmp_ne_u32_e64 s16, v26, v8
	v_writelane_b32 v207, s13, 12
	s_or_b32 s14, vcc_lo, s12
	v_cmp_gt_u32_e64 s31, 0xf0, v3
	v_mul_u64_e32 v[34:35], s[46:47], v[6:7]
	s_or_b32 s12, s12, s16
	v_writelane_b32 v207, s16, 13
	v_lshlrev_b32_e32 v10, 9, v26
	s_clause 0x1
	s_load_b64 s[54:55], s[0:1], 0x50
	s_load_b128 s[48:51], s[0:1], 0x8
	v_dual_add_nc_u32 v51, 32, v13 :: v_dual_add_nc_u32 v52, 48, v13
	v_writelane_b32 v207, s12, 14
	v_add_nc_u32_e32 v65, 0x80, v13
	v_add_nc_u32_e32 v66, 0x90, v13
	v_add_nc_u32_e32 v67, 0xa0, v13
	v_add_nc_u32_e32 v68, 0xb0, v13
	v_writelane_b32 v207, s31, 15
	v_cmp_gt_u32_e64 s31, 0xe0, v3
	v_add_nc_u32_e32 v69, 0xc0, v13
	v_add_nc_u32_e32 v70, 0xd0, v13
	v_add_nc_u32_e32 v71, 0xe0, v13
	v_add_nc_u32_e32 v72, 0xf0, v13
	v_writelane_b32 v207, s31, 16
	v_cmp_gt_u32_e64 s31, 0xd0, v3
	;; [unrolled: 6-line block ×4, first 2 shown]
	v_add_nc_u32_e32 v83, 0x21e0, v13
	v_add_nc_u32_e32 v84, 0x21f0, v13
	v_mad_i32_i24 v13, 0xfffffe10, v26, v10
	v_dual_lshlrev_b32 v152, 4, v9 :: v_dual_bitop2_b32 v4, v8, v26 bitop3:0x54
	v_writelane_b32 v207, s31, 19
	v_cmp_gt_u32_e64 s31, 0xa0, v3
	s_delay_alu instid0(VALU_DEP_4)
	v_add_nc_u32_e32 v117, 0x2000, v13
	v_add_nc_u32_e32 v118, 0x2200, v13
	v_add_nc_u32_e32 v119, 0x2400, v13
	v_add_nc_u32_e32 v120, 0x2600, v13
	v_writelane_b32 v207, s31, 20
	v_cmp_gt_u32_e64 s31, 0x90, v3
	v_add_nc_u32_e32 v121, 0x2800, v13
	v_add_nc_u32_e32 v122, 0x2a00, v13
	v_add_nc_u32_e32 v123, 0x2c00, v13
	v_add_nc_u32_e32 v124, 0x2e00, v13
	v_writelane_b32 v207, s31, 21
	v_cmp_gt_u32_e64 s31, 0x80, v3
	;; [unrolled: 6-line block ×4, first 2 shown]
	v_lshl_add_u32 v132, v46, 9, v13
	v_lshlrev_b32_e32 v13, 4, v46
	v_cmp_gt_u32_e64 s35, 32, v12
	v_cmp_le_u32_e64 s8, v26, v46
	v_writelane_b32 v207, s31, 24
	v_cmp_gt_u32_e64 s31, 0x50, v3
	v_add_nc_u32_e32 v133, 0x6000, v13
	v_and_b32_e32 v173, -16, v3
	s_movk_i32 s19, 0x3c00
	v_cmp_gt_i32_e64 s11, s52, v30
	v_writelane_b32 v207, s31, 25
	v_add_nc_u32_e32 v61, 0x70, v14
	v_add_nc_u32_e32 v62, 0x4000, v16
	;; [unrolled: 1-line block ×4, first 2 shown]
	v_writelane_b32 v207, s35, 26
	v_cmp_gt_u32_e64 s35, 32, v4
	v_add_nc_u32_e32 v88, 0x10a0, v14
	v_add_nc_u32_e32 v89, 0x10b0, v14
	;; [unrolled: 1-line block ×8, first 2 shown]
	v_dual_add_nc_u32 v134, v10, v13 :: v_dual_sub_nc_u32 v151, 0, v10
	v_or_b32_e32 v135, 0x100, v10
	v_or_b32_e32 v136, 0x110, v10
	;; [unrolled: 1-line block ×16, first 2 shown]
	v_mad_u32_u24 v153, 0x210, v26, s19
	v_dual_lshlrev_b32 v154, 4, v11 :: v_dual_bitop2_b32 v179, v73, v74 bitop3:0x54
	s_or_b32 s88, s14, s8
	v_add_nc_u32_e32 v155, 0x400, v54
	v_add_nc_u32_e32 v156, 0x600, v54
	;; [unrolled: 1-line block ×44, first 2 shown]
	v_lshl_add_u32 v202, v28, 4, 0x6000
	v_lshl_add_u32 v203, v3, 4, 0x4000
	v_add_nc_u32_e32 v204, 0x4000, v49
	v_add_nc_u32_e32 v205, v133, v49
	;; [unrolled: 1-line block ×3, first 2 shown]
	v_mul_u32_u24_e32 v206, 0x210, v26
	v_cmp_gt_u32_e64 s12, 2, v3
	v_cmp_gt_u32_e64 s13, 12, v3
	;; [unrolled: 1-line block ×8, first 2 shown]
	v_cmp_eq_u32_e64 s31, 0, v12
	v_writelane_b32 v207, s35, 27
	v_cmp_eq_u32_e64 s35, 0, v28
	v_cmp_gt_u32_e64 s36, 32, v28
	s_add_co_i32 s87, s87, 1
	s_and_b32 s11, s11, s2
	s_and_b32 s10, s10, s2
	s_wait_kmcnt 0x0
	s_lshl_b64 s[0:1], s[50:51], 4
	s_lshl_b64 s[44:45], s[44:45], 4
                                        ; implicit-def: $vgpr6_vgpr7
                                        ; implicit-def: $vgpr10_vgpr11
	s_branch .LBB179_3
.LBB179_2:                              ;   in Loop: Header=BB179_3 Depth=1
	s_wait_xcnt 0x0
	s_or_b32 exec_lo, exec_lo, s50
	s_add_co_i32 s38, s38, 0x10000
	global_wb scope:SCOPE_DEV
	s_wait_storecnt 0x0
	global_inv scope:SCOPE_DEV
	s_cmp_lt_u32 s38, s37
	s_cbranch_scc0 .LBB179_574
.LBB179_3:                              ; =>This Loop Header: Depth=1
                                        ;     Child Loop BB179_453 Depth 2
                                        ;       Child Loop BB179_455 Depth 3
                                        ;     Child Loop BB179_486 Depth 2
	v_mov_b32_e32 v3, s38
	s_and_not1_b32 vcc_lo, exec_lo, s59
	s_clause 0x1
	global_load_b64 v[4:5], v3, s[48:49] scale_offset
	global_load_b64 v[42:43], v3, s[42:43] scale_offset
	global_load_b128 v[14:17], v2, s[40:41]
	s_wait_loadcnt 0x2
	v_add_nc_u64_e32 v[44:45], s[0:1], v[4:5]
	s_delay_alu instid0(VALU_DEP_1)
	v_lshl_add_u64 v[40:41], v[0:1], 4, v[44:45]
	s_cbranch_vccnz .LBB179_9
; %bb.4:                                ;   in Loop: Header=BB179_3 Depth=1
	v_mov_b64_e32 v[12:13], 0
	v_mov_b64_e32 v[6:7], 0
	;; [unrolled: 1-line block ×3, first 2 shown]
	v_lshl_add_u64 v[4:5], v[30:31], 4, v[40:41]
	s_wait_loadcnt 0x0
	s_barrier_signal -1
	s_barrier_wait -1
	s_wait_xcnt 0x0
	s_and_saveexec_b32 s50, s11
	s_cbranch_execz .LBB179_6
; %bb.5:                                ;   in Loop: Header=BB179_3 Depth=1
	flat_load_b128 v[6:9], v[4:5]
.LBB179_6:                              ;   in Loop: Header=BB179_3 Depth=1
	s_wait_xcnt 0x0
	s_or_b32 exec_lo, exec_lo, s50
	v_mov_b64_e32 v[10:11], 0
	s_wait_loadcnt_dscnt 0x0
	s_barrier_signal -1
	s_barrier_wait -1
	s_and_saveexec_b32 s50, s10
	s_cbranch_execz .LBB179_8
; %bb.7:                                ;   in Loop: Header=BB179_3 Depth=1
	flat_load_b128 v[10:13], v[4:5] offset:256
.LBB179_8:                              ;   in Loop: Header=BB179_3 Depth=1
	s_wait_xcnt 0x0
	s_or_b32 exec_lo, exec_lo, s50
.LBB179_9:                              ;   in Loop: Header=BB179_3 Depth=1
	s_delay_alu instid0(SALU_CYCLE_1)
	s_and_not1_b32 vcc_lo, exec_lo, s58
	s_mov_b32 s50, -1
	s_cbranch_vccnz .LBB179_16
; %bb.10:                               ;   in Loop: Header=BB179_3 Depth=1
	s_wait_xcnt 0x0
	s_and_saveexec_b32 s50, s8
	s_delay_alu instid0(SALU_CYCLE_1)
	s_xor_b32 s50, exec_lo, s50
	s_cbranch_execnz .LBB179_500
; %bb.11:                               ;   in Loop: Header=BB179_3 Depth=1
	s_and_not1_saveexec_b32 s50, s50
	s_cbranch_execnz .LBB179_511
.LBB179_12:                             ;   in Loop: Header=BB179_3 Depth=1
	s_or_b32 exec_lo, exec_lo, s50
	s_and_saveexec_b32 s50, s9
	s_delay_alu instid0(SALU_CYCLE_1)
	s_xor_b32 s50, exec_lo, s50
	s_cbranch_execnz .LBB179_512
.LBB179_13:                             ;   in Loop: Header=BB179_3 Depth=1
	s_and_not1_saveexec_b32 s50, s50
	s_cbranch_execz .LBB179_15
.LBB179_14:                             ;   in Loop: Header=BB179_3 Depth=1
	v_lshl_add_u64 v[4:5], v[38:39], 4, v[44:45]
	flat_load_b128 v[18:21], v[4:5]
	s_wait_loadcnt_dscnt 0x0
	v_xor_b32_e32 v19, 0x80000000, v19
	v_xor_b32_e32 v21, 0x80000000, v21
	ds_store_b128 v154, v[18:21]
.LBB179_15:                             ;   in Loop: Header=BB179_3 Depth=1
	s_or_b32 exec_lo, exec_lo, s50
	s_mov_b32 s50, 0
.LBB179_16:                             ;   in Loop: Header=BB179_3 Depth=1
	s_delay_alu instid0(SALU_CYCLE_1)
	s_and_b32 vcc_lo, exec_lo, s50
	s_cbranch_vccz .LBB179_23
; %bb.17:                               ;   in Loop: Header=BB179_3 Depth=1
	s_wait_xcnt 0x0
	s_and_saveexec_b32 s50, s88
	s_delay_alu instid0(SALU_CYCLE_1)
	s_xor_b32 s50, exec_lo, s50
	s_cbranch_execnz .LBB179_523
; %bb.18:                               ;   in Loop: Header=BB179_3 Depth=1
	s_and_not1_saveexec_b32 s50, s50
	s_cbranch_execnz .LBB179_534
.LBB179_19:                             ;   in Loop: Header=BB179_3 Depth=1
	s_or_b32 exec_lo, exec_lo, s50
	s_and_saveexec_b32 s50, s89
	s_delay_alu instid0(SALU_CYCLE_1)
	s_xor_b32 s50, exec_lo, s50
	s_cbranch_execnz .LBB179_535
.LBB179_20:                             ;   in Loop: Header=BB179_3 Depth=1
	s_and_not1_saveexec_b32 s50, s50
	s_cbranch_execz .LBB179_22
.LBB179_21:                             ;   in Loop: Header=BB179_3 Depth=1
	v_lshl_add_u64 v[4:5], v[38:39], 4, v[44:45]
	flat_load_b128 v[18:21], v[4:5]
	s_wait_loadcnt_dscnt 0x0
	v_xor_b32_e32 v19, 0x80000000, v19
	v_xor_b32_e32 v21, 0x80000000, v21
	ds_store_b128 v154, v[18:21]
.LBB179_22:                             ;   in Loop: Header=BB179_3 Depth=1
	s_or_b32 exec_lo, exec_lo, s50
.LBB179_23:                             ;   in Loop: Header=BB179_3 Depth=1
	s_delay_alu instid0(SALU_CYCLE_1)
	s_and_not1_b32 vcc_lo, exec_lo, s60
	s_wait_loadcnt_dscnt 0x0
	s_barrier_signal -1
	s_barrier_wait -1
	s_cbranch_vccnz .LBB179_447
; %bb.24:                               ;   in Loop: Header=BB179_3 Depth=1
	s_wait_xcnt 0x0
	s_and_saveexec_b32 s50, s31
	s_cbranch_execz .LBB179_26
; %bb.25:                               ;   in Loop: Header=BB179_3 Depth=1
	ds_load_b128 v[18:21], v2 offset:528
	ds_load_b128 v[22:25], v2
	s_wait_dscnt 0x0
	v_mul_f64_e32 v[4:5], v[18:19], v[24:25]
	v_mul_f64_e32 v[24:25], v[20:21], v[24:25]
	s_delay_alu instid0(VALU_DEP_2) | instskip(NEXT) | instid1(VALU_DEP_2)
	v_fmac_f64_e32 v[4:5], v[20:21], v[22:23]
	v_fma_f64 v[24:25], v[18:19], v[22:23], -v[24:25]
	ds_load_b128 v[18:21], v2 offset:16
	s_wait_dscnt 0x0
	v_mul_f64_e32 v[44:45], v[4:5], v[20:21]
	v_mul_f64_e32 v[22:23], v[24:25], v[20:21]
	s_delay_alu instid0(VALU_DEP_2) | instskip(NEXT) | instid1(VALU_DEP_2)
	v_fma_f64 v[20:21], v[18:19], v[24:25], -v[44:45]
	v_fmac_f64_e32 v[22:23], v[18:19], v[4:5]
	ds_store_b128 v2, v[20:23] offset:16
	ds_store_b128 v2, v[20:23] offset:512
.LBB179_26:                             ;   in Loop: Header=BB179_3 Depth=1
	s_or_b32 exec_lo, exec_lo, s50
	v_mov_b64_e32 v[20:21], 0
	v_mov_b64_e32 v[18:19], 0
	s_wait_dscnt 0x0
	s_barrier_signal -1
	s_barrier_wait -1
	s_and_saveexec_b32 s50, s3
	s_cbranch_execz .LBB179_30
; %bb.27:                               ;   in Loop: Header=BB179_3 Depth=1
	ds_load_b128 v[18:21], v48
	ds_load_b128 v[22:25], v47 offset:32
	s_wait_dscnt 0x0
	v_mul_f64_e32 v[4:5], v[20:21], v[24:25]
	v_mul_f64_e32 v[24:25], v[18:19], v[24:25]
	s_delay_alu instid0(VALU_DEP_2) | instskip(NEXT) | instid1(VALU_DEP_2)
	v_fma_f64 v[4:5], v[18:19], v[22:23], -v[4:5]
	v_fmac_f64_e32 v[24:25], v[20:21], v[22:23]
	s_delay_alu instid0(VALU_DEP_2) | instskip(NEXT) | instid1(VALU_DEP_2)
	v_add_f64_e32 v[18:19], 0, v[4:5]
	v_add_f64_e32 v[20:21], 0, v[24:25]
	s_and_saveexec_b32 s51, s12
	s_cbranch_execz .LBB179_29
; %bb.28:                               ;   in Loop: Header=BB179_3 Depth=1
	ds_load_b128 v[22:25], v2 offset:16
	ds_load_b128 v[208:211], v49 offset:544
	s_wait_dscnt 0x0
	v_mul_f64_e32 v[4:5], v[24:25], v[210:211]
	s_delay_alu instid0(VALU_DEP_1) | instskip(SKIP_1) | instid1(VALU_DEP_2)
	v_fma_f64 v[4:5], v[22:23], v[208:209], -v[4:5]
	v_mul_f64_e32 v[22:23], v[22:23], v[210:211]
	v_add_f64_e32 v[18:19], v[18:19], v[4:5]
	s_delay_alu instid0(VALU_DEP_2) | instskip(NEXT) | instid1(VALU_DEP_1)
	v_fmac_f64_e32 v[22:23], v[24:25], v[208:209]
	v_add_f64_e32 v[20:21], v[20:21], v[22:23]
.LBB179_29:                             ;   in Loop: Header=BB179_3 Depth=1
	s_or_b32 exec_lo, exec_lo, s51
	s_delay_alu instid0(VALU_DEP_2) | instskip(NEXT) | instid1(VALU_DEP_2)
	v_xor_b32_e32 v19, 0x80000000, v19
	v_xor_b32_e32 v21, 0x80000000, v21
.LBB179_30:                             ;   in Loop: Header=BB179_3 Depth=1
	s_or_b32 exec_lo, exec_lo, s50
	s_and_saveexec_b32 s50, s61
	s_cbranch_execz .LBB179_32
; %bb.31:                               ;   in Loop: Header=BB179_3 Depth=1
	ds_load_b128 v[22:25], v2 offset:1056
	s_wait_dscnt 0x0
	v_mul_f64_e32 v[4:5], v[20:21], v[24:25]
	v_mul_f64_e32 v[210:211], v[18:19], v[24:25]
	s_delay_alu instid0(VALU_DEP_2) | instskip(NEXT) | instid1(VALU_DEP_2)
	v_fma_f64 v[208:209], v[18:19], v[22:23], -v[4:5]
	v_fmac_f64_e32 v[210:211], v[20:21], v[22:23]
	s_delay_alu instid0(VALU_DEP_2) | instskip(NEXT) | instid1(VALU_DEP_2)
	v_mov_b64_e32 v[18:19], v[208:209]
	v_mov_b64_e32 v[20:21], v[210:211]
	ds_store_b128 v27, v[208:211]
.LBB179_32:                             ;   in Loop: Header=BB179_3 Depth=1
	s_or_b32 exec_lo, exec_lo, s50
	s_wait_dscnt 0x0
	s_barrier_signal -1
	s_barrier_wait -1
	s_and_saveexec_b32 s50, s62
	s_cbranch_execz .LBB179_34
; %bb.33:                               ;   in Loop: Header=BB179_3 Depth=1
	ds_load_b128 v[22:25], v27
	ds_load_b128 v[208:211], v2 offset:1072
	s_wait_dscnt 0x0
	v_mul_f64_e32 v[4:5], v[24:25], v[210:211]
	s_delay_alu instid0(VALU_DEP_1) | instskip(SKIP_1) | instid1(VALU_DEP_2)
	v_fma_f64 v[4:5], v[22:23], v[208:209], -v[4:5]
	v_mul_f64_e32 v[22:23], v[22:23], v[210:211]
	v_add_f64_e32 v[18:19], v[18:19], v[4:5]
	s_delay_alu instid0(VALU_DEP_2) | instskip(NEXT) | instid1(VALU_DEP_1)
	v_fmac_f64_e32 v[22:23], v[24:25], v[208:209]
	v_add_f64_e32 v[20:21], v[20:21], v[22:23]
.LBB179_34:                             ;   in Loop: Header=BB179_3 Depth=1
	s_or_b32 exec_lo, exec_lo, s50
	s_barrier_signal -1
	s_barrier_wait -1
	s_and_saveexec_b32 s50, s62
	s_cbranch_execz .LBB179_36
; %bb.35:                               ;   in Loop: Header=BB179_3 Depth=1
	ds_load_b128 v[22:25], v2 offset:1584
	s_wait_dscnt 0x0
	v_mul_f64_e32 v[4:5], v[20:21], v[24:25]
	v_mul_f64_e32 v[210:211], v[18:19], v[24:25]
	s_delay_alu instid0(VALU_DEP_2) | instskip(NEXT) | instid1(VALU_DEP_2)
	v_fma_f64 v[208:209], v[18:19], v[22:23], -v[4:5]
	v_fmac_f64_e32 v[210:211], v[20:21], v[22:23]
	s_delay_alu instid0(VALU_DEP_2) | instskip(NEXT) | instid1(VALU_DEP_2)
	v_mov_b64_e32 v[18:19], v[208:209]
	v_mov_b64_e32 v[20:21], v[210:211]
	ds_store_b128 v27, v[208:211]
.LBB179_36:                             ;   in Loop: Header=BB179_3 Depth=1
	s_or_b32 exec_lo, exec_lo, s50
	s_wait_dscnt 0x0
	s_barrier_signal -1
	s_barrier_wait -1
	s_barrier_signal -1
	s_barrier_wait -1
	s_and_saveexec_b32 s50, s3
; %bb.37:                               ;   in Loop: Header=BB179_3 Depth=1
	s_delay_alu instid0(VALU_DEP_3) | instskip(NEXT) | instid1(VALU_DEP_2)
	v_xor_b32_e32 v19, 0x80000000, v19
	v_xor_b32_e32 v21, 0x80000000, v21
	ds_store_b128 v47, v[18:21] offset:32
; %bb.38:                               ;   in Loop: Header=BB179_3 Depth=1
	s_or_b32 exec_lo, exec_lo, s50
	s_wait_dscnt 0x0
	s_barrier_signal -1
	s_barrier_wait -1
	s_barrier_signal -1
	s_barrier_wait -1
	s_and_saveexec_b32 s50, s63
	s_cbranch_execz .LBB179_40
; %bb.39:                               ;   in Loop: Header=BB179_3 Depth=1
	ds_load_b128 v[18:21], v51
	s_wait_dscnt 0x0
	ds_store_b128 v155, v[18:21]
	ds_load_b128 v[18:21], v52
	s_wait_dscnt 0x0
	ds_store_b128 v156, v[18:21]
.LBB179_40:                             ;   in Loop: Header=BB179_3 Depth=1
	s_or_b32 exec_lo, exec_lo, s50
	s_wait_dscnt 0x0
	s_barrier_signal -1
	s_barrier_wait -1
	s_and_saveexec_b32 s50, s31
	s_cbranch_execz .LBB179_42
; %bb.41:                               ;   in Loop: Header=BB179_3 Depth=1
	ds_load_b128 v[18:21], v2 offset:1584
	ds_load_b128 v[22:25], v2 offset:1056
	s_wait_dscnt 0x0
	v_mul_f64_e32 v[4:5], v[18:19], v[24:25]
	v_mul_f64_e32 v[24:25], v[20:21], v[24:25]
	s_delay_alu instid0(VALU_DEP_2) | instskip(NEXT) | instid1(VALU_DEP_2)
	v_fmac_f64_e32 v[4:5], v[20:21], v[22:23]
	v_fma_f64 v[24:25], v[18:19], v[22:23], -v[24:25]
	ds_load_b128 v[18:21], v2 offset:1072
	s_wait_dscnt 0x0
	v_mul_f64_e32 v[44:45], v[4:5], v[20:21]
	v_mul_f64_e32 v[22:23], v[24:25], v[20:21]
	s_delay_alu instid0(VALU_DEP_2) | instskip(NEXT) | instid1(VALU_DEP_2)
	v_fma_f64 v[20:21], v[18:19], v[24:25], -v[44:45]
	v_fmac_f64_e32 v[22:23], v[18:19], v[4:5]
	ds_store_b128 v2, v[20:23] offset:1072
	ds_store_b128 v2, v[20:23] offset:1568
.LBB179_42:                             ;   in Loop: Header=BB179_3 Depth=1
	s_or_b32 exec_lo, exec_lo, s50
	v_mov_b64_e32 v[20:21], 0
	v_mov_b64_e32 v[18:19], 0
	s_wait_dscnt 0x0
	s_barrier_signal -1
	s_barrier_wait -1
	s_and_saveexec_b32 s50, s5
	s_cbranch_execz .LBB179_48
; %bb.43:                               ;   in Loop: Header=BB179_3 Depth=1
	ds_load_b128 v[18:21], v50
	ds_load_b128 v[22:25], v56 offset:64
	s_wait_dscnt 0x0
	v_mul_f64_e32 v[4:5], v[20:21], v[24:25]
	v_mul_f64_e32 v[24:25], v[18:19], v[24:25]
	s_delay_alu instid0(VALU_DEP_2) | instskip(NEXT) | instid1(VALU_DEP_2)
	v_fma_f64 v[4:5], v[18:19], v[22:23], -v[4:5]
	v_fmac_f64_e32 v[24:25], v[20:21], v[22:23]
	s_delay_alu instid0(VALU_DEP_2) | instskip(NEXT) | instid1(VALU_DEP_2)
	v_add_f64_e32 v[18:19], 0, v[4:5]
	v_add_f64_e32 v[20:21], 0, v[24:25]
	s_and_saveexec_b32 s51, s13
	s_cbranch_execnz .LBB179_550
; %bb.44:                               ;   in Loop: Header=BB179_3 Depth=1
	s_or_b32 exec_lo, exec_lo, s51
	s_and_saveexec_b32 s51, s14
	s_cbranch_execnz .LBB179_551
.LBB179_45:                             ;   in Loop: Header=BB179_3 Depth=1
	s_or_b32 exec_lo, exec_lo, s51
	s_and_saveexec_b32 s51, s3
	s_cbranch_execz .LBB179_47
.LBB179_46:                             ;   in Loop: Header=BB179_3 Depth=1
	ds_load_b128 v[22:25], v2 offset:48
	ds_load_b128 v[208:211], v54 offset:1600
	s_wait_dscnt 0x0
	v_mul_f64_e32 v[4:5], v[24:25], v[210:211]
	s_delay_alu instid0(VALU_DEP_1) | instskip(SKIP_1) | instid1(VALU_DEP_2)
	v_fma_f64 v[4:5], v[22:23], v[208:209], -v[4:5]
	v_mul_f64_e32 v[22:23], v[22:23], v[210:211]
	v_add_f64_e32 v[18:19], v[18:19], v[4:5]
	s_delay_alu instid0(VALU_DEP_2) | instskip(NEXT) | instid1(VALU_DEP_1)
	v_fmac_f64_e32 v[22:23], v[24:25], v[208:209]
	v_add_f64_e32 v[20:21], v[20:21], v[22:23]
.LBB179_47:                             ;   in Loop: Header=BB179_3 Depth=1
	s_or_b32 exec_lo, exec_lo, s51
	s_delay_alu instid0(VALU_DEP_2) | instskip(NEXT) | instid1(VALU_DEP_2)
	v_xor_b32_e32 v19, 0x80000000, v19
	v_xor_b32_e32 v21, 0x80000000, v21
.LBB179_48:                             ;   in Loop: Header=BB179_3 Depth=1
	s_or_b32 exec_lo, exec_lo, s50
	s_and_saveexec_b32 s50, s64
	s_cbranch_execz .LBB179_50
; %bb.49:                               ;   in Loop: Header=BB179_3 Depth=1
	ds_load_b128 v[22:25], v2 offset:2112
	s_wait_dscnt 0x0
	v_mul_f64_e32 v[4:5], v[20:21], v[24:25]
	v_mul_f64_e32 v[210:211], v[18:19], v[24:25]
	s_delay_alu instid0(VALU_DEP_2) | instskip(NEXT) | instid1(VALU_DEP_2)
	v_fma_f64 v[208:209], v[18:19], v[22:23], -v[4:5]
	v_fmac_f64_e32 v[210:211], v[20:21], v[22:23]
	s_delay_alu instid0(VALU_DEP_2) | instskip(NEXT) | instid1(VALU_DEP_2)
	v_mov_b64_e32 v[18:19], v[208:209]
	v_mov_b64_e32 v[20:21], v[210:211]
	ds_store_b128 v55, v[208:211]
.LBB179_50:                             ;   in Loop: Header=BB179_3 Depth=1
	s_or_b32 exec_lo, exec_lo, s50
	s_wait_dscnt 0x0
	s_barrier_signal -1
	s_barrier_wait -1
	s_and_saveexec_b32 s50, s65
	s_cbranch_execz .LBB179_52
; %bb.51:                               ;   in Loop: Header=BB179_3 Depth=1
	ds_load_b128 v[22:25], v55
	ds_load_b128 v[208:211], v53 offset:2112
	s_wait_dscnt 0x0
	v_mul_f64_e32 v[4:5], v[24:25], v[210:211]
	s_delay_alu instid0(VALU_DEP_1) | instskip(SKIP_1) | instid1(VALU_DEP_2)
	v_fma_f64 v[4:5], v[22:23], v[208:209], -v[4:5]
	v_mul_f64_e32 v[22:23], v[22:23], v[210:211]
	v_add_f64_e32 v[18:19], v[18:19], v[4:5]
	s_delay_alu instid0(VALU_DEP_2) | instskip(NEXT) | instid1(VALU_DEP_1)
	v_fmac_f64_e32 v[22:23], v[24:25], v[208:209]
	v_add_f64_e32 v[20:21], v[20:21], v[22:23]
.LBB179_52:                             ;   in Loop: Header=BB179_3 Depth=1
	s_or_b32 exec_lo, exec_lo, s50
	s_barrier_signal -1
	s_barrier_wait -1
	s_and_saveexec_b32 s50, s66
	s_cbranch_execz .LBB179_54
; %bb.53:                               ;   in Loop: Header=BB179_3 Depth=1
	ds_load_b128 v[22:25], v2 offset:2640
	s_wait_dscnt 0x0
	v_mul_f64_e32 v[4:5], v[20:21], v[24:25]
	v_mul_f64_e32 v[210:211], v[18:19], v[24:25]
	s_delay_alu instid0(VALU_DEP_2) | instskip(NEXT) | instid1(VALU_DEP_2)
	v_fma_f64 v[208:209], v[18:19], v[22:23], -v[4:5]
	v_fmac_f64_e32 v[210:211], v[20:21], v[22:23]
	s_delay_alu instid0(VALU_DEP_2) | instskip(NEXT) | instid1(VALU_DEP_2)
	v_mov_b64_e32 v[18:19], v[208:209]
	v_mov_b64_e32 v[20:21], v[210:211]
	ds_store_b128 v55, v[208:211]
.LBB179_54:                             ;   in Loop: Header=BB179_3 Depth=1
	s_or_b32 exec_lo, exec_lo, s50
	s_wait_dscnt 0x0
	s_barrier_signal -1
	s_barrier_wait -1
	s_and_saveexec_b32 s50, s67
	s_cbranch_execz .LBB179_56
; %bb.55:                               ;   in Loop: Header=BB179_3 Depth=1
	ds_load_b128 v[22:25], v55
	ds_load_b128 v[208:211], v53 offset:2624
	s_wait_dscnt 0x0
	v_mul_f64_e32 v[4:5], v[24:25], v[210:211]
	s_delay_alu instid0(VALU_DEP_1) | instskip(SKIP_1) | instid1(VALU_DEP_2)
	v_fma_f64 v[4:5], v[22:23], v[208:209], -v[4:5]
	v_mul_f64_e32 v[22:23], v[22:23], v[210:211]
	v_add_f64_e32 v[18:19], v[18:19], v[4:5]
	s_delay_alu instid0(VALU_DEP_2) | instskip(NEXT) | instid1(VALU_DEP_1)
	v_fmac_f64_e32 v[22:23], v[24:25], v[208:209]
	v_add_f64_e32 v[20:21], v[20:21], v[22:23]
.LBB179_56:                             ;   in Loop: Header=BB179_3 Depth=1
	s_or_b32 exec_lo, exec_lo, s50
	s_barrier_signal -1
	s_barrier_wait -1
	;; [unrolled: 37-line block ×3, first 2 shown]
	s_and_saveexec_b32 s50, s69
	s_cbranch_execz .LBB179_62
; %bb.61:                               ;   in Loop: Header=BB179_3 Depth=1
	ds_load_b128 v[22:25], v2 offset:3696
	s_wait_dscnt 0x0
	v_mul_f64_e32 v[4:5], v[20:21], v[24:25]
	v_mul_f64_e32 v[210:211], v[18:19], v[24:25]
	s_delay_alu instid0(VALU_DEP_2) | instskip(NEXT) | instid1(VALU_DEP_2)
	v_fma_f64 v[208:209], v[18:19], v[22:23], -v[4:5]
	v_fmac_f64_e32 v[210:211], v[20:21], v[22:23]
	s_delay_alu instid0(VALU_DEP_2) | instskip(NEXT) | instid1(VALU_DEP_2)
	v_mov_b64_e32 v[18:19], v[208:209]
	v_mov_b64_e32 v[20:21], v[210:211]
	ds_store_b128 v55, v[208:211]
.LBB179_62:                             ;   in Loop: Header=BB179_3 Depth=1
	s_or_b32 exec_lo, exec_lo, s50
	s_wait_dscnt 0x0
	s_barrier_signal -1
	s_barrier_wait -1
	s_barrier_signal -1
	s_barrier_wait -1
	s_and_saveexec_b32 s50, s5
; %bb.63:                               ;   in Loop: Header=BB179_3 Depth=1
	s_delay_alu instid0(VALU_DEP_1) | instskip(NEXT) | instid1(VALU_DEP_4)
	v_xor_b32_e32 v21, 0x80000000, v21
	v_xor_b32_e32 v19, 0x80000000, v19
	ds_store_b128 v56, v[18:21] offset:64
; %bb.64:                               ;   in Loop: Header=BB179_3 Depth=1
	s_or_b32 exec_lo, exec_lo, s50
	s_wait_dscnt 0x0
	s_barrier_signal -1
	s_barrier_wait -1
	s_barrier_signal -1
	s_barrier_wait -1
	s_and_saveexec_b32 s50, s70
	s_cbranch_execz .LBB179_66
; %bb.65:                               ;   in Loop: Header=BB179_3 Depth=1
	ds_load_b128 v[18:21], v59
	s_wait_dscnt 0x0
	ds_store_b128 v157, v[18:21]
	ds_load_b128 v[18:21], v86
	s_wait_dscnt 0x0
	ds_store_b128 v160, v[18:21]
	;; [unrolled: 3-line block ×4, first 2 shown]
.LBB179_66:                             ;   in Loop: Header=BB179_3 Depth=1
	s_or_b32 exec_lo, exec_lo, s50
	s_wait_dscnt 0x0
	s_barrier_signal -1
	s_barrier_wait -1
	s_and_saveexec_b32 s50, s31
	s_cbranch_execz .LBB179_68
; %bb.67:                               ;   in Loop: Header=BB179_3 Depth=1
	ds_load_b128 v[18:21], v2 offset:2640
	ds_load_b128 v[22:25], v2 offset:2112
	s_wait_dscnt 0x0
	v_mul_f64_e32 v[4:5], v[18:19], v[24:25]
	v_mul_f64_e32 v[24:25], v[20:21], v[24:25]
	s_delay_alu instid0(VALU_DEP_2) | instskip(NEXT) | instid1(VALU_DEP_2)
	v_fmac_f64_e32 v[4:5], v[20:21], v[22:23]
	v_fma_f64 v[24:25], v[18:19], v[22:23], -v[24:25]
	ds_load_b128 v[18:21], v2 offset:2128
	s_wait_dscnt 0x0
	v_mul_f64_e32 v[44:45], v[4:5], v[20:21]
	v_mul_f64_e32 v[22:23], v[24:25], v[20:21]
	s_delay_alu instid0(VALU_DEP_2) | instskip(NEXT) | instid1(VALU_DEP_2)
	v_fma_f64 v[20:21], v[18:19], v[24:25], -v[44:45]
	v_fmac_f64_e32 v[22:23], v[18:19], v[4:5]
	ds_store_b128 v2, v[20:23] offset:2128
	ds_store_b128 v2, v[20:23] offset:2624
.LBB179_68:                             ;   in Loop: Header=BB179_3 Depth=1
	s_or_b32 exec_lo, exec_lo, s50
	v_mov_b64_e32 v[20:21], 0
	v_mov_b64_e32 v[18:19], 0
	s_wait_dscnt 0x0
	s_barrier_signal -1
	s_barrier_wait -1
	s_and_saveexec_b32 s50, s3
	s_cbranch_execz .LBB179_72
; %bb.69:                               ;   in Loop: Header=BB179_3 Depth=1
	ds_load_b128 v[18:21], v48 offset:2112
	ds_load_b128 v[22:25], v47 offset:2144
	s_wait_dscnt 0x0
	v_mul_f64_e32 v[4:5], v[20:21], v[24:25]
	v_mul_f64_e32 v[24:25], v[18:19], v[24:25]
	s_delay_alu instid0(VALU_DEP_2) | instskip(NEXT) | instid1(VALU_DEP_2)
	v_fma_f64 v[4:5], v[18:19], v[22:23], -v[4:5]
	v_fmac_f64_e32 v[24:25], v[20:21], v[22:23]
	s_delay_alu instid0(VALU_DEP_2) | instskip(NEXT) | instid1(VALU_DEP_2)
	v_add_f64_e32 v[18:19], 0, v[4:5]
	v_add_f64_e32 v[20:21], 0, v[24:25]
	s_and_saveexec_b32 s51, s12
	s_cbranch_execz .LBB179_71
; %bb.70:                               ;   in Loop: Header=BB179_3 Depth=1
	ds_load_b128 v[22:25], v2 offset:2128
	ds_load_b128 v[208:211], v87 offset:2656
	s_wait_dscnt 0x0
	v_mul_f64_e32 v[4:5], v[24:25], v[210:211]
	s_delay_alu instid0(VALU_DEP_1) | instskip(SKIP_1) | instid1(VALU_DEP_2)
	v_fma_f64 v[4:5], v[22:23], v[208:209], -v[4:5]
	v_mul_f64_e32 v[22:23], v[22:23], v[210:211]
	v_add_f64_e32 v[18:19], v[18:19], v[4:5]
	s_delay_alu instid0(VALU_DEP_2) | instskip(NEXT) | instid1(VALU_DEP_1)
	v_fmac_f64_e32 v[22:23], v[24:25], v[208:209]
	v_add_f64_e32 v[20:21], v[20:21], v[22:23]
.LBB179_71:                             ;   in Loop: Header=BB179_3 Depth=1
	s_or_b32 exec_lo, exec_lo, s51
	s_delay_alu instid0(VALU_DEP_2) | instskip(NEXT) | instid1(VALU_DEP_2)
	v_xor_b32_e32 v19, 0x80000000, v19
	v_xor_b32_e32 v21, 0x80000000, v21
.LBB179_72:                             ;   in Loop: Header=BB179_3 Depth=1
	s_or_b32 exec_lo, exec_lo, s50
	s_and_saveexec_b32 s50, s61
	s_cbranch_execz .LBB179_74
; %bb.73:                               ;   in Loop: Header=BB179_3 Depth=1
	ds_load_b128 v[22:25], v2 offset:3168
	s_wait_dscnt 0x0
	v_mul_f64_e32 v[4:5], v[20:21], v[24:25]
	v_mul_f64_e32 v[210:211], v[18:19], v[24:25]
	s_delay_alu instid0(VALU_DEP_2) | instskip(NEXT) | instid1(VALU_DEP_2)
	v_fma_f64 v[208:209], v[18:19], v[22:23], -v[4:5]
	v_fmac_f64_e32 v[210:211], v[20:21], v[22:23]
	s_delay_alu instid0(VALU_DEP_2) | instskip(NEXT) | instid1(VALU_DEP_2)
	v_mov_b64_e32 v[18:19], v[208:209]
	v_mov_b64_e32 v[20:21], v[210:211]
	ds_store_b128 v27, v[208:211]
.LBB179_74:                             ;   in Loop: Header=BB179_3 Depth=1
	s_or_b32 exec_lo, exec_lo, s50
	s_wait_dscnt 0x0
	s_barrier_signal -1
	s_barrier_wait -1
	s_and_saveexec_b32 s50, s62
	s_cbranch_execz .LBB179_76
; %bb.75:                               ;   in Loop: Header=BB179_3 Depth=1
	ds_load_b128 v[22:25], v27
	ds_load_b128 v[208:211], v2 offset:3184
	s_wait_dscnt 0x0
	v_mul_f64_e32 v[4:5], v[24:25], v[210:211]
	s_delay_alu instid0(VALU_DEP_1) | instskip(SKIP_1) | instid1(VALU_DEP_2)
	v_fma_f64 v[4:5], v[22:23], v[208:209], -v[4:5]
	v_mul_f64_e32 v[22:23], v[22:23], v[210:211]
	v_add_f64_e32 v[18:19], v[18:19], v[4:5]
	s_delay_alu instid0(VALU_DEP_2) | instskip(NEXT) | instid1(VALU_DEP_1)
	v_fmac_f64_e32 v[22:23], v[24:25], v[208:209]
	v_add_f64_e32 v[20:21], v[20:21], v[22:23]
.LBB179_76:                             ;   in Loop: Header=BB179_3 Depth=1
	s_or_b32 exec_lo, exec_lo, s50
	s_barrier_signal -1
	s_barrier_wait -1
	s_and_saveexec_b32 s50, s62
	s_cbranch_execz .LBB179_78
; %bb.77:                               ;   in Loop: Header=BB179_3 Depth=1
	ds_load_b128 v[22:25], v2 offset:3696
	s_wait_dscnt 0x0
	v_mul_f64_e32 v[4:5], v[20:21], v[24:25]
	v_mul_f64_e32 v[210:211], v[18:19], v[24:25]
	s_delay_alu instid0(VALU_DEP_2) | instskip(NEXT) | instid1(VALU_DEP_2)
	v_fma_f64 v[208:209], v[18:19], v[22:23], -v[4:5]
	v_fmac_f64_e32 v[210:211], v[20:21], v[22:23]
	s_delay_alu instid0(VALU_DEP_2) | instskip(NEXT) | instid1(VALU_DEP_2)
	v_mov_b64_e32 v[18:19], v[208:209]
	v_mov_b64_e32 v[20:21], v[210:211]
	ds_store_b128 v27, v[208:211]
.LBB179_78:                             ;   in Loop: Header=BB179_3 Depth=1
	s_or_b32 exec_lo, exec_lo, s50
	s_wait_dscnt 0x0
	s_barrier_signal -1
	s_barrier_wait -1
	s_barrier_signal -1
	s_barrier_wait -1
	s_and_saveexec_b32 s50, s3
; %bb.79:                               ;   in Loop: Header=BB179_3 Depth=1
	s_delay_alu instid0(VALU_DEP_3) | instskip(NEXT) | instid1(VALU_DEP_2)
	v_xor_b32_e32 v19, 0x80000000, v19
	v_xor_b32_e32 v21, 0x80000000, v21
	ds_store_b128 v47, v[18:21] offset:2144
; %bb.80:                               ;   in Loop: Header=BB179_3 Depth=1
	s_or_b32 exec_lo, exec_lo, s50
	s_wait_dscnt 0x0
	s_barrier_signal -1
	s_barrier_wait -1
	s_barrier_signal -1
	s_barrier_wait -1
	s_and_saveexec_b32 s50, s63
	s_cbranch_execz .LBB179_82
; %bb.81:                               ;   in Loop: Header=BB179_3 Depth=1
	ds_load_b128 v[18:21], v96
	s_wait_dscnt 0x0
	ds_store_b128 v161, v[18:21]
	ds_load_b128 v[18:21], v97
	s_wait_dscnt 0x0
	ds_store_b128 v162, v[18:21]
.LBB179_82:                             ;   in Loop: Header=BB179_3 Depth=1
	s_or_b32 exec_lo, exec_lo, s50
	s_wait_dscnt 0x0
	s_barrier_signal -1
	s_barrier_wait -1
	s_and_saveexec_b32 s50, s31
	s_cbranch_execz .LBB179_84
; %bb.83:                               ;   in Loop: Header=BB179_3 Depth=1
	ds_load_b128 v[18:21], v2 offset:3696
	ds_load_b128 v[22:25], v2 offset:3168
	s_wait_dscnt 0x0
	v_mul_f64_e32 v[4:5], v[18:19], v[24:25]
	v_mul_f64_e32 v[24:25], v[20:21], v[24:25]
	s_delay_alu instid0(VALU_DEP_2) | instskip(NEXT) | instid1(VALU_DEP_2)
	v_fmac_f64_e32 v[4:5], v[20:21], v[22:23]
	v_fma_f64 v[24:25], v[18:19], v[22:23], -v[24:25]
	ds_load_b128 v[18:21], v2 offset:3184
	s_wait_dscnt 0x0
	v_mul_f64_e32 v[44:45], v[4:5], v[20:21]
	v_mul_f64_e32 v[22:23], v[24:25], v[20:21]
	s_delay_alu instid0(VALU_DEP_2) | instskip(NEXT) | instid1(VALU_DEP_2)
	v_fma_f64 v[20:21], v[18:19], v[24:25], -v[44:45]
	v_fmac_f64_e32 v[22:23], v[18:19], v[4:5]
	ds_store_b128 v2, v[20:23] offset:3184
	ds_store_b128 v2, v[20:23] offset:3680
.LBB179_84:                             ;   in Loop: Header=BB179_3 Depth=1
	s_or_b32 exec_lo, exec_lo, s50
	v_mov_b64_e32 v[20:21], 0
	v_mov_b64_e32 v[18:19], 0
	s_wait_dscnt 0x0
	s_barrier_signal -1
	s_barrier_wait -1
	s_and_saveexec_b32 s50, s6
	s_cbranch_execz .LBB179_94
; %bb.85:                               ;   in Loop: Header=BB179_3 Depth=1
	ds_load_b128 v[18:21], v58
	ds_load_b128 v[22:25], v63 offset:128
	s_wait_dscnt 0x0
	v_mul_f64_e32 v[4:5], v[20:21], v[24:25]
	v_mul_f64_e32 v[24:25], v[18:19], v[24:25]
	s_delay_alu instid0(VALU_DEP_2) | instskip(NEXT) | instid1(VALU_DEP_2)
	v_fma_f64 v[4:5], v[18:19], v[22:23], -v[4:5]
	v_fmac_f64_e32 v[24:25], v[20:21], v[22:23]
	s_delay_alu instid0(VALU_DEP_2) | instskip(NEXT) | instid1(VALU_DEP_2)
	v_add_f64_e32 v[18:19], 0, v[4:5]
	v_add_f64_e32 v[20:21], 0, v[24:25]
	s_and_saveexec_b32 s51, s15
	s_cbranch_execnz .LBB179_552
; %bb.86:                               ;   in Loop: Header=BB179_3 Depth=1
	s_or_b32 exec_lo, exec_lo, s51
	s_and_saveexec_b32 s51, s16
	s_cbranch_execnz .LBB179_553
.LBB179_87:                             ;   in Loop: Header=BB179_3 Depth=1
	s_or_b32 exec_lo, exec_lo, s51
	s_and_saveexec_b32 s51, s17
	s_cbranch_execnz .LBB179_554
.LBB179_88:                             ;   in Loop: Header=BB179_3 Depth=1
	s_or_b32 exec_lo, exec_lo, s51
	s_and_saveexec_b32 s51, s18
	s_cbranch_execnz .LBB179_555
.LBB179_89:                             ;   in Loop: Header=BB179_3 Depth=1
	s_or_b32 exec_lo, exec_lo, s51
	s_and_saveexec_b32 s51, s19
	s_cbranch_execnz .LBB179_556
.LBB179_90:                             ;   in Loop: Header=BB179_3 Depth=1
	s_or_b32 exec_lo, exec_lo, s51
	s_and_saveexec_b32 s51, s5
	s_cbranch_execnz .LBB179_557
.LBB179_91:                             ;   in Loop: Header=BB179_3 Depth=1
	s_or_b32 exec_lo, exec_lo, s51
	s_and_saveexec_b32 s51, s14
	s_cbranch_execz .LBB179_93
.LBB179_92:                             ;   in Loop: Header=BB179_3 Depth=1
	ds_load_b128 v[22:25], v2 offset:112
	ds_load_b128 v[208:211], v49 offset:3712
	s_wait_dscnt 0x0
	v_mul_f64_e32 v[4:5], v[24:25], v[210:211]
	s_delay_alu instid0(VALU_DEP_1) | instskip(SKIP_1) | instid1(VALU_DEP_2)
	v_fma_f64 v[4:5], v[22:23], v[208:209], -v[4:5]
	v_mul_f64_e32 v[22:23], v[22:23], v[210:211]
	v_add_f64_e32 v[18:19], v[18:19], v[4:5]
	s_delay_alu instid0(VALU_DEP_2) | instskip(NEXT) | instid1(VALU_DEP_1)
	v_fmac_f64_e32 v[22:23], v[24:25], v[208:209]
	v_add_f64_e32 v[20:21], v[20:21], v[22:23]
.LBB179_93:                             ;   in Loop: Header=BB179_3 Depth=1
	s_or_b32 exec_lo, exec_lo, s51
	s_delay_alu instid0(VALU_DEP_2) | instskip(NEXT) | instid1(VALU_DEP_2)
	v_xor_b32_e32 v19, 0x80000000, v19
	v_xor_b32_e32 v21, 0x80000000, v21
.LBB179_94:                             ;   in Loop: Header=BB179_3 Depth=1
	s_or_b32 exec_lo, exec_lo, s50
	s_and_saveexec_b32 s50, s71
	s_cbranch_execz .LBB179_96
; %bb.95:                               ;   in Loop: Header=BB179_3 Depth=1
	ds_load_b128 v[22:25], v2 offset:4224
	s_wait_dscnt 0x0
	v_mul_f64_e32 v[4:5], v[20:21], v[24:25]
	v_mul_f64_e32 v[210:211], v[18:19], v[24:25]
	s_delay_alu instid0(VALU_DEP_2) | instskip(NEXT) | instid1(VALU_DEP_2)
	v_fma_f64 v[208:209], v[18:19], v[22:23], -v[4:5]
	v_fmac_f64_e32 v[210:211], v[20:21], v[22:23]
	s_delay_alu instid0(VALU_DEP_2) | instskip(NEXT) | instid1(VALU_DEP_2)
	v_mov_b64_e32 v[18:19], v[208:209]
	v_mov_b64_e32 v[20:21], v[210:211]
	ds_store_b128 v62, v[208:211]
.LBB179_96:                             ;   in Loop: Header=BB179_3 Depth=1
	s_or_b32 exec_lo, exec_lo, s50
	s_wait_dscnt 0x0
	s_barrier_signal -1
	s_barrier_wait -1
	s_and_saveexec_b32 s50, s72
	s_cbranch_execz .LBB179_98
; %bb.97:                               ;   in Loop: Header=BB179_3 Depth=1
	ds_load_b128 v[22:25], v62
	ds_load_b128 v[208:211], v60 offset:4224
	s_wait_dscnt 0x0
	v_mul_f64_e32 v[4:5], v[24:25], v[210:211]
	s_delay_alu instid0(VALU_DEP_1) | instskip(SKIP_1) | instid1(VALU_DEP_2)
	v_fma_f64 v[4:5], v[22:23], v[208:209], -v[4:5]
	v_mul_f64_e32 v[22:23], v[22:23], v[210:211]
	v_add_f64_e32 v[18:19], v[18:19], v[4:5]
	s_delay_alu instid0(VALU_DEP_2) | instskip(NEXT) | instid1(VALU_DEP_1)
	v_fmac_f64_e32 v[22:23], v[24:25], v[208:209]
	v_add_f64_e32 v[20:21], v[20:21], v[22:23]
.LBB179_98:                             ;   in Loop: Header=BB179_3 Depth=1
	s_or_b32 exec_lo, exec_lo, s50
	s_barrier_signal -1
	s_barrier_wait -1
	s_and_saveexec_b32 s50, s73
	s_cbranch_execz .LBB179_100
; %bb.99:                               ;   in Loop: Header=BB179_3 Depth=1
	ds_load_b128 v[22:25], v2 offset:4752
	s_wait_dscnt 0x0
	v_mul_f64_e32 v[4:5], v[20:21], v[24:25]
	v_mul_f64_e32 v[210:211], v[18:19], v[24:25]
	s_delay_alu instid0(VALU_DEP_2) | instskip(NEXT) | instid1(VALU_DEP_2)
	v_fma_f64 v[208:209], v[18:19], v[22:23], -v[4:5]
	v_fmac_f64_e32 v[210:211], v[20:21], v[22:23]
	s_delay_alu instid0(VALU_DEP_2) | instskip(NEXT) | instid1(VALU_DEP_2)
	v_mov_b64_e32 v[18:19], v[208:209]
	v_mov_b64_e32 v[20:21], v[210:211]
	ds_store_b128 v62, v[208:211]
.LBB179_100:                            ;   in Loop: Header=BB179_3 Depth=1
	s_or_b32 exec_lo, exec_lo, s50
	s_wait_dscnt 0x0
	s_barrier_signal -1
	s_barrier_wait -1
	s_and_saveexec_b32 s50, s74
	s_cbranch_execz .LBB179_102
; %bb.101:                              ;   in Loop: Header=BB179_3 Depth=1
	ds_load_b128 v[22:25], v62
	ds_load_b128 v[208:211], v60 offset:4736
	s_wait_dscnt 0x0
	v_mul_f64_e32 v[4:5], v[24:25], v[210:211]
	s_delay_alu instid0(VALU_DEP_1) | instskip(SKIP_1) | instid1(VALU_DEP_2)
	v_fma_f64 v[4:5], v[22:23], v[208:209], -v[4:5]
	v_mul_f64_e32 v[22:23], v[22:23], v[210:211]
	v_add_f64_e32 v[18:19], v[18:19], v[4:5]
	s_delay_alu instid0(VALU_DEP_2) | instskip(NEXT) | instid1(VALU_DEP_1)
	v_fmac_f64_e32 v[22:23], v[24:25], v[208:209]
	v_add_f64_e32 v[20:21], v[20:21], v[22:23]
.LBB179_102:                            ;   in Loop: Header=BB179_3 Depth=1
	s_or_b32 exec_lo, exec_lo, s50
	s_barrier_signal -1
	s_barrier_wait -1
	s_and_saveexec_b32 s50, s75
	s_cbranch_execz .LBB179_104
; %bb.103:                              ;   in Loop: Header=BB179_3 Depth=1
	ds_load_b128 v[22:25], v2 offset:5280
	s_wait_dscnt 0x0
	v_mul_f64_e32 v[4:5], v[20:21], v[24:25]
	v_mul_f64_e32 v[210:211], v[18:19], v[24:25]
	s_delay_alu instid0(VALU_DEP_2) | instskip(NEXT) | instid1(VALU_DEP_2)
	v_fma_f64 v[208:209], v[18:19], v[22:23], -v[4:5]
	v_fmac_f64_e32 v[210:211], v[20:21], v[22:23]
	s_delay_alu instid0(VALU_DEP_2) | instskip(NEXT) | instid1(VALU_DEP_2)
	v_mov_b64_e32 v[18:19], v[208:209]
	v_mov_b64_e32 v[20:21], v[210:211]
	ds_store_b128 v62, v[208:211]
.LBB179_104:                            ;   in Loop: Header=BB179_3 Depth=1
	s_or_b32 exec_lo, exec_lo, s50
	s_wait_dscnt 0x0
	s_barrier_signal -1
	s_barrier_wait -1
	s_and_saveexec_b32 s50, s76
	s_cbranch_execz .LBB179_106
; %bb.105:                              ;   in Loop: Header=BB179_3 Depth=1
	ds_load_b128 v[22:25], v62
	ds_load_b128 v[208:211], v60 offset:5248
	s_wait_dscnt 0x0
	v_mul_f64_e32 v[4:5], v[24:25], v[210:211]
	s_delay_alu instid0(VALU_DEP_1) | instskip(SKIP_1) | instid1(VALU_DEP_2)
	v_fma_f64 v[4:5], v[22:23], v[208:209], -v[4:5]
	v_mul_f64_e32 v[22:23], v[22:23], v[210:211]
	v_add_f64_e32 v[18:19], v[18:19], v[4:5]
	s_delay_alu instid0(VALU_DEP_2) | instskip(NEXT) | instid1(VALU_DEP_1)
	v_fmac_f64_e32 v[22:23], v[24:25], v[208:209]
	v_add_f64_e32 v[20:21], v[20:21], v[22:23]
.LBB179_106:                            ;   in Loop: Header=BB179_3 Depth=1
	s_or_b32 exec_lo, exec_lo, s50
	s_barrier_signal -1
	s_barrier_wait -1
	s_and_saveexec_b32 s50, s77
	s_cbranch_execz .LBB179_108
; %bb.107:                              ;   in Loop: Header=BB179_3 Depth=1
	ds_load_b128 v[22:25], v2 offset:5808
	s_wait_dscnt 0x0
	v_mul_f64_e32 v[4:5], v[20:21], v[24:25]
	v_mul_f64_e32 v[210:211], v[18:19], v[24:25]
	s_delay_alu instid0(VALU_DEP_2) | instskip(NEXT) | instid1(VALU_DEP_2)
	v_fma_f64 v[208:209], v[18:19], v[22:23], -v[4:5]
	v_fmac_f64_e32 v[210:211], v[20:21], v[22:23]
	s_delay_alu instid0(VALU_DEP_2) | instskip(NEXT) | instid1(VALU_DEP_2)
	v_mov_b64_e32 v[18:19], v[208:209]
	v_mov_b64_e32 v[20:21], v[210:211]
	ds_store_b128 v62, v[208:211]
.LBB179_108:                            ;   in Loop: Header=BB179_3 Depth=1
	;; [unrolled: 37-line block ×6, first 2 shown]
	s_or_b32 exec_lo, exec_lo, s50
	s_wait_dscnt 0x0
	s_barrier_signal -1
	s_barrier_wait -1
	s_barrier_signal -1
	s_barrier_wait -1
	s_and_saveexec_b32 s50, s6
; %bb.125:                              ;   in Loop: Header=BB179_3 Depth=1
	s_delay_alu instid0(VALU_DEP_3) | instskip(NEXT) | instid1(VALU_DEP_2)
	v_xor_b32_e32 v19, 0x80000000, v19
	v_xor_b32_e32 v21, 0x80000000, v21
	ds_store_b128 v63, v[18:21] offset:128
; %bb.126:                              ;   in Loop: Header=BB179_3 Depth=1
	s_or_b32 exec_lo, exec_lo, s50
	s_wait_dscnt 0x0
	s_barrier_signal -1
	s_barrier_wait -1
	s_barrier_signal -1
	s_barrier_wait -1
	s_and_saveexec_b32 s50, s85
	s_cbranch_execz .LBB179_128
; %bb.127:                              ;   in Loop: Header=BB179_3 Depth=1
	ds_load_b128 v[18:21], v65
	s_wait_dscnt 0x0
	ds_store_b128 v163, v[18:21]
	ds_load_b128 v[18:21], v66
	s_wait_dscnt 0x0
	ds_store_b128 v164, v[18:21]
	;; [unrolled: 3-line block ×8, first 2 shown]
.LBB179_128:                            ;   in Loop: Header=BB179_3 Depth=1
	s_or_b32 exec_lo, exec_lo, s50
	s_wait_dscnt 0x0
	s_barrier_signal -1
	s_barrier_wait -1
	s_and_saveexec_b32 s50, s31
	s_cbranch_execz .LBB179_130
; %bb.129:                              ;   in Loop: Header=BB179_3 Depth=1
	ds_load_b128 v[18:21], v2 offset:4752
	ds_load_b128 v[22:25], v2 offset:4224
	s_wait_dscnt 0x0
	v_mul_f64_e32 v[4:5], v[18:19], v[24:25]
	v_mul_f64_e32 v[24:25], v[20:21], v[24:25]
	s_delay_alu instid0(VALU_DEP_2) | instskip(NEXT) | instid1(VALU_DEP_2)
	v_fmac_f64_e32 v[4:5], v[20:21], v[22:23]
	v_fma_f64 v[24:25], v[18:19], v[22:23], -v[24:25]
	ds_load_b128 v[18:21], v2 offset:4240
	s_wait_dscnt 0x0
	v_mul_f64_e32 v[44:45], v[4:5], v[20:21]
	v_mul_f64_e32 v[22:23], v[24:25], v[20:21]
	s_delay_alu instid0(VALU_DEP_2) | instskip(NEXT) | instid1(VALU_DEP_2)
	v_fma_f64 v[20:21], v[18:19], v[24:25], -v[44:45]
	v_fmac_f64_e32 v[22:23], v[18:19], v[4:5]
	ds_store_b128 v2, v[20:23] offset:4240
	ds_store_b128 v2, v[20:23] offset:4736
.LBB179_130:                            ;   in Loop: Header=BB179_3 Depth=1
	s_or_b32 exec_lo, exec_lo, s50
	v_mov_b64_e32 v[20:21], 0
	v_mov_b64_e32 v[18:19], 0
	s_wait_dscnt 0x0
	s_barrier_signal -1
	s_barrier_wait -1
	s_and_saveexec_b32 s50, s3
	s_cbranch_execz .LBB179_134
; %bb.131:                              ;   in Loop: Header=BB179_3 Depth=1
	ds_load_b128 v[18:21], v48 offset:4224
	ds_load_b128 v[22:25], v47 offset:4256
	s_wait_dscnt 0x0
	v_mul_f64_e32 v[4:5], v[20:21], v[24:25]
	v_mul_f64_e32 v[24:25], v[18:19], v[24:25]
	s_delay_alu instid0(VALU_DEP_2) | instskip(NEXT) | instid1(VALU_DEP_2)
	v_fma_f64 v[4:5], v[18:19], v[22:23], -v[4:5]
	v_fmac_f64_e32 v[24:25], v[20:21], v[22:23]
	s_delay_alu instid0(VALU_DEP_2) | instskip(NEXT) | instid1(VALU_DEP_2)
	v_add_f64_e32 v[18:19], 0, v[4:5]
	v_add_f64_e32 v[20:21], 0, v[24:25]
	s_and_saveexec_b32 s51, s12
	s_cbranch_execz .LBB179_133
; %bb.132:                              ;   in Loop: Header=BB179_3 Depth=1
	ds_load_b128 v[22:25], v2 offset:4240
	ds_load_b128 v[208:211], v54 offset:4768
	s_wait_dscnt 0x0
	v_mul_f64_e32 v[4:5], v[24:25], v[210:211]
	s_delay_alu instid0(VALU_DEP_1) | instskip(SKIP_1) | instid1(VALU_DEP_2)
	v_fma_f64 v[4:5], v[22:23], v[208:209], -v[4:5]
	v_mul_f64_e32 v[22:23], v[22:23], v[210:211]
	v_add_f64_e32 v[18:19], v[18:19], v[4:5]
	s_delay_alu instid0(VALU_DEP_2) | instskip(NEXT) | instid1(VALU_DEP_1)
	v_fmac_f64_e32 v[22:23], v[24:25], v[208:209]
	v_add_f64_e32 v[20:21], v[20:21], v[22:23]
.LBB179_133:                            ;   in Loop: Header=BB179_3 Depth=1
	s_or_b32 exec_lo, exec_lo, s51
	s_delay_alu instid0(VALU_DEP_2) | instskip(NEXT) | instid1(VALU_DEP_2)
	v_xor_b32_e32 v19, 0x80000000, v19
	v_xor_b32_e32 v21, 0x80000000, v21
.LBB179_134:                            ;   in Loop: Header=BB179_3 Depth=1
	s_or_b32 exec_lo, exec_lo, s50
	s_and_saveexec_b32 s50, s61
	s_cbranch_execz .LBB179_136
; %bb.135:                              ;   in Loop: Header=BB179_3 Depth=1
	ds_load_b128 v[22:25], v2 offset:5280
	s_wait_dscnt 0x0
	v_mul_f64_e32 v[4:5], v[20:21], v[24:25]
	v_mul_f64_e32 v[210:211], v[18:19], v[24:25]
	s_delay_alu instid0(VALU_DEP_2) | instskip(NEXT) | instid1(VALU_DEP_2)
	v_fma_f64 v[208:209], v[18:19], v[22:23], -v[4:5]
	v_fmac_f64_e32 v[210:211], v[20:21], v[22:23]
	s_delay_alu instid0(VALU_DEP_2) | instskip(NEXT) | instid1(VALU_DEP_2)
	v_mov_b64_e32 v[18:19], v[208:209]
	v_mov_b64_e32 v[20:21], v[210:211]
	ds_store_b128 v27, v[208:211]
.LBB179_136:                            ;   in Loop: Header=BB179_3 Depth=1
	s_or_b32 exec_lo, exec_lo, s50
	s_wait_dscnt 0x0
	s_barrier_signal -1
	s_barrier_wait -1
	s_and_saveexec_b32 s50, s62
	s_cbranch_execz .LBB179_138
; %bb.137:                              ;   in Loop: Header=BB179_3 Depth=1
	ds_load_b128 v[22:25], v27
	ds_load_b128 v[208:211], v2 offset:5296
	s_wait_dscnt 0x0
	v_mul_f64_e32 v[4:5], v[24:25], v[210:211]
	s_delay_alu instid0(VALU_DEP_1) | instskip(SKIP_1) | instid1(VALU_DEP_2)
	v_fma_f64 v[4:5], v[22:23], v[208:209], -v[4:5]
	v_mul_f64_e32 v[22:23], v[22:23], v[210:211]
	v_add_f64_e32 v[18:19], v[18:19], v[4:5]
	s_delay_alu instid0(VALU_DEP_2) | instskip(NEXT) | instid1(VALU_DEP_1)
	v_fmac_f64_e32 v[22:23], v[24:25], v[208:209]
	v_add_f64_e32 v[20:21], v[20:21], v[22:23]
.LBB179_138:                            ;   in Loop: Header=BB179_3 Depth=1
	s_or_b32 exec_lo, exec_lo, s50
	s_barrier_signal -1
	s_barrier_wait -1
	s_and_saveexec_b32 s50, s62
	s_cbranch_execz .LBB179_140
; %bb.139:                              ;   in Loop: Header=BB179_3 Depth=1
	ds_load_b128 v[22:25], v2 offset:5808
	s_wait_dscnt 0x0
	v_mul_f64_e32 v[4:5], v[20:21], v[24:25]
	v_mul_f64_e32 v[210:211], v[18:19], v[24:25]
	s_delay_alu instid0(VALU_DEP_2) | instskip(NEXT) | instid1(VALU_DEP_2)
	v_fma_f64 v[208:209], v[18:19], v[22:23], -v[4:5]
	v_fmac_f64_e32 v[210:211], v[20:21], v[22:23]
	s_delay_alu instid0(VALU_DEP_2) | instskip(NEXT) | instid1(VALU_DEP_2)
	v_mov_b64_e32 v[18:19], v[208:209]
	v_mov_b64_e32 v[20:21], v[210:211]
	ds_store_b128 v27, v[208:211]
.LBB179_140:                            ;   in Loop: Header=BB179_3 Depth=1
	s_or_b32 exec_lo, exec_lo, s50
	s_wait_dscnt 0x0
	s_barrier_signal -1
	s_barrier_wait -1
	s_barrier_signal -1
	s_barrier_wait -1
	s_and_saveexec_b32 s50, s3
; %bb.141:                              ;   in Loop: Header=BB179_3 Depth=1
	s_delay_alu instid0(VALU_DEP_3) | instskip(NEXT) | instid1(VALU_DEP_2)
	v_xor_b32_e32 v19, 0x80000000, v19
	v_xor_b32_e32 v21, 0x80000000, v21
	ds_store_b128 v47, v[18:21] offset:4256
; %bb.142:                              ;   in Loop: Header=BB179_3 Depth=1
	s_or_b32 exec_lo, exec_lo, s50
	s_wait_dscnt 0x0
	s_barrier_signal -1
	s_barrier_wait -1
	s_barrier_signal -1
	s_barrier_wait -1
	s_and_saveexec_b32 s50, s63
	s_cbranch_execz .LBB179_144
; %bb.143:                              ;   in Loop: Header=BB179_3 Depth=1
	ds_load_b128 v[18:21], v88
	s_wait_dscnt 0x0
	ds_store_b128 v171, v[18:21]
	ds_load_b128 v[18:21], v89
	s_wait_dscnt 0x0
	ds_store_b128 v172, v[18:21]
.LBB179_144:                            ;   in Loop: Header=BB179_3 Depth=1
	s_or_b32 exec_lo, exec_lo, s50
	s_wait_dscnt 0x0
	s_barrier_signal -1
	s_barrier_wait -1
	s_and_saveexec_b32 s50, s31
	s_cbranch_execz .LBB179_146
; %bb.145:                              ;   in Loop: Header=BB179_3 Depth=1
	ds_load_b128 v[18:21], v2 offset:5808
	ds_load_b128 v[22:25], v2 offset:5280
	s_wait_dscnt 0x0
	v_mul_f64_e32 v[4:5], v[18:19], v[24:25]
	v_mul_f64_e32 v[24:25], v[20:21], v[24:25]
	s_delay_alu instid0(VALU_DEP_2) | instskip(NEXT) | instid1(VALU_DEP_2)
	v_fmac_f64_e32 v[4:5], v[20:21], v[22:23]
	v_fma_f64 v[24:25], v[18:19], v[22:23], -v[24:25]
	ds_load_b128 v[18:21], v2 offset:5296
	s_wait_dscnt 0x0
	v_mul_f64_e32 v[44:45], v[4:5], v[20:21]
	v_mul_f64_e32 v[22:23], v[24:25], v[20:21]
	s_delay_alu instid0(VALU_DEP_2) | instskip(NEXT) | instid1(VALU_DEP_2)
	v_fma_f64 v[20:21], v[18:19], v[24:25], -v[44:45]
	v_fmac_f64_e32 v[22:23], v[18:19], v[4:5]
	ds_store_b128 v2, v[20:23] offset:5296
	ds_store_b128 v2, v[20:23] offset:5792
.LBB179_146:                            ;   in Loop: Header=BB179_3 Depth=1
	s_or_b32 exec_lo, exec_lo, s50
	v_mov_b64_e32 v[20:21], 0
	v_mov_b64_e32 v[18:19], 0
	s_wait_dscnt 0x0
	s_barrier_signal -1
	s_barrier_wait -1
	s_and_saveexec_b32 s50, s5
	s_cbranch_execz .LBB179_152
; %bb.147:                              ;   in Loop: Header=BB179_3 Depth=1
	ds_load_b128 v[18:21], v50 offset:4224
	ds_load_b128 v[22:25], v56 offset:4288
	s_wait_dscnt 0x0
	v_mul_f64_e32 v[4:5], v[20:21], v[24:25]
	v_mul_f64_e32 v[24:25], v[18:19], v[24:25]
	s_delay_alu instid0(VALU_DEP_2) | instskip(NEXT) | instid1(VALU_DEP_2)
	v_fma_f64 v[4:5], v[18:19], v[22:23], -v[4:5]
	v_fmac_f64_e32 v[24:25], v[20:21], v[22:23]
	s_delay_alu instid0(VALU_DEP_2) | instskip(NEXT) | instid1(VALU_DEP_2)
	v_add_f64_e32 v[18:19], 0, v[4:5]
	v_add_f64_e32 v[20:21], 0, v[24:25]
	s_and_saveexec_b32 s51, s13
	s_cbranch_execnz .LBB179_558
; %bb.148:                              ;   in Loop: Header=BB179_3 Depth=1
	s_or_b32 exec_lo, exec_lo, s51
	s_and_saveexec_b32 s51, s14
	s_cbranch_execnz .LBB179_559
.LBB179_149:                            ;   in Loop: Header=BB179_3 Depth=1
	s_or_b32 exec_lo, exec_lo, s51
	s_and_saveexec_b32 s51, s3
	s_cbranch_execz .LBB179_151
.LBB179_150:                            ;   in Loop: Header=BB179_3 Depth=1
	ds_load_b128 v[22:25], v2 offset:4272
	ds_load_b128 v[208:211], v87 offset:5824
	s_wait_dscnt 0x0
	v_mul_f64_e32 v[4:5], v[24:25], v[210:211]
	s_delay_alu instid0(VALU_DEP_1) | instskip(SKIP_1) | instid1(VALU_DEP_2)
	v_fma_f64 v[4:5], v[22:23], v[208:209], -v[4:5]
	v_mul_f64_e32 v[22:23], v[22:23], v[210:211]
	v_add_f64_e32 v[18:19], v[18:19], v[4:5]
	s_delay_alu instid0(VALU_DEP_2) | instskip(NEXT) | instid1(VALU_DEP_1)
	v_fmac_f64_e32 v[22:23], v[24:25], v[208:209]
	v_add_f64_e32 v[20:21], v[20:21], v[22:23]
.LBB179_151:                            ;   in Loop: Header=BB179_3 Depth=1
	s_or_b32 exec_lo, exec_lo, s51
	s_delay_alu instid0(VALU_DEP_2) | instskip(NEXT) | instid1(VALU_DEP_2)
	v_xor_b32_e32 v19, 0x80000000, v19
	v_xor_b32_e32 v21, 0x80000000, v21
.LBB179_152:                            ;   in Loop: Header=BB179_3 Depth=1
	s_or_b32 exec_lo, exec_lo, s50
	s_and_saveexec_b32 s50, s64
	s_cbranch_execz .LBB179_154
; %bb.153:                              ;   in Loop: Header=BB179_3 Depth=1
	ds_load_b128 v[22:25], v2 offset:6336
	s_wait_dscnt 0x0
	v_mul_f64_e32 v[4:5], v[20:21], v[24:25]
	v_mul_f64_e32 v[210:211], v[18:19], v[24:25]
	s_delay_alu instid0(VALU_DEP_2) | instskip(NEXT) | instid1(VALU_DEP_2)
	v_fma_f64 v[208:209], v[18:19], v[22:23], -v[4:5]
	v_fmac_f64_e32 v[210:211], v[20:21], v[22:23]
	s_delay_alu instid0(VALU_DEP_2) | instskip(NEXT) | instid1(VALU_DEP_2)
	v_mov_b64_e32 v[18:19], v[208:209]
	v_mov_b64_e32 v[20:21], v[210:211]
	ds_store_b128 v55, v[208:211]
.LBB179_154:                            ;   in Loop: Header=BB179_3 Depth=1
	s_or_b32 exec_lo, exec_lo, s50
	s_wait_dscnt 0x0
	s_barrier_signal -1
	s_barrier_wait -1
	s_and_saveexec_b32 s50, s65
	s_cbranch_execz .LBB179_156
; %bb.155:                              ;   in Loop: Header=BB179_3 Depth=1
	ds_load_b128 v[22:25], v55
	ds_load_b128 v[208:211], v53 offset:6336
	s_wait_dscnt 0x0
	v_mul_f64_e32 v[4:5], v[24:25], v[210:211]
	s_delay_alu instid0(VALU_DEP_1) | instskip(SKIP_1) | instid1(VALU_DEP_2)
	v_fma_f64 v[4:5], v[22:23], v[208:209], -v[4:5]
	v_mul_f64_e32 v[22:23], v[22:23], v[210:211]
	v_add_f64_e32 v[18:19], v[18:19], v[4:5]
	s_delay_alu instid0(VALU_DEP_2) | instskip(NEXT) | instid1(VALU_DEP_1)
	v_fmac_f64_e32 v[22:23], v[24:25], v[208:209]
	v_add_f64_e32 v[20:21], v[20:21], v[22:23]
.LBB179_156:                            ;   in Loop: Header=BB179_3 Depth=1
	s_or_b32 exec_lo, exec_lo, s50
	s_barrier_signal -1
	s_barrier_wait -1
	s_and_saveexec_b32 s50, s66
	s_cbranch_execz .LBB179_158
; %bb.157:                              ;   in Loop: Header=BB179_3 Depth=1
	ds_load_b128 v[22:25], v2 offset:6864
	s_wait_dscnt 0x0
	v_mul_f64_e32 v[4:5], v[20:21], v[24:25]
	v_mul_f64_e32 v[210:211], v[18:19], v[24:25]
	s_delay_alu instid0(VALU_DEP_2) | instskip(NEXT) | instid1(VALU_DEP_2)
	v_fma_f64 v[208:209], v[18:19], v[22:23], -v[4:5]
	v_fmac_f64_e32 v[210:211], v[20:21], v[22:23]
	s_delay_alu instid0(VALU_DEP_2) | instskip(NEXT) | instid1(VALU_DEP_2)
	v_mov_b64_e32 v[18:19], v[208:209]
	v_mov_b64_e32 v[20:21], v[210:211]
	ds_store_b128 v55, v[208:211]
.LBB179_158:                            ;   in Loop: Header=BB179_3 Depth=1
	s_or_b32 exec_lo, exec_lo, s50
	s_wait_dscnt 0x0
	s_barrier_signal -1
	s_barrier_wait -1
	s_and_saveexec_b32 s50, s67
	s_cbranch_execz .LBB179_160
; %bb.159:                              ;   in Loop: Header=BB179_3 Depth=1
	ds_load_b128 v[22:25], v55
	ds_load_b128 v[208:211], v53 offset:6848
	s_wait_dscnt 0x0
	v_mul_f64_e32 v[4:5], v[24:25], v[210:211]
	s_delay_alu instid0(VALU_DEP_1) | instskip(SKIP_1) | instid1(VALU_DEP_2)
	v_fma_f64 v[4:5], v[22:23], v[208:209], -v[4:5]
	v_mul_f64_e32 v[22:23], v[22:23], v[210:211]
	v_add_f64_e32 v[18:19], v[18:19], v[4:5]
	s_delay_alu instid0(VALU_DEP_2) | instskip(NEXT) | instid1(VALU_DEP_1)
	v_fmac_f64_e32 v[22:23], v[24:25], v[208:209]
	v_add_f64_e32 v[20:21], v[20:21], v[22:23]
.LBB179_160:                            ;   in Loop: Header=BB179_3 Depth=1
	s_or_b32 exec_lo, exec_lo, s50
	s_barrier_signal -1
	s_barrier_wait -1
	;; [unrolled: 37-line block ×3, first 2 shown]
	s_and_saveexec_b32 s50, s69
	s_cbranch_execz .LBB179_166
; %bb.165:                              ;   in Loop: Header=BB179_3 Depth=1
	ds_load_b128 v[22:25], v2 offset:7920
	s_wait_dscnt 0x0
	v_mul_f64_e32 v[4:5], v[20:21], v[24:25]
	v_mul_f64_e32 v[210:211], v[18:19], v[24:25]
	s_delay_alu instid0(VALU_DEP_2) | instskip(NEXT) | instid1(VALU_DEP_2)
	v_fma_f64 v[208:209], v[18:19], v[22:23], -v[4:5]
	v_fmac_f64_e32 v[210:211], v[20:21], v[22:23]
	s_delay_alu instid0(VALU_DEP_2) | instskip(NEXT) | instid1(VALU_DEP_2)
	v_mov_b64_e32 v[18:19], v[208:209]
	v_mov_b64_e32 v[20:21], v[210:211]
	ds_store_b128 v55, v[208:211]
.LBB179_166:                            ;   in Loop: Header=BB179_3 Depth=1
	s_or_b32 exec_lo, exec_lo, s50
	s_wait_dscnt 0x0
	s_barrier_signal -1
	s_barrier_wait -1
	s_barrier_signal -1
	s_barrier_wait -1
	s_and_saveexec_b32 s50, s5
; %bb.167:                              ;   in Loop: Header=BB179_3 Depth=1
	s_delay_alu instid0(VALU_DEP_1) | instskip(NEXT) | instid1(VALU_DEP_4)
	v_xor_b32_e32 v21, 0x80000000, v21
	v_xor_b32_e32 v19, 0x80000000, v19
	ds_store_b128 v56, v[18:21] offset:4288
; %bb.168:                              ;   in Loop: Header=BB179_3 Depth=1
	s_or_b32 exec_lo, exec_lo, s50
	s_wait_dscnt 0x0
	s_barrier_signal -1
	s_barrier_wait -1
	s_barrier_signal -1
	s_barrier_wait -1
	s_and_saveexec_b32 s50, s70
	s_cbranch_execz .LBB179_170
; %bb.169:                              ;   in Loop: Header=BB179_3 Depth=1
	ds_load_b128 v[18:21], v99
	s_wait_dscnt 0x0
	ds_store_b128 v174, v[18:21]
	ds_load_b128 v[18:21], v102
	s_wait_dscnt 0x0
	ds_store_b128 v177, v[18:21]
	;; [unrolled: 3-line block ×4, first 2 shown]
.LBB179_170:                            ;   in Loop: Header=BB179_3 Depth=1
	s_or_b32 exec_lo, exec_lo, s50
	s_wait_dscnt 0x0
	s_barrier_signal -1
	s_barrier_wait -1
	s_and_saveexec_b32 s50, s31
	s_cbranch_execz .LBB179_172
; %bb.171:                              ;   in Loop: Header=BB179_3 Depth=1
	ds_load_b128 v[18:21], v2 offset:6864
	ds_load_b128 v[22:25], v2 offset:6336
	s_wait_dscnt 0x0
	v_mul_f64_e32 v[4:5], v[18:19], v[24:25]
	v_mul_f64_e32 v[24:25], v[20:21], v[24:25]
	s_delay_alu instid0(VALU_DEP_2) | instskip(NEXT) | instid1(VALU_DEP_2)
	v_fmac_f64_e32 v[4:5], v[20:21], v[22:23]
	v_fma_f64 v[24:25], v[18:19], v[22:23], -v[24:25]
	ds_load_b128 v[18:21], v2 offset:6352
	s_wait_dscnt 0x0
	v_mul_f64_e32 v[44:45], v[4:5], v[20:21]
	v_mul_f64_e32 v[22:23], v[24:25], v[20:21]
	s_delay_alu instid0(VALU_DEP_2) | instskip(NEXT) | instid1(VALU_DEP_2)
	v_fma_f64 v[20:21], v[18:19], v[24:25], -v[44:45]
	v_fmac_f64_e32 v[22:23], v[18:19], v[4:5]
	ds_store_b128 v2, v[20:23] offset:6352
	ds_store_b128 v2, v[20:23] offset:6848
.LBB179_172:                            ;   in Loop: Header=BB179_3 Depth=1
	s_or_b32 exec_lo, exec_lo, s50
	v_mov_b64_e32 v[20:21], 0
	v_mov_b64_e32 v[18:19], 0
	s_wait_dscnt 0x0
	s_barrier_signal -1
	s_barrier_wait -1
	s_and_saveexec_b32 s50, s3
	s_cbranch_execz .LBB179_176
; %bb.173:                              ;   in Loop: Header=BB179_3 Depth=1
	ds_load_b128 v[18:21], v48 offset:6336
	ds_load_b128 v[22:25], v47 offset:6368
	s_wait_dscnt 0x0
	v_mul_f64_e32 v[4:5], v[20:21], v[24:25]
	v_mul_f64_e32 v[24:25], v[18:19], v[24:25]
	s_delay_alu instid0(VALU_DEP_2) | instskip(NEXT) | instid1(VALU_DEP_2)
	v_fma_f64 v[4:5], v[18:19], v[22:23], -v[4:5]
	v_fmac_f64_e32 v[24:25], v[20:21], v[22:23]
	s_delay_alu instid0(VALU_DEP_2) | instskip(NEXT) | instid1(VALU_DEP_2)
	v_add_f64_e32 v[18:19], 0, v[4:5]
	v_add_f64_e32 v[20:21], 0, v[24:25]
	s_and_saveexec_b32 s51, s12
	s_cbranch_execz .LBB179_175
; %bb.174:                              ;   in Loop: Header=BB179_3 Depth=1
	ds_load_b128 v[22:25], v2 offset:6352
	ds_load_b128 v[208:211], v98 offset:6880
	s_wait_dscnt 0x0
	v_mul_f64_e32 v[4:5], v[24:25], v[210:211]
	s_delay_alu instid0(VALU_DEP_1) | instskip(SKIP_1) | instid1(VALU_DEP_2)
	v_fma_f64 v[4:5], v[22:23], v[208:209], -v[4:5]
	v_mul_f64_e32 v[22:23], v[22:23], v[210:211]
	v_add_f64_e32 v[18:19], v[18:19], v[4:5]
	s_delay_alu instid0(VALU_DEP_2) | instskip(NEXT) | instid1(VALU_DEP_1)
	v_fmac_f64_e32 v[22:23], v[24:25], v[208:209]
	v_add_f64_e32 v[20:21], v[20:21], v[22:23]
.LBB179_175:                            ;   in Loop: Header=BB179_3 Depth=1
	s_or_b32 exec_lo, exec_lo, s51
	s_delay_alu instid0(VALU_DEP_2) | instskip(NEXT) | instid1(VALU_DEP_2)
	v_xor_b32_e32 v19, 0x80000000, v19
	v_xor_b32_e32 v21, 0x80000000, v21
.LBB179_176:                            ;   in Loop: Header=BB179_3 Depth=1
	s_or_b32 exec_lo, exec_lo, s50
	s_and_saveexec_b32 s50, s61
	s_cbranch_execz .LBB179_178
; %bb.177:                              ;   in Loop: Header=BB179_3 Depth=1
	ds_load_b128 v[22:25], v2 offset:7392
	s_wait_dscnt 0x0
	v_mul_f64_e32 v[4:5], v[20:21], v[24:25]
	v_mul_f64_e32 v[210:211], v[18:19], v[24:25]
	s_delay_alu instid0(VALU_DEP_2) | instskip(NEXT) | instid1(VALU_DEP_2)
	v_fma_f64 v[208:209], v[18:19], v[22:23], -v[4:5]
	v_fmac_f64_e32 v[210:211], v[20:21], v[22:23]
	s_delay_alu instid0(VALU_DEP_2) | instskip(NEXT) | instid1(VALU_DEP_2)
	v_mov_b64_e32 v[18:19], v[208:209]
	v_mov_b64_e32 v[20:21], v[210:211]
	ds_store_b128 v27, v[208:211]
.LBB179_178:                            ;   in Loop: Header=BB179_3 Depth=1
	s_or_b32 exec_lo, exec_lo, s50
	s_wait_dscnt 0x0
	s_barrier_signal -1
	s_barrier_wait -1
	s_and_saveexec_b32 s50, s62
	s_cbranch_execz .LBB179_180
; %bb.179:                              ;   in Loop: Header=BB179_3 Depth=1
	ds_load_b128 v[22:25], v27
	ds_load_b128 v[208:211], v2 offset:7408
	s_wait_dscnt 0x0
	v_mul_f64_e32 v[4:5], v[24:25], v[210:211]
	s_delay_alu instid0(VALU_DEP_1) | instskip(SKIP_1) | instid1(VALU_DEP_2)
	v_fma_f64 v[4:5], v[22:23], v[208:209], -v[4:5]
	v_mul_f64_e32 v[22:23], v[22:23], v[210:211]
	v_add_f64_e32 v[18:19], v[18:19], v[4:5]
	s_delay_alu instid0(VALU_DEP_2) | instskip(NEXT) | instid1(VALU_DEP_1)
	v_fmac_f64_e32 v[22:23], v[24:25], v[208:209]
	v_add_f64_e32 v[20:21], v[20:21], v[22:23]
.LBB179_180:                            ;   in Loop: Header=BB179_3 Depth=1
	s_or_b32 exec_lo, exec_lo, s50
	s_barrier_signal -1
	s_barrier_wait -1
	s_and_saveexec_b32 s50, s62
	s_cbranch_execz .LBB179_182
; %bb.181:                              ;   in Loop: Header=BB179_3 Depth=1
	ds_load_b128 v[22:25], v2 offset:7920
	s_wait_dscnt 0x0
	v_mul_f64_e32 v[4:5], v[20:21], v[24:25]
	v_mul_f64_e32 v[210:211], v[18:19], v[24:25]
	s_delay_alu instid0(VALU_DEP_2) | instskip(NEXT) | instid1(VALU_DEP_2)
	v_fma_f64 v[208:209], v[18:19], v[22:23], -v[4:5]
	v_fmac_f64_e32 v[210:211], v[20:21], v[22:23]
	s_delay_alu instid0(VALU_DEP_2) | instskip(NEXT) | instid1(VALU_DEP_2)
	v_mov_b64_e32 v[18:19], v[208:209]
	v_mov_b64_e32 v[20:21], v[210:211]
	ds_store_b128 v27, v[208:211]
.LBB179_182:                            ;   in Loop: Header=BB179_3 Depth=1
	s_or_b32 exec_lo, exec_lo, s50
	s_wait_dscnt 0x0
	s_barrier_signal -1
	s_barrier_wait -1
	s_barrier_signal -1
	s_barrier_wait -1
	s_and_saveexec_b32 s50, s3
; %bb.183:                              ;   in Loop: Header=BB179_3 Depth=1
	s_delay_alu instid0(VALU_DEP_3) | instskip(NEXT) | instid1(VALU_DEP_2)
	v_xor_b32_e32 v19, 0x80000000, v19
	v_xor_b32_e32 v21, 0x80000000, v21
	ds_store_b128 v47, v[18:21] offset:6368
; %bb.184:                              ;   in Loop: Header=BB179_3 Depth=1
	s_or_b32 exec_lo, exec_lo, s50
	s_wait_dscnt 0x0
	s_barrier_signal -1
	s_barrier_wait -1
	s_barrier_signal -1
	s_barrier_wait -1
	s_and_saveexec_b32 s50, s63
	s_cbranch_execz .LBB179_186
; %bb.185:                              ;   in Loop: Header=BB179_3 Depth=1
	ds_load_b128 v[18:21], v109
	s_wait_dscnt 0x0
	ds_store_b128 v113, v[18:21]
	ds_load_b128 v[18:21], v110
	s_wait_dscnt 0x0
	ds_store_b128 v114, v[18:21]
.LBB179_186:                            ;   in Loop: Header=BB179_3 Depth=1
	s_or_b32 exec_lo, exec_lo, s50
	s_wait_dscnt 0x0
	s_barrier_signal -1
	s_barrier_wait -1
	s_and_saveexec_b32 s50, s31
	s_cbranch_execz .LBB179_188
; %bb.187:                              ;   in Loop: Header=BB179_3 Depth=1
	ds_load_b128 v[18:21], v2 offset:7920
	ds_load_b128 v[22:25], v2 offset:7392
	s_wait_dscnt 0x0
	v_mul_f64_e32 v[4:5], v[18:19], v[24:25]
	v_mul_f64_e32 v[24:25], v[20:21], v[24:25]
	s_delay_alu instid0(VALU_DEP_2) | instskip(NEXT) | instid1(VALU_DEP_2)
	v_fmac_f64_e32 v[4:5], v[20:21], v[22:23]
	v_fma_f64 v[24:25], v[18:19], v[22:23], -v[24:25]
	ds_load_b128 v[18:21], v2 offset:7408
	s_wait_dscnt 0x0
	v_mul_f64_e32 v[44:45], v[4:5], v[20:21]
	v_mul_f64_e32 v[22:23], v[24:25], v[20:21]
	s_delay_alu instid0(VALU_DEP_2) | instskip(NEXT) | instid1(VALU_DEP_2)
	v_fma_f64 v[20:21], v[18:19], v[24:25], -v[44:45]
	v_fmac_f64_e32 v[22:23], v[18:19], v[4:5]
	ds_store_b128 v2, v[20:23] offset:7408
	ds_store_b128 v2, v[20:23] offset:7904
.LBB179_188:                            ;   in Loop: Header=BB179_3 Depth=1
	s_or_b32 exec_lo, exec_lo, s50
	v_mov_b64_e32 v[20:21], 0
	v_mov_b64_e32 v[18:19], 0
	s_wait_dscnt 0x0
	s_barrier_signal -1
	s_barrier_wait -1
	s_and_saveexec_b32 s50, s7
	s_cbranch_execz .LBB179_216
; %bb.189:                              ;   in Loop: Header=BB179_3 Depth=1
	v_add_nc_u32_e32 v3, v73, v173
	ds_load_b128 v[18:21], v3
	ds_load_b128 v[22:25], v179 offset:256
	s_wait_dscnt 0x0
	v_mul_f64_e32 v[4:5], v[20:21], v[24:25]
	v_mul_f64_e32 v[24:25], v[18:19], v[24:25]
	s_delay_alu instid0(VALU_DEP_2) | instskip(NEXT) | instid1(VALU_DEP_2)
	v_fma_f64 v[4:5], v[18:19], v[22:23], -v[4:5]
	v_fmac_f64_e32 v[24:25], v[20:21], v[22:23]
	s_delay_alu instid0(VALU_DEP_2) | instskip(NEXT) | instid1(VALU_DEP_2)
	v_add_f64_e32 v[18:19], 0, v[4:5]
	v_add_f64_e32 v[20:21], 0, v[24:25]
	s_mov_b32 s51, exec_lo
	v_readlane_b32 s90, v207, 15
	s_and_b32 s90, s51, s90
	s_delay_alu instid0(SALU_CYCLE_1)
	s_mov_b32 exec_lo, s90
	s_cbranch_execz .LBB179_191
; %bb.190:                              ;   in Loop: Header=BB179_3 Depth=1
	ds_load_b128 v[22:25], v3 offset:16
	ds_load_b128 v[208:211], v179 offset:768
	s_wait_dscnt 0x0
	v_mul_f64_e32 v[4:5], v[24:25], v[210:211]
	s_delay_alu instid0(VALU_DEP_1) | instskip(SKIP_1) | instid1(VALU_DEP_2)
	v_fma_f64 v[4:5], v[22:23], v[208:209], -v[4:5]
	v_mul_f64_e32 v[22:23], v[22:23], v[210:211]
	v_add_f64_e32 v[18:19], v[18:19], v[4:5]
	s_delay_alu instid0(VALU_DEP_2) | instskip(NEXT) | instid1(VALU_DEP_1)
	v_fmac_f64_e32 v[22:23], v[24:25], v[208:209]
	v_add_f64_e32 v[20:21], v[20:21], v[22:23]
.LBB179_191:                            ;   in Loop: Header=BB179_3 Depth=1
	s_or_b32 exec_lo, exec_lo, s51
	s_delay_alu instid0(SALU_CYCLE_1) | instskip(SKIP_2) | instid1(SALU_CYCLE_1)
	s_mov_b32 s51, exec_lo
	v_readlane_b32 s90, v207, 16
	s_and_b32 s90, s51, s90
	s_mov_b32 exec_lo, s90
	s_cbranch_execz .LBB179_193
; %bb.192:                              ;   in Loop: Header=BB179_3 Depth=1
	ds_load_b128 v[22:25], v3 offset:32
	ds_load_b128 v[208:211], v179 offset:1280
	s_wait_dscnt 0x0
	v_mul_f64_e32 v[4:5], v[24:25], v[210:211]
	s_delay_alu instid0(VALU_DEP_1) | instskip(SKIP_1) | instid1(VALU_DEP_2)
	v_fma_f64 v[4:5], v[22:23], v[208:209], -v[4:5]
	v_mul_f64_e32 v[22:23], v[22:23], v[210:211]
	v_add_f64_e32 v[18:19], v[18:19], v[4:5]
	s_delay_alu instid0(VALU_DEP_2) | instskip(NEXT) | instid1(VALU_DEP_1)
	v_fmac_f64_e32 v[22:23], v[24:25], v[208:209]
	v_add_f64_e32 v[20:21], v[20:21], v[22:23]
.LBB179_193:                            ;   in Loop: Header=BB179_3 Depth=1
	s_or_b32 exec_lo, exec_lo, s51
	s_delay_alu instid0(SALU_CYCLE_1) | instskip(SKIP_2) | instid1(SALU_CYCLE_1)
	s_mov_b32 s51, exec_lo
	v_readlane_b32 s90, v207, 17
	s_and_b32 s90, s51, s90
	;; [unrolled: 20-line block ×10, first 2 shown]
	s_mov_b32 exec_lo, s90
	s_cbranch_execnz .LBB179_560
; %bb.210:                              ;   in Loop: Header=BB179_3 Depth=1
	s_or_b32 exec_lo, exec_lo, s51
	s_and_saveexec_b32 s51, s6
	s_cbranch_execnz .LBB179_561
.LBB179_211:                            ;   in Loop: Header=BB179_3 Depth=1
	s_or_b32 exec_lo, exec_lo, s51
	s_and_saveexec_b32 s51, s16
	s_cbranch_execnz .LBB179_562
.LBB179_212:                            ;   in Loop: Header=BB179_3 Depth=1
	s_or_b32 exec_lo, exec_lo, s51
	s_and_saveexec_b32 s51, s18
	s_cbranch_execnz .LBB179_563
.LBB179_213:                            ;   in Loop: Header=BB179_3 Depth=1
	s_or_b32 exec_lo, exec_lo, s51
	s_and_saveexec_b32 s51, s5
	s_cbranch_execz .LBB179_215
.LBB179_214:                            ;   in Loop: Header=BB179_3 Depth=1
	ds_load_b128 v[22:25], v2 offset:240
	ds_load_b128 v[208:211], v49 offset:7936
	s_wait_dscnt 0x0
	v_mul_f64_e32 v[4:5], v[24:25], v[210:211]
	s_delay_alu instid0(VALU_DEP_1) | instskip(SKIP_1) | instid1(VALU_DEP_2)
	v_fma_f64 v[4:5], v[22:23], v[208:209], -v[4:5]
	v_mul_f64_e32 v[22:23], v[22:23], v[210:211]
	v_add_f64_e32 v[18:19], v[18:19], v[4:5]
	s_delay_alu instid0(VALU_DEP_2) | instskip(NEXT) | instid1(VALU_DEP_1)
	v_fmac_f64_e32 v[22:23], v[24:25], v[208:209]
	v_add_f64_e32 v[20:21], v[20:21], v[22:23]
.LBB179_215:                            ;   in Loop: Header=BB179_3 Depth=1
	s_or_b32 exec_lo, exec_lo, s51
	s_delay_alu instid0(VALU_DEP_3) | instskip(NEXT) | instid1(VALU_DEP_2)
	v_xor_b32_e32 v19, 0x80000000, v19
	v_xor_b32_e32 v21, 0x80000000, v21
.LBB179_216:                            ;   in Loop: Header=BB179_3 Depth=1
	s_or_b32 exec_lo, exec_lo, s50
	s_delay_alu instid0(SALU_CYCLE_1) | instskip(SKIP_2) | instid1(SALU_CYCLE_1)
	s_mov_b32 s50, exec_lo
	v_readlane_b32 s51, v207, 0
	s_and_b32 s51, s50, s51
	s_mov_b32 exec_lo, s51
	s_cbranch_execz .LBB179_218
; %bb.217:                              ;   in Loop: Header=BB179_3 Depth=1
	ds_load_b128 v[22:25], v2 offset:8448
	s_wait_dscnt 0x0
	v_mul_f64_e32 v[4:5], v[20:21], v[24:25]
	v_mul_f64_e32 v[210:211], v[18:19], v[24:25]
	s_delay_alu instid0(VALU_DEP_2) | instskip(NEXT) | instid1(VALU_DEP_2)
	v_fma_f64 v[208:209], v[18:19], v[22:23], -v[4:5]
	v_fmac_f64_e32 v[210:211], v[20:21], v[22:23]
	s_delay_alu instid0(VALU_DEP_2) | instskip(NEXT) | instid1(VALU_DEP_2)
	v_mov_b64_e32 v[18:19], v[208:209]
	v_mov_b64_e32 v[20:21], v[210:211]
	ds_store_b128 v178, v[208:211]
.LBB179_218:                            ;   in Loop: Header=BB179_3 Depth=1
	s_or_b32 exec_lo, exec_lo, s50
	s_wait_dscnt 0x0
	s_barrier_signal -1
	s_barrier_wait -1
	s_mov_b32 s50, exec_lo
	v_readlane_b32 s51, v207, 1
	s_and_b32 s51, s50, s51
	s_delay_alu instid0(SALU_CYCLE_1)
	s_mov_b32 exec_lo, s51
	s_cbranch_execz .LBB179_220
; %bb.219:                              ;   in Loop: Header=BB179_3 Depth=1
	ds_load_b128 v[22:25], v178
	ds_load_b128 v[208:211], v74 offset:8448
	s_wait_dscnt 0x0
	v_mul_f64_e32 v[4:5], v[24:25], v[210:211]
	s_delay_alu instid0(VALU_DEP_1) | instskip(SKIP_1) | instid1(VALU_DEP_2)
	v_fma_f64 v[4:5], v[22:23], v[208:209], -v[4:5]
	v_mul_f64_e32 v[22:23], v[22:23], v[210:211]
	v_add_f64_e32 v[18:19], v[18:19], v[4:5]
	s_delay_alu instid0(VALU_DEP_2) | instskip(NEXT) | instid1(VALU_DEP_1)
	v_fmac_f64_e32 v[22:23], v[24:25], v[208:209]
	v_add_f64_e32 v[20:21], v[20:21], v[22:23]
.LBB179_220:                            ;   in Loop: Header=BB179_3 Depth=1
	s_or_b32 exec_lo, exec_lo, s50
	s_barrier_signal -1
	s_barrier_wait -1
	s_mov_b32 s50, exec_lo
	v_readlane_b32 s51, v207, 2
	s_and_b32 s51, s50, s51
	s_delay_alu instid0(SALU_CYCLE_1)
	s_mov_b32 exec_lo, s51
	s_cbranch_execz .LBB179_222
; %bb.221:                              ;   in Loop: Header=BB179_3 Depth=1
	ds_load_b128 v[22:25], v2 offset:8976
	s_wait_dscnt 0x0
	v_mul_f64_e32 v[4:5], v[20:21], v[24:25]
	v_mul_f64_e32 v[210:211], v[18:19], v[24:25]
	s_delay_alu instid0(VALU_DEP_2) | instskip(NEXT) | instid1(VALU_DEP_2)
	v_fma_f64 v[208:209], v[18:19], v[22:23], -v[4:5]
	v_fmac_f64_e32 v[210:211], v[20:21], v[22:23]
	s_delay_alu instid0(VALU_DEP_2) | instskip(NEXT) | instid1(VALU_DEP_2)
	v_mov_b64_e32 v[18:19], v[208:209]
	v_mov_b64_e32 v[20:21], v[210:211]
	ds_store_b128 v178, v[208:211]
.LBB179_222:                            ;   in Loop: Header=BB179_3 Depth=1
	s_or_b32 exec_lo, exec_lo, s50
	s_wait_dscnt 0x0
	s_barrier_signal -1
	s_barrier_wait -1
	s_mov_b32 s50, exec_lo
	v_readlane_b32 s51, v207, 3
	s_and_b32 s51, s50, s51
	s_delay_alu instid0(SALU_CYCLE_1)
	s_mov_b32 exec_lo, s51
	s_cbranch_execz .LBB179_224
; %bb.223:                              ;   in Loop: Header=BB179_3 Depth=1
	ds_load_b128 v[22:25], v178
	ds_load_b128 v[208:211], v74 offset:8960
	s_wait_dscnt 0x0
	v_mul_f64_e32 v[4:5], v[24:25], v[210:211]
	s_delay_alu instid0(VALU_DEP_1) | instskip(SKIP_1) | instid1(VALU_DEP_2)
	v_fma_f64 v[4:5], v[22:23], v[208:209], -v[4:5]
	v_mul_f64_e32 v[22:23], v[22:23], v[210:211]
	v_add_f64_e32 v[18:19], v[18:19], v[4:5]
	s_delay_alu instid0(VALU_DEP_2) | instskip(NEXT) | instid1(VALU_DEP_1)
	v_fmac_f64_e32 v[22:23], v[24:25], v[208:209]
	v_add_f64_e32 v[20:21], v[20:21], v[22:23]
.LBB179_224:                            ;   in Loop: Header=BB179_3 Depth=1
	s_or_b32 exec_lo, exec_lo, s50
	s_barrier_signal -1
	s_barrier_wait -1
	s_mov_b32 s50, exec_lo
	v_readlane_b32 s51, v207, 4
	s_and_b32 s51, s50, s51
	s_delay_alu instid0(SALU_CYCLE_1)
	;; [unrolled: 45-line block ×4, first 2 shown]
	s_mov_b32 exec_lo, s51
	s_cbranch_execz .LBB179_234
; %bb.233:                              ;   in Loop: Header=BB179_3 Depth=1
	ds_load_b128 v[22:25], v2 offset:10560
	s_wait_dscnt 0x0
	v_mul_f64_e32 v[4:5], v[20:21], v[24:25]
	v_mul_f64_e32 v[210:211], v[18:19], v[24:25]
	s_delay_alu instid0(VALU_DEP_2) | instskip(NEXT) | instid1(VALU_DEP_2)
	v_fma_f64 v[208:209], v[18:19], v[22:23], -v[4:5]
	v_fmac_f64_e32 v[210:211], v[20:21], v[22:23]
	s_delay_alu instid0(VALU_DEP_2) | instskip(NEXT) | instid1(VALU_DEP_2)
	v_mov_b64_e32 v[18:19], v[208:209]
	v_mov_b64_e32 v[20:21], v[210:211]
	ds_store_b128 v178, v[208:211]
.LBB179_234:                            ;   in Loop: Header=BB179_3 Depth=1
	s_or_b32 exec_lo, exec_lo, s50
	s_wait_dscnt 0x0
	s_barrier_signal -1
	s_barrier_wait -1
	s_mov_b32 s50, exec_lo
	v_readlane_b32 s51, v207, 9
	s_and_b32 s51, s50, s51
	s_delay_alu instid0(SALU_CYCLE_1)
	s_mov_b32 exec_lo, s51
	s_cbranch_execz .LBB179_236
; %bb.235:                              ;   in Loop: Header=BB179_3 Depth=1
	ds_load_b128 v[22:25], v178
	ds_load_b128 v[208:211], v74 offset:10496
	s_wait_dscnt 0x0
	v_mul_f64_e32 v[4:5], v[24:25], v[210:211]
	s_delay_alu instid0(VALU_DEP_1) | instskip(SKIP_1) | instid1(VALU_DEP_2)
	v_fma_f64 v[4:5], v[22:23], v[208:209], -v[4:5]
	v_mul_f64_e32 v[22:23], v[22:23], v[210:211]
	v_add_f64_e32 v[18:19], v[18:19], v[4:5]
	s_delay_alu instid0(VALU_DEP_2) | instskip(NEXT) | instid1(VALU_DEP_1)
	v_fmac_f64_e32 v[22:23], v[24:25], v[208:209]
	v_add_f64_e32 v[20:21], v[20:21], v[22:23]
.LBB179_236:                            ;   in Loop: Header=BB179_3 Depth=1
	s_or_b32 exec_lo, exec_lo, s50
	s_barrier_signal -1
	s_barrier_wait -1
	s_and_saveexec_b32 s50, s96
	s_cbranch_execz .LBB179_238
; %bb.237:                              ;   in Loop: Header=BB179_3 Depth=1
	ds_load_b128 v[22:25], v2 offset:11088
	s_wait_dscnt 0x0
	v_mul_f64_e32 v[4:5], v[20:21], v[24:25]
	v_mul_f64_e32 v[210:211], v[18:19], v[24:25]
	s_delay_alu instid0(VALU_DEP_2) | instskip(NEXT) | instid1(VALU_DEP_2)
	v_fma_f64 v[208:209], v[18:19], v[22:23], -v[4:5]
	v_fmac_f64_e32 v[210:211], v[20:21], v[22:23]
	s_delay_alu instid0(VALU_DEP_2) | instskip(NEXT) | instid1(VALU_DEP_2)
	v_mov_b64_e32 v[18:19], v[208:209]
	v_mov_b64_e32 v[20:21], v[210:211]
	ds_store_b128 v178, v[208:211]
.LBB179_238:                            ;   in Loop: Header=BB179_3 Depth=1
	s_or_b32 exec_lo, exec_lo, s50
	s_wait_dscnt 0x0
	s_barrier_signal -1
	s_barrier_wait -1
	s_and_saveexec_b32 s50, s97
	s_cbranch_execz .LBB179_240
; %bb.239:                              ;   in Loop: Header=BB179_3 Depth=1
	ds_load_b128 v[22:25], v178
	ds_load_b128 v[208:211], v74 offset:11008
	s_wait_dscnt 0x0
	v_mul_f64_e32 v[4:5], v[24:25], v[210:211]
	s_delay_alu instid0(VALU_DEP_1) | instskip(SKIP_1) | instid1(VALU_DEP_2)
	v_fma_f64 v[4:5], v[22:23], v[208:209], -v[4:5]
	v_mul_f64_e32 v[22:23], v[22:23], v[210:211]
	v_add_f64_e32 v[18:19], v[18:19], v[4:5]
	s_delay_alu instid0(VALU_DEP_2) | instskip(NEXT) | instid1(VALU_DEP_1)
	v_fmac_f64_e32 v[22:23], v[24:25], v[208:209]
	v_add_f64_e32 v[20:21], v[20:21], v[22:23]
.LBB179_240:                            ;   in Loop: Header=BB179_3 Depth=1
	s_or_b32 exec_lo, exec_lo, s50
	s_barrier_signal -1
	s_barrier_wait -1
	s_and_saveexec_b32 s50, s98
	s_cbranch_execz .LBB179_242
; %bb.241:                              ;   in Loop: Header=BB179_3 Depth=1
	ds_load_b128 v[22:25], v2 offset:11616
	s_wait_dscnt 0x0
	v_mul_f64_e32 v[4:5], v[20:21], v[24:25]
	v_mul_f64_e32 v[210:211], v[18:19], v[24:25]
	s_delay_alu instid0(VALU_DEP_2) | instskip(NEXT) | instid1(VALU_DEP_2)
	v_fma_f64 v[208:209], v[18:19], v[22:23], -v[4:5]
	v_fmac_f64_e32 v[210:211], v[20:21], v[22:23]
	s_delay_alu instid0(VALU_DEP_2) | instskip(NEXT) | instid1(VALU_DEP_2)
	v_mov_b64_e32 v[18:19], v[208:209]
	v_mov_b64_e32 v[20:21], v[210:211]
	ds_store_b128 v178, v[208:211]
.LBB179_242:                            ;   in Loop: Header=BB179_3 Depth=1
	s_or_b32 exec_lo, exec_lo, s50
	s_wait_dscnt 0x0
	s_barrier_signal -1
	s_barrier_wait -1
	s_and_saveexec_b32 s50, s99
	;; [unrolled: 37-line block ×4, first 2 shown]
	s_cbranch_execz .LBB179_252
; %bb.251:                              ;   in Loop: Header=BB179_3 Depth=1
	ds_load_b128 v[22:25], v178
	ds_load_b128 v[208:211], v74 offset:12544
	s_wait_dscnt 0x0
	v_mul_f64_e32 v[4:5], v[24:25], v[210:211]
	s_delay_alu instid0(VALU_DEP_1) | instskip(SKIP_1) | instid1(VALU_DEP_2)
	v_fma_f64 v[4:5], v[22:23], v[208:209], -v[4:5]
	v_mul_f64_e32 v[22:23], v[22:23], v[210:211]
	v_add_f64_e32 v[18:19], v[18:19], v[4:5]
	s_delay_alu instid0(VALU_DEP_2) | instskip(NEXT) | instid1(VALU_DEP_1)
	v_fmac_f64_e32 v[22:23], v[24:25], v[208:209]
	v_add_f64_e32 v[20:21], v[20:21], v[22:23]
.LBB179_252:                            ;   in Loop: Header=BB179_3 Depth=1
	s_or_b32 exec_lo, exec_lo, s50
	s_barrier_signal -1
	s_barrier_wait -1
	s_and_saveexec_b32 s50, s104
	s_cbranch_execz .LBB179_254
; %bb.253:                              ;   in Loop: Header=BB179_3 Depth=1
	ds_load_b128 v[22:25], v2 offset:13200
	s_wait_dscnt 0x0
	v_mul_f64_e32 v[4:5], v[20:21], v[24:25]
	v_mul_f64_e32 v[210:211], v[18:19], v[24:25]
	s_delay_alu instid0(VALU_DEP_2) | instskip(NEXT) | instid1(VALU_DEP_2)
	v_fma_f64 v[208:209], v[18:19], v[22:23], -v[4:5]
	v_fmac_f64_e32 v[210:211], v[20:21], v[22:23]
	s_delay_alu instid0(VALU_DEP_2) | instskip(NEXT) | instid1(VALU_DEP_2)
	v_mov_b64_e32 v[18:19], v[208:209]
	v_mov_b64_e32 v[20:21], v[210:211]
	ds_store_b128 v178, v[208:211]
.LBB179_254:                            ;   in Loop: Header=BB179_3 Depth=1
	s_or_b32 exec_lo, exec_lo, s50
	s_wait_dscnt 0x0
	s_barrier_signal -1
	s_barrier_wait -1
	s_and_saveexec_b32 s50, vcc_hi
	s_cbranch_execz .LBB179_256
; %bb.255:                              ;   in Loop: Header=BB179_3 Depth=1
	ds_load_b128 v[22:25], v178
	ds_load_b128 v[208:211], v74 offset:13056
	s_wait_dscnt 0x0
	v_mul_f64_e32 v[4:5], v[24:25], v[210:211]
	s_delay_alu instid0(VALU_DEP_1) | instskip(SKIP_1) | instid1(VALU_DEP_2)
	v_fma_f64 v[4:5], v[22:23], v[208:209], -v[4:5]
	v_mul_f64_e32 v[22:23], v[22:23], v[210:211]
	v_add_f64_e32 v[18:19], v[18:19], v[4:5]
	s_delay_alu instid0(VALU_DEP_2) | instskip(NEXT) | instid1(VALU_DEP_1)
	v_fmac_f64_e32 v[22:23], v[24:25], v[208:209]
	v_add_f64_e32 v[20:21], v[20:21], v[22:23]
.LBB179_256:                            ;   in Loop: Header=BB179_3 Depth=1
	s_or_b32 exec_lo, exec_lo, s50
	s_barrier_signal -1
	s_barrier_wait -1
	s_and_saveexec_b32 s50, s20
	s_cbranch_execz .LBB179_258
; %bb.257:                              ;   in Loop: Header=BB179_3 Depth=1
	ds_load_b128 v[22:25], v2 offset:13728
	s_wait_dscnt 0x0
	v_mul_f64_e32 v[4:5], v[20:21], v[24:25]
	v_mul_f64_e32 v[210:211], v[18:19], v[24:25]
	s_delay_alu instid0(VALU_DEP_2) | instskip(NEXT) | instid1(VALU_DEP_2)
	v_fma_f64 v[208:209], v[18:19], v[22:23], -v[4:5]
	v_fmac_f64_e32 v[210:211], v[20:21], v[22:23]
	s_delay_alu instid0(VALU_DEP_2) | instskip(NEXT) | instid1(VALU_DEP_2)
	v_mov_b64_e32 v[18:19], v[208:209]
	v_mov_b64_e32 v[20:21], v[210:211]
	ds_store_b128 v178, v[208:211]
.LBB179_258:                            ;   in Loop: Header=BB179_3 Depth=1
	s_or_b32 exec_lo, exec_lo, s50
	s_wait_dscnt 0x0
	s_barrier_signal -1
	s_barrier_wait -1
	s_and_saveexec_b32 s50, s21
	s_cbranch_execz .LBB179_260
; %bb.259:                              ;   in Loop: Header=BB179_3 Depth=1
	ds_load_b128 v[22:25], v178
	ds_load_b128 v[208:211], v74 offset:13568
	s_wait_dscnt 0x0
	v_mul_f64_e32 v[4:5], v[24:25], v[210:211]
	s_delay_alu instid0(VALU_DEP_1) | instskip(SKIP_1) | instid1(VALU_DEP_2)
	v_fma_f64 v[4:5], v[22:23], v[208:209], -v[4:5]
	v_mul_f64_e32 v[22:23], v[22:23], v[210:211]
	v_add_f64_e32 v[18:19], v[18:19], v[4:5]
	s_delay_alu instid0(VALU_DEP_2) | instskip(NEXT) | instid1(VALU_DEP_1)
	v_fmac_f64_e32 v[22:23], v[24:25], v[208:209]
	v_add_f64_e32 v[20:21], v[20:21], v[22:23]
.LBB179_260:                            ;   in Loop: Header=BB179_3 Depth=1
	s_or_b32 exec_lo, exec_lo, s50
	s_barrier_signal -1
	s_barrier_wait -1
	s_and_saveexec_b32 s50, s22
	s_cbranch_execz .LBB179_262
; %bb.261:                              ;   in Loop: Header=BB179_3 Depth=1
	ds_load_b128 v[22:25], v2 offset:14256
	s_wait_dscnt 0x0
	v_mul_f64_e32 v[4:5], v[20:21], v[24:25]
	v_mul_f64_e32 v[210:211], v[18:19], v[24:25]
	s_delay_alu instid0(VALU_DEP_2) | instskip(NEXT) | instid1(VALU_DEP_2)
	v_fma_f64 v[208:209], v[18:19], v[22:23], -v[4:5]
	v_fmac_f64_e32 v[210:211], v[20:21], v[22:23]
	s_delay_alu instid0(VALU_DEP_2) | instskip(NEXT) | instid1(VALU_DEP_2)
	v_mov_b64_e32 v[18:19], v[208:209]
	v_mov_b64_e32 v[20:21], v[210:211]
	ds_store_b128 v178, v[208:211]
.LBB179_262:                            ;   in Loop: Header=BB179_3 Depth=1
	s_or_b32 exec_lo, exec_lo, s50
	s_wait_dscnt 0x0
	s_barrier_signal -1
	s_barrier_wait -1
	s_and_saveexec_b32 s50, s23
	;; [unrolled: 37-line block ×5, first 2 shown]
	s_cbranch_execz .LBB179_276
; %bb.275:                              ;   in Loop: Header=BB179_3 Depth=1
	ds_load_b128 v[22:25], v178
	ds_load_b128 v[208:211], v2 offset:15856
	s_wait_dscnt 0x0
	v_mul_f64_e32 v[4:5], v[24:25], v[210:211]
	s_delay_alu instid0(VALU_DEP_1) | instskip(SKIP_1) | instid1(VALU_DEP_2)
	v_fma_f64 v[4:5], v[22:23], v[208:209], -v[4:5]
	v_mul_f64_e32 v[22:23], v[22:23], v[210:211]
	v_add_f64_e32 v[18:19], v[18:19], v[4:5]
	s_delay_alu instid0(VALU_DEP_2) | instskip(NEXT) | instid1(VALU_DEP_1)
	v_fmac_f64_e32 v[22:23], v[24:25], v[208:209]
	v_add_f64_e32 v[20:21], v[20:21], v[22:23]
.LBB179_276:                            ;   in Loop: Header=BB179_3 Depth=1
	s_or_b32 exec_lo, exec_lo, s50
	s_barrier_signal -1
	s_barrier_wait -1
	s_and_saveexec_b32 s50, s29
	s_cbranch_execz .LBB179_278
; %bb.277:                              ;   in Loop: Header=BB179_3 Depth=1
	ds_load_b128 v[22:25], v2 offset:16368
	s_wait_dscnt 0x0
	v_mul_f64_e32 v[4:5], v[20:21], v[24:25]
	v_mul_f64_e32 v[210:211], v[18:19], v[24:25]
	s_delay_alu instid0(VALU_DEP_2) | instskip(NEXT) | instid1(VALU_DEP_2)
	v_fma_f64 v[208:209], v[18:19], v[22:23], -v[4:5]
	v_fmac_f64_e32 v[210:211], v[20:21], v[22:23]
	s_delay_alu instid0(VALU_DEP_2) | instskip(NEXT) | instid1(VALU_DEP_2)
	v_mov_b64_e32 v[18:19], v[208:209]
	v_mov_b64_e32 v[20:21], v[210:211]
	ds_store_b128 v178, v[208:211]
.LBB179_278:                            ;   in Loop: Header=BB179_3 Depth=1
	s_or_b32 exec_lo, exec_lo, s50
	s_wait_dscnt 0x0
	s_barrier_signal -1
	s_barrier_wait -1
	s_barrier_signal -1
	s_barrier_wait -1
	s_and_saveexec_b32 s50, s7
; %bb.279:                              ;   in Loop: Header=BB179_3 Depth=1
	s_delay_alu instid0(VALU_DEP_1) | instskip(NEXT) | instid1(VALU_DEP_4)
	v_xor_b32_e32 v21, 0x80000000, v21
	v_xor_b32_e32 v19, 0x80000000, v19
	ds_store_b128 v179, v[18:21] offset:256
; %bb.280:                              ;   in Loop: Header=BB179_3 Depth=1
	s_or_b32 exec_lo, exec_lo, s50
	s_wait_dscnt 0x0
	s_barrier_signal -1
	s_barrier_wait -1
	s_barrier_signal -1
	s_barrier_wait -1
	s_and_saveexec_b32 s50, s30
	s_cbranch_execz .LBB179_282
; %bb.281:                              ;   in Loop: Header=BB179_3 Depth=1
	ds_load_b128 v[18:21], v135
	s_wait_dscnt 0x0
	ds_store_b128 v117, v[18:21]
	ds_load_b128 v[18:21], v136
	s_wait_dscnt 0x0
	ds_store_b128 v118, v[18:21]
	;; [unrolled: 3-line block ×16, first 2 shown]
.LBB179_282:                            ;   in Loop: Header=BB179_3 Depth=1
	s_or_b32 exec_lo, exec_lo, s50
	s_wait_dscnt 0x0
	s_barrier_signal -1
	s_barrier_wait -1
	s_and_saveexec_b32 s50, s31
	s_cbranch_execz .LBB179_284
; %bb.283:                              ;   in Loop: Header=BB179_3 Depth=1
	ds_load_b128 v[18:21], v2 offset:8976
	ds_load_b128 v[22:25], v2 offset:8448
	s_wait_dscnt 0x0
	v_mul_f64_e32 v[4:5], v[18:19], v[24:25]
	v_mul_f64_e32 v[24:25], v[20:21], v[24:25]
	s_delay_alu instid0(VALU_DEP_2) | instskip(NEXT) | instid1(VALU_DEP_2)
	v_fmac_f64_e32 v[4:5], v[20:21], v[22:23]
	v_fma_f64 v[24:25], v[18:19], v[22:23], -v[24:25]
	ds_load_b128 v[18:21], v2 offset:8464
	s_wait_dscnt 0x0
	v_mul_f64_e32 v[44:45], v[4:5], v[20:21]
	v_mul_f64_e32 v[22:23], v[24:25], v[20:21]
	s_delay_alu instid0(VALU_DEP_2) | instskip(NEXT) | instid1(VALU_DEP_2)
	v_fma_f64 v[20:21], v[18:19], v[24:25], -v[44:45]
	v_fmac_f64_e32 v[22:23], v[18:19], v[4:5]
	ds_store_b128 v2, v[20:23] offset:8464
	ds_store_b128 v2, v[20:23] offset:8960
.LBB179_284:                            ;   in Loop: Header=BB179_3 Depth=1
	s_or_b32 exec_lo, exec_lo, s50
	v_mov_b64_e32 v[20:21], 0
	v_mov_b64_e32 v[18:19], 0
	s_wait_dscnt 0x0
	s_barrier_signal -1
	s_barrier_wait -1
	s_and_saveexec_b32 s50, s3
	s_cbranch_execz .LBB179_288
; %bb.285:                              ;   in Loop: Header=BB179_3 Depth=1
	ds_load_b128 v[18:21], v48 offset:8448
	ds_load_b128 v[22:25], v47 offset:8480
	s_wait_dscnt 0x0
	v_mul_f64_e32 v[4:5], v[20:21], v[24:25]
	v_mul_f64_e32 v[24:25], v[18:19], v[24:25]
	s_delay_alu instid0(VALU_DEP_2) | instskip(NEXT) | instid1(VALU_DEP_2)
	v_fma_f64 v[4:5], v[18:19], v[22:23], -v[4:5]
	v_fmac_f64_e32 v[24:25], v[20:21], v[22:23]
	s_delay_alu instid0(VALU_DEP_2) | instskip(NEXT) | instid1(VALU_DEP_2)
	v_add_f64_e32 v[18:19], 0, v[4:5]
	v_add_f64_e32 v[20:21], 0, v[24:25]
	s_and_saveexec_b32 s51, s12
	s_cbranch_execz .LBB179_287
; %bb.286:                              ;   in Loop: Header=BB179_3 Depth=1
	ds_load_b128 v[22:25], v2 offset:8464
	ds_load_b128 v[208:211], v49 offset:8992
	s_wait_dscnt 0x0
	v_mul_f64_e32 v[4:5], v[24:25], v[210:211]
	s_delay_alu instid0(VALU_DEP_1) | instskip(SKIP_1) | instid1(VALU_DEP_2)
	v_fma_f64 v[4:5], v[22:23], v[208:209], -v[4:5]
	v_mul_f64_e32 v[22:23], v[22:23], v[210:211]
	v_add_f64_e32 v[18:19], v[18:19], v[4:5]
	s_delay_alu instid0(VALU_DEP_2) | instskip(NEXT) | instid1(VALU_DEP_1)
	v_fmac_f64_e32 v[22:23], v[24:25], v[208:209]
	v_add_f64_e32 v[20:21], v[20:21], v[22:23]
.LBB179_287:                            ;   in Loop: Header=BB179_3 Depth=1
	s_or_b32 exec_lo, exec_lo, s51
	s_delay_alu instid0(VALU_DEP_2) | instskip(NEXT) | instid1(VALU_DEP_2)
	v_xor_b32_e32 v19, 0x80000000, v19
	v_xor_b32_e32 v21, 0x80000000, v21
.LBB179_288:                            ;   in Loop: Header=BB179_3 Depth=1
	s_or_b32 exec_lo, exec_lo, s50
	s_and_saveexec_b32 s50, s61
	s_cbranch_execz .LBB179_290
; %bb.289:                              ;   in Loop: Header=BB179_3 Depth=1
	ds_load_b128 v[22:25], v2 offset:9504
	s_wait_dscnt 0x0
	v_mul_f64_e32 v[4:5], v[20:21], v[24:25]
	v_mul_f64_e32 v[210:211], v[18:19], v[24:25]
	s_delay_alu instid0(VALU_DEP_2) | instskip(NEXT) | instid1(VALU_DEP_2)
	v_fma_f64 v[208:209], v[18:19], v[22:23], -v[4:5]
	v_fmac_f64_e32 v[210:211], v[20:21], v[22:23]
	s_delay_alu instid0(VALU_DEP_2) | instskip(NEXT) | instid1(VALU_DEP_2)
	v_mov_b64_e32 v[18:19], v[208:209]
	v_mov_b64_e32 v[20:21], v[210:211]
	ds_store_b128 v27, v[208:211]
.LBB179_290:                            ;   in Loop: Header=BB179_3 Depth=1
	s_or_b32 exec_lo, exec_lo, s50
	s_wait_dscnt 0x0
	s_barrier_signal -1
	s_barrier_wait -1
	s_and_saveexec_b32 s50, s62
	s_cbranch_execz .LBB179_292
; %bb.291:                              ;   in Loop: Header=BB179_3 Depth=1
	ds_load_b128 v[22:25], v27
	ds_load_b128 v[208:211], v2 offset:9520
	s_wait_dscnt 0x0
	v_mul_f64_e32 v[4:5], v[24:25], v[210:211]
	s_delay_alu instid0(VALU_DEP_1) | instskip(SKIP_1) | instid1(VALU_DEP_2)
	v_fma_f64 v[4:5], v[22:23], v[208:209], -v[4:5]
	v_mul_f64_e32 v[22:23], v[22:23], v[210:211]
	v_add_f64_e32 v[18:19], v[18:19], v[4:5]
	s_delay_alu instid0(VALU_DEP_2) | instskip(NEXT) | instid1(VALU_DEP_1)
	v_fmac_f64_e32 v[22:23], v[24:25], v[208:209]
	v_add_f64_e32 v[20:21], v[20:21], v[22:23]
.LBB179_292:                            ;   in Loop: Header=BB179_3 Depth=1
	s_or_b32 exec_lo, exec_lo, s50
	s_barrier_signal -1
	s_barrier_wait -1
	s_and_saveexec_b32 s50, s62
	s_cbranch_execz .LBB179_294
; %bb.293:                              ;   in Loop: Header=BB179_3 Depth=1
	ds_load_b128 v[22:25], v2 offset:10032
	s_wait_dscnt 0x0
	v_mul_f64_e32 v[4:5], v[20:21], v[24:25]
	v_mul_f64_e32 v[210:211], v[18:19], v[24:25]
	s_delay_alu instid0(VALU_DEP_2) | instskip(NEXT) | instid1(VALU_DEP_2)
	v_fma_f64 v[208:209], v[18:19], v[22:23], -v[4:5]
	v_fmac_f64_e32 v[210:211], v[20:21], v[22:23]
	s_delay_alu instid0(VALU_DEP_2) | instskip(NEXT) | instid1(VALU_DEP_2)
	v_mov_b64_e32 v[18:19], v[208:209]
	v_mov_b64_e32 v[20:21], v[210:211]
	ds_store_b128 v27, v[208:211]
.LBB179_294:                            ;   in Loop: Header=BB179_3 Depth=1
	s_or_b32 exec_lo, exec_lo, s50
	s_wait_dscnt 0x0
	s_barrier_signal -1
	s_barrier_wait -1
	s_barrier_signal -1
	s_barrier_wait -1
	s_and_saveexec_b32 s50, s3
; %bb.295:                              ;   in Loop: Header=BB179_3 Depth=1
	s_delay_alu instid0(VALU_DEP_3) | instskip(NEXT) | instid1(VALU_DEP_2)
	v_xor_b32_e32 v19, 0x80000000, v19
	v_xor_b32_e32 v21, 0x80000000, v21
	ds_store_b128 v47, v[18:21] offset:8480
; %bb.296:                              ;   in Loop: Header=BB179_3 Depth=1
	s_or_b32 exec_lo, exec_lo, s50
	s_wait_dscnt 0x0
	s_barrier_signal -1
	s_barrier_wait -1
	s_barrier_signal -1
	s_barrier_wait -1
	s_and_saveexec_b32 s50, s63
	s_cbranch_execz .LBB179_298
; %bb.297:                              ;   in Loop: Header=BB179_3 Depth=1
	ds_load_b128 v[18:21], v75
	s_wait_dscnt 0x0
	ds_store_b128 v180, v[18:21]
	ds_load_b128 v[18:21], v76
	s_wait_dscnt 0x0
	ds_store_b128 v181, v[18:21]
.LBB179_298:                            ;   in Loop: Header=BB179_3 Depth=1
	s_or_b32 exec_lo, exec_lo, s50
	s_wait_dscnt 0x0
	s_barrier_signal -1
	s_barrier_wait -1
	s_and_saveexec_b32 s50, s31
	s_cbranch_execz .LBB179_300
; %bb.299:                              ;   in Loop: Header=BB179_3 Depth=1
	ds_load_b128 v[18:21], v2 offset:10032
	ds_load_b128 v[22:25], v2 offset:9504
	s_wait_dscnt 0x0
	v_mul_f64_e32 v[4:5], v[18:19], v[24:25]
	v_mul_f64_e32 v[24:25], v[20:21], v[24:25]
	s_delay_alu instid0(VALU_DEP_2) | instskip(NEXT) | instid1(VALU_DEP_2)
	v_fmac_f64_e32 v[4:5], v[20:21], v[22:23]
	v_fma_f64 v[24:25], v[18:19], v[22:23], -v[24:25]
	ds_load_b128 v[18:21], v2 offset:9520
	s_wait_dscnt 0x0
	v_mul_f64_e32 v[44:45], v[4:5], v[20:21]
	v_mul_f64_e32 v[22:23], v[24:25], v[20:21]
	s_delay_alu instid0(VALU_DEP_2) | instskip(NEXT) | instid1(VALU_DEP_2)
	v_fma_f64 v[20:21], v[18:19], v[24:25], -v[44:45]
	v_fmac_f64_e32 v[22:23], v[18:19], v[4:5]
	ds_store_b128 v2, v[20:23] offset:9520
	ds_store_b128 v2, v[20:23] offset:10016
.LBB179_300:                            ;   in Loop: Header=BB179_3 Depth=1
	s_or_b32 exec_lo, exec_lo, s50
	v_mov_b64_e32 v[20:21], 0
	v_mov_b64_e32 v[18:19], 0
	s_wait_dscnt 0x0
	s_barrier_signal -1
	s_barrier_wait -1
	s_and_saveexec_b32 s50, s5
	s_cbranch_execz .LBB179_306
; %bb.301:                              ;   in Loop: Header=BB179_3 Depth=1
	ds_load_b128 v[18:21], v50 offset:8448
	ds_load_b128 v[22:25], v56 offset:8512
	s_wait_dscnt 0x0
	v_mul_f64_e32 v[4:5], v[20:21], v[24:25]
	v_mul_f64_e32 v[24:25], v[18:19], v[24:25]
	s_delay_alu instid0(VALU_DEP_2) | instskip(NEXT) | instid1(VALU_DEP_2)
	v_fma_f64 v[4:5], v[18:19], v[22:23], -v[4:5]
	v_fmac_f64_e32 v[24:25], v[20:21], v[22:23]
	s_delay_alu instid0(VALU_DEP_2) | instskip(NEXT) | instid1(VALU_DEP_2)
	v_add_f64_e32 v[18:19], 0, v[4:5]
	v_add_f64_e32 v[20:21], 0, v[24:25]
	s_and_saveexec_b32 s51, s13
	s_cbranch_execnz .LBB179_564
; %bb.302:                              ;   in Loop: Header=BB179_3 Depth=1
	s_or_b32 exec_lo, exec_lo, s51
	s_and_saveexec_b32 s51, s14
	s_cbranch_execnz .LBB179_565
.LBB179_303:                            ;   in Loop: Header=BB179_3 Depth=1
	s_or_b32 exec_lo, exec_lo, s51
	s_and_saveexec_b32 s51, s3
	s_cbranch_execz .LBB179_305
.LBB179_304:                            ;   in Loop: Header=BB179_3 Depth=1
	ds_load_b128 v[22:25], v2 offset:8496
	ds_load_b128 v[208:211], v54 offset:10048
	s_wait_dscnt 0x0
	v_mul_f64_e32 v[4:5], v[24:25], v[210:211]
	s_delay_alu instid0(VALU_DEP_1) | instskip(SKIP_1) | instid1(VALU_DEP_2)
	v_fma_f64 v[4:5], v[22:23], v[208:209], -v[4:5]
	v_mul_f64_e32 v[22:23], v[22:23], v[210:211]
	v_add_f64_e32 v[18:19], v[18:19], v[4:5]
	s_delay_alu instid0(VALU_DEP_2) | instskip(NEXT) | instid1(VALU_DEP_1)
	v_fmac_f64_e32 v[22:23], v[24:25], v[208:209]
	v_add_f64_e32 v[20:21], v[20:21], v[22:23]
.LBB179_305:                            ;   in Loop: Header=BB179_3 Depth=1
	s_or_b32 exec_lo, exec_lo, s51
	s_delay_alu instid0(VALU_DEP_2) | instskip(NEXT) | instid1(VALU_DEP_2)
	v_xor_b32_e32 v19, 0x80000000, v19
	v_xor_b32_e32 v21, 0x80000000, v21
.LBB179_306:                            ;   in Loop: Header=BB179_3 Depth=1
	s_or_b32 exec_lo, exec_lo, s50
	s_and_saveexec_b32 s50, s64
	s_cbranch_execz .LBB179_308
; %bb.307:                              ;   in Loop: Header=BB179_3 Depth=1
	ds_load_b128 v[22:25], v2 offset:10560
	s_wait_dscnt 0x0
	v_mul_f64_e32 v[4:5], v[20:21], v[24:25]
	v_mul_f64_e32 v[210:211], v[18:19], v[24:25]
	s_delay_alu instid0(VALU_DEP_2) | instskip(NEXT) | instid1(VALU_DEP_2)
	v_fma_f64 v[208:209], v[18:19], v[22:23], -v[4:5]
	v_fmac_f64_e32 v[210:211], v[20:21], v[22:23]
	s_delay_alu instid0(VALU_DEP_2) | instskip(NEXT) | instid1(VALU_DEP_2)
	v_mov_b64_e32 v[18:19], v[208:209]
	v_mov_b64_e32 v[20:21], v[210:211]
	ds_store_b128 v55, v[208:211]
.LBB179_308:                            ;   in Loop: Header=BB179_3 Depth=1
	s_or_b32 exec_lo, exec_lo, s50
	s_wait_dscnt 0x0
	s_barrier_signal -1
	s_barrier_wait -1
	s_and_saveexec_b32 s50, s65
	s_cbranch_execz .LBB179_310
; %bb.309:                              ;   in Loop: Header=BB179_3 Depth=1
	ds_load_b128 v[22:25], v55
	ds_load_b128 v[208:211], v53 offset:10560
	s_wait_dscnt 0x0
	v_mul_f64_e32 v[4:5], v[24:25], v[210:211]
	s_delay_alu instid0(VALU_DEP_1) | instskip(SKIP_1) | instid1(VALU_DEP_2)
	v_fma_f64 v[4:5], v[22:23], v[208:209], -v[4:5]
	v_mul_f64_e32 v[22:23], v[22:23], v[210:211]
	v_add_f64_e32 v[18:19], v[18:19], v[4:5]
	s_delay_alu instid0(VALU_DEP_2) | instskip(NEXT) | instid1(VALU_DEP_1)
	v_fmac_f64_e32 v[22:23], v[24:25], v[208:209]
	v_add_f64_e32 v[20:21], v[20:21], v[22:23]
.LBB179_310:                            ;   in Loop: Header=BB179_3 Depth=1
	s_or_b32 exec_lo, exec_lo, s50
	s_barrier_signal -1
	s_barrier_wait -1
	s_and_saveexec_b32 s50, s66
	s_cbranch_execz .LBB179_312
; %bb.311:                              ;   in Loop: Header=BB179_3 Depth=1
	ds_load_b128 v[22:25], v2 offset:11088
	s_wait_dscnt 0x0
	v_mul_f64_e32 v[4:5], v[20:21], v[24:25]
	v_mul_f64_e32 v[210:211], v[18:19], v[24:25]
	s_delay_alu instid0(VALU_DEP_2) | instskip(NEXT) | instid1(VALU_DEP_2)
	v_fma_f64 v[208:209], v[18:19], v[22:23], -v[4:5]
	v_fmac_f64_e32 v[210:211], v[20:21], v[22:23]
	s_delay_alu instid0(VALU_DEP_2) | instskip(NEXT) | instid1(VALU_DEP_2)
	v_mov_b64_e32 v[18:19], v[208:209]
	v_mov_b64_e32 v[20:21], v[210:211]
	ds_store_b128 v55, v[208:211]
.LBB179_312:                            ;   in Loop: Header=BB179_3 Depth=1
	s_or_b32 exec_lo, exec_lo, s50
	s_wait_dscnt 0x0
	s_barrier_signal -1
	s_barrier_wait -1
	s_and_saveexec_b32 s50, s67
	s_cbranch_execz .LBB179_314
; %bb.313:                              ;   in Loop: Header=BB179_3 Depth=1
	ds_load_b128 v[22:25], v55
	ds_load_b128 v[208:211], v53 offset:11072
	s_wait_dscnt 0x0
	v_mul_f64_e32 v[4:5], v[24:25], v[210:211]
	s_delay_alu instid0(VALU_DEP_1) | instskip(SKIP_1) | instid1(VALU_DEP_2)
	v_fma_f64 v[4:5], v[22:23], v[208:209], -v[4:5]
	v_mul_f64_e32 v[22:23], v[22:23], v[210:211]
	v_add_f64_e32 v[18:19], v[18:19], v[4:5]
	s_delay_alu instid0(VALU_DEP_2) | instskip(NEXT) | instid1(VALU_DEP_1)
	v_fmac_f64_e32 v[22:23], v[24:25], v[208:209]
	v_add_f64_e32 v[20:21], v[20:21], v[22:23]
.LBB179_314:                            ;   in Loop: Header=BB179_3 Depth=1
	s_or_b32 exec_lo, exec_lo, s50
	s_barrier_signal -1
	s_barrier_wait -1
	;; [unrolled: 37-line block ×3, first 2 shown]
	s_and_saveexec_b32 s50, s69
	s_cbranch_execz .LBB179_320
; %bb.319:                              ;   in Loop: Header=BB179_3 Depth=1
	ds_load_b128 v[22:25], v2 offset:12144
	s_wait_dscnt 0x0
	v_mul_f64_e32 v[4:5], v[20:21], v[24:25]
	v_mul_f64_e32 v[210:211], v[18:19], v[24:25]
	s_delay_alu instid0(VALU_DEP_2) | instskip(NEXT) | instid1(VALU_DEP_2)
	v_fma_f64 v[208:209], v[18:19], v[22:23], -v[4:5]
	v_fmac_f64_e32 v[210:211], v[20:21], v[22:23]
	s_delay_alu instid0(VALU_DEP_2) | instskip(NEXT) | instid1(VALU_DEP_2)
	v_mov_b64_e32 v[18:19], v[208:209]
	v_mov_b64_e32 v[20:21], v[210:211]
	ds_store_b128 v55, v[208:211]
.LBB179_320:                            ;   in Loop: Header=BB179_3 Depth=1
	s_or_b32 exec_lo, exec_lo, s50
	s_wait_dscnt 0x0
	s_barrier_signal -1
	s_barrier_wait -1
	s_barrier_signal -1
	s_barrier_wait -1
	s_and_saveexec_b32 s50, s5
; %bb.321:                              ;   in Loop: Header=BB179_3 Depth=1
	s_delay_alu instid0(VALU_DEP_1) | instskip(NEXT) | instid1(VALU_DEP_4)
	v_xor_b32_e32 v21, 0x80000000, v21
	v_xor_b32_e32 v19, 0x80000000, v19
	ds_store_b128 v56, v[18:21] offset:8512
; %bb.322:                              ;   in Loop: Header=BB179_3 Depth=1
	s_or_b32 exec_lo, exec_lo, s50
	s_wait_dscnt 0x0
	s_barrier_signal -1
	s_barrier_wait -1
	s_barrier_signal -1
	s_barrier_wait -1
	s_and_saveexec_b32 s50, s70
	s_cbranch_execz .LBB179_324
; %bb.323:                              ;   in Loop: Header=BB179_3 Depth=1
	ds_load_b128 v[18:21], v90
	s_wait_dscnt 0x0
	ds_store_b128 v182, v[18:21]
	ds_load_b128 v[18:21], v93
	s_wait_dscnt 0x0
	ds_store_b128 v185, v[18:21]
	ds_load_b128 v[18:21], v92
	s_wait_dscnt 0x0
	ds_store_b128 v184, v[18:21]
	ds_load_b128 v[18:21], v91
	s_wait_dscnt 0x0
	ds_store_b128 v183, v[18:21]
.LBB179_324:                            ;   in Loop: Header=BB179_3 Depth=1
	s_or_b32 exec_lo, exec_lo, s50
	s_wait_dscnt 0x0
	s_barrier_signal -1
	s_barrier_wait -1
	s_and_saveexec_b32 s50, s31
	s_cbranch_execz .LBB179_326
; %bb.325:                              ;   in Loop: Header=BB179_3 Depth=1
	ds_load_b128 v[18:21], v2 offset:11088
	ds_load_b128 v[22:25], v2 offset:10560
	s_wait_dscnt 0x0
	v_mul_f64_e32 v[4:5], v[18:19], v[24:25]
	v_mul_f64_e32 v[24:25], v[20:21], v[24:25]
	s_delay_alu instid0(VALU_DEP_2) | instskip(NEXT) | instid1(VALU_DEP_2)
	v_fmac_f64_e32 v[4:5], v[20:21], v[22:23]
	v_fma_f64 v[24:25], v[18:19], v[22:23], -v[24:25]
	ds_load_b128 v[18:21], v2 offset:10576
	s_wait_dscnt 0x0
	v_mul_f64_e32 v[44:45], v[4:5], v[20:21]
	v_mul_f64_e32 v[22:23], v[24:25], v[20:21]
	s_delay_alu instid0(VALU_DEP_2) | instskip(NEXT) | instid1(VALU_DEP_2)
	v_fma_f64 v[20:21], v[18:19], v[24:25], -v[44:45]
	v_fmac_f64_e32 v[22:23], v[18:19], v[4:5]
	ds_store_b128 v2, v[20:23] offset:10576
	ds_store_b128 v2, v[20:23] offset:11072
.LBB179_326:                            ;   in Loop: Header=BB179_3 Depth=1
	s_or_b32 exec_lo, exec_lo, s50
	v_mov_b64_e32 v[20:21], 0
	v_mov_b64_e32 v[18:19], 0
	s_wait_dscnt 0x0
	s_barrier_signal -1
	s_barrier_wait -1
	s_and_saveexec_b32 s50, s3
	s_cbranch_execz .LBB179_330
; %bb.327:                              ;   in Loop: Header=BB179_3 Depth=1
	ds_load_b128 v[18:21], v48 offset:10560
	ds_load_b128 v[22:25], v47 offset:10592
	s_wait_dscnt 0x0
	v_mul_f64_e32 v[4:5], v[20:21], v[24:25]
	v_mul_f64_e32 v[24:25], v[18:19], v[24:25]
	s_delay_alu instid0(VALU_DEP_2) | instskip(NEXT) | instid1(VALU_DEP_2)
	v_fma_f64 v[4:5], v[18:19], v[22:23], -v[4:5]
	v_fmac_f64_e32 v[24:25], v[20:21], v[22:23]
	s_delay_alu instid0(VALU_DEP_2) | instskip(NEXT) | instid1(VALU_DEP_2)
	v_add_f64_e32 v[18:19], 0, v[4:5]
	v_add_f64_e32 v[20:21], 0, v[24:25]
	s_and_saveexec_b32 s51, s12
	s_cbranch_execz .LBB179_329
; %bb.328:                              ;   in Loop: Header=BB179_3 Depth=1
	ds_load_b128 v[22:25], v2 offset:10576
	ds_load_b128 v[208:211], v87 offset:11104
	s_wait_dscnt 0x0
	v_mul_f64_e32 v[4:5], v[24:25], v[210:211]
	s_delay_alu instid0(VALU_DEP_1) | instskip(SKIP_1) | instid1(VALU_DEP_2)
	v_fma_f64 v[4:5], v[22:23], v[208:209], -v[4:5]
	v_mul_f64_e32 v[22:23], v[22:23], v[210:211]
	v_add_f64_e32 v[18:19], v[18:19], v[4:5]
	s_delay_alu instid0(VALU_DEP_2) | instskip(NEXT) | instid1(VALU_DEP_1)
	v_fmac_f64_e32 v[22:23], v[24:25], v[208:209]
	v_add_f64_e32 v[20:21], v[20:21], v[22:23]
.LBB179_329:                            ;   in Loop: Header=BB179_3 Depth=1
	s_or_b32 exec_lo, exec_lo, s51
	s_delay_alu instid0(VALU_DEP_2) | instskip(NEXT) | instid1(VALU_DEP_2)
	v_xor_b32_e32 v19, 0x80000000, v19
	v_xor_b32_e32 v21, 0x80000000, v21
.LBB179_330:                            ;   in Loop: Header=BB179_3 Depth=1
	s_or_b32 exec_lo, exec_lo, s50
	s_and_saveexec_b32 s50, s61
	s_cbranch_execz .LBB179_332
; %bb.331:                              ;   in Loop: Header=BB179_3 Depth=1
	ds_load_b128 v[22:25], v2 offset:11616
	s_wait_dscnt 0x0
	v_mul_f64_e32 v[4:5], v[20:21], v[24:25]
	v_mul_f64_e32 v[210:211], v[18:19], v[24:25]
	s_delay_alu instid0(VALU_DEP_2) | instskip(NEXT) | instid1(VALU_DEP_2)
	v_fma_f64 v[208:209], v[18:19], v[22:23], -v[4:5]
	v_fmac_f64_e32 v[210:211], v[20:21], v[22:23]
	s_delay_alu instid0(VALU_DEP_2) | instskip(NEXT) | instid1(VALU_DEP_2)
	v_mov_b64_e32 v[18:19], v[208:209]
	v_mov_b64_e32 v[20:21], v[210:211]
	ds_store_b128 v27, v[208:211]
.LBB179_332:                            ;   in Loop: Header=BB179_3 Depth=1
	s_or_b32 exec_lo, exec_lo, s50
	s_wait_dscnt 0x0
	s_barrier_signal -1
	s_barrier_wait -1
	s_and_saveexec_b32 s50, s62
	s_cbranch_execz .LBB179_334
; %bb.333:                              ;   in Loop: Header=BB179_3 Depth=1
	ds_load_b128 v[22:25], v27
	ds_load_b128 v[208:211], v2 offset:11632
	s_wait_dscnt 0x0
	v_mul_f64_e32 v[4:5], v[24:25], v[210:211]
	s_delay_alu instid0(VALU_DEP_1) | instskip(SKIP_1) | instid1(VALU_DEP_2)
	v_fma_f64 v[4:5], v[22:23], v[208:209], -v[4:5]
	v_mul_f64_e32 v[22:23], v[22:23], v[210:211]
	v_add_f64_e32 v[18:19], v[18:19], v[4:5]
	s_delay_alu instid0(VALU_DEP_2) | instskip(NEXT) | instid1(VALU_DEP_1)
	v_fmac_f64_e32 v[22:23], v[24:25], v[208:209]
	v_add_f64_e32 v[20:21], v[20:21], v[22:23]
.LBB179_334:                            ;   in Loop: Header=BB179_3 Depth=1
	s_or_b32 exec_lo, exec_lo, s50
	s_barrier_signal -1
	s_barrier_wait -1
	s_and_saveexec_b32 s50, s62
	s_cbranch_execz .LBB179_336
; %bb.335:                              ;   in Loop: Header=BB179_3 Depth=1
	ds_load_b128 v[22:25], v2 offset:12144
	s_wait_dscnt 0x0
	v_mul_f64_e32 v[4:5], v[20:21], v[24:25]
	v_mul_f64_e32 v[210:211], v[18:19], v[24:25]
	s_delay_alu instid0(VALU_DEP_2) | instskip(NEXT) | instid1(VALU_DEP_2)
	v_fma_f64 v[208:209], v[18:19], v[22:23], -v[4:5]
	v_fmac_f64_e32 v[210:211], v[20:21], v[22:23]
	s_delay_alu instid0(VALU_DEP_2) | instskip(NEXT) | instid1(VALU_DEP_2)
	v_mov_b64_e32 v[18:19], v[208:209]
	v_mov_b64_e32 v[20:21], v[210:211]
	ds_store_b128 v27, v[208:211]
.LBB179_336:                            ;   in Loop: Header=BB179_3 Depth=1
	s_or_b32 exec_lo, exec_lo, s50
	s_wait_dscnt 0x0
	s_barrier_signal -1
	s_barrier_wait -1
	s_barrier_signal -1
	s_barrier_wait -1
	s_and_saveexec_b32 s50, s3
; %bb.337:                              ;   in Loop: Header=BB179_3 Depth=1
	s_delay_alu instid0(VALU_DEP_3) | instskip(NEXT) | instid1(VALU_DEP_2)
	v_xor_b32_e32 v19, 0x80000000, v19
	v_xor_b32_e32 v21, 0x80000000, v21
	ds_store_b128 v47, v[18:21] offset:10592
; %bb.338:                              ;   in Loop: Header=BB179_3 Depth=1
	s_or_b32 exec_lo, exec_lo, s50
	s_wait_dscnt 0x0
	s_barrier_signal -1
	s_barrier_wait -1
	s_barrier_signal -1
	s_barrier_wait -1
	s_and_saveexec_b32 s50, s63
	s_cbranch_execz .LBB179_340
; %bb.339:                              ;   in Loop: Header=BB179_3 Depth=1
	ds_load_b128 v[18:21], v103
	s_wait_dscnt 0x0
	ds_store_b128 v186, v[18:21]
	ds_load_b128 v[18:21], v104
	s_wait_dscnt 0x0
	ds_store_b128 v187, v[18:21]
.LBB179_340:                            ;   in Loop: Header=BB179_3 Depth=1
	s_or_b32 exec_lo, exec_lo, s50
	s_wait_dscnt 0x0
	s_barrier_signal -1
	s_barrier_wait -1
	s_and_saveexec_b32 s50, s31
	s_cbranch_execz .LBB179_342
; %bb.341:                              ;   in Loop: Header=BB179_3 Depth=1
	ds_load_b128 v[18:21], v2 offset:12144
	ds_load_b128 v[22:25], v2 offset:11616
	s_wait_dscnt 0x0
	v_mul_f64_e32 v[4:5], v[18:19], v[24:25]
	v_mul_f64_e32 v[24:25], v[20:21], v[24:25]
	s_delay_alu instid0(VALU_DEP_2) | instskip(NEXT) | instid1(VALU_DEP_2)
	v_fmac_f64_e32 v[4:5], v[20:21], v[22:23]
	v_fma_f64 v[24:25], v[18:19], v[22:23], -v[24:25]
	ds_load_b128 v[18:21], v2 offset:11632
	s_wait_dscnt 0x0
	v_mul_f64_e32 v[44:45], v[4:5], v[20:21]
	v_mul_f64_e32 v[22:23], v[24:25], v[20:21]
	s_delay_alu instid0(VALU_DEP_2) | instskip(NEXT) | instid1(VALU_DEP_2)
	v_fma_f64 v[20:21], v[18:19], v[24:25], -v[44:45]
	v_fmac_f64_e32 v[22:23], v[18:19], v[4:5]
	ds_store_b128 v2, v[20:23] offset:11632
	ds_store_b128 v2, v[20:23] offset:12128
.LBB179_342:                            ;   in Loop: Header=BB179_3 Depth=1
	s_or_b32 exec_lo, exec_lo, s50
	v_mov_b64_e32 v[20:21], 0
	v_mov_b64_e32 v[18:19], 0
	s_wait_dscnt 0x0
	s_barrier_signal -1
	s_barrier_wait -1
	s_and_saveexec_b32 s50, s6
	s_cbranch_execz .LBB179_352
; %bb.343:                              ;   in Loop: Header=BB179_3 Depth=1
	ds_load_b128 v[18:21], v58 offset:8448
	ds_load_b128 v[22:25], v63 offset:8576
	s_wait_dscnt 0x0
	v_mul_f64_e32 v[4:5], v[20:21], v[24:25]
	v_mul_f64_e32 v[24:25], v[18:19], v[24:25]
	s_delay_alu instid0(VALU_DEP_2) | instskip(NEXT) | instid1(VALU_DEP_2)
	v_fma_f64 v[4:5], v[18:19], v[22:23], -v[4:5]
	v_fmac_f64_e32 v[24:25], v[20:21], v[22:23]
	s_delay_alu instid0(VALU_DEP_2) | instskip(NEXT) | instid1(VALU_DEP_2)
	v_add_f64_e32 v[18:19], 0, v[4:5]
	v_add_f64_e32 v[20:21], 0, v[24:25]
	s_and_saveexec_b32 s51, s15
	s_cbranch_execnz .LBB179_566
; %bb.344:                              ;   in Loop: Header=BB179_3 Depth=1
	s_or_b32 exec_lo, exec_lo, s51
	s_and_saveexec_b32 s51, s16
	s_cbranch_execnz .LBB179_567
.LBB179_345:                            ;   in Loop: Header=BB179_3 Depth=1
	s_or_b32 exec_lo, exec_lo, s51
	s_and_saveexec_b32 s51, s17
	s_cbranch_execnz .LBB179_568
.LBB179_346:                            ;   in Loop: Header=BB179_3 Depth=1
	s_or_b32 exec_lo, exec_lo, s51
	s_and_saveexec_b32 s51, s18
	s_cbranch_execnz .LBB179_569
.LBB179_347:                            ;   in Loop: Header=BB179_3 Depth=1
	s_or_b32 exec_lo, exec_lo, s51
	s_and_saveexec_b32 s51, s19
	s_cbranch_execnz .LBB179_570
.LBB179_348:                            ;   in Loop: Header=BB179_3 Depth=1
	s_or_b32 exec_lo, exec_lo, s51
	s_and_saveexec_b32 s51, s5
	s_cbranch_execnz .LBB179_571
.LBB179_349:                            ;   in Loop: Header=BB179_3 Depth=1
	s_or_b32 exec_lo, exec_lo, s51
	s_and_saveexec_b32 s51, s14
	s_cbranch_execz .LBB179_351
.LBB179_350:                            ;   in Loop: Header=BB179_3 Depth=1
	ds_load_b128 v[22:25], v2 offset:8560
	ds_load_b128 v[208:211], v49 offset:12160
	s_wait_dscnt 0x0
	v_mul_f64_e32 v[4:5], v[24:25], v[210:211]
	s_delay_alu instid0(VALU_DEP_1) | instskip(SKIP_1) | instid1(VALU_DEP_2)
	v_fma_f64 v[4:5], v[22:23], v[208:209], -v[4:5]
	v_mul_f64_e32 v[22:23], v[22:23], v[210:211]
	v_add_f64_e32 v[18:19], v[18:19], v[4:5]
	s_delay_alu instid0(VALU_DEP_2) | instskip(NEXT) | instid1(VALU_DEP_1)
	v_fmac_f64_e32 v[22:23], v[24:25], v[208:209]
	v_add_f64_e32 v[20:21], v[20:21], v[22:23]
.LBB179_351:                            ;   in Loop: Header=BB179_3 Depth=1
	s_or_b32 exec_lo, exec_lo, s51
	s_delay_alu instid0(VALU_DEP_2) | instskip(NEXT) | instid1(VALU_DEP_2)
	v_xor_b32_e32 v19, 0x80000000, v19
	v_xor_b32_e32 v21, 0x80000000, v21
.LBB179_352:                            ;   in Loop: Header=BB179_3 Depth=1
	s_or_b32 exec_lo, exec_lo, s50
	s_and_saveexec_b32 s50, s71
	s_cbranch_execz .LBB179_354
; %bb.353:                              ;   in Loop: Header=BB179_3 Depth=1
	ds_load_b128 v[22:25], v2 offset:12672
	s_wait_dscnt 0x0
	v_mul_f64_e32 v[4:5], v[20:21], v[24:25]
	v_mul_f64_e32 v[210:211], v[18:19], v[24:25]
	s_delay_alu instid0(VALU_DEP_2) | instskip(NEXT) | instid1(VALU_DEP_2)
	v_fma_f64 v[208:209], v[18:19], v[22:23], -v[4:5]
	v_fmac_f64_e32 v[210:211], v[20:21], v[22:23]
	s_delay_alu instid0(VALU_DEP_2) | instskip(NEXT) | instid1(VALU_DEP_2)
	v_mov_b64_e32 v[18:19], v[208:209]
	v_mov_b64_e32 v[20:21], v[210:211]
	ds_store_b128 v62, v[208:211]
.LBB179_354:                            ;   in Loop: Header=BB179_3 Depth=1
	s_or_b32 exec_lo, exec_lo, s50
	s_wait_dscnt 0x0
	s_barrier_signal -1
	s_barrier_wait -1
	s_and_saveexec_b32 s50, s72
	s_cbranch_execz .LBB179_356
; %bb.355:                              ;   in Loop: Header=BB179_3 Depth=1
	ds_load_b128 v[22:25], v62
	ds_load_b128 v[208:211], v60 offset:12672
	s_wait_dscnt 0x0
	v_mul_f64_e32 v[4:5], v[24:25], v[210:211]
	s_delay_alu instid0(VALU_DEP_1) | instskip(SKIP_1) | instid1(VALU_DEP_2)
	v_fma_f64 v[4:5], v[22:23], v[208:209], -v[4:5]
	v_mul_f64_e32 v[22:23], v[22:23], v[210:211]
	v_add_f64_e32 v[18:19], v[18:19], v[4:5]
	s_delay_alu instid0(VALU_DEP_2) | instskip(NEXT) | instid1(VALU_DEP_1)
	v_fmac_f64_e32 v[22:23], v[24:25], v[208:209]
	v_add_f64_e32 v[20:21], v[20:21], v[22:23]
.LBB179_356:                            ;   in Loop: Header=BB179_3 Depth=1
	s_or_b32 exec_lo, exec_lo, s50
	s_barrier_signal -1
	s_barrier_wait -1
	s_and_saveexec_b32 s50, s73
	s_cbranch_execz .LBB179_358
; %bb.357:                              ;   in Loop: Header=BB179_3 Depth=1
	ds_load_b128 v[22:25], v2 offset:13200
	s_wait_dscnt 0x0
	v_mul_f64_e32 v[4:5], v[20:21], v[24:25]
	v_mul_f64_e32 v[210:211], v[18:19], v[24:25]
	s_delay_alu instid0(VALU_DEP_2) | instskip(NEXT) | instid1(VALU_DEP_2)
	v_fma_f64 v[208:209], v[18:19], v[22:23], -v[4:5]
	v_fmac_f64_e32 v[210:211], v[20:21], v[22:23]
	s_delay_alu instid0(VALU_DEP_2) | instskip(NEXT) | instid1(VALU_DEP_2)
	v_mov_b64_e32 v[18:19], v[208:209]
	v_mov_b64_e32 v[20:21], v[210:211]
	ds_store_b128 v62, v[208:211]
.LBB179_358:                            ;   in Loop: Header=BB179_3 Depth=1
	s_or_b32 exec_lo, exec_lo, s50
	s_wait_dscnt 0x0
	s_barrier_signal -1
	s_barrier_wait -1
	s_and_saveexec_b32 s50, s74
	s_cbranch_execz .LBB179_360
; %bb.359:                              ;   in Loop: Header=BB179_3 Depth=1
	ds_load_b128 v[22:25], v62
	ds_load_b128 v[208:211], v60 offset:13184
	s_wait_dscnt 0x0
	v_mul_f64_e32 v[4:5], v[24:25], v[210:211]
	s_delay_alu instid0(VALU_DEP_1) | instskip(SKIP_1) | instid1(VALU_DEP_2)
	v_fma_f64 v[4:5], v[22:23], v[208:209], -v[4:5]
	v_mul_f64_e32 v[22:23], v[22:23], v[210:211]
	v_add_f64_e32 v[18:19], v[18:19], v[4:5]
	s_delay_alu instid0(VALU_DEP_2) | instskip(NEXT) | instid1(VALU_DEP_1)
	v_fmac_f64_e32 v[22:23], v[24:25], v[208:209]
	v_add_f64_e32 v[20:21], v[20:21], v[22:23]
.LBB179_360:                            ;   in Loop: Header=BB179_3 Depth=1
	s_or_b32 exec_lo, exec_lo, s50
	s_barrier_signal -1
	s_barrier_wait -1
	;; [unrolled: 37-line block ×7, first 2 shown]
	s_and_saveexec_b32 s50, s84
	s_cbranch_execz .LBB179_382
; %bb.381:                              ;   in Loop: Header=BB179_3 Depth=1
	ds_load_b128 v[22:25], v2 offset:16368
	s_wait_dscnt 0x0
	v_mul_f64_e32 v[4:5], v[20:21], v[24:25]
	v_mul_f64_e32 v[210:211], v[18:19], v[24:25]
	s_delay_alu instid0(VALU_DEP_2) | instskip(NEXT) | instid1(VALU_DEP_2)
	v_fma_f64 v[208:209], v[18:19], v[22:23], -v[4:5]
	v_fmac_f64_e32 v[210:211], v[20:21], v[22:23]
	s_delay_alu instid0(VALU_DEP_2) | instskip(NEXT) | instid1(VALU_DEP_2)
	v_mov_b64_e32 v[18:19], v[208:209]
	v_mov_b64_e32 v[20:21], v[210:211]
	ds_store_b128 v62, v[208:211]
.LBB179_382:                            ;   in Loop: Header=BB179_3 Depth=1
	s_or_b32 exec_lo, exec_lo, s50
	s_wait_dscnt 0x0
	s_barrier_signal -1
	s_barrier_wait -1
	s_barrier_signal -1
	s_barrier_wait -1
	s_and_saveexec_b32 s50, s6
; %bb.383:                              ;   in Loop: Header=BB179_3 Depth=1
	s_delay_alu instid0(VALU_DEP_3) | instskip(NEXT) | instid1(VALU_DEP_2)
	v_xor_b32_e32 v19, 0x80000000, v19
	v_xor_b32_e32 v21, 0x80000000, v21
	ds_store_b128 v63, v[18:21] offset:8576
; %bb.384:                              ;   in Loop: Header=BB179_3 Depth=1
	s_or_b32 exec_lo, exec_lo, s50
	s_wait_dscnt 0x0
	s_barrier_signal -1
	s_barrier_wait -1
	s_barrier_signal -1
	s_barrier_wait -1
	s_and_saveexec_b32 s50, s85
	s_cbranch_execz .LBB179_386
; %bb.385:                              ;   in Loop: Header=BB179_3 Depth=1
	ds_load_b128 v[18:21], v77
	s_wait_dscnt 0x0
	ds_store_b128 v188, v[18:21]
	ds_load_b128 v[18:21], v78
	s_wait_dscnt 0x0
	ds_store_b128 v189, v[18:21]
	;; [unrolled: 3-line block ×8, first 2 shown]
.LBB179_386:                            ;   in Loop: Header=BB179_3 Depth=1
	s_or_b32 exec_lo, exec_lo, s50
	s_wait_dscnt 0x0
	s_barrier_signal -1
	s_barrier_wait -1
	s_and_saveexec_b32 s50, s31
	s_cbranch_execz .LBB179_388
; %bb.387:                              ;   in Loop: Header=BB179_3 Depth=1
	ds_load_b128 v[18:21], v2 offset:13200
	ds_load_b128 v[22:25], v2 offset:12672
	s_wait_dscnt 0x0
	v_mul_f64_e32 v[4:5], v[18:19], v[24:25]
	v_mul_f64_e32 v[24:25], v[20:21], v[24:25]
	s_delay_alu instid0(VALU_DEP_2) | instskip(NEXT) | instid1(VALU_DEP_2)
	v_fmac_f64_e32 v[4:5], v[20:21], v[22:23]
	v_fma_f64 v[24:25], v[18:19], v[22:23], -v[24:25]
	ds_load_b128 v[18:21], v2 offset:12688
	s_wait_dscnt 0x0
	v_mul_f64_e32 v[44:45], v[4:5], v[20:21]
	v_mul_f64_e32 v[22:23], v[24:25], v[20:21]
	s_delay_alu instid0(VALU_DEP_2) | instskip(NEXT) | instid1(VALU_DEP_2)
	v_fma_f64 v[20:21], v[18:19], v[24:25], -v[44:45]
	v_fmac_f64_e32 v[22:23], v[18:19], v[4:5]
	ds_store_b128 v2, v[20:23] offset:12688
	ds_store_b128 v2, v[20:23] offset:13184
.LBB179_388:                            ;   in Loop: Header=BB179_3 Depth=1
	s_or_b32 exec_lo, exec_lo, s50
	v_mov_b64_e32 v[20:21], 0
	v_mov_b64_e32 v[18:19], 0
	s_wait_dscnt 0x0
	s_barrier_signal -1
	s_barrier_wait -1
	s_and_saveexec_b32 s50, s3
	s_cbranch_execz .LBB179_392
; %bb.389:                              ;   in Loop: Header=BB179_3 Depth=1
	ds_load_b128 v[18:21], v48 offset:12672
	ds_load_b128 v[22:25], v47 offset:12704
	s_wait_dscnt 0x0
	v_mul_f64_e32 v[4:5], v[20:21], v[24:25]
	v_mul_f64_e32 v[24:25], v[18:19], v[24:25]
	s_delay_alu instid0(VALU_DEP_2) | instskip(NEXT) | instid1(VALU_DEP_2)
	v_fma_f64 v[4:5], v[18:19], v[22:23], -v[4:5]
	v_fmac_f64_e32 v[24:25], v[20:21], v[22:23]
	s_delay_alu instid0(VALU_DEP_2) | instskip(NEXT) | instid1(VALU_DEP_2)
	v_add_f64_e32 v[18:19], 0, v[4:5]
	v_add_f64_e32 v[20:21], 0, v[24:25]
	s_and_saveexec_b32 s51, s12
	s_cbranch_execz .LBB179_391
; %bb.390:                              ;   in Loop: Header=BB179_3 Depth=1
	ds_load_b128 v[22:25], v2 offset:12688
	ds_load_b128 v[208:211], v54 offset:13216
	s_wait_dscnt 0x0
	v_mul_f64_e32 v[4:5], v[24:25], v[210:211]
	s_delay_alu instid0(VALU_DEP_1) | instskip(SKIP_1) | instid1(VALU_DEP_2)
	v_fma_f64 v[4:5], v[22:23], v[208:209], -v[4:5]
	v_mul_f64_e32 v[22:23], v[22:23], v[210:211]
	v_add_f64_e32 v[18:19], v[18:19], v[4:5]
	s_delay_alu instid0(VALU_DEP_2) | instskip(NEXT) | instid1(VALU_DEP_1)
	v_fmac_f64_e32 v[22:23], v[24:25], v[208:209]
	v_add_f64_e32 v[20:21], v[20:21], v[22:23]
.LBB179_391:                            ;   in Loop: Header=BB179_3 Depth=1
	s_or_b32 exec_lo, exec_lo, s51
	s_delay_alu instid0(VALU_DEP_2) | instskip(NEXT) | instid1(VALU_DEP_2)
	v_xor_b32_e32 v19, 0x80000000, v19
	v_xor_b32_e32 v21, 0x80000000, v21
.LBB179_392:                            ;   in Loop: Header=BB179_3 Depth=1
	s_or_b32 exec_lo, exec_lo, s50
	s_and_saveexec_b32 s50, s61
	s_cbranch_execz .LBB179_394
; %bb.393:                              ;   in Loop: Header=BB179_3 Depth=1
	ds_load_b128 v[22:25], v2 offset:13728
	s_wait_dscnt 0x0
	v_mul_f64_e32 v[4:5], v[20:21], v[24:25]
	v_mul_f64_e32 v[210:211], v[18:19], v[24:25]
	s_delay_alu instid0(VALU_DEP_2) | instskip(NEXT) | instid1(VALU_DEP_2)
	v_fma_f64 v[208:209], v[18:19], v[22:23], -v[4:5]
	v_fmac_f64_e32 v[210:211], v[20:21], v[22:23]
	s_delay_alu instid0(VALU_DEP_2) | instskip(NEXT) | instid1(VALU_DEP_2)
	v_mov_b64_e32 v[18:19], v[208:209]
	v_mov_b64_e32 v[20:21], v[210:211]
	ds_store_b128 v27, v[208:211]
.LBB179_394:                            ;   in Loop: Header=BB179_3 Depth=1
	s_or_b32 exec_lo, exec_lo, s50
	s_wait_dscnt 0x0
	s_barrier_signal -1
	s_barrier_wait -1
	s_and_saveexec_b32 s50, s62
	s_cbranch_execz .LBB179_396
; %bb.395:                              ;   in Loop: Header=BB179_3 Depth=1
	ds_load_b128 v[22:25], v27
	ds_load_b128 v[208:211], v2 offset:13744
	s_wait_dscnt 0x0
	v_mul_f64_e32 v[4:5], v[24:25], v[210:211]
	s_delay_alu instid0(VALU_DEP_1) | instskip(SKIP_1) | instid1(VALU_DEP_2)
	v_fma_f64 v[4:5], v[22:23], v[208:209], -v[4:5]
	v_mul_f64_e32 v[22:23], v[22:23], v[210:211]
	v_add_f64_e32 v[18:19], v[18:19], v[4:5]
	s_delay_alu instid0(VALU_DEP_2) | instskip(NEXT) | instid1(VALU_DEP_1)
	v_fmac_f64_e32 v[22:23], v[24:25], v[208:209]
	v_add_f64_e32 v[20:21], v[20:21], v[22:23]
.LBB179_396:                            ;   in Loop: Header=BB179_3 Depth=1
	s_or_b32 exec_lo, exec_lo, s50
	s_barrier_signal -1
	s_barrier_wait -1
	s_and_saveexec_b32 s50, s62
	s_cbranch_execz .LBB179_398
; %bb.397:                              ;   in Loop: Header=BB179_3 Depth=1
	ds_load_b128 v[22:25], v2 offset:14256
	s_wait_dscnt 0x0
	v_mul_f64_e32 v[4:5], v[20:21], v[24:25]
	v_mul_f64_e32 v[210:211], v[18:19], v[24:25]
	s_delay_alu instid0(VALU_DEP_2) | instskip(NEXT) | instid1(VALU_DEP_2)
	v_fma_f64 v[208:209], v[18:19], v[22:23], -v[4:5]
	v_fmac_f64_e32 v[210:211], v[20:21], v[22:23]
	s_delay_alu instid0(VALU_DEP_2) | instskip(NEXT) | instid1(VALU_DEP_2)
	v_mov_b64_e32 v[18:19], v[208:209]
	v_mov_b64_e32 v[20:21], v[210:211]
	ds_store_b128 v27, v[208:211]
.LBB179_398:                            ;   in Loop: Header=BB179_3 Depth=1
	s_or_b32 exec_lo, exec_lo, s50
	s_wait_dscnt 0x0
	s_barrier_signal -1
	s_barrier_wait -1
	s_barrier_signal -1
	s_barrier_wait -1
	s_and_saveexec_b32 s50, s3
; %bb.399:                              ;   in Loop: Header=BB179_3 Depth=1
	s_delay_alu instid0(VALU_DEP_3) | instskip(NEXT) | instid1(VALU_DEP_2)
	v_xor_b32_e32 v19, 0x80000000, v19
	v_xor_b32_e32 v21, 0x80000000, v21
	ds_store_b128 v47, v[18:21] offset:12704
; %bb.400:                              ;   in Loop: Header=BB179_3 Depth=1
	s_or_b32 exec_lo, exec_lo, s50
	s_wait_dscnt 0x0
	s_barrier_signal -1
	s_barrier_wait -1
	s_barrier_signal -1
	s_barrier_wait -1
	s_and_saveexec_b32 s50, s63
	s_cbranch_execz .LBB179_402
; %bb.401:                              ;   in Loop: Header=BB179_3 Depth=1
	ds_load_b128 v[18:21], v94
	s_wait_dscnt 0x0
	ds_store_b128 v196, v[18:21]
	ds_load_b128 v[18:21], v95
	s_wait_dscnt 0x0
	ds_store_b128 v197, v[18:21]
.LBB179_402:                            ;   in Loop: Header=BB179_3 Depth=1
	s_or_b32 exec_lo, exec_lo, s50
	s_wait_dscnt 0x0
	s_barrier_signal -1
	s_barrier_wait -1
	s_and_saveexec_b32 s50, s31
	s_cbranch_execz .LBB179_404
; %bb.403:                              ;   in Loop: Header=BB179_3 Depth=1
	ds_load_b128 v[18:21], v2 offset:14256
	ds_load_b128 v[22:25], v2 offset:13728
	s_wait_dscnt 0x0
	v_mul_f64_e32 v[4:5], v[18:19], v[24:25]
	v_mul_f64_e32 v[24:25], v[20:21], v[24:25]
	s_delay_alu instid0(VALU_DEP_2) | instskip(NEXT) | instid1(VALU_DEP_2)
	v_fmac_f64_e32 v[4:5], v[20:21], v[22:23]
	v_fma_f64 v[24:25], v[18:19], v[22:23], -v[24:25]
	ds_load_b128 v[18:21], v2 offset:13744
	s_wait_dscnt 0x0
	v_mul_f64_e32 v[44:45], v[4:5], v[20:21]
	v_mul_f64_e32 v[22:23], v[24:25], v[20:21]
	s_delay_alu instid0(VALU_DEP_2) | instskip(NEXT) | instid1(VALU_DEP_2)
	v_fma_f64 v[20:21], v[18:19], v[24:25], -v[44:45]
	v_fmac_f64_e32 v[22:23], v[18:19], v[4:5]
	ds_store_b128 v2, v[20:23] offset:13744
	ds_store_b128 v2, v[20:23] offset:14240
.LBB179_404:                            ;   in Loop: Header=BB179_3 Depth=1
	s_or_b32 exec_lo, exec_lo, s50
	v_mov_b64_e32 v[20:21], 0
	v_mov_b64_e32 v[18:19], 0
	s_wait_dscnt 0x0
	s_barrier_signal -1
	s_barrier_wait -1
	s_and_saveexec_b32 s50, s5
	s_cbranch_execz .LBB179_410
; %bb.405:                              ;   in Loop: Header=BB179_3 Depth=1
	ds_load_b128 v[18:21], v50 offset:12672
	ds_load_b128 v[22:25], v56 offset:12736
	s_wait_dscnt 0x0
	v_mul_f64_e32 v[4:5], v[20:21], v[24:25]
	v_mul_f64_e32 v[24:25], v[18:19], v[24:25]
	s_delay_alu instid0(VALU_DEP_2) | instskip(NEXT) | instid1(VALU_DEP_2)
	v_fma_f64 v[4:5], v[18:19], v[22:23], -v[4:5]
	v_fmac_f64_e32 v[24:25], v[20:21], v[22:23]
	s_delay_alu instid0(VALU_DEP_2) | instskip(NEXT) | instid1(VALU_DEP_2)
	v_add_f64_e32 v[18:19], 0, v[4:5]
	v_add_f64_e32 v[20:21], 0, v[24:25]
	s_and_saveexec_b32 s51, s13
	s_cbranch_execnz .LBB179_572
; %bb.406:                              ;   in Loop: Header=BB179_3 Depth=1
	s_or_b32 exec_lo, exec_lo, s51
	s_and_saveexec_b32 s51, s14
	s_cbranch_execnz .LBB179_573
.LBB179_407:                            ;   in Loop: Header=BB179_3 Depth=1
	s_or_b32 exec_lo, exec_lo, s51
	s_and_saveexec_b32 s51, s3
	s_cbranch_execz .LBB179_409
.LBB179_408:                            ;   in Loop: Header=BB179_3 Depth=1
	ds_load_b128 v[22:25], v2 offset:12720
	ds_load_b128 v[208:211], v87 offset:14272
	s_wait_dscnt 0x0
	v_mul_f64_e32 v[4:5], v[24:25], v[210:211]
	s_delay_alu instid0(VALU_DEP_1) | instskip(SKIP_1) | instid1(VALU_DEP_2)
	v_fma_f64 v[4:5], v[22:23], v[208:209], -v[4:5]
	v_mul_f64_e32 v[22:23], v[22:23], v[210:211]
	v_add_f64_e32 v[18:19], v[18:19], v[4:5]
	s_delay_alu instid0(VALU_DEP_2) | instskip(NEXT) | instid1(VALU_DEP_1)
	v_fmac_f64_e32 v[22:23], v[24:25], v[208:209]
	v_add_f64_e32 v[20:21], v[20:21], v[22:23]
.LBB179_409:                            ;   in Loop: Header=BB179_3 Depth=1
	s_or_b32 exec_lo, exec_lo, s51
	s_delay_alu instid0(VALU_DEP_2) | instskip(NEXT) | instid1(VALU_DEP_2)
	v_xor_b32_e32 v19, 0x80000000, v19
	v_xor_b32_e32 v21, 0x80000000, v21
.LBB179_410:                            ;   in Loop: Header=BB179_3 Depth=1
	s_or_b32 exec_lo, exec_lo, s50
	s_and_saveexec_b32 s50, s64
	s_cbranch_execz .LBB179_412
; %bb.411:                              ;   in Loop: Header=BB179_3 Depth=1
	ds_load_b128 v[22:25], v2 offset:14784
	s_wait_dscnt 0x0
	v_mul_f64_e32 v[4:5], v[20:21], v[24:25]
	v_mul_f64_e32 v[210:211], v[18:19], v[24:25]
	s_delay_alu instid0(VALU_DEP_2) | instskip(NEXT) | instid1(VALU_DEP_2)
	v_fma_f64 v[208:209], v[18:19], v[22:23], -v[4:5]
	v_fmac_f64_e32 v[210:211], v[20:21], v[22:23]
	s_delay_alu instid0(VALU_DEP_2) | instskip(NEXT) | instid1(VALU_DEP_2)
	v_mov_b64_e32 v[18:19], v[208:209]
	v_mov_b64_e32 v[20:21], v[210:211]
	ds_store_b128 v55, v[208:211]
.LBB179_412:                            ;   in Loop: Header=BB179_3 Depth=1
	s_or_b32 exec_lo, exec_lo, s50
	s_wait_dscnt 0x0
	s_barrier_signal -1
	s_barrier_wait -1
	s_and_saveexec_b32 s50, s65
	s_cbranch_execz .LBB179_414
; %bb.413:                              ;   in Loop: Header=BB179_3 Depth=1
	ds_load_b128 v[22:25], v55
	ds_load_b128 v[208:211], v53 offset:14784
	s_wait_dscnt 0x0
	v_mul_f64_e32 v[4:5], v[24:25], v[210:211]
	s_delay_alu instid0(VALU_DEP_1) | instskip(SKIP_1) | instid1(VALU_DEP_2)
	v_fma_f64 v[4:5], v[22:23], v[208:209], -v[4:5]
	v_mul_f64_e32 v[22:23], v[22:23], v[210:211]
	v_add_f64_e32 v[18:19], v[18:19], v[4:5]
	s_delay_alu instid0(VALU_DEP_2) | instskip(NEXT) | instid1(VALU_DEP_1)
	v_fmac_f64_e32 v[22:23], v[24:25], v[208:209]
	v_add_f64_e32 v[20:21], v[20:21], v[22:23]
.LBB179_414:                            ;   in Loop: Header=BB179_3 Depth=1
	s_or_b32 exec_lo, exec_lo, s50
	s_barrier_signal -1
	s_barrier_wait -1
	s_and_saveexec_b32 s50, s66
	s_cbranch_execz .LBB179_416
; %bb.415:                              ;   in Loop: Header=BB179_3 Depth=1
	ds_load_b128 v[22:25], v2 offset:15312
	s_wait_dscnt 0x0
	v_mul_f64_e32 v[4:5], v[20:21], v[24:25]
	v_mul_f64_e32 v[210:211], v[18:19], v[24:25]
	s_delay_alu instid0(VALU_DEP_2) | instskip(NEXT) | instid1(VALU_DEP_2)
	v_fma_f64 v[208:209], v[18:19], v[22:23], -v[4:5]
	v_fmac_f64_e32 v[210:211], v[20:21], v[22:23]
	s_delay_alu instid0(VALU_DEP_2) | instskip(NEXT) | instid1(VALU_DEP_2)
	v_mov_b64_e32 v[18:19], v[208:209]
	v_mov_b64_e32 v[20:21], v[210:211]
	ds_store_b128 v55, v[208:211]
.LBB179_416:                            ;   in Loop: Header=BB179_3 Depth=1
	s_or_b32 exec_lo, exec_lo, s50
	s_wait_dscnt 0x0
	s_barrier_signal -1
	s_barrier_wait -1
	s_and_saveexec_b32 s50, s67
	s_cbranch_execz .LBB179_418
; %bb.417:                              ;   in Loop: Header=BB179_3 Depth=1
	ds_load_b128 v[22:25], v55
	ds_load_b128 v[208:211], v53 offset:15296
	s_wait_dscnt 0x0
	v_mul_f64_e32 v[4:5], v[24:25], v[210:211]
	s_delay_alu instid0(VALU_DEP_1) | instskip(SKIP_1) | instid1(VALU_DEP_2)
	v_fma_f64 v[4:5], v[22:23], v[208:209], -v[4:5]
	v_mul_f64_e32 v[22:23], v[22:23], v[210:211]
	v_add_f64_e32 v[18:19], v[18:19], v[4:5]
	s_delay_alu instid0(VALU_DEP_2) | instskip(NEXT) | instid1(VALU_DEP_1)
	v_fmac_f64_e32 v[22:23], v[24:25], v[208:209]
	v_add_f64_e32 v[20:21], v[20:21], v[22:23]
.LBB179_418:                            ;   in Loop: Header=BB179_3 Depth=1
	s_or_b32 exec_lo, exec_lo, s50
	s_barrier_signal -1
	s_barrier_wait -1
	;; [unrolled: 37-line block ×3, first 2 shown]
	s_and_saveexec_b32 s50, s69
	s_cbranch_execz .LBB179_424
; %bb.423:                              ;   in Loop: Header=BB179_3 Depth=1
	ds_load_b128 v[22:25], v2 offset:16368
	s_wait_dscnt 0x0
	v_mul_f64_e32 v[4:5], v[20:21], v[24:25]
	v_mul_f64_e32 v[210:211], v[18:19], v[24:25]
	s_delay_alu instid0(VALU_DEP_2) | instskip(NEXT) | instid1(VALU_DEP_2)
	v_fma_f64 v[208:209], v[18:19], v[22:23], -v[4:5]
	v_fmac_f64_e32 v[210:211], v[20:21], v[22:23]
	s_delay_alu instid0(VALU_DEP_2) | instskip(NEXT) | instid1(VALU_DEP_2)
	v_mov_b64_e32 v[18:19], v[208:209]
	v_mov_b64_e32 v[20:21], v[210:211]
	ds_store_b128 v55, v[208:211]
.LBB179_424:                            ;   in Loop: Header=BB179_3 Depth=1
	s_or_b32 exec_lo, exec_lo, s50
	s_wait_dscnt 0x0
	s_barrier_signal -1
	s_barrier_wait -1
	s_barrier_signal -1
	s_barrier_wait -1
	s_and_saveexec_b32 s50, s5
; %bb.425:                              ;   in Loop: Header=BB179_3 Depth=1
	s_delay_alu instid0(VALU_DEP_1) | instskip(NEXT) | instid1(VALU_DEP_4)
	v_xor_b32_e32 v21, 0x80000000, v21
	v_xor_b32_e32 v19, 0x80000000, v19
	ds_store_b128 v56, v[18:21] offset:12736
; %bb.426:                              ;   in Loop: Header=BB179_3 Depth=1
	s_or_b32 exec_lo, exec_lo, s50
	s_wait_dscnt 0x0
	s_barrier_signal -1
	s_barrier_wait -1
	s_barrier_signal -1
	s_barrier_wait -1
	s_and_saveexec_b32 s50, s70
	s_cbranch_execz .LBB179_428
; %bb.427:                              ;   in Loop: Header=BB179_3 Depth=1
	ds_load_b128 v[18:21], v105
	s_wait_dscnt 0x0
	ds_store_b128 v198, v[18:21]
	ds_load_b128 v[18:21], v108
	s_wait_dscnt 0x0
	ds_store_b128 v201, v[18:21]
	;; [unrolled: 3-line block ×4, first 2 shown]
.LBB179_428:                            ;   in Loop: Header=BB179_3 Depth=1
	s_or_b32 exec_lo, exec_lo, s50
	s_wait_dscnt 0x0
	s_barrier_signal -1
	s_barrier_wait -1
	s_and_saveexec_b32 s50, s31
	s_cbranch_execz .LBB179_430
; %bb.429:                              ;   in Loop: Header=BB179_3 Depth=1
	ds_load_b128 v[18:21], v2 offset:15312
	ds_load_b128 v[22:25], v2 offset:14784
	s_wait_dscnt 0x0
	v_mul_f64_e32 v[4:5], v[18:19], v[24:25]
	v_mul_f64_e32 v[24:25], v[20:21], v[24:25]
	s_delay_alu instid0(VALU_DEP_2) | instskip(NEXT) | instid1(VALU_DEP_2)
	v_fmac_f64_e32 v[4:5], v[20:21], v[22:23]
	v_fma_f64 v[24:25], v[18:19], v[22:23], -v[24:25]
	ds_load_b128 v[18:21], v2 offset:14800
	s_wait_dscnt 0x0
	v_mul_f64_e32 v[44:45], v[4:5], v[20:21]
	v_mul_f64_e32 v[22:23], v[24:25], v[20:21]
	s_delay_alu instid0(VALU_DEP_2) | instskip(NEXT) | instid1(VALU_DEP_2)
	v_fma_f64 v[20:21], v[18:19], v[24:25], -v[44:45]
	v_fmac_f64_e32 v[22:23], v[18:19], v[4:5]
	ds_store_b128 v2, v[20:23] offset:14800
	ds_store_b128 v2, v[20:23] offset:15296
.LBB179_430:                            ;   in Loop: Header=BB179_3 Depth=1
	s_or_b32 exec_lo, exec_lo, s50
	v_mov_b64_e32 v[20:21], 0
	v_mov_b64_e32 v[18:19], 0
	s_wait_dscnt 0x0
	s_barrier_signal -1
	s_barrier_wait -1
	s_and_saveexec_b32 s50, s3
	s_cbranch_execz .LBB179_434
; %bb.431:                              ;   in Loop: Header=BB179_3 Depth=1
	ds_load_b128 v[18:21], v48 offset:14784
	ds_load_b128 v[22:25], v47 offset:14816
	s_wait_dscnt 0x0
	v_mul_f64_e32 v[4:5], v[20:21], v[24:25]
	v_mul_f64_e32 v[24:25], v[18:19], v[24:25]
	s_delay_alu instid0(VALU_DEP_2) | instskip(NEXT) | instid1(VALU_DEP_2)
	v_fma_f64 v[4:5], v[18:19], v[22:23], -v[4:5]
	v_fmac_f64_e32 v[24:25], v[20:21], v[22:23]
	s_delay_alu instid0(VALU_DEP_2) | instskip(NEXT) | instid1(VALU_DEP_2)
	v_add_f64_e32 v[18:19], 0, v[4:5]
	v_add_f64_e32 v[20:21], 0, v[24:25]
	s_and_saveexec_b32 s51, s12
	s_cbranch_execz .LBB179_433
; %bb.432:                              ;   in Loop: Header=BB179_3 Depth=1
	ds_load_b128 v[22:25], v2 offset:14800
	ds_load_b128 v[208:211], v98 offset:15328
	s_wait_dscnt 0x0
	v_mul_f64_e32 v[4:5], v[24:25], v[210:211]
	s_delay_alu instid0(VALU_DEP_1) | instskip(SKIP_1) | instid1(VALU_DEP_2)
	v_fma_f64 v[4:5], v[22:23], v[208:209], -v[4:5]
	v_mul_f64_e32 v[22:23], v[22:23], v[210:211]
	v_add_f64_e32 v[18:19], v[18:19], v[4:5]
	s_delay_alu instid0(VALU_DEP_2) | instskip(NEXT) | instid1(VALU_DEP_1)
	v_fmac_f64_e32 v[22:23], v[24:25], v[208:209]
	v_add_f64_e32 v[20:21], v[20:21], v[22:23]
.LBB179_433:                            ;   in Loop: Header=BB179_3 Depth=1
	s_or_b32 exec_lo, exec_lo, s51
	s_delay_alu instid0(VALU_DEP_2) | instskip(NEXT) | instid1(VALU_DEP_2)
	v_xor_b32_e32 v19, 0x80000000, v19
	v_xor_b32_e32 v21, 0x80000000, v21
.LBB179_434:                            ;   in Loop: Header=BB179_3 Depth=1
	s_or_b32 exec_lo, exec_lo, s50
	s_and_saveexec_b32 s50, s61
	s_cbranch_execz .LBB179_436
; %bb.435:                              ;   in Loop: Header=BB179_3 Depth=1
	ds_load_b128 v[22:25], v2 offset:15840
	s_wait_dscnt 0x0
	v_mul_f64_e32 v[4:5], v[20:21], v[24:25]
	v_mul_f64_e32 v[210:211], v[18:19], v[24:25]
	s_delay_alu instid0(VALU_DEP_2) | instskip(NEXT) | instid1(VALU_DEP_2)
	v_fma_f64 v[208:209], v[18:19], v[22:23], -v[4:5]
	v_fmac_f64_e32 v[210:211], v[20:21], v[22:23]
	s_delay_alu instid0(VALU_DEP_2) | instskip(NEXT) | instid1(VALU_DEP_2)
	v_mov_b64_e32 v[18:19], v[208:209]
	v_mov_b64_e32 v[20:21], v[210:211]
	ds_store_b128 v27, v[208:211]
.LBB179_436:                            ;   in Loop: Header=BB179_3 Depth=1
	s_or_b32 exec_lo, exec_lo, s50
	s_wait_dscnt 0x0
	s_barrier_signal -1
	s_barrier_wait -1
	s_and_saveexec_b32 s50, s62
	s_cbranch_execz .LBB179_438
; %bb.437:                              ;   in Loop: Header=BB179_3 Depth=1
	ds_load_b128 v[22:25], v27
	ds_load_b128 v[208:211], v2 offset:15856
	s_wait_dscnt 0x0
	v_mul_f64_e32 v[4:5], v[24:25], v[210:211]
	s_delay_alu instid0(VALU_DEP_1) | instskip(SKIP_1) | instid1(VALU_DEP_2)
	v_fma_f64 v[4:5], v[22:23], v[208:209], -v[4:5]
	v_mul_f64_e32 v[22:23], v[22:23], v[210:211]
	v_add_f64_e32 v[18:19], v[18:19], v[4:5]
	s_delay_alu instid0(VALU_DEP_2) | instskip(NEXT) | instid1(VALU_DEP_1)
	v_fmac_f64_e32 v[22:23], v[24:25], v[208:209]
	v_add_f64_e32 v[20:21], v[20:21], v[22:23]
.LBB179_438:                            ;   in Loop: Header=BB179_3 Depth=1
	s_or_b32 exec_lo, exec_lo, s50
	s_barrier_signal -1
	s_barrier_wait -1
	s_and_saveexec_b32 s50, s62
	s_cbranch_execz .LBB179_440
; %bb.439:                              ;   in Loop: Header=BB179_3 Depth=1
	ds_load_b128 v[22:25], v2 offset:16368
	s_wait_dscnt 0x0
	v_mul_f64_e32 v[4:5], v[20:21], v[24:25]
	v_mul_f64_e32 v[210:211], v[18:19], v[24:25]
	s_delay_alu instid0(VALU_DEP_2) | instskip(NEXT) | instid1(VALU_DEP_2)
	v_fma_f64 v[208:209], v[18:19], v[22:23], -v[4:5]
	v_fmac_f64_e32 v[210:211], v[20:21], v[22:23]
	s_delay_alu instid0(VALU_DEP_2) | instskip(NEXT) | instid1(VALU_DEP_2)
	v_mov_b64_e32 v[18:19], v[208:209]
	v_mov_b64_e32 v[20:21], v[210:211]
	ds_store_b128 v27, v[208:211]
.LBB179_440:                            ;   in Loop: Header=BB179_3 Depth=1
	s_or_b32 exec_lo, exec_lo, s50
	s_wait_dscnt 0x0
	s_barrier_signal -1
	s_barrier_wait -1
	s_barrier_signal -1
	s_barrier_wait -1
	s_and_saveexec_b32 s50, s3
; %bb.441:                              ;   in Loop: Header=BB179_3 Depth=1
	s_delay_alu instid0(VALU_DEP_3) | instskip(NEXT) | instid1(VALU_DEP_2)
	v_xor_b32_e32 v19, 0x80000000, v19
	v_xor_b32_e32 v21, 0x80000000, v21
	ds_store_b128 v47, v[18:21] offset:14816
; %bb.442:                              ;   in Loop: Header=BB179_3 Depth=1
	s_or_b32 exec_lo, exec_lo, s50
	s_wait_dscnt 0x0
	s_barrier_signal -1
	s_barrier_wait -1
	s_barrier_signal -1
	s_barrier_wait -1
	s_and_saveexec_b32 s50, s63
	s_cbranch_execz .LBB179_444
; %bb.443:                              ;   in Loop: Header=BB179_3 Depth=1
	ds_load_b128 v[18:21], v111
	s_wait_dscnt 0x0
	ds_store_b128 v115, v[18:21]
	ds_load_b128 v[18:21], v112
	s_wait_dscnt 0x0
	ds_store_b128 v116, v[18:21]
.LBB179_444:                            ;   in Loop: Header=BB179_3 Depth=1
	s_or_b32 exec_lo, exec_lo, s50
	s_wait_dscnt 0x0
	s_barrier_signal -1
	s_barrier_wait -1
	s_and_saveexec_b32 s50, s31
	s_cbranch_execz .LBB179_446
; %bb.445:                              ;   in Loop: Header=BB179_3 Depth=1
	ds_load_b128 v[18:21], v2 offset:16368
	ds_load_b128 v[22:25], v2 offset:15840
	s_wait_dscnt 0x0
	v_mul_f64_e32 v[4:5], v[18:19], v[24:25]
	v_mul_f64_e32 v[24:25], v[20:21], v[24:25]
	s_delay_alu instid0(VALU_DEP_2) | instskip(NEXT) | instid1(VALU_DEP_2)
	v_fmac_f64_e32 v[4:5], v[20:21], v[22:23]
	v_fma_f64 v[24:25], v[18:19], v[22:23], -v[24:25]
	ds_load_b128 v[18:21], v2 offset:15856
	s_wait_dscnt 0x0
	v_mul_f64_e32 v[44:45], v[4:5], v[20:21]
	v_mul_f64_e32 v[22:23], v[24:25], v[20:21]
	s_delay_alu instid0(VALU_DEP_2) | instskip(NEXT) | instid1(VALU_DEP_2)
	v_fma_f64 v[20:21], v[18:19], v[24:25], -v[44:45]
	v_fmac_f64_e32 v[22:23], v[18:19], v[4:5]
	ds_store_b128 v2, v[20:23] offset:15856
	ds_store_b128 v2, v[20:23] offset:16352
.LBB179_446:                            ;   in Loop: Header=BB179_3 Depth=1
	s_or_b32 exec_lo, exec_lo, s50
.LBB179_447:                            ;   in Loop: Header=BB179_3 Depth=1
	v_add_nc_u64_e32 v[22:23], s[44:45], v[42:43]
	v_mov_b64_e32 v[18:19], 0
	v_mov_b64_e32 v[20:21], 0
	s_wait_dscnt 0x0
	s_barrier_signal -1
	s_barrier_wait -1
	s_wait_xcnt 0x0
	s_and_saveexec_b32 s50, s34
	s_cbranch_execz .LBB179_449
; %bb.448:                              ;   in Loop: Header=BB179_3 Depth=1
	v_lshl_add_u64 v[4:5], v[32:33], 4, v[22:23]
	flat_load_b128 v[42:45], v[4:5]
	s_wait_loadcnt_dscnt 0x0
	v_mul_f64_e32 v[4:5], v[14:15], v[42:43]
	s_delay_alu instid0(VALU_DEP_1) | instskip(SKIP_1) | instid1(VALU_DEP_1)
	v_fma_f64 v[18:19], v[16:17], v[44:45], -v[4:5]
	v_mul_f64_e32 v[4:5], v[14:15], v[44:45]
	v_fma_f64 v[20:21], v[42:43], -v[16:17], -v[4:5]
.LBB179_449:                            ;   in Loop: Header=BB179_3 Depth=1
	s_or_b32 exec_lo, exec_lo, s50
	s_delay_alu instid0(SALU_CYCLE_1)
	s_and_not1_b32 vcc_lo, exec_lo, s86
	s_cbranch_vccnz .LBB179_472
; %bb.450:                              ;   in Loop: Header=BB179_3 Depth=1
	v_mov_b32_e32 v42, -1
	s_lshl_b64 s[50:51], s[38:39], 2
	s_mov_b32 s90, 0
	s_add_nc_u64 s[50:51], s[54:55], s[50:51]
	s_branch .LBB179_453
.LBB179_451:                            ;   in Loop: Header=BB179_453 Depth=2
	ds_load_b128 v[208:211], v133 offset:256
	s_wait_loadcnt_dscnt 0x0
	v_mul_f64_e32 v[4:5], v[16:17], v[210:211]
	s_delay_alu instid0(VALU_DEP_1) | instskip(SKIP_1) | instid1(VALU_DEP_2)
	v_fma_f64 v[4:5], v[14:15], v[208:209], -v[4:5]
	v_mul_f64_e32 v[14:15], v[14:15], v[210:211]
	v_add_f64_e32 v[18:19], v[18:19], v[4:5]
	s_delay_alu instid0(VALU_DEP_2) | instskip(NEXT) | instid1(VALU_DEP_1)
	v_fmac_f64_e32 v[14:15], v[16:17], v[208:209]
	v_add_f64_e32 v[20:21], v[20:21], v[14:15]
.LBB179_452:                            ;   in Loop: Header=BB179_453 Depth=2
	s_or_b32 exec_lo, exec_lo, s91
	s_add_co_i32 s90, s90, 1
	s_delay_alu instid0(SALU_CYCLE_1)
	s_cmp_eq_u32 s90, s56
	s_cbranch_scc1 .LBB179_472
.LBB179_453:                            ;   Parent Loop BB179_3 Depth=1
                                        ; =>  This Loop Header: Depth=2
                                        ;       Child Loop BB179_455 Depth 3
	v_cmp_gt_i32_e32 vcc_lo, s90, v42
	s_and_b32 s92, s35, vcc_lo
	s_delay_alu instid0(SALU_CYCLE_1)
	s_and_saveexec_b32 s91, s92
	s_cbranch_execz .LBB179_456
; %bb.454:                              ;   in Loop: Header=BB179_453 Depth=2
	global_load_b32 v42, v2, s[50:51]
	s_wait_loadcnt 0x0
	v_cmp_le_i32_e32 vcc_lo, s90, v42
	s_cbranch_vccnz .LBB179_456
.LBB179_455:                            ;   Parent Loop BB179_3 Depth=1
                                        ;     Parent Loop BB179_453 Depth=2
                                        ; =>    This Inner Loop Header: Depth=3
	global_wb scope:SCOPE_DEV
	s_wait_storecnt 0x0
	global_inv scope:SCOPE_DEV
	global_load_b32 v42, v2, s[50:51]
	s_wait_loadcnt 0x0
	v_cmp_gt_i32_e32 vcc_lo, s90, v42
	s_cbranch_vccnz .LBB179_455
.LBB179_456:                            ;   in Loop: Header=BB179_453 Depth=2
	s_or_b32 exec_lo, exec_lo, s91
	s_sub_co_i32 s91, s57, s90
	global_wb scope:SCOPE_DEV
	s_wait_storecnt 0x0
	global_inv scope:SCOPE_DEV
	s_lshl_b32 s92, s91, 5
	s_wait_loadcnt 0x0
	s_barrier_signal -1
	s_barrier_wait -1
	s_and_saveexec_b32 s93, s36
	s_cbranch_execz .LBB179_461
; %bb.457:                              ;   in Loop: Header=BB179_453 Depth=2
	s_ashr_i32 vcc_lo, s92, 31
	s_delay_alu instid0(SALU_CYCLE_1) | instskip(NEXT) | instid1(VALU_DEP_1)
	v_dual_mov_b32 v5, vcc_lo :: v_dual_bitop2_b32 v4, s92, v28 bitop3:0x54
	v_cmp_le_i64_e32 vcc_lo, s[52:53], v[4:5]
	s_and_saveexec_b32 s94, vcc_lo
	s_delay_alu instid0(SALU_CYCLE_1)
	s_xor_b32 vcc_lo, exec_lo, s94
; %bb.458:                              ;   in Loop: Header=BB179_453 Depth=2
	v_dual_mov_b32 v3, v2 :: v_dual_mov_b32 v4, v2
	v_mov_b32_e32 v5, v2
	ds_store_b128 v202, v[2:5]
                                        ; implicit-def: $vgpr4_vgpr5
; %bb.459:                              ;   in Loop: Header=BB179_453 Depth=2
	s_and_not1_saveexec_b32 s94, vcc_lo
	s_cbranch_execz .LBB179_461
; %bb.460:                              ;   in Loop: Header=BB179_453 Depth=2
	v_mul_u64_e32 v[4:5], s[46:47], v[4:5]
	s_delay_alu instid0(VALU_DEP_1)
	v_lshl_add_u64 v[4:5], v[4:5], 4, v[22:23]
	flat_load_b128 v[14:17], v[4:5]
	s_wait_loadcnt_dscnt 0x0
	ds_store_2addr_b64 v202, v[14:15], v[16:17] offset1:1
.LBB179_461:                            ;   in Loop: Header=BB179_453 Depth=2
	s_or_b32 exec_lo, exec_lo, s93
	v_add_nc_u32_e32 v14, s92, v46
	s_cmp_lg_u32 s91, s87
	s_wait_dscnt 0x0
	s_cselect_b32 s92, -1, 0
	s_barrier_signal -1
	v_ashrrev_i32_e32 v15, 31, v14
	v_cmp_gt_i32_e32 vcc_lo, s52, v14
	v_cndmask_b32_e64 v3, 0, 1, s92
	s_barrier_wait -1
	s_delay_alu instid0(VALU_DEP_3) | instskip(SKIP_1) | instid1(SALU_CYCLE_1)
	v_lshl_add_u64 v[4:5], v[14:15], 4, v[40:41]
	s_and_b32 s93, vcc_lo, s2
	s_and_saveexec_b32 s91, s93
	s_cbranch_execz .LBB179_467
; %bb.462:                              ;   in Loop: Header=BB179_453 Depth=2
	v_mov_b64_e32 v[16:17], v[6:7]
	s_and_not1_b32 vcc_lo, exec_lo, s92
	s_cbranch_vccnz .LBB179_464
; %bb.463:                              ;   in Loop: Header=BB179_453 Depth=2
	flat_load_b64 v[16:17], v[4:5]
.LBB179_464:                            ;   in Loop: Header=BB179_453 Depth=2
	v_cmp_ne_u32_e32 vcc_lo, 1, v3
	v_mov_b64_e32 v[24:25], v[8:9]
	s_cbranch_vccnz .LBB179_466
; %bb.465:                              ;   in Loop: Header=BB179_453 Depth=2
	flat_load_b64 v[24:25], v[4:5] offset:8
.LBB179_466:                            ;   in Loop: Header=BB179_453 Depth=2
	ds_load_b128 v[208:211], v133
	s_wait_loadcnt_dscnt 0x0
	v_mul_f64_e32 v[44:45], v[24:25], v[210:211]
	s_delay_alu instid0(VALU_DEP_1) | instskip(SKIP_1) | instid1(VALU_DEP_2)
	v_fma_f64 v[44:45], v[16:17], v[208:209], -v[44:45]
	v_mul_f64_e32 v[16:17], v[16:17], v[210:211]
	v_add_f64_e32 v[18:19], v[18:19], v[44:45]
	s_delay_alu instid0(VALU_DEP_2) | instskip(NEXT) | instid1(VALU_DEP_1)
	v_fmac_f64_e32 v[16:17], v[24:25], v[208:209]
	v_add_f64_e32 v[20:21], v[20:21], v[16:17]
.LBB179_467:                            ;   in Loop: Header=BB179_453 Depth=2
	s_or_b32 exec_lo, exec_lo, s91
	v_add_nc_u32_e32 v14, 16, v14
	s_delay_alu instid0(VALU_DEP_1) | instskip(SKIP_1) | instid1(SALU_CYCLE_1)
	v_cmp_gt_i32_e32 vcc_lo, s52, v14
	s_and_b32 s92, vcc_lo, s2
	s_and_saveexec_b32 s91, s92
	s_cbranch_execz .LBB179_452
; %bb.468:                              ;   in Loop: Header=BB179_453 Depth=2
	v_cmp_ne_u32_e32 vcc_lo, 1, v3
	v_mov_b64_e32 v[14:15], v[10:11]
	s_cbranch_vccnz .LBB179_470
; %bb.469:                              ;   in Loop: Header=BB179_453 Depth=2
	flat_load_b64 v[14:15], v[4:5] offset:256
.LBB179_470:                            ;   in Loop: Header=BB179_453 Depth=2
	v_cmp_ne_u32_e32 vcc_lo, 1, v3
	v_mov_b64_e32 v[16:17], v[12:13]
	s_cbranch_vccnz .LBB179_451
; %bb.471:                              ;   in Loop: Header=BB179_453 Depth=2
	flat_load_b64 v[16:17], v[4:5] offset:264
	s_branch .LBB179_451
.LBB179_472:                            ;   in Loop: Header=BB179_3 Depth=1
	ds_store_b128 v203, v[18:21]
	s_wait_dscnt 0x0
	s_barrier_signal -1
	s_barrier_wait -1
	s_and_saveexec_b32 s50, s4
	s_cbranch_execz .LBB179_474
; %bb.473:                              ;   in Loop: Header=BB179_3 Depth=1
	ds_load_b128 v[14:17], v204 offset:512
	s_wait_dscnt 0x0
	v_add_f64_e32 v[4:5], v[18:19], v[14:15]
	v_add_f64_e32 v[18:19], v[20:21], v[16:17]
	ds_load_b128 v[14:17], v204 offset:1024
	s_wait_dscnt 0x0
	v_add_f64_e32 v[4:5], v[4:5], v[14:15]
	v_add_f64_e32 v[18:19], v[18:19], v[16:17]
	;; [unrolled: 4-line block ×15, first 2 shown]
	s_delay_alu instid0(VALU_DEP_2) | instskip(NEXT) | instid1(VALU_DEP_2)
	v_xor_b32_e32 v3, 0x80000000, v5
	v_xor_b32_e32 v5, 0x80000000, v15
	s_delay_alu instid0(VALU_DEP_4) | instskip(NEXT) | instid1(VALU_DEP_4)
	v_cndmask_b32_e64 v18, v4, 0, s33
	v_cndmask_b32_e64 v20, v14, 0, s33
	s_delay_alu instid0(VALU_DEP_4) | instskip(NEXT) | instid1(VALU_DEP_4)
	v_cndmask_b32_e64 v19, v3, 0, s33
	v_cndmask_b32_e64 v21, v5, 0, s33
.LBB179_474:                            ;   in Loop: Header=BB179_3 Depth=1
	s_or_b32 exec_lo, exec_lo, s50
	s_delay_alu instid0(SALU_CYCLE_1)
	s_and_not1_b32 vcc_lo, exec_lo, s60
	s_cbranch_vccnz .LBB179_483
; %bb.475:                              ;   in Loop: Header=BB179_3 Depth=1
	s_and_saveexec_b32 s50, s4
; %bb.476:                              ;   in Loop: Header=BB179_3 Depth=1
	ds_store_b128 v205, v[18:21]
; %bb.477:                              ;   in Loop: Header=BB179_3 Depth=1
	s_or_b32 exec_lo, exec_lo, s50
	v_mov_b64_e32 v[14:15], 0
	v_mov_b64_e32 v[16:17], 0
	s_wait_dscnt 0x0
	s_barrier_signal -1
	s_barrier_wait -1
	s_and_saveexec_b32 s50, s8
	s_cbranch_execz .LBB179_479
; %bb.478:                              ;   in Loop: Header=BB179_3 Depth=1
	ds_load_b128 v[14:17], v133
	ds_load_b128 v[40:43], v132
	s_wait_dscnt 0x0
	v_mul_f64_e32 v[4:5], v[16:17], v[42:43]
	v_mul_f64_e32 v[24:25], v[14:15], v[42:43]
	s_delay_alu instid0(VALU_DEP_2) | instskip(NEXT) | instid1(VALU_DEP_2)
	v_fma_f64 v[4:5], v[14:15], v[40:41], -v[4:5]
	v_fmac_f64_e32 v[24:25], v[16:17], v[40:41]
	s_delay_alu instid0(VALU_DEP_2) | instskip(NEXT) | instid1(VALU_DEP_2)
	v_add_f64_e32 v[14:15], 0, v[4:5]
	v_add_f64_e32 v[16:17], 0, v[24:25]
.LBB179_479:                            ;   in Loop: Header=BB179_3 Depth=1
	s_or_b32 exec_lo, exec_lo, s50
	s_and_saveexec_b32 s50, s9
	s_cbranch_execz .LBB179_481
; %bb.480:                              ;   in Loop: Header=BB179_3 Depth=1
	ds_load_b128 v[40:43], v133 offset:256
	ds_load_b128 v[208:211], v132 offset:8192
	s_wait_dscnt 0x0
	v_mul_f64_e32 v[4:5], v[42:43], v[210:211]
	v_mul_f64_e32 v[24:25], v[40:41], v[210:211]
	s_delay_alu instid0(VALU_DEP_2) | instskip(NEXT) | instid1(VALU_DEP_2)
	v_fma_f64 v[4:5], v[40:41], v[208:209], -v[4:5]
	v_fmac_f64_e32 v[24:25], v[42:43], v[208:209]
	s_delay_alu instid0(VALU_DEP_2) | instskip(NEXT) | instid1(VALU_DEP_2)
	v_add_f64_e32 v[14:15], v[14:15], v[4:5]
	v_add_f64_e32 v[16:17], v[16:17], v[24:25]
.LBB179_481:                            ;   in Loop: Header=BB179_3 Depth=1
	s_or_b32 exec_lo, exec_lo, s50
	s_mov_b32 s51, 0
	s_mov_b32 s50, 0
	ds_store_b128 v203, v[14:17]
	s_wait_dscnt 0x0
	s_barrier_signal -1
	s_barrier_wait -1
                                        ; implicit-def: $vgpr4_vgpr5
                                        ; implicit-def: $vgpr24_vgpr25
	s_and_saveexec_b32 vcc_lo, s4
	s_cbranch_execz .LBB179_546
; %bb.482:                              ;   in Loop: Header=BB179_3 Depth=1
	ds_load_b128 v[40:43], v204 offset:512
	s_mov_b32 s50, exec_lo
	s_wait_dscnt 0x0
	v_add_f64_e32 v[4:5], v[14:15], v[40:41]
	v_add_f64_e32 v[24:25], v[16:17], v[42:43]
	ds_load_b128 v[14:17], v204 offset:1024
	s_wait_dscnt 0x0
	v_add_f64_e32 v[4:5], v[4:5], v[14:15]
	v_add_f64_e32 v[24:25], v[24:25], v[16:17]
	ds_load_b128 v[14:17], v204 offset:1536
	;; [unrolled: 4-line block ×14, first 2 shown]
	s_wait_dscnt 0x0
	v_add_f64_e32 v[24:25], v[4:5], v[14:15]
	v_add_f64_e32 v[4:5], v[40:41], v[16:17]
	s_or_b32 exec_lo, exec_lo, vcc_lo
	s_delay_alu instid0(SALU_CYCLE_1)
	s_and_b32 vcc_lo, exec_lo, s51
	s_cbranch_vccnz .LBB179_484
	s_branch .LBB179_547
.LBB179_483:                            ;   in Loop: Header=BB179_3 Depth=1
	s_mov_b32 s50, 0
                                        ; implicit-def: $vgpr4_vgpr5
                                        ; implicit-def: $vgpr24_vgpr25
	s_cbranch_execz .LBB179_547
.LBB179_484:                            ;   in Loop: Header=BB179_3 Depth=1
	v_mov_b32_e32 v3, v151
	s_mov_b32 s51, 31
	s_branch .LBB179_486
.LBB179_485:                            ;   in Loop: Header=BB179_486 Depth=2
	s_or_b32 exec_lo, exec_lo, s91
	v_add_nc_u32_e32 v3, 0xfffffc00, v3
	s_add_co_i32 s51, s51, -2
	s_cmp_lg_u32 s90, 0
	s_barrier_signal -1
	s_barrier_wait -1
	s_cbranch_scc0 .LBB179_494
.LBB179_486:                            ;   Parent Loop BB179_3 Depth=1
                                        ; =>  This Inner Loop Header: Depth=2
	s_delay_alu instid0(VALU_DEP_1) | instskip(SKIP_1) | instid1(SALU_CYCLE_1)
	v_cmp_eq_u32_e32 vcc_lo, 0xffffc200, v3
	s_and_b32 s91, s4, vcc_lo
	s_and_saveexec_b32 s90, s91
	s_cbranch_execz .LBB179_488
; %bb.487:                              ;   in Loop: Header=BB179_486 Depth=2
	ds_load_b128 v[14:17], v206
	s_wait_dscnt 0x0
	v_mul_f64_e32 v[4:5], v[20:21], v[16:17]
	v_mul_f64_e32 v[42:43], v[18:19], v[16:17]
	s_delay_alu instid0(VALU_DEP_2) | instskip(NEXT) | instid1(VALU_DEP_2)
	v_fma_f64 v[40:41], v[18:19], v[14:15], -v[4:5]
	v_fmac_f64_e32 v[42:43], v[20:21], v[14:15]
	s_delay_alu instid0(VALU_DEP_2) | instskip(NEXT) | instid1(VALU_DEP_2)
	v_mov_b64_e32 v[18:19], v[40:41]
	v_mov_b64_e32 v[20:21], v[42:43]
	ds_store_b128 v2, v[40:43] offset:25088
.LBB179_488:                            ;   in Loop: Header=BB179_486 Depth=2
	s_or_b32 exec_lo, exec_lo, s90
	v_cmp_gt_u32_e32 vcc_lo, s51, v26
	v_add_nc_u32_e32 v4, v153, v3
	s_wait_dscnt 0x0
	s_barrier_signal -1
	s_barrier_wait -1
	s_and_b32 s91, s4, vcc_lo
	s_delay_alu instid0(SALU_CYCLE_1)
	s_and_saveexec_b32 s90, s91
	s_cbranch_execz .LBB179_490
; %bb.489:                              ;   in Loop: Header=BB179_486 Depth=2
	ds_load_b128 v[14:17], v2 offset:25088
	ds_load_b128 v[40:43], v4 offset:512
	s_wait_dscnt 0x0
	v_mul_f64_e32 v[24:25], v[16:17], v[42:43]
	s_delay_alu instid0(VALU_DEP_1) | instskip(SKIP_1) | instid1(VALU_DEP_2)
	v_fma_f64 v[24:25], v[14:15], v[40:41], -v[24:25]
	v_mul_f64_e32 v[14:15], v[14:15], v[42:43]
	v_add_f64_e32 v[18:19], v[18:19], v[24:25]
	s_delay_alu instid0(VALU_DEP_2) | instskip(NEXT) | instid1(VALU_DEP_1)
	v_fmac_f64_e32 v[14:15], v[16:17], v[40:41]
	v_add_f64_e32 v[20:21], v[20:21], v[14:15]
.LBB179_490:                            ;   in Loop: Header=BB179_486 Depth=2
	s_or_b32 exec_lo, exec_lo, s90
	s_add_co_i32 s90, s51, -1
	s_delay_alu instid0(SALU_CYCLE_1) | instskip(SKIP_3) | instid1(SALU_CYCLE_1)
	v_cmp_eq_u32_e32 vcc_lo, s90, v26
	s_barrier_signal -1
	s_barrier_wait -1
	s_and_b32 s92, s4, vcc_lo
	s_and_saveexec_b32 s91, s92
	s_cbranch_execz .LBB179_492
; %bb.491:                              ;   in Loop: Header=BB179_486 Depth=2
	ds_load_b128 v[14:17], v206
	s_wait_dscnt 0x0
	v_mul_f64_e32 v[24:25], v[20:21], v[16:17]
	v_mul_f64_e32 v[42:43], v[18:19], v[16:17]
	s_delay_alu instid0(VALU_DEP_2) | instskip(NEXT) | instid1(VALU_DEP_2)
	v_fma_f64 v[40:41], v[18:19], v[14:15], -v[24:25]
	v_fmac_f64_e32 v[42:43], v[20:21], v[14:15]
	s_delay_alu instid0(VALU_DEP_2) | instskip(NEXT) | instid1(VALU_DEP_2)
	v_mov_b64_e32 v[18:19], v[40:41]
	v_mov_b64_e32 v[20:21], v[42:43]
	ds_store_b128 v2, v[40:43] offset:25088
.LBB179_492:                            ;   in Loop: Header=BB179_486 Depth=2
	s_or_b32 exec_lo, exec_lo, s91
	v_cmp_gt_u32_e32 vcc_lo, s90, v26
	s_wait_dscnt 0x0
	s_barrier_signal -1
	s_barrier_wait -1
	s_and_b32 s92, s4, vcc_lo
	s_delay_alu instid0(SALU_CYCLE_1)
	s_and_saveexec_b32 s91, s92
	s_cbranch_execz .LBB179_485
; %bb.493:                              ;   in Loop: Header=BB179_486 Depth=2
	ds_load_b128 v[14:17], v2 offset:25088
	ds_load_b128 v[40:43], v4
	s_wait_dscnt 0x0
	v_mul_f64_e32 v[4:5], v[16:17], v[42:43]
	s_delay_alu instid0(VALU_DEP_1) | instskip(SKIP_1) | instid1(VALU_DEP_2)
	v_fma_f64 v[4:5], v[14:15], v[40:41], -v[4:5]
	v_mul_f64_e32 v[14:15], v[14:15], v[42:43]
	v_add_f64_e32 v[18:19], v[18:19], v[4:5]
	s_delay_alu instid0(VALU_DEP_2) | instskip(NEXT) | instid1(VALU_DEP_1)
	v_fmac_f64_e32 v[14:15], v[16:17], v[40:41]
	v_add_f64_e32 v[20:21], v[20:21], v[14:15]
	s_branch .LBB179_485
.LBB179_494:                            ;   in Loop: Header=BB179_3 Depth=1
	s_and_b32 vcc_lo, exec_lo, s58
	s_mov_b32 s51, -1
	s_cbranch_vccnz .LBB179_548
; %bb.495:                              ;   in Loop: Header=BB179_3 Depth=1
	s_and_not1_b32 vcc_lo, exec_lo, s51
	s_cbranch_vccz .LBB179_549
.LBB179_496:                            ;   in Loop: Header=BB179_3 Depth=1
	s_and_saveexec_b32 s51, s50
	s_cbranch_execz .LBB179_498
.LBB179_497:                            ;   in Loop: Header=BB179_3 Depth=1
	v_lshl_add_u64 v[4:5], v[34:35], 4, v[22:23]
	flat_store_b128 v[4:5], v[18:21]
.LBB179_498:                            ;   in Loop: Header=BB179_3 Depth=1
	s_wait_xcnt 0x0
	s_or_b32 exec_lo, exec_lo, s51
	global_wb scope:SCOPE_DEV
	s_wait_storecnt_dscnt 0x0
	global_inv scope:SCOPE_DEV
	s_wait_loadcnt 0x0
	s_barrier_signal -1
	s_barrier_wait -1
	s_and_saveexec_b32 s50, s35
	s_cbranch_execz .LBB179_2
; %bb.499:                              ;   in Loop: Header=BB179_3 Depth=1
	s_lshl_b64 s[90:91], s[38:39], 2
	s_delay_alu instid0(SALU_CYCLE_1)
	s_add_nc_u64 s[90:91], s[54:55], s[90:91]
	global_load_b32 v3, v2, s[90:91]
	s_wait_loadcnt 0x0
	v_add_nc_u32_e32 v3, 1, v3
	global_store_b32 v2, v3, s[90:91]
	s_branch .LBB179_2
.LBB179_500:                            ;   in Loop: Header=BB179_3 Depth=1
	s_mov_b32 s51, exec_lo
	v_readlane_b32 s90, v207, 11
	s_and_b32 s90, s51, s90
	s_delay_alu instid0(SALU_CYCLE_1)
	s_xor_b32 s51, s90, s51
	s_mov_b32 exec_lo, s90
	s_cbranch_execz .LBB179_504
; %bb.501:                              ;   in Loop: Header=BB179_3 Depth=1
	s_mov_b32 s90, exec_lo
	v_readlane_b32 s91, v207, 26
	s_and_b32 s91, s90, s91
	s_delay_alu instid0(SALU_CYCLE_1)
	s_mov_b32 exec_lo, s91
; %bb.502:                              ;   in Loop: Header=BB179_3 Depth=1
	v_dual_mov_b32 v3, v2 :: v_dual_mov_b32 v4, v2
	v_mov_b32_e32 v5, v2
	ds_store_b128 v152, v[2:5]
; %bb.503:                              ;   in Loop: Header=BB179_3 Depth=1
	s_or_b32 exec_lo, exec_lo, s90
.LBB179_504:                            ;   in Loop: Header=BB179_3 Depth=1
	s_and_not1_saveexec_b32 s51, s51
	s_cbranch_execz .LBB179_510
; %bb.505:                              ;   in Loop: Header=BB179_3 Depth=1
	v_lshl_add_u64 v[4:5], v[36:37], 4, v[44:45]
                                        ; implicit-def: $vgpr22_vgpr23
	flat_load_b128 v[18:21], v[4:5]
	s_wait_loadcnt_dscnt 0x0
	v_cmp_ngt_f64_e64 s90, |v[18:19]|, |v[20:21]|
	s_and_saveexec_b32 s91, s90
	s_delay_alu instid0(SALU_CYCLE_1)
	s_xor_b32 s90, exec_lo, s91
	s_cbranch_execz .LBB179_507
; %bb.506:                              ;   in Loop: Header=BB179_3 Depth=1
	v_div_scale_f64 v[4:5], null, v[20:21], v[20:21], v[18:19]
	v_div_scale_f64 v[208:209], vcc_lo, v[18:19], v[20:21], v[18:19]
	s_delay_alu instid0(VALU_DEP_2) | instskip(SKIP_1) | instid1(TRANS32_DEP_1)
	v_rcp_f64_e32 v[22:23], v[4:5]
	v_nop
	v_fma_f64 v[24:25], -v[4:5], v[22:23], 1.0
	s_delay_alu instid0(VALU_DEP_1) | instskip(NEXT) | instid1(VALU_DEP_1)
	v_fmac_f64_e32 v[22:23], v[22:23], v[24:25]
	v_fma_f64 v[24:25], -v[4:5], v[22:23], 1.0
	s_delay_alu instid0(VALU_DEP_1) | instskip(NEXT) | instid1(VALU_DEP_1)
	v_fmac_f64_e32 v[22:23], v[22:23], v[24:25]
	v_mul_f64_e32 v[24:25], v[208:209], v[22:23]
	s_delay_alu instid0(VALU_DEP_1) | instskip(NEXT) | instid1(VALU_DEP_1)
	v_fma_f64 v[4:5], -v[4:5], v[24:25], v[208:209]
	v_div_fmas_f64 v[4:5], v[4:5], v[22:23], v[24:25]
	s_delay_alu instid0(VALU_DEP_1) | instskip(NEXT) | instid1(VALU_DEP_1)
	v_div_fixup_f64 v[4:5], v[4:5], v[20:21], v[18:19]
	v_fmac_f64_e32 v[20:21], v[18:19], v[4:5]
	s_delay_alu instid0(VALU_DEP_1) | instskip(NEXT) | instid1(VALU_DEP_1)
	v_div_scale_f64 v[18:19], null, v[20:21], v[20:21], 1.0
	v_rcp_f64_e32 v[22:23], v[18:19]
	v_nop
	s_delay_alu instid0(TRANS32_DEP_1) | instskip(NEXT) | instid1(VALU_DEP_1)
	v_fma_f64 v[24:25], -v[18:19], v[22:23], 1.0
	v_fmac_f64_e32 v[22:23], v[22:23], v[24:25]
	s_delay_alu instid0(VALU_DEP_1) | instskip(NEXT) | instid1(VALU_DEP_1)
	v_fma_f64 v[24:25], -v[18:19], v[22:23], 1.0
	v_fmac_f64_e32 v[22:23], v[22:23], v[24:25]
	v_div_scale_f64 v[24:25], vcc_lo, 1.0, v[20:21], 1.0
	s_delay_alu instid0(VALU_DEP_1) | instskip(NEXT) | instid1(VALU_DEP_1)
	v_mul_f64_e32 v[208:209], v[24:25], v[22:23]
	v_fma_f64 v[18:19], -v[18:19], v[208:209], v[24:25]
	s_delay_alu instid0(VALU_DEP_1) | instskip(NEXT) | instid1(VALU_DEP_1)
	v_div_fmas_f64 v[18:19], v[18:19], v[22:23], v[208:209]
	v_div_fixup_f64 v[24:25], v[18:19], v[20:21], 1.0
                                        ; implicit-def: $vgpr18_vgpr19
	s_delay_alu instid0(VALU_DEP_1)
	v_mul_f64_e32 v[22:23], v[4:5], v[24:25]
	v_xor_b32_e32 v25, 0x80000000, v25
.LBB179_507:                            ;   in Loop: Header=BB179_3 Depth=1
	s_and_not1_saveexec_b32 s90, s90
	s_cbranch_execz .LBB179_509
; %bb.508:                              ;   in Loop: Header=BB179_3 Depth=1
	v_div_scale_f64 v[4:5], null, v[18:19], v[18:19], v[20:21]
	v_div_scale_f64 v[208:209], vcc_lo, v[20:21], v[18:19], v[20:21]
	s_delay_alu instid0(VALU_DEP_2) | instskip(SKIP_1) | instid1(TRANS32_DEP_1)
	v_rcp_f64_e32 v[22:23], v[4:5]
	v_nop
	v_fma_f64 v[24:25], -v[4:5], v[22:23], 1.0
	s_delay_alu instid0(VALU_DEP_1) | instskip(NEXT) | instid1(VALU_DEP_1)
	v_fmac_f64_e32 v[22:23], v[22:23], v[24:25]
	v_fma_f64 v[24:25], -v[4:5], v[22:23], 1.0
	s_delay_alu instid0(VALU_DEP_1) | instskip(NEXT) | instid1(VALU_DEP_1)
	v_fmac_f64_e32 v[22:23], v[22:23], v[24:25]
	v_mul_f64_e32 v[24:25], v[208:209], v[22:23]
	s_delay_alu instid0(VALU_DEP_1) | instskip(NEXT) | instid1(VALU_DEP_1)
	v_fma_f64 v[4:5], -v[4:5], v[24:25], v[208:209]
	v_div_fmas_f64 v[4:5], v[4:5], v[22:23], v[24:25]
	s_delay_alu instid0(VALU_DEP_1) | instskip(NEXT) | instid1(VALU_DEP_1)
	v_div_fixup_f64 v[4:5], v[4:5], v[18:19], v[20:21]
	v_fmac_f64_e32 v[18:19], v[20:21], v[4:5]
	s_delay_alu instid0(VALU_DEP_1) | instskip(NEXT) | instid1(VALU_DEP_1)
	v_div_scale_f64 v[20:21], null, v[18:19], v[18:19], 1.0
	v_rcp_f64_e32 v[22:23], v[20:21]
	v_nop
	s_delay_alu instid0(TRANS32_DEP_1) | instskip(NEXT) | instid1(VALU_DEP_1)
	v_fma_f64 v[24:25], -v[20:21], v[22:23], 1.0
	v_fmac_f64_e32 v[22:23], v[22:23], v[24:25]
	s_delay_alu instid0(VALU_DEP_1) | instskip(NEXT) | instid1(VALU_DEP_1)
	v_fma_f64 v[24:25], -v[20:21], v[22:23], 1.0
	v_fmac_f64_e32 v[22:23], v[22:23], v[24:25]
	v_div_scale_f64 v[24:25], vcc_lo, 1.0, v[18:19], 1.0
	s_delay_alu instid0(VALU_DEP_1) | instskip(NEXT) | instid1(VALU_DEP_1)
	v_mul_f64_e32 v[208:209], v[24:25], v[22:23]
	v_fma_f64 v[20:21], -v[20:21], v[208:209], v[24:25]
	s_delay_alu instid0(VALU_DEP_1) | instskip(NEXT) | instid1(VALU_DEP_1)
	v_div_fmas_f64 v[20:21], v[20:21], v[22:23], v[208:209]
	v_div_fixup_f64 v[22:23], v[20:21], v[18:19], 1.0
	s_delay_alu instid0(VALU_DEP_1)
	v_mul_f64_e64 v[24:25], v[4:5], -v[22:23]
.LBB179_509:                            ;   in Loop: Header=BB179_3 Depth=1
	s_or_b32 exec_lo, exec_lo, s90
	ds_store_b128 v152, v[22:25]
.LBB179_510:                            ;   in Loop: Header=BB179_3 Depth=1
	s_or_b32 exec_lo, exec_lo, s51
	s_and_not1_saveexec_b32 s50, s50
	s_cbranch_execz .LBB179_12
.LBB179_511:                            ;   in Loop: Header=BB179_3 Depth=1
	v_lshl_add_u64 v[4:5], v[36:37], 4, v[44:45]
	flat_load_b128 v[18:21], v[4:5]
	s_wait_loadcnt_dscnt 0x0
	v_xor_b32_e32 v19, 0x80000000, v19
	v_xor_b32_e32 v21, 0x80000000, v21
	ds_store_b128 v152, v[18:21]
	s_or_b32 exec_lo, exec_lo, s50
	s_and_saveexec_b32 s50, s9
	s_delay_alu instid0(SALU_CYCLE_1)
	s_xor_b32 s50, exec_lo, s50
	s_cbranch_execz .LBB179_13
.LBB179_512:                            ;   in Loop: Header=BB179_3 Depth=1
	s_mov_b32 s51, exec_lo
	v_readlane_b32 s90, v207, 13
	s_and_b32 s90, s51, s90
	s_delay_alu instid0(SALU_CYCLE_1)
	s_xor_b32 s51, s90, s51
	s_mov_b32 exec_lo, s90
	s_cbranch_execz .LBB179_516
; %bb.513:                              ;   in Loop: Header=BB179_3 Depth=1
	s_mov_b32 s90, exec_lo
	v_readlane_b32 s91, v207, 27
	s_and_b32 s91, s90, s91
	s_delay_alu instid0(SALU_CYCLE_1)
	s_mov_b32 exec_lo, s91
; %bb.514:                              ;   in Loop: Header=BB179_3 Depth=1
	v_dual_mov_b32 v3, v2 :: v_dual_mov_b32 v4, v2
	v_mov_b32_e32 v5, v2
	ds_store_b128 v154, v[2:5]
; %bb.515:                              ;   in Loop: Header=BB179_3 Depth=1
	s_or_b32 exec_lo, exec_lo, s90
.LBB179_516:                            ;   in Loop: Header=BB179_3 Depth=1
	s_and_not1_saveexec_b32 s51, s51
	s_cbranch_execz .LBB179_522
; %bb.517:                              ;   in Loop: Header=BB179_3 Depth=1
	v_lshl_add_u64 v[4:5], v[38:39], 4, v[44:45]
                                        ; implicit-def: $vgpr22_vgpr23
	flat_load_b128 v[18:21], v[4:5]
	s_wait_loadcnt_dscnt 0x0
	v_cmp_ngt_f64_e64 s90, |v[18:19]|, |v[20:21]|
	s_and_saveexec_b32 s91, s90
	s_delay_alu instid0(SALU_CYCLE_1)
	s_xor_b32 s90, exec_lo, s91
	s_cbranch_execz .LBB179_519
; %bb.518:                              ;   in Loop: Header=BB179_3 Depth=1
	v_div_scale_f64 v[4:5], null, v[20:21], v[20:21], v[18:19]
	v_div_scale_f64 v[208:209], vcc_lo, v[18:19], v[20:21], v[18:19]
	s_delay_alu instid0(VALU_DEP_2) | instskip(SKIP_1) | instid1(TRANS32_DEP_1)
	v_rcp_f64_e32 v[22:23], v[4:5]
	v_nop
	v_fma_f64 v[24:25], -v[4:5], v[22:23], 1.0
	s_delay_alu instid0(VALU_DEP_1) | instskip(NEXT) | instid1(VALU_DEP_1)
	v_fmac_f64_e32 v[22:23], v[22:23], v[24:25]
	v_fma_f64 v[24:25], -v[4:5], v[22:23], 1.0
	s_delay_alu instid0(VALU_DEP_1) | instskip(NEXT) | instid1(VALU_DEP_1)
	v_fmac_f64_e32 v[22:23], v[22:23], v[24:25]
	v_mul_f64_e32 v[24:25], v[208:209], v[22:23]
	s_delay_alu instid0(VALU_DEP_1) | instskip(NEXT) | instid1(VALU_DEP_1)
	v_fma_f64 v[4:5], -v[4:5], v[24:25], v[208:209]
	v_div_fmas_f64 v[4:5], v[4:5], v[22:23], v[24:25]
	s_delay_alu instid0(VALU_DEP_1) | instskip(NEXT) | instid1(VALU_DEP_1)
	v_div_fixup_f64 v[4:5], v[4:5], v[20:21], v[18:19]
	v_fmac_f64_e32 v[20:21], v[18:19], v[4:5]
	s_delay_alu instid0(VALU_DEP_1) | instskip(NEXT) | instid1(VALU_DEP_1)
	v_div_scale_f64 v[18:19], null, v[20:21], v[20:21], 1.0
	v_rcp_f64_e32 v[22:23], v[18:19]
	v_nop
	s_delay_alu instid0(TRANS32_DEP_1) | instskip(NEXT) | instid1(VALU_DEP_1)
	v_fma_f64 v[24:25], -v[18:19], v[22:23], 1.0
	v_fmac_f64_e32 v[22:23], v[22:23], v[24:25]
	s_delay_alu instid0(VALU_DEP_1) | instskip(NEXT) | instid1(VALU_DEP_1)
	v_fma_f64 v[24:25], -v[18:19], v[22:23], 1.0
	v_fmac_f64_e32 v[22:23], v[22:23], v[24:25]
	v_div_scale_f64 v[24:25], vcc_lo, 1.0, v[20:21], 1.0
	s_delay_alu instid0(VALU_DEP_1) | instskip(NEXT) | instid1(VALU_DEP_1)
	v_mul_f64_e32 v[208:209], v[24:25], v[22:23]
	v_fma_f64 v[18:19], -v[18:19], v[208:209], v[24:25]
	s_delay_alu instid0(VALU_DEP_1) | instskip(NEXT) | instid1(VALU_DEP_1)
	v_div_fmas_f64 v[18:19], v[18:19], v[22:23], v[208:209]
	v_div_fixup_f64 v[24:25], v[18:19], v[20:21], 1.0
                                        ; implicit-def: $vgpr18_vgpr19
	s_delay_alu instid0(VALU_DEP_1)
	v_mul_f64_e32 v[22:23], v[4:5], v[24:25]
	v_xor_b32_e32 v25, 0x80000000, v25
.LBB179_519:                            ;   in Loop: Header=BB179_3 Depth=1
	s_and_not1_saveexec_b32 s90, s90
	s_cbranch_execz .LBB179_521
; %bb.520:                              ;   in Loop: Header=BB179_3 Depth=1
	v_div_scale_f64 v[4:5], null, v[18:19], v[18:19], v[20:21]
	v_div_scale_f64 v[208:209], vcc_lo, v[20:21], v[18:19], v[20:21]
	s_delay_alu instid0(VALU_DEP_2) | instskip(SKIP_1) | instid1(TRANS32_DEP_1)
	v_rcp_f64_e32 v[22:23], v[4:5]
	v_nop
	v_fma_f64 v[24:25], -v[4:5], v[22:23], 1.0
	s_delay_alu instid0(VALU_DEP_1) | instskip(NEXT) | instid1(VALU_DEP_1)
	v_fmac_f64_e32 v[22:23], v[22:23], v[24:25]
	v_fma_f64 v[24:25], -v[4:5], v[22:23], 1.0
	s_delay_alu instid0(VALU_DEP_1) | instskip(NEXT) | instid1(VALU_DEP_1)
	v_fmac_f64_e32 v[22:23], v[22:23], v[24:25]
	v_mul_f64_e32 v[24:25], v[208:209], v[22:23]
	s_delay_alu instid0(VALU_DEP_1) | instskip(NEXT) | instid1(VALU_DEP_1)
	v_fma_f64 v[4:5], -v[4:5], v[24:25], v[208:209]
	v_div_fmas_f64 v[4:5], v[4:5], v[22:23], v[24:25]
	s_delay_alu instid0(VALU_DEP_1) | instskip(NEXT) | instid1(VALU_DEP_1)
	v_div_fixup_f64 v[4:5], v[4:5], v[18:19], v[20:21]
	v_fmac_f64_e32 v[18:19], v[20:21], v[4:5]
	s_delay_alu instid0(VALU_DEP_1) | instskip(NEXT) | instid1(VALU_DEP_1)
	v_div_scale_f64 v[20:21], null, v[18:19], v[18:19], 1.0
	v_rcp_f64_e32 v[22:23], v[20:21]
	v_nop
	s_delay_alu instid0(TRANS32_DEP_1) | instskip(NEXT) | instid1(VALU_DEP_1)
	v_fma_f64 v[24:25], -v[20:21], v[22:23], 1.0
	v_fmac_f64_e32 v[22:23], v[22:23], v[24:25]
	s_delay_alu instid0(VALU_DEP_1) | instskip(NEXT) | instid1(VALU_DEP_1)
	v_fma_f64 v[24:25], -v[20:21], v[22:23], 1.0
	v_fmac_f64_e32 v[22:23], v[22:23], v[24:25]
	v_div_scale_f64 v[24:25], vcc_lo, 1.0, v[18:19], 1.0
	s_delay_alu instid0(VALU_DEP_1) | instskip(NEXT) | instid1(VALU_DEP_1)
	v_mul_f64_e32 v[208:209], v[24:25], v[22:23]
	v_fma_f64 v[20:21], -v[20:21], v[208:209], v[24:25]
	s_delay_alu instid0(VALU_DEP_1) | instskip(NEXT) | instid1(VALU_DEP_1)
	v_div_fmas_f64 v[20:21], v[20:21], v[22:23], v[208:209]
	v_div_fixup_f64 v[22:23], v[20:21], v[18:19], 1.0
	s_delay_alu instid0(VALU_DEP_1)
	v_mul_f64_e64 v[24:25], v[4:5], -v[22:23]
.LBB179_521:                            ;   in Loop: Header=BB179_3 Depth=1
	s_or_b32 exec_lo, exec_lo, s90
	ds_store_b128 v154, v[22:25]
.LBB179_522:                            ;   in Loop: Header=BB179_3 Depth=1
	s_or_b32 exec_lo, exec_lo, s51
	s_and_not1_saveexec_b32 s50, s50
	s_cbranch_execnz .LBB179_14
	s_branch .LBB179_15
.LBB179_523:                            ;   in Loop: Header=BB179_3 Depth=1
	s_mov_b32 s51, exec_lo
	v_readlane_b32 s90, v207, 12
	s_and_b32 s90, s51, s90
	s_delay_alu instid0(SALU_CYCLE_1)
	s_xor_b32 s51, s90, s51
	s_mov_b32 exec_lo, s90
	s_cbranch_execz .LBB179_527
; %bb.524:                              ;   in Loop: Header=BB179_3 Depth=1
	s_mov_b32 s90, exec_lo
	v_readlane_b32 s91, v207, 26
	s_and_b32 s91, s90, s91
	s_delay_alu instid0(SALU_CYCLE_1)
	s_mov_b32 exec_lo, s91
; %bb.525:                              ;   in Loop: Header=BB179_3 Depth=1
	v_dual_mov_b32 v3, v2 :: v_dual_mov_b32 v4, v2
	v_mov_b32_e32 v5, v2
	ds_store_b128 v134, v[2:5]
; %bb.526:                              ;   in Loop: Header=BB179_3 Depth=1
	s_or_b32 exec_lo, exec_lo, s90
.LBB179_527:                            ;   in Loop: Header=BB179_3 Depth=1
	s_and_not1_saveexec_b32 s51, s51
	s_cbranch_execz .LBB179_533
; %bb.528:                              ;   in Loop: Header=BB179_3 Depth=1
	v_lshl_add_u64 v[4:5], v[36:37], 4, v[44:45]
                                        ; implicit-def: $vgpr22_vgpr23
	flat_load_b128 v[18:21], v[4:5]
	s_wait_loadcnt_dscnt 0x0
	v_cmp_ngt_f64_e64 s90, |v[18:19]|, |v[20:21]|
	s_and_saveexec_b32 s91, s90
	s_delay_alu instid0(SALU_CYCLE_1)
	s_xor_b32 s90, exec_lo, s91
	s_cbranch_execz .LBB179_530
; %bb.529:                              ;   in Loop: Header=BB179_3 Depth=1
	v_div_scale_f64 v[4:5], null, v[20:21], v[20:21], v[18:19]
	v_div_scale_f64 v[208:209], vcc_lo, v[18:19], v[20:21], v[18:19]
	s_delay_alu instid0(VALU_DEP_2) | instskip(SKIP_1) | instid1(TRANS32_DEP_1)
	v_rcp_f64_e32 v[22:23], v[4:5]
	v_nop
	v_fma_f64 v[24:25], -v[4:5], v[22:23], 1.0
	s_delay_alu instid0(VALU_DEP_1) | instskip(NEXT) | instid1(VALU_DEP_1)
	v_fmac_f64_e32 v[22:23], v[22:23], v[24:25]
	v_fma_f64 v[24:25], -v[4:5], v[22:23], 1.0
	s_delay_alu instid0(VALU_DEP_1) | instskip(NEXT) | instid1(VALU_DEP_1)
	v_fmac_f64_e32 v[22:23], v[22:23], v[24:25]
	v_mul_f64_e32 v[24:25], v[208:209], v[22:23]
	s_delay_alu instid0(VALU_DEP_1) | instskip(NEXT) | instid1(VALU_DEP_1)
	v_fma_f64 v[4:5], -v[4:5], v[24:25], v[208:209]
	v_div_fmas_f64 v[4:5], v[4:5], v[22:23], v[24:25]
	s_delay_alu instid0(VALU_DEP_1) | instskip(NEXT) | instid1(VALU_DEP_1)
	v_div_fixup_f64 v[4:5], v[4:5], v[20:21], v[18:19]
	v_fmac_f64_e32 v[20:21], v[18:19], v[4:5]
	s_delay_alu instid0(VALU_DEP_1) | instskip(NEXT) | instid1(VALU_DEP_1)
	v_div_scale_f64 v[18:19], null, v[20:21], v[20:21], 1.0
	v_rcp_f64_e32 v[22:23], v[18:19]
	v_nop
	s_delay_alu instid0(TRANS32_DEP_1) | instskip(NEXT) | instid1(VALU_DEP_1)
	v_fma_f64 v[24:25], -v[18:19], v[22:23], 1.0
	v_fmac_f64_e32 v[22:23], v[22:23], v[24:25]
	s_delay_alu instid0(VALU_DEP_1) | instskip(NEXT) | instid1(VALU_DEP_1)
	v_fma_f64 v[24:25], -v[18:19], v[22:23], 1.0
	v_fmac_f64_e32 v[22:23], v[22:23], v[24:25]
	v_div_scale_f64 v[24:25], vcc_lo, 1.0, v[20:21], 1.0
	s_delay_alu instid0(VALU_DEP_1) | instskip(NEXT) | instid1(VALU_DEP_1)
	v_mul_f64_e32 v[208:209], v[24:25], v[22:23]
	v_fma_f64 v[18:19], -v[18:19], v[208:209], v[24:25]
	s_delay_alu instid0(VALU_DEP_1) | instskip(NEXT) | instid1(VALU_DEP_1)
	v_div_fmas_f64 v[18:19], v[18:19], v[22:23], v[208:209]
	v_div_fixup_f64 v[24:25], v[18:19], v[20:21], 1.0
                                        ; implicit-def: $vgpr18_vgpr19
	s_delay_alu instid0(VALU_DEP_1)
	v_mul_f64_e32 v[22:23], v[4:5], v[24:25]
	v_xor_b32_e32 v25, 0x80000000, v25
.LBB179_530:                            ;   in Loop: Header=BB179_3 Depth=1
	s_and_not1_saveexec_b32 s90, s90
	s_cbranch_execz .LBB179_532
; %bb.531:                              ;   in Loop: Header=BB179_3 Depth=1
	v_div_scale_f64 v[4:5], null, v[18:19], v[18:19], v[20:21]
	v_div_scale_f64 v[208:209], vcc_lo, v[20:21], v[18:19], v[20:21]
	s_delay_alu instid0(VALU_DEP_2) | instskip(SKIP_1) | instid1(TRANS32_DEP_1)
	v_rcp_f64_e32 v[22:23], v[4:5]
	v_nop
	v_fma_f64 v[24:25], -v[4:5], v[22:23], 1.0
	s_delay_alu instid0(VALU_DEP_1) | instskip(NEXT) | instid1(VALU_DEP_1)
	v_fmac_f64_e32 v[22:23], v[22:23], v[24:25]
	v_fma_f64 v[24:25], -v[4:5], v[22:23], 1.0
	s_delay_alu instid0(VALU_DEP_1) | instskip(NEXT) | instid1(VALU_DEP_1)
	v_fmac_f64_e32 v[22:23], v[22:23], v[24:25]
	v_mul_f64_e32 v[24:25], v[208:209], v[22:23]
	s_delay_alu instid0(VALU_DEP_1) | instskip(NEXT) | instid1(VALU_DEP_1)
	v_fma_f64 v[4:5], -v[4:5], v[24:25], v[208:209]
	v_div_fmas_f64 v[4:5], v[4:5], v[22:23], v[24:25]
	s_delay_alu instid0(VALU_DEP_1) | instskip(NEXT) | instid1(VALU_DEP_1)
	v_div_fixup_f64 v[4:5], v[4:5], v[18:19], v[20:21]
	v_fmac_f64_e32 v[18:19], v[20:21], v[4:5]
	s_delay_alu instid0(VALU_DEP_1) | instskip(NEXT) | instid1(VALU_DEP_1)
	v_div_scale_f64 v[20:21], null, v[18:19], v[18:19], 1.0
	v_rcp_f64_e32 v[22:23], v[20:21]
	v_nop
	s_delay_alu instid0(TRANS32_DEP_1) | instskip(NEXT) | instid1(VALU_DEP_1)
	v_fma_f64 v[24:25], -v[20:21], v[22:23], 1.0
	v_fmac_f64_e32 v[22:23], v[22:23], v[24:25]
	s_delay_alu instid0(VALU_DEP_1) | instskip(NEXT) | instid1(VALU_DEP_1)
	v_fma_f64 v[24:25], -v[20:21], v[22:23], 1.0
	v_fmac_f64_e32 v[22:23], v[22:23], v[24:25]
	v_div_scale_f64 v[24:25], vcc_lo, 1.0, v[18:19], 1.0
	s_delay_alu instid0(VALU_DEP_1) | instskip(NEXT) | instid1(VALU_DEP_1)
	v_mul_f64_e32 v[208:209], v[24:25], v[22:23]
	v_fma_f64 v[20:21], -v[20:21], v[208:209], v[24:25]
	s_delay_alu instid0(VALU_DEP_1) | instskip(NEXT) | instid1(VALU_DEP_1)
	v_div_fmas_f64 v[20:21], v[20:21], v[22:23], v[208:209]
	v_div_fixup_f64 v[22:23], v[20:21], v[18:19], 1.0
	s_delay_alu instid0(VALU_DEP_1)
	v_mul_f64_e64 v[24:25], v[4:5], -v[22:23]
.LBB179_532:                            ;   in Loop: Header=BB179_3 Depth=1
	s_or_b32 exec_lo, exec_lo, s90
	ds_store_b128 v134, v[22:25]
.LBB179_533:                            ;   in Loop: Header=BB179_3 Depth=1
	s_or_b32 exec_lo, exec_lo, s51
	s_and_not1_saveexec_b32 s50, s50
	s_cbranch_execz .LBB179_19
.LBB179_534:                            ;   in Loop: Header=BB179_3 Depth=1
	v_lshl_add_u64 v[4:5], v[36:37], 4, v[44:45]
	flat_load_b128 v[18:21], v[4:5]
	s_wait_loadcnt_dscnt 0x0
	v_xor_b32_e32 v19, 0x80000000, v19
	v_xor_b32_e32 v21, 0x80000000, v21
	ds_store_b128 v134, v[18:21]
	s_or_b32 exec_lo, exec_lo, s50
	s_and_saveexec_b32 s50, s89
	s_delay_alu instid0(SALU_CYCLE_1)
	s_xor_b32 s50, exec_lo, s50
	s_cbranch_execz .LBB179_20
.LBB179_535:                            ;   in Loop: Header=BB179_3 Depth=1
	s_mov_b32 s51, exec_lo
	v_readlane_b32 s90, v207, 14
	s_and_b32 s90, s51, s90
	s_delay_alu instid0(SALU_CYCLE_1)
	s_xor_b32 s51, s90, s51
	s_mov_b32 exec_lo, s90
	s_cbranch_execz .LBB179_539
; %bb.536:                              ;   in Loop: Header=BB179_3 Depth=1
	s_mov_b32 s90, exec_lo
	v_readlane_b32 s91, v207, 27
	s_and_b32 s91, s90, s91
	s_delay_alu instid0(SALU_CYCLE_1)
	s_mov_b32 exec_lo, s91
; %bb.537:                              ;   in Loop: Header=BB179_3 Depth=1
	v_dual_mov_b32 v3, v2 :: v_dual_mov_b32 v4, v2
	v_mov_b32_e32 v5, v2
	ds_store_b128 v154, v[2:5]
; %bb.538:                              ;   in Loop: Header=BB179_3 Depth=1
	s_or_b32 exec_lo, exec_lo, s90
                                        ; implicit-def: $vgpr44_vgpr45
.LBB179_539:                            ;   in Loop: Header=BB179_3 Depth=1
	s_and_not1_saveexec_b32 s51, s51
	s_cbranch_execz .LBB179_545
; %bb.540:                              ;   in Loop: Header=BB179_3 Depth=1
	v_lshl_add_u64 v[4:5], v[38:39], 4, v[44:45]
                                        ; implicit-def: $vgpr22_vgpr23
	flat_load_b128 v[18:21], v[4:5]
	s_wait_loadcnt_dscnt 0x0
	v_cmp_ngt_f64_e64 s90, |v[18:19]|, |v[20:21]|
	s_and_saveexec_b32 s91, s90
	s_delay_alu instid0(SALU_CYCLE_1)
	s_xor_b32 s90, exec_lo, s91
	s_cbranch_execz .LBB179_542
; %bb.541:                              ;   in Loop: Header=BB179_3 Depth=1
	v_div_scale_f64 v[4:5], null, v[20:21], v[20:21], v[18:19]
	v_div_scale_f64 v[44:45], vcc_lo, v[18:19], v[20:21], v[18:19]
	s_delay_alu instid0(VALU_DEP_2) | instskip(SKIP_1) | instid1(TRANS32_DEP_1)
	v_rcp_f64_e32 v[22:23], v[4:5]
	v_nop
	v_fma_f64 v[24:25], -v[4:5], v[22:23], 1.0
	s_delay_alu instid0(VALU_DEP_1) | instskip(NEXT) | instid1(VALU_DEP_1)
	v_fmac_f64_e32 v[22:23], v[22:23], v[24:25]
	v_fma_f64 v[24:25], -v[4:5], v[22:23], 1.0
	s_delay_alu instid0(VALU_DEP_1) | instskip(NEXT) | instid1(VALU_DEP_1)
	v_fmac_f64_e32 v[22:23], v[22:23], v[24:25]
	v_mul_f64_e32 v[24:25], v[44:45], v[22:23]
	s_delay_alu instid0(VALU_DEP_1) | instskip(NEXT) | instid1(VALU_DEP_1)
	v_fma_f64 v[4:5], -v[4:5], v[24:25], v[44:45]
	v_div_fmas_f64 v[4:5], v[4:5], v[22:23], v[24:25]
	s_delay_alu instid0(VALU_DEP_1) | instskip(NEXT) | instid1(VALU_DEP_1)
	v_div_fixup_f64 v[4:5], v[4:5], v[20:21], v[18:19]
	v_fmac_f64_e32 v[20:21], v[18:19], v[4:5]
	s_delay_alu instid0(VALU_DEP_1) | instskip(NEXT) | instid1(VALU_DEP_1)
	v_div_scale_f64 v[18:19], null, v[20:21], v[20:21], 1.0
	v_rcp_f64_e32 v[22:23], v[18:19]
	v_nop
	s_delay_alu instid0(TRANS32_DEP_1) | instskip(NEXT) | instid1(VALU_DEP_1)
	v_fma_f64 v[24:25], -v[18:19], v[22:23], 1.0
	v_fmac_f64_e32 v[22:23], v[22:23], v[24:25]
	s_delay_alu instid0(VALU_DEP_1) | instskip(NEXT) | instid1(VALU_DEP_1)
	v_fma_f64 v[24:25], -v[18:19], v[22:23], 1.0
	v_fmac_f64_e32 v[22:23], v[22:23], v[24:25]
	v_div_scale_f64 v[24:25], vcc_lo, 1.0, v[20:21], 1.0
	s_delay_alu instid0(VALU_DEP_1) | instskip(NEXT) | instid1(VALU_DEP_1)
	v_mul_f64_e32 v[44:45], v[24:25], v[22:23]
	v_fma_f64 v[18:19], -v[18:19], v[44:45], v[24:25]
	s_delay_alu instid0(VALU_DEP_1) | instskip(NEXT) | instid1(VALU_DEP_1)
	v_div_fmas_f64 v[18:19], v[18:19], v[22:23], v[44:45]
	v_div_fixup_f64 v[24:25], v[18:19], v[20:21], 1.0
                                        ; implicit-def: $vgpr18_vgpr19
	s_delay_alu instid0(VALU_DEP_1)
	v_mul_f64_e32 v[22:23], v[4:5], v[24:25]
	v_xor_b32_e32 v25, 0x80000000, v25
.LBB179_542:                            ;   in Loop: Header=BB179_3 Depth=1
	s_and_not1_saveexec_b32 s90, s90
	s_cbranch_execz .LBB179_544
; %bb.543:                              ;   in Loop: Header=BB179_3 Depth=1
	v_div_scale_f64 v[4:5], null, v[18:19], v[18:19], v[20:21]
	v_div_scale_f64 v[44:45], vcc_lo, v[20:21], v[18:19], v[20:21]
	s_delay_alu instid0(VALU_DEP_2) | instskip(SKIP_1) | instid1(TRANS32_DEP_1)
	v_rcp_f64_e32 v[22:23], v[4:5]
	v_nop
	v_fma_f64 v[24:25], -v[4:5], v[22:23], 1.0
	s_delay_alu instid0(VALU_DEP_1) | instskip(NEXT) | instid1(VALU_DEP_1)
	v_fmac_f64_e32 v[22:23], v[22:23], v[24:25]
	v_fma_f64 v[24:25], -v[4:5], v[22:23], 1.0
	s_delay_alu instid0(VALU_DEP_1) | instskip(NEXT) | instid1(VALU_DEP_1)
	v_fmac_f64_e32 v[22:23], v[22:23], v[24:25]
	v_mul_f64_e32 v[24:25], v[44:45], v[22:23]
	s_delay_alu instid0(VALU_DEP_1) | instskip(NEXT) | instid1(VALU_DEP_1)
	v_fma_f64 v[4:5], -v[4:5], v[24:25], v[44:45]
	v_div_fmas_f64 v[4:5], v[4:5], v[22:23], v[24:25]
	s_delay_alu instid0(VALU_DEP_1) | instskip(NEXT) | instid1(VALU_DEP_1)
	v_div_fixup_f64 v[4:5], v[4:5], v[18:19], v[20:21]
	v_fmac_f64_e32 v[18:19], v[20:21], v[4:5]
	s_delay_alu instid0(VALU_DEP_1) | instskip(NEXT) | instid1(VALU_DEP_1)
	v_div_scale_f64 v[20:21], null, v[18:19], v[18:19], 1.0
	v_rcp_f64_e32 v[22:23], v[20:21]
	v_nop
	s_delay_alu instid0(TRANS32_DEP_1) | instskip(NEXT) | instid1(VALU_DEP_1)
	v_fma_f64 v[24:25], -v[20:21], v[22:23], 1.0
	v_fmac_f64_e32 v[22:23], v[22:23], v[24:25]
	s_delay_alu instid0(VALU_DEP_1) | instskip(NEXT) | instid1(VALU_DEP_1)
	v_fma_f64 v[24:25], -v[20:21], v[22:23], 1.0
	v_fmac_f64_e32 v[22:23], v[22:23], v[24:25]
	v_div_scale_f64 v[24:25], vcc_lo, 1.0, v[18:19], 1.0
	s_delay_alu instid0(VALU_DEP_1) | instskip(NEXT) | instid1(VALU_DEP_1)
	v_mul_f64_e32 v[44:45], v[24:25], v[22:23]
	v_fma_f64 v[20:21], -v[20:21], v[44:45], v[24:25]
	s_delay_alu instid0(VALU_DEP_1) | instskip(NEXT) | instid1(VALU_DEP_1)
	v_div_fmas_f64 v[20:21], v[20:21], v[22:23], v[44:45]
	v_div_fixup_f64 v[22:23], v[20:21], v[18:19], 1.0
	s_delay_alu instid0(VALU_DEP_1)
	v_mul_f64_e64 v[24:25], v[4:5], -v[22:23]
.LBB179_544:                            ;   in Loop: Header=BB179_3 Depth=1
	s_or_b32 exec_lo, exec_lo, s90
	ds_store_b128 v154, v[22:25]
.LBB179_545:                            ;   in Loop: Header=BB179_3 Depth=1
	s_or_b32 exec_lo, exec_lo, s51
                                        ; implicit-def: $vgpr44_vgpr45
	s_and_not1_saveexec_b32 s50, s50
	s_cbranch_execnz .LBB179_21
	s_branch .LBB179_22
.LBB179_546:                            ;   in Loop: Header=BB179_3 Depth=1
	s_or_b32 exec_lo, exec_lo, vcc_lo
	s_delay_alu instid0(SALU_CYCLE_1)
	s_and_b32 vcc_lo, exec_lo, s51
	s_cbranch_vccnz .LBB179_484
.LBB179_547:                            ;   in Loop: Header=BB179_3 Depth=1
	s_delay_alu instid0(VALU_DEP_1) | instskip(NEXT) | instid1(VALU_DEP_3)
	v_mov_b64_e32 v[20:21], v[4:5]
	v_mov_b64_e32 v[18:19], v[24:25]
	s_and_saveexec_b32 s51, s50
	s_cbranch_execnz .LBB179_497
	s_branch .LBB179_498
.LBB179_548:                            ;   in Loop: Header=BB179_3 Depth=1
	s_and_not1_b32 s50, s50, exec_lo
	s_and_b32 s90, s4, exec_lo
	s_delay_alu instid0(SALU_CYCLE_1)
	s_or_b32 s50, s50, s90
	s_cbranch_execnz .LBB179_496
.LBB179_549:                            ;   in Loop: Header=BB179_3 Depth=1
	v_readlane_b32 s51, v207, 10
	s_and_not1_b32 s50, s50, exec_lo
	s_and_b32 s51, s51, exec_lo
	s_delay_alu instid0(SALU_CYCLE_1) | instskip(NEXT) | instid1(SALU_CYCLE_1)
	s_or_b32 s50, s50, s51
	s_and_saveexec_b32 s51, s50
	s_cbranch_execnz .LBB179_497
	s_branch .LBB179_498
.LBB179_550:                            ;   in Loop: Header=BB179_3 Depth=1
	ds_load_b128 v[22:25], v50 offset:16
	ds_load_b128 v[208:211], v57 offset:576
	s_wait_dscnt 0x0
	v_mul_f64_e32 v[4:5], v[24:25], v[210:211]
	s_delay_alu instid0(VALU_DEP_1) | instskip(SKIP_1) | instid1(VALU_DEP_2)
	v_fma_f64 v[4:5], v[22:23], v[208:209], -v[4:5]
	v_mul_f64_e32 v[22:23], v[22:23], v[210:211]
	v_add_f64_e32 v[18:19], v[18:19], v[4:5]
	s_delay_alu instid0(VALU_DEP_2) | instskip(NEXT) | instid1(VALU_DEP_1)
	v_fmac_f64_e32 v[22:23], v[24:25], v[208:209]
	v_add_f64_e32 v[20:21], v[20:21], v[22:23]
	s_or_b32 exec_lo, exec_lo, s51
	s_and_saveexec_b32 s51, s14
	s_cbranch_execz .LBB179_45
.LBB179_551:                            ;   in Loop: Header=BB179_3 Depth=1
	ds_load_b128 v[22:25], v50 offset:32
	ds_load_b128 v[208:211], v56 offset:1088
	s_wait_dscnt 0x0
	v_mul_f64_e32 v[4:5], v[24:25], v[210:211]
	s_delay_alu instid0(VALU_DEP_1) | instskip(SKIP_1) | instid1(VALU_DEP_2)
	v_fma_f64 v[4:5], v[22:23], v[208:209], -v[4:5]
	v_mul_f64_e32 v[22:23], v[22:23], v[210:211]
	v_add_f64_e32 v[18:19], v[18:19], v[4:5]
	s_delay_alu instid0(VALU_DEP_2) | instskip(NEXT) | instid1(VALU_DEP_1)
	v_fmac_f64_e32 v[22:23], v[24:25], v[208:209]
	v_add_f64_e32 v[20:21], v[20:21], v[22:23]
	s_or_b32 exec_lo, exec_lo, s51
	s_and_saveexec_b32 s51, s3
	s_cbranch_execnz .LBB179_46
	s_branch .LBB179_47
.LBB179_552:                            ;   in Loop: Header=BB179_3 Depth=1
	ds_load_b128 v[22:25], v58 offset:16
	ds_load_b128 v[208:211], v64 offset:640
	s_wait_dscnt 0x0
	v_mul_f64_e32 v[4:5], v[24:25], v[210:211]
	s_delay_alu instid0(VALU_DEP_1) | instskip(SKIP_1) | instid1(VALU_DEP_2)
	v_fma_f64 v[4:5], v[22:23], v[208:209], -v[4:5]
	v_mul_f64_e32 v[22:23], v[22:23], v[210:211]
	v_add_f64_e32 v[18:19], v[18:19], v[4:5]
	s_delay_alu instid0(VALU_DEP_2) | instskip(NEXT) | instid1(VALU_DEP_1)
	v_fmac_f64_e32 v[22:23], v[24:25], v[208:209]
	v_add_f64_e32 v[20:21], v[20:21], v[22:23]
	s_or_b32 exec_lo, exec_lo, s51
	s_and_saveexec_b32 s51, s16
	s_cbranch_execz .LBB179_87
.LBB179_553:                            ;   in Loop: Header=BB179_3 Depth=1
	ds_load_b128 v[22:25], v58 offset:32
	ds_load_b128 v[208:211], v64 offset:1152
	s_wait_dscnt 0x0
	v_mul_f64_e32 v[4:5], v[24:25], v[210:211]
	s_delay_alu instid0(VALU_DEP_1) | instskip(SKIP_1) | instid1(VALU_DEP_2)
	v_fma_f64 v[4:5], v[22:23], v[208:209], -v[4:5]
	v_mul_f64_e32 v[22:23], v[22:23], v[210:211]
	v_add_f64_e32 v[18:19], v[18:19], v[4:5]
	s_delay_alu instid0(VALU_DEP_2) | instskip(NEXT) | instid1(VALU_DEP_1)
	v_fmac_f64_e32 v[22:23], v[24:25], v[208:209]
	v_add_f64_e32 v[20:21], v[20:21], v[22:23]
	s_or_b32 exec_lo, exec_lo, s51
	s_and_saveexec_b32 s51, s17
	s_cbranch_execz .LBB179_88
.LBB179_554:                            ;   in Loop: Header=BB179_3 Depth=1
	ds_load_b128 v[22:25], v58 offset:48
	ds_load_b128 v[208:211], v64 offset:1664
	s_wait_dscnt 0x0
	v_mul_f64_e32 v[4:5], v[24:25], v[210:211]
	s_delay_alu instid0(VALU_DEP_1) | instskip(SKIP_1) | instid1(VALU_DEP_2)
	v_fma_f64 v[4:5], v[22:23], v[208:209], -v[4:5]
	v_mul_f64_e32 v[22:23], v[22:23], v[210:211]
	v_add_f64_e32 v[18:19], v[18:19], v[4:5]
	s_delay_alu instid0(VALU_DEP_2) | instskip(NEXT) | instid1(VALU_DEP_1)
	v_fmac_f64_e32 v[22:23], v[24:25], v[208:209]
	v_add_f64_e32 v[20:21], v[20:21], v[22:23]
	s_or_b32 exec_lo, exec_lo, s51
	s_and_saveexec_b32 s51, s18
	s_cbranch_execz .LBB179_89
.LBB179_555:                            ;   in Loop: Header=BB179_3 Depth=1
	ds_load_b128 v[22:25], v58 offset:64
	ds_load_b128 v[208:211], v63 offset:2176
	s_wait_dscnt 0x0
	v_mul_f64_e32 v[4:5], v[24:25], v[210:211]
	s_delay_alu instid0(VALU_DEP_1) | instskip(SKIP_1) | instid1(VALU_DEP_2)
	v_fma_f64 v[4:5], v[22:23], v[208:209], -v[4:5]
	v_mul_f64_e32 v[22:23], v[22:23], v[210:211]
	v_add_f64_e32 v[18:19], v[18:19], v[4:5]
	s_delay_alu instid0(VALU_DEP_2) | instskip(NEXT) | instid1(VALU_DEP_1)
	v_fmac_f64_e32 v[22:23], v[24:25], v[208:209]
	v_add_f64_e32 v[20:21], v[20:21], v[22:23]
	s_or_b32 exec_lo, exec_lo, s51
	s_and_saveexec_b32 s51, s19
	s_cbranch_execz .LBB179_90
.LBB179_556:                            ;   in Loop: Header=BB179_3 Depth=1
	ds_load_b128 v[22:25], v58 offset:80
	ds_load_b128 v[208:211], v64 offset:2688
	s_wait_dscnt 0x0
	v_mul_f64_e32 v[4:5], v[24:25], v[210:211]
	s_delay_alu instid0(VALU_DEP_1) | instskip(SKIP_1) | instid1(VALU_DEP_2)
	v_fma_f64 v[4:5], v[22:23], v[208:209], -v[4:5]
	v_mul_f64_e32 v[22:23], v[22:23], v[210:211]
	v_add_f64_e32 v[18:19], v[18:19], v[4:5]
	s_delay_alu instid0(VALU_DEP_2) | instskip(NEXT) | instid1(VALU_DEP_1)
	v_fmac_f64_e32 v[22:23], v[24:25], v[208:209]
	v_add_f64_e32 v[20:21], v[20:21], v[22:23]
	s_or_b32 exec_lo, exec_lo, s51
	s_and_saveexec_b32 s51, s5
	s_cbranch_execz .LBB179_91
.LBB179_557:                            ;   in Loop: Header=BB179_3 Depth=1
	ds_load_b128 v[22:25], v58 offset:96
	ds_load_b128 v[208:211], v63 offset:3200
	s_wait_dscnt 0x0
	v_mul_f64_e32 v[4:5], v[24:25], v[210:211]
	s_delay_alu instid0(VALU_DEP_1) | instskip(SKIP_1) | instid1(VALU_DEP_2)
	v_fma_f64 v[4:5], v[22:23], v[208:209], -v[4:5]
	v_mul_f64_e32 v[22:23], v[22:23], v[210:211]
	v_add_f64_e32 v[18:19], v[18:19], v[4:5]
	s_delay_alu instid0(VALU_DEP_2) | instskip(NEXT) | instid1(VALU_DEP_1)
	v_fmac_f64_e32 v[22:23], v[24:25], v[208:209]
	v_add_f64_e32 v[20:21], v[20:21], v[22:23]
	s_or_b32 exec_lo, exec_lo, s51
	s_and_saveexec_b32 s51, s14
	s_cbranch_execnz .LBB179_92
	s_branch .LBB179_93
.LBB179_558:                            ;   in Loop: Header=BB179_3 Depth=1
	ds_load_b128 v[22:25], v50 offset:4240
	ds_load_b128 v[208:211], v57 offset:4800
	s_wait_dscnt 0x0
	v_mul_f64_e32 v[4:5], v[24:25], v[210:211]
	s_delay_alu instid0(VALU_DEP_1) | instskip(SKIP_1) | instid1(VALU_DEP_2)
	v_fma_f64 v[4:5], v[22:23], v[208:209], -v[4:5]
	v_mul_f64_e32 v[22:23], v[22:23], v[210:211]
	v_add_f64_e32 v[18:19], v[18:19], v[4:5]
	s_delay_alu instid0(VALU_DEP_2) | instskip(NEXT) | instid1(VALU_DEP_1)
	v_fmac_f64_e32 v[22:23], v[24:25], v[208:209]
	v_add_f64_e32 v[20:21], v[20:21], v[22:23]
	s_or_b32 exec_lo, exec_lo, s51
	s_and_saveexec_b32 s51, s14
	s_cbranch_execz .LBB179_149
.LBB179_559:                            ;   in Loop: Header=BB179_3 Depth=1
	ds_load_b128 v[22:25], v50 offset:4256
	ds_load_b128 v[208:211], v56 offset:5312
	s_wait_dscnt 0x0
	v_mul_f64_e32 v[4:5], v[24:25], v[210:211]
	s_delay_alu instid0(VALU_DEP_1) | instskip(SKIP_1) | instid1(VALU_DEP_2)
	v_fma_f64 v[4:5], v[22:23], v[208:209], -v[4:5]
	v_mul_f64_e32 v[22:23], v[22:23], v[210:211]
	v_add_f64_e32 v[18:19], v[18:19], v[4:5]
	s_delay_alu instid0(VALU_DEP_2) | instskip(NEXT) | instid1(VALU_DEP_1)
	v_fmac_f64_e32 v[22:23], v[24:25], v[208:209]
	v_add_f64_e32 v[20:21], v[20:21], v[22:23]
	s_or_b32 exec_lo, exec_lo, s51
	s_and_saveexec_b32 s51, s3
	s_cbranch_execnz .LBB179_150
	s_branch .LBB179_151
.LBB179_560:                            ;   in Loop: Header=BB179_3 Depth=1
	ds_load_b128 v[22:25], v3 offset:176
	ds_load_b128 v[208:211], v179 offset:5888
	s_wait_dscnt 0x0
	v_mul_f64_e32 v[4:5], v[24:25], v[210:211]
	s_delay_alu instid0(VALU_DEP_1) | instskip(SKIP_1) | instid1(VALU_DEP_2)
	v_fma_f64 v[4:5], v[22:23], v[208:209], -v[4:5]
	v_mul_f64_e32 v[22:23], v[22:23], v[210:211]
	v_add_f64_e32 v[18:19], v[18:19], v[4:5]
	s_delay_alu instid0(VALU_DEP_2) | instskip(NEXT) | instid1(VALU_DEP_1)
	v_fmac_f64_e32 v[22:23], v[24:25], v[208:209]
	v_add_f64_e32 v[20:21], v[20:21], v[22:23]
	s_or_b32 exec_lo, exec_lo, s51
	s_and_saveexec_b32 s51, s6
	s_cbranch_execz .LBB179_211
.LBB179_561:                            ;   in Loop: Header=BB179_3 Depth=1
	ds_load_b128 v[22:25], v3 offset:192
	ds_load_b128 v[208:211], v179 offset:6400
	s_wait_dscnt 0x0
	v_mul_f64_e32 v[4:5], v[24:25], v[210:211]
	s_delay_alu instid0(VALU_DEP_1) | instskip(SKIP_1) | instid1(VALU_DEP_2)
	v_fma_f64 v[4:5], v[22:23], v[208:209], -v[4:5]
	v_mul_f64_e32 v[22:23], v[22:23], v[210:211]
	v_add_f64_e32 v[18:19], v[18:19], v[4:5]
	s_delay_alu instid0(VALU_DEP_2) | instskip(NEXT) | instid1(VALU_DEP_1)
	v_fmac_f64_e32 v[22:23], v[24:25], v[208:209]
	v_add_f64_e32 v[20:21], v[20:21], v[22:23]
	s_or_b32 exec_lo, exec_lo, s51
	s_and_saveexec_b32 s51, s16
	s_cbranch_execz .LBB179_212
.LBB179_562:                            ;   in Loop: Header=BB179_3 Depth=1
	ds_load_b128 v[22:25], v3 offset:208
	ds_load_b128 v[208:211], v179 offset:6912
	s_wait_dscnt 0x0
	v_mul_f64_e32 v[4:5], v[24:25], v[210:211]
	s_delay_alu instid0(VALU_DEP_1) | instskip(SKIP_1) | instid1(VALU_DEP_2)
	v_fma_f64 v[4:5], v[22:23], v[208:209], -v[4:5]
	v_mul_f64_e32 v[22:23], v[22:23], v[210:211]
	v_add_f64_e32 v[18:19], v[18:19], v[4:5]
	s_delay_alu instid0(VALU_DEP_2) | instskip(NEXT) | instid1(VALU_DEP_1)
	v_fmac_f64_e32 v[22:23], v[24:25], v[208:209]
	v_add_f64_e32 v[20:21], v[20:21], v[22:23]
	s_or_b32 exec_lo, exec_lo, s51
	s_and_saveexec_b32 s51, s18
	s_cbranch_execz .LBB179_213
.LBB179_563:                            ;   in Loop: Header=BB179_3 Depth=1
	ds_load_b128 v[22:25], v3 offset:224
	ds_load_b128 v[208:211], v179 offset:7424
	s_wait_dscnt 0x0
	v_mul_f64_e32 v[4:5], v[24:25], v[210:211]
	s_delay_alu instid0(VALU_DEP_1) | instskip(SKIP_1) | instid1(VALU_DEP_2)
	v_fma_f64 v[4:5], v[22:23], v[208:209], -v[4:5]
	v_mul_f64_e32 v[22:23], v[22:23], v[210:211]
	v_add_f64_e32 v[18:19], v[18:19], v[4:5]
	s_delay_alu instid0(VALU_DEP_2) | instskip(NEXT) | instid1(VALU_DEP_1)
	v_fmac_f64_e32 v[22:23], v[24:25], v[208:209]
	v_add_f64_e32 v[20:21], v[20:21], v[22:23]
	s_or_b32 exec_lo, exec_lo, s51
	s_and_saveexec_b32 s51, s5
	s_cbranch_execnz .LBB179_214
	s_branch .LBB179_215
.LBB179_564:                            ;   in Loop: Header=BB179_3 Depth=1
	ds_load_b128 v[22:25], v50 offset:8464
	ds_load_b128 v[208:211], v57 offset:9024
	s_wait_dscnt 0x0
	v_mul_f64_e32 v[4:5], v[24:25], v[210:211]
	s_delay_alu instid0(VALU_DEP_1) | instskip(SKIP_1) | instid1(VALU_DEP_2)
	v_fma_f64 v[4:5], v[22:23], v[208:209], -v[4:5]
	v_mul_f64_e32 v[22:23], v[22:23], v[210:211]
	v_add_f64_e32 v[18:19], v[18:19], v[4:5]
	s_delay_alu instid0(VALU_DEP_2) | instskip(NEXT) | instid1(VALU_DEP_1)
	v_fmac_f64_e32 v[22:23], v[24:25], v[208:209]
	v_add_f64_e32 v[20:21], v[20:21], v[22:23]
	s_or_b32 exec_lo, exec_lo, s51
	s_and_saveexec_b32 s51, s14
	s_cbranch_execz .LBB179_303
.LBB179_565:                            ;   in Loop: Header=BB179_3 Depth=1
	ds_load_b128 v[22:25], v50 offset:8480
	ds_load_b128 v[208:211], v56 offset:9536
	s_wait_dscnt 0x0
	v_mul_f64_e32 v[4:5], v[24:25], v[210:211]
	s_delay_alu instid0(VALU_DEP_1) | instskip(SKIP_1) | instid1(VALU_DEP_2)
	v_fma_f64 v[4:5], v[22:23], v[208:209], -v[4:5]
	v_mul_f64_e32 v[22:23], v[22:23], v[210:211]
	v_add_f64_e32 v[18:19], v[18:19], v[4:5]
	s_delay_alu instid0(VALU_DEP_2) | instskip(NEXT) | instid1(VALU_DEP_1)
	v_fmac_f64_e32 v[22:23], v[24:25], v[208:209]
	v_add_f64_e32 v[20:21], v[20:21], v[22:23]
	s_or_b32 exec_lo, exec_lo, s51
	s_and_saveexec_b32 s51, s3
	s_cbranch_execnz .LBB179_304
	s_branch .LBB179_305
.LBB179_566:                            ;   in Loop: Header=BB179_3 Depth=1
	ds_load_b128 v[22:25], v58 offset:8464
	ds_load_b128 v[208:211], v64 offset:9088
	s_wait_dscnt 0x0
	v_mul_f64_e32 v[4:5], v[24:25], v[210:211]
	s_delay_alu instid0(VALU_DEP_1) | instskip(SKIP_1) | instid1(VALU_DEP_2)
	v_fma_f64 v[4:5], v[22:23], v[208:209], -v[4:5]
	v_mul_f64_e32 v[22:23], v[22:23], v[210:211]
	v_add_f64_e32 v[18:19], v[18:19], v[4:5]
	s_delay_alu instid0(VALU_DEP_2) | instskip(NEXT) | instid1(VALU_DEP_1)
	v_fmac_f64_e32 v[22:23], v[24:25], v[208:209]
	v_add_f64_e32 v[20:21], v[20:21], v[22:23]
	s_or_b32 exec_lo, exec_lo, s51
	s_and_saveexec_b32 s51, s16
	s_cbranch_execz .LBB179_345
.LBB179_567:                            ;   in Loop: Header=BB179_3 Depth=1
	ds_load_b128 v[22:25], v58 offset:8480
	ds_load_b128 v[208:211], v64 offset:9600
	s_wait_dscnt 0x0
	v_mul_f64_e32 v[4:5], v[24:25], v[210:211]
	s_delay_alu instid0(VALU_DEP_1) | instskip(SKIP_1) | instid1(VALU_DEP_2)
	v_fma_f64 v[4:5], v[22:23], v[208:209], -v[4:5]
	v_mul_f64_e32 v[22:23], v[22:23], v[210:211]
	v_add_f64_e32 v[18:19], v[18:19], v[4:5]
	s_delay_alu instid0(VALU_DEP_2) | instskip(NEXT) | instid1(VALU_DEP_1)
	v_fmac_f64_e32 v[22:23], v[24:25], v[208:209]
	v_add_f64_e32 v[20:21], v[20:21], v[22:23]
	s_or_b32 exec_lo, exec_lo, s51
	s_and_saveexec_b32 s51, s17
	s_cbranch_execz .LBB179_346
.LBB179_568:                            ;   in Loop: Header=BB179_3 Depth=1
	ds_load_b128 v[22:25], v58 offset:8496
	ds_load_b128 v[208:211], v64 offset:10112
	s_wait_dscnt 0x0
	v_mul_f64_e32 v[4:5], v[24:25], v[210:211]
	s_delay_alu instid0(VALU_DEP_1) | instskip(SKIP_1) | instid1(VALU_DEP_2)
	v_fma_f64 v[4:5], v[22:23], v[208:209], -v[4:5]
	v_mul_f64_e32 v[22:23], v[22:23], v[210:211]
	v_add_f64_e32 v[18:19], v[18:19], v[4:5]
	s_delay_alu instid0(VALU_DEP_2) | instskip(NEXT) | instid1(VALU_DEP_1)
	v_fmac_f64_e32 v[22:23], v[24:25], v[208:209]
	v_add_f64_e32 v[20:21], v[20:21], v[22:23]
	s_or_b32 exec_lo, exec_lo, s51
	s_and_saveexec_b32 s51, s18
	s_cbranch_execz .LBB179_347
.LBB179_569:                            ;   in Loop: Header=BB179_3 Depth=1
	ds_load_b128 v[22:25], v58 offset:8512
	ds_load_b128 v[208:211], v63 offset:10624
	s_wait_dscnt 0x0
	v_mul_f64_e32 v[4:5], v[24:25], v[210:211]
	s_delay_alu instid0(VALU_DEP_1) | instskip(SKIP_1) | instid1(VALU_DEP_2)
	v_fma_f64 v[4:5], v[22:23], v[208:209], -v[4:5]
	v_mul_f64_e32 v[22:23], v[22:23], v[210:211]
	v_add_f64_e32 v[18:19], v[18:19], v[4:5]
	s_delay_alu instid0(VALU_DEP_2) | instskip(NEXT) | instid1(VALU_DEP_1)
	v_fmac_f64_e32 v[22:23], v[24:25], v[208:209]
	v_add_f64_e32 v[20:21], v[20:21], v[22:23]
	s_or_b32 exec_lo, exec_lo, s51
	s_and_saveexec_b32 s51, s19
	s_cbranch_execz .LBB179_348
.LBB179_570:                            ;   in Loop: Header=BB179_3 Depth=1
	ds_load_b128 v[22:25], v58 offset:8528
	ds_load_b128 v[208:211], v64 offset:11136
	s_wait_dscnt 0x0
	v_mul_f64_e32 v[4:5], v[24:25], v[210:211]
	s_delay_alu instid0(VALU_DEP_1) | instskip(SKIP_1) | instid1(VALU_DEP_2)
	v_fma_f64 v[4:5], v[22:23], v[208:209], -v[4:5]
	v_mul_f64_e32 v[22:23], v[22:23], v[210:211]
	v_add_f64_e32 v[18:19], v[18:19], v[4:5]
	s_delay_alu instid0(VALU_DEP_2) | instskip(NEXT) | instid1(VALU_DEP_1)
	v_fmac_f64_e32 v[22:23], v[24:25], v[208:209]
	v_add_f64_e32 v[20:21], v[20:21], v[22:23]
	s_or_b32 exec_lo, exec_lo, s51
	s_and_saveexec_b32 s51, s5
	s_cbranch_execz .LBB179_349
.LBB179_571:                            ;   in Loop: Header=BB179_3 Depth=1
	ds_load_b128 v[22:25], v58 offset:8544
	ds_load_b128 v[208:211], v63 offset:11648
	s_wait_dscnt 0x0
	v_mul_f64_e32 v[4:5], v[24:25], v[210:211]
	s_delay_alu instid0(VALU_DEP_1) | instskip(SKIP_1) | instid1(VALU_DEP_2)
	v_fma_f64 v[4:5], v[22:23], v[208:209], -v[4:5]
	v_mul_f64_e32 v[22:23], v[22:23], v[210:211]
	v_add_f64_e32 v[18:19], v[18:19], v[4:5]
	s_delay_alu instid0(VALU_DEP_2) | instskip(NEXT) | instid1(VALU_DEP_1)
	v_fmac_f64_e32 v[22:23], v[24:25], v[208:209]
	v_add_f64_e32 v[20:21], v[20:21], v[22:23]
	s_or_b32 exec_lo, exec_lo, s51
	s_and_saveexec_b32 s51, s14
	s_cbranch_execnz .LBB179_350
	s_branch .LBB179_351
.LBB179_572:                            ;   in Loop: Header=BB179_3 Depth=1
	ds_load_b128 v[22:25], v50 offset:12688
	ds_load_b128 v[208:211], v57 offset:13248
	s_wait_dscnt 0x0
	v_mul_f64_e32 v[4:5], v[24:25], v[210:211]
	s_delay_alu instid0(VALU_DEP_1) | instskip(SKIP_1) | instid1(VALU_DEP_2)
	v_fma_f64 v[4:5], v[22:23], v[208:209], -v[4:5]
	v_mul_f64_e32 v[22:23], v[22:23], v[210:211]
	v_add_f64_e32 v[18:19], v[18:19], v[4:5]
	s_delay_alu instid0(VALU_DEP_2) | instskip(NEXT) | instid1(VALU_DEP_1)
	v_fmac_f64_e32 v[22:23], v[24:25], v[208:209]
	v_add_f64_e32 v[20:21], v[20:21], v[22:23]
	s_or_b32 exec_lo, exec_lo, s51
	s_and_saveexec_b32 s51, s14
	s_cbranch_execz .LBB179_407
.LBB179_573:                            ;   in Loop: Header=BB179_3 Depth=1
	ds_load_b128 v[22:25], v50 offset:12704
	ds_load_b128 v[208:211], v56 offset:13760
	s_wait_dscnt 0x0
	v_mul_f64_e32 v[4:5], v[24:25], v[210:211]
	s_delay_alu instid0(VALU_DEP_1) | instskip(SKIP_1) | instid1(VALU_DEP_2)
	v_fma_f64 v[4:5], v[22:23], v[208:209], -v[4:5]
	v_mul_f64_e32 v[22:23], v[22:23], v[210:211]
	v_add_f64_e32 v[18:19], v[18:19], v[4:5]
	s_delay_alu instid0(VALU_DEP_2) | instskip(NEXT) | instid1(VALU_DEP_1)
	v_fmac_f64_e32 v[22:23], v[24:25], v[208:209]
	v_add_f64_e32 v[20:21], v[20:21], v[22:23]
	s_or_b32 exec_lo, exec_lo, s51
	s_and_saveexec_b32 s51, s3
	s_cbranch_execnz .LBB179_408
	s_branch .LBB179_409
.LBB179_574:
	s_endpgm
	.section	.rodata,"a",@progbits
	.p2align	6, 0x0
	.amdhsa_kernel _ZL19rocblas_trsv_deviceILi32ELi16ELb1ELb1ELb0ELb0E19rocblas_complex_numIdEPKS1_PKS3_PKPS1_EviT7_lllT6_T8_lllPii
		.amdhsa_group_segment_fixed_size 25104
		.amdhsa_private_segment_fixed_size 0
		.amdhsa_kernarg_size 352
		.amdhsa_user_sgpr_count 2
		.amdhsa_user_sgpr_dispatch_ptr 0
		.amdhsa_user_sgpr_queue_ptr 0
		.amdhsa_user_sgpr_kernarg_segment_ptr 1
		.amdhsa_user_sgpr_dispatch_id 0
		.amdhsa_user_sgpr_kernarg_preload_length 0
		.amdhsa_user_sgpr_kernarg_preload_offset 0
		.amdhsa_user_sgpr_private_segment_size 0
		.amdhsa_wavefront_size32 1
		.amdhsa_uses_dynamic_stack 0
		.amdhsa_enable_private_segment 0
		.amdhsa_system_sgpr_workgroup_id_x 1
		.amdhsa_system_sgpr_workgroup_id_y 0
		.amdhsa_system_sgpr_workgroup_id_z 1
		.amdhsa_system_sgpr_workgroup_info 0
		.amdhsa_system_vgpr_workitem_id 1
		.amdhsa_next_free_vgpr 212
		.amdhsa_next_free_sgpr 105
		.amdhsa_named_barrier_count 0
		.amdhsa_reserve_vcc 1
		.amdhsa_float_round_mode_32 0
		.amdhsa_float_round_mode_16_64 0
		.amdhsa_float_denorm_mode_32 3
		.amdhsa_float_denorm_mode_16_64 3
		.amdhsa_fp16_overflow 0
		.amdhsa_memory_ordered 1
		.amdhsa_forward_progress 1
		.amdhsa_inst_pref_size 215
		.amdhsa_round_robin_scheduling 0
		.amdhsa_exception_fp_ieee_invalid_op 0
		.amdhsa_exception_fp_denorm_src 0
		.amdhsa_exception_fp_ieee_div_zero 0
		.amdhsa_exception_fp_ieee_overflow 0
		.amdhsa_exception_fp_ieee_underflow 0
		.amdhsa_exception_fp_ieee_inexact 0
		.amdhsa_exception_int_div_zero 0
	.end_amdhsa_kernel
	.section	.text._ZL19rocblas_trsv_deviceILi32ELi16ELb1ELb1ELb0ELb0E19rocblas_complex_numIdEPKS1_PKS3_PKPS1_EviT7_lllT6_T8_lllPii,"axG",@progbits,_ZL19rocblas_trsv_deviceILi32ELi16ELb1ELb1ELb0ELb0E19rocblas_complex_numIdEPKS1_PKS3_PKPS1_EviT7_lllT6_T8_lllPii,comdat
.Lfunc_end179:
	.size	_ZL19rocblas_trsv_deviceILi32ELi16ELb1ELb1ELb0ELb0E19rocblas_complex_numIdEPKS1_PKS3_PKPS1_EviT7_lllT6_T8_lllPii, .Lfunc_end179-_ZL19rocblas_trsv_deviceILi32ELi16ELb1ELb1ELb0ELb0E19rocblas_complex_numIdEPKS1_PKS3_PKPS1_EviT7_lllT6_T8_lllPii
                                        ; -- End function
	.set _ZL19rocblas_trsv_deviceILi32ELi16ELb1ELb1ELb0ELb0E19rocblas_complex_numIdEPKS1_PKS3_PKPS1_EviT7_lllT6_T8_lllPii.num_vgpr, 212
	.set _ZL19rocblas_trsv_deviceILi32ELi16ELb1ELb1ELb0ELb0E19rocblas_complex_numIdEPKS1_PKS3_PKPS1_EviT7_lllT6_T8_lllPii.num_agpr, 0
	.set _ZL19rocblas_trsv_deviceILi32ELi16ELb1ELb1ELb0ELb0E19rocblas_complex_numIdEPKS1_PKS3_PKPS1_EviT7_lllT6_T8_lllPii.numbered_sgpr, 105
	.set _ZL19rocblas_trsv_deviceILi32ELi16ELb1ELb1ELb0ELb0E19rocblas_complex_numIdEPKS1_PKS3_PKPS1_EviT7_lllT6_T8_lllPii.num_named_barrier, 0
	.set _ZL19rocblas_trsv_deviceILi32ELi16ELb1ELb1ELb0ELb0E19rocblas_complex_numIdEPKS1_PKS3_PKPS1_EviT7_lllT6_T8_lllPii.private_seg_size, 0
	.set _ZL19rocblas_trsv_deviceILi32ELi16ELb1ELb1ELb0ELb0E19rocblas_complex_numIdEPKS1_PKS3_PKPS1_EviT7_lllT6_T8_lllPii.uses_vcc, 1
	.set _ZL19rocblas_trsv_deviceILi32ELi16ELb1ELb1ELb0ELb0E19rocblas_complex_numIdEPKS1_PKS3_PKPS1_EviT7_lllT6_T8_lllPii.uses_flat_scratch, 0
	.set _ZL19rocblas_trsv_deviceILi32ELi16ELb1ELb1ELb0ELb0E19rocblas_complex_numIdEPKS1_PKS3_PKPS1_EviT7_lllT6_T8_lllPii.has_dyn_sized_stack, 0
	.set _ZL19rocblas_trsv_deviceILi32ELi16ELb1ELb1ELb0ELb0E19rocblas_complex_numIdEPKS1_PKS3_PKPS1_EviT7_lllT6_T8_lllPii.has_recursion, 0
	.set _ZL19rocblas_trsv_deviceILi32ELi16ELb1ELb1ELb0ELb0E19rocblas_complex_numIdEPKS1_PKS3_PKPS1_EviT7_lllT6_T8_lllPii.has_indirect_call, 0
	.section	.AMDGPU.csdata,"",@progbits
; Kernel info:
; codeLenInByte = 27440
; TotalNumSgprs: 107
; NumVgprs: 212
; ScratchSize: 0
; MemoryBound: 1
; FloatMode: 240
; IeeeMode: 1
; LDSByteSize: 25104 bytes/workgroup (compile time only)
; SGPRBlocks: 0
; VGPRBlocks: 13
; NumSGPRsForWavesPerEU: 107
; NumVGPRsForWavesPerEU: 212
; NamedBarCnt: 0
; Occupancy: 4
; WaveLimiterHint : 1
; COMPUTE_PGM_RSRC2:SCRATCH_EN: 0
; COMPUTE_PGM_RSRC2:USER_SGPR: 2
; COMPUTE_PGM_RSRC2:TRAP_HANDLER: 0
; COMPUTE_PGM_RSRC2:TGID_X_EN: 1
; COMPUTE_PGM_RSRC2:TGID_Y_EN: 0
; COMPUTE_PGM_RSRC2:TGID_Z_EN: 1
; COMPUTE_PGM_RSRC2:TIDIG_COMP_CNT: 1
	.section	.text._ZL19rocblas_trsv_deviceILi32ELi16ELb1ELb1ELb1ELb0E19rocblas_complex_numIdEPKS1_PKS3_PKPS1_EviT7_lllT6_T8_lllPii,"axG",@progbits,_ZL19rocblas_trsv_deviceILi32ELi16ELb1ELb1ELb1ELb0E19rocblas_complex_numIdEPKS1_PKS3_PKPS1_EviT7_lllT6_T8_lllPii,comdat
	.globl	_ZL19rocblas_trsv_deviceILi32ELi16ELb1ELb1ELb1ELb0E19rocblas_complex_numIdEPKS1_PKS3_PKPS1_EviT7_lllT6_T8_lllPii ; -- Begin function _ZL19rocblas_trsv_deviceILi32ELi16ELb1ELb1ELb1ELb0E19rocblas_complex_numIdEPKS1_PKS3_PKPS1_EviT7_lllT6_T8_lllPii
	.p2align	8
	.type	_ZL19rocblas_trsv_deviceILi32ELi16ELb1ELb1ELb1ELb0E19rocblas_complex_numIdEPKS1_PKS3_PKPS1_EviT7_lllT6_T8_lllPii,@function
_ZL19rocblas_trsv_deviceILi32ELi16ELb1ELb1ELb1ELb0E19rocblas_complex_numIdEPKS1_PKS3_PKPS1_EviT7_lllT6_T8_lllPii: ; @_ZL19rocblas_trsv_deviceILi32ELi16ELb1ELb1ELb1ELb0E19rocblas_complex_numIdEPKS1_PKS3_PKPS1_EviT7_lllT6_T8_lllPii
; %bb.0:
	s_load_b32 s37, s[0:1], 0x58
	s_bfe_u32 s2, ttmp6, 0x40014
	s_lshr_b32 s3, ttmp7, 16
	s_add_co_i32 s2, s2, 1
	s_bfe_u32 s5, ttmp6, 0x40008
	s_mul_i32 s4, s3, s2
	s_getreg_b32 s2, hwreg(HW_REG_IB_STS2, 6, 4)
	s_add_co_i32 s5, s5, s4
	s_cmp_eq_u32 s2, 0
	s_mov_b32 s39, 0
	s_cselect_b32 s38, s3, s5
	s_wait_kmcnt 0x0
	s_cmp_ge_u32 s38, s37
	s_cbranch_scc1 .LBB180_574
; %bb.1:
	s_clause 0x2
	s_load_b32 s3, s[0:1], 0x6c
	s_load_b32 s57, s[0:1], 0x60
	;; [unrolled: 1-line block ×3, first 2 shown]
	s_bfe_u32 s4, ttmp6, 0x4000c
	s_and_b32 s5, ttmp6, 15
	s_add_co_i32 s4, s4, 1
	s_load_b64 s[14:15], s[0:1], 0x18
	s_mul_i32 s4, ttmp9, s4
	v_and_b32_e32 v26, 0x3ff, v0
	s_add_co_i32 s5, s5, s4
	s_cmp_eq_u32 s2, 0
	v_mov_b32_e32 v2, 0
	s_cselect_b32 s56, ttmp9, s5
	v_bfe_u32 v46, v0, 10, 10
	v_lshlrev_b32_e32 v1, 5, v26
                                        ; implicit-def: $vgpr207 : SGPR spill to VGPR lane
	s_load_b256 s[40:47], s[0:1], 0x28
	v_dual_mov_b32 v29, v2 :: v_dual_mov_b32 v27, v2
	s_delay_alu instid0(VALU_DEP_2)
	v_dual_add_nc_u32 v8, 16, v46 :: v_dual_add_nc_u32 v9, v46, v1
	s_wait_kmcnt 0x0
	s_and_b32 s2, s3, 0xffff
	s_add_co_i32 s57, s57, -1
	s_add_co_i32 s3, s52, -1
	s_ashr_i32 s53, s52, 31
	s_ashr_i32 s4, s3, 31
	s_lshr_b32 s5, s53, 27
	s_lshr_b32 s4, s4, 27
	s_add_co_i32 s5, s52, s5
	s_add_co_i32 s3, s3, s4
	s_and_not1_b32 s5, s5, 31
	s_sub_co_i32 s87, s57, s56
	s_ashr_i32 s3, s3, 5
	s_sub_co_i32 s13, s52, s5
	s_cmp_eq_u32 s3, s87
	v_lshl_add_u32 v3, v46, 5, v26
	s_cselect_b32 s3, -1, 0
	s_cmp_lg_u32 s13, 0
	v_lshl_add_u32 v11, v8, 5, v26
	s_cselect_b32 s4, -1, 0
	v_lshlrev_b32_e32 v49, 4, v26
	s_and_b32 s18, s4, s3
	s_add_nc_u64 s[4:5], s[14:15], 1
	s_xor_b32 s58, s18, -1
	s_cmp_lg_u32 s56, 0
	v_mad_u32_u24 v28, v46, s2, v26
	s_cselect_b32 s59, -1, 0
	s_lshl_b32 s16, s87, 5
	s_cmp_lt_i32 s56, 5
	v_mad_nc_u64_u32 v[4:5], s4, s16, v[26:27]
	v_dual_add_nc_u32 v10, s16, v46 :: v_dual_add_nc_u32 v1, v8, v1
	s_cselect_b32 vcc_lo, -1, 0
	v_dual_cndmask_b32 v9, v3, v9 :: v_dual_add_nc_u32 v6, s16, v26
	s_or_b32 s3, vcc_lo, s18
	s_delay_alu instid0(VALU_DEP_2) | instid1(SALU_CYCLE_1)
	v_dual_add_nc_u32 v30, 32, v10 :: v_dual_cndmask_b32 v11, v11, v1, s3
	s_delay_alu instid0(VALU_DEP_2)
	v_dual_ashrrev_i32 v7, 31, v6 :: v_dual_bitop2_b32 v1, 1, v0 bitop3:0x40
	s_ashr_i32 s17, s16, 31
	s_xor_b32 s60, s3, -1
	s_mul_i32 s3, s4, s17
	s_mul_i32 s4, s5, s16
	v_dual_lshrrev_b32 v13, 1, v3 :: v_dual_lshlrev_b32 v14, 4, v1
	v_add3_u32 v5, s3, s4, v5
	v_cmp_eq_u32_e64 s4, 1, v1
	v_cmp_gt_u32_e64 s3, 4, v3
	v_lshrrev_b32_e32 v1, 2, v3
	v_lshl_or_b32 v47, v13, 9, v14
	v_and_b32_e32 v14, 3, v0
	s_xor_b32 s5, s4, -1
	s_and_b32 s62, s4, s3
	s_and_b32 s61, s5, s3
	v_cmp_eq_u32_e64 s4, 0, v46
	v_cmp_gt_u32_e64 s5, 2, v26
	v_lshlrev_b32_e32 v15, 4, v1
	v_mul_u32_u24_e32 v50, 0x210, v1
	v_lshlrev_b32_e32 v53, 4, v14
	v_cmp_eq_u32_e64 s6, 0, v14
	s_and_b32 s63, s4, s5
	v_cmp_gt_u32_e64 s5, 16, v3
	v_sub_nc_u32_e32 v16, v50, v15
	v_cmp_ne_u32_e64 s7, 0, v14
	v_add_nc_u32_e32 v55, 0x4000, v15
	v_lshl_or_b32 v56, v1, 9, v53
	v_cmp_eq_u32_e64 s8, 1, v14
	v_dual_add_nc_u32 v57, v16, v53 :: v_dual_lshrrev_b32 v1, 3, v3
	s_and_b32 s64, s6, s5
	s_and_b32 s65, s7, s5
	v_cmp_eq_u32_e64 s6, 3, v14
	v_cmp_gt_u32_e64 s7, 4, v26
	v_dual_lshlrev_b32 v16, 4, v1 :: v_dual_bitop2_b32 v15, 7, v0 bitop3:0x40
	v_cmp_lt_u32_e64 s9, 1, v14
	s_and_b32 s66, s8, s5
	s_and_b32 s69, s6, s5
	;; [unrolled: 1-line block ×3, first 2 shown]
	v_cmp_gt_u32_e64 s6, 64, v3
	v_cmp_eq_u32_e64 s7, 0, v15
	v_cmp_ne_u32_e64 s8, 0, v15
	v_dual_ashrrev_i32 v31, 31, v30 :: v_dual_lshrrev_b32 v12, 10, v0
	s_and_b32 s67, s9, s5
	v_cmp_eq_u32_e64 s9, 1, v15
	s_and_b32 s71, s7, s6
	s_and_b32 s72, s8, s6
	v_cmp_lt_u32_e64 s7, 2, v15
	v_cmp_eq_u32_e64 s8, 3, v15
	v_bitop3_b32 v12, v0, v12, 0x3ff bitop3:0xa8
	v_cmp_eq_u32_e64 s10, 2, v14
	s_and_b32 s73, s9, s6
	v_cmp_lt_u32_e64 s9, 3, v15
	s_and_b32 s76, s7, s6
	s_and_b32 s77, s8, s6
	v_cmp_eq_u32_e64 s7, 5, v15
	v_cmp_lt_u32_e64 s8, 5, v15
	v_and_b32_e32 v0, 15, v0
	s_and_b32 s68, s10, s5
	v_cmp_lt_u32_e64 s10, 1, v15
	s_and_b32 s78, s9, s6
	v_cmp_eq_u32_e64 s9, 6, v15
	s_and_b32 s81, s7, s6
	s_and_b32 s82, s8, s6
	v_cmp_gt_u32_e64 s7, 0x100, v3
	v_cmp_eq_u32_e64 s8, 0, v0
	v_cmp_eq_u32_e64 s11, 2, v15
	s_and_b32 s74, s10, s6
	v_cmp_eq_u32_e64 s10, 4, v15
	s_and_b32 s83, s9, s6
	v_cmp_ne_u32_e64 s9, 0, v0
	s_and_b32 s8, s8, s7
	s_and_b32 s75, s11, s6
	v_writelane_b32 v207, s8, 0
	v_cmp_lt_u32_e64 s11, 4, v15
	s_and_b32 s79, s10, s6
	v_cmp_eq_u32_e64 s10, 7, v15
	v_cmp_eq_u32_e64 s8, 1, v0
	s_and_b32 s9, s9, s7
	s_and_b32 s80, s11, s6
	v_writelane_b32 v207, s9, 1
	v_cmp_gt_u32_e64 s11, 8, v26
	s_and_b32 s84, s10, s6
	v_cmp_lt_u32_e64 s10, 1, v0
	s_and_b32 s8, s8, s7
	v_cmp_lt_u32_e64 s12, 2, v0
	v_writelane_b32 v207, s8, 2
	s_and_b32 s85, s4, s11
	v_cmp_eq_u32_e64 s11, 2, v0
	s_and_b32 s8, s10, s7
	v_cmp_lt_u32_e64 s9, 3, v0
	v_writelane_b32 v207, s8, 3
	v_cmp_eq_u32_e64 s10, 4, v0
	s_and_b32 s8, s11, s7
	v_cmp_lt_u32_e64 s11, 4, v0
	v_lshl_add_u32 v27, v13, 4, 0x4000
	v_writelane_b32 v207, s8, 4
	s_and_b32 s8, s12, s7
	v_mul_u32_u24_e32 v48, 0x210, v13
	v_mad_u32_u24 v13, 0x1f0, v26, v49
	v_cmp_eq_u32_e64 s12, 5, v0
	v_writelane_b32 v207, s8, 5
	v_cmp_eq_u32_e64 s8, 3, v0
	v_mul_u32_u24_e32 v58, 0x210, v1
	v_mad_i32_i24 v54, 0xfffffe10, v26, v13
	s_and_b32 s96, s12, s7
	v_cmp_lt_u32_e64 s12, 7, v0
	s_and_b32 s8, s8, s7
	v_lshlrev_b32_e32 v60, 4, v15
	v_writelane_b32 v207, s8, 6
	s_and_b32 s8, s9, s7
	v_cmp_eq_u32_e64 s9, 6, v0
	v_mad_u32_u24 v14, 0x1f0, v26, v54
	v_sub_nc_u32_e32 v17, v58, v16
	v_writelane_b32 v207, s8, 7
	s_and_b32 s8, s10, s7
	v_cmp_lt_u32_e64 s10, 6, v0
	s_and_b32 s98, s9, s7
	v_cmp_lt_u32_e64 s9, 8, v0
	v_writelane_b32 v207, s8, 8
	s_and_b32 s8, s11, s7
	v_cmp_eq_u32_e64 s11, 7, v0
	s_and_b32 s99, s10, s7
	v_cmp_eq_u32_e64 s10, 9, v0
	v_writelane_b32 v207, s8, 9
	v_cmp_lt_u32_e64 s8, 5, v0
	s_and_b32 s100, s11, s7
	v_cmp_lt_u32_e64 s11, 9, v0
	v_add_nc_u32_e32 v59, 64, v14
	s_and_b32 s101, s12, s7
	s_and_b32 s97, s8, s7
	v_cmp_eq_u32_e64 s8, 8, v0
	v_cmp_eq_u32_e64 s12, 10, v0
	s_and_b32 s103, s9, s7
	s_and_b32 s104, s10, s7
	s_and_b32 vcc_hi, s11, s7
	s_and_b32 s102, s8, s7
	v_cmp_lt_u32_e64 s8, 10, v0
	v_cmp_eq_u32_e64 s9, 11, v0
	v_cmp_lt_u32_e64 s10, 11, v0
	v_cmp_eq_u32_e64 s11, 12, v0
	v_lshl_or_b32 v63, v1, 9, v60
	v_dual_lshlrev_b32 v1, 5, v3 :: v_dual_add_nc_u32 v64, v17, v60
	v_lshlrev_b32_e32 v74, 4, v0
	s_and_b32 s20, s12, s7
	v_cmp_lt_u32_e64 s12, 12, v0
	s_and_b32 s21, s8, s7
	s_and_b32 s22, s9, s7
	;; [unrolled: 1-line block ×4, first 2 shown]
	v_cmp_eq_u32_e64 s8, 13, v0
	v_cmp_lt_u32_e64 s9, 13, v0
	v_cmp_eq_u32_e64 s10, 14, v0
	v_cmp_eq_u32_e64 s11, 15, v0
	v_add_nc_u32_e32 v0, 48, v10
	v_mad_i32_i24 v87, 0xfffffe10, v26, v14
	s_and_b32 s25, s12, s7
	s_and_b32 s28, s10, s7
	v_cmp_gt_u32_e64 s12, 16, v26
	v_cmp_gt_i32_e64 s10, s52, v0
	v_mad_u32_u24 v0, 0x1f0, v26, v87
	v_and_b32_e32 v73, 0xfffffe00, v1
	v_mad_nc_u64_u32 v[36:37], s14, v46, v[4:5]
	s_and_b32 s30, s4, s12
	v_cmp_le_i32_e64 s12, s13, v26
	v_mad_i32_i24 v98, 0xfffffe10, v26, v0
	v_mad_nc_u64_u32 v[38:39], s14, v8, v[4:5]
	v_cmp_gt_i32_e32 vcc_lo, s13, v26
	s_and_b32 s26, s8, s7
	s_and_b32 s33, s12, s18
	v_mad_u32_u24 v1, 0x1f0, v26, v98
	v_add_nc_u32_e32 v96, 0x860, v0
	v_add_nc_u32_e32 v97, 0x870, v0
	;; [unrolled: 1-line block ×12, first 2 shown]
	v_mad_i32_i24 v0, 0xfffffe10, v26, v1
	s_xor_b32 s8, s33, -1
	s_and_b32 s27, s9, s7
	s_and_b32 s29, s11, s7
	;; [unrolled: 1-line block ×3, first 2 shown]
	s_cmp_gt_i32 s56, 0
	v_add_nc_u32_e32 v109, 0x18e0, v1
	v_add_nc_u32_e32 v110, 0x18f0, v1
	;; [unrolled: 1-line block ×8, first 2 shown]
	v_mul_u64_e32 v[0:1], s[14:15], v[6:7]
	s_cselect_b32 s86, -1, 0
	s_and_b32 s14, s4, vcc_lo
	v_mad_u32 v37, s15, v46, v37
	v_writelane_b32 v207, s14, 10
	v_mad_u32 v39, s15, v8, v39
	v_cmp_ne_u32_e64 s15, v26, v46
	v_cmp_le_i32_e32 vcc_lo, s13, v46
	v_cmp_le_i32_e64 s13, s13, v8
	v_cmp_le_u32_e64 s9, v26, v8
	v_cmp_gt_i32_e64 s2, s52, v6
	v_writelane_b32 v207, s15, 11
	v_mul_u64_e32 v[32:33], s[46:47], v[6:7]
	s_or_b32 s13, s13, s12
	v_add_nc_u64_e32 v[6:7], s[16:17], v[28:29]
	s_or_b32 s89, s13, s9
	s_or_b32 s13, s12, s15
	v_cmp_ne_u32_e64 s16, v26, v8
	v_writelane_b32 v207, s13, 12
	s_or_b32 s14, vcc_lo, s12
	v_cmp_gt_u32_e64 s31, 0xf0, v3
	v_mul_u64_e32 v[34:35], s[46:47], v[6:7]
	s_or_b32 s12, s12, s16
	v_writelane_b32 v207, s16, 13
	v_lshlrev_b32_e32 v10, 9, v26
	s_clause 0x1
	s_load_b64 s[54:55], s[0:1], 0x50
	s_load_b128 s[48:51], s[0:1], 0x8
	v_dual_add_nc_u32 v51, 32, v13 :: v_dual_add_nc_u32 v52, 48, v13
	v_writelane_b32 v207, s12, 14
	v_add_nc_u32_e32 v65, 0x80, v13
	v_add_nc_u32_e32 v66, 0x90, v13
	v_add_nc_u32_e32 v67, 0xa0, v13
	v_add_nc_u32_e32 v68, 0xb0, v13
	v_writelane_b32 v207, s31, 15
	v_cmp_gt_u32_e64 s31, 0xe0, v3
	v_add_nc_u32_e32 v69, 0xc0, v13
	v_add_nc_u32_e32 v70, 0xd0, v13
	v_add_nc_u32_e32 v71, 0xe0, v13
	v_add_nc_u32_e32 v72, 0xf0, v13
	v_writelane_b32 v207, s31, 16
	v_cmp_gt_u32_e64 s31, 0xd0, v3
	;; [unrolled: 6-line block ×4, first 2 shown]
	v_add_nc_u32_e32 v83, 0x21e0, v13
	v_add_nc_u32_e32 v84, 0x21f0, v13
	v_mad_i32_i24 v13, 0xfffffe10, v26, v10
	v_dual_lshlrev_b32 v152, 4, v9 :: v_dual_bitop2_b32 v4, v8, v26 bitop3:0x54
	v_writelane_b32 v207, s31, 19
	v_cmp_gt_u32_e64 s31, 0xa0, v3
	s_delay_alu instid0(VALU_DEP_4)
	v_add_nc_u32_e32 v117, 0x2000, v13
	v_add_nc_u32_e32 v118, 0x2200, v13
	v_add_nc_u32_e32 v119, 0x2400, v13
	v_add_nc_u32_e32 v120, 0x2600, v13
	v_writelane_b32 v207, s31, 20
	v_cmp_gt_u32_e64 s31, 0x90, v3
	v_add_nc_u32_e32 v121, 0x2800, v13
	v_add_nc_u32_e32 v122, 0x2a00, v13
	v_add_nc_u32_e32 v123, 0x2c00, v13
	v_add_nc_u32_e32 v124, 0x2e00, v13
	v_writelane_b32 v207, s31, 21
	v_cmp_gt_u32_e64 s31, 0x80, v3
	;; [unrolled: 6-line block ×4, first 2 shown]
	v_lshl_add_u32 v132, v46, 9, v13
	v_lshlrev_b32_e32 v13, 4, v46
	v_cmp_gt_u32_e64 s35, 32, v12
	v_cmp_le_u32_e64 s8, v26, v46
	v_writelane_b32 v207, s31, 24
	v_cmp_gt_u32_e64 s31, 0x50, v3
	v_add_nc_u32_e32 v133, 0x6000, v13
	v_and_b32_e32 v173, -16, v3
	s_movk_i32 s19, 0x3c00
	v_cmp_gt_i32_e64 s11, s52, v30
	v_writelane_b32 v207, s31, 25
	v_add_nc_u32_e32 v61, 0x70, v14
	v_add_nc_u32_e32 v62, 0x4000, v16
	;; [unrolled: 1-line block ×4, first 2 shown]
	v_writelane_b32 v207, s35, 26
	v_cmp_gt_u32_e64 s35, 32, v4
	v_add_nc_u32_e32 v88, 0x10a0, v14
	v_add_nc_u32_e32 v89, 0x10b0, v14
	;; [unrolled: 1-line block ×8, first 2 shown]
	v_dual_add_nc_u32 v134, v10, v13 :: v_dual_sub_nc_u32 v151, 0, v10
	v_or_b32_e32 v135, 0x100, v10
	v_or_b32_e32 v136, 0x110, v10
	;; [unrolled: 1-line block ×16, first 2 shown]
	v_mad_u32_u24 v153, 0x210, v26, s19
	v_dual_lshlrev_b32 v154, 4, v11 :: v_dual_bitop2_b32 v179, v73, v74 bitop3:0x54
	s_or_b32 s88, s14, s8
	v_add_nc_u32_e32 v155, 0x400, v54
	v_add_nc_u32_e32 v156, 0x600, v54
	;; [unrolled: 1-line block ×44, first 2 shown]
	v_lshl_add_u32 v202, v28, 4, 0x6000
	v_lshl_add_u32 v203, v3, 4, 0x4000
	v_add_nc_u32_e32 v204, 0x4000, v49
	v_add_nc_u32_e32 v205, v133, v49
	;; [unrolled: 1-line block ×3, first 2 shown]
	v_mul_u32_u24_e32 v206, 0x210, v26
	v_cmp_gt_u32_e64 s12, 2, v3
	v_cmp_gt_u32_e64 s13, 12, v3
	;; [unrolled: 1-line block ×8, first 2 shown]
	v_cmp_eq_u32_e64 s31, 0, v12
	v_writelane_b32 v207, s35, 27
	v_cmp_eq_u32_e64 s35, 0, v28
	v_cmp_gt_u32_e64 s36, 32, v28
	s_add_co_i32 s87, s87, 1
	s_and_b32 s11, s11, s2
	s_and_b32 s10, s10, s2
	s_wait_kmcnt 0x0
	s_lshl_b64 s[0:1], s[50:51], 4
	s_lshl_b64 s[44:45], s[44:45], 4
                                        ; implicit-def: $vgpr6_vgpr7
                                        ; implicit-def: $vgpr10_vgpr11
	s_branch .LBB180_3
.LBB180_2:                              ;   in Loop: Header=BB180_3 Depth=1
	s_wait_xcnt 0x0
	s_or_b32 exec_lo, exec_lo, s50
	s_add_co_i32 s38, s38, 0x10000
	global_wb scope:SCOPE_DEV
	s_wait_storecnt 0x0
	global_inv scope:SCOPE_DEV
	s_cmp_lt_u32 s38, s37
	s_cbranch_scc0 .LBB180_574
.LBB180_3:                              ; =>This Loop Header: Depth=1
                                        ;     Child Loop BB180_453 Depth 2
                                        ;       Child Loop BB180_455 Depth 3
                                        ;     Child Loop BB180_486 Depth 2
	v_mov_b32_e32 v3, s38
	s_and_not1_b32 vcc_lo, exec_lo, s59
	s_clause 0x1
	global_load_b64 v[4:5], v3, s[48:49] scale_offset
	global_load_b64 v[42:43], v3, s[42:43] scale_offset
	global_load_b128 v[14:17], v2, s[40:41]
	s_wait_loadcnt 0x2
	v_add_nc_u64_e32 v[44:45], s[0:1], v[4:5]
	s_delay_alu instid0(VALU_DEP_1)
	v_lshl_add_u64 v[40:41], v[0:1], 4, v[44:45]
	s_cbranch_vccnz .LBB180_9
; %bb.4:                                ;   in Loop: Header=BB180_3 Depth=1
	v_mov_b64_e32 v[12:13], 0
	v_mov_b64_e32 v[6:7], 0
	;; [unrolled: 1-line block ×3, first 2 shown]
	v_lshl_add_u64 v[4:5], v[30:31], 4, v[40:41]
	s_wait_loadcnt 0x0
	s_barrier_signal -1
	s_barrier_wait -1
	s_wait_xcnt 0x0
	s_and_saveexec_b32 s50, s11
	s_cbranch_execz .LBB180_6
; %bb.5:                                ;   in Loop: Header=BB180_3 Depth=1
	flat_load_b128 v[6:9], v[4:5]
.LBB180_6:                              ;   in Loop: Header=BB180_3 Depth=1
	s_wait_xcnt 0x0
	s_or_b32 exec_lo, exec_lo, s50
	v_mov_b64_e32 v[10:11], 0
	s_wait_loadcnt_dscnt 0x0
	s_barrier_signal -1
	s_barrier_wait -1
	s_and_saveexec_b32 s50, s10
	s_cbranch_execz .LBB180_8
; %bb.7:                                ;   in Loop: Header=BB180_3 Depth=1
	flat_load_b128 v[10:13], v[4:5] offset:256
.LBB180_8:                              ;   in Loop: Header=BB180_3 Depth=1
	s_wait_xcnt 0x0
	s_or_b32 exec_lo, exec_lo, s50
.LBB180_9:                              ;   in Loop: Header=BB180_3 Depth=1
	s_delay_alu instid0(SALU_CYCLE_1)
	s_and_not1_b32 vcc_lo, exec_lo, s58
	s_mov_b32 s50, -1
	s_cbranch_vccnz .LBB180_16
; %bb.10:                               ;   in Loop: Header=BB180_3 Depth=1
	s_wait_xcnt 0x0
	s_and_saveexec_b32 s50, s8
	s_delay_alu instid0(SALU_CYCLE_1)
	s_xor_b32 s50, exec_lo, s50
	s_cbranch_execnz .LBB180_500
; %bb.11:                               ;   in Loop: Header=BB180_3 Depth=1
	s_and_not1_saveexec_b32 s50, s50
	s_cbranch_execnz .LBB180_511
.LBB180_12:                             ;   in Loop: Header=BB180_3 Depth=1
	s_or_b32 exec_lo, exec_lo, s50
	s_and_saveexec_b32 s50, s9
	s_delay_alu instid0(SALU_CYCLE_1)
	s_xor_b32 s50, exec_lo, s50
	s_cbranch_execnz .LBB180_512
.LBB180_13:                             ;   in Loop: Header=BB180_3 Depth=1
	s_and_not1_saveexec_b32 s50, s50
	s_cbranch_execz .LBB180_15
.LBB180_14:                             ;   in Loop: Header=BB180_3 Depth=1
	v_lshl_add_u64 v[4:5], v[38:39], 4, v[44:45]
	flat_load_b128 v[18:21], v[4:5]
	s_wait_loadcnt_dscnt 0x0
	v_xor_b32_e32 v19, 0x80000000, v19
	ds_store_b128 v154, v[18:21]
.LBB180_15:                             ;   in Loop: Header=BB180_3 Depth=1
	s_or_b32 exec_lo, exec_lo, s50
	s_mov_b32 s50, 0
.LBB180_16:                             ;   in Loop: Header=BB180_3 Depth=1
	s_delay_alu instid0(SALU_CYCLE_1)
	s_and_b32 vcc_lo, exec_lo, s50
	s_cbranch_vccz .LBB180_23
; %bb.17:                               ;   in Loop: Header=BB180_3 Depth=1
	s_wait_xcnt 0x0
	s_and_saveexec_b32 s50, s88
	s_delay_alu instid0(SALU_CYCLE_1)
	s_xor_b32 s50, exec_lo, s50
	s_cbranch_execnz .LBB180_523
; %bb.18:                               ;   in Loop: Header=BB180_3 Depth=1
	s_and_not1_saveexec_b32 s50, s50
	s_cbranch_execnz .LBB180_534
.LBB180_19:                             ;   in Loop: Header=BB180_3 Depth=1
	s_or_b32 exec_lo, exec_lo, s50
	s_and_saveexec_b32 s50, s89
	s_delay_alu instid0(SALU_CYCLE_1)
	s_xor_b32 s50, exec_lo, s50
	s_cbranch_execnz .LBB180_535
.LBB180_20:                             ;   in Loop: Header=BB180_3 Depth=1
	s_and_not1_saveexec_b32 s50, s50
	s_cbranch_execz .LBB180_22
.LBB180_21:                             ;   in Loop: Header=BB180_3 Depth=1
	v_lshl_add_u64 v[4:5], v[38:39], 4, v[44:45]
	flat_load_b128 v[18:21], v[4:5]
	s_wait_loadcnt_dscnt 0x0
	v_xor_b32_e32 v19, 0x80000000, v19
	ds_store_b128 v154, v[18:21]
.LBB180_22:                             ;   in Loop: Header=BB180_3 Depth=1
	s_or_b32 exec_lo, exec_lo, s50
.LBB180_23:                             ;   in Loop: Header=BB180_3 Depth=1
	s_delay_alu instid0(SALU_CYCLE_1)
	s_and_not1_b32 vcc_lo, exec_lo, s60
	s_wait_loadcnt_dscnt 0x0
	s_barrier_signal -1
	s_barrier_wait -1
	s_cbranch_vccnz .LBB180_447
; %bb.24:                               ;   in Loop: Header=BB180_3 Depth=1
	s_wait_xcnt 0x0
	s_and_saveexec_b32 s50, s31
	s_cbranch_execz .LBB180_26
; %bb.25:                               ;   in Loop: Header=BB180_3 Depth=1
	ds_load_b128 v[18:21], v2 offset:528
	ds_load_b128 v[22:25], v2
	s_wait_dscnt 0x0
	v_mul_f64_e32 v[4:5], v[18:19], v[24:25]
	v_mul_f64_e32 v[24:25], v[20:21], v[24:25]
	s_delay_alu instid0(VALU_DEP_2) | instskip(NEXT) | instid1(VALU_DEP_2)
	v_fmac_f64_e32 v[4:5], v[20:21], v[22:23]
	v_fma_f64 v[24:25], v[18:19], v[22:23], -v[24:25]
	ds_load_b128 v[18:21], v2 offset:16
	s_wait_dscnt 0x0
	v_mul_f64_e32 v[44:45], v[4:5], v[20:21]
	v_mul_f64_e32 v[22:23], v[24:25], v[20:21]
	s_delay_alu instid0(VALU_DEP_2) | instskip(NEXT) | instid1(VALU_DEP_2)
	v_fma_f64 v[20:21], v[18:19], v[24:25], -v[44:45]
	v_fmac_f64_e32 v[22:23], v[18:19], v[4:5]
	ds_store_b128 v2, v[20:23] offset:16
	ds_store_b128 v2, v[20:23] offset:512
.LBB180_26:                             ;   in Loop: Header=BB180_3 Depth=1
	s_or_b32 exec_lo, exec_lo, s50
	v_mov_b64_e32 v[20:21], 0
	v_mov_b64_e32 v[18:19], 0
	s_wait_dscnt 0x0
	s_barrier_signal -1
	s_barrier_wait -1
	s_and_saveexec_b32 s50, s3
	s_cbranch_execz .LBB180_30
; %bb.27:                               ;   in Loop: Header=BB180_3 Depth=1
	ds_load_b128 v[18:21], v48
	ds_load_b128 v[22:25], v47 offset:32
	s_wait_dscnt 0x0
	v_mul_f64_e32 v[4:5], v[20:21], v[24:25]
	v_mul_f64_e32 v[24:25], v[18:19], v[24:25]
	s_delay_alu instid0(VALU_DEP_2) | instskip(NEXT) | instid1(VALU_DEP_2)
	v_fma_f64 v[4:5], v[18:19], v[22:23], -v[4:5]
	v_fmac_f64_e32 v[24:25], v[20:21], v[22:23]
	s_delay_alu instid0(VALU_DEP_2) | instskip(NEXT) | instid1(VALU_DEP_2)
	v_add_f64_e32 v[18:19], 0, v[4:5]
	v_add_f64_e32 v[20:21], 0, v[24:25]
	s_and_saveexec_b32 s51, s12
	s_cbranch_execz .LBB180_29
; %bb.28:                               ;   in Loop: Header=BB180_3 Depth=1
	ds_load_b128 v[22:25], v2 offset:16
	ds_load_b128 v[208:211], v49 offset:544
	s_wait_dscnt 0x0
	v_mul_f64_e32 v[4:5], v[24:25], v[210:211]
	s_delay_alu instid0(VALU_DEP_1) | instskip(SKIP_1) | instid1(VALU_DEP_2)
	v_fma_f64 v[4:5], v[22:23], v[208:209], -v[4:5]
	v_mul_f64_e32 v[22:23], v[22:23], v[210:211]
	v_add_f64_e32 v[18:19], v[18:19], v[4:5]
	s_delay_alu instid0(VALU_DEP_2) | instskip(NEXT) | instid1(VALU_DEP_1)
	v_fmac_f64_e32 v[22:23], v[24:25], v[208:209]
	v_add_f64_e32 v[20:21], v[20:21], v[22:23]
.LBB180_29:                             ;   in Loop: Header=BB180_3 Depth=1
	s_or_b32 exec_lo, exec_lo, s51
	s_delay_alu instid0(VALU_DEP_2) | instskip(NEXT) | instid1(VALU_DEP_2)
	v_xor_b32_e32 v19, 0x80000000, v19
	v_xor_b32_e32 v21, 0x80000000, v21
.LBB180_30:                             ;   in Loop: Header=BB180_3 Depth=1
	s_or_b32 exec_lo, exec_lo, s50
	s_and_saveexec_b32 s50, s61
	s_cbranch_execz .LBB180_32
; %bb.31:                               ;   in Loop: Header=BB180_3 Depth=1
	ds_load_b128 v[22:25], v2 offset:1056
	s_wait_dscnt 0x0
	v_mul_f64_e32 v[4:5], v[20:21], v[24:25]
	v_mul_f64_e32 v[210:211], v[18:19], v[24:25]
	s_delay_alu instid0(VALU_DEP_2) | instskip(NEXT) | instid1(VALU_DEP_2)
	v_fma_f64 v[208:209], v[18:19], v[22:23], -v[4:5]
	v_fmac_f64_e32 v[210:211], v[20:21], v[22:23]
	s_delay_alu instid0(VALU_DEP_2) | instskip(NEXT) | instid1(VALU_DEP_2)
	v_mov_b64_e32 v[18:19], v[208:209]
	v_mov_b64_e32 v[20:21], v[210:211]
	ds_store_b128 v27, v[208:211]
.LBB180_32:                             ;   in Loop: Header=BB180_3 Depth=1
	s_or_b32 exec_lo, exec_lo, s50
	s_wait_dscnt 0x0
	s_barrier_signal -1
	s_barrier_wait -1
	s_and_saveexec_b32 s50, s62
	s_cbranch_execz .LBB180_34
; %bb.33:                               ;   in Loop: Header=BB180_3 Depth=1
	ds_load_b128 v[22:25], v27
	ds_load_b128 v[208:211], v2 offset:1072
	s_wait_dscnt 0x0
	v_mul_f64_e32 v[4:5], v[24:25], v[210:211]
	s_delay_alu instid0(VALU_DEP_1) | instskip(SKIP_1) | instid1(VALU_DEP_2)
	v_fma_f64 v[4:5], v[22:23], v[208:209], -v[4:5]
	v_mul_f64_e32 v[22:23], v[22:23], v[210:211]
	v_add_f64_e32 v[18:19], v[18:19], v[4:5]
	s_delay_alu instid0(VALU_DEP_2) | instskip(NEXT) | instid1(VALU_DEP_1)
	v_fmac_f64_e32 v[22:23], v[24:25], v[208:209]
	v_add_f64_e32 v[20:21], v[20:21], v[22:23]
.LBB180_34:                             ;   in Loop: Header=BB180_3 Depth=1
	s_or_b32 exec_lo, exec_lo, s50
	s_barrier_signal -1
	s_barrier_wait -1
	s_and_saveexec_b32 s50, s62
	s_cbranch_execz .LBB180_36
; %bb.35:                               ;   in Loop: Header=BB180_3 Depth=1
	ds_load_b128 v[22:25], v2 offset:1584
	s_wait_dscnt 0x0
	v_mul_f64_e32 v[4:5], v[20:21], v[24:25]
	v_mul_f64_e32 v[210:211], v[18:19], v[24:25]
	s_delay_alu instid0(VALU_DEP_2) | instskip(NEXT) | instid1(VALU_DEP_2)
	v_fma_f64 v[208:209], v[18:19], v[22:23], -v[4:5]
	v_fmac_f64_e32 v[210:211], v[20:21], v[22:23]
	s_delay_alu instid0(VALU_DEP_2) | instskip(NEXT) | instid1(VALU_DEP_2)
	v_mov_b64_e32 v[18:19], v[208:209]
	v_mov_b64_e32 v[20:21], v[210:211]
	ds_store_b128 v27, v[208:211]
.LBB180_36:                             ;   in Loop: Header=BB180_3 Depth=1
	s_or_b32 exec_lo, exec_lo, s50
	s_wait_dscnt 0x0
	s_barrier_signal -1
	s_barrier_wait -1
	s_barrier_signal -1
	s_barrier_wait -1
	s_and_saveexec_b32 s50, s3
; %bb.37:                               ;   in Loop: Header=BB180_3 Depth=1
	s_delay_alu instid0(VALU_DEP_3) | instskip(NEXT) | instid1(VALU_DEP_2)
	v_xor_b32_e32 v19, 0x80000000, v19
	v_xor_b32_e32 v21, 0x80000000, v21
	ds_store_b128 v47, v[18:21] offset:32
; %bb.38:                               ;   in Loop: Header=BB180_3 Depth=1
	s_or_b32 exec_lo, exec_lo, s50
	s_wait_dscnt 0x0
	s_barrier_signal -1
	s_barrier_wait -1
	s_barrier_signal -1
	s_barrier_wait -1
	s_and_saveexec_b32 s50, s63
	s_cbranch_execz .LBB180_40
; %bb.39:                               ;   in Loop: Header=BB180_3 Depth=1
	ds_load_b128 v[18:21], v51
	s_wait_dscnt 0x0
	ds_store_b128 v155, v[18:21]
	ds_load_b128 v[18:21], v52
	s_wait_dscnt 0x0
	ds_store_b128 v156, v[18:21]
.LBB180_40:                             ;   in Loop: Header=BB180_3 Depth=1
	s_or_b32 exec_lo, exec_lo, s50
	s_wait_dscnt 0x0
	s_barrier_signal -1
	s_barrier_wait -1
	s_and_saveexec_b32 s50, s31
	s_cbranch_execz .LBB180_42
; %bb.41:                               ;   in Loop: Header=BB180_3 Depth=1
	ds_load_b128 v[18:21], v2 offset:1584
	ds_load_b128 v[22:25], v2 offset:1056
	s_wait_dscnt 0x0
	v_mul_f64_e32 v[4:5], v[18:19], v[24:25]
	v_mul_f64_e32 v[24:25], v[20:21], v[24:25]
	s_delay_alu instid0(VALU_DEP_2) | instskip(NEXT) | instid1(VALU_DEP_2)
	v_fmac_f64_e32 v[4:5], v[20:21], v[22:23]
	v_fma_f64 v[24:25], v[18:19], v[22:23], -v[24:25]
	ds_load_b128 v[18:21], v2 offset:1072
	s_wait_dscnt 0x0
	v_mul_f64_e32 v[44:45], v[4:5], v[20:21]
	v_mul_f64_e32 v[22:23], v[24:25], v[20:21]
	s_delay_alu instid0(VALU_DEP_2) | instskip(NEXT) | instid1(VALU_DEP_2)
	v_fma_f64 v[20:21], v[18:19], v[24:25], -v[44:45]
	v_fmac_f64_e32 v[22:23], v[18:19], v[4:5]
	ds_store_b128 v2, v[20:23] offset:1072
	ds_store_b128 v2, v[20:23] offset:1568
.LBB180_42:                             ;   in Loop: Header=BB180_3 Depth=1
	s_or_b32 exec_lo, exec_lo, s50
	v_mov_b64_e32 v[20:21], 0
	v_mov_b64_e32 v[18:19], 0
	s_wait_dscnt 0x0
	s_barrier_signal -1
	s_barrier_wait -1
	s_and_saveexec_b32 s50, s5
	s_cbranch_execz .LBB180_48
; %bb.43:                               ;   in Loop: Header=BB180_3 Depth=1
	ds_load_b128 v[18:21], v50
	ds_load_b128 v[22:25], v56 offset:64
	s_wait_dscnt 0x0
	v_mul_f64_e32 v[4:5], v[20:21], v[24:25]
	v_mul_f64_e32 v[24:25], v[18:19], v[24:25]
	s_delay_alu instid0(VALU_DEP_2) | instskip(NEXT) | instid1(VALU_DEP_2)
	v_fma_f64 v[4:5], v[18:19], v[22:23], -v[4:5]
	v_fmac_f64_e32 v[24:25], v[20:21], v[22:23]
	s_delay_alu instid0(VALU_DEP_2) | instskip(NEXT) | instid1(VALU_DEP_2)
	v_add_f64_e32 v[18:19], 0, v[4:5]
	v_add_f64_e32 v[20:21], 0, v[24:25]
	s_and_saveexec_b32 s51, s13
	s_cbranch_execnz .LBB180_550
; %bb.44:                               ;   in Loop: Header=BB180_3 Depth=1
	s_or_b32 exec_lo, exec_lo, s51
	s_and_saveexec_b32 s51, s14
	s_cbranch_execnz .LBB180_551
.LBB180_45:                             ;   in Loop: Header=BB180_3 Depth=1
	s_or_b32 exec_lo, exec_lo, s51
	s_and_saveexec_b32 s51, s3
	s_cbranch_execz .LBB180_47
.LBB180_46:                             ;   in Loop: Header=BB180_3 Depth=1
	ds_load_b128 v[22:25], v2 offset:48
	ds_load_b128 v[208:211], v54 offset:1600
	s_wait_dscnt 0x0
	v_mul_f64_e32 v[4:5], v[24:25], v[210:211]
	s_delay_alu instid0(VALU_DEP_1) | instskip(SKIP_1) | instid1(VALU_DEP_2)
	v_fma_f64 v[4:5], v[22:23], v[208:209], -v[4:5]
	v_mul_f64_e32 v[22:23], v[22:23], v[210:211]
	v_add_f64_e32 v[18:19], v[18:19], v[4:5]
	s_delay_alu instid0(VALU_DEP_2) | instskip(NEXT) | instid1(VALU_DEP_1)
	v_fmac_f64_e32 v[22:23], v[24:25], v[208:209]
	v_add_f64_e32 v[20:21], v[20:21], v[22:23]
.LBB180_47:                             ;   in Loop: Header=BB180_3 Depth=1
	s_or_b32 exec_lo, exec_lo, s51
	s_delay_alu instid0(VALU_DEP_2) | instskip(NEXT) | instid1(VALU_DEP_2)
	v_xor_b32_e32 v19, 0x80000000, v19
	v_xor_b32_e32 v21, 0x80000000, v21
.LBB180_48:                             ;   in Loop: Header=BB180_3 Depth=1
	s_or_b32 exec_lo, exec_lo, s50
	s_and_saveexec_b32 s50, s64
	s_cbranch_execz .LBB180_50
; %bb.49:                               ;   in Loop: Header=BB180_3 Depth=1
	ds_load_b128 v[22:25], v2 offset:2112
	s_wait_dscnt 0x0
	v_mul_f64_e32 v[4:5], v[20:21], v[24:25]
	v_mul_f64_e32 v[210:211], v[18:19], v[24:25]
	s_delay_alu instid0(VALU_DEP_2) | instskip(NEXT) | instid1(VALU_DEP_2)
	v_fma_f64 v[208:209], v[18:19], v[22:23], -v[4:5]
	v_fmac_f64_e32 v[210:211], v[20:21], v[22:23]
	s_delay_alu instid0(VALU_DEP_2) | instskip(NEXT) | instid1(VALU_DEP_2)
	v_mov_b64_e32 v[18:19], v[208:209]
	v_mov_b64_e32 v[20:21], v[210:211]
	ds_store_b128 v55, v[208:211]
.LBB180_50:                             ;   in Loop: Header=BB180_3 Depth=1
	s_or_b32 exec_lo, exec_lo, s50
	s_wait_dscnt 0x0
	s_barrier_signal -1
	s_barrier_wait -1
	s_and_saveexec_b32 s50, s65
	s_cbranch_execz .LBB180_52
; %bb.51:                               ;   in Loop: Header=BB180_3 Depth=1
	ds_load_b128 v[22:25], v55
	ds_load_b128 v[208:211], v53 offset:2112
	s_wait_dscnt 0x0
	v_mul_f64_e32 v[4:5], v[24:25], v[210:211]
	s_delay_alu instid0(VALU_DEP_1) | instskip(SKIP_1) | instid1(VALU_DEP_2)
	v_fma_f64 v[4:5], v[22:23], v[208:209], -v[4:5]
	v_mul_f64_e32 v[22:23], v[22:23], v[210:211]
	v_add_f64_e32 v[18:19], v[18:19], v[4:5]
	s_delay_alu instid0(VALU_DEP_2) | instskip(NEXT) | instid1(VALU_DEP_1)
	v_fmac_f64_e32 v[22:23], v[24:25], v[208:209]
	v_add_f64_e32 v[20:21], v[20:21], v[22:23]
.LBB180_52:                             ;   in Loop: Header=BB180_3 Depth=1
	s_or_b32 exec_lo, exec_lo, s50
	s_barrier_signal -1
	s_barrier_wait -1
	s_and_saveexec_b32 s50, s66
	s_cbranch_execz .LBB180_54
; %bb.53:                               ;   in Loop: Header=BB180_3 Depth=1
	ds_load_b128 v[22:25], v2 offset:2640
	s_wait_dscnt 0x0
	v_mul_f64_e32 v[4:5], v[20:21], v[24:25]
	v_mul_f64_e32 v[210:211], v[18:19], v[24:25]
	s_delay_alu instid0(VALU_DEP_2) | instskip(NEXT) | instid1(VALU_DEP_2)
	v_fma_f64 v[208:209], v[18:19], v[22:23], -v[4:5]
	v_fmac_f64_e32 v[210:211], v[20:21], v[22:23]
	s_delay_alu instid0(VALU_DEP_2) | instskip(NEXT) | instid1(VALU_DEP_2)
	v_mov_b64_e32 v[18:19], v[208:209]
	v_mov_b64_e32 v[20:21], v[210:211]
	ds_store_b128 v55, v[208:211]
.LBB180_54:                             ;   in Loop: Header=BB180_3 Depth=1
	s_or_b32 exec_lo, exec_lo, s50
	s_wait_dscnt 0x0
	s_barrier_signal -1
	s_barrier_wait -1
	s_and_saveexec_b32 s50, s67
	s_cbranch_execz .LBB180_56
; %bb.55:                               ;   in Loop: Header=BB180_3 Depth=1
	ds_load_b128 v[22:25], v55
	ds_load_b128 v[208:211], v53 offset:2624
	s_wait_dscnt 0x0
	v_mul_f64_e32 v[4:5], v[24:25], v[210:211]
	s_delay_alu instid0(VALU_DEP_1) | instskip(SKIP_1) | instid1(VALU_DEP_2)
	v_fma_f64 v[4:5], v[22:23], v[208:209], -v[4:5]
	v_mul_f64_e32 v[22:23], v[22:23], v[210:211]
	v_add_f64_e32 v[18:19], v[18:19], v[4:5]
	s_delay_alu instid0(VALU_DEP_2) | instskip(NEXT) | instid1(VALU_DEP_1)
	v_fmac_f64_e32 v[22:23], v[24:25], v[208:209]
	v_add_f64_e32 v[20:21], v[20:21], v[22:23]
.LBB180_56:                             ;   in Loop: Header=BB180_3 Depth=1
	s_or_b32 exec_lo, exec_lo, s50
	s_barrier_signal -1
	s_barrier_wait -1
	;; [unrolled: 37-line block ×3, first 2 shown]
	s_and_saveexec_b32 s50, s69
	s_cbranch_execz .LBB180_62
; %bb.61:                               ;   in Loop: Header=BB180_3 Depth=1
	ds_load_b128 v[22:25], v2 offset:3696
	s_wait_dscnt 0x0
	v_mul_f64_e32 v[4:5], v[20:21], v[24:25]
	v_mul_f64_e32 v[210:211], v[18:19], v[24:25]
	s_delay_alu instid0(VALU_DEP_2) | instskip(NEXT) | instid1(VALU_DEP_2)
	v_fma_f64 v[208:209], v[18:19], v[22:23], -v[4:5]
	v_fmac_f64_e32 v[210:211], v[20:21], v[22:23]
	s_delay_alu instid0(VALU_DEP_2) | instskip(NEXT) | instid1(VALU_DEP_2)
	v_mov_b64_e32 v[18:19], v[208:209]
	v_mov_b64_e32 v[20:21], v[210:211]
	ds_store_b128 v55, v[208:211]
.LBB180_62:                             ;   in Loop: Header=BB180_3 Depth=1
	s_or_b32 exec_lo, exec_lo, s50
	s_wait_dscnt 0x0
	s_barrier_signal -1
	s_barrier_wait -1
	s_barrier_signal -1
	s_barrier_wait -1
	s_and_saveexec_b32 s50, s5
; %bb.63:                               ;   in Loop: Header=BB180_3 Depth=1
	s_delay_alu instid0(VALU_DEP_1) | instskip(NEXT) | instid1(VALU_DEP_4)
	v_xor_b32_e32 v21, 0x80000000, v21
	v_xor_b32_e32 v19, 0x80000000, v19
	ds_store_b128 v56, v[18:21] offset:64
; %bb.64:                               ;   in Loop: Header=BB180_3 Depth=1
	s_or_b32 exec_lo, exec_lo, s50
	s_wait_dscnt 0x0
	s_barrier_signal -1
	s_barrier_wait -1
	s_barrier_signal -1
	s_barrier_wait -1
	s_and_saveexec_b32 s50, s70
	s_cbranch_execz .LBB180_66
; %bb.65:                               ;   in Loop: Header=BB180_3 Depth=1
	ds_load_b128 v[18:21], v59
	s_wait_dscnt 0x0
	ds_store_b128 v157, v[18:21]
	ds_load_b128 v[18:21], v86
	s_wait_dscnt 0x0
	ds_store_b128 v160, v[18:21]
	;; [unrolled: 3-line block ×4, first 2 shown]
.LBB180_66:                             ;   in Loop: Header=BB180_3 Depth=1
	s_or_b32 exec_lo, exec_lo, s50
	s_wait_dscnt 0x0
	s_barrier_signal -1
	s_barrier_wait -1
	s_and_saveexec_b32 s50, s31
	s_cbranch_execz .LBB180_68
; %bb.67:                               ;   in Loop: Header=BB180_3 Depth=1
	ds_load_b128 v[18:21], v2 offset:2640
	ds_load_b128 v[22:25], v2 offset:2112
	s_wait_dscnt 0x0
	v_mul_f64_e32 v[4:5], v[18:19], v[24:25]
	v_mul_f64_e32 v[24:25], v[20:21], v[24:25]
	s_delay_alu instid0(VALU_DEP_2) | instskip(NEXT) | instid1(VALU_DEP_2)
	v_fmac_f64_e32 v[4:5], v[20:21], v[22:23]
	v_fma_f64 v[24:25], v[18:19], v[22:23], -v[24:25]
	ds_load_b128 v[18:21], v2 offset:2128
	s_wait_dscnt 0x0
	v_mul_f64_e32 v[44:45], v[4:5], v[20:21]
	v_mul_f64_e32 v[22:23], v[24:25], v[20:21]
	s_delay_alu instid0(VALU_DEP_2) | instskip(NEXT) | instid1(VALU_DEP_2)
	v_fma_f64 v[20:21], v[18:19], v[24:25], -v[44:45]
	v_fmac_f64_e32 v[22:23], v[18:19], v[4:5]
	ds_store_b128 v2, v[20:23] offset:2128
	ds_store_b128 v2, v[20:23] offset:2624
.LBB180_68:                             ;   in Loop: Header=BB180_3 Depth=1
	s_or_b32 exec_lo, exec_lo, s50
	v_mov_b64_e32 v[20:21], 0
	v_mov_b64_e32 v[18:19], 0
	s_wait_dscnt 0x0
	s_barrier_signal -1
	s_barrier_wait -1
	s_and_saveexec_b32 s50, s3
	s_cbranch_execz .LBB180_72
; %bb.69:                               ;   in Loop: Header=BB180_3 Depth=1
	ds_load_b128 v[18:21], v48 offset:2112
	ds_load_b128 v[22:25], v47 offset:2144
	s_wait_dscnt 0x0
	v_mul_f64_e32 v[4:5], v[20:21], v[24:25]
	v_mul_f64_e32 v[24:25], v[18:19], v[24:25]
	s_delay_alu instid0(VALU_DEP_2) | instskip(NEXT) | instid1(VALU_DEP_2)
	v_fma_f64 v[4:5], v[18:19], v[22:23], -v[4:5]
	v_fmac_f64_e32 v[24:25], v[20:21], v[22:23]
	s_delay_alu instid0(VALU_DEP_2) | instskip(NEXT) | instid1(VALU_DEP_2)
	v_add_f64_e32 v[18:19], 0, v[4:5]
	v_add_f64_e32 v[20:21], 0, v[24:25]
	s_and_saveexec_b32 s51, s12
	s_cbranch_execz .LBB180_71
; %bb.70:                               ;   in Loop: Header=BB180_3 Depth=1
	ds_load_b128 v[22:25], v2 offset:2128
	ds_load_b128 v[208:211], v87 offset:2656
	s_wait_dscnt 0x0
	v_mul_f64_e32 v[4:5], v[24:25], v[210:211]
	s_delay_alu instid0(VALU_DEP_1) | instskip(SKIP_1) | instid1(VALU_DEP_2)
	v_fma_f64 v[4:5], v[22:23], v[208:209], -v[4:5]
	v_mul_f64_e32 v[22:23], v[22:23], v[210:211]
	v_add_f64_e32 v[18:19], v[18:19], v[4:5]
	s_delay_alu instid0(VALU_DEP_2) | instskip(NEXT) | instid1(VALU_DEP_1)
	v_fmac_f64_e32 v[22:23], v[24:25], v[208:209]
	v_add_f64_e32 v[20:21], v[20:21], v[22:23]
.LBB180_71:                             ;   in Loop: Header=BB180_3 Depth=1
	s_or_b32 exec_lo, exec_lo, s51
	s_delay_alu instid0(VALU_DEP_2) | instskip(NEXT) | instid1(VALU_DEP_2)
	v_xor_b32_e32 v19, 0x80000000, v19
	v_xor_b32_e32 v21, 0x80000000, v21
.LBB180_72:                             ;   in Loop: Header=BB180_3 Depth=1
	s_or_b32 exec_lo, exec_lo, s50
	s_and_saveexec_b32 s50, s61
	s_cbranch_execz .LBB180_74
; %bb.73:                               ;   in Loop: Header=BB180_3 Depth=1
	ds_load_b128 v[22:25], v2 offset:3168
	s_wait_dscnt 0x0
	v_mul_f64_e32 v[4:5], v[20:21], v[24:25]
	v_mul_f64_e32 v[210:211], v[18:19], v[24:25]
	s_delay_alu instid0(VALU_DEP_2) | instskip(NEXT) | instid1(VALU_DEP_2)
	v_fma_f64 v[208:209], v[18:19], v[22:23], -v[4:5]
	v_fmac_f64_e32 v[210:211], v[20:21], v[22:23]
	s_delay_alu instid0(VALU_DEP_2) | instskip(NEXT) | instid1(VALU_DEP_2)
	v_mov_b64_e32 v[18:19], v[208:209]
	v_mov_b64_e32 v[20:21], v[210:211]
	ds_store_b128 v27, v[208:211]
.LBB180_74:                             ;   in Loop: Header=BB180_3 Depth=1
	s_or_b32 exec_lo, exec_lo, s50
	s_wait_dscnt 0x0
	s_barrier_signal -1
	s_barrier_wait -1
	s_and_saveexec_b32 s50, s62
	s_cbranch_execz .LBB180_76
; %bb.75:                               ;   in Loop: Header=BB180_3 Depth=1
	ds_load_b128 v[22:25], v27
	ds_load_b128 v[208:211], v2 offset:3184
	s_wait_dscnt 0x0
	v_mul_f64_e32 v[4:5], v[24:25], v[210:211]
	s_delay_alu instid0(VALU_DEP_1) | instskip(SKIP_1) | instid1(VALU_DEP_2)
	v_fma_f64 v[4:5], v[22:23], v[208:209], -v[4:5]
	v_mul_f64_e32 v[22:23], v[22:23], v[210:211]
	v_add_f64_e32 v[18:19], v[18:19], v[4:5]
	s_delay_alu instid0(VALU_DEP_2) | instskip(NEXT) | instid1(VALU_DEP_1)
	v_fmac_f64_e32 v[22:23], v[24:25], v[208:209]
	v_add_f64_e32 v[20:21], v[20:21], v[22:23]
.LBB180_76:                             ;   in Loop: Header=BB180_3 Depth=1
	s_or_b32 exec_lo, exec_lo, s50
	s_barrier_signal -1
	s_barrier_wait -1
	s_and_saveexec_b32 s50, s62
	s_cbranch_execz .LBB180_78
; %bb.77:                               ;   in Loop: Header=BB180_3 Depth=1
	ds_load_b128 v[22:25], v2 offset:3696
	s_wait_dscnt 0x0
	v_mul_f64_e32 v[4:5], v[20:21], v[24:25]
	v_mul_f64_e32 v[210:211], v[18:19], v[24:25]
	s_delay_alu instid0(VALU_DEP_2) | instskip(NEXT) | instid1(VALU_DEP_2)
	v_fma_f64 v[208:209], v[18:19], v[22:23], -v[4:5]
	v_fmac_f64_e32 v[210:211], v[20:21], v[22:23]
	s_delay_alu instid0(VALU_DEP_2) | instskip(NEXT) | instid1(VALU_DEP_2)
	v_mov_b64_e32 v[18:19], v[208:209]
	v_mov_b64_e32 v[20:21], v[210:211]
	ds_store_b128 v27, v[208:211]
.LBB180_78:                             ;   in Loop: Header=BB180_3 Depth=1
	s_or_b32 exec_lo, exec_lo, s50
	s_wait_dscnt 0x0
	s_barrier_signal -1
	s_barrier_wait -1
	s_barrier_signal -1
	s_barrier_wait -1
	s_and_saveexec_b32 s50, s3
; %bb.79:                               ;   in Loop: Header=BB180_3 Depth=1
	s_delay_alu instid0(VALU_DEP_3) | instskip(NEXT) | instid1(VALU_DEP_2)
	v_xor_b32_e32 v19, 0x80000000, v19
	v_xor_b32_e32 v21, 0x80000000, v21
	ds_store_b128 v47, v[18:21] offset:2144
; %bb.80:                               ;   in Loop: Header=BB180_3 Depth=1
	s_or_b32 exec_lo, exec_lo, s50
	s_wait_dscnt 0x0
	s_barrier_signal -1
	s_barrier_wait -1
	s_barrier_signal -1
	s_barrier_wait -1
	s_and_saveexec_b32 s50, s63
	s_cbranch_execz .LBB180_82
; %bb.81:                               ;   in Loop: Header=BB180_3 Depth=1
	ds_load_b128 v[18:21], v96
	s_wait_dscnt 0x0
	ds_store_b128 v161, v[18:21]
	ds_load_b128 v[18:21], v97
	s_wait_dscnt 0x0
	ds_store_b128 v162, v[18:21]
.LBB180_82:                             ;   in Loop: Header=BB180_3 Depth=1
	s_or_b32 exec_lo, exec_lo, s50
	s_wait_dscnt 0x0
	s_barrier_signal -1
	s_barrier_wait -1
	s_and_saveexec_b32 s50, s31
	s_cbranch_execz .LBB180_84
; %bb.83:                               ;   in Loop: Header=BB180_3 Depth=1
	ds_load_b128 v[18:21], v2 offset:3696
	ds_load_b128 v[22:25], v2 offset:3168
	s_wait_dscnt 0x0
	v_mul_f64_e32 v[4:5], v[18:19], v[24:25]
	v_mul_f64_e32 v[24:25], v[20:21], v[24:25]
	s_delay_alu instid0(VALU_DEP_2) | instskip(NEXT) | instid1(VALU_DEP_2)
	v_fmac_f64_e32 v[4:5], v[20:21], v[22:23]
	v_fma_f64 v[24:25], v[18:19], v[22:23], -v[24:25]
	ds_load_b128 v[18:21], v2 offset:3184
	s_wait_dscnt 0x0
	v_mul_f64_e32 v[44:45], v[4:5], v[20:21]
	v_mul_f64_e32 v[22:23], v[24:25], v[20:21]
	s_delay_alu instid0(VALU_DEP_2) | instskip(NEXT) | instid1(VALU_DEP_2)
	v_fma_f64 v[20:21], v[18:19], v[24:25], -v[44:45]
	v_fmac_f64_e32 v[22:23], v[18:19], v[4:5]
	ds_store_b128 v2, v[20:23] offset:3184
	ds_store_b128 v2, v[20:23] offset:3680
.LBB180_84:                             ;   in Loop: Header=BB180_3 Depth=1
	s_or_b32 exec_lo, exec_lo, s50
	v_mov_b64_e32 v[20:21], 0
	v_mov_b64_e32 v[18:19], 0
	s_wait_dscnt 0x0
	s_barrier_signal -1
	s_barrier_wait -1
	s_and_saveexec_b32 s50, s6
	s_cbranch_execz .LBB180_94
; %bb.85:                               ;   in Loop: Header=BB180_3 Depth=1
	ds_load_b128 v[18:21], v58
	ds_load_b128 v[22:25], v63 offset:128
	s_wait_dscnt 0x0
	v_mul_f64_e32 v[4:5], v[20:21], v[24:25]
	v_mul_f64_e32 v[24:25], v[18:19], v[24:25]
	s_delay_alu instid0(VALU_DEP_2) | instskip(NEXT) | instid1(VALU_DEP_2)
	v_fma_f64 v[4:5], v[18:19], v[22:23], -v[4:5]
	v_fmac_f64_e32 v[24:25], v[20:21], v[22:23]
	s_delay_alu instid0(VALU_DEP_2) | instskip(NEXT) | instid1(VALU_DEP_2)
	v_add_f64_e32 v[18:19], 0, v[4:5]
	v_add_f64_e32 v[20:21], 0, v[24:25]
	s_and_saveexec_b32 s51, s15
	s_cbranch_execnz .LBB180_552
; %bb.86:                               ;   in Loop: Header=BB180_3 Depth=1
	s_or_b32 exec_lo, exec_lo, s51
	s_and_saveexec_b32 s51, s16
	s_cbranch_execnz .LBB180_553
.LBB180_87:                             ;   in Loop: Header=BB180_3 Depth=1
	s_or_b32 exec_lo, exec_lo, s51
	s_and_saveexec_b32 s51, s17
	s_cbranch_execnz .LBB180_554
.LBB180_88:                             ;   in Loop: Header=BB180_3 Depth=1
	s_or_b32 exec_lo, exec_lo, s51
	s_and_saveexec_b32 s51, s18
	s_cbranch_execnz .LBB180_555
.LBB180_89:                             ;   in Loop: Header=BB180_3 Depth=1
	s_or_b32 exec_lo, exec_lo, s51
	s_and_saveexec_b32 s51, s19
	s_cbranch_execnz .LBB180_556
.LBB180_90:                             ;   in Loop: Header=BB180_3 Depth=1
	s_or_b32 exec_lo, exec_lo, s51
	s_and_saveexec_b32 s51, s5
	s_cbranch_execnz .LBB180_557
.LBB180_91:                             ;   in Loop: Header=BB180_3 Depth=1
	s_or_b32 exec_lo, exec_lo, s51
	s_and_saveexec_b32 s51, s14
	s_cbranch_execz .LBB180_93
.LBB180_92:                             ;   in Loop: Header=BB180_3 Depth=1
	ds_load_b128 v[22:25], v2 offset:112
	ds_load_b128 v[208:211], v49 offset:3712
	s_wait_dscnt 0x0
	v_mul_f64_e32 v[4:5], v[24:25], v[210:211]
	s_delay_alu instid0(VALU_DEP_1) | instskip(SKIP_1) | instid1(VALU_DEP_2)
	v_fma_f64 v[4:5], v[22:23], v[208:209], -v[4:5]
	v_mul_f64_e32 v[22:23], v[22:23], v[210:211]
	v_add_f64_e32 v[18:19], v[18:19], v[4:5]
	s_delay_alu instid0(VALU_DEP_2) | instskip(NEXT) | instid1(VALU_DEP_1)
	v_fmac_f64_e32 v[22:23], v[24:25], v[208:209]
	v_add_f64_e32 v[20:21], v[20:21], v[22:23]
.LBB180_93:                             ;   in Loop: Header=BB180_3 Depth=1
	s_or_b32 exec_lo, exec_lo, s51
	s_delay_alu instid0(VALU_DEP_2) | instskip(NEXT) | instid1(VALU_DEP_2)
	v_xor_b32_e32 v19, 0x80000000, v19
	v_xor_b32_e32 v21, 0x80000000, v21
.LBB180_94:                             ;   in Loop: Header=BB180_3 Depth=1
	s_or_b32 exec_lo, exec_lo, s50
	s_and_saveexec_b32 s50, s71
	s_cbranch_execz .LBB180_96
; %bb.95:                               ;   in Loop: Header=BB180_3 Depth=1
	ds_load_b128 v[22:25], v2 offset:4224
	s_wait_dscnt 0x0
	v_mul_f64_e32 v[4:5], v[20:21], v[24:25]
	v_mul_f64_e32 v[210:211], v[18:19], v[24:25]
	s_delay_alu instid0(VALU_DEP_2) | instskip(NEXT) | instid1(VALU_DEP_2)
	v_fma_f64 v[208:209], v[18:19], v[22:23], -v[4:5]
	v_fmac_f64_e32 v[210:211], v[20:21], v[22:23]
	s_delay_alu instid0(VALU_DEP_2) | instskip(NEXT) | instid1(VALU_DEP_2)
	v_mov_b64_e32 v[18:19], v[208:209]
	v_mov_b64_e32 v[20:21], v[210:211]
	ds_store_b128 v62, v[208:211]
.LBB180_96:                             ;   in Loop: Header=BB180_3 Depth=1
	s_or_b32 exec_lo, exec_lo, s50
	s_wait_dscnt 0x0
	s_barrier_signal -1
	s_barrier_wait -1
	s_and_saveexec_b32 s50, s72
	s_cbranch_execz .LBB180_98
; %bb.97:                               ;   in Loop: Header=BB180_3 Depth=1
	ds_load_b128 v[22:25], v62
	ds_load_b128 v[208:211], v60 offset:4224
	s_wait_dscnt 0x0
	v_mul_f64_e32 v[4:5], v[24:25], v[210:211]
	s_delay_alu instid0(VALU_DEP_1) | instskip(SKIP_1) | instid1(VALU_DEP_2)
	v_fma_f64 v[4:5], v[22:23], v[208:209], -v[4:5]
	v_mul_f64_e32 v[22:23], v[22:23], v[210:211]
	v_add_f64_e32 v[18:19], v[18:19], v[4:5]
	s_delay_alu instid0(VALU_DEP_2) | instskip(NEXT) | instid1(VALU_DEP_1)
	v_fmac_f64_e32 v[22:23], v[24:25], v[208:209]
	v_add_f64_e32 v[20:21], v[20:21], v[22:23]
.LBB180_98:                             ;   in Loop: Header=BB180_3 Depth=1
	s_or_b32 exec_lo, exec_lo, s50
	s_barrier_signal -1
	s_barrier_wait -1
	s_and_saveexec_b32 s50, s73
	s_cbranch_execz .LBB180_100
; %bb.99:                               ;   in Loop: Header=BB180_3 Depth=1
	ds_load_b128 v[22:25], v2 offset:4752
	s_wait_dscnt 0x0
	v_mul_f64_e32 v[4:5], v[20:21], v[24:25]
	v_mul_f64_e32 v[210:211], v[18:19], v[24:25]
	s_delay_alu instid0(VALU_DEP_2) | instskip(NEXT) | instid1(VALU_DEP_2)
	v_fma_f64 v[208:209], v[18:19], v[22:23], -v[4:5]
	v_fmac_f64_e32 v[210:211], v[20:21], v[22:23]
	s_delay_alu instid0(VALU_DEP_2) | instskip(NEXT) | instid1(VALU_DEP_2)
	v_mov_b64_e32 v[18:19], v[208:209]
	v_mov_b64_e32 v[20:21], v[210:211]
	ds_store_b128 v62, v[208:211]
.LBB180_100:                            ;   in Loop: Header=BB180_3 Depth=1
	s_or_b32 exec_lo, exec_lo, s50
	s_wait_dscnt 0x0
	s_barrier_signal -1
	s_barrier_wait -1
	s_and_saveexec_b32 s50, s74
	s_cbranch_execz .LBB180_102
; %bb.101:                              ;   in Loop: Header=BB180_3 Depth=1
	ds_load_b128 v[22:25], v62
	ds_load_b128 v[208:211], v60 offset:4736
	s_wait_dscnt 0x0
	v_mul_f64_e32 v[4:5], v[24:25], v[210:211]
	s_delay_alu instid0(VALU_DEP_1) | instskip(SKIP_1) | instid1(VALU_DEP_2)
	v_fma_f64 v[4:5], v[22:23], v[208:209], -v[4:5]
	v_mul_f64_e32 v[22:23], v[22:23], v[210:211]
	v_add_f64_e32 v[18:19], v[18:19], v[4:5]
	s_delay_alu instid0(VALU_DEP_2) | instskip(NEXT) | instid1(VALU_DEP_1)
	v_fmac_f64_e32 v[22:23], v[24:25], v[208:209]
	v_add_f64_e32 v[20:21], v[20:21], v[22:23]
.LBB180_102:                            ;   in Loop: Header=BB180_3 Depth=1
	s_or_b32 exec_lo, exec_lo, s50
	s_barrier_signal -1
	s_barrier_wait -1
	s_and_saveexec_b32 s50, s75
	s_cbranch_execz .LBB180_104
; %bb.103:                              ;   in Loop: Header=BB180_3 Depth=1
	ds_load_b128 v[22:25], v2 offset:5280
	s_wait_dscnt 0x0
	v_mul_f64_e32 v[4:5], v[20:21], v[24:25]
	v_mul_f64_e32 v[210:211], v[18:19], v[24:25]
	s_delay_alu instid0(VALU_DEP_2) | instskip(NEXT) | instid1(VALU_DEP_2)
	v_fma_f64 v[208:209], v[18:19], v[22:23], -v[4:5]
	v_fmac_f64_e32 v[210:211], v[20:21], v[22:23]
	s_delay_alu instid0(VALU_DEP_2) | instskip(NEXT) | instid1(VALU_DEP_2)
	v_mov_b64_e32 v[18:19], v[208:209]
	v_mov_b64_e32 v[20:21], v[210:211]
	ds_store_b128 v62, v[208:211]
.LBB180_104:                            ;   in Loop: Header=BB180_3 Depth=1
	s_or_b32 exec_lo, exec_lo, s50
	s_wait_dscnt 0x0
	s_barrier_signal -1
	s_barrier_wait -1
	s_and_saveexec_b32 s50, s76
	s_cbranch_execz .LBB180_106
; %bb.105:                              ;   in Loop: Header=BB180_3 Depth=1
	ds_load_b128 v[22:25], v62
	ds_load_b128 v[208:211], v60 offset:5248
	s_wait_dscnt 0x0
	v_mul_f64_e32 v[4:5], v[24:25], v[210:211]
	s_delay_alu instid0(VALU_DEP_1) | instskip(SKIP_1) | instid1(VALU_DEP_2)
	v_fma_f64 v[4:5], v[22:23], v[208:209], -v[4:5]
	v_mul_f64_e32 v[22:23], v[22:23], v[210:211]
	v_add_f64_e32 v[18:19], v[18:19], v[4:5]
	s_delay_alu instid0(VALU_DEP_2) | instskip(NEXT) | instid1(VALU_DEP_1)
	v_fmac_f64_e32 v[22:23], v[24:25], v[208:209]
	v_add_f64_e32 v[20:21], v[20:21], v[22:23]
.LBB180_106:                            ;   in Loop: Header=BB180_3 Depth=1
	s_or_b32 exec_lo, exec_lo, s50
	s_barrier_signal -1
	s_barrier_wait -1
	s_and_saveexec_b32 s50, s77
	s_cbranch_execz .LBB180_108
; %bb.107:                              ;   in Loop: Header=BB180_3 Depth=1
	ds_load_b128 v[22:25], v2 offset:5808
	s_wait_dscnt 0x0
	v_mul_f64_e32 v[4:5], v[20:21], v[24:25]
	v_mul_f64_e32 v[210:211], v[18:19], v[24:25]
	s_delay_alu instid0(VALU_DEP_2) | instskip(NEXT) | instid1(VALU_DEP_2)
	v_fma_f64 v[208:209], v[18:19], v[22:23], -v[4:5]
	v_fmac_f64_e32 v[210:211], v[20:21], v[22:23]
	s_delay_alu instid0(VALU_DEP_2) | instskip(NEXT) | instid1(VALU_DEP_2)
	v_mov_b64_e32 v[18:19], v[208:209]
	v_mov_b64_e32 v[20:21], v[210:211]
	ds_store_b128 v62, v[208:211]
.LBB180_108:                            ;   in Loop: Header=BB180_3 Depth=1
	;; [unrolled: 37-line block ×6, first 2 shown]
	s_or_b32 exec_lo, exec_lo, s50
	s_wait_dscnt 0x0
	s_barrier_signal -1
	s_barrier_wait -1
	s_barrier_signal -1
	s_barrier_wait -1
	s_and_saveexec_b32 s50, s6
; %bb.125:                              ;   in Loop: Header=BB180_3 Depth=1
	s_delay_alu instid0(VALU_DEP_3) | instskip(NEXT) | instid1(VALU_DEP_2)
	v_xor_b32_e32 v19, 0x80000000, v19
	v_xor_b32_e32 v21, 0x80000000, v21
	ds_store_b128 v63, v[18:21] offset:128
; %bb.126:                              ;   in Loop: Header=BB180_3 Depth=1
	s_or_b32 exec_lo, exec_lo, s50
	s_wait_dscnt 0x0
	s_barrier_signal -1
	s_barrier_wait -1
	s_barrier_signal -1
	s_barrier_wait -1
	s_and_saveexec_b32 s50, s85
	s_cbranch_execz .LBB180_128
; %bb.127:                              ;   in Loop: Header=BB180_3 Depth=1
	ds_load_b128 v[18:21], v65
	s_wait_dscnt 0x0
	ds_store_b128 v163, v[18:21]
	ds_load_b128 v[18:21], v66
	s_wait_dscnt 0x0
	ds_store_b128 v164, v[18:21]
	;; [unrolled: 3-line block ×8, first 2 shown]
.LBB180_128:                            ;   in Loop: Header=BB180_3 Depth=1
	s_or_b32 exec_lo, exec_lo, s50
	s_wait_dscnt 0x0
	s_barrier_signal -1
	s_barrier_wait -1
	s_and_saveexec_b32 s50, s31
	s_cbranch_execz .LBB180_130
; %bb.129:                              ;   in Loop: Header=BB180_3 Depth=1
	ds_load_b128 v[18:21], v2 offset:4752
	ds_load_b128 v[22:25], v2 offset:4224
	s_wait_dscnt 0x0
	v_mul_f64_e32 v[4:5], v[18:19], v[24:25]
	v_mul_f64_e32 v[24:25], v[20:21], v[24:25]
	s_delay_alu instid0(VALU_DEP_2) | instskip(NEXT) | instid1(VALU_DEP_2)
	v_fmac_f64_e32 v[4:5], v[20:21], v[22:23]
	v_fma_f64 v[24:25], v[18:19], v[22:23], -v[24:25]
	ds_load_b128 v[18:21], v2 offset:4240
	s_wait_dscnt 0x0
	v_mul_f64_e32 v[44:45], v[4:5], v[20:21]
	v_mul_f64_e32 v[22:23], v[24:25], v[20:21]
	s_delay_alu instid0(VALU_DEP_2) | instskip(NEXT) | instid1(VALU_DEP_2)
	v_fma_f64 v[20:21], v[18:19], v[24:25], -v[44:45]
	v_fmac_f64_e32 v[22:23], v[18:19], v[4:5]
	ds_store_b128 v2, v[20:23] offset:4240
	ds_store_b128 v2, v[20:23] offset:4736
.LBB180_130:                            ;   in Loop: Header=BB180_3 Depth=1
	s_or_b32 exec_lo, exec_lo, s50
	v_mov_b64_e32 v[20:21], 0
	v_mov_b64_e32 v[18:19], 0
	s_wait_dscnt 0x0
	s_barrier_signal -1
	s_barrier_wait -1
	s_and_saveexec_b32 s50, s3
	s_cbranch_execz .LBB180_134
; %bb.131:                              ;   in Loop: Header=BB180_3 Depth=1
	ds_load_b128 v[18:21], v48 offset:4224
	ds_load_b128 v[22:25], v47 offset:4256
	s_wait_dscnt 0x0
	v_mul_f64_e32 v[4:5], v[20:21], v[24:25]
	v_mul_f64_e32 v[24:25], v[18:19], v[24:25]
	s_delay_alu instid0(VALU_DEP_2) | instskip(NEXT) | instid1(VALU_DEP_2)
	v_fma_f64 v[4:5], v[18:19], v[22:23], -v[4:5]
	v_fmac_f64_e32 v[24:25], v[20:21], v[22:23]
	s_delay_alu instid0(VALU_DEP_2) | instskip(NEXT) | instid1(VALU_DEP_2)
	v_add_f64_e32 v[18:19], 0, v[4:5]
	v_add_f64_e32 v[20:21], 0, v[24:25]
	s_and_saveexec_b32 s51, s12
	s_cbranch_execz .LBB180_133
; %bb.132:                              ;   in Loop: Header=BB180_3 Depth=1
	ds_load_b128 v[22:25], v2 offset:4240
	ds_load_b128 v[208:211], v54 offset:4768
	s_wait_dscnt 0x0
	v_mul_f64_e32 v[4:5], v[24:25], v[210:211]
	s_delay_alu instid0(VALU_DEP_1) | instskip(SKIP_1) | instid1(VALU_DEP_2)
	v_fma_f64 v[4:5], v[22:23], v[208:209], -v[4:5]
	v_mul_f64_e32 v[22:23], v[22:23], v[210:211]
	v_add_f64_e32 v[18:19], v[18:19], v[4:5]
	s_delay_alu instid0(VALU_DEP_2) | instskip(NEXT) | instid1(VALU_DEP_1)
	v_fmac_f64_e32 v[22:23], v[24:25], v[208:209]
	v_add_f64_e32 v[20:21], v[20:21], v[22:23]
.LBB180_133:                            ;   in Loop: Header=BB180_3 Depth=1
	s_or_b32 exec_lo, exec_lo, s51
	s_delay_alu instid0(VALU_DEP_2) | instskip(NEXT) | instid1(VALU_DEP_2)
	v_xor_b32_e32 v19, 0x80000000, v19
	v_xor_b32_e32 v21, 0x80000000, v21
.LBB180_134:                            ;   in Loop: Header=BB180_3 Depth=1
	s_or_b32 exec_lo, exec_lo, s50
	s_and_saveexec_b32 s50, s61
	s_cbranch_execz .LBB180_136
; %bb.135:                              ;   in Loop: Header=BB180_3 Depth=1
	ds_load_b128 v[22:25], v2 offset:5280
	s_wait_dscnt 0x0
	v_mul_f64_e32 v[4:5], v[20:21], v[24:25]
	v_mul_f64_e32 v[210:211], v[18:19], v[24:25]
	s_delay_alu instid0(VALU_DEP_2) | instskip(NEXT) | instid1(VALU_DEP_2)
	v_fma_f64 v[208:209], v[18:19], v[22:23], -v[4:5]
	v_fmac_f64_e32 v[210:211], v[20:21], v[22:23]
	s_delay_alu instid0(VALU_DEP_2) | instskip(NEXT) | instid1(VALU_DEP_2)
	v_mov_b64_e32 v[18:19], v[208:209]
	v_mov_b64_e32 v[20:21], v[210:211]
	ds_store_b128 v27, v[208:211]
.LBB180_136:                            ;   in Loop: Header=BB180_3 Depth=1
	s_or_b32 exec_lo, exec_lo, s50
	s_wait_dscnt 0x0
	s_barrier_signal -1
	s_barrier_wait -1
	s_and_saveexec_b32 s50, s62
	s_cbranch_execz .LBB180_138
; %bb.137:                              ;   in Loop: Header=BB180_3 Depth=1
	ds_load_b128 v[22:25], v27
	ds_load_b128 v[208:211], v2 offset:5296
	s_wait_dscnt 0x0
	v_mul_f64_e32 v[4:5], v[24:25], v[210:211]
	s_delay_alu instid0(VALU_DEP_1) | instskip(SKIP_1) | instid1(VALU_DEP_2)
	v_fma_f64 v[4:5], v[22:23], v[208:209], -v[4:5]
	v_mul_f64_e32 v[22:23], v[22:23], v[210:211]
	v_add_f64_e32 v[18:19], v[18:19], v[4:5]
	s_delay_alu instid0(VALU_DEP_2) | instskip(NEXT) | instid1(VALU_DEP_1)
	v_fmac_f64_e32 v[22:23], v[24:25], v[208:209]
	v_add_f64_e32 v[20:21], v[20:21], v[22:23]
.LBB180_138:                            ;   in Loop: Header=BB180_3 Depth=1
	s_or_b32 exec_lo, exec_lo, s50
	s_barrier_signal -1
	s_barrier_wait -1
	s_and_saveexec_b32 s50, s62
	s_cbranch_execz .LBB180_140
; %bb.139:                              ;   in Loop: Header=BB180_3 Depth=1
	ds_load_b128 v[22:25], v2 offset:5808
	s_wait_dscnt 0x0
	v_mul_f64_e32 v[4:5], v[20:21], v[24:25]
	v_mul_f64_e32 v[210:211], v[18:19], v[24:25]
	s_delay_alu instid0(VALU_DEP_2) | instskip(NEXT) | instid1(VALU_DEP_2)
	v_fma_f64 v[208:209], v[18:19], v[22:23], -v[4:5]
	v_fmac_f64_e32 v[210:211], v[20:21], v[22:23]
	s_delay_alu instid0(VALU_DEP_2) | instskip(NEXT) | instid1(VALU_DEP_2)
	v_mov_b64_e32 v[18:19], v[208:209]
	v_mov_b64_e32 v[20:21], v[210:211]
	ds_store_b128 v27, v[208:211]
.LBB180_140:                            ;   in Loop: Header=BB180_3 Depth=1
	s_or_b32 exec_lo, exec_lo, s50
	s_wait_dscnt 0x0
	s_barrier_signal -1
	s_barrier_wait -1
	s_barrier_signal -1
	s_barrier_wait -1
	s_and_saveexec_b32 s50, s3
; %bb.141:                              ;   in Loop: Header=BB180_3 Depth=1
	s_delay_alu instid0(VALU_DEP_3) | instskip(NEXT) | instid1(VALU_DEP_2)
	v_xor_b32_e32 v19, 0x80000000, v19
	v_xor_b32_e32 v21, 0x80000000, v21
	ds_store_b128 v47, v[18:21] offset:4256
; %bb.142:                              ;   in Loop: Header=BB180_3 Depth=1
	s_or_b32 exec_lo, exec_lo, s50
	s_wait_dscnt 0x0
	s_barrier_signal -1
	s_barrier_wait -1
	s_barrier_signal -1
	s_barrier_wait -1
	s_and_saveexec_b32 s50, s63
	s_cbranch_execz .LBB180_144
; %bb.143:                              ;   in Loop: Header=BB180_3 Depth=1
	ds_load_b128 v[18:21], v88
	s_wait_dscnt 0x0
	ds_store_b128 v171, v[18:21]
	ds_load_b128 v[18:21], v89
	s_wait_dscnt 0x0
	ds_store_b128 v172, v[18:21]
.LBB180_144:                            ;   in Loop: Header=BB180_3 Depth=1
	s_or_b32 exec_lo, exec_lo, s50
	s_wait_dscnt 0x0
	s_barrier_signal -1
	s_barrier_wait -1
	s_and_saveexec_b32 s50, s31
	s_cbranch_execz .LBB180_146
; %bb.145:                              ;   in Loop: Header=BB180_3 Depth=1
	ds_load_b128 v[18:21], v2 offset:5808
	ds_load_b128 v[22:25], v2 offset:5280
	s_wait_dscnt 0x0
	v_mul_f64_e32 v[4:5], v[18:19], v[24:25]
	v_mul_f64_e32 v[24:25], v[20:21], v[24:25]
	s_delay_alu instid0(VALU_DEP_2) | instskip(NEXT) | instid1(VALU_DEP_2)
	v_fmac_f64_e32 v[4:5], v[20:21], v[22:23]
	v_fma_f64 v[24:25], v[18:19], v[22:23], -v[24:25]
	ds_load_b128 v[18:21], v2 offset:5296
	s_wait_dscnt 0x0
	v_mul_f64_e32 v[44:45], v[4:5], v[20:21]
	v_mul_f64_e32 v[22:23], v[24:25], v[20:21]
	s_delay_alu instid0(VALU_DEP_2) | instskip(NEXT) | instid1(VALU_DEP_2)
	v_fma_f64 v[20:21], v[18:19], v[24:25], -v[44:45]
	v_fmac_f64_e32 v[22:23], v[18:19], v[4:5]
	ds_store_b128 v2, v[20:23] offset:5296
	ds_store_b128 v2, v[20:23] offset:5792
.LBB180_146:                            ;   in Loop: Header=BB180_3 Depth=1
	s_or_b32 exec_lo, exec_lo, s50
	v_mov_b64_e32 v[20:21], 0
	v_mov_b64_e32 v[18:19], 0
	s_wait_dscnt 0x0
	s_barrier_signal -1
	s_barrier_wait -1
	s_and_saveexec_b32 s50, s5
	s_cbranch_execz .LBB180_152
; %bb.147:                              ;   in Loop: Header=BB180_3 Depth=1
	ds_load_b128 v[18:21], v50 offset:4224
	ds_load_b128 v[22:25], v56 offset:4288
	s_wait_dscnt 0x0
	v_mul_f64_e32 v[4:5], v[20:21], v[24:25]
	v_mul_f64_e32 v[24:25], v[18:19], v[24:25]
	s_delay_alu instid0(VALU_DEP_2) | instskip(NEXT) | instid1(VALU_DEP_2)
	v_fma_f64 v[4:5], v[18:19], v[22:23], -v[4:5]
	v_fmac_f64_e32 v[24:25], v[20:21], v[22:23]
	s_delay_alu instid0(VALU_DEP_2) | instskip(NEXT) | instid1(VALU_DEP_2)
	v_add_f64_e32 v[18:19], 0, v[4:5]
	v_add_f64_e32 v[20:21], 0, v[24:25]
	s_and_saveexec_b32 s51, s13
	s_cbranch_execnz .LBB180_558
; %bb.148:                              ;   in Loop: Header=BB180_3 Depth=1
	s_or_b32 exec_lo, exec_lo, s51
	s_and_saveexec_b32 s51, s14
	s_cbranch_execnz .LBB180_559
.LBB180_149:                            ;   in Loop: Header=BB180_3 Depth=1
	s_or_b32 exec_lo, exec_lo, s51
	s_and_saveexec_b32 s51, s3
	s_cbranch_execz .LBB180_151
.LBB180_150:                            ;   in Loop: Header=BB180_3 Depth=1
	ds_load_b128 v[22:25], v2 offset:4272
	ds_load_b128 v[208:211], v87 offset:5824
	s_wait_dscnt 0x0
	v_mul_f64_e32 v[4:5], v[24:25], v[210:211]
	s_delay_alu instid0(VALU_DEP_1) | instskip(SKIP_1) | instid1(VALU_DEP_2)
	v_fma_f64 v[4:5], v[22:23], v[208:209], -v[4:5]
	v_mul_f64_e32 v[22:23], v[22:23], v[210:211]
	v_add_f64_e32 v[18:19], v[18:19], v[4:5]
	s_delay_alu instid0(VALU_DEP_2) | instskip(NEXT) | instid1(VALU_DEP_1)
	v_fmac_f64_e32 v[22:23], v[24:25], v[208:209]
	v_add_f64_e32 v[20:21], v[20:21], v[22:23]
.LBB180_151:                            ;   in Loop: Header=BB180_3 Depth=1
	s_or_b32 exec_lo, exec_lo, s51
	s_delay_alu instid0(VALU_DEP_2) | instskip(NEXT) | instid1(VALU_DEP_2)
	v_xor_b32_e32 v19, 0x80000000, v19
	v_xor_b32_e32 v21, 0x80000000, v21
.LBB180_152:                            ;   in Loop: Header=BB180_3 Depth=1
	s_or_b32 exec_lo, exec_lo, s50
	s_and_saveexec_b32 s50, s64
	s_cbranch_execz .LBB180_154
; %bb.153:                              ;   in Loop: Header=BB180_3 Depth=1
	ds_load_b128 v[22:25], v2 offset:6336
	s_wait_dscnt 0x0
	v_mul_f64_e32 v[4:5], v[20:21], v[24:25]
	v_mul_f64_e32 v[210:211], v[18:19], v[24:25]
	s_delay_alu instid0(VALU_DEP_2) | instskip(NEXT) | instid1(VALU_DEP_2)
	v_fma_f64 v[208:209], v[18:19], v[22:23], -v[4:5]
	v_fmac_f64_e32 v[210:211], v[20:21], v[22:23]
	s_delay_alu instid0(VALU_DEP_2) | instskip(NEXT) | instid1(VALU_DEP_2)
	v_mov_b64_e32 v[18:19], v[208:209]
	v_mov_b64_e32 v[20:21], v[210:211]
	ds_store_b128 v55, v[208:211]
.LBB180_154:                            ;   in Loop: Header=BB180_3 Depth=1
	s_or_b32 exec_lo, exec_lo, s50
	s_wait_dscnt 0x0
	s_barrier_signal -1
	s_barrier_wait -1
	s_and_saveexec_b32 s50, s65
	s_cbranch_execz .LBB180_156
; %bb.155:                              ;   in Loop: Header=BB180_3 Depth=1
	ds_load_b128 v[22:25], v55
	ds_load_b128 v[208:211], v53 offset:6336
	s_wait_dscnt 0x0
	v_mul_f64_e32 v[4:5], v[24:25], v[210:211]
	s_delay_alu instid0(VALU_DEP_1) | instskip(SKIP_1) | instid1(VALU_DEP_2)
	v_fma_f64 v[4:5], v[22:23], v[208:209], -v[4:5]
	v_mul_f64_e32 v[22:23], v[22:23], v[210:211]
	v_add_f64_e32 v[18:19], v[18:19], v[4:5]
	s_delay_alu instid0(VALU_DEP_2) | instskip(NEXT) | instid1(VALU_DEP_1)
	v_fmac_f64_e32 v[22:23], v[24:25], v[208:209]
	v_add_f64_e32 v[20:21], v[20:21], v[22:23]
.LBB180_156:                            ;   in Loop: Header=BB180_3 Depth=1
	s_or_b32 exec_lo, exec_lo, s50
	s_barrier_signal -1
	s_barrier_wait -1
	s_and_saveexec_b32 s50, s66
	s_cbranch_execz .LBB180_158
; %bb.157:                              ;   in Loop: Header=BB180_3 Depth=1
	ds_load_b128 v[22:25], v2 offset:6864
	s_wait_dscnt 0x0
	v_mul_f64_e32 v[4:5], v[20:21], v[24:25]
	v_mul_f64_e32 v[210:211], v[18:19], v[24:25]
	s_delay_alu instid0(VALU_DEP_2) | instskip(NEXT) | instid1(VALU_DEP_2)
	v_fma_f64 v[208:209], v[18:19], v[22:23], -v[4:5]
	v_fmac_f64_e32 v[210:211], v[20:21], v[22:23]
	s_delay_alu instid0(VALU_DEP_2) | instskip(NEXT) | instid1(VALU_DEP_2)
	v_mov_b64_e32 v[18:19], v[208:209]
	v_mov_b64_e32 v[20:21], v[210:211]
	ds_store_b128 v55, v[208:211]
.LBB180_158:                            ;   in Loop: Header=BB180_3 Depth=1
	s_or_b32 exec_lo, exec_lo, s50
	s_wait_dscnt 0x0
	s_barrier_signal -1
	s_barrier_wait -1
	s_and_saveexec_b32 s50, s67
	s_cbranch_execz .LBB180_160
; %bb.159:                              ;   in Loop: Header=BB180_3 Depth=1
	ds_load_b128 v[22:25], v55
	ds_load_b128 v[208:211], v53 offset:6848
	s_wait_dscnt 0x0
	v_mul_f64_e32 v[4:5], v[24:25], v[210:211]
	s_delay_alu instid0(VALU_DEP_1) | instskip(SKIP_1) | instid1(VALU_DEP_2)
	v_fma_f64 v[4:5], v[22:23], v[208:209], -v[4:5]
	v_mul_f64_e32 v[22:23], v[22:23], v[210:211]
	v_add_f64_e32 v[18:19], v[18:19], v[4:5]
	s_delay_alu instid0(VALU_DEP_2) | instskip(NEXT) | instid1(VALU_DEP_1)
	v_fmac_f64_e32 v[22:23], v[24:25], v[208:209]
	v_add_f64_e32 v[20:21], v[20:21], v[22:23]
.LBB180_160:                            ;   in Loop: Header=BB180_3 Depth=1
	s_or_b32 exec_lo, exec_lo, s50
	s_barrier_signal -1
	s_barrier_wait -1
	;; [unrolled: 37-line block ×3, first 2 shown]
	s_and_saveexec_b32 s50, s69
	s_cbranch_execz .LBB180_166
; %bb.165:                              ;   in Loop: Header=BB180_3 Depth=1
	ds_load_b128 v[22:25], v2 offset:7920
	s_wait_dscnt 0x0
	v_mul_f64_e32 v[4:5], v[20:21], v[24:25]
	v_mul_f64_e32 v[210:211], v[18:19], v[24:25]
	s_delay_alu instid0(VALU_DEP_2) | instskip(NEXT) | instid1(VALU_DEP_2)
	v_fma_f64 v[208:209], v[18:19], v[22:23], -v[4:5]
	v_fmac_f64_e32 v[210:211], v[20:21], v[22:23]
	s_delay_alu instid0(VALU_DEP_2) | instskip(NEXT) | instid1(VALU_DEP_2)
	v_mov_b64_e32 v[18:19], v[208:209]
	v_mov_b64_e32 v[20:21], v[210:211]
	ds_store_b128 v55, v[208:211]
.LBB180_166:                            ;   in Loop: Header=BB180_3 Depth=1
	s_or_b32 exec_lo, exec_lo, s50
	s_wait_dscnt 0x0
	s_barrier_signal -1
	s_barrier_wait -1
	s_barrier_signal -1
	s_barrier_wait -1
	s_and_saveexec_b32 s50, s5
; %bb.167:                              ;   in Loop: Header=BB180_3 Depth=1
	s_delay_alu instid0(VALU_DEP_1) | instskip(NEXT) | instid1(VALU_DEP_4)
	v_xor_b32_e32 v21, 0x80000000, v21
	v_xor_b32_e32 v19, 0x80000000, v19
	ds_store_b128 v56, v[18:21] offset:4288
; %bb.168:                              ;   in Loop: Header=BB180_3 Depth=1
	s_or_b32 exec_lo, exec_lo, s50
	s_wait_dscnt 0x0
	s_barrier_signal -1
	s_barrier_wait -1
	s_barrier_signal -1
	s_barrier_wait -1
	s_and_saveexec_b32 s50, s70
	s_cbranch_execz .LBB180_170
; %bb.169:                              ;   in Loop: Header=BB180_3 Depth=1
	ds_load_b128 v[18:21], v99
	s_wait_dscnt 0x0
	ds_store_b128 v174, v[18:21]
	ds_load_b128 v[18:21], v102
	s_wait_dscnt 0x0
	ds_store_b128 v177, v[18:21]
	ds_load_b128 v[18:21], v101
	s_wait_dscnt 0x0
	ds_store_b128 v176, v[18:21]
	ds_load_b128 v[18:21], v100
	s_wait_dscnt 0x0
	ds_store_b128 v175, v[18:21]
.LBB180_170:                            ;   in Loop: Header=BB180_3 Depth=1
	s_or_b32 exec_lo, exec_lo, s50
	s_wait_dscnt 0x0
	s_barrier_signal -1
	s_barrier_wait -1
	s_and_saveexec_b32 s50, s31
	s_cbranch_execz .LBB180_172
; %bb.171:                              ;   in Loop: Header=BB180_3 Depth=1
	ds_load_b128 v[18:21], v2 offset:6864
	ds_load_b128 v[22:25], v2 offset:6336
	s_wait_dscnt 0x0
	v_mul_f64_e32 v[4:5], v[18:19], v[24:25]
	v_mul_f64_e32 v[24:25], v[20:21], v[24:25]
	s_delay_alu instid0(VALU_DEP_2) | instskip(NEXT) | instid1(VALU_DEP_2)
	v_fmac_f64_e32 v[4:5], v[20:21], v[22:23]
	v_fma_f64 v[24:25], v[18:19], v[22:23], -v[24:25]
	ds_load_b128 v[18:21], v2 offset:6352
	s_wait_dscnt 0x0
	v_mul_f64_e32 v[44:45], v[4:5], v[20:21]
	v_mul_f64_e32 v[22:23], v[24:25], v[20:21]
	s_delay_alu instid0(VALU_DEP_2) | instskip(NEXT) | instid1(VALU_DEP_2)
	v_fma_f64 v[20:21], v[18:19], v[24:25], -v[44:45]
	v_fmac_f64_e32 v[22:23], v[18:19], v[4:5]
	ds_store_b128 v2, v[20:23] offset:6352
	ds_store_b128 v2, v[20:23] offset:6848
.LBB180_172:                            ;   in Loop: Header=BB180_3 Depth=1
	s_or_b32 exec_lo, exec_lo, s50
	v_mov_b64_e32 v[20:21], 0
	v_mov_b64_e32 v[18:19], 0
	s_wait_dscnt 0x0
	s_barrier_signal -1
	s_barrier_wait -1
	s_and_saveexec_b32 s50, s3
	s_cbranch_execz .LBB180_176
; %bb.173:                              ;   in Loop: Header=BB180_3 Depth=1
	ds_load_b128 v[18:21], v48 offset:6336
	ds_load_b128 v[22:25], v47 offset:6368
	s_wait_dscnt 0x0
	v_mul_f64_e32 v[4:5], v[20:21], v[24:25]
	v_mul_f64_e32 v[24:25], v[18:19], v[24:25]
	s_delay_alu instid0(VALU_DEP_2) | instskip(NEXT) | instid1(VALU_DEP_2)
	v_fma_f64 v[4:5], v[18:19], v[22:23], -v[4:5]
	v_fmac_f64_e32 v[24:25], v[20:21], v[22:23]
	s_delay_alu instid0(VALU_DEP_2) | instskip(NEXT) | instid1(VALU_DEP_2)
	v_add_f64_e32 v[18:19], 0, v[4:5]
	v_add_f64_e32 v[20:21], 0, v[24:25]
	s_and_saveexec_b32 s51, s12
	s_cbranch_execz .LBB180_175
; %bb.174:                              ;   in Loop: Header=BB180_3 Depth=1
	ds_load_b128 v[22:25], v2 offset:6352
	ds_load_b128 v[208:211], v98 offset:6880
	s_wait_dscnt 0x0
	v_mul_f64_e32 v[4:5], v[24:25], v[210:211]
	s_delay_alu instid0(VALU_DEP_1) | instskip(SKIP_1) | instid1(VALU_DEP_2)
	v_fma_f64 v[4:5], v[22:23], v[208:209], -v[4:5]
	v_mul_f64_e32 v[22:23], v[22:23], v[210:211]
	v_add_f64_e32 v[18:19], v[18:19], v[4:5]
	s_delay_alu instid0(VALU_DEP_2) | instskip(NEXT) | instid1(VALU_DEP_1)
	v_fmac_f64_e32 v[22:23], v[24:25], v[208:209]
	v_add_f64_e32 v[20:21], v[20:21], v[22:23]
.LBB180_175:                            ;   in Loop: Header=BB180_3 Depth=1
	s_or_b32 exec_lo, exec_lo, s51
	s_delay_alu instid0(VALU_DEP_2) | instskip(NEXT) | instid1(VALU_DEP_2)
	v_xor_b32_e32 v19, 0x80000000, v19
	v_xor_b32_e32 v21, 0x80000000, v21
.LBB180_176:                            ;   in Loop: Header=BB180_3 Depth=1
	s_or_b32 exec_lo, exec_lo, s50
	s_and_saveexec_b32 s50, s61
	s_cbranch_execz .LBB180_178
; %bb.177:                              ;   in Loop: Header=BB180_3 Depth=1
	ds_load_b128 v[22:25], v2 offset:7392
	s_wait_dscnt 0x0
	v_mul_f64_e32 v[4:5], v[20:21], v[24:25]
	v_mul_f64_e32 v[210:211], v[18:19], v[24:25]
	s_delay_alu instid0(VALU_DEP_2) | instskip(NEXT) | instid1(VALU_DEP_2)
	v_fma_f64 v[208:209], v[18:19], v[22:23], -v[4:5]
	v_fmac_f64_e32 v[210:211], v[20:21], v[22:23]
	s_delay_alu instid0(VALU_DEP_2) | instskip(NEXT) | instid1(VALU_DEP_2)
	v_mov_b64_e32 v[18:19], v[208:209]
	v_mov_b64_e32 v[20:21], v[210:211]
	ds_store_b128 v27, v[208:211]
.LBB180_178:                            ;   in Loop: Header=BB180_3 Depth=1
	s_or_b32 exec_lo, exec_lo, s50
	s_wait_dscnt 0x0
	s_barrier_signal -1
	s_barrier_wait -1
	s_and_saveexec_b32 s50, s62
	s_cbranch_execz .LBB180_180
; %bb.179:                              ;   in Loop: Header=BB180_3 Depth=1
	ds_load_b128 v[22:25], v27
	ds_load_b128 v[208:211], v2 offset:7408
	s_wait_dscnt 0x0
	v_mul_f64_e32 v[4:5], v[24:25], v[210:211]
	s_delay_alu instid0(VALU_DEP_1) | instskip(SKIP_1) | instid1(VALU_DEP_2)
	v_fma_f64 v[4:5], v[22:23], v[208:209], -v[4:5]
	v_mul_f64_e32 v[22:23], v[22:23], v[210:211]
	v_add_f64_e32 v[18:19], v[18:19], v[4:5]
	s_delay_alu instid0(VALU_DEP_2) | instskip(NEXT) | instid1(VALU_DEP_1)
	v_fmac_f64_e32 v[22:23], v[24:25], v[208:209]
	v_add_f64_e32 v[20:21], v[20:21], v[22:23]
.LBB180_180:                            ;   in Loop: Header=BB180_3 Depth=1
	s_or_b32 exec_lo, exec_lo, s50
	s_barrier_signal -1
	s_barrier_wait -1
	s_and_saveexec_b32 s50, s62
	s_cbranch_execz .LBB180_182
; %bb.181:                              ;   in Loop: Header=BB180_3 Depth=1
	ds_load_b128 v[22:25], v2 offset:7920
	s_wait_dscnt 0x0
	v_mul_f64_e32 v[4:5], v[20:21], v[24:25]
	v_mul_f64_e32 v[210:211], v[18:19], v[24:25]
	s_delay_alu instid0(VALU_DEP_2) | instskip(NEXT) | instid1(VALU_DEP_2)
	v_fma_f64 v[208:209], v[18:19], v[22:23], -v[4:5]
	v_fmac_f64_e32 v[210:211], v[20:21], v[22:23]
	s_delay_alu instid0(VALU_DEP_2) | instskip(NEXT) | instid1(VALU_DEP_2)
	v_mov_b64_e32 v[18:19], v[208:209]
	v_mov_b64_e32 v[20:21], v[210:211]
	ds_store_b128 v27, v[208:211]
.LBB180_182:                            ;   in Loop: Header=BB180_3 Depth=1
	s_or_b32 exec_lo, exec_lo, s50
	s_wait_dscnt 0x0
	s_barrier_signal -1
	s_barrier_wait -1
	s_barrier_signal -1
	s_barrier_wait -1
	s_and_saveexec_b32 s50, s3
; %bb.183:                              ;   in Loop: Header=BB180_3 Depth=1
	s_delay_alu instid0(VALU_DEP_3) | instskip(NEXT) | instid1(VALU_DEP_2)
	v_xor_b32_e32 v19, 0x80000000, v19
	v_xor_b32_e32 v21, 0x80000000, v21
	ds_store_b128 v47, v[18:21] offset:6368
; %bb.184:                              ;   in Loop: Header=BB180_3 Depth=1
	s_or_b32 exec_lo, exec_lo, s50
	s_wait_dscnt 0x0
	s_barrier_signal -1
	s_barrier_wait -1
	s_barrier_signal -1
	s_barrier_wait -1
	s_and_saveexec_b32 s50, s63
	s_cbranch_execz .LBB180_186
; %bb.185:                              ;   in Loop: Header=BB180_3 Depth=1
	ds_load_b128 v[18:21], v109
	s_wait_dscnt 0x0
	ds_store_b128 v113, v[18:21]
	ds_load_b128 v[18:21], v110
	s_wait_dscnt 0x0
	ds_store_b128 v114, v[18:21]
.LBB180_186:                            ;   in Loop: Header=BB180_3 Depth=1
	s_or_b32 exec_lo, exec_lo, s50
	s_wait_dscnt 0x0
	s_barrier_signal -1
	s_barrier_wait -1
	s_and_saveexec_b32 s50, s31
	s_cbranch_execz .LBB180_188
; %bb.187:                              ;   in Loop: Header=BB180_3 Depth=1
	ds_load_b128 v[18:21], v2 offset:7920
	ds_load_b128 v[22:25], v2 offset:7392
	s_wait_dscnt 0x0
	v_mul_f64_e32 v[4:5], v[18:19], v[24:25]
	v_mul_f64_e32 v[24:25], v[20:21], v[24:25]
	s_delay_alu instid0(VALU_DEP_2) | instskip(NEXT) | instid1(VALU_DEP_2)
	v_fmac_f64_e32 v[4:5], v[20:21], v[22:23]
	v_fma_f64 v[24:25], v[18:19], v[22:23], -v[24:25]
	ds_load_b128 v[18:21], v2 offset:7408
	s_wait_dscnt 0x0
	v_mul_f64_e32 v[44:45], v[4:5], v[20:21]
	v_mul_f64_e32 v[22:23], v[24:25], v[20:21]
	s_delay_alu instid0(VALU_DEP_2) | instskip(NEXT) | instid1(VALU_DEP_2)
	v_fma_f64 v[20:21], v[18:19], v[24:25], -v[44:45]
	v_fmac_f64_e32 v[22:23], v[18:19], v[4:5]
	ds_store_b128 v2, v[20:23] offset:7408
	ds_store_b128 v2, v[20:23] offset:7904
.LBB180_188:                            ;   in Loop: Header=BB180_3 Depth=1
	s_or_b32 exec_lo, exec_lo, s50
	v_mov_b64_e32 v[20:21], 0
	v_mov_b64_e32 v[18:19], 0
	s_wait_dscnt 0x0
	s_barrier_signal -1
	s_barrier_wait -1
	s_and_saveexec_b32 s50, s7
	s_cbranch_execz .LBB180_216
; %bb.189:                              ;   in Loop: Header=BB180_3 Depth=1
	v_add_nc_u32_e32 v3, v73, v173
	ds_load_b128 v[18:21], v3
	ds_load_b128 v[22:25], v179 offset:256
	s_wait_dscnt 0x0
	v_mul_f64_e32 v[4:5], v[20:21], v[24:25]
	v_mul_f64_e32 v[24:25], v[18:19], v[24:25]
	s_delay_alu instid0(VALU_DEP_2) | instskip(NEXT) | instid1(VALU_DEP_2)
	v_fma_f64 v[4:5], v[18:19], v[22:23], -v[4:5]
	v_fmac_f64_e32 v[24:25], v[20:21], v[22:23]
	s_delay_alu instid0(VALU_DEP_2) | instskip(NEXT) | instid1(VALU_DEP_2)
	v_add_f64_e32 v[18:19], 0, v[4:5]
	v_add_f64_e32 v[20:21], 0, v[24:25]
	s_mov_b32 s51, exec_lo
	v_readlane_b32 s90, v207, 15
	s_and_b32 s90, s51, s90
	s_delay_alu instid0(SALU_CYCLE_1)
	s_mov_b32 exec_lo, s90
	s_cbranch_execz .LBB180_191
; %bb.190:                              ;   in Loop: Header=BB180_3 Depth=1
	ds_load_b128 v[22:25], v3 offset:16
	ds_load_b128 v[208:211], v179 offset:768
	s_wait_dscnt 0x0
	v_mul_f64_e32 v[4:5], v[24:25], v[210:211]
	s_delay_alu instid0(VALU_DEP_1) | instskip(SKIP_1) | instid1(VALU_DEP_2)
	v_fma_f64 v[4:5], v[22:23], v[208:209], -v[4:5]
	v_mul_f64_e32 v[22:23], v[22:23], v[210:211]
	v_add_f64_e32 v[18:19], v[18:19], v[4:5]
	s_delay_alu instid0(VALU_DEP_2) | instskip(NEXT) | instid1(VALU_DEP_1)
	v_fmac_f64_e32 v[22:23], v[24:25], v[208:209]
	v_add_f64_e32 v[20:21], v[20:21], v[22:23]
.LBB180_191:                            ;   in Loop: Header=BB180_3 Depth=1
	s_or_b32 exec_lo, exec_lo, s51
	s_delay_alu instid0(SALU_CYCLE_1) | instskip(SKIP_2) | instid1(SALU_CYCLE_1)
	s_mov_b32 s51, exec_lo
	v_readlane_b32 s90, v207, 16
	s_and_b32 s90, s51, s90
	s_mov_b32 exec_lo, s90
	s_cbranch_execz .LBB180_193
; %bb.192:                              ;   in Loop: Header=BB180_3 Depth=1
	ds_load_b128 v[22:25], v3 offset:32
	ds_load_b128 v[208:211], v179 offset:1280
	s_wait_dscnt 0x0
	v_mul_f64_e32 v[4:5], v[24:25], v[210:211]
	s_delay_alu instid0(VALU_DEP_1) | instskip(SKIP_1) | instid1(VALU_DEP_2)
	v_fma_f64 v[4:5], v[22:23], v[208:209], -v[4:5]
	v_mul_f64_e32 v[22:23], v[22:23], v[210:211]
	v_add_f64_e32 v[18:19], v[18:19], v[4:5]
	s_delay_alu instid0(VALU_DEP_2) | instskip(NEXT) | instid1(VALU_DEP_1)
	v_fmac_f64_e32 v[22:23], v[24:25], v[208:209]
	v_add_f64_e32 v[20:21], v[20:21], v[22:23]
.LBB180_193:                            ;   in Loop: Header=BB180_3 Depth=1
	s_or_b32 exec_lo, exec_lo, s51
	s_delay_alu instid0(SALU_CYCLE_1) | instskip(SKIP_2) | instid1(SALU_CYCLE_1)
	s_mov_b32 s51, exec_lo
	v_readlane_b32 s90, v207, 17
	s_and_b32 s90, s51, s90
	;; [unrolled: 20-line block ×10, first 2 shown]
	s_mov_b32 exec_lo, s90
	s_cbranch_execnz .LBB180_560
; %bb.210:                              ;   in Loop: Header=BB180_3 Depth=1
	s_or_b32 exec_lo, exec_lo, s51
	s_and_saveexec_b32 s51, s6
	s_cbranch_execnz .LBB180_561
.LBB180_211:                            ;   in Loop: Header=BB180_3 Depth=1
	s_or_b32 exec_lo, exec_lo, s51
	s_and_saveexec_b32 s51, s16
	s_cbranch_execnz .LBB180_562
.LBB180_212:                            ;   in Loop: Header=BB180_3 Depth=1
	s_or_b32 exec_lo, exec_lo, s51
	s_and_saveexec_b32 s51, s18
	s_cbranch_execnz .LBB180_563
.LBB180_213:                            ;   in Loop: Header=BB180_3 Depth=1
	s_or_b32 exec_lo, exec_lo, s51
	s_and_saveexec_b32 s51, s5
	s_cbranch_execz .LBB180_215
.LBB180_214:                            ;   in Loop: Header=BB180_3 Depth=1
	ds_load_b128 v[22:25], v2 offset:240
	ds_load_b128 v[208:211], v49 offset:7936
	s_wait_dscnt 0x0
	v_mul_f64_e32 v[4:5], v[24:25], v[210:211]
	s_delay_alu instid0(VALU_DEP_1) | instskip(SKIP_1) | instid1(VALU_DEP_2)
	v_fma_f64 v[4:5], v[22:23], v[208:209], -v[4:5]
	v_mul_f64_e32 v[22:23], v[22:23], v[210:211]
	v_add_f64_e32 v[18:19], v[18:19], v[4:5]
	s_delay_alu instid0(VALU_DEP_2) | instskip(NEXT) | instid1(VALU_DEP_1)
	v_fmac_f64_e32 v[22:23], v[24:25], v[208:209]
	v_add_f64_e32 v[20:21], v[20:21], v[22:23]
.LBB180_215:                            ;   in Loop: Header=BB180_3 Depth=1
	s_or_b32 exec_lo, exec_lo, s51
	s_delay_alu instid0(VALU_DEP_3) | instskip(NEXT) | instid1(VALU_DEP_2)
	v_xor_b32_e32 v19, 0x80000000, v19
	v_xor_b32_e32 v21, 0x80000000, v21
.LBB180_216:                            ;   in Loop: Header=BB180_3 Depth=1
	s_or_b32 exec_lo, exec_lo, s50
	s_delay_alu instid0(SALU_CYCLE_1) | instskip(SKIP_2) | instid1(SALU_CYCLE_1)
	s_mov_b32 s50, exec_lo
	v_readlane_b32 s51, v207, 0
	s_and_b32 s51, s50, s51
	s_mov_b32 exec_lo, s51
	s_cbranch_execz .LBB180_218
; %bb.217:                              ;   in Loop: Header=BB180_3 Depth=1
	ds_load_b128 v[22:25], v2 offset:8448
	s_wait_dscnt 0x0
	v_mul_f64_e32 v[4:5], v[20:21], v[24:25]
	v_mul_f64_e32 v[210:211], v[18:19], v[24:25]
	s_delay_alu instid0(VALU_DEP_2) | instskip(NEXT) | instid1(VALU_DEP_2)
	v_fma_f64 v[208:209], v[18:19], v[22:23], -v[4:5]
	v_fmac_f64_e32 v[210:211], v[20:21], v[22:23]
	s_delay_alu instid0(VALU_DEP_2) | instskip(NEXT) | instid1(VALU_DEP_2)
	v_mov_b64_e32 v[18:19], v[208:209]
	v_mov_b64_e32 v[20:21], v[210:211]
	ds_store_b128 v178, v[208:211]
.LBB180_218:                            ;   in Loop: Header=BB180_3 Depth=1
	s_or_b32 exec_lo, exec_lo, s50
	s_wait_dscnt 0x0
	s_barrier_signal -1
	s_barrier_wait -1
	s_mov_b32 s50, exec_lo
	v_readlane_b32 s51, v207, 1
	s_and_b32 s51, s50, s51
	s_delay_alu instid0(SALU_CYCLE_1)
	s_mov_b32 exec_lo, s51
	s_cbranch_execz .LBB180_220
; %bb.219:                              ;   in Loop: Header=BB180_3 Depth=1
	ds_load_b128 v[22:25], v178
	ds_load_b128 v[208:211], v74 offset:8448
	s_wait_dscnt 0x0
	v_mul_f64_e32 v[4:5], v[24:25], v[210:211]
	s_delay_alu instid0(VALU_DEP_1) | instskip(SKIP_1) | instid1(VALU_DEP_2)
	v_fma_f64 v[4:5], v[22:23], v[208:209], -v[4:5]
	v_mul_f64_e32 v[22:23], v[22:23], v[210:211]
	v_add_f64_e32 v[18:19], v[18:19], v[4:5]
	s_delay_alu instid0(VALU_DEP_2) | instskip(NEXT) | instid1(VALU_DEP_1)
	v_fmac_f64_e32 v[22:23], v[24:25], v[208:209]
	v_add_f64_e32 v[20:21], v[20:21], v[22:23]
.LBB180_220:                            ;   in Loop: Header=BB180_3 Depth=1
	s_or_b32 exec_lo, exec_lo, s50
	s_barrier_signal -1
	s_barrier_wait -1
	s_mov_b32 s50, exec_lo
	v_readlane_b32 s51, v207, 2
	s_and_b32 s51, s50, s51
	s_delay_alu instid0(SALU_CYCLE_1)
	s_mov_b32 exec_lo, s51
	s_cbranch_execz .LBB180_222
; %bb.221:                              ;   in Loop: Header=BB180_3 Depth=1
	ds_load_b128 v[22:25], v2 offset:8976
	s_wait_dscnt 0x0
	v_mul_f64_e32 v[4:5], v[20:21], v[24:25]
	v_mul_f64_e32 v[210:211], v[18:19], v[24:25]
	s_delay_alu instid0(VALU_DEP_2) | instskip(NEXT) | instid1(VALU_DEP_2)
	v_fma_f64 v[208:209], v[18:19], v[22:23], -v[4:5]
	v_fmac_f64_e32 v[210:211], v[20:21], v[22:23]
	s_delay_alu instid0(VALU_DEP_2) | instskip(NEXT) | instid1(VALU_DEP_2)
	v_mov_b64_e32 v[18:19], v[208:209]
	v_mov_b64_e32 v[20:21], v[210:211]
	ds_store_b128 v178, v[208:211]
.LBB180_222:                            ;   in Loop: Header=BB180_3 Depth=1
	s_or_b32 exec_lo, exec_lo, s50
	s_wait_dscnt 0x0
	s_barrier_signal -1
	s_barrier_wait -1
	s_mov_b32 s50, exec_lo
	v_readlane_b32 s51, v207, 3
	s_and_b32 s51, s50, s51
	s_delay_alu instid0(SALU_CYCLE_1)
	s_mov_b32 exec_lo, s51
	s_cbranch_execz .LBB180_224
; %bb.223:                              ;   in Loop: Header=BB180_3 Depth=1
	ds_load_b128 v[22:25], v178
	ds_load_b128 v[208:211], v74 offset:8960
	s_wait_dscnt 0x0
	v_mul_f64_e32 v[4:5], v[24:25], v[210:211]
	s_delay_alu instid0(VALU_DEP_1) | instskip(SKIP_1) | instid1(VALU_DEP_2)
	v_fma_f64 v[4:5], v[22:23], v[208:209], -v[4:5]
	v_mul_f64_e32 v[22:23], v[22:23], v[210:211]
	v_add_f64_e32 v[18:19], v[18:19], v[4:5]
	s_delay_alu instid0(VALU_DEP_2) | instskip(NEXT) | instid1(VALU_DEP_1)
	v_fmac_f64_e32 v[22:23], v[24:25], v[208:209]
	v_add_f64_e32 v[20:21], v[20:21], v[22:23]
.LBB180_224:                            ;   in Loop: Header=BB180_3 Depth=1
	s_or_b32 exec_lo, exec_lo, s50
	s_barrier_signal -1
	s_barrier_wait -1
	s_mov_b32 s50, exec_lo
	v_readlane_b32 s51, v207, 4
	s_and_b32 s51, s50, s51
	s_delay_alu instid0(SALU_CYCLE_1)
	;; [unrolled: 45-line block ×4, first 2 shown]
	s_mov_b32 exec_lo, s51
	s_cbranch_execz .LBB180_234
; %bb.233:                              ;   in Loop: Header=BB180_3 Depth=1
	ds_load_b128 v[22:25], v2 offset:10560
	s_wait_dscnt 0x0
	v_mul_f64_e32 v[4:5], v[20:21], v[24:25]
	v_mul_f64_e32 v[210:211], v[18:19], v[24:25]
	s_delay_alu instid0(VALU_DEP_2) | instskip(NEXT) | instid1(VALU_DEP_2)
	v_fma_f64 v[208:209], v[18:19], v[22:23], -v[4:5]
	v_fmac_f64_e32 v[210:211], v[20:21], v[22:23]
	s_delay_alu instid0(VALU_DEP_2) | instskip(NEXT) | instid1(VALU_DEP_2)
	v_mov_b64_e32 v[18:19], v[208:209]
	v_mov_b64_e32 v[20:21], v[210:211]
	ds_store_b128 v178, v[208:211]
.LBB180_234:                            ;   in Loop: Header=BB180_3 Depth=1
	s_or_b32 exec_lo, exec_lo, s50
	s_wait_dscnt 0x0
	s_barrier_signal -1
	s_barrier_wait -1
	s_mov_b32 s50, exec_lo
	v_readlane_b32 s51, v207, 9
	s_and_b32 s51, s50, s51
	s_delay_alu instid0(SALU_CYCLE_1)
	s_mov_b32 exec_lo, s51
	s_cbranch_execz .LBB180_236
; %bb.235:                              ;   in Loop: Header=BB180_3 Depth=1
	ds_load_b128 v[22:25], v178
	ds_load_b128 v[208:211], v74 offset:10496
	s_wait_dscnt 0x0
	v_mul_f64_e32 v[4:5], v[24:25], v[210:211]
	s_delay_alu instid0(VALU_DEP_1) | instskip(SKIP_1) | instid1(VALU_DEP_2)
	v_fma_f64 v[4:5], v[22:23], v[208:209], -v[4:5]
	v_mul_f64_e32 v[22:23], v[22:23], v[210:211]
	v_add_f64_e32 v[18:19], v[18:19], v[4:5]
	s_delay_alu instid0(VALU_DEP_2) | instskip(NEXT) | instid1(VALU_DEP_1)
	v_fmac_f64_e32 v[22:23], v[24:25], v[208:209]
	v_add_f64_e32 v[20:21], v[20:21], v[22:23]
.LBB180_236:                            ;   in Loop: Header=BB180_3 Depth=1
	s_or_b32 exec_lo, exec_lo, s50
	s_barrier_signal -1
	s_barrier_wait -1
	s_and_saveexec_b32 s50, s96
	s_cbranch_execz .LBB180_238
; %bb.237:                              ;   in Loop: Header=BB180_3 Depth=1
	ds_load_b128 v[22:25], v2 offset:11088
	s_wait_dscnt 0x0
	v_mul_f64_e32 v[4:5], v[20:21], v[24:25]
	v_mul_f64_e32 v[210:211], v[18:19], v[24:25]
	s_delay_alu instid0(VALU_DEP_2) | instskip(NEXT) | instid1(VALU_DEP_2)
	v_fma_f64 v[208:209], v[18:19], v[22:23], -v[4:5]
	v_fmac_f64_e32 v[210:211], v[20:21], v[22:23]
	s_delay_alu instid0(VALU_DEP_2) | instskip(NEXT) | instid1(VALU_DEP_2)
	v_mov_b64_e32 v[18:19], v[208:209]
	v_mov_b64_e32 v[20:21], v[210:211]
	ds_store_b128 v178, v[208:211]
.LBB180_238:                            ;   in Loop: Header=BB180_3 Depth=1
	s_or_b32 exec_lo, exec_lo, s50
	s_wait_dscnt 0x0
	s_barrier_signal -1
	s_barrier_wait -1
	s_and_saveexec_b32 s50, s97
	s_cbranch_execz .LBB180_240
; %bb.239:                              ;   in Loop: Header=BB180_3 Depth=1
	ds_load_b128 v[22:25], v178
	ds_load_b128 v[208:211], v74 offset:11008
	s_wait_dscnt 0x0
	v_mul_f64_e32 v[4:5], v[24:25], v[210:211]
	s_delay_alu instid0(VALU_DEP_1) | instskip(SKIP_1) | instid1(VALU_DEP_2)
	v_fma_f64 v[4:5], v[22:23], v[208:209], -v[4:5]
	v_mul_f64_e32 v[22:23], v[22:23], v[210:211]
	v_add_f64_e32 v[18:19], v[18:19], v[4:5]
	s_delay_alu instid0(VALU_DEP_2) | instskip(NEXT) | instid1(VALU_DEP_1)
	v_fmac_f64_e32 v[22:23], v[24:25], v[208:209]
	v_add_f64_e32 v[20:21], v[20:21], v[22:23]
.LBB180_240:                            ;   in Loop: Header=BB180_3 Depth=1
	s_or_b32 exec_lo, exec_lo, s50
	s_barrier_signal -1
	s_barrier_wait -1
	s_and_saveexec_b32 s50, s98
	s_cbranch_execz .LBB180_242
; %bb.241:                              ;   in Loop: Header=BB180_3 Depth=1
	ds_load_b128 v[22:25], v2 offset:11616
	s_wait_dscnt 0x0
	v_mul_f64_e32 v[4:5], v[20:21], v[24:25]
	v_mul_f64_e32 v[210:211], v[18:19], v[24:25]
	s_delay_alu instid0(VALU_DEP_2) | instskip(NEXT) | instid1(VALU_DEP_2)
	v_fma_f64 v[208:209], v[18:19], v[22:23], -v[4:5]
	v_fmac_f64_e32 v[210:211], v[20:21], v[22:23]
	s_delay_alu instid0(VALU_DEP_2) | instskip(NEXT) | instid1(VALU_DEP_2)
	v_mov_b64_e32 v[18:19], v[208:209]
	v_mov_b64_e32 v[20:21], v[210:211]
	ds_store_b128 v178, v[208:211]
.LBB180_242:                            ;   in Loop: Header=BB180_3 Depth=1
	s_or_b32 exec_lo, exec_lo, s50
	s_wait_dscnt 0x0
	s_barrier_signal -1
	s_barrier_wait -1
	s_and_saveexec_b32 s50, s99
	s_cbranch_execz .LBB180_244
; %bb.243:                              ;   in Loop: Header=BB180_3 Depth=1
	ds_load_b128 v[22:25], v178
	ds_load_b128 v[208:211], v74 offset:11520
	s_wait_dscnt 0x0
	v_mul_f64_e32 v[4:5], v[24:25], v[210:211]
	s_delay_alu instid0(VALU_DEP_1) | instskip(SKIP_1) | instid1(VALU_DEP_2)
	v_fma_f64 v[4:5], v[22:23], v[208:209], -v[4:5]
	v_mul_f64_e32 v[22:23], v[22:23], v[210:211]
	v_add_f64_e32 v[18:19], v[18:19], v[4:5]
	s_delay_alu instid0(VALU_DEP_2) | instskip(NEXT) | instid1(VALU_DEP_1)
	v_fmac_f64_e32 v[22:23], v[24:25], v[208:209]
	v_add_f64_e32 v[20:21], v[20:21], v[22:23]
.LBB180_244:                            ;   in Loop: Header=BB180_3 Depth=1
	s_or_b32 exec_lo, exec_lo, s50
	s_barrier_signal -1
	s_barrier_wait -1
	s_and_saveexec_b32 s50, s100
	s_cbranch_execz .LBB180_246
; %bb.245:                              ;   in Loop: Header=BB180_3 Depth=1
	ds_load_b128 v[22:25], v2 offset:12144
	s_wait_dscnt 0x0
	v_mul_f64_e32 v[4:5], v[20:21], v[24:25]
	v_mul_f64_e32 v[210:211], v[18:19], v[24:25]
	s_delay_alu instid0(VALU_DEP_2) | instskip(NEXT) | instid1(VALU_DEP_2)
	v_fma_f64 v[208:209], v[18:19], v[22:23], -v[4:5]
	v_fmac_f64_e32 v[210:211], v[20:21], v[22:23]
	s_delay_alu instid0(VALU_DEP_2) | instskip(NEXT) | instid1(VALU_DEP_2)
	v_mov_b64_e32 v[18:19], v[208:209]
	v_mov_b64_e32 v[20:21], v[210:211]
	ds_store_b128 v178, v[208:211]
.LBB180_246:                            ;   in Loop: Header=BB180_3 Depth=1
	s_or_b32 exec_lo, exec_lo, s50
	s_wait_dscnt 0x0
	s_barrier_signal -1
	s_barrier_wait -1
	s_and_saveexec_b32 s50, s101
	s_cbranch_execz .LBB180_248
; %bb.247:                              ;   in Loop: Header=BB180_3 Depth=1
	ds_load_b128 v[22:25], v178
	ds_load_b128 v[208:211], v74 offset:12032
	s_wait_dscnt 0x0
	v_mul_f64_e32 v[4:5], v[24:25], v[210:211]
	s_delay_alu instid0(VALU_DEP_1) | instskip(SKIP_1) | instid1(VALU_DEP_2)
	v_fma_f64 v[4:5], v[22:23], v[208:209], -v[4:5]
	v_mul_f64_e32 v[22:23], v[22:23], v[210:211]
	v_add_f64_e32 v[18:19], v[18:19], v[4:5]
	s_delay_alu instid0(VALU_DEP_2) | instskip(NEXT) | instid1(VALU_DEP_1)
	v_fmac_f64_e32 v[22:23], v[24:25], v[208:209]
	v_add_f64_e32 v[20:21], v[20:21], v[22:23]
.LBB180_248:                            ;   in Loop: Header=BB180_3 Depth=1
	s_or_b32 exec_lo, exec_lo, s50
	s_barrier_signal -1
	s_barrier_wait -1
	s_and_saveexec_b32 s50, s102
	s_cbranch_execz .LBB180_250
; %bb.249:                              ;   in Loop: Header=BB180_3 Depth=1
	ds_load_b128 v[22:25], v2 offset:12672
	s_wait_dscnt 0x0
	v_mul_f64_e32 v[4:5], v[20:21], v[24:25]
	v_mul_f64_e32 v[210:211], v[18:19], v[24:25]
	s_delay_alu instid0(VALU_DEP_2) | instskip(NEXT) | instid1(VALU_DEP_2)
	v_fma_f64 v[208:209], v[18:19], v[22:23], -v[4:5]
	v_fmac_f64_e32 v[210:211], v[20:21], v[22:23]
	s_delay_alu instid0(VALU_DEP_2) | instskip(NEXT) | instid1(VALU_DEP_2)
	v_mov_b64_e32 v[18:19], v[208:209]
	v_mov_b64_e32 v[20:21], v[210:211]
	ds_store_b128 v178, v[208:211]
.LBB180_250:                            ;   in Loop: Header=BB180_3 Depth=1
	s_or_b32 exec_lo, exec_lo, s50
	s_wait_dscnt 0x0
	s_barrier_signal -1
	s_barrier_wait -1
	s_and_saveexec_b32 s50, s103
	s_cbranch_execz .LBB180_252
; %bb.251:                              ;   in Loop: Header=BB180_3 Depth=1
	ds_load_b128 v[22:25], v178
	ds_load_b128 v[208:211], v74 offset:12544
	s_wait_dscnt 0x0
	v_mul_f64_e32 v[4:5], v[24:25], v[210:211]
	s_delay_alu instid0(VALU_DEP_1) | instskip(SKIP_1) | instid1(VALU_DEP_2)
	v_fma_f64 v[4:5], v[22:23], v[208:209], -v[4:5]
	v_mul_f64_e32 v[22:23], v[22:23], v[210:211]
	v_add_f64_e32 v[18:19], v[18:19], v[4:5]
	s_delay_alu instid0(VALU_DEP_2) | instskip(NEXT) | instid1(VALU_DEP_1)
	v_fmac_f64_e32 v[22:23], v[24:25], v[208:209]
	v_add_f64_e32 v[20:21], v[20:21], v[22:23]
.LBB180_252:                            ;   in Loop: Header=BB180_3 Depth=1
	s_or_b32 exec_lo, exec_lo, s50
	s_barrier_signal -1
	s_barrier_wait -1
	s_and_saveexec_b32 s50, s104
	s_cbranch_execz .LBB180_254
; %bb.253:                              ;   in Loop: Header=BB180_3 Depth=1
	ds_load_b128 v[22:25], v2 offset:13200
	s_wait_dscnt 0x0
	v_mul_f64_e32 v[4:5], v[20:21], v[24:25]
	v_mul_f64_e32 v[210:211], v[18:19], v[24:25]
	s_delay_alu instid0(VALU_DEP_2) | instskip(NEXT) | instid1(VALU_DEP_2)
	v_fma_f64 v[208:209], v[18:19], v[22:23], -v[4:5]
	v_fmac_f64_e32 v[210:211], v[20:21], v[22:23]
	s_delay_alu instid0(VALU_DEP_2) | instskip(NEXT) | instid1(VALU_DEP_2)
	v_mov_b64_e32 v[18:19], v[208:209]
	v_mov_b64_e32 v[20:21], v[210:211]
	ds_store_b128 v178, v[208:211]
.LBB180_254:                            ;   in Loop: Header=BB180_3 Depth=1
	s_or_b32 exec_lo, exec_lo, s50
	s_wait_dscnt 0x0
	s_barrier_signal -1
	s_barrier_wait -1
	s_and_saveexec_b32 s50, vcc_hi
	s_cbranch_execz .LBB180_256
; %bb.255:                              ;   in Loop: Header=BB180_3 Depth=1
	ds_load_b128 v[22:25], v178
	ds_load_b128 v[208:211], v74 offset:13056
	s_wait_dscnt 0x0
	v_mul_f64_e32 v[4:5], v[24:25], v[210:211]
	s_delay_alu instid0(VALU_DEP_1) | instskip(SKIP_1) | instid1(VALU_DEP_2)
	v_fma_f64 v[4:5], v[22:23], v[208:209], -v[4:5]
	v_mul_f64_e32 v[22:23], v[22:23], v[210:211]
	v_add_f64_e32 v[18:19], v[18:19], v[4:5]
	s_delay_alu instid0(VALU_DEP_2) | instskip(NEXT) | instid1(VALU_DEP_1)
	v_fmac_f64_e32 v[22:23], v[24:25], v[208:209]
	v_add_f64_e32 v[20:21], v[20:21], v[22:23]
.LBB180_256:                            ;   in Loop: Header=BB180_3 Depth=1
	s_or_b32 exec_lo, exec_lo, s50
	s_barrier_signal -1
	s_barrier_wait -1
	s_and_saveexec_b32 s50, s20
	s_cbranch_execz .LBB180_258
; %bb.257:                              ;   in Loop: Header=BB180_3 Depth=1
	ds_load_b128 v[22:25], v2 offset:13728
	s_wait_dscnt 0x0
	v_mul_f64_e32 v[4:5], v[20:21], v[24:25]
	v_mul_f64_e32 v[210:211], v[18:19], v[24:25]
	s_delay_alu instid0(VALU_DEP_2) | instskip(NEXT) | instid1(VALU_DEP_2)
	v_fma_f64 v[208:209], v[18:19], v[22:23], -v[4:5]
	v_fmac_f64_e32 v[210:211], v[20:21], v[22:23]
	s_delay_alu instid0(VALU_DEP_2) | instskip(NEXT) | instid1(VALU_DEP_2)
	v_mov_b64_e32 v[18:19], v[208:209]
	v_mov_b64_e32 v[20:21], v[210:211]
	ds_store_b128 v178, v[208:211]
.LBB180_258:                            ;   in Loop: Header=BB180_3 Depth=1
	s_or_b32 exec_lo, exec_lo, s50
	s_wait_dscnt 0x0
	s_barrier_signal -1
	s_barrier_wait -1
	s_and_saveexec_b32 s50, s21
	s_cbranch_execz .LBB180_260
; %bb.259:                              ;   in Loop: Header=BB180_3 Depth=1
	ds_load_b128 v[22:25], v178
	ds_load_b128 v[208:211], v74 offset:13568
	s_wait_dscnt 0x0
	v_mul_f64_e32 v[4:5], v[24:25], v[210:211]
	s_delay_alu instid0(VALU_DEP_1) | instskip(SKIP_1) | instid1(VALU_DEP_2)
	v_fma_f64 v[4:5], v[22:23], v[208:209], -v[4:5]
	v_mul_f64_e32 v[22:23], v[22:23], v[210:211]
	v_add_f64_e32 v[18:19], v[18:19], v[4:5]
	s_delay_alu instid0(VALU_DEP_2) | instskip(NEXT) | instid1(VALU_DEP_1)
	v_fmac_f64_e32 v[22:23], v[24:25], v[208:209]
	v_add_f64_e32 v[20:21], v[20:21], v[22:23]
.LBB180_260:                            ;   in Loop: Header=BB180_3 Depth=1
	s_or_b32 exec_lo, exec_lo, s50
	s_barrier_signal -1
	s_barrier_wait -1
	s_and_saveexec_b32 s50, s22
	s_cbranch_execz .LBB180_262
; %bb.261:                              ;   in Loop: Header=BB180_3 Depth=1
	ds_load_b128 v[22:25], v2 offset:14256
	s_wait_dscnt 0x0
	v_mul_f64_e32 v[4:5], v[20:21], v[24:25]
	v_mul_f64_e32 v[210:211], v[18:19], v[24:25]
	s_delay_alu instid0(VALU_DEP_2) | instskip(NEXT) | instid1(VALU_DEP_2)
	v_fma_f64 v[208:209], v[18:19], v[22:23], -v[4:5]
	v_fmac_f64_e32 v[210:211], v[20:21], v[22:23]
	s_delay_alu instid0(VALU_DEP_2) | instskip(NEXT) | instid1(VALU_DEP_2)
	v_mov_b64_e32 v[18:19], v[208:209]
	v_mov_b64_e32 v[20:21], v[210:211]
	ds_store_b128 v178, v[208:211]
.LBB180_262:                            ;   in Loop: Header=BB180_3 Depth=1
	s_or_b32 exec_lo, exec_lo, s50
	s_wait_dscnt 0x0
	s_barrier_signal -1
	s_barrier_wait -1
	s_and_saveexec_b32 s50, s23
	;; [unrolled: 37-line block ×5, first 2 shown]
	s_cbranch_execz .LBB180_276
; %bb.275:                              ;   in Loop: Header=BB180_3 Depth=1
	ds_load_b128 v[22:25], v178
	ds_load_b128 v[208:211], v2 offset:15856
	s_wait_dscnt 0x0
	v_mul_f64_e32 v[4:5], v[24:25], v[210:211]
	s_delay_alu instid0(VALU_DEP_1) | instskip(SKIP_1) | instid1(VALU_DEP_2)
	v_fma_f64 v[4:5], v[22:23], v[208:209], -v[4:5]
	v_mul_f64_e32 v[22:23], v[22:23], v[210:211]
	v_add_f64_e32 v[18:19], v[18:19], v[4:5]
	s_delay_alu instid0(VALU_DEP_2) | instskip(NEXT) | instid1(VALU_DEP_1)
	v_fmac_f64_e32 v[22:23], v[24:25], v[208:209]
	v_add_f64_e32 v[20:21], v[20:21], v[22:23]
.LBB180_276:                            ;   in Loop: Header=BB180_3 Depth=1
	s_or_b32 exec_lo, exec_lo, s50
	s_barrier_signal -1
	s_barrier_wait -1
	s_and_saveexec_b32 s50, s29
	s_cbranch_execz .LBB180_278
; %bb.277:                              ;   in Loop: Header=BB180_3 Depth=1
	ds_load_b128 v[22:25], v2 offset:16368
	s_wait_dscnt 0x0
	v_mul_f64_e32 v[4:5], v[20:21], v[24:25]
	v_mul_f64_e32 v[210:211], v[18:19], v[24:25]
	s_delay_alu instid0(VALU_DEP_2) | instskip(NEXT) | instid1(VALU_DEP_2)
	v_fma_f64 v[208:209], v[18:19], v[22:23], -v[4:5]
	v_fmac_f64_e32 v[210:211], v[20:21], v[22:23]
	s_delay_alu instid0(VALU_DEP_2) | instskip(NEXT) | instid1(VALU_DEP_2)
	v_mov_b64_e32 v[18:19], v[208:209]
	v_mov_b64_e32 v[20:21], v[210:211]
	ds_store_b128 v178, v[208:211]
.LBB180_278:                            ;   in Loop: Header=BB180_3 Depth=1
	s_or_b32 exec_lo, exec_lo, s50
	s_wait_dscnt 0x0
	s_barrier_signal -1
	s_barrier_wait -1
	s_barrier_signal -1
	s_barrier_wait -1
	s_and_saveexec_b32 s50, s7
; %bb.279:                              ;   in Loop: Header=BB180_3 Depth=1
	s_delay_alu instid0(VALU_DEP_1) | instskip(NEXT) | instid1(VALU_DEP_4)
	v_xor_b32_e32 v21, 0x80000000, v21
	v_xor_b32_e32 v19, 0x80000000, v19
	ds_store_b128 v179, v[18:21] offset:256
; %bb.280:                              ;   in Loop: Header=BB180_3 Depth=1
	s_or_b32 exec_lo, exec_lo, s50
	s_wait_dscnt 0x0
	s_barrier_signal -1
	s_barrier_wait -1
	s_barrier_signal -1
	s_barrier_wait -1
	s_and_saveexec_b32 s50, s30
	s_cbranch_execz .LBB180_282
; %bb.281:                              ;   in Loop: Header=BB180_3 Depth=1
	ds_load_b128 v[18:21], v135
	s_wait_dscnt 0x0
	ds_store_b128 v117, v[18:21]
	ds_load_b128 v[18:21], v136
	s_wait_dscnt 0x0
	ds_store_b128 v118, v[18:21]
	;; [unrolled: 3-line block ×16, first 2 shown]
.LBB180_282:                            ;   in Loop: Header=BB180_3 Depth=1
	s_or_b32 exec_lo, exec_lo, s50
	s_wait_dscnt 0x0
	s_barrier_signal -1
	s_barrier_wait -1
	s_and_saveexec_b32 s50, s31
	s_cbranch_execz .LBB180_284
; %bb.283:                              ;   in Loop: Header=BB180_3 Depth=1
	ds_load_b128 v[18:21], v2 offset:8976
	ds_load_b128 v[22:25], v2 offset:8448
	s_wait_dscnt 0x0
	v_mul_f64_e32 v[4:5], v[18:19], v[24:25]
	v_mul_f64_e32 v[24:25], v[20:21], v[24:25]
	s_delay_alu instid0(VALU_DEP_2) | instskip(NEXT) | instid1(VALU_DEP_2)
	v_fmac_f64_e32 v[4:5], v[20:21], v[22:23]
	v_fma_f64 v[24:25], v[18:19], v[22:23], -v[24:25]
	ds_load_b128 v[18:21], v2 offset:8464
	s_wait_dscnt 0x0
	v_mul_f64_e32 v[44:45], v[4:5], v[20:21]
	v_mul_f64_e32 v[22:23], v[24:25], v[20:21]
	s_delay_alu instid0(VALU_DEP_2) | instskip(NEXT) | instid1(VALU_DEP_2)
	v_fma_f64 v[20:21], v[18:19], v[24:25], -v[44:45]
	v_fmac_f64_e32 v[22:23], v[18:19], v[4:5]
	ds_store_b128 v2, v[20:23] offset:8464
	ds_store_b128 v2, v[20:23] offset:8960
.LBB180_284:                            ;   in Loop: Header=BB180_3 Depth=1
	s_or_b32 exec_lo, exec_lo, s50
	v_mov_b64_e32 v[20:21], 0
	v_mov_b64_e32 v[18:19], 0
	s_wait_dscnt 0x0
	s_barrier_signal -1
	s_barrier_wait -1
	s_and_saveexec_b32 s50, s3
	s_cbranch_execz .LBB180_288
; %bb.285:                              ;   in Loop: Header=BB180_3 Depth=1
	ds_load_b128 v[18:21], v48 offset:8448
	ds_load_b128 v[22:25], v47 offset:8480
	s_wait_dscnt 0x0
	v_mul_f64_e32 v[4:5], v[20:21], v[24:25]
	v_mul_f64_e32 v[24:25], v[18:19], v[24:25]
	s_delay_alu instid0(VALU_DEP_2) | instskip(NEXT) | instid1(VALU_DEP_2)
	v_fma_f64 v[4:5], v[18:19], v[22:23], -v[4:5]
	v_fmac_f64_e32 v[24:25], v[20:21], v[22:23]
	s_delay_alu instid0(VALU_DEP_2) | instskip(NEXT) | instid1(VALU_DEP_2)
	v_add_f64_e32 v[18:19], 0, v[4:5]
	v_add_f64_e32 v[20:21], 0, v[24:25]
	s_and_saveexec_b32 s51, s12
	s_cbranch_execz .LBB180_287
; %bb.286:                              ;   in Loop: Header=BB180_3 Depth=1
	ds_load_b128 v[22:25], v2 offset:8464
	ds_load_b128 v[208:211], v49 offset:8992
	s_wait_dscnt 0x0
	v_mul_f64_e32 v[4:5], v[24:25], v[210:211]
	s_delay_alu instid0(VALU_DEP_1) | instskip(SKIP_1) | instid1(VALU_DEP_2)
	v_fma_f64 v[4:5], v[22:23], v[208:209], -v[4:5]
	v_mul_f64_e32 v[22:23], v[22:23], v[210:211]
	v_add_f64_e32 v[18:19], v[18:19], v[4:5]
	s_delay_alu instid0(VALU_DEP_2) | instskip(NEXT) | instid1(VALU_DEP_1)
	v_fmac_f64_e32 v[22:23], v[24:25], v[208:209]
	v_add_f64_e32 v[20:21], v[20:21], v[22:23]
.LBB180_287:                            ;   in Loop: Header=BB180_3 Depth=1
	s_or_b32 exec_lo, exec_lo, s51
	s_delay_alu instid0(VALU_DEP_2) | instskip(NEXT) | instid1(VALU_DEP_2)
	v_xor_b32_e32 v19, 0x80000000, v19
	v_xor_b32_e32 v21, 0x80000000, v21
.LBB180_288:                            ;   in Loop: Header=BB180_3 Depth=1
	s_or_b32 exec_lo, exec_lo, s50
	s_and_saveexec_b32 s50, s61
	s_cbranch_execz .LBB180_290
; %bb.289:                              ;   in Loop: Header=BB180_3 Depth=1
	ds_load_b128 v[22:25], v2 offset:9504
	s_wait_dscnt 0x0
	v_mul_f64_e32 v[4:5], v[20:21], v[24:25]
	v_mul_f64_e32 v[210:211], v[18:19], v[24:25]
	s_delay_alu instid0(VALU_DEP_2) | instskip(NEXT) | instid1(VALU_DEP_2)
	v_fma_f64 v[208:209], v[18:19], v[22:23], -v[4:5]
	v_fmac_f64_e32 v[210:211], v[20:21], v[22:23]
	s_delay_alu instid0(VALU_DEP_2) | instskip(NEXT) | instid1(VALU_DEP_2)
	v_mov_b64_e32 v[18:19], v[208:209]
	v_mov_b64_e32 v[20:21], v[210:211]
	ds_store_b128 v27, v[208:211]
.LBB180_290:                            ;   in Loop: Header=BB180_3 Depth=1
	s_or_b32 exec_lo, exec_lo, s50
	s_wait_dscnt 0x0
	s_barrier_signal -1
	s_barrier_wait -1
	s_and_saveexec_b32 s50, s62
	s_cbranch_execz .LBB180_292
; %bb.291:                              ;   in Loop: Header=BB180_3 Depth=1
	ds_load_b128 v[22:25], v27
	ds_load_b128 v[208:211], v2 offset:9520
	s_wait_dscnt 0x0
	v_mul_f64_e32 v[4:5], v[24:25], v[210:211]
	s_delay_alu instid0(VALU_DEP_1) | instskip(SKIP_1) | instid1(VALU_DEP_2)
	v_fma_f64 v[4:5], v[22:23], v[208:209], -v[4:5]
	v_mul_f64_e32 v[22:23], v[22:23], v[210:211]
	v_add_f64_e32 v[18:19], v[18:19], v[4:5]
	s_delay_alu instid0(VALU_DEP_2) | instskip(NEXT) | instid1(VALU_DEP_1)
	v_fmac_f64_e32 v[22:23], v[24:25], v[208:209]
	v_add_f64_e32 v[20:21], v[20:21], v[22:23]
.LBB180_292:                            ;   in Loop: Header=BB180_3 Depth=1
	s_or_b32 exec_lo, exec_lo, s50
	s_barrier_signal -1
	s_barrier_wait -1
	s_and_saveexec_b32 s50, s62
	s_cbranch_execz .LBB180_294
; %bb.293:                              ;   in Loop: Header=BB180_3 Depth=1
	ds_load_b128 v[22:25], v2 offset:10032
	s_wait_dscnt 0x0
	v_mul_f64_e32 v[4:5], v[20:21], v[24:25]
	v_mul_f64_e32 v[210:211], v[18:19], v[24:25]
	s_delay_alu instid0(VALU_DEP_2) | instskip(NEXT) | instid1(VALU_DEP_2)
	v_fma_f64 v[208:209], v[18:19], v[22:23], -v[4:5]
	v_fmac_f64_e32 v[210:211], v[20:21], v[22:23]
	s_delay_alu instid0(VALU_DEP_2) | instskip(NEXT) | instid1(VALU_DEP_2)
	v_mov_b64_e32 v[18:19], v[208:209]
	v_mov_b64_e32 v[20:21], v[210:211]
	ds_store_b128 v27, v[208:211]
.LBB180_294:                            ;   in Loop: Header=BB180_3 Depth=1
	s_or_b32 exec_lo, exec_lo, s50
	s_wait_dscnt 0x0
	s_barrier_signal -1
	s_barrier_wait -1
	s_barrier_signal -1
	s_barrier_wait -1
	s_and_saveexec_b32 s50, s3
; %bb.295:                              ;   in Loop: Header=BB180_3 Depth=1
	s_delay_alu instid0(VALU_DEP_3) | instskip(NEXT) | instid1(VALU_DEP_2)
	v_xor_b32_e32 v19, 0x80000000, v19
	v_xor_b32_e32 v21, 0x80000000, v21
	ds_store_b128 v47, v[18:21] offset:8480
; %bb.296:                              ;   in Loop: Header=BB180_3 Depth=1
	s_or_b32 exec_lo, exec_lo, s50
	s_wait_dscnt 0x0
	s_barrier_signal -1
	s_barrier_wait -1
	s_barrier_signal -1
	s_barrier_wait -1
	s_and_saveexec_b32 s50, s63
	s_cbranch_execz .LBB180_298
; %bb.297:                              ;   in Loop: Header=BB180_3 Depth=1
	ds_load_b128 v[18:21], v75
	s_wait_dscnt 0x0
	ds_store_b128 v180, v[18:21]
	ds_load_b128 v[18:21], v76
	s_wait_dscnt 0x0
	ds_store_b128 v181, v[18:21]
.LBB180_298:                            ;   in Loop: Header=BB180_3 Depth=1
	s_or_b32 exec_lo, exec_lo, s50
	s_wait_dscnt 0x0
	s_barrier_signal -1
	s_barrier_wait -1
	s_and_saveexec_b32 s50, s31
	s_cbranch_execz .LBB180_300
; %bb.299:                              ;   in Loop: Header=BB180_3 Depth=1
	ds_load_b128 v[18:21], v2 offset:10032
	ds_load_b128 v[22:25], v2 offset:9504
	s_wait_dscnt 0x0
	v_mul_f64_e32 v[4:5], v[18:19], v[24:25]
	v_mul_f64_e32 v[24:25], v[20:21], v[24:25]
	s_delay_alu instid0(VALU_DEP_2) | instskip(NEXT) | instid1(VALU_DEP_2)
	v_fmac_f64_e32 v[4:5], v[20:21], v[22:23]
	v_fma_f64 v[24:25], v[18:19], v[22:23], -v[24:25]
	ds_load_b128 v[18:21], v2 offset:9520
	s_wait_dscnt 0x0
	v_mul_f64_e32 v[44:45], v[4:5], v[20:21]
	v_mul_f64_e32 v[22:23], v[24:25], v[20:21]
	s_delay_alu instid0(VALU_DEP_2) | instskip(NEXT) | instid1(VALU_DEP_2)
	v_fma_f64 v[20:21], v[18:19], v[24:25], -v[44:45]
	v_fmac_f64_e32 v[22:23], v[18:19], v[4:5]
	ds_store_b128 v2, v[20:23] offset:9520
	ds_store_b128 v2, v[20:23] offset:10016
.LBB180_300:                            ;   in Loop: Header=BB180_3 Depth=1
	s_or_b32 exec_lo, exec_lo, s50
	v_mov_b64_e32 v[20:21], 0
	v_mov_b64_e32 v[18:19], 0
	s_wait_dscnt 0x0
	s_barrier_signal -1
	s_barrier_wait -1
	s_and_saveexec_b32 s50, s5
	s_cbranch_execz .LBB180_306
; %bb.301:                              ;   in Loop: Header=BB180_3 Depth=1
	ds_load_b128 v[18:21], v50 offset:8448
	ds_load_b128 v[22:25], v56 offset:8512
	s_wait_dscnt 0x0
	v_mul_f64_e32 v[4:5], v[20:21], v[24:25]
	v_mul_f64_e32 v[24:25], v[18:19], v[24:25]
	s_delay_alu instid0(VALU_DEP_2) | instskip(NEXT) | instid1(VALU_DEP_2)
	v_fma_f64 v[4:5], v[18:19], v[22:23], -v[4:5]
	v_fmac_f64_e32 v[24:25], v[20:21], v[22:23]
	s_delay_alu instid0(VALU_DEP_2) | instskip(NEXT) | instid1(VALU_DEP_2)
	v_add_f64_e32 v[18:19], 0, v[4:5]
	v_add_f64_e32 v[20:21], 0, v[24:25]
	s_and_saveexec_b32 s51, s13
	s_cbranch_execnz .LBB180_564
; %bb.302:                              ;   in Loop: Header=BB180_3 Depth=1
	s_or_b32 exec_lo, exec_lo, s51
	s_and_saveexec_b32 s51, s14
	s_cbranch_execnz .LBB180_565
.LBB180_303:                            ;   in Loop: Header=BB180_3 Depth=1
	s_or_b32 exec_lo, exec_lo, s51
	s_and_saveexec_b32 s51, s3
	s_cbranch_execz .LBB180_305
.LBB180_304:                            ;   in Loop: Header=BB180_3 Depth=1
	ds_load_b128 v[22:25], v2 offset:8496
	ds_load_b128 v[208:211], v54 offset:10048
	s_wait_dscnt 0x0
	v_mul_f64_e32 v[4:5], v[24:25], v[210:211]
	s_delay_alu instid0(VALU_DEP_1) | instskip(SKIP_1) | instid1(VALU_DEP_2)
	v_fma_f64 v[4:5], v[22:23], v[208:209], -v[4:5]
	v_mul_f64_e32 v[22:23], v[22:23], v[210:211]
	v_add_f64_e32 v[18:19], v[18:19], v[4:5]
	s_delay_alu instid0(VALU_DEP_2) | instskip(NEXT) | instid1(VALU_DEP_1)
	v_fmac_f64_e32 v[22:23], v[24:25], v[208:209]
	v_add_f64_e32 v[20:21], v[20:21], v[22:23]
.LBB180_305:                            ;   in Loop: Header=BB180_3 Depth=1
	s_or_b32 exec_lo, exec_lo, s51
	s_delay_alu instid0(VALU_DEP_2) | instskip(NEXT) | instid1(VALU_DEP_2)
	v_xor_b32_e32 v19, 0x80000000, v19
	v_xor_b32_e32 v21, 0x80000000, v21
.LBB180_306:                            ;   in Loop: Header=BB180_3 Depth=1
	s_or_b32 exec_lo, exec_lo, s50
	s_and_saveexec_b32 s50, s64
	s_cbranch_execz .LBB180_308
; %bb.307:                              ;   in Loop: Header=BB180_3 Depth=1
	ds_load_b128 v[22:25], v2 offset:10560
	s_wait_dscnt 0x0
	v_mul_f64_e32 v[4:5], v[20:21], v[24:25]
	v_mul_f64_e32 v[210:211], v[18:19], v[24:25]
	s_delay_alu instid0(VALU_DEP_2) | instskip(NEXT) | instid1(VALU_DEP_2)
	v_fma_f64 v[208:209], v[18:19], v[22:23], -v[4:5]
	v_fmac_f64_e32 v[210:211], v[20:21], v[22:23]
	s_delay_alu instid0(VALU_DEP_2) | instskip(NEXT) | instid1(VALU_DEP_2)
	v_mov_b64_e32 v[18:19], v[208:209]
	v_mov_b64_e32 v[20:21], v[210:211]
	ds_store_b128 v55, v[208:211]
.LBB180_308:                            ;   in Loop: Header=BB180_3 Depth=1
	s_or_b32 exec_lo, exec_lo, s50
	s_wait_dscnt 0x0
	s_barrier_signal -1
	s_barrier_wait -1
	s_and_saveexec_b32 s50, s65
	s_cbranch_execz .LBB180_310
; %bb.309:                              ;   in Loop: Header=BB180_3 Depth=1
	ds_load_b128 v[22:25], v55
	ds_load_b128 v[208:211], v53 offset:10560
	s_wait_dscnt 0x0
	v_mul_f64_e32 v[4:5], v[24:25], v[210:211]
	s_delay_alu instid0(VALU_DEP_1) | instskip(SKIP_1) | instid1(VALU_DEP_2)
	v_fma_f64 v[4:5], v[22:23], v[208:209], -v[4:5]
	v_mul_f64_e32 v[22:23], v[22:23], v[210:211]
	v_add_f64_e32 v[18:19], v[18:19], v[4:5]
	s_delay_alu instid0(VALU_DEP_2) | instskip(NEXT) | instid1(VALU_DEP_1)
	v_fmac_f64_e32 v[22:23], v[24:25], v[208:209]
	v_add_f64_e32 v[20:21], v[20:21], v[22:23]
.LBB180_310:                            ;   in Loop: Header=BB180_3 Depth=1
	s_or_b32 exec_lo, exec_lo, s50
	s_barrier_signal -1
	s_barrier_wait -1
	s_and_saveexec_b32 s50, s66
	s_cbranch_execz .LBB180_312
; %bb.311:                              ;   in Loop: Header=BB180_3 Depth=1
	ds_load_b128 v[22:25], v2 offset:11088
	s_wait_dscnt 0x0
	v_mul_f64_e32 v[4:5], v[20:21], v[24:25]
	v_mul_f64_e32 v[210:211], v[18:19], v[24:25]
	s_delay_alu instid0(VALU_DEP_2) | instskip(NEXT) | instid1(VALU_DEP_2)
	v_fma_f64 v[208:209], v[18:19], v[22:23], -v[4:5]
	v_fmac_f64_e32 v[210:211], v[20:21], v[22:23]
	s_delay_alu instid0(VALU_DEP_2) | instskip(NEXT) | instid1(VALU_DEP_2)
	v_mov_b64_e32 v[18:19], v[208:209]
	v_mov_b64_e32 v[20:21], v[210:211]
	ds_store_b128 v55, v[208:211]
.LBB180_312:                            ;   in Loop: Header=BB180_3 Depth=1
	s_or_b32 exec_lo, exec_lo, s50
	s_wait_dscnt 0x0
	s_barrier_signal -1
	s_barrier_wait -1
	s_and_saveexec_b32 s50, s67
	s_cbranch_execz .LBB180_314
; %bb.313:                              ;   in Loop: Header=BB180_3 Depth=1
	ds_load_b128 v[22:25], v55
	ds_load_b128 v[208:211], v53 offset:11072
	s_wait_dscnt 0x0
	v_mul_f64_e32 v[4:5], v[24:25], v[210:211]
	s_delay_alu instid0(VALU_DEP_1) | instskip(SKIP_1) | instid1(VALU_DEP_2)
	v_fma_f64 v[4:5], v[22:23], v[208:209], -v[4:5]
	v_mul_f64_e32 v[22:23], v[22:23], v[210:211]
	v_add_f64_e32 v[18:19], v[18:19], v[4:5]
	s_delay_alu instid0(VALU_DEP_2) | instskip(NEXT) | instid1(VALU_DEP_1)
	v_fmac_f64_e32 v[22:23], v[24:25], v[208:209]
	v_add_f64_e32 v[20:21], v[20:21], v[22:23]
.LBB180_314:                            ;   in Loop: Header=BB180_3 Depth=1
	s_or_b32 exec_lo, exec_lo, s50
	s_barrier_signal -1
	s_barrier_wait -1
	;; [unrolled: 37-line block ×3, first 2 shown]
	s_and_saveexec_b32 s50, s69
	s_cbranch_execz .LBB180_320
; %bb.319:                              ;   in Loop: Header=BB180_3 Depth=1
	ds_load_b128 v[22:25], v2 offset:12144
	s_wait_dscnt 0x0
	v_mul_f64_e32 v[4:5], v[20:21], v[24:25]
	v_mul_f64_e32 v[210:211], v[18:19], v[24:25]
	s_delay_alu instid0(VALU_DEP_2) | instskip(NEXT) | instid1(VALU_DEP_2)
	v_fma_f64 v[208:209], v[18:19], v[22:23], -v[4:5]
	v_fmac_f64_e32 v[210:211], v[20:21], v[22:23]
	s_delay_alu instid0(VALU_DEP_2) | instskip(NEXT) | instid1(VALU_DEP_2)
	v_mov_b64_e32 v[18:19], v[208:209]
	v_mov_b64_e32 v[20:21], v[210:211]
	ds_store_b128 v55, v[208:211]
.LBB180_320:                            ;   in Loop: Header=BB180_3 Depth=1
	s_or_b32 exec_lo, exec_lo, s50
	s_wait_dscnt 0x0
	s_barrier_signal -1
	s_barrier_wait -1
	s_barrier_signal -1
	s_barrier_wait -1
	s_and_saveexec_b32 s50, s5
; %bb.321:                              ;   in Loop: Header=BB180_3 Depth=1
	s_delay_alu instid0(VALU_DEP_1) | instskip(NEXT) | instid1(VALU_DEP_4)
	v_xor_b32_e32 v21, 0x80000000, v21
	v_xor_b32_e32 v19, 0x80000000, v19
	ds_store_b128 v56, v[18:21] offset:8512
; %bb.322:                              ;   in Loop: Header=BB180_3 Depth=1
	s_or_b32 exec_lo, exec_lo, s50
	s_wait_dscnt 0x0
	s_barrier_signal -1
	s_barrier_wait -1
	s_barrier_signal -1
	s_barrier_wait -1
	s_and_saveexec_b32 s50, s70
	s_cbranch_execz .LBB180_324
; %bb.323:                              ;   in Loop: Header=BB180_3 Depth=1
	ds_load_b128 v[18:21], v90
	s_wait_dscnt 0x0
	ds_store_b128 v182, v[18:21]
	ds_load_b128 v[18:21], v93
	s_wait_dscnt 0x0
	ds_store_b128 v185, v[18:21]
	;; [unrolled: 3-line block ×4, first 2 shown]
.LBB180_324:                            ;   in Loop: Header=BB180_3 Depth=1
	s_or_b32 exec_lo, exec_lo, s50
	s_wait_dscnt 0x0
	s_barrier_signal -1
	s_barrier_wait -1
	s_and_saveexec_b32 s50, s31
	s_cbranch_execz .LBB180_326
; %bb.325:                              ;   in Loop: Header=BB180_3 Depth=1
	ds_load_b128 v[18:21], v2 offset:11088
	ds_load_b128 v[22:25], v2 offset:10560
	s_wait_dscnt 0x0
	v_mul_f64_e32 v[4:5], v[18:19], v[24:25]
	v_mul_f64_e32 v[24:25], v[20:21], v[24:25]
	s_delay_alu instid0(VALU_DEP_2) | instskip(NEXT) | instid1(VALU_DEP_2)
	v_fmac_f64_e32 v[4:5], v[20:21], v[22:23]
	v_fma_f64 v[24:25], v[18:19], v[22:23], -v[24:25]
	ds_load_b128 v[18:21], v2 offset:10576
	s_wait_dscnt 0x0
	v_mul_f64_e32 v[44:45], v[4:5], v[20:21]
	v_mul_f64_e32 v[22:23], v[24:25], v[20:21]
	s_delay_alu instid0(VALU_DEP_2) | instskip(NEXT) | instid1(VALU_DEP_2)
	v_fma_f64 v[20:21], v[18:19], v[24:25], -v[44:45]
	v_fmac_f64_e32 v[22:23], v[18:19], v[4:5]
	ds_store_b128 v2, v[20:23] offset:10576
	ds_store_b128 v2, v[20:23] offset:11072
.LBB180_326:                            ;   in Loop: Header=BB180_3 Depth=1
	s_or_b32 exec_lo, exec_lo, s50
	v_mov_b64_e32 v[20:21], 0
	v_mov_b64_e32 v[18:19], 0
	s_wait_dscnt 0x0
	s_barrier_signal -1
	s_barrier_wait -1
	s_and_saveexec_b32 s50, s3
	s_cbranch_execz .LBB180_330
; %bb.327:                              ;   in Loop: Header=BB180_3 Depth=1
	ds_load_b128 v[18:21], v48 offset:10560
	ds_load_b128 v[22:25], v47 offset:10592
	s_wait_dscnt 0x0
	v_mul_f64_e32 v[4:5], v[20:21], v[24:25]
	v_mul_f64_e32 v[24:25], v[18:19], v[24:25]
	s_delay_alu instid0(VALU_DEP_2) | instskip(NEXT) | instid1(VALU_DEP_2)
	v_fma_f64 v[4:5], v[18:19], v[22:23], -v[4:5]
	v_fmac_f64_e32 v[24:25], v[20:21], v[22:23]
	s_delay_alu instid0(VALU_DEP_2) | instskip(NEXT) | instid1(VALU_DEP_2)
	v_add_f64_e32 v[18:19], 0, v[4:5]
	v_add_f64_e32 v[20:21], 0, v[24:25]
	s_and_saveexec_b32 s51, s12
	s_cbranch_execz .LBB180_329
; %bb.328:                              ;   in Loop: Header=BB180_3 Depth=1
	ds_load_b128 v[22:25], v2 offset:10576
	ds_load_b128 v[208:211], v87 offset:11104
	s_wait_dscnt 0x0
	v_mul_f64_e32 v[4:5], v[24:25], v[210:211]
	s_delay_alu instid0(VALU_DEP_1) | instskip(SKIP_1) | instid1(VALU_DEP_2)
	v_fma_f64 v[4:5], v[22:23], v[208:209], -v[4:5]
	v_mul_f64_e32 v[22:23], v[22:23], v[210:211]
	v_add_f64_e32 v[18:19], v[18:19], v[4:5]
	s_delay_alu instid0(VALU_DEP_2) | instskip(NEXT) | instid1(VALU_DEP_1)
	v_fmac_f64_e32 v[22:23], v[24:25], v[208:209]
	v_add_f64_e32 v[20:21], v[20:21], v[22:23]
.LBB180_329:                            ;   in Loop: Header=BB180_3 Depth=1
	s_or_b32 exec_lo, exec_lo, s51
	s_delay_alu instid0(VALU_DEP_2) | instskip(NEXT) | instid1(VALU_DEP_2)
	v_xor_b32_e32 v19, 0x80000000, v19
	v_xor_b32_e32 v21, 0x80000000, v21
.LBB180_330:                            ;   in Loop: Header=BB180_3 Depth=1
	s_or_b32 exec_lo, exec_lo, s50
	s_and_saveexec_b32 s50, s61
	s_cbranch_execz .LBB180_332
; %bb.331:                              ;   in Loop: Header=BB180_3 Depth=1
	ds_load_b128 v[22:25], v2 offset:11616
	s_wait_dscnt 0x0
	v_mul_f64_e32 v[4:5], v[20:21], v[24:25]
	v_mul_f64_e32 v[210:211], v[18:19], v[24:25]
	s_delay_alu instid0(VALU_DEP_2) | instskip(NEXT) | instid1(VALU_DEP_2)
	v_fma_f64 v[208:209], v[18:19], v[22:23], -v[4:5]
	v_fmac_f64_e32 v[210:211], v[20:21], v[22:23]
	s_delay_alu instid0(VALU_DEP_2) | instskip(NEXT) | instid1(VALU_DEP_2)
	v_mov_b64_e32 v[18:19], v[208:209]
	v_mov_b64_e32 v[20:21], v[210:211]
	ds_store_b128 v27, v[208:211]
.LBB180_332:                            ;   in Loop: Header=BB180_3 Depth=1
	s_or_b32 exec_lo, exec_lo, s50
	s_wait_dscnt 0x0
	s_barrier_signal -1
	s_barrier_wait -1
	s_and_saveexec_b32 s50, s62
	s_cbranch_execz .LBB180_334
; %bb.333:                              ;   in Loop: Header=BB180_3 Depth=1
	ds_load_b128 v[22:25], v27
	ds_load_b128 v[208:211], v2 offset:11632
	s_wait_dscnt 0x0
	v_mul_f64_e32 v[4:5], v[24:25], v[210:211]
	s_delay_alu instid0(VALU_DEP_1) | instskip(SKIP_1) | instid1(VALU_DEP_2)
	v_fma_f64 v[4:5], v[22:23], v[208:209], -v[4:5]
	v_mul_f64_e32 v[22:23], v[22:23], v[210:211]
	v_add_f64_e32 v[18:19], v[18:19], v[4:5]
	s_delay_alu instid0(VALU_DEP_2) | instskip(NEXT) | instid1(VALU_DEP_1)
	v_fmac_f64_e32 v[22:23], v[24:25], v[208:209]
	v_add_f64_e32 v[20:21], v[20:21], v[22:23]
.LBB180_334:                            ;   in Loop: Header=BB180_3 Depth=1
	s_or_b32 exec_lo, exec_lo, s50
	s_barrier_signal -1
	s_barrier_wait -1
	s_and_saveexec_b32 s50, s62
	s_cbranch_execz .LBB180_336
; %bb.335:                              ;   in Loop: Header=BB180_3 Depth=1
	ds_load_b128 v[22:25], v2 offset:12144
	s_wait_dscnt 0x0
	v_mul_f64_e32 v[4:5], v[20:21], v[24:25]
	v_mul_f64_e32 v[210:211], v[18:19], v[24:25]
	s_delay_alu instid0(VALU_DEP_2) | instskip(NEXT) | instid1(VALU_DEP_2)
	v_fma_f64 v[208:209], v[18:19], v[22:23], -v[4:5]
	v_fmac_f64_e32 v[210:211], v[20:21], v[22:23]
	s_delay_alu instid0(VALU_DEP_2) | instskip(NEXT) | instid1(VALU_DEP_2)
	v_mov_b64_e32 v[18:19], v[208:209]
	v_mov_b64_e32 v[20:21], v[210:211]
	ds_store_b128 v27, v[208:211]
.LBB180_336:                            ;   in Loop: Header=BB180_3 Depth=1
	s_or_b32 exec_lo, exec_lo, s50
	s_wait_dscnt 0x0
	s_barrier_signal -1
	s_barrier_wait -1
	s_barrier_signal -1
	s_barrier_wait -1
	s_and_saveexec_b32 s50, s3
; %bb.337:                              ;   in Loop: Header=BB180_3 Depth=1
	s_delay_alu instid0(VALU_DEP_3) | instskip(NEXT) | instid1(VALU_DEP_2)
	v_xor_b32_e32 v19, 0x80000000, v19
	v_xor_b32_e32 v21, 0x80000000, v21
	ds_store_b128 v47, v[18:21] offset:10592
; %bb.338:                              ;   in Loop: Header=BB180_3 Depth=1
	s_or_b32 exec_lo, exec_lo, s50
	s_wait_dscnt 0x0
	s_barrier_signal -1
	s_barrier_wait -1
	s_barrier_signal -1
	s_barrier_wait -1
	s_and_saveexec_b32 s50, s63
	s_cbranch_execz .LBB180_340
; %bb.339:                              ;   in Loop: Header=BB180_3 Depth=1
	ds_load_b128 v[18:21], v103
	s_wait_dscnt 0x0
	ds_store_b128 v186, v[18:21]
	ds_load_b128 v[18:21], v104
	s_wait_dscnt 0x0
	ds_store_b128 v187, v[18:21]
.LBB180_340:                            ;   in Loop: Header=BB180_3 Depth=1
	s_or_b32 exec_lo, exec_lo, s50
	s_wait_dscnt 0x0
	s_barrier_signal -1
	s_barrier_wait -1
	s_and_saveexec_b32 s50, s31
	s_cbranch_execz .LBB180_342
; %bb.341:                              ;   in Loop: Header=BB180_3 Depth=1
	ds_load_b128 v[18:21], v2 offset:12144
	ds_load_b128 v[22:25], v2 offset:11616
	s_wait_dscnt 0x0
	v_mul_f64_e32 v[4:5], v[18:19], v[24:25]
	v_mul_f64_e32 v[24:25], v[20:21], v[24:25]
	s_delay_alu instid0(VALU_DEP_2) | instskip(NEXT) | instid1(VALU_DEP_2)
	v_fmac_f64_e32 v[4:5], v[20:21], v[22:23]
	v_fma_f64 v[24:25], v[18:19], v[22:23], -v[24:25]
	ds_load_b128 v[18:21], v2 offset:11632
	s_wait_dscnt 0x0
	v_mul_f64_e32 v[44:45], v[4:5], v[20:21]
	v_mul_f64_e32 v[22:23], v[24:25], v[20:21]
	s_delay_alu instid0(VALU_DEP_2) | instskip(NEXT) | instid1(VALU_DEP_2)
	v_fma_f64 v[20:21], v[18:19], v[24:25], -v[44:45]
	v_fmac_f64_e32 v[22:23], v[18:19], v[4:5]
	ds_store_b128 v2, v[20:23] offset:11632
	ds_store_b128 v2, v[20:23] offset:12128
.LBB180_342:                            ;   in Loop: Header=BB180_3 Depth=1
	s_or_b32 exec_lo, exec_lo, s50
	v_mov_b64_e32 v[20:21], 0
	v_mov_b64_e32 v[18:19], 0
	s_wait_dscnt 0x0
	s_barrier_signal -1
	s_barrier_wait -1
	s_and_saveexec_b32 s50, s6
	s_cbranch_execz .LBB180_352
; %bb.343:                              ;   in Loop: Header=BB180_3 Depth=1
	ds_load_b128 v[18:21], v58 offset:8448
	ds_load_b128 v[22:25], v63 offset:8576
	s_wait_dscnt 0x0
	v_mul_f64_e32 v[4:5], v[20:21], v[24:25]
	v_mul_f64_e32 v[24:25], v[18:19], v[24:25]
	s_delay_alu instid0(VALU_DEP_2) | instskip(NEXT) | instid1(VALU_DEP_2)
	v_fma_f64 v[4:5], v[18:19], v[22:23], -v[4:5]
	v_fmac_f64_e32 v[24:25], v[20:21], v[22:23]
	s_delay_alu instid0(VALU_DEP_2) | instskip(NEXT) | instid1(VALU_DEP_2)
	v_add_f64_e32 v[18:19], 0, v[4:5]
	v_add_f64_e32 v[20:21], 0, v[24:25]
	s_and_saveexec_b32 s51, s15
	s_cbranch_execnz .LBB180_566
; %bb.344:                              ;   in Loop: Header=BB180_3 Depth=1
	s_or_b32 exec_lo, exec_lo, s51
	s_and_saveexec_b32 s51, s16
	s_cbranch_execnz .LBB180_567
.LBB180_345:                            ;   in Loop: Header=BB180_3 Depth=1
	s_or_b32 exec_lo, exec_lo, s51
	s_and_saveexec_b32 s51, s17
	s_cbranch_execnz .LBB180_568
.LBB180_346:                            ;   in Loop: Header=BB180_3 Depth=1
	s_or_b32 exec_lo, exec_lo, s51
	s_and_saveexec_b32 s51, s18
	s_cbranch_execnz .LBB180_569
.LBB180_347:                            ;   in Loop: Header=BB180_3 Depth=1
	s_or_b32 exec_lo, exec_lo, s51
	s_and_saveexec_b32 s51, s19
	s_cbranch_execnz .LBB180_570
.LBB180_348:                            ;   in Loop: Header=BB180_3 Depth=1
	s_or_b32 exec_lo, exec_lo, s51
	s_and_saveexec_b32 s51, s5
	s_cbranch_execnz .LBB180_571
.LBB180_349:                            ;   in Loop: Header=BB180_3 Depth=1
	s_or_b32 exec_lo, exec_lo, s51
	s_and_saveexec_b32 s51, s14
	s_cbranch_execz .LBB180_351
.LBB180_350:                            ;   in Loop: Header=BB180_3 Depth=1
	ds_load_b128 v[22:25], v2 offset:8560
	ds_load_b128 v[208:211], v49 offset:12160
	s_wait_dscnt 0x0
	v_mul_f64_e32 v[4:5], v[24:25], v[210:211]
	s_delay_alu instid0(VALU_DEP_1) | instskip(SKIP_1) | instid1(VALU_DEP_2)
	v_fma_f64 v[4:5], v[22:23], v[208:209], -v[4:5]
	v_mul_f64_e32 v[22:23], v[22:23], v[210:211]
	v_add_f64_e32 v[18:19], v[18:19], v[4:5]
	s_delay_alu instid0(VALU_DEP_2) | instskip(NEXT) | instid1(VALU_DEP_1)
	v_fmac_f64_e32 v[22:23], v[24:25], v[208:209]
	v_add_f64_e32 v[20:21], v[20:21], v[22:23]
.LBB180_351:                            ;   in Loop: Header=BB180_3 Depth=1
	s_or_b32 exec_lo, exec_lo, s51
	s_delay_alu instid0(VALU_DEP_2) | instskip(NEXT) | instid1(VALU_DEP_2)
	v_xor_b32_e32 v19, 0x80000000, v19
	v_xor_b32_e32 v21, 0x80000000, v21
.LBB180_352:                            ;   in Loop: Header=BB180_3 Depth=1
	s_or_b32 exec_lo, exec_lo, s50
	s_and_saveexec_b32 s50, s71
	s_cbranch_execz .LBB180_354
; %bb.353:                              ;   in Loop: Header=BB180_3 Depth=1
	ds_load_b128 v[22:25], v2 offset:12672
	s_wait_dscnt 0x0
	v_mul_f64_e32 v[4:5], v[20:21], v[24:25]
	v_mul_f64_e32 v[210:211], v[18:19], v[24:25]
	s_delay_alu instid0(VALU_DEP_2) | instskip(NEXT) | instid1(VALU_DEP_2)
	v_fma_f64 v[208:209], v[18:19], v[22:23], -v[4:5]
	v_fmac_f64_e32 v[210:211], v[20:21], v[22:23]
	s_delay_alu instid0(VALU_DEP_2) | instskip(NEXT) | instid1(VALU_DEP_2)
	v_mov_b64_e32 v[18:19], v[208:209]
	v_mov_b64_e32 v[20:21], v[210:211]
	ds_store_b128 v62, v[208:211]
.LBB180_354:                            ;   in Loop: Header=BB180_3 Depth=1
	s_or_b32 exec_lo, exec_lo, s50
	s_wait_dscnt 0x0
	s_barrier_signal -1
	s_barrier_wait -1
	s_and_saveexec_b32 s50, s72
	s_cbranch_execz .LBB180_356
; %bb.355:                              ;   in Loop: Header=BB180_3 Depth=1
	ds_load_b128 v[22:25], v62
	ds_load_b128 v[208:211], v60 offset:12672
	s_wait_dscnt 0x0
	v_mul_f64_e32 v[4:5], v[24:25], v[210:211]
	s_delay_alu instid0(VALU_DEP_1) | instskip(SKIP_1) | instid1(VALU_DEP_2)
	v_fma_f64 v[4:5], v[22:23], v[208:209], -v[4:5]
	v_mul_f64_e32 v[22:23], v[22:23], v[210:211]
	v_add_f64_e32 v[18:19], v[18:19], v[4:5]
	s_delay_alu instid0(VALU_DEP_2) | instskip(NEXT) | instid1(VALU_DEP_1)
	v_fmac_f64_e32 v[22:23], v[24:25], v[208:209]
	v_add_f64_e32 v[20:21], v[20:21], v[22:23]
.LBB180_356:                            ;   in Loop: Header=BB180_3 Depth=1
	s_or_b32 exec_lo, exec_lo, s50
	s_barrier_signal -1
	s_barrier_wait -1
	s_and_saveexec_b32 s50, s73
	s_cbranch_execz .LBB180_358
; %bb.357:                              ;   in Loop: Header=BB180_3 Depth=1
	ds_load_b128 v[22:25], v2 offset:13200
	s_wait_dscnt 0x0
	v_mul_f64_e32 v[4:5], v[20:21], v[24:25]
	v_mul_f64_e32 v[210:211], v[18:19], v[24:25]
	s_delay_alu instid0(VALU_DEP_2) | instskip(NEXT) | instid1(VALU_DEP_2)
	v_fma_f64 v[208:209], v[18:19], v[22:23], -v[4:5]
	v_fmac_f64_e32 v[210:211], v[20:21], v[22:23]
	s_delay_alu instid0(VALU_DEP_2) | instskip(NEXT) | instid1(VALU_DEP_2)
	v_mov_b64_e32 v[18:19], v[208:209]
	v_mov_b64_e32 v[20:21], v[210:211]
	ds_store_b128 v62, v[208:211]
.LBB180_358:                            ;   in Loop: Header=BB180_3 Depth=1
	s_or_b32 exec_lo, exec_lo, s50
	s_wait_dscnt 0x0
	s_barrier_signal -1
	s_barrier_wait -1
	s_and_saveexec_b32 s50, s74
	s_cbranch_execz .LBB180_360
; %bb.359:                              ;   in Loop: Header=BB180_3 Depth=1
	ds_load_b128 v[22:25], v62
	ds_load_b128 v[208:211], v60 offset:13184
	s_wait_dscnt 0x0
	v_mul_f64_e32 v[4:5], v[24:25], v[210:211]
	s_delay_alu instid0(VALU_DEP_1) | instskip(SKIP_1) | instid1(VALU_DEP_2)
	v_fma_f64 v[4:5], v[22:23], v[208:209], -v[4:5]
	v_mul_f64_e32 v[22:23], v[22:23], v[210:211]
	v_add_f64_e32 v[18:19], v[18:19], v[4:5]
	s_delay_alu instid0(VALU_DEP_2) | instskip(NEXT) | instid1(VALU_DEP_1)
	v_fmac_f64_e32 v[22:23], v[24:25], v[208:209]
	v_add_f64_e32 v[20:21], v[20:21], v[22:23]
.LBB180_360:                            ;   in Loop: Header=BB180_3 Depth=1
	s_or_b32 exec_lo, exec_lo, s50
	s_barrier_signal -1
	s_barrier_wait -1
	;; [unrolled: 37-line block ×7, first 2 shown]
	s_and_saveexec_b32 s50, s84
	s_cbranch_execz .LBB180_382
; %bb.381:                              ;   in Loop: Header=BB180_3 Depth=1
	ds_load_b128 v[22:25], v2 offset:16368
	s_wait_dscnt 0x0
	v_mul_f64_e32 v[4:5], v[20:21], v[24:25]
	v_mul_f64_e32 v[210:211], v[18:19], v[24:25]
	s_delay_alu instid0(VALU_DEP_2) | instskip(NEXT) | instid1(VALU_DEP_2)
	v_fma_f64 v[208:209], v[18:19], v[22:23], -v[4:5]
	v_fmac_f64_e32 v[210:211], v[20:21], v[22:23]
	s_delay_alu instid0(VALU_DEP_2) | instskip(NEXT) | instid1(VALU_DEP_2)
	v_mov_b64_e32 v[18:19], v[208:209]
	v_mov_b64_e32 v[20:21], v[210:211]
	ds_store_b128 v62, v[208:211]
.LBB180_382:                            ;   in Loop: Header=BB180_3 Depth=1
	s_or_b32 exec_lo, exec_lo, s50
	s_wait_dscnt 0x0
	s_barrier_signal -1
	s_barrier_wait -1
	s_barrier_signal -1
	s_barrier_wait -1
	s_and_saveexec_b32 s50, s6
; %bb.383:                              ;   in Loop: Header=BB180_3 Depth=1
	s_delay_alu instid0(VALU_DEP_3) | instskip(NEXT) | instid1(VALU_DEP_2)
	v_xor_b32_e32 v19, 0x80000000, v19
	v_xor_b32_e32 v21, 0x80000000, v21
	ds_store_b128 v63, v[18:21] offset:8576
; %bb.384:                              ;   in Loop: Header=BB180_3 Depth=1
	s_or_b32 exec_lo, exec_lo, s50
	s_wait_dscnt 0x0
	s_barrier_signal -1
	s_barrier_wait -1
	s_barrier_signal -1
	s_barrier_wait -1
	s_and_saveexec_b32 s50, s85
	s_cbranch_execz .LBB180_386
; %bb.385:                              ;   in Loop: Header=BB180_3 Depth=1
	ds_load_b128 v[18:21], v77
	s_wait_dscnt 0x0
	ds_store_b128 v188, v[18:21]
	ds_load_b128 v[18:21], v78
	s_wait_dscnt 0x0
	ds_store_b128 v189, v[18:21]
	ds_load_b128 v[18:21], v79
	s_wait_dscnt 0x0
	ds_store_b128 v190, v[18:21]
	ds_load_b128 v[18:21], v80
	s_wait_dscnt 0x0
	ds_store_b128 v191, v[18:21]
	ds_load_b128 v[18:21], v81
	s_wait_dscnt 0x0
	ds_store_b128 v192, v[18:21]
	ds_load_b128 v[18:21], v82
	s_wait_dscnt 0x0
	ds_store_b128 v193, v[18:21]
	ds_load_b128 v[18:21], v83
	s_wait_dscnt 0x0
	ds_store_b128 v194, v[18:21]
	ds_load_b128 v[18:21], v84
	s_wait_dscnt 0x0
	ds_store_b128 v195, v[18:21]
.LBB180_386:                            ;   in Loop: Header=BB180_3 Depth=1
	s_or_b32 exec_lo, exec_lo, s50
	s_wait_dscnt 0x0
	s_barrier_signal -1
	s_barrier_wait -1
	s_and_saveexec_b32 s50, s31
	s_cbranch_execz .LBB180_388
; %bb.387:                              ;   in Loop: Header=BB180_3 Depth=1
	ds_load_b128 v[18:21], v2 offset:13200
	ds_load_b128 v[22:25], v2 offset:12672
	s_wait_dscnt 0x0
	v_mul_f64_e32 v[4:5], v[18:19], v[24:25]
	v_mul_f64_e32 v[24:25], v[20:21], v[24:25]
	s_delay_alu instid0(VALU_DEP_2) | instskip(NEXT) | instid1(VALU_DEP_2)
	v_fmac_f64_e32 v[4:5], v[20:21], v[22:23]
	v_fma_f64 v[24:25], v[18:19], v[22:23], -v[24:25]
	ds_load_b128 v[18:21], v2 offset:12688
	s_wait_dscnt 0x0
	v_mul_f64_e32 v[44:45], v[4:5], v[20:21]
	v_mul_f64_e32 v[22:23], v[24:25], v[20:21]
	s_delay_alu instid0(VALU_DEP_2) | instskip(NEXT) | instid1(VALU_DEP_2)
	v_fma_f64 v[20:21], v[18:19], v[24:25], -v[44:45]
	v_fmac_f64_e32 v[22:23], v[18:19], v[4:5]
	ds_store_b128 v2, v[20:23] offset:12688
	ds_store_b128 v2, v[20:23] offset:13184
.LBB180_388:                            ;   in Loop: Header=BB180_3 Depth=1
	s_or_b32 exec_lo, exec_lo, s50
	v_mov_b64_e32 v[20:21], 0
	v_mov_b64_e32 v[18:19], 0
	s_wait_dscnt 0x0
	s_barrier_signal -1
	s_barrier_wait -1
	s_and_saveexec_b32 s50, s3
	s_cbranch_execz .LBB180_392
; %bb.389:                              ;   in Loop: Header=BB180_3 Depth=1
	ds_load_b128 v[18:21], v48 offset:12672
	ds_load_b128 v[22:25], v47 offset:12704
	s_wait_dscnt 0x0
	v_mul_f64_e32 v[4:5], v[20:21], v[24:25]
	v_mul_f64_e32 v[24:25], v[18:19], v[24:25]
	s_delay_alu instid0(VALU_DEP_2) | instskip(NEXT) | instid1(VALU_DEP_2)
	v_fma_f64 v[4:5], v[18:19], v[22:23], -v[4:5]
	v_fmac_f64_e32 v[24:25], v[20:21], v[22:23]
	s_delay_alu instid0(VALU_DEP_2) | instskip(NEXT) | instid1(VALU_DEP_2)
	v_add_f64_e32 v[18:19], 0, v[4:5]
	v_add_f64_e32 v[20:21], 0, v[24:25]
	s_and_saveexec_b32 s51, s12
	s_cbranch_execz .LBB180_391
; %bb.390:                              ;   in Loop: Header=BB180_3 Depth=1
	ds_load_b128 v[22:25], v2 offset:12688
	ds_load_b128 v[208:211], v54 offset:13216
	s_wait_dscnt 0x0
	v_mul_f64_e32 v[4:5], v[24:25], v[210:211]
	s_delay_alu instid0(VALU_DEP_1) | instskip(SKIP_1) | instid1(VALU_DEP_2)
	v_fma_f64 v[4:5], v[22:23], v[208:209], -v[4:5]
	v_mul_f64_e32 v[22:23], v[22:23], v[210:211]
	v_add_f64_e32 v[18:19], v[18:19], v[4:5]
	s_delay_alu instid0(VALU_DEP_2) | instskip(NEXT) | instid1(VALU_DEP_1)
	v_fmac_f64_e32 v[22:23], v[24:25], v[208:209]
	v_add_f64_e32 v[20:21], v[20:21], v[22:23]
.LBB180_391:                            ;   in Loop: Header=BB180_3 Depth=1
	s_or_b32 exec_lo, exec_lo, s51
	s_delay_alu instid0(VALU_DEP_2) | instskip(NEXT) | instid1(VALU_DEP_2)
	v_xor_b32_e32 v19, 0x80000000, v19
	v_xor_b32_e32 v21, 0x80000000, v21
.LBB180_392:                            ;   in Loop: Header=BB180_3 Depth=1
	s_or_b32 exec_lo, exec_lo, s50
	s_and_saveexec_b32 s50, s61
	s_cbranch_execz .LBB180_394
; %bb.393:                              ;   in Loop: Header=BB180_3 Depth=1
	ds_load_b128 v[22:25], v2 offset:13728
	s_wait_dscnt 0x0
	v_mul_f64_e32 v[4:5], v[20:21], v[24:25]
	v_mul_f64_e32 v[210:211], v[18:19], v[24:25]
	s_delay_alu instid0(VALU_DEP_2) | instskip(NEXT) | instid1(VALU_DEP_2)
	v_fma_f64 v[208:209], v[18:19], v[22:23], -v[4:5]
	v_fmac_f64_e32 v[210:211], v[20:21], v[22:23]
	s_delay_alu instid0(VALU_DEP_2) | instskip(NEXT) | instid1(VALU_DEP_2)
	v_mov_b64_e32 v[18:19], v[208:209]
	v_mov_b64_e32 v[20:21], v[210:211]
	ds_store_b128 v27, v[208:211]
.LBB180_394:                            ;   in Loop: Header=BB180_3 Depth=1
	s_or_b32 exec_lo, exec_lo, s50
	s_wait_dscnt 0x0
	s_barrier_signal -1
	s_barrier_wait -1
	s_and_saveexec_b32 s50, s62
	s_cbranch_execz .LBB180_396
; %bb.395:                              ;   in Loop: Header=BB180_3 Depth=1
	ds_load_b128 v[22:25], v27
	ds_load_b128 v[208:211], v2 offset:13744
	s_wait_dscnt 0x0
	v_mul_f64_e32 v[4:5], v[24:25], v[210:211]
	s_delay_alu instid0(VALU_DEP_1) | instskip(SKIP_1) | instid1(VALU_DEP_2)
	v_fma_f64 v[4:5], v[22:23], v[208:209], -v[4:5]
	v_mul_f64_e32 v[22:23], v[22:23], v[210:211]
	v_add_f64_e32 v[18:19], v[18:19], v[4:5]
	s_delay_alu instid0(VALU_DEP_2) | instskip(NEXT) | instid1(VALU_DEP_1)
	v_fmac_f64_e32 v[22:23], v[24:25], v[208:209]
	v_add_f64_e32 v[20:21], v[20:21], v[22:23]
.LBB180_396:                            ;   in Loop: Header=BB180_3 Depth=1
	s_or_b32 exec_lo, exec_lo, s50
	s_barrier_signal -1
	s_barrier_wait -1
	s_and_saveexec_b32 s50, s62
	s_cbranch_execz .LBB180_398
; %bb.397:                              ;   in Loop: Header=BB180_3 Depth=1
	ds_load_b128 v[22:25], v2 offset:14256
	s_wait_dscnt 0x0
	v_mul_f64_e32 v[4:5], v[20:21], v[24:25]
	v_mul_f64_e32 v[210:211], v[18:19], v[24:25]
	s_delay_alu instid0(VALU_DEP_2) | instskip(NEXT) | instid1(VALU_DEP_2)
	v_fma_f64 v[208:209], v[18:19], v[22:23], -v[4:5]
	v_fmac_f64_e32 v[210:211], v[20:21], v[22:23]
	s_delay_alu instid0(VALU_DEP_2) | instskip(NEXT) | instid1(VALU_DEP_2)
	v_mov_b64_e32 v[18:19], v[208:209]
	v_mov_b64_e32 v[20:21], v[210:211]
	ds_store_b128 v27, v[208:211]
.LBB180_398:                            ;   in Loop: Header=BB180_3 Depth=1
	s_or_b32 exec_lo, exec_lo, s50
	s_wait_dscnt 0x0
	s_barrier_signal -1
	s_barrier_wait -1
	s_barrier_signal -1
	s_barrier_wait -1
	s_and_saveexec_b32 s50, s3
; %bb.399:                              ;   in Loop: Header=BB180_3 Depth=1
	s_delay_alu instid0(VALU_DEP_3) | instskip(NEXT) | instid1(VALU_DEP_2)
	v_xor_b32_e32 v19, 0x80000000, v19
	v_xor_b32_e32 v21, 0x80000000, v21
	ds_store_b128 v47, v[18:21] offset:12704
; %bb.400:                              ;   in Loop: Header=BB180_3 Depth=1
	s_or_b32 exec_lo, exec_lo, s50
	s_wait_dscnt 0x0
	s_barrier_signal -1
	s_barrier_wait -1
	s_barrier_signal -1
	s_barrier_wait -1
	s_and_saveexec_b32 s50, s63
	s_cbranch_execz .LBB180_402
; %bb.401:                              ;   in Loop: Header=BB180_3 Depth=1
	ds_load_b128 v[18:21], v94
	s_wait_dscnt 0x0
	ds_store_b128 v196, v[18:21]
	ds_load_b128 v[18:21], v95
	s_wait_dscnt 0x0
	ds_store_b128 v197, v[18:21]
.LBB180_402:                            ;   in Loop: Header=BB180_3 Depth=1
	s_or_b32 exec_lo, exec_lo, s50
	s_wait_dscnt 0x0
	s_barrier_signal -1
	s_barrier_wait -1
	s_and_saveexec_b32 s50, s31
	s_cbranch_execz .LBB180_404
; %bb.403:                              ;   in Loop: Header=BB180_3 Depth=1
	ds_load_b128 v[18:21], v2 offset:14256
	ds_load_b128 v[22:25], v2 offset:13728
	s_wait_dscnt 0x0
	v_mul_f64_e32 v[4:5], v[18:19], v[24:25]
	v_mul_f64_e32 v[24:25], v[20:21], v[24:25]
	s_delay_alu instid0(VALU_DEP_2) | instskip(NEXT) | instid1(VALU_DEP_2)
	v_fmac_f64_e32 v[4:5], v[20:21], v[22:23]
	v_fma_f64 v[24:25], v[18:19], v[22:23], -v[24:25]
	ds_load_b128 v[18:21], v2 offset:13744
	s_wait_dscnt 0x0
	v_mul_f64_e32 v[44:45], v[4:5], v[20:21]
	v_mul_f64_e32 v[22:23], v[24:25], v[20:21]
	s_delay_alu instid0(VALU_DEP_2) | instskip(NEXT) | instid1(VALU_DEP_2)
	v_fma_f64 v[20:21], v[18:19], v[24:25], -v[44:45]
	v_fmac_f64_e32 v[22:23], v[18:19], v[4:5]
	ds_store_b128 v2, v[20:23] offset:13744
	ds_store_b128 v2, v[20:23] offset:14240
.LBB180_404:                            ;   in Loop: Header=BB180_3 Depth=1
	s_or_b32 exec_lo, exec_lo, s50
	v_mov_b64_e32 v[20:21], 0
	v_mov_b64_e32 v[18:19], 0
	s_wait_dscnt 0x0
	s_barrier_signal -1
	s_barrier_wait -1
	s_and_saveexec_b32 s50, s5
	s_cbranch_execz .LBB180_410
; %bb.405:                              ;   in Loop: Header=BB180_3 Depth=1
	ds_load_b128 v[18:21], v50 offset:12672
	ds_load_b128 v[22:25], v56 offset:12736
	s_wait_dscnt 0x0
	v_mul_f64_e32 v[4:5], v[20:21], v[24:25]
	v_mul_f64_e32 v[24:25], v[18:19], v[24:25]
	s_delay_alu instid0(VALU_DEP_2) | instskip(NEXT) | instid1(VALU_DEP_2)
	v_fma_f64 v[4:5], v[18:19], v[22:23], -v[4:5]
	v_fmac_f64_e32 v[24:25], v[20:21], v[22:23]
	s_delay_alu instid0(VALU_DEP_2) | instskip(NEXT) | instid1(VALU_DEP_2)
	v_add_f64_e32 v[18:19], 0, v[4:5]
	v_add_f64_e32 v[20:21], 0, v[24:25]
	s_and_saveexec_b32 s51, s13
	s_cbranch_execnz .LBB180_572
; %bb.406:                              ;   in Loop: Header=BB180_3 Depth=1
	s_or_b32 exec_lo, exec_lo, s51
	s_and_saveexec_b32 s51, s14
	s_cbranch_execnz .LBB180_573
.LBB180_407:                            ;   in Loop: Header=BB180_3 Depth=1
	s_or_b32 exec_lo, exec_lo, s51
	s_and_saveexec_b32 s51, s3
	s_cbranch_execz .LBB180_409
.LBB180_408:                            ;   in Loop: Header=BB180_3 Depth=1
	ds_load_b128 v[22:25], v2 offset:12720
	ds_load_b128 v[208:211], v87 offset:14272
	s_wait_dscnt 0x0
	v_mul_f64_e32 v[4:5], v[24:25], v[210:211]
	s_delay_alu instid0(VALU_DEP_1) | instskip(SKIP_1) | instid1(VALU_DEP_2)
	v_fma_f64 v[4:5], v[22:23], v[208:209], -v[4:5]
	v_mul_f64_e32 v[22:23], v[22:23], v[210:211]
	v_add_f64_e32 v[18:19], v[18:19], v[4:5]
	s_delay_alu instid0(VALU_DEP_2) | instskip(NEXT) | instid1(VALU_DEP_1)
	v_fmac_f64_e32 v[22:23], v[24:25], v[208:209]
	v_add_f64_e32 v[20:21], v[20:21], v[22:23]
.LBB180_409:                            ;   in Loop: Header=BB180_3 Depth=1
	s_or_b32 exec_lo, exec_lo, s51
	s_delay_alu instid0(VALU_DEP_2) | instskip(NEXT) | instid1(VALU_DEP_2)
	v_xor_b32_e32 v19, 0x80000000, v19
	v_xor_b32_e32 v21, 0x80000000, v21
.LBB180_410:                            ;   in Loop: Header=BB180_3 Depth=1
	s_or_b32 exec_lo, exec_lo, s50
	s_and_saveexec_b32 s50, s64
	s_cbranch_execz .LBB180_412
; %bb.411:                              ;   in Loop: Header=BB180_3 Depth=1
	ds_load_b128 v[22:25], v2 offset:14784
	s_wait_dscnt 0x0
	v_mul_f64_e32 v[4:5], v[20:21], v[24:25]
	v_mul_f64_e32 v[210:211], v[18:19], v[24:25]
	s_delay_alu instid0(VALU_DEP_2) | instskip(NEXT) | instid1(VALU_DEP_2)
	v_fma_f64 v[208:209], v[18:19], v[22:23], -v[4:5]
	v_fmac_f64_e32 v[210:211], v[20:21], v[22:23]
	s_delay_alu instid0(VALU_DEP_2) | instskip(NEXT) | instid1(VALU_DEP_2)
	v_mov_b64_e32 v[18:19], v[208:209]
	v_mov_b64_e32 v[20:21], v[210:211]
	ds_store_b128 v55, v[208:211]
.LBB180_412:                            ;   in Loop: Header=BB180_3 Depth=1
	s_or_b32 exec_lo, exec_lo, s50
	s_wait_dscnt 0x0
	s_barrier_signal -1
	s_barrier_wait -1
	s_and_saveexec_b32 s50, s65
	s_cbranch_execz .LBB180_414
; %bb.413:                              ;   in Loop: Header=BB180_3 Depth=1
	ds_load_b128 v[22:25], v55
	ds_load_b128 v[208:211], v53 offset:14784
	s_wait_dscnt 0x0
	v_mul_f64_e32 v[4:5], v[24:25], v[210:211]
	s_delay_alu instid0(VALU_DEP_1) | instskip(SKIP_1) | instid1(VALU_DEP_2)
	v_fma_f64 v[4:5], v[22:23], v[208:209], -v[4:5]
	v_mul_f64_e32 v[22:23], v[22:23], v[210:211]
	v_add_f64_e32 v[18:19], v[18:19], v[4:5]
	s_delay_alu instid0(VALU_DEP_2) | instskip(NEXT) | instid1(VALU_DEP_1)
	v_fmac_f64_e32 v[22:23], v[24:25], v[208:209]
	v_add_f64_e32 v[20:21], v[20:21], v[22:23]
.LBB180_414:                            ;   in Loop: Header=BB180_3 Depth=1
	s_or_b32 exec_lo, exec_lo, s50
	s_barrier_signal -1
	s_barrier_wait -1
	s_and_saveexec_b32 s50, s66
	s_cbranch_execz .LBB180_416
; %bb.415:                              ;   in Loop: Header=BB180_3 Depth=1
	ds_load_b128 v[22:25], v2 offset:15312
	s_wait_dscnt 0x0
	v_mul_f64_e32 v[4:5], v[20:21], v[24:25]
	v_mul_f64_e32 v[210:211], v[18:19], v[24:25]
	s_delay_alu instid0(VALU_DEP_2) | instskip(NEXT) | instid1(VALU_DEP_2)
	v_fma_f64 v[208:209], v[18:19], v[22:23], -v[4:5]
	v_fmac_f64_e32 v[210:211], v[20:21], v[22:23]
	s_delay_alu instid0(VALU_DEP_2) | instskip(NEXT) | instid1(VALU_DEP_2)
	v_mov_b64_e32 v[18:19], v[208:209]
	v_mov_b64_e32 v[20:21], v[210:211]
	ds_store_b128 v55, v[208:211]
.LBB180_416:                            ;   in Loop: Header=BB180_3 Depth=1
	s_or_b32 exec_lo, exec_lo, s50
	s_wait_dscnt 0x0
	s_barrier_signal -1
	s_barrier_wait -1
	s_and_saveexec_b32 s50, s67
	s_cbranch_execz .LBB180_418
; %bb.417:                              ;   in Loop: Header=BB180_3 Depth=1
	ds_load_b128 v[22:25], v55
	ds_load_b128 v[208:211], v53 offset:15296
	s_wait_dscnt 0x0
	v_mul_f64_e32 v[4:5], v[24:25], v[210:211]
	s_delay_alu instid0(VALU_DEP_1) | instskip(SKIP_1) | instid1(VALU_DEP_2)
	v_fma_f64 v[4:5], v[22:23], v[208:209], -v[4:5]
	v_mul_f64_e32 v[22:23], v[22:23], v[210:211]
	v_add_f64_e32 v[18:19], v[18:19], v[4:5]
	s_delay_alu instid0(VALU_DEP_2) | instskip(NEXT) | instid1(VALU_DEP_1)
	v_fmac_f64_e32 v[22:23], v[24:25], v[208:209]
	v_add_f64_e32 v[20:21], v[20:21], v[22:23]
.LBB180_418:                            ;   in Loop: Header=BB180_3 Depth=1
	s_or_b32 exec_lo, exec_lo, s50
	s_barrier_signal -1
	s_barrier_wait -1
	;; [unrolled: 37-line block ×3, first 2 shown]
	s_and_saveexec_b32 s50, s69
	s_cbranch_execz .LBB180_424
; %bb.423:                              ;   in Loop: Header=BB180_3 Depth=1
	ds_load_b128 v[22:25], v2 offset:16368
	s_wait_dscnt 0x0
	v_mul_f64_e32 v[4:5], v[20:21], v[24:25]
	v_mul_f64_e32 v[210:211], v[18:19], v[24:25]
	s_delay_alu instid0(VALU_DEP_2) | instskip(NEXT) | instid1(VALU_DEP_2)
	v_fma_f64 v[208:209], v[18:19], v[22:23], -v[4:5]
	v_fmac_f64_e32 v[210:211], v[20:21], v[22:23]
	s_delay_alu instid0(VALU_DEP_2) | instskip(NEXT) | instid1(VALU_DEP_2)
	v_mov_b64_e32 v[18:19], v[208:209]
	v_mov_b64_e32 v[20:21], v[210:211]
	ds_store_b128 v55, v[208:211]
.LBB180_424:                            ;   in Loop: Header=BB180_3 Depth=1
	s_or_b32 exec_lo, exec_lo, s50
	s_wait_dscnt 0x0
	s_barrier_signal -1
	s_barrier_wait -1
	s_barrier_signal -1
	s_barrier_wait -1
	s_and_saveexec_b32 s50, s5
; %bb.425:                              ;   in Loop: Header=BB180_3 Depth=1
	s_delay_alu instid0(VALU_DEP_1) | instskip(NEXT) | instid1(VALU_DEP_4)
	v_xor_b32_e32 v21, 0x80000000, v21
	v_xor_b32_e32 v19, 0x80000000, v19
	ds_store_b128 v56, v[18:21] offset:12736
; %bb.426:                              ;   in Loop: Header=BB180_3 Depth=1
	s_or_b32 exec_lo, exec_lo, s50
	s_wait_dscnt 0x0
	s_barrier_signal -1
	s_barrier_wait -1
	s_barrier_signal -1
	s_barrier_wait -1
	s_and_saveexec_b32 s50, s70
	s_cbranch_execz .LBB180_428
; %bb.427:                              ;   in Loop: Header=BB180_3 Depth=1
	ds_load_b128 v[18:21], v105
	s_wait_dscnt 0x0
	ds_store_b128 v198, v[18:21]
	ds_load_b128 v[18:21], v108
	s_wait_dscnt 0x0
	ds_store_b128 v201, v[18:21]
	;; [unrolled: 3-line block ×4, first 2 shown]
.LBB180_428:                            ;   in Loop: Header=BB180_3 Depth=1
	s_or_b32 exec_lo, exec_lo, s50
	s_wait_dscnt 0x0
	s_barrier_signal -1
	s_barrier_wait -1
	s_and_saveexec_b32 s50, s31
	s_cbranch_execz .LBB180_430
; %bb.429:                              ;   in Loop: Header=BB180_3 Depth=1
	ds_load_b128 v[18:21], v2 offset:15312
	ds_load_b128 v[22:25], v2 offset:14784
	s_wait_dscnt 0x0
	v_mul_f64_e32 v[4:5], v[18:19], v[24:25]
	v_mul_f64_e32 v[24:25], v[20:21], v[24:25]
	s_delay_alu instid0(VALU_DEP_2) | instskip(NEXT) | instid1(VALU_DEP_2)
	v_fmac_f64_e32 v[4:5], v[20:21], v[22:23]
	v_fma_f64 v[24:25], v[18:19], v[22:23], -v[24:25]
	ds_load_b128 v[18:21], v2 offset:14800
	s_wait_dscnt 0x0
	v_mul_f64_e32 v[44:45], v[4:5], v[20:21]
	v_mul_f64_e32 v[22:23], v[24:25], v[20:21]
	s_delay_alu instid0(VALU_DEP_2) | instskip(NEXT) | instid1(VALU_DEP_2)
	v_fma_f64 v[20:21], v[18:19], v[24:25], -v[44:45]
	v_fmac_f64_e32 v[22:23], v[18:19], v[4:5]
	ds_store_b128 v2, v[20:23] offset:14800
	ds_store_b128 v2, v[20:23] offset:15296
.LBB180_430:                            ;   in Loop: Header=BB180_3 Depth=1
	s_or_b32 exec_lo, exec_lo, s50
	v_mov_b64_e32 v[20:21], 0
	v_mov_b64_e32 v[18:19], 0
	s_wait_dscnt 0x0
	s_barrier_signal -1
	s_barrier_wait -1
	s_and_saveexec_b32 s50, s3
	s_cbranch_execz .LBB180_434
; %bb.431:                              ;   in Loop: Header=BB180_3 Depth=1
	ds_load_b128 v[18:21], v48 offset:14784
	ds_load_b128 v[22:25], v47 offset:14816
	s_wait_dscnt 0x0
	v_mul_f64_e32 v[4:5], v[20:21], v[24:25]
	v_mul_f64_e32 v[24:25], v[18:19], v[24:25]
	s_delay_alu instid0(VALU_DEP_2) | instskip(NEXT) | instid1(VALU_DEP_2)
	v_fma_f64 v[4:5], v[18:19], v[22:23], -v[4:5]
	v_fmac_f64_e32 v[24:25], v[20:21], v[22:23]
	s_delay_alu instid0(VALU_DEP_2) | instskip(NEXT) | instid1(VALU_DEP_2)
	v_add_f64_e32 v[18:19], 0, v[4:5]
	v_add_f64_e32 v[20:21], 0, v[24:25]
	s_and_saveexec_b32 s51, s12
	s_cbranch_execz .LBB180_433
; %bb.432:                              ;   in Loop: Header=BB180_3 Depth=1
	ds_load_b128 v[22:25], v2 offset:14800
	ds_load_b128 v[208:211], v98 offset:15328
	s_wait_dscnt 0x0
	v_mul_f64_e32 v[4:5], v[24:25], v[210:211]
	s_delay_alu instid0(VALU_DEP_1) | instskip(SKIP_1) | instid1(VALU_DEP_2)
	v_fma_f64 v[4:5], v[22:23], v[208:209], -v[4:5]
	v_mul_f64_e32 v[22:23], v[22:23], v[210:211]
	v_add_f64_e32 v[18:19], v[18:19], v[4:5]
	s_delay_alu instid0(VALU_DEP_2) | instskip(NEXT) | instid1(VALU_DEP_1)
	v_fmac_f64_e32 v[22:23], v[24:25], v[208:209]
	v_add_f64_e32 v[20:21], v[20:21], v[22:23]
.LBB180_433:                            ;   in Loop: Header=BB180_3 Depth=1
	s_or_b32 exec_lo, exec_lo, s51
	s_delay_alu instid0(VALU_DEP_2) | instskip(NEXT) | instid1(VALU_DEP_2)
	v_xor_b32_e32 v19, 0x80000000, v19
	v_xor_b32_e32 v21, 0x80000000, v21
.LBB180_434:                            ;   in Loop: Header=BB180_3 Depth=1
	s_or_b32 exec_lo, exec_lo, s50
	s_and_saveexec_b32 s50, s61
	s_cbranch_execz .LBB180_436
; %bb.435:                              ;   in Loop: Header=BB180_3 Depth=1
	ds_load_b128 v[22:25], v2 offset:15840
	s_wait_dscnt 0x0
	v_mul_f64_e32 v[4:5], v[20:21], v[24:25]
	v_mul_f64_e32 v[210:211], v[18:19], v[24:25]
	s_delay_alu instid0(VALU_DEP_2) | instskip(NEXT) | instid1(VALU_DEP_2)
	v_fma_f64 v[208:209], v[18:19], v[22:23], -v[4:5]
	v_fmac_f64_e32 v[210:211], v[20:21], v[22:23]
	s_delay_alu instid0(VALU_DEP_2) | instskip(NEXT) | instid1(VALU_DEP_2)
	v_mov_b64_e32 v[18:19], v[208:209]
	v_mov_b64_e32 v[20:21], v[210:211]
	ds_store_b128 v27, v[208:211]
.LBB180_436:                            ;   in Loop: Header=BB180_3 Depth=1
	s_or_b32 exec_lo, exec_lo, s50
	s_wait_dscnt 0x0
	s_barrier_signal -1
	s_barrier_wait -1
	s_and_saveexec_b32 s50, s62
	s_cbranch_execz .LBB180_438
; %bb.437:                              ;   in Loop: Header=BB180_3 Depth=1
	ds_load_b128 v[22:25], v27
	ds_load_b128 v[208:211], v2 offset:15856
	s_wait_dscnt 0x0
	v_mul_f64_e32 v[4:5], v[24:25], v[210:211]
	s_delay_alu instid0(VALU_DEP_1) | instskip(SKIP_1) | instid1(VALU_DEP_2)
	v_fma_f64 v[4:5], v[22:23], v[208:209], -v[4:5]
	v_mul_f64_e32 v[22:23], v[22:23], v[210:211]
	v_add_f64_e32 v[18:19], v[18:19], v[4:5]
	s_delay_alu instid0(VALU_DEP_2) | instskip(NEXT) | instid1(VALU_DEP_1)
	v_fmac_f64_e32 v[22:23], v[24:25], v[208:209]
	v_add_f64_e32 v[20:21], v[20:21], v[22:23]
.LBB180_438:                            ;   in Loop: Header=BB180_3 Depth=1
	s_or_b32 exec_lo, exec_lo, s50
	s_barrier_signal -1
	s_barrier_wait -1
	s_and_saveexec_b32 s50, s62
	s_cbranch_execz .LBB180_440
; %bb.439:                              ;   in Loop: Header=BB180_3 Depth=1
	ds_load_b128 v[22:25], v2 offset:16368
	s_wait_dscnt 0x0
	v_mul_f64_e32 v[4:5], v[20:21], v[24:25]
	v_mul_f64_e32 v[210:211], v[18:19], v[24:25]
	s_delay_alu instid0(VALU_DEP_2) | instskip(NEXT) | instid1(VALU_DEP_2)
	v_fma_f64 v[208:209], v[18:19], v[22:23], -v[4:5]
	v_fmac_f64_e32 v[210:211], v[20:21], v[22:23]
	s_delay_alu instid0(VALU_DEP_2) | instskip(NEXT) | instid1(VALU_DEP_2)
	v_mov_b64_e32 v[18:19], v[208:209]
	v_mov_b64_e32 v[20:21], v[210:211]
	ds_store_b128 v27, v[208:211]
.LBB180_440:                            ;   in Loop: Header=BB180_3 Depth=1
	s_or_b32 exec_lo, exec_lo, s50
	s_wait_dscnt 0x0
	s_barrier_signal -1
	s_barrier_wait -1
	s_barrier_signal -1
	s_barrier_wait -1
	s_and_saveexec_b32 s50, s3
; %bb.441:                              ;   in Loop: Header=BB180_3 Depth=1
	s_delay_alu instid0(VALU_DEP_3) | instskip(NEXT) | instid1(VALU_DEP_2)
	v_xor_b32_e32 v19, 0x80000000, v19
	v_xor_b32_e32 v21, 0x80000000, v21
	ds_store_b128 v47, v[18:21] offset:14816
; %bb.442:                              ;   in Loop: Header=BB180_3 Depth=1
	s_or_b32 exec_lo, exec_lo, s50
	s_wait_dscnt 0x0
	s_barrier_signal -1
	s_barrier_wait -1
	s_barrier_signal -1
	s_barrier_wait -1
	s_and_saveexec_b32 s50, s63
	s_cbranch_execz .LBB180_444
; %bb.443:                              ;   in Loop: Header=BB180_3 Depth=1
	ds_load_b128 v[18:21], v111
	s_wait_dscnt 0x0
	ds_store_b128 v115, v[18:21]
	ds_load_b128 v[18:21], v112
	s_wait_dscnt 0x0
	ds_store_b128 v116, v[18:21]
.LBB180_444:                            ;   in Loop: Header=BB180_3 Depth=1
	s_or_b32 exec_lo, exec_lo, s50
	s_wait_dscnt 0x0
	s_barrier_signal -1
	s_barrier_wait -1
	s_and_saveexec_b32 s50, s31
	s_cbranch_execz .LBB180_446
; %bb.445:                              ;   in Loop: Header=BB180_3 Depth=1
	ds_load_b128 v[18:21], v2 offset:16368
	ds_load_b128 v[22:25], v2 offset:15840
	s_wait_dscnt 0x0
	v_mul_f64_e32 v[4:5], v[18:19], v[24:25]
	v_mul_f64_e32 v[24:25], v[20:21], v[24:25]
	s_delay_alu instid0(VALU_DEP_2) | instskip(NEXT) | instid1(VALU_DEP_2)
	v_fmac_f64_e32 v[4:5], v[20:21], v[22:23]
	v_fma_f64 v[24:25], v[18:19], v[22:23], -v[24:25]
	ds_load_b128 v[18:21], v2 offset:15856
	s_wait_dscnt 0x0
	v_mul_f64_e32 v[44:45], v[4:5], v[20:21]
	v_mul_f64_e32 v[22:23], v[24:25], v[20:21]
	s_delay_alu instid0(VALU_DEP_2) | instskip(NEXT) | instid1(VALU_DEP_2)
	v_fma_f64 v[20:21], v[18:19], v[24:25], -v[44:45]
	v_fmac_f64_e32 v[22:23], v[18:19], v[4:5]
	ds_store_b128 v2, v[20:23] offset:15856
	ds_store_b128 v2, v[20:23] offset:16352
.LBB180_446:                            ;   in Loop: Header=BB180_3 Depth=1
	s_or_b32 exec_lo, exec_lo, s50
.LBB180_447:                            ;   in Loop: Header=BB180_3 Depth=1
	v_add_nc_u64_e32 v[22:23], s[44:45], v[42:43]
	v_mov_b64_e32 v[18:19], 0
	v_mov_b64_e32 v[20:21], 0
	s_wait_dscnt 0x0
	s_barrier_signal -1
	s_barrier_wait -1
	s_wait_xcnt 0x0
	s_and_saveexec_b32 s50, s34
	s_cbranch_execz .LBB180_449
; %bb.448:                              ;   in Loop: Header=BB180_3 Depth=1
	v_lshl_add_u64 v[4:5], v[32:33], 4, v[22:23]
	flat_load_b128 v[42:45], v[4:5]
	s_wait_loadcnt_dscnt 0x0
	v_mul_f64_e32 v[4:5], v[14:15], v[42:43]
	s_delay_alu instid0(VALU_DEP_1) | instskip(SKIP_1) | instid1(VALU_DEP_1)
	v_fma_f64 v[18:19], v[16:17], v[44:45], -v[4:5]
	v_mul_f64_e32 v[4:5], v[14:15], v[44:45]
	v_fma_f64 v[20:21], v[42:43], -v[16:17], -v[4:5]
.LBB180_449:                            ;   in Loop: Header=BB180_3 Depth=1
	s_or_b32 exec_lo, exec_lo, s50
	s_delay_alu instid0(SALU_CYCLE_1)
	s_and_not1_b32 vcc_lo, exec_lo, s86
	s_cbranch_vccnz .LBB180_472
; %bb.450:                              ;   in Loop: Header=BB180_3 Depth=1
	v_mov_b32_e32 v42, -1
	s_lshl_b64 s[50:51], s[38:39], 2
	s_mov_b32 s90, 0
	s_add_nc_u64 s[50:51], s[54:55], s[50:51]
	s_branch .LBB180_453
.LBB180_451:                            ;   in Loop: Header=BB180_453 Depth=2
	ds_load_b128 v[208:211], v133 offset:256
	s_wait_loadcnt_dscnt 0x0
	v_mul_f64_e32 v[4:5], v[16:17], v[210:211]
	v_mul_f64_e32 v[16:17], v[16:17], v[208:209]
	s_delay_alu instid0(VALU_DEP_2) | instskip(NEXT) | instid1(VALU_DEP_2)
	v_fmac_f64_e32 v[4:5], v[14:15], v[208:209]
	v_fma_f64 v[14:15], v[14:15], v[210:211], -v[16:17]
	s_delay_alu instid0(VALU_DEP_2) | instskip(NEXT) | instid1(VALU_DEP_2)
	v_add_f64_e32 v[18:19], v[18:19], v[4:5]
	v_add_f64_e32 v[20:21], v[20:21], v[14:15]
.LBB180_452:                            ;   in Loop: Header=BB180_453 Depth=2
	s_or_b32 exec_lo, exec_lo, s91
	s_add_co_i32 s90, s90, 1
	s_delay_alu instid0(SALU_CYCLE_1)
	s_cmp_eq_u32 s90, s56
	s_cbranch_scc1 .LBB180_472
.LBB180_453:                            ;   Parent Loop BB180_3 Depth=1
                                        ; =>  This Loop Header: Depth=2
                                        ;       Child Loop BB180_455 Depth 3
	v_cmp_gt_i32_e32 vcc_lo, s90, v42
	s_and_b32 s92, s35, vcc_lo
	s_delay_alu instid0(SALU_CYCLE_1)
	s_and_saveexec_b32 s91, s92
	s_cbranch_execz .LBB180_456
; %bb.454:                              ;   in Loop: Header=BB180_453 Depth=2
	global_load_b32 v42, v2, s[50:51]
	s_wait_loadcnt 0x0
	v_cmp_le_i32_e32 vcc_lo, s90, v42
	s_cbranch_vccnz .LBB180_456
.LBB180_455:                            ;   Parent Loop BB180_3 Depth=1
                                        ;     Parent Loop BB180_453 Depth=2
                                        ; =>    This Inner Loop Header: Depth=3
	global_wb scope:SCOPE_DEV
	s_wait_storecnt 0x0
	global_inv scope:SCOPE_DEV
	global_load_b32 v42, v2, s[50:51]
	s_wait_loadcnt 0x0
	v_cmp_gt_i32_e32 vcc_lo, s90, v42
	s_cbranch_vccnz .LBB180_455
.LBB180_456:                            ;   in Loop: Header=BB180_453 Depth=2
	s_or_b32 exec_lo, exec_lo, s91
	s_sub_co_i32 s91, s57, s90
	global_wb scope:SCOPE_DEV
	s_wait_storecnt 0x0
	global_inv scope:SCOPE_DEV
	s_lshl_b32 s92, s91, 5
	s_wait_loadcnt 0x0
	s_barrier_signal -1
	s_barrier_wait -1
	s_and_saveexec_b32 s93, s36
	s_cbranch_execz .LBB180_461
; %bb.457:                              ;   in Loop: Header=BB180_453 Depth=2
	s_ashr_i32 vcc_lo, s92, 31
	s_delay_alu instid0(SALU_CYCLE_1) | instskip(NEXT) | instid1(VALU_DEP_1)
	v_dual_mov_b32 v5, vcc_lo :: v_dual_bitop2_b32 v4, s92, v28 bitop3:0x54
	v_cmp_le_i64_e32 vcc_lo, s[52:53], v[4:5]
	s_and_saveexec_b32 s94, vcc_lo
	s_delay_alu instid0(SALU_CYCLE_1)
	s_xor_b32 vcc_lo, exec_lo, s94
; %bb.458:                              ;   in Loop: Header=BB180_453 Depth=2
	v_dual_mov_b32 v3, v2 :: v_dual_mov_b32 v4, v2
	v_mov_b32_e32 v5, v2
	ds_store_b128 v202, v[2:5]
                                        ; implicit-def: $vgpr4_vgpr5
; %bb.459:                              ;   in Loop: Header=BB180_453 Depth=2
	s_and_not1_saveexec_b32 s94, vcc_lo
	s_cbranch_execz .LBB180_461
; %bb.460:                              ;   in Loop: Header=BB180_453 Depth=2
	v_mul_u64_e32 v[4:5], s[46:47], v[4:5]
	s_delay_alu instid0(VALU_DEP_1)
	v_lshl_add_u64 v[4:5], v[4:5], 4, v[22:23]
	flat_load_b128 v[14:17], v[4:5]
	s_wait_loadcnt_dscnt 0x0
	ds_store_2addr_b64 v202, v[14:15], v[16:17] offset1:1
.LBB180_461:                            ;   in Loop: Header=BB180_453 Depth=2
	s_or_b32 exec_lo, exec_lo, s93
	v_add_nc_u32_e32 v14, s92, v46
	s_cmp_lg_u32 s91, s87
	s_wait_dscnt 0x0
	s_cselect_b32 s92, -1, 0
	s_barrier_signal -1
	v_ashrrev_i32_e32 v15, 31, v14
	v_cmp_gt_i32_e32 vcc_lo, s52, v14
	v_cndmask_b32_e64 v3, 0, 1, s92
	s_barrier_wait -1
	s_delay_alu instid0(VALU_DEP_3) | instskip(SKIP_1) | instid1(SALU_CYCLE_1)
	v_lshl_add_u64 v[4:5], v[14:15], 4, v[40:41]
	s_and_b32 s93, vcc_lo, s2
	s_and_saveexec_b32 s91, s93
	s_cbranch_execz .LBB180_467
; %bb.462:                              ;   in Loop: Header=BB180_453 Depth=2
	v_mov_b64_e32 v[16:17], v[6:7]
	s_and_not1_b32 vcc_lo, exec_lo, s92
	s_cbranch_vccnz .LBB180_464
; %bb.463:                              ;   in Loop: Header=BB180_453 Depth=2
	flat_load_b64 v[16:17], v[4:5]
.LBB180_464:                            ;   in Loop: Header=BB180_453 Depth=2
	v_cmp_ne_u32_e32 vcc_lo, 1, v3
	v_mov_b64_e32 v[24:25], v[8:9]
	s_cbranch_vccnz .LBB180_466
; %bb.465:                              ;   in Loop: Header=BB180_453 Depth=2
	flat_load_b64 v[24:25], v[4:5] offset:8
.LBB180_466:                            ;   in Loop: Header=BB180_453 Depth=2
	ds_load_b128 v[208:211], v133
	s_wait_loadcnt_dscnt 0x0
	v_mul_f64_e32 v[44:45], v[24:25], v[210:211]
	v_mul_f64_e32 v[24:25], v[24:25], v[208:209]
	s_delay_alu instid0(VALU_DEP_2) | instskip(NEXT) | instid1(VALU_DEP_2)
	v_fmac_f64_e32 v[44:45], v[16:17], v[208:209]
	v_fma_f64 v[16:17], v[16:17], v[210:211], -v[24:25]
	s_delay_alu instid0(VALU_DEP_2) | instskip(NEXT) | instid1(VALU_DEP_2)
	v_add_f64_e32 v[18:19], v[18:19], v[44:45]
	v_add_f64_e32 v[20:21], v[20:21], v[16:17]
.LBB180_467:                            ;   in Loop: Header=BB180_453 Depth=2
	s_or_b32 exec_lo, exec_lo, s91
	v_add_nc_u32_e32 v14, 16, v14
	s_delay_alu instid0(VALU_DEP_1) | instskip(SKIP_1) | instid1(SALU_CYCLE_1)
	v_cmp_gt_i32_e32 vcc_lo, s52, v14
	s_and_b32 s92, vcc_lo, s2
	s_and_saveexec_b32 s91, s92
	s_cbranch_execz .LBB180_452
; %bb.468:                              ;   in Loop: Header=BB180_453 Depth=2
	v_cmp_ne_u32_e32 vcc_lo, 1, v3
	v_mov_b64_e32 v[14:15], v[10:11]
	s_cbranch_vccnz .LBB180_470
; %bb.469:                              ;   in Loop: Header=BB180_453 Depth=2
	flat_load_b64 v[14:15], v[4:5] offset:256
.LBB180_470:                            ;   in Loop: Header=BB180_453 Depth=2
	v_cmp_ne_u32_e32 vcc_lo, 1, v3
	v_mov_b64_e32 v[16:17], v[12:13]
	s_cbranch_vccnz .LBB180_451
; %bb.471:                              ;   in Loop: Header=BB180_453 Depth=2
	flat_load_b64 v[16:17], v[4:5] offset:264
	s_branch .LBB180_451
.LBB180_472:                            ;   in Loop: Header=BB180_3 Depth=1
	ds_store_b128 v203, v[18:21]
	s_wait_dscnt 0x0
	s_barrier_signal -1
	s_barrier_wait -1
	s_and_saveexec_b32 s50, s4
	s_cbranch_execz .LBB180_474
; %bb.473:                              ;   in Loop: Header=BB180_3 Depth=1
	ds_load_b128 v[14:17], v204 offset:512
	s_wait_dscnt 0x0
	v_add_f64_e32 v[4:5], v[18:19], v[14:15]
	v_add_f64_e32 v[18:19], v[20:21], v[16:17]
	ds_load_b128 v[14:17], v204 offset:1024
	s_wait_dscnt 0x0
	v_add_f64_e32 v[4:5], v[4:5], v[14:15]
	v_add_f64_e32 v[18:19], v[18:19], v[16:17]
	;; [unrolled: 4-line block ×15, first 2 shown]
	s_delay_alu instid0(VALU_DEP_2) | instskip(NEXT) | instid1(VALU_DEP_2)
	v_xor_b32_e32 v3, 0x80000000, v5
	v_xor_b32_e32 v5, 0x80000000, v15
	s_delay_alu instid0(VALU_DEP_4) | instskip(NEXT) | instid1(VALU_DEP_4)
	v_cndmask_b32_e64 v18, v4, 0, s33
	v_cndmask_b32_e64 v20, v14, 0, s33
	s_delay_alu instid0(VALU_DEP_4) | instskip(NEXT) | instid1(VALU_DEP_4)
	v_cndmask_b32_e64 v19, v3, 0, s33
	v_cndmask_b32_e64 v21, v5, 0, s33
.LBB180_474:                            ;   in Loop: Header=BB180_3 Depth=1
	s_or_b32 exec_lo, exec_lo, s50
	s_delay_alu instid0(SALU_CYCLE_1)
	s_and_not1_b32 vcc_lo, exec_lo, s60
	s_cbranch_vccnz .LBB180_483
; %bb.475:                              ;   in Loop: Header=BB180_3 Depth=1
	s_and_saveexec_b32 s50, s4
; %bb.476:                              ;   in Loop: Header=BB180_3 Depth=1
	ds_store_b128 v205, v[18:21]
; %bb.477:                              ;   in Loop: Header=BB180_3 Depth=1
	s_or_b32 exec_lo, exec_lo, s50
	v_mov_b64_e32 v[14:15], 0
	v_mov_b64_e32 v[16:17], 0
	s_wait_dscnt 0x0
	s_barrier_signal -1
	s_barrier_wait -1
	s_and_saveexec_b32 s50, s8
	s_cbranch_execz .LBB180_479
; %bb.478:                              ;   in Loop: Header=BB180_3 Depth=1
	ds_load_b128 v[14:17], v133
	ds_load_b128 v[40:43], v132
	s_wait_dscnt 0x0
	v_mul_f64_e32 v[4:5], v[16:17], v[42:43]
	v_mul_f64_e32 v[24:25], v[14:15], v[42:43]
	s_delay_alu instid0(VALU_DEP_2) | instskip(NEXT) | instid1(VALU_DEP_2)
	v_fma_f64 v[4:5], v[14:15], v[40:41], -v[4:5]
	v_fmac_f64_e32 v[24:25], v[16:17], v[40:41]
	s_delay_alu instid0(VALU_DEP_2) | instskip(NEXT) | instid1(VALU_DEP_2)
	v_add_f64_e32 v[14:15], 0, v[4:5]
	v_add_f64_e32 v[16:17], 0, v[24:25]
.LBB180_479:                            ;   in Loop: Header=BB180_3 Depth=1
	s_or_b32 exec_lo, exec_lo, s50
	s_and_saveexec_b32 s50, s9
	s_cbranch_execz .LBB180_481
; %bb.480:                              ;   in Loop: Header=BB180_3 Depth=1
	ds_load_b128 v[40:43], v133 offset:256
	ds_load_b128 v[208:211], v132 offset:8192
	s_wait_dscnt 0x0
	v_mul_f64_e32 v[4:5], v[42:43], v[210:211]
	v_mul_f64_e32 v[24:25], v[40:41], v[210:211]
	s_delay_alu instid0(VALU_DEP_2) | instskip(NEXT) | instid1(VALU_DEP_2)
	v_fma_f64 v[4:5], v[40:41], v[208:209], -v[4:5]
	v_fmac_f64_e32 v[24:25], v[42:43], v[208:209]
	s_delay_alu instid0(VALU_DEP_2) | instskip(NEXT) | instid1(VALU_DEP_2)
	v_add_f64_e32 v[14:15], v[14:15], v[4:5]
	v_add_f64_e32 v[16:17], v[16:17], v[24:25]
.LBB180_481:                            ;   in Loop: Header=BB180_3 Depth=1
	s_or_b32 exec_lo, exec_lo, s50
	s_mov_b32 s51, 0
	s_mov_b32 s50, 0
	ds_store_b128 v203, v[14:17]
	s_wait_dscnt 0x0
	s_barrier_signal -1
	s_barrier_wait -1
                                        ; implicit-def: $vgpr4_vgpr5
                                        ; implicit-def: $vgpr24_vgpr25
	s_and_saveexec_b32 vcc_lo, s4
	s_cbranch_execz .LBB180_546
; %bb.482:                              ;   in Loop: Header=BB180_3 Depth=1
	ds_load_b128 v[40:43], v204 offset:512
	s_mov_b32 s50, exec_lo
	s_wait_dscnt 0x0
	v_add_f64_e32 v[4:5], v[14:15], v[40:41]
	v_add_f64_e32 v[24:25], v[16:17], v[42:43]
	ds_load_b128 v[14:17], v204 offset:1024
	s_wait_dscnt 0x0
	v_add_f64_e32 v[4:5], v[4:5], v[14:15]
	v_add_f64_e32 v[24:25], v[24:25], v[16:17]
	ds_load_b128 v[14:17], v204 offset:1536
	;; [unrolled: 4-line block ×14, first 2 shown]
	s_wait_dscnt 0x0
	v_add_f64_e32 v[24:25], v[4:5], v[14:15]
	v_add_f64_e32 v[4:5], v[40:41], v[16:17]
	s_or_b32 exec_lo, exec_lo, vcc_lo
	s_delay_alu instid0(SALU_CYCLE_1)
	s_and_b32 vcc_lo, exec_lo, s51
	s_cbranch_vccnz .LBB180_484
	s_branch .LBB180_547
.LBB180_483:                            ;   in Loop: Header=BB180_3 Depth=1
	s_mov_b32 s50, 0
                                        ; implicit-def: $vgpr4_vgpr5
                                        ; implicit-def: $vgpr24_vgpr25
	s_cbranch_execz .LBB180_547
.LBB180_484:                            ;   in Loop: Header=BB180_3 Depth=1
	v_mov_b32_e32 v3, v151
	s_mov_b32 s51, 31
	s_branch .LBB180_486
.LBB180_485:                            ;   in Loop: Header=BB180_486 Depth=2
	s_or_b32 exec_lo, exec_lo, s91
	v_add_nc_u32_e32 v3, 0xfffffc00, v3
	s_add_co_i32 s51, s51, -2
	s_cmp_lg_u32 s90, 0
	s_barrier_signal -1
	s_barrier_wait -1
	s_cbranch_scc0 .LBB180_494
.LBB180_486:                            ;   Parent Loop BB180_3 Depth=1
                                        ; =>  This Inner Loop Header: Depth=2
	s_delay_alu instid0(VALU_DEP_1) | instskip(SKIP_1) | instid1(SALU_CYCLE_1)
	v_cmp_eq_u32_e32 vcc_lo, 0xffffc200, v3
	s_and_b32 s91, s4, vcc_lo
	s_and_saveexec_b32 s90, s91
	s_cbranch_execz .LBB180_488
; %bb.487:                              ;   in Loop: Header=BB180_486 Depth=2
	ds_load_b128 v[14:17], v206
	s_wait_dscnt 0x0
	v_mul_f64_e32 v[4:5], v[20:21], v[16:17]
	v_mul_f64_e32 v[42:43], v[18:19], v[16:17]
	s_delay_alu instid0(VALU_DEP_2) | instskip(NEXT) | instid1(VALU_DEP_2)
	v_fma_f64 v[40:41], v[18:19], v[14:15], -v[4:5]
	v_fmac_f64_e32 v[42:43], v[20:21], v[14:15]
	s_delay_alu instid0(VALU_DEP_2) | instskip(NEXT) | instid1(VALU_DEP_2)
	v_mov_b64_e32 v[18:19], v[40:41]
	v_mov_b64_e32 v[20:21], v[42:43]
	ds_store_b128 v2, v[40:43] offset:25088
.LBB180_488:                            ;   in Loop: Header=BB180_486 Depth=2
	s_or_b32 exec_lo, exec_lo, s90
	v_cmp_gt_u32_e32 vcc_lo, s51, v26
	v_add_nc_u32_e32 v4, v153, v3
	s_wait_dscnt 0x0
	s_barrier_signal -1
	s_barrier_wait -1
	s_and_b32 s91, s4, vcc_lo
	s_delay_alu instid0(SALU_CYCLE_1)
	s_and_saveexec_b32 s90, s91
	s_cbranch_execz .LBB180_490
; %bb.489:                              ;   in Loop: Header=BB180_486 Depth=2
	ds_load_b128 v[14:17], v2 offset:25088
	ds_load_b128 v[40:43], v4 offset:512
	s_wait_dscnt 0x0
	v_mul_f64_e32 v[24:25], v[16:17], v[42:43]
	s_delay_alu instid0(VALU_DEP_1) | instskip(SKIP_1) | instid1(VALU_DEP_2)
	v_fma_f64 v[24:25], v[14:15], v[40:41], -v[24:25]
	v_mul_f64_e32 v[14:15], v[14:15], v[42:43]
	v_add_f64_e32 v[18:19], v[18:19], v[24:25]
	s_delay_alu instid0(VALU_DEP_2) | instskip(NEXT) | instid1(VALU_DEP_1)
	v_fmac_f64_e32 v[14:15], v[16:17], v[40:41]
	v_add_f64_e32 v[20:21], v[20:21], v[14:15]
.LBB180_490:                            ;   in Loop: Header=BB180_486 Depth=2
	s_or_b32 exec_lo, exec_lo, s90
	s_add_co_i32 s90, s51, -1
	s_delay_alu instid0(SALU_CYCLE_1) | instskip(SKIP_3) | instid1(SALU_CYCLE_1)
	v_cmp_eq_u32_e32 vcc_lo, s90, v26
	s_barrier_signal -1
	s_barrier_wait -1
	s_and_b32 s92, s4, vcc_lo
	s_and_saveexec_b32 s91, s92
	s_cbranch_execz .LBB180_492
; %bb.491:                              ;   in Loop: Header=BB180_486 Depth=2
	ds_load_b128 v[14:17], v206
	s_wait_dscnt 0x0
	v_mul_f64_e32 v[24:25], v[20:21], v[16:17]
	v_mul_f64_e32 v[42:43], v[18:19], v[16:17]
	s_delay_alu instid0(VALU_DEP_2) | instskip(NEXT) | instid1(VALU_DEP_2)
	v_fma_f64 v[40:41], v[18:19], v[14:15], -v[24:25]
	v_fmac_f64_e32 v[42:43], v[20:21], v[14:15]
	s_delay_alu instid0(VALU_DEP_2) | instskip(NEXT) | instid1(VALU_DEP_2)
	v_mov_b64_e32 v[18:19], v[40:41]
	v_mov_b64_e32 v[20:21], v[42:43]
	ds_store_b128 v2, v[40:43] offset:25088
.LBB180_492:                            ;   in Loop: Header=BB180_486 Depth=2
	s_or_b32 exec_lo, exec_lo, s91
	v_cmp_gt_u32_e32 vcc_lo, s90, v26
	s_wait_dscnt 0x0
	s_barrier_signal -1
	s_barrier_wait -1
	s_and_b32 s92, s4, vcc_lo
	s_delay_alu instid0(SALU_CYCLE_1)
	s_and_saveexec_b32 s91, s92
	s_cbranch_execz .LBB180_485
; %bb.493:                              ;   in Loop: Header=BB180_486 Depth=2
	ds_load_b128 v[14:17], v2 offset:25088
	ds_load_b128 v[40:43], v4
	s_wait_dscnt 0x0
	v_mul_f64_e32 v[4:5], v[16:17], v[42:43]
	s_delay_alu instid0(VALU_DEP_1) | instskip(SKIP_1) | instid1(VALU_DEP_2)
	v_fma_f64 v[4:5], v[14:15], v[40:41], -v[4:5]
	v_mul_f64_e32 v[14:15], v[14:15], v[42:43]
	v_add_f64_e32 v[18:19], v[18:19], v[4:5]
	s_delay_alu instid0(VALU_DEP_2) | instskip(NEXT) | instid1(VALU_DEP_1)
	v_fmac_f64_e32 v[14:15], v[16:17], v[40:41]
	v_add_f64_e32 v[20:21], v[20:21], v[14:15]
	s_branch .LBB180_485
.LBB180_494:                            ;   in Loop: Header=BB180_3 Depth=1
	s_and_b32 vcc_lo, exec_lo, s58
	s_mov_b32 s51, -1
	s_cbranch_vccnz .LBB180_548
; %bb.495:                              ;   in Loop: Header=BB180_3 Depth=1
	s_and_not1_b32 vcc_lo, exec_lo, s51
	s_cbranch_vccz .LBB180_549
.LBB180_496:                            ;   in Loop: Header=BB180_3 Depth=1
	s_and_saveexec_b32 s51, s50
	s_cbranch_execz .LBB180_498
.LBB180_497:                            ;   in Loop: Header=BB180_3 Depth=1
	v_lshl_add_u64 v[4:5], v[34:35], 4, v[22:23]
	flat_store_b128 v[4:5], v[18:21]
.LBB180_498:                            ;   in Loop: Header=BB180_3 Depth=1
	s_wait_xcnt 0x0
	s_or_b32 exec_lo, exec_lo, s51
	global_wb scope:SCOPE_DEV
	s_wait_storecnt_dscnt 0x0
	global_inv scope:SCOPE_DEV
	s_wait_loadcnt 0x0
	s_barrier_signal -1
	s_barrier_wait -1
	s_and_saveexec_b32 s50, s35
	s_cbranch_execz .LBB180_2
; %bb.499:                              ;   in Loop: Header=BB180_3 Depth=1
	s_lshl_b64 s[90:91], s[38:39], 2
	s_delay_alu instid0(SALU_CYCLE_1)
	s_add_nc_u64 s[90:91], s[54:55], s[90:91]
	global_load_b32 v3, v2, s[90:91]
	s_wait_loadcnt 0x0
	v_add_nc_u32_e32 v3, 1, v3
	global_store_b32 v2, v3, s[90:91]
	s_branch .LBB180_2
.LBB180_500:                            ;   in Loop: Header=BB180_3 Depth=1
	s_mov_b32 s51, exec_lo
	v_readlane_b32 s90, v207, 11
	s_and_b32 s90, s51, s90
	s_delay_alu instid0(SALU_CYCLE_1)
	s_xor_b32 s51, s90, s51
	s_mov_b32 exec_lo, s90
	s_cbranch_execz .LBB180_504
; %bb.501:                              ;   in Loop: Header=BB180_3 Depth=1
	s_mov_b32 s90, exec_lo
	v_readlane_b32 s91, v207, 26
	s_and_b32 s91, s90, s91
	s_delay_alu instid0(SALU_CYCLE_1)
	s_mov_b32 exec_lo, s91
; %bb.502:                              ;   in Loop: Header=BB180_3 Depth=1
	v_dual_mov_b32 v3, v2 :: v_dual_mov_b32 v4, v2
	v_mov_b32_e32 v5, v2
	ds_store_b128 v152, v[2:5]
; %bb.503:                              ;   in Loop: Header=BB180_3 Depth=1
	s_or_b32 exec_lo, exec_lo, s90
.LBB180_504:                            ;   in Loop: Header=BB180_3 Depth=1
	s_and_not1_saveexec_b32 s51, s51
	s_cbranch_execz .LBB180_510
; %bb.505:                              ;   in Loop: Header=BB180_3 Depth=1
	v_lshl_add_u64 v[4:5], v[36:37], 4, v[44:45]
                                        ; implicit-def: $vgpr22_vgpr23
	flat_load_b128 v[18:21], v[4:5]
	s_wait_loadcnt_dscnt 0x0
	v_cmp_ngt_f64_e64 s90, |v[18:19]|, |v[20:21]|
	s_and_saveexec_b32 s91, s90
	s_delay_alu instid0(SALU_CYCLE_1)
	s_xor_b32 s90, exec_lo, s91
	s_cbranch_execz .LBB180_507
; %bb.506:                              ;   in Loop: Header=BB180_3 Depth=1
	v_div_scale_f64 v[4:5], null, -v[20:21], -v[20:21], v[18:19]
	v_div_scale_f64 v[208:209], vcc_lo, v[18:19], -v[20:21], v[18:19]
	s_delay_alu instid0(VALU_DEP_2) | instskip(SKIP_1) | instid1(TRANS32_DEP_1)
	v_rcp_f64_e32 v[22:23], v[4:5]
	v_nop
	v_fma_f64 v[24:25], -v[4:5], v[22:23], 1.0
	s_delay_alu instid0(VALU_DEP_1) | instskip(NEXT) | instid1(VALU_DEP_1)
	v_fmac_f64_e32 v[22:23], v[22:23], v[24:25]
	v_fma_f64 v[24:25], -v[4:5], v[22:23], 1.0
	s_delay_alu instid0(VALU_DEP_1) | instskip(NEXT) | instid1(VALU_DEP_1)
	v_fmac_f64_e32 v[22:23], v[22:23], v[24:25]
	v_mul_f64_e32 v[24:25], v[208:209], v[22:23]
	s_delay_alu instid0(VALU_DEP_1) | instskip(NEXT) | instid1(VALU_DEP_1)
	v_fma_f64 v[4:5], -v[4:5], v[24:25], v[208:209]
	v_div_fmas_f64 v[4:5], v[4:5], v[22:23], v[24:25]
	s_delay_alu instid0(VALU_DEP_1) | instskip(NEXT) | instid1(VALU_DEP_1)
	v_div_fixup_f64 v[4:5], v[4:5], -v[20:21], v[18:19]
	v_fma_f64 v[18:19], v[18:19], v[4:5], -v[20:21]
	s_delay_alu instid0(VALU_DEP_1) | instskip(NEXT) | instid1(VALU_DEP_1)
	v_div_scale_f64 v[20:21], null, v[18:19], v[18:19], 1.0
	v_rcp_f64_e32 v[22:23], v[20:21]
	v_nop
	s_delay_alu instid0(TRANS32_DEP_1) | instskip(NEXT) | instid1(VALU_DEP_1)
	v_fma_f64 v[24:25], -v[20:21], v[22:23], 1.0
	v_fmac_f64_e32 v[22:23], v[22:23], v[24:25]
	s_delay_alu instid0(VALU_DEP_1) | instskip(NEXT) | instid1(VALU_DEP_1)
	v_fma_f64 v[24:25], -v[20:21], v[22:23], 1.0
	v_fmac_f64_e32 v[22:23], v[22:23], v[24:25]
	v_div_scale_f64 v[24:25], vcc_lo, 1.0, v[18:19], 1.0
	s_delay_alu instid0(VALU_DEP_1) | instskip(NEXT) | instid1(VALU_DEP_1)
	v_mul_f64_e32 v[208:209], v[24:25], v[22:23]
	v_fma_f64 v[20:21], -v[20:21], v[208:209], v[24:25]
	s_delay_alu instid0(VALU_DEP_1) | instskip(NEXT) | instid1(VALU_DEP_1)
	v_div_fmas_f64 v[20:21], v[20:21], v[22:23], v[208:209]
	v_div_fixup_f64 v[24:25], v[20:21], v[18:19], 1.0
                                        ; implicit-def: $vgpr18_vgpr19
	s_delay_alu instid0(VALU_DEP_1)
	v_mul_f64_e32 v[22:23], v[4:5], v[24:25]
	v_xor_b32_e32 v25, 0x80000000, v25
.LBB180_507:                            ;   in Loop: Header=BB180_3 Depth=1
	s_and_not1_saveexec_b32 s90, s90
	s_cbranch_execz .LBB180_509
; %bb.508:                              ;   in Loop: Header=BB180_3 Depth=1
	v_div_scale_f64 v[4:5], null, v[18:19], v[18:19], -v[20:21]
	v_div_scale_f64 v[208:209], vcc_lo, -v[20:21], v[18:19], -v[20:21]
	s_delay_alu instid0(VALU_DEP_2) | instskip(SKIP_1) | instid1(TRANS32_DEP_1)
	v_rcp_f64_e32 v[22:23], v[4:5]
	v_nop
	v_fma_f64 v[24:25], -v[4:5], v[22:23], 1.0
	s_delay_alu instid0(VALU_DEP_1) | instskip(NEXT) | instid1(VALU_DEP_1)
	v_fmac_f64_e32 v[22:23], v[22:23], v[24:25]
	v_fma_f64 v[24:25], -v[4:5], v[22:23], 1.0
	s_delay_alu instid0(VALU_DEP_1) | instskip(NEXT) | instid1(VALU_DEP_1)
	v_fmac_f64_e32 v[22:23], v[22:23], v[24:25]
	v_mul_f64_e32 v[24:25], v[208:209], v[22:23]
	s_delay_alu instid0(VALU_DEP_1) | instskip(NEXT) | instid1(VALU_DEP_1)
	v_fma_f64 v[4:5], -v[4:5], v[24:25], v[208:209]
	v_div_fmas_f64 v[4:5], v[4:5], v[22:23], v[24:25]
	s_delay_alu instid0(VALU_DEP_1) | instskip(NEXT) | instid1(VALU_DEP_1)
	v_div_fixup_f64 v[4:5], v[4:5], v[18:19], -v[20:21]
	v_fma_f64 v[18:19], -v[20:21], v[4:5], v[18:19]
	s_delay_alu instid0(VALU_DEP_1) | instskip(NEXT) | instid1(VALU_DEP_1)
	v_div_scale_f64 v[20:21], null, v[18:19], v[18:19], 1.0
	v_rcp_f64_e32 v[22:23], v[20:21]
	v_nop
	s_delay_alu instid0(TRANS32_DEP_1) | instskip(NEXT) | instid1(VALU_DEP_1)
	v_fma_f64 v[24:25], -v[20:21], v[22:23], 1.0
	v_fmac_f64_e32 v[22:23], v[22:23], v[24:25]
	s_delay_alu instid0(VALU_DEP_1) | instskip(NEXT) | instid1(VALU_DEP_1)
	v_fma_f64 v[24:25], -v[20:21], v[22:23], 1.0
	v_fmac_f64_e32 v[22:23], v[22:23], v[24:25]
	v_div_scale_f64 v[24:25], vcc_lo, 1.0, v[18:19], 1.0
	s_delay_alu instid0(VALU_DEP_1) | instskip(NEXT) | instid1(VALU_DEP_1)
	v_mul_f64_e32 v[208:209], v[24:25], v[22:23]
	v_fma_f64 v[20:21], -v[20:21], v[208:209], v[24:25]
	s_delay_alu instid0(VALU_DEP_1) | instskip(NEXT) | instid1(VALU_DEP_1)
	v_div_fmas_f64 v[20:21], v[20:21], v[22:23], v[208:209]
	v_div_fixup_f64 v[22:23], v[20:21], v[18:19], 1.0
	s_delay_alu instid0(VALU_DEP_1)
	v_mul_f64_e64 v[24:25], v[4:5], -v[22:23]
.LBB180_509:                            ;   in Loop: Header=BB180_3 Depth=1
	s_or_b32 exec_lo, exec_lo, s90
	ds_store_b128 v152, v[22:25]
.LBB180_510:                            ;   in Loop: Header=BB180_3 Depth=1
	s_or_b32 exec_lo, exec_lo, s51
	s_and_not1_saveexec_b32 s50, s50
	s_cbranch_execz .LBB180_12
.LBB180_511:                            ;   in Loop: Header=BB180_3 Depth=1
	v_lshl_add_u64 v[4:5], v[36:37], 4, v[44:45]
	flat_load_b128 v[18:21], v[4:5]
	s_wait_loadcnt_dscnt 0x0
	v_xor_b32_e32 v19, 0x80000000, v19
	ds_store_b128 v152, v[18:21]
	s_or_b32 exec_lo, exec_lo, s50
	s_and_saveexec_b32 s50, s9
	s_delay_alu instid0(SALU_CYCLE_1)
	s_xor_b32 s50, exec_lo, s50
	s_cbranch_execz .LBB180_13
.LBB180_512:                            ;   in Loop: Header=BB180_3 Depth=1
	s_mov_b32 s51, exec_lo
	v_readlane_b32 s90, v207, 13
	s_and_b32 s90, s51, s90
	s_delay_alu instid0(SALU_CYCLE_1)
	s_xor_b32 s51, s90, s51
	s_mov_b32 exec_lo, s90
	s_cbranch_execz .LBB180_516
; %bb.513:                              ;   in Loop: Header=BB180_3 Depth=1
	s_mov_b32 s90, exec_lo
	v_readlane_b32 s91, v207, 27
	s_and_b32 s91, s90, s91
	s_delay_alu instid0(SALU_CYCLE_1)
	s_mov_b32 exec_lo, s91
; %bb.514:                              ;   in Loop: Header=BB180_3 Depth=1
	v_dual_mov_b32 v3, v2 :: v_dual_mov_b32 v4, v2
	v_mov_b32_e32 v5, v2
	ds_store_b128 v154, v[2:5]
; %bb.515:                              ;   in Loop: Header=BB180_3 Depth=1
	s_or_b32 exec_lo, exec_lo, s90
.LBB180_516:                            ;   in Loop: Header=BB180_3 Depth=1
	s_and_not1_saveexec_b32 s51, s51
	s_cbranch_execz .LBB180_522
; %bb.517:                              ;   in Loop: Header=BB180_3 Depth=1
	v_lshl_add_u64 v[4:5], v[38:39], 4, v[44:45]
                                        ; implicit-def: $vgpr22_vgpr23
	flat_load_b128 v[18:21], v[4:5]
	s_wait_loadcnt_dscnt 0x0
	v_cmp_ngt_f64_e64 s90, |v[18:19]|, |v[20:21]|
	s_and_saveexec_b32 s91, s90
	s_delay_alu instid0(SALU_CYCLE_1)
	s_xor_b32 s90, exec_lo, s91
	s_cbranch_execz .LBB180_519
; %bb.518:                              ;   in Loop: Header=BB180_3 Depth=1
	v_div_scale_f64 v[4:5], null, -v[20:21], -v[20:21], v[18:19]
	v_div_scale_f64 v[208:209], vcc_lo, v[18:19], -v[20:21], v[18:19]
	s_delay_alu instid0(VALU_DEP_2) | instskip(SKIP_1) | instid1(TRANS32_DEP_1)
	v_rcp_f64_e32 v[22:23], v[4:5]
	v_nop
	v_fma_f64 v[24:25], -v[4:5], v[22:23], 1.0
	s_delay_alu instid0(VALU_DEP_1) | instskip(NEXT) | instid1(VALU_DEP_1)
	v_fmac_f64_e32 v[22:23], v[22:23], v[24:25]
	v_fma_f64 v[24:25], -v[4:5], v[22:23], 1.0
	s_delay_alu instid0(VALU_DEP_1) | instskip(NEXT) | instid1(VALU_DEP_1)
	v_fmac_f64_e32 v[22:23], v[22:23], v[24:25]
	v_mul_f64_e32 v[24:25], v[208:209], v[22:23]
	s_delay_alu instid0(VALU_DEP_1) | instskip(NEXT) | instid1(VALU_DEP_1)
	v_fma_f64 v[4:5], -v[4:5], v[24:25], v[208:209]
	v_div_fmas_f64 v[4:5], v[4:5], v[22:23], v[24:25]
	s_delay_alu instid0(VALU_DEP_1) | instskip(NEXT) | instid1(VALU_DEP_1)
	v_div_fixup_f64 v[4:5], v[4:5], -v[20:21], v[18:19]
	v_fma_f64 v[18:19], v[18:19], v[4:5], -v[20:21]
	s_delay_alu instid0(VALU_DEP_1) | instskip(NEXT) | instid1(VALU_DEP_1)
	v_div_scale_f64 v[20:21], null, v[18:19], v[18:19], 1.0
	v_rcp_f64_e32 v[22:23], v[20:21]
	v_nop
	s_delay_alu instid0(TRANS32_DEP_1) | instskip(NEXT) | instid1(VALU_DEP_1)
	v_fma_f64 v[24:25], -v[20:21], v[22:23], 1.0
	v_fmac_f64_e32 v[22:23], v[22:23], v[24:25]
	s_delay_alu instid0(VALU_DEP_1) | instskip(NEXT) | instid1(VALU_DEP_1)
	v_fma_f64 v[24:25], -v[20:21], v[22:23], 1.0
	v_fmac_f64_e32 v[22:23], v[22:23], v[24:25]
	v_div_scale_f64 v[24:25], vcc_lo, 1.0, v[18:19], 1.0
	s_delay_alu instid0(VALU_DEP_1) | instskip(NEXT) | instid1(VALU_DEP_1)
	v_mul_f64_e32 v[208:209], v[24:25], v[22:23]
	v_fma_f64 v[20:21], -v[20:21], v[208:209], v[24:25]
	s_delay_alu instid0(VALU_DEP_1) | instskip(NEXT) | instid1(VALU_DEP_1)
	v_div_fmas_f64 v[20:21], v[20:21], v[22:23], v[208:209]
	v_div_fixup_f64 v[24:25], v[20:21], v[18:19], 1.0
                                        ; implicit-def: $vgpr18_vgpr19
	s_delay_alu instid0(VALU_DEP_1)
	v_mul_f64_e32 v[22:23], v[4:5], v[24:25]
	v_xor_b32_e32 v25, 0x80000000, v25
.LBB180_519:                            ;   in Loop: Header=BB180_3 Depth=1
	s_and_not1_saveexec_b32 s90, s90
	s_cbranch_execz .LBB180_521
; %bb.520:                              ;   in Loop: Header=BB180_3 Depth=1
	v_div_scale_f64 v[4:5], null, v[18:19], v[18:19], -v[20:21]
	v_div_scale_f64 v[208:209], vcc_lo, -v[20:21], v[18:19], -v[20:21]
	s_delay_alu instid0(VALU_DEP_2) | instskip(SKIP_1) | instid1(TRANS32_DEP_1)
	v_rcp_f64_e32 v[22:23], v[4:5]
	v_nop
	v_fma_f64 v[24:25], -v[4:5], v[22:23], 1.0
	s_delay_alu instid0(VALU_DEP_1) | instskip(NEXT) | instid1(VALU_DEP_1)
	v_fmac_f64_e32 v[22:23], v[22:23], v[24:25]
	v_fma_f64 v[24:25], -v[4:5], v[22:23], 1.0
	s_delay_alu instid0(VALU_DEP_1) | instskip(NEXT) | instid1(VALU_DEP_1)
	v_fmac_f64_e32 v[22:23], v[22:23], v[24:25]
	v_mul_f64_e32 v[24:25], v[208:209], v[22:23]
	s_delay_alu instid0(VALU_DEP_1) | instskip(NEXT) | instid1(VALU_DEP_1)
	v_fma_f64 v[4:5], -v[4:5], v[24:25], v[208:209]
	v_div_fmas_f64 v[4:5], v[4:5], v[22:23], v[24:25]
	s_delay_alu instid0(VALU_DEP_1) | instskip(NEXT) | instid1(VALU_DEP_1)
	v_div_fixup_f64 v[4:5], v[4:5], v[18:19], -v[20:21]
	v_fma_f64 v[18:19], -v[20:21], v[4:5], v[18:19]
	s_delay_alu instid0(VALU_DEP_1) | instskip(NEXT) | instid1(VALU_DEP_1)
	v_div_scale_f64 v[20:21], null, v[18:19], v[18:19], 1.0
	v_rcp_f64_e32 v[22:23], v[20:21]
	v_nop
	s_delay_alu instid0(TRANS32_DEP_1) | instskip(NEXT) | instid1(VALU_DEP_1)
	v_fma_f64 v[24:25], -v[20:21], v[22:23], 1.0
	v_fmac_f64_e32 v[22:23], v[22:23], v[24:25]
	s_delay_alu instid0(VALU_DEP_1) | instskip(NEXT) | instid1(VALU_DEP_1)
	v_fma_f64 v[24:25], -v[20:21], v[22:23], 1.0
	v_fmac_f64_e32 v[22:23], v[22:23], v[24:25]
	v_div_scale_f64 v[24:25], vcc_lo, 1.0, v[18:19], 1.0
	s_delay_alu instid0(VALU_DEP_1) | instskip(NEXT) | instid1(VALU_DEP_1)
	v_mul_f64_e32 v[208:209], v[24:25], v[22:23]
	v_fma_f64 v[20:21], -v[20:21], v[208:209], v[24:25]
	s_delay_alu instid0(VALU_DEP_1) | instskip(NEXT) | instid1(VALU_DEP_1)
	v_div_fmas_f64 v[20:21], v[20:21], v[22:23], v[208:209]
	v_div_fixup_f64 v[22:23], v[20:21], v[18:19], 1.0
	s_delay_alu instid0(VALU_DEP_1)
	v_mul_f64_e64 v[24:25], v[4:5], -v[22:23]
.LBB180_521:                            ;   in Loop: Header=BB180_3 Depth=1
	s_or_b32 exec_lo, exec_lo, s90
	ds_store_b128 v154, v[22:25]
.LBB180_522:                            ;   in Loop: Header=BB180_3 Depth=1
	s_or_b32 exec_lo, exec_lo, s51
	s_and_not1_saveexec_b32 s50, s50
	s_cbranch_execnz .LBB180_14
	s_branch .LBB180_15
.LBB180_523:                            ;   in Loop: Header=BB180_3 Depth=1
	s_mov_b32 s51, exec_lo
	v_readlane_b32 s90, v207, 12
	s_and_b32 s90, s51, s90
	s_delay_alu instid0(SALU_CYCLE_1)
	s_xor_b32 s51, s90, s51
	s_mov_b32 exec_lo, s90
	s_cbranch_execz .LBB180_527
; %bb.524:                              ;   in Loop: Header=BB180_3 Depth=1
	s_mov_b32 s90, exec_lo
	v_readlane_b32 s91, v207, 26
	s_and_b32 s91, s90, s91
	s_delay_alu instid0(SALU_CYCLE_1)
	s_mov_b32 exec_lo, s91
; %bb.525:                              ;   in Loop: Header=BB180_3 Depth=1
	v_dual_mov_b32 v3, v2 :: v_dual_mov_b32 v4, v2
	v_mov_b32_e32 v5, v2
	ds_store_b128 v134, v[2:5]
; %bb.526:                              ;   in Loop: Header=BB180_3 Depth=1
	s_or_b32 exec_lo, exec_lo, s90
.LBB180_527:                            ;   in Loop: Header=BB180_3 Depth=1
	s_and_not1_saveexec_b32 s51, s51
	s_cbranch_execz .LBB180_533
; %bb.528:                              ;   in Loop: Header=BB180_3 Depth=1
	v_lshl_add_u64 v[4:5], v[36:37], 4, v[44:45]
                                        ; implicit-def: $vgpr22_vgpr23
	flat_load_b128 v[18:21], v[4:5]
	s_wait_loadcnt_dscnt 0x0
	v_cmp_ngt_f64_e64 s90, |v[18:19]|, |v[20:21]|
	s_and_saveexec_b32 s91, s90
	s_delay_alu instid0(SALU_CYCLE_1)
	s_xor_b32 s90, exec_lo, s91
	s_cbranch_execz .LBB180_530
; %bb.529:                              ;   in Loop: Header=BB180_3 Depth=1
	v_div_scale_f64 v[4:5], null, -v[20:21], -v[20:21], v[18:19]
	v_div_scale_f64 v[208:209], vcc_lo, v[18:19], -v[20:21], v[18:19]
	s_delay_alu instid0(VALU_DEP_2) | instskip(SKIP_1) | instid1(TRANS32_DEP_1)
	v_rcp_f64_e32 v[22:23], v[4:5]
	v_nop
	v_fma_f64 v[24:25], -v[4:5], v[22:23], 1.0
	s_delay_alu instid0(VALU_DEP_1) | instskip(NEXT) | instid1(VALU_DEP_1)
	v_fmac_f64_e32 v[22:23], v[22:23], v[24:25]
	v_fma_f64 v[24:25], -v[4:5], v[22:23], 1.0
	s_delay_alu instid0(VALU_DEP_1) | instskip(NEXT) | instid1(VALU_DEP_1)
	v_fmac_f64_e32 v[22:23], v[22:23], v[24:25]
	v_mul_f64_e32 v[24:25], v[208:209], v[22:23]
	s_delay_alu instid0(VALU_DEP_1) | instskip(NEXT) | instid1(VALU_DEP_1)
	v_fma_f64 v[4:5], -v[4:5], v[24:25], v[208:209]
	v_div_fmas_f64 v[4:5], v[4:5], v[22:23], v[24:25]
	s_delay_alu instid0(VALU_DEP_1) | instskip(NEXT) | instid1(VALU_DEP_1)
	v_div_fixup_f64 v[4:5], v[4:5], -v[20:21], v[18:19]
	v_fma_f64 v[18:19], v[18:19], v[4:5], -v[20:21]
	s_delay_alu instid0(VALU_DEP_1) | instskip(NEXT) | instid1(VALU_DEP_1)
	v_div_scale_f64 v[20:21], null, v[18:19], v[18:19], 1.0
	v_rcp_f64_e32 v[22:23], v[20:21]
	v_nop
	s_delay_alu instid0(TRANS32_DEP_1) | instskip(NEXT) | instid1(VALU_DEP_1)
	v_fma_f64 v[24:25], -v[20:21], v[22:23], 1.0
	v_fmac_f64_e32 v[22:23], v[22:23], v[24:25]
	s_delay_alu instid0(VALU_DEP_1) | instskip(NEXT) | instid1(VALU_DEP_1)
	v_fma_f64 v[24:25], -v[20:21], v[22:23], 1.0
	v_fmac_f64_e32 v[22:23], v[22:23], v[24:25]
	v_div_scale_f64 v[24:25], vcc_lo, 1.0, v[18:19], 1.0
	s_delay_alu instid0(VALU_DEP_1) | instskip(NEXT) | instid1(VALU_DEP_1)
	v_mul_f64_e32 v[208:209], v[24:25], v[22:23]
	v_fma_f64 v[20:21], -v[20:21], v[208:209], v[24:25]
	s_delay_alu instid0(VALU_DEP_1) | instskip(NEXT) | instid1(VALU_DEP_1)
	v_div_fmas_f64 v[20:21], v[20:21], v[22:23], v[208:209]
	v_div_fixup_f64 v[24:25], v[20:21], v[18:19], 1.0
                                        ; implicit-def: $vgpr18_vgpr19
	s_delay_alu instid0(VALU_DEP_1)
	v_mul_f64_e32 v[22:23], v[4:5], v[24:25]
	v_xor_b32_e32 v25, 0x80000000, v25
.LBB180_530:                            ;   in Loop: Header=BB180_3 Depth=1
	s_and_not1_saveexec_b32 s90, s90
	s_cbranch_execz .LBB180_532
; %bb.531:                              ;   in Loop: Header=BB180_3 Depth=1
	v_div_scale_f64 v[4:5], null, v[18:19], v[18:19], -v[20:21]
	v_div_scale_f64 v[208:209], vcc_lo, -v[20:21], v[18:19], -v[20:21]
	s_delay_alu instid0(VALU_DEP_2) | instskip(SKIP_1) | instid1(TRANS32_DEP_1)
	v_rcp_f64_e32 v[22:23], v[4:5]
	v_nop
	v_fma_f64 v[24:25], -v[4:5], v[22:23], 1.0
	s_delay_alu instid0(VALU_DEP_1) | instskip(NEXT) | instid1(VALU_DEP_1)
	v_fmac_f64_e32 v[22:23], v[22:23], v[24:25]
	v_fma_f64 v[24:25], -v[4:5], v[22:23], 1.0
	s_delay_alu instid0(VALU_DEP_1) | instskip(NEXT) | instid1(VALU_DEP_1)
	v_fmac_f64_e32 v[22:23], v[22:23], v[24:25]
	v_mul_f64_e32 v[24:25], v[208:209], v[22:23]
	s_delay_alu instid0(VALU_DEP_1) | instskip(NEXT) | instid1(VALU_DEP_1)
	v_fma_f64 v[4:5], -v[4:5], v[24:25], v[208:209]
	v_div_fmas_f64 v[4:5], v[4:5], v[22:23], v[24:25]
	s_delay_alu instid0(VALU_DEP_1) | instskip(NEXT) | instid1(VALU_DEP_1)
	v_div_fixup_f64 v[4:5], v[4:5], v[18:19], -v[20:21]
	v_fma_f64 v[18:19], -v[20:21], v[4:5], v[18:19]
	s_delay_alu instid0(VALU_DEP_1) | instskip(NEXT) | instid1(VALU_DEP_1)
	v_div_scale_f64 v[20:21], null, v[18:19], v[18:19], 1.0
	v_rcp_f64_e32 v[22:23], v[20:21]
	v_nop
	s_delay_alu instid0(TRANS32_DEP_1) | instskip(NEXT) | instid1(VALU_DEP_1)
	v_fma_f64 v[24:25], -v[20:21], v[22:23], 1.0
	v_fmac_f64_e32 v[22:23], v[22:23], v[24:25]
	s_delay_alu instid0(VALU_DEP_1) | instskip(NEXT) | instid1(VALU_DEP_1)
	v_fma_f64 v[24:25], -v[20:21], v[22:23], 1.0
	v_fmac_f64_e32 v[22:23], v[22:23], v[24:25]
	v_div_scale_f64 v[24:25], vcc_lo, 1.0, v[18:19], 1.0
	s_delay_alu instid0(VALU_DEP_1) | instskip(NEXT) | instid1(VALU_DEP_1)
	v_mul_f64_e32 v[208:209], v[24:25], v[22:23]
	v_fma_f64 v[20:21], -v[20:21], v[208:209], v[24:25]
	s_delay_alu instid0(VALU_DEP_1) | instskip(NEXT) | instid1(VALU_DEP_1)
	v_div_fmas_f64 v[20:21], v[20:21], v[22:23], v[208:209]
	v_div_fixup_f64 v[22:23], v[20:21], v[18:19], 1.0
	s_delay_alu instid0(VALU_DEP_1)
	v_mul_f64_e64 v[24:25], v[4:5], -v[22:23]
.LBB180_532:                            ;   in Loop: Header=BB180_3 Depth=1
	s_or_b32 exec_lo, exec_lo, s90
	ds_store_b128 v134, v[22:25]
.LBB180_533:                            ;   in Loop: Header=BB180_3 Depth=1
	s_or_b32 exec_lo, exec_lo, s51
	s_and_not1_saveexec_b32 s50, s50
	s_cbranch_execz .LBB180_19
.LBB180_534:                            ;   in Loop: Header=BB180_3 Depth=1
	v_lshl_add_u64 v[4:5], v[36:37], 4, v[44:45]
	flat_load_b128 v[18:21], v[4:5]
	s_wait_loadcnt_dscnt 0x0
	v_xor_b32_e32 v19, 0x80000000, v19
	ds_store_b128 v134, v[18:21]
	s_or_b32 exec_lo, exec_lo, s50
	s_and_saveexec_b32 s50, s89
	s_delay_alu instid0(SALU_CYCLE_1)
	s_xor_b32 s50, exec_lo, s50
	s_cbranch_execz .LBB180_20
.LBB180_535:                            ;   in Loop: Header=BB180_3 Depth=1
	s_mov_b32 s51, exec_lo
	v_readlane_b32 s90, v207, 14
	s_and_b32 s90, s51, s90
	s_delay_alu instid0(SALU_CYCLE_1)
	s_xor_b32 s51, s90, s51
	s_mov_b32 exec_lo, s90
	s_cbranch_execz .LBB180_539
; %bb.536:                              ;   in Loop: Header=BB180_3 Depth=1
	s_mov_b32 s90, exec_lo
	v_readlane_b32 s91, v207, 27
	s_and_b32 s91, s90, s91
	s_delay_alu instid0(SALU_CYCLE_1)
	s_mov_b32 exec_lo, s91
; %bb.537:                              ;   in Loop: Header=BB180_3 Depth=1
	v_dual_mov_b32 v3, v2 :: v_dual_mov_b32 v4, v2
	v_mov_b32_e32 v5, v2
	ds_store_b128 v154, v[2:5]
; %bb.538:                              ;   in Loop: Header=BB180_3 Depth=1
	s_or_b32 exec_lo, exec_lo, s90
                                        ; implicit-def: $vgpr44_vgpr45
.LBB180_539:                            ;   in Loop: Header=BB180_3 Depth=1
	s_and_not1_saveexec_b32 s51, s51
	s_cbranch_execz .LBB180_545
; %bb.540:                              ;   in Loop: Header=BB180_3 Depth=1
	v_lshl_add_u64 v[4:5], v[38:39], 4, v[44:45]
                                        ; implicit-def: $vgpr22_vgpr23
	flat_load_b128 v[18:21], v[4:5]
	s_wait_loadcnt_dscnt 0x0
	v_cmp_ngt_f64_e64 s90, |v[18:19]|, |v[20:21]|
	s_and_saveexec_b32 s91, s90
	s_delay_alu instid0(SALU_CYCLE_1)
	s_xor_b32 s90, exec_lo, s91
	s_cbranch_execz .LBB180_542
; %bb.541:                              ;   in Loop: Header=BB180_3 Depth=1
	v_div_scale_f64 v[4:5], null, -v[20:21], -v[20:21], v[18:19]
	v_div_scale_f64 v[44:45], vcc_lo, v[18:19], -v[20:21], v[18:19]
	s_delay_alu instid0(VALU_DEP_2) | instskip(SKIP_1) | instid1(TRANS32_DEP_1)
	v_rcp_f64_e32 v[22:23], v[4:5]
	v_nop
	v_fma_f64 v[24:25], -v[4:5], v[22:23], 1.0
	s_delay_alu instid0(VALU_DEP_1) | instskip(NEXT) | instid1(VALU_DEP_1)
	v_fmac_f64_e32 v[22:23], v[22:23], v[24:25]
	v_fma_f64 v[24:25], -v[4:5], v[22:23], 1.0
	s_delay_alu instid0(VALU_DEP_1) | instskip(NEXT) | instid1(VALU_DEP_1)
	v_fmac_f64_e32 v[22:23], v[22:23], v[24:25]
	v_mul_f64_e32 v[24:25], v[44:45], v[22:23]
	s_delay_alu instid0(VALU_DEP_1) | instskip(NEXT) | instid1(VALU_DEP_1)
	v_fma_f64 v[4:5], -v[4:5], v[24:25], v[44:45]
	v_div_fmas_f64 v[4:5], v[4:5], v[22:23], v[24:25]
	s_delay_alu instid0(VALU_DEP_1) | instskip(NEXT) | instid1(VALU_DEP_1)
	v_div_fixup_f64 v[4:5], v[4:5], -v[20:21], v[18:19]
	v_fma_f64 v[18:19], v[18:19], v[4:5], -v[20:21]
	s_delay_alu instid0(VALU_DEP_1) | instskip(NEXT) | instid1(VALU_DEP_1)
	v_div_scale_f64 v[20:21], null, v[18:19], v[18:19], 1.0
	v_rcp_f64_e32 v[22:23], v[20:21]
	v_nop
	s_delay_alu instid0(TRANS32_DEP_1) | instskip(NEXT) | instid1(VALU_DEP_1)
	v_fma_f64 v[24:25], -v[20:21], v[22:23], 1.0
	v_fmac_f64_e32 v[22:23], v[22:23], v[24:25]
	s_delay_alu instid0(VALU_DEP_1) | instskip(NEXT) | instid1(VALU_DEP_1)
	v_fma_f64 v[24:25], -v[20:21], v[22:23], 1.0
	v_fmac_f64_e32 v[22:23], v[22:23], v[24:25]
	v_div_scale_f64 v[24:25], vcc_lo, 1.0, v[18:19], 1.0
	s_delay_alu instid0(VALU_DEP_1) | instskip(NEXT) | instid1(VALU_DEP_1)
	v_mul_f64_e32 v[44:45], v[24:25], v[22:23]
	v_fma_f64 v[20:21], -v[20:21], v[44:45], v[24:25]
	s_delay_alu instid0(VALU_DEP_1) | instskip(NEXT) | instid1(VALU_DEP_1)
	v_div_fmas_f64 v[20:21], v[20:21], v[22:23], v[44:45]
	v_div_fixup_f64 v[24:25], v[20:21], v[18:19], 1.0
                                        ; implicit-def: $vgpr18_vgpr19
	s_delay_alu instid0(VALU_DEP_1)
	v_mul_f64_e32 v[22:23], v[4:5], v[24:25]
	v_xor_b32_e32 v25, 0x80000000, v25
.LBB180_542:                            ;   in Loop: Header=BB180_3 Depth=1
	s_and_not1_saveexec_b32 s90, s90
	s_cbranch_execz .LBB180_544
; %bb.543:                              ;   in Loop: Header=BB180_3 Depth=1
	v_div_scale_f64 v[4:5], null, v[18:19], v[18:19], -v[20:21]
	v_div_scale_f64 v[44:45], vcc_lo, -v[20:21], v[18:19], -v[20:21]
	s_delay_alu instid0(VALU_DEP_2) | instskip(SKIP_1) | instid1(TRANS32_DEP_1)
	v_rcp_f64_e32 v[22:23], v[4:5]
	v_nop
	v_fma_f64 v[24:25], -v[4:5], v[22:23], 1.0
	s_delay_alu instid0(VALU_DEP_1) | instskip(NEXT) | instid1(VALU_DEP_1)
	v_fmac_f64_e32 v[22:23], v[22:23], v[24:25]
	v_fma_f64 v[24:25], -v[4:5], v[22:23], 1.0
	s_delay_alu instid0(VALU_DEP_1) | instskip(NEXT) | instid1(VALU_DEP_1)
	v_fmac_f64_e32 v[22:23], v[22:23], v[24:25]
	v_mul_f64_e32 v[24:25], v[44:45], v[22:23]
	s_delay_alu instid0(VALU_DEP_1) | instskip(NEXT) | instid1(VALU_DEP_1)
	v_fma_f64 v[4:5], -v[4:5], v[24:25], v[44:45]
	v_div_fmas_f64 v[4:5], v[4:5], v[22:23], v[24:25]
	s_delay_alu instid0(VALU_DEP_1) | instskip(NEXT) | instid1(VALU_DEP_1)
	v_div_fixup_f64 v[4:5], v[4:5], v[18:19], -v[20:21]
	v_fma_f64 v[18:19], -v[20:21], v[4:5], v[18:19]
	s_delay_alu instid0(VALU_DEP_1) | instskip(NEXT) | instid1(VALU_DEP_1)
	v_div_scale_f64 v[20:21], null, v[18:19], v[18:19], 1.0
	v_rcp_f64_e32 v[22:23], v[20:21]
	v_nop
	s_delay_alu instid0(TRANS32_DEP_1) | instskip(NEXT) | instid1(VALU_DEP_1)
	v_fma_f64 v[24:25], -v[20:21], v[22:23], 1.0
	v_fmac_f64_e32 v[22:23], v[22:23], v[24:25]
	s_delay_alu instid0(VALU_DEP_1) | instskip(NEXT) | instid1(VALU_DEP_1)
	v_fma_f64 v[24:25], -v[20:21], v[22:23], 1.0
	v_fmac_f64_e32 v[22:23], v[22:23], v[24:25]
	v_div_scale_f64 v[24:25], vcc_lo, 1.0, v[18:19], 1.0
	s_delay_alu instid0(VALU_DEP_1) | instskip(NEXT) | instid1(VALU_DEP_1)
	v_mul_f64_e32 v[44:45], v[24:25], v[22:23]
	v_fma_f64 v[20:21], -v[20:21], v[44:45], v[24:25]
	s_delay_alu instid0(VALU_DEP_1) | instskip(NEXT) | instid1(VALU_DEP_1)
	v_div_fmas_f64 v[20:21], v[20:21], v[22:23], v[44:45]
	v_div_fixup_f64 v[22:23], v[20:21], v[18:19], 1.0
	s_delay_alu instid0(VALU_DEP_1)
	v_mul_f64_e64 v[24:25], v[4:5], -v[22:23]
.LBB180_544:                            ;   in Loop: Header=BB180_3 Depth=1
	s_or_b32 exec_lo, exec_lo, s90
	ds_store_b128 v154, v[22:25]
.LBB180_545:                            ;   in Loop: Header=BB180_3 Depth=1
	s_or_b32 exec_lo, exec_lo, s51
                                        ; implicit-def: $vgpr44_vgpr45
	s_and_not1_saveexec_b32 s50, s50
	s_cbranch_execnz .LBB180_21
	s_branch .LBB180_22
.LBB180_546:                            ;   in Loop: Header=BB180_3 Depth=1
	s_or_b32 exec_lo, exec_lo, vcc_lo
	s_delay_alu instid0(SALU_CYCLE_1)
	s_and_b32 vcc_lo, exec_lo, s51
	s_cbranch_vccnz .LBB180_484
.LBB180_547:                            ;   in Loop: Header=BB180_3 Depth=1
	s_delay_alu instid0(VALU_DEP_1) | instskip(NEXT) | instid1(VALU_DEP_3)
	v_mov_b64_e32 v[20:21], v[4:5]
	v_mov_b64_e32 v[18:19], v[24:25]
	s_and_saveexec_b32 s51, s50
	s_cbranch_execnz .LBB180_497
	s_branch .LBB180_498
.LBB180_548:                            ;   in Loop: Header=BB180_3 Depth=1
	s_and_not1_b32 s50, s50, exec_lo
	s_and_b32 s90, s4, exec_lo
	s_delay_alu instid0(SALU_CYCLE_1)
	s_or_b32 s50, s50, s90
	s_cbranch_execnz .LBB180_496
.LBB180_549:                            ;   in Loop: Header=BB180_3 Depth=1
	v_readlane_b32 s51, v207, 10
	s_and_not1_b32 s50, s50, exec_lo
	s_and_b32 s51, s51, exec_lo
	s_delay_alu instid0(SALU_CYCLE_1) | instskip(NEXT) | instid1(SALU_CYCLE_1)
	s_or_b32 s50, s50, s51
	s_and_saveexec_b32 s51, s50
	s_cbranch_execnz .LBB180_497
	s_branch .LBB180_498
.LBB180_550:                            ;   in Loop: Header=BB180_3 Depth=1
	ds_load_b128 v[22:25], v50 offset:16
	ds_load_b128 v[208:211], v57 offset:576
	s_wait_dscnt 0x0
	v_mul_f64_e32 v[4:5], v[24:25], v[210:211]
	s_delay_alu instid0(VALU_DEP_1) | instskip(SKIP_1) | instid1(VALU_DEP_2)
	v_fma_f64 v[4:5], v[22:23], v[208:209], -v[4:5]
	v_mul_f64_e32 v[22:23], v[22:23], v[210:211]
	v_add_f64_e32 v[18:19], v[18:19], v[4:5]
	s_delay_alu instid0(VALU_DEP_2) | instskip(NEXT) | instid1(VALU_DEP_1)
	v_fmac_f64_e32 v[22:23], v[24:25], v[208:209]
	v_add_f64_e32 v[20:21], v[20:21], v[22:23]
	s_or_b32 exec_lo, exec_lo, s51
	s_and_saveexec_b32 s51, s14
	s_cbranch_execz .LBB180_45
.LBB180_551:                            ;   in Loop: Header=BB180_3 Depth=1
	ds_load_b128 v[22:25], v50 offset:32
	ds_load_b128 v[208:211], v56 offset:1088
	s_wait_dscnt 0x0
	v_mul_f64_e32 v[4:5], v[24:25], v[210:211]
	s_delay_alu instid0(VALU_DEP_1) | instskip(SKIP_1) | instid1(VALU_DEP_2)
	v_fma_f64 v[4:5], v[22:23], v[208:209], -v[4:5]
	v_mul_f64_e32 v[22:23], v[22:23], v[210:211]
	v_add_f64_e32 v[18:19], v[18:19], v[4:5]
	s_delay_alu instid0(VALU_DEP_2) | instskip(NEXT) | instid1(VALU_DEP_1)
	v_fmac_f64_e32 v[22:23], v[24:25], v[208:209]
	v_add_f64_e32 v[20:21], v[20:21], v[22:23]
	s_or_b32 exec_lo, exec_lo, s51
	s_and_saveexec_b32 s51, s3
	s_cbranch_execnz .LBB180_46
	s_branch .LBB180_47
.LBB180_552:                            ;   in Loop: Header=BB180_3 Depth=1
	ds_load_b128 v[22:25], v58 offset:16
	ds_load_b128 v[208:211], v64 offset:640
	s_wait_dscnt 0x0
	v_mul_f64_e32 v[4:5], v[24:25], v[210:211]
	s_delay_alu instid0(VALU_DEP_1) | instskip(SKIP_1) | instid1(VALU_DEP_2)
	v_fma_f64 v[4:5], v[22:23], v[208:209], -v[4:5]
	v_mul_f64_e32 v[22:23], v[22:23], v[210:211]
	v_add_f64_e32 v[18:19], v[18:19], v[4:5]
	s_delay_alu instid0(VALU_DEP_2) | instskip(NEXT) | instid1(VALU_DEP_1)
	v_fmac_f64_e32 v[22:23], v[24:25], v[208:209]
	v_add_f64_e32 v[20:21], v[20:21], v[22:23]
	s_or_b32 exec_lo, exec_lo, s51
	s_and_saveexec_b32 s51, s16
	s_cbranch_execz .LBB180_87
.LBB180_553:                            ;   in Loop: Header=BB180_3 Depth=1
	ds_load_b128 v[22:25], v58 offset:32
	ds_load_b128 v[208:211], v64 offset:1152
	s_wait_dscnt 0x0
	v_mul_f64_e32 v[4:5], v[24:25], v[210:211]
	s_delay_alu instid0(VALU_DEP_1) | instskip(SKIP_1) | instid1(VALU_DEP_2)
	v_fma_f64 v[4:5], v[22:23], v[208:209], -v[4:5]
	v_mul_f64_e32 v[22:23], v[22:23], v[210:211]
	v_add_f64_e32 v[18:19], v[18:19], v[4:5]
	s_delay_alu instid0(VALU_DEP_2) | instskip(NEXT) | instid1(VALU_DEP_1)
	v_fmac_f64_e32 v[22:23], v[24:25], v[208:209]
	v_add_f64_e32 v[20:21], v[20:21], v[22:23]
	s_or_b32 exec_lo, exec_lo, s51
	s_and_saveexec_b32 s51, s17
	s_cbranch_execz .LBB180_88
.LBB180_554:                            ;   in Loop: Header=BB180_3 Depth=1
	ds_load_b128 v[22:25], v58 offset:48
	ds_load_b128 v[208:211], v64 offset:1664
	s_wait_dscnt 0x0
	v_mul_f64_e32 v[4:5], v[24:25], v[210:211]
	s_delay_alu instid0(VALU_DEP_1) | instskip(SKIP_1) | instid1(VALU_DEP_2)
	v_fma_f64 v[4:5], v[22:23], v[208:209], -v[4:5]
	v_mul_f64_e32 v[22:23], v[22:23], v[210:211]
	v_add_f64_e32 v[18:19], v[18:19], v[4:5]
	s_delay_alu instid0(VALU_DEP_2) | instskip(NEXT) | instid1(VALU_DEP_1)
	v_fmac_f64_e32 v[22:23], v[24:25], v[208:209]
	v_add_f64_e32 v[20:21], v[20:21], v[22:23]
	s_or_b32 exec_lo, exec_lo, s51
	s_and_saveexec_b32 s51, s18
	s_cbranch_execz .LBB180_89
.LBB180_555:                            ;   in Loop: Header=BB180_3 Depth=1
	ds_load_b128 v[22:25], v58 offset:64
	ds_load_b128 v[208:211], v63 offset:2176
	s_wait_dscnt 0x0
	v_mul_f64_e32 v[4:5], v[24:25], v[210:211]
	s_delay_alu instid0(VALU_DEP_1) | instskip(SKIP_1) | instid1(VALU_DEP_2)
	v_fma_f64 v[4:5], v[22:23], v[208:209], -v[4:5]
	v_mul_f64_e32 v[22:23], v[22:23], v[210:211]
	v_add_f64_e32 v[18:19], v[18:19], v[4:5]
	s_delay_alu instid0(VALU_DEP_2) | instskip(NEXT) | instid1(VALU_DEP_1)
	v_fmac_f64_e32 v[22:23], v[24:25], v[208:209]
	v_add_f64_e32 v[20:21], v[20:21], v[22:23]
	s_or_b32 exec_lo, exec_lo, s51
	s_and_saveexec_b32 s51, s19
	s_cbranch_execz .LBB180_90
.LBB180_556:                            ;   in Loop: Header=BB180_3 Depth=1
	ds_load_b128 v[22:25], v58 offset:80
	ds_load_b128 v[208:211], v64 offset:2688
	s_wait_dscnt 0x0
	v_mul_f64_e32 v[4:5], v[24:25], v[210:211]
	s_delay_alu instid0(VALU_DEP_1) | instskip(SKIP_1) | instid1(VALU_DEP_2)
	v_fma_f64 v[4:5], v[22:23], v[208:209], -v[4:5]
	v_mul_f64_e32 v[22:23], v[22:23], v[210:211]
	v_add_f64_e32 v[18:19], v[18:19], v[4:5]
	s_delay_alu instid0(VALU_DEP_2) | instskip(NEXT) | instid1(VALU_DEP_1)
	v_fmac_f64_e32 v[22:23], v[24:25], v[208:209]
	v_add_f64_e32 v[20:21], v[20:21], v[22:23]
	s_or_b32 exec_lo, exec_lo, s51
	s_and_saveexec_b32 s51, s5
	s_cbranch_execz .LBB180_91
.LBB180_557:                            ;   in Loop: Header=BB180_3 Depth=1
	ds_load_b128 v[22:25], v58 offset:96
	ds_load_b128 v[208:211], v63 offset:3200
	s_wait_dscnt 0x0
	v_mul_f64_e32 v[4:5], v[24:25], v[210:211]
	s_delay_alu instid0(VALU_DEP_1) | instskip(SKIP_1) | instid1(VALU_DEP_2)
	v_fma_f64 v[4:5], v[22:23], v[208:209], -v[4:5]
	v_mul_f64_e32 v[22:23], v[22:23], v[210:211]
	v_add_f64_e32 v[18:19], v[18:19], v[4:5]
	s_delay_alu instid0(VALU_DEP_2) | instskip(NEXT) | instid1(VALU_DEP_1)
	v_fmac_f64_e32 v[22:23], v[24:25], v[208:209]
	v_add_f64_e32 v[20:21], v[20:21], v[22:23]
	s_or_b32 exec_lo, exec_lo, s51
	s_and_saveexec_b32 s51, s14
	s_cbranch_execnz .LBB180_92
	s_branch .LBB180_93
.LBB180_558:                            ;   in Loop: Header=BB180_3 Depth=1
	ds_load_b128 v[22:25], v50 offset:4240
	ds_load_b128 v[208:211], v57 offset:4800
	s_wait_dscnt 0x0
	v_mul_f64_e32 v[4:5], v[24:25], v[210:211]
	s_delay_alu instid0(VALU_DEP_1) | instskip(SKIP_1) | instid1(VALU_DEP_2)
	v_fma_f64 v[4:5], v[22:23], v[208:209], -v[4:5]
	v_mul_f64_e32 v[22:23], v[22:23], v[210:211]
	v_add_f64_e32 v[18:19], v[18:19], v[4:5]
	s_delay_alu instid0(VALU_DEP_2) | instskip(NEXT) | instid1(VALU_DEP_1)
	v_fmac_f64_e32 v[22:23], v[24:25], v[208:209]
	v_add_f64_e32 v[20:21], v[20:21], v[22:23]
	s_or_b32 exec_lo, exec_lo, s51
	s_and_saveexec_b32 s51, s14
	s_cbranch_execz .LBB180_149
.LBB180_559:                            ;   in Loop: Header=BB180_3 Depth=1
	ds_load_b128 v[22:25], v50 offset:4256
	ds_load_b128 v[208:211], v56 offset:5312
	s_wait_dscnt 0x0
	v_mul_f64_e32 v[4:5], v[24:25], v[210:211]
	s_delay_alu instid0(VALU_DEP_1) | instskip(SKIP_1) | instid1(VALU_DEP_2)
	v_fma_f64 v[4:5], v[22:23], v[208:209], -v[4:5]
	v_mul_f64_e32 v[22:23], v[22:23], v[210:211]
	v_add_f64_e32 v[18:19], v[18:19], v[4:5]
	s_delay_alu instid0(VALU_DEP_2) | instskip(NEXT) | instid1(VALU_DEP_1)
	v_fmac_f64_e32 v[22:23], v[24:25], v[208:209]
	v_add_f64_e32 v[20:21], v[20:21], v[22:23]
	s_or_b32 exec_lo, exec_lo, s51
	s_and_saveexec_b32 s51, s3
	s_cbranch_execnz .LBB180_150
	s_branch .LBB180_151
.LBB180_560:                            ;   in Loop: Header=BB180_3 Depth=1
	ds_load_b128 v[22:25], v3 offset:176
	ds_load_b128 v[208:211], v179 offset:5888
	s_wait_dscnt 0x0
	v_mul_f64_e32 v[4:5], v[24:25], v[210:211]
	s_delay_alu instid0(VALU_DEP_1) | instskip(SKIP_1) | instid1(VALU_DEP_2)
	v_fma_f64 v[4:5], v[22:23], v[208:209], -v[4:5]
	v_mul_f64_e32 v[22:23], v[22:23], v[210:211]
	v_add_f64_e32 v[18:19], v[18:19], v[4:5]
	s_delay_alu instid0(VALU_DEP_2) | instskip(NEXT) | instid1(VALU_DEP_1)
	v_fmac_f64_e32 v[22:23], v[24:25], v[208:209]
	v_add_f64_e32 v[20:21], v[20:21], v[22:23]
	s_or_b32 exec_lo, exec_lo, s51
	s_and_saveexec_b32 s51, s6
	s_cbranch_execz .LBB180_211
.LBB180_561:                            ;   in Loop: Header=BB180_3 Depth=1
	ds_load_b128 v[22:25], v3 offset:192
	ds_load_b128 v[208:211], v179 offset:6400
	s_wait_dscnt 0x0
	v_mul_f64_e32 v[4:5], v[24:25], v[210:211]
	s_delay_alu instid0(VALU_DEP_1) | instskip(SKIP_1) | instid1(VALU_DEP_2)
	v_fma_f64 v[4:5], v[22:23], v[208:209], -v[4:5]
	v_mul_f64_e32 v[22:23], v[22:23], v[210:211]
	v_add_f64_e32 v[18:19], v[18:19], v[4:5]
	s_delay_alu instid0(VALU_DEP_2) | instskip(NEXT) | instid1(VALU_DEP_1)
	v_fmac_f64_e32 v[22:23], v[24:25], v[208:209]
	v_add_f64_e32 v[20:21], v[20:21], v[22:23]
	s_or_b32 exec_lo, exec_lo, s51
	s_and_saveexec_b32 s51, s16
	s_cbranch_execz .LBB180_212
.LBB180_562:                            ;   in Loop: Header=BB180_3 Depth=1
	ds_load_b128 v[22:25], v3 offset:208
	ds_load_b128 v[208:211], v179 offset:6912
	s_wait_dscnt 0x0
	v_mul_f64_e32 v[4:5], v[24:25], v[210:211]
	s_delay_alu instid0(VALU_DEP_1) | instskip(SKIP_1) | instid1(VALU_DEP_2)
	v_fma_f64 v[4:5], v[22:23], v[208:209], -v[4:5]
	v_mul_f64_e32 v[22:23], v[22:23], v[210:211]
	v_add_f64_e32 v[18:19], v[18:19], v[4:5]
	s_delay_alu instid0(VALU_DEP_2) | instskip(NEXT) | instid1(VALU_DEP_1)
	v_fmac_f64_e32 v[22:23], v[24:25], v[208:209]
	v_add_f64_e32 v[20:21], v[20:21], v[22:23]
	s_or_b32 exec_lo, exec_lo, s51
	s_and_saveexec_b32 s51, s18
	s_cbranch_execz .LBB180_213
.LBB180_563:                            ;   in Loop: Header=BB180_3 Depth=1
	ds_load_b128 v[22:25], v3 offset:224
	ds_load_b128 v[208:211], v179 offset:7424
	s_wait_dscnt 0x0
	v_mul_f64_e32 v[4:5], v[24:25], v[210:211]
	s_delay_alu instid0(VALU_DEP_1) | instskip(SKIP_1) | instid1(VALU_DEP_2)
	v_fma_f64 v[4:5], v[22:23], v[208:209], -v[4:5]
	v_mul_f64_e32 v[22:23], v[22:23], v[210:211]
	v_add_f64_e32 v[18:19], v[18:19], v[4:5]
	s_delay_alu instid0(VALU_DEP_2) | instskip(NEXT) | instid1(VALU_DEP_1)
	v_fmac_f64_e32 v[22:23], v[24:25], v[208:209]
	v_add_f64_e32 v[20:21], v[20:21], v[22:23]
	s_or_b32 exec_lo, exec_lo, s51
	s_and_saveexec_b32 s51, s5
	s_cbranch_execnz .LBB180_214
	s_branch .LBB180_215
.LBB180_564:                            ;   in Loop: Header=BB180_3 Depth=1
	ds_load_b128 v[22:25], v50 offset:8464
	ds_load_b128 v[208:211], v57 offset:9024
	s_wait_dscnt 0x0
	v_mul_f64_e32 v[4:5], v[24:25], v[210:211]
	s_delay_alu instid0(VALU_DEP_1) | instskip(SKIP_1) | instid1(VALU_DEP_2)
	v_fma_f64 v[4:5], v[22:23], v[208:209], -v[4:5]
	v_mul_f64_e32 v[22:23], v[22:23], v[210:211]
	v_add_f64_e32 v[18:19], v[18:19], v[4:5]
	s_delay_alu instid0(VALU_DEP_2) | instskip(NEXT) | instid1(VALU_DEP_1)
	v_fmac_f64_e32 v[22:23], v[24:25], v[208:209]
	v_add_f64_e32 v[20:21], v[20:21], v[22:23]
	s_or_b32 exec_lo, exec_lo, s51
	s_and_saveexec_b32 s51, s14
	s_cbranch_execz .LBB180_303
.LBB180_565:                            ;   in Loop: Header=BB180_3 Depth=1
	ds_load_b128 v[22:25], v50 offset:8480
	ds_load_b128 v[208:211], v56 offset:9536
	s_wait_dscnt 0x0
	v_mul_f64_e32 v[4:5], v[24:25], v[210:211]
	s_delay_alu instid0(VALU_DEP_1) | instskip(SKIP_1) | instid1(VALU_DEP_2)
	v_fma_f64 v[4:5], v[22:23], v[208:209], -v[4:5]
	v_mul_f64_e32 v[22:23], v[22:23], v[210:211]
	v_add_f64_e32 v[18:19], v[18:19], v[4:5]
	s_delay_alu instid0(VALU_DEP_2) | instskip(NEXT) | instid1(VALU_DEP_1)
	v_fmac_f64_e32 v[22:23], v[24:25], v[208:209]
	v_add_f64_e32 v[20:21], v[20:21], v[22:23]
	s_or_b32 exec_lo, exec_lo, s51
	s_and_saveexec_b32 s51, s3
	s_cbranch_execnz .LBB180_304
	s_branch .LBB180_305
.LBB180_566:                            ;   in Loop: Header=BB180_3 Depth=1
	ds_load_b128 v[22:25], v58 offset:8464
	ds_load_b128 v[208:211], v64 offset:9088
	s_wait_dscnt 0x0
	v_mul_f64_e32 v[4:5], v[24:25], v[210:211]
	s_delay_alu instid0(VALU_DEP_1) | instskip(SKIP_1) | instid1(VALU_DEP_2)
	v_fma_f64 v[4:5], v[22:23], v[208:209], -v[4:5]
	v_mul_f64_e32 v[22:23], v[22:23], v[210:211]
	v_add_f64_e32 v[18:19], v[18:19], v[4:5]
	s_delay_alu instid0(VALU_DEP_2) | instskip(NEXT) | instid1(VALU_DEP_1)
	v_fmac_f64_e32 v[22:23], v[24:25], v[208:209]
	v_add_f64_e32 v[20:21], v[20:21], v[22:23]
	s_or_b32 exec_lo, exec_lo, s51
	s_and_saveexec_b32 s51, s16
	s_cbranch_execz .LBB180_345
.LBB180_567:                            ;   in Loop: Header=BB180_3 Depth=1
	ds_load_b128 v[22:25], v58 offset:8480
	ds_load_b128 v[208:211], v64 offset:9600
	s_wait_dscnt 0x0
	v_mul_f64_e32 v[4:5], v[24:25], v[210:211]
	s_delay_alu instid0(VALU_DEP_1) | instskip(SKIP_1) | instid1(VALU_DEP_2)
	v_fma_f64 v[4:5], v[22:23], v[208:209], -v[4:5]
	v_mul_f64_e32 v[22:23], v[22:23], v[210:211]
	v_add_f64_e32 v[18:19], v[18:19], v[4:5]
	s_delay_alu instid0(VALU_DEP_2) | instskip(NEXT) | instid1(VALU_DEP_1)
	v_fmac_f64_e32 v[22:23], v[24:25], v[208:209]
	v_add_f64_e32 v[20:21], v[20:21], v[22:23]
	s_or_b32 exec_lo, exec_lo, s51
	s_and_saveexec_b32 s51, s17
	s_cbranch_execz .LBB180_346
.LBB180_568:                            ;   in Loop: Header=BB180_3 Depth=1
	ds_load_b128 v[22:25], v58 offset:8496
	ds_load_b128 v[208:211], v64 offset:10112
	s_wait_dscnt 0x0
	v_mul_f64_e32 v[4:5], v[24:25], v[210:211]
	s_delay_alu instid0(VALU_DEP_1) | instskip(SKIP_1) | instid1(VALU_DEP_2)
	v_fma_f64 v[4:5], v[22:23], v[208:209], -v[4:5]
	v_mul_f64_e32 v[22:23], v[22:23], v[210:211]
	v_add_f64_e32 v[18:19], v[18:19], v[4:5]
	s_delay_alu instid0(VALU_DEP_2) | instskip(NEXT) | instid1(VALU_DEP_1)
	v_fmac_f64_e32 v[22:23], v[24:25], v[208:209]
	v_add_f64_e32 v[20:21], v[20:21], v[22:23]
	s_or_b32 exec_lo, exec_lo, s51
	s_and_saveexec_b32 s51, s18
	s_cbranch_execz .LBB180_347
.LBB180_569:                            ;   in Loop: Header=BB180_3 Depth=1
	ds_load_b128 v[22:25], v58 offset:8512
	ds_load_b128 v[208:211], v63 offset:10624
	s_wait_dscnt 0x0
	v_mul_f64_e32 v[4:5], v[24:25], v[210:211]
	s_delay_alu instid0(VALU_DEP_1) | instskip(SKIP_1) | instid1(VALU_DEP_2)
	v_fma_f64 v[4:5], v[22:23], v[208:209], -v[4:5]
	v_mul_f64_e32 v[22:23], v[22:23], v[210:211]
	v_add_f64_e32 v[18:19], v[18:19], v[4:5]
	s_delay_alu instid0(VALU_DEP_2) | instskip(NEXT) | instid1(VALU_DEP_1)
	v_fmac_f64_e32 v[22:23], v[24:25], v[208:209]
	v_add_f64_e32 v[20:21], v[20:21], v[22:23]
	s_or_b32 exec_lo, exec_lo, s51
	s_and_saveexec_b32 s51, s19
	s_cbranch_execz .LBB180_348
.LBB180_570:                            ;   in Loop: Header=BB180_3 Depth=1
	ds_load_b128 v[22:25], v58 offset:8528
	ds_load_b128 v[208:211], v64 offset:11136
	s_wait_dscnt 0x0
	v_mul_f64_e32 v[4:5], v[24:25], v[210:211]
	s_delay_alu instid0(VALU_DEP_1) | instskip(SKIP_1) | instid1(VALU_DEP_2)
	v_fma_f64 v[4:5], v[22:23], v[208:209], -v[4:5]
	v_mul_f64_e32 v[22:23], v[22:23], v[210:211]
	v_add_f64_e32 v[18:19], v[18:19], v[4:5]
	s_delay_alu instid0(VALU_DEP_2) | instskip(NEXT) | instid1(VALU_DEP_1)
	v_fmac_f64_e32 v[22:23], v[24:25], v[208:209]
	v_add_f64_e32 v[20:21], v[20:21], v[22:23]
	s_or_b32 exec_lo, exec_lo, s51
	s_and_saveexec_b32 s51, s5
	s_cbranch_execz .LBB180_349
.LBB180_571:                            ;   in Loop: Header=BB180_3 Depth=1
	ds_load_b128 v[22:25], v58 offset:8544
	ds_load_b128 v[208:211], v63 offset:11648
	s_wait_dscnt 0x0
	v_mul_f64_e32 v[4:5], v[24:25], v[210:211]
	s_delay_alu instid0(VALU_DEP_1) | instskip(SKIP_1) | instid1(VALU_DEP_2)
	v_fma_f64 v[4:5], v[22:23], v[208:209], -v[4:5]
	v_mul_f64_e32 v[22:23], v[22:23], v[210:211]
	v_add_f64_e32 v[18:19], v[18:19], v[4:5]
	s_delay_alu instid0(VALU_DEP_2) | instskip(NEXT) | instid1(VALU_DEP_1)
	v_fmac_f64_e32 v[22:23], v[24:25], v[208:209]
	v_add_f64_e32 v[20:21], v[20:21], v[22:23]
	s_or_b32 exec_lo, exec_lo, s51
	s_and_saveexec_b32 s51, s14
	s_cbranch_execnz .LBB180_350
	s_branch .LBB180_351
.LBB180_572:                            ;   in Loop: Header=BB180_3 Depth=1
	ds_load_b128 v[22:25], v50 offset:12688
	ds_load_b128 v[208:211], v57 offset:13248
	s_wait_dscnt 0x0
	v_mul_f64_e32 v[4:5], v[24:25], v[210:211]
	s_delay_alu instid0(VALU_DEP_1) | instskip(SKIP_1) | instid1(VALU_DEP_2)
	v_fma_f64 v[4:5], v[22:23], v[208:209], -v[4:5]
	v_mul_f64_e32 v[22:23], v[22:23], v[210:211]
	v_add_f64_e32 v[18:19], v[18:19], v[4:5]
	s_delay_alu instid0(VALU_DEP_2) | instskip(NEXT) | instid1(VALU_DEP_1)
	v_fmac_f64_e32 v[22:23], v[24:25], v[208:209]
	v_add_f64_e32 v[20:21], v[20:21], v[22:23]
	s_or_b32 exec_lo, exec_lo, s51
	s_and_saveexec_b32 s51, s14
	s_cbranch_execz .LBB180_407
.LBB180_573:                            ;   in Loop: Header=BB180_3 Depth=1
	ds_load_b128 v[22:25], v50 offset:12704
	ds_load_b128 v[208:211], v56 offset:13760
	s_wait_dscnt 0x0
	v_mul_f64_e32 v[4:5], v[24:25], v[210:211]
	s_delay_alu instid0(VALU_DEP_1) | instskip(SKIP_1) | instid1(VALU_DEP_2)
	v_fma_f64 v[4:5], v[22:23], v[208:209], -v[4:5]
	v_mul_f64_e32 v[22:23], v[22:23], v[210:211]
	v_add_f64_e32 v[18:19], v[18:19], v[4:5]
	s_delay_alu instid0(VALU_DEP_2) | instskip(NEXT) | instid1(VALU_DEP_1)
	v_fmac_f64_e32 v[22:23], v[24:25], v[208:209]
	v_add_f64_e32 v[20:21], v[20:21], v[22:23]
	s_or_b32 exec_lo, exec_lo, s51
	s_and_saveexec_b32 s51, s3
	s_cbranch_execnz .LBB180_408
	s_branch .LBB180_409
.LBB180_574:
	s_endpgm
	.section	.rodata,"a",@progbits
	.p2align	6, 0x0
	.amdhsa_kernel _ZL19rocblas_trsv_deviceILi32ELi16ELb1ELb1ELb1ELb0E19rocblas_complex_numIdEPKS1_PKS3_PKPS1_EviT7_lllT6_T8_lllPii
		.amdhsa_group_segment_fixed_size 25104
		.amdhsa_private_segment_fixed_size 0
		.amdhsa_kernarg_size 352
		.amdhsa_user_sgpr_count 2
		.amdhsa_user_sgpr_dispatch_ptr 0
		.amdhsa_user_sgpr_queue_ptr 0
		.amdhsa_user_sgpr_kernarg_segment_ptr 1
		.amdhsa_user_sgpr_dispatch_id 0
		.amdhsa_user_sgpr_kernarg_preload_length 0
		.amdhsa_user_sgpr_kernarg_preload_offset 0
		.amdhsa_user_sgpr_private_segment_size 0
		.amdhsa_wavefront_size32 1
		.amdhsa_uses_dynamic_stack 0
		.amdhsa_enable_private_segment 0
		.amdhsa_system_sgpr_workgroup_id_x 1
		.amdhsa_system_sgpr_workgroup_id_y 0
		.amdhsa_system_sgpr_workgroup_id_z 1
		.amdhsa_system_sgpr_workgroup_info 0
		.amdhsa_system_vgpr_workitem_id 1
		.amdhsa_next_free_vgpr 212
		.amdhsa_next_free_sgpr 105
		.amdhsa_named_barrier_count 0
		.amdhsa_reserve_vcc 1
		.amdhsa_float_round_mode_32 0
		.amdhsa_float_round_mode_16_64 0
		.amdhsa_float_denorm_mode_32 3
		.amdhsa_float_denorm_mode_16_64 3
		.amdhsa_fp16_overflow 0
		.amdhsa_memory_ordered 1
		.amdhsa_forward_progress 1
		.amdhsa_inst_pref_size 215
		.amdhsa_round_robin_scheduling 0
		.amdhsa_exception_fp_ieee_invalid_op 0
		.amdhsa_exception_fp_denorm_src 0
		.amdhsa_exception_fp_ieee_div_zero 0
		.amdhsa_exception_fp_ieee_overflow 0
		.amdhsa_exception_fp_ieee_underflow 0
		.amdhsa_exception_fp_ieee_inexact 0
		.amdhsa_exception_int_div_zero 0
	.end_amdhsa_kernel
	.section	.text._ZL19rocblas_trsv_deviceILi32ELi16ELb1ELb1ELb1ELb0E19rocblas_complex_numIdEPKS1_PKS3_PKPS1_EviT7_lllT6_T8_lllPii,"axG",@progbits,_ZL19rocblas_trsv_deviceILi32ELi16ELb1ELb1ELb1ELb0E19rocblas_complex_numIdEPKS1_PKS3_PKPS1_EviT7_lllT6_T8_lllPii,comdat
.Lfunc_end180:
	.size	_ZL19rocblas_trsv_deviceILi32ELi16ELb1ELb1ELb1ELb0E19rocblas_complex_numIdEPKS1_PKS3_PKPS1_EviT7_lllT6_T8_lllPii, .Lfunc_end180-_ZL19rocblas_trsv_deviceILi32ELi16ELb1ELb1ELb1ELb0E19rocblas_complex_numIdEPKS1_PKS3_PKPS1_EviT7_lllT6_T8_lllPii
                                        ; -- End function
	.set _ZL19rocblas_trsv_deviceILi32ELi16ELb1ELb1ELb1ELb0E19rocblas_complex_numIdEPKS1_PKS3_PKPS1_EviT7_lllT6_T8_lllPii.num_vgpr, 212
	.set _ZL19rocblas_trsv_deviceILi32ELi16ELb1ELb1ELb1ELb0E19rocblas_complex_numIdEPKS1_PKS3_PKPS1_EviT7_lllT6_T8_lllPii.num_agpr, 0
	.set _ZL19rocblas_trsv_deviceILi32ELi16ELb1ELb1ELb1ELb0E19rocblas_complex_numIdEPKS1_PKS3_PKPS1_EviT7_lllT6_T8_lllPii.numbered_sgpr, 105
	.set _ZL19rocblas_trsv_deviceILi32ELi16ELb1ELb1ELb1ELb0E19rocblas_complex_numIdEPKS1_PKS3_PKPS1_EviT7_lllT6_T8_lllPii.num_named_barrier, 0
	.set _ZL19rocblas_trsv_deviceILi32ELi16ELb1ELb1ELb1ELb0E19rocblas_complex_numIdEPKS1_PKS3_PKPS1_EviT7_lllT6_T8_lllPii.private_seg_size, 0
	.set _ZL19rocblas_trsv_deviceILi32ELi16ELb1ELb1ELb1ELb0E19rocblas_complex_numIdEPKS1_PKS3_PKPS1_EviT7_lllT6_T8_lllPii.uses_vcc, 1
	.set _ZL19rocblas_trsv_deviceILi32ELi16ELb1ELb1ELb1ELb0E19rocblas_complex_numIdEPKS1_PKS3_PKPS1_EviT7_lllT6_T8_lllPii.uses_flat_scratch, 0
	.set _ZL19rocblas_trsv_deviceILi32ELi16ELb1ELb1ELb1ELb0E19rocblas_complex_numIdEPKS1_PKS3_PKPS1_EviT7_lllT6_T8_lllPii.has_dyn_sized_stack, 0
	.set _ZL19rocblas_trsv_deviceILi32ELi16ELb1ELb1ELb1ELb0E19rocblas_complex_numIdEPKS1_PKS3_PKPS1_EviT7_lllT6_T8_lllPii.has_recursion, 0
	.set _ZL19rocblas_trsv_deviceILi32ELi16ELb1ELb1ELb1ELb0E19rocblas_complex_numIdEPKS1_PKS3_PKPS1_EviT7_lllT6_T8_lllPii.has_indirect_call, 0
	.section	.AMDGPU.csdata,"",@progbits
; Kernel info:
; codeLenInByte = 27440
; TotalNumSgprs: 107
; NumVgprs: 212
; ScratchSize: 0
; MemoryBound: 1
; FloatMode: 240
; IeeeMode: 1
; LDSByteSize: 25104 bytes/workgroup (compile time only)
; SGPRBlocks: 0
; VGPRBlocks: 13
; NumSGPRsForWavesPerEU: 107
; NumVGPRsForWavesPerEU: 212
; NamedBarCnt: 0
; Occupancy: 4
; WaveLimiterHint : 1
; COMPUTE_PGM_RSRC2:SCRATCH_EN: 0
; COMPUTE_PGM_RSRC2:USER_SGPR: 2
; COMPUTE_PGM_RSRC2:TRAP_HANDLER: 0
; COMPUTE_PGM_RSRC2:TGID_X_EN: 1
; COMPUTE_PGM_RSRC2:TGID_Y_EN: 0
; COMPUTE_PGM_RSRC2:TGID_Z_EN: 1
; COMPUTE_PGM_RSRC2:TIDIG_COMP_CNT: 1
	.section	.text._ZL19rocblas_trsv_deviceILi32ELi16ELb0ELb0ELb0ELb1E19rocblas_complex_numIdES1_PKPKS1_PKPS1_EviT7_lllT6_T8_lllPii,"axG",@progbits,_ZL19rocblas_trsv_deviceILi32ELi16ELb0ELb0ELb0ELb1E19rocblas_complex_numIdES1_PKPKS1_PKPS1_EviT7_lllT6_T8_lllPii,comdat
	.globl	_ZL19rocblas_trsv_deviceILi32ELi16ELb0ELb0ELb0ELb1E19rocblas_complex_numIdES1_PKPKS1_PKPS1_EviT7_lllT6_T8_lllPii ; -- Begin function _ZL19rocblas_trsv_deviceILi32ELi16ELb0ELb0ELb0ELb1E19rocblas_complex_numIdES1_PKPKS1_PKPS1_EviT7_lllT6_T8_lllPii
	.p2align	8
	.type	_ZL19rocblas_trsv_deviceILi32ELi16ELb0ELb0ELb0ELb1E19rocblas_complex_numIdES1_PKPKS1_PKPS1_EviT7_lllT6_T8_lllPii,@function
_ZL19rocblas_trsv_deviceILi32ELi16ELb0ELb0ELb0ELb1E19rocblas_complex_numIdES1_PKPKS1_PKPS1_EviT7_lllT6_T8_lllPii: ; @_ZL19rocblas_trsv_deviceILi32ELi16ELb0ELb0ELb0ELb1E19rocblas_complex_numIdES1_PKPKS1_PKPS1_EviT7_lllT6_T8_lllPii
; %bb.0:
	s_load_b32 s37, s[0:1], 0x60
	s_bfe_u32 s2, ttmp6, 0x40014
	s_lshr_b32 s3, ttmp7, 16
	s_add_co_i32 s2, s2, 1
	s_bfe_u32 s5, ttmp6, 0x40008
	s_mul_i32 s4, s3, s2
	s_getreg_b32 s2, hwreg(HW_REG_IB_STS2, 6, 4)
	s_add_co_i32 s5, s5, s4
	s_cmp_eq_u32 s2, 0
	s_mov_b32 s39, 0
	s_cselect_b32 s38, s3, s5
	s_wait_kmcnt 0x0
	s_cmp_ge_u32 s38, s37
	s_cbranch_scc1 .LBB181_512
; %bb.1:
	s_clause 0x2
	s_load_b32 s3, s[0:1], 0x74
	s_load_b32 s69, s[0:1], 0x68
	;; [unrolled: 1-line block ×3, first 2 shown]
	s_bfe_u32 s5, ttmp6, 0x4000c
	s_and_b32 s4, ttmp6, 15
	s_add_co_i32 s5, s5, 1
	v_bfe_u32 v22, v0, 10, 10
	s_mul_i32 s5, ttmp9, s5
	v_and_b32_e32 v24, 0x3ff, v0
	s_add_co_i32 s4, s4, s5
	s_cmp_eq_u32 s2, 0
	s_clause 0x1
	s_load_b64 s[58:59], s[0:1], 0x18
	s_load_b128 s[48:51], s[0:1], 0x8
	s_cselect_b32 s68, ttmp9, s4
	v_lshl_add_u32 v12, v22, 5, v24
	v_dual_mov_b32 v2, 0 :: v_dual_lshrrev_b32 v1, 10, v0
	v_and_b32_e32 v3, 1, v0
                                        ; implicit-def: $vgpr76 : SGPR spill to VGPR lane
	s_clause 0x1
	s_load_b64 s[60:61], s[0:1], 0x48
	s_load_b64 s[62:63], s[0:1], 0x58
	v_lshl_add_u32 v63, v22, 4, 0x6000
	s_wait_kmcnt 0x0
	s_and_b32 s4, s3, 0xffff
	s_add_co_i32 s69, s69, -1
	s_add_co_i32 s2, s56, -1
	s_ashr_i32 s57, s56, 31
	s_ashr_i32 s3, s2, 31
	s_lshr_b32 s5, s57, 27
	s_lshr_b32 s3, s3, 27
	s_add_co_i32 s5, s56, s5
	s_add_co_i32 s2, s2, s3
	s_and_not1_b32 s5, s5, 31
	s_sub_co_i32 s23, s69, s68
	s_ashr_i32 s2, s2, 5
	s_sub_co_i32 s29, s56, s5
	s_cmp_eq_u32 s2, s23
	v_bitop3_b32 v13, v0, v1, 0x3ff bitop3:0xa8
	s_cselect_b32 s2, -1, 0
	s_cmp_lg_u32 s29, 0
	v_mov_b32_e32 v27, v2
	s_cselect_b32 s3, -1, 0
	v_cmp_eq_u32_e64 s5, 1, v3
	s_and_b32 s17, s3, s2
	v_cmp_eq_u32_e64 s6, 0, v3
	s_xor_b32 s70, s17, -1
	s_cmp_lg_u32 s68, 0
	s_add_nc_u64 s[2:3], s[58:59], 1
	s_cselect_b32 s71, -1, 0
	s_lshl_b32 s26, s23, 5
	s_delay_alu instid0(SALU_CYCLE_1) | instskip(SKIP_2) | instid1(VALU_DEP_2)
	v_dual_lshrrev_b32 v6, 1, v12 :: v_dual_add_nc_u32 v9, s26, v22
	v_dual_add_nc_u32 v28, s26, v24 :: v_dual_lshlrev_b32 v46, 4, v3
	s_ashr_i32 s27, s26, 31
	v_dual_lshlrev_b32 v1, 9, v6 :: v_dual_add_nc_u32 v4, 32, v9
	s_cmp_gt_i32 s68, 4
	s_mul_u64 s[24:25], s[2:3], s[26:27]
	s_cselect_b32 s3, -1, 0
	s_delay_alu instid0(VALU_DEP_1) | instskip(SKIP_3) | instid1(VALU_DEP_3)
	v_dual_sub_nc_u32 v47, 0, v1 :: v_dual_ashrrev_i32 v5, 31, v4
	v_dual_ashrrev_i32 v29, 31, v28 :: v_dual_sub_nc_u32 v49, v46, v1
	s_and_b32 s72, s3, s70
	v_cmp_gt_u32_e64 s3, 4, v12
	v_mul_u64_e32 v[30:31], s[58:59], v[4:5]
	v_and_b32_e32 v5, 3, v0
	v_lshrrev_b32_e32 v3, 2, v12
	v_lshl_add_u32 v25, v6, 4, 0x4000
	s_and_b32 s73, s5, s3
	v_cmp_gt_u32_e64 s5, 16, v12
	v_dual_lshlrev_b32 v51, 4, v5 :: v_dual_lshlrev_b32 v48, 4, v24
	v_lshlrev_b32_e32 v1, 9, v3
	v_lshl_add_u32 v50, v3, 4, 0x4000
	v_lshrrev_b32_e32 v3, 3, v12
	v_cmp_gt_i32_e32 vcc_lo, s29, v24
	s_and_b32 s74, s6, s3
	v_sub_nc_u32_e32 v52, 0, v1
	v_cmp_ne_u32_e64 s9, 3, v5
	v_cmp_eq_u32_e64 s8, 3, v5
	v_cmp_eq_u32_e64 s10, 1, v5
	;; [unrolled: 1-line block ×3, first 2 shown]
	v_sub_nc_u32_e32 v53, v51, v1
	s_and_b32 s76, s9, s5
	v_cmp_gt_u32_e64 s9, 2, v5
	s_and_b32 s75, s8, s5
	v_cmp_eq_u32_e64 s8, 2, v5
	v_dual_lshlrev_b32 v6, 9, v3 :: v_dual_bitop2_b32 v5, 7, v0 bitop3:0x40
	s_and_b32 s78, s9, s5
	v_cmp_gt_u32_e64 s9, 56, v12
	s_and_b32 s77, s8, s5
	v_cmp_gt_u32_e64 s8, 64, v12
	v_cmp_eq_u32_e64 s14, 7, v5
	v_dual_lshlrev_b32 v55, 4, v5 :: v_dual_sub_nc_u32 v56, 0, v6
	v_writelane_b32 v76, s9, 0
	v_cmp_gt_u32_e64 s9, 40, v12
	s_and_b32 s81, s14, s8
	v_cmp_gt_u32_e64 s14, 6, v5
	v_dual_lshlrev_b32 v1, 5, v12 :: v_dual_sub_nc_u32 v57, v55, v6
	v_writelane_b32 v76, s9, 1
	v_cmp_gt_u32_e64 s9, 24, v12
	s_and_b32 s84, s14, s8
	v_cmp_eq_u32_e64 s14, 4, v5
	v_and_b32_e32 v1, 0xffe00, v1
	v_and_b32_e32 v0, 15, v0
	v_writelane_b32 v76, s9, 2
	v_cmp_gt_u32_e64 s9, 0xf0, v12
	s_and_b32 s87, s14, s8
	v_cmp_gt_u32_e64 s14, 3, v5
	v_sub_nc_u32_e32 v60, 0, v1
	v_cmp_eq_u32_e64 s18, 15, v0
	v_writelane_b32 v76, s9, 3
	v_cmp_gt_u32_e64 s9, 0xe0, v12
	s_and_b32 s90, s14, s8
	v_cmp_eq_u32_e64 s14, 1, v5
	v_cmp_ne_u32_e64 s19, 15, v0
	v_cmp_gt_u32_e64 s20, 14, v0
	v_writelane_b32 v76, s9, 4
	v_cmp_gt_u32_e64 s9, 0xd0, v12
	s_and_b32 s93, s14, s8
	v_cmp_gt_u32_e64 s14, 0x100, v12
	v_cmp_gt_u32_e64 s21, 13, v0
	v_cmp_ne_u32_e64 s15, 7, v5
	v_writelane_b32 v76, s9, 5
	v_cmp_eq_u32_e64 s16, 6, v5
	s_and_b32 s9, s18, s14
	v_cmp_eq_u32_e64 s18, 14, v0
	s_and_b32 s82, s15, s8
	v_writelane_b32 v76, s9, 6
	s_and_b32 s9, s19, s14
	v_cmp_eq_u32_e64 s19, 13, v0
	v_cmp_eq_u32_e64 s15, 5, v5
	s_and_b32 s83, s16, s8
	v_writelane_b32 v76, s9, 7
	s_and_b32 s9, s18, s14
	v_cmp_eq_u32_e64 s18, 12, v0
	v_cmp_gt_u32_e64 s16, 5, v5
	s_and_b32 s80, s11, s5
	v_writelane_b32 v76, s9, 8
	s_and_b32 s9, s20, s14
	v_cmp_eq_u32_e64 s20, 11, v0
	s_and_b32 s85, s15, s8
	v_cmp_gt_u32_e64 s15, 4, v5
	v_writelane_b32 v76, s9, 9
	s_and_b32 s9, s19, s14
	v_cmp_gt_u32_e64 s19, 12, v0
	s_and_b32 s86, s16, s8
	v_cmp_eq_u32_e64 s16, 3, v5
	v_writelane_b32 v76, s9, 10
	s_and_b32 s9, s21, s14
	v_cmp_eq_u32_e64 s21, 10, v0
	s_and_b32 s88, s15, s8
	v_cmp_eq_u32_e64 s15, 2, v5
	v_writelane_b32 v76, s9, 11
	s_and_b32 s9, s18, s14
	v_cmp_gt_u32_e64 s18, 11, v0
	s_and_b32 s89, s16, s8
	v_cmp_gt_u32_e64 s16, 2, v5
	v_writelane_b32 v76, s9, 12
	s_and_b32 s9, s19, s14
	v_cmp_gt_u32_e64 s19, 10, v0
	v_dual_lshlrev_b32 v59, 4, v0 :: v_dual_add_nc_u32 v8, 16, v22
	v_writelane_b32 v76, s9, 13
	s_and_b32 s9, s20, s14
	v_cmp_gt_u32_e64 s20, 9, v0
	s_and_b32 s91, s15, s8
	v_cmp_eq_u32_e64 s15, 0, v5
	v_writelane_b32 v76, s9, 14
	s_and_b32 s9, s18, s14
	v_cmp_eq_u32_e64 s18, 9, v0
	v_cmp_eq_u32_e64 s22, 0, v0
	s_and_b32 s92, s16, s8
	v_writelane_b32 v76, s9, 15
	s_and_b32 s9, s21, s14
	v_cmp_gt_u32_e64 s21, 8, v0
	s_and_b32 s79, s10, s5
	s_and_b32 s94, s15, s8
	v_writelane_b32 v76, s9, 16
	s_and_b32 s9, s19, s14
	v_cmp_eq_u32_e64 s19, 8, v0
	s_and_b32 s15, s22, s14
	v_mad_u32_u24 v26, v22, s4, v24
	v_writelane_b32 v76, s9, 17
	s_and_b32 s9, s18, s14
	v_cmp_eq_u32_e64 s18, 7, v0
	v_lshl_add_u32 v54, v3, 4, 0x4000
	v_and_b32_e32 v3, 0x7ff0, v12
	v_writelane_b32 v76, s9, 18
	s_and_b32 s9, s20, s14
	v_cmp_eq_u32_e64 s20, 6, v0
	v_add_nc_u64_e32 v[6:7], s[26:27], v[26:27]
	v_dual_mov_b32 v23, v2 :: v_dual_add_nc_u32 v58, 0x4000, v3
	v_writelane_b32 v76, s9, 19
	s_and_b32 s9, s19, s14
	v_cmp_gt_u32_e64 s19, 7, v0
	s_and_b32 s13, s20, s14
	v_cmp_gt_u32_e64 s20, 4, v0
	v_writelane_b32 v76, s9, 20
	s_and_b32 s9, s21, s14
	v_cmp_eq_u32_e64 s21, 5, v0
	s_and_b32 s11, s19, s14
	v_cmp_gt_u32_e64 s19, 5, v0
	v_writelane_b32 v76, s9, 21
	s_and_b32 s9, s18, s14
	v_cmp_gt_u32_e64 s18, 6, v0
	s_and_b32 s96, s21, s14
	v_cmp_gt_u32_e64 s21, 3, v0
	s_and_b32 s97, s19, s14
	v_cmp_eq_u32_e64 s19, 3, v0
	s_and_b32 s95, s18, s14
	v_cmp_eq_u32_e64 s18, 4, v0
	s_and_b32 s101, s21, s14
	v_cmp_le_i32_e64 s21, s29, v24
	s_and_b32 s99, s20, s14
	v_cmp_eq_u32_e64 s20, 1, v0
	s_and_b32 s98, s18, s14
	v_cmp_eq_u32_e64 s18, 2, v0
	s_and_b32 s100, s19, s14
	v_cmp_gt_u32_e64 s19, 2, v0
	s_and_b32 vcc_hi, s21, s17
	s_and_b32 s104, s20, s14
	s_and_b32 s102, s18, s14
	v_cmp_eq_u32_e64 s18, 0, v22
	s_xor_b32 s16, vcc_hi, -1
	v_cmp_le_i32_e64 s20, s29, v8
	s_and_b32 s103, s19, s14
	v_cmp_le_i32_e64 s19, s29, v22
	s_and_b32 s16, s18, s16
	s_cmp_gt_i32 s68, 0
	v_sub_nc_u32_e32 v61, v59, v1
	s_cselect_b32 s17, -1, 0
	s_or_b32 s29, s20, s21
	s_and_b32 s20, s18, vcc_lo
	s_lshl_b64 s[64:65], s[24:25], 4
	v_writelane_b32 v76, s20, 22
	v_cmp_gt_u32_e64 s24, 0xc0, v12
	v_dual_add_nc_u32 v3, 48, v9 :: v_dual_add_nc_u32 v27, v63, v48
	v_mov_b32_e32 v9, v2
	v_mul_u64_e32 v[0:1], s[60:61], v[28:29]
	s_delay_alu instid0(VALU_DEP_4)
	v_writelane_b32 v76, s24, 23
	v_cmp_gt_u32_e64 s24, 0xb0, v12
	v_mul_u64_e32 v[32:33], s[60:61], v[6:7]
	v_mul_u64_e32 v[36:37], s[58:59], v[22:23]
	;; [unrolled: 1-line block ×3, first 2 shown]
	s_load_b256 s[40:47], s[0:1], 0x28
	v_writelane_b32 v76, s24, 24
	v_cmp_gt_u32_e64 s24, 0xa0, v12
	v_cmp_gt_i32_e64 s2, s56, v28
	s_or_b32 s27, s19, s21
	v_cmp_gt_i32_e64 s19, s56, v3
	v_cmp_gt_i32_e64 s22, s56, v4
	v_writelane_b32 v76, s24, 25
	v_cmp_gt_u32_e64 s24, 0x90, v12
	v_cmp_le_u32_e64 s20, v8, v24
	v_dual_lshlrev_b32 v34, 4, v24 :: v_dual_bitop2_b32 v3, v8, v24 bitop3:0x54
	s_and_b32 s26, s2, s19
	v_writelane_b32 v76, s24, 26
	v_cmp_gt_u32_e64 s24, 0x80, v12
	v_cmp_le_u32_e64 s19, v22, v24
	v_cmp_gt_u32_e64 s4, 2, v12
	v_cmp_gt_u32_e64 s6, 12, v12
	;; [unrolled: 1-line block ×3, first 2 shown]
	v_writelane_b32 v76, s24, 27
	v_cmp_gt_u32_e64 s24, 0x70, v12
	v_cmp_gt_u32_e64 s10, 48, v12
	;; [unrolled: 1-line block ×3, first 2 shown]
	v_lshl_add_u32 v62, v26, 4, 0x6000
	v_lshl_add_u32 v64, v12, 4, 0x4000
	v_writelane_b32 v76, s24, 28
	v_cmp_gt_u32_e64 s24, 0x60, v12
	v_or_b32_e32 v65, 0x4000, v48
	v_lshl_add_u32 v66, v22, 9, v48
	s_and_b32 s21, s2, s22
	v_lshl_add_u32 v67, v8, 9, v48
	s_or_b32 s22, s29, s20
	v_dual_mov_b32 v35, v2 :: v_dual_add_nc_u32 v68, 0x3c00, v48
	v_subrev_nc_u32_e32 v69, 31, v24
	v_writelane_b32 v76, s24, 29
	v_cmp_gt_u32_e64 s24, 0x50, v12
	v_cmp_eq_u32_e64 s29, 0, v13
	v_cmp_eq_u32_e64 s30, 0, v26
	v_cmp_gt_u32_e64 s31, 32, v26
	v_cmp_le_u32_e64 s33, v24, v22
	v_cmp_le_u32_e64 s34, v24, v8
	v_cmp_gt_u32_e64 s35, 32, v13
	v_cmp_gt_u32_e64 s36, 32, v3
	s_add_co_i32 s23, s23, 1
	s_or_b32 s27, s27, s19
	s_lshl_b64 s[66:67], s[58:59], 8
	s_lshl_b64 s[50:51], s[50:51], 4
	s_wait_kmcnt 0x0
	s_lshl_b64 s[0:1], s[46:47], 4
	s_mov_b32 s53, 0x3ff00000
                                        ; implicit-def: $vgpr6_vgpr7
                                        ; implicit-def: $vgpr10_vgpr11
	v_writelane_b32 v76, s24, 30
	s_branch .LBB181_3
.LBB181_2:                              ;   in Loop: Header=BB181_3 Depth=1
	s_wait_xcnt 0x0
	s_or_b32 exec_lo, exec_lo, s25
	s_add_co_i32 s38, s38, 0x10000
	global_wb scope:SCOPE_DEV
	s_wait_storecnt 0x0
	global_inv scope:SCOPE_DEV
	s_cmp_lt_u32 s38, s37
	s_cbranch_scc0 .LBB181_512
.LBB181_3:                              ; =>This Loop Header: Depth=1
                                        ;     Child Loop BB181_435 Depth 2
                                        ;       Child Loop BB181_437 Depth 3
                                        ;     Child Loop BB181_468 Depth 2
	v_mov_b32_e32 v3, s38
	s_and_not1_b32 vcc_lo, exec_lo, s71
	s_clause 0x1
	global_load_b64 v[4:5], v3, s[48:49] scale_offset
	global_load_b64 v[20:21], v3, s[44:45] scale_offset
	s_wait_loadcnt 0x1
	v_add_nc_u64_e32 v[18:19], s[50:51], v[4:5]
	s_cbranch_vccnz .LBB181_9
; %bb.4:                                ;   in Loop: Header=BB181_3 Depth=1
	s_delay_alu instid0(VALU_DEP_1)
	v_lshl_add_u64 v[4:5], v[30:31], 4, v[18:19]
	v_mov_b64_e32 v[12:13], 0
	v_mov_b64_e32 v[6:7], 0
	;; [unrolled: 1-line block ×3, first 2 shown]
	s_wait_loadcnt 0x0
	v_lshl_add_u64 v[4:5], v[28:29], 4, v[4:5]
	s_barrier_signal -1
	s_barrier_wait -1
	s_wait_xcnt 0x0
	s_and_saveexec_b32 s25, s21
	s_cbranch_execz .LBB181_6
; %bb.5:                                ;   in Loop: Header=BB181_3 Depth=1
	flat_load_b128 v[6:9], v[4:5]
.LBB181_6:                              ;   in Loop: Header=BB181_3 Depth=1
	s_wait_xcnt 0x0
	s_or_b32 exec_lo, exec_lo, s25
	v_mov_b64_e32 v[10:11], 0
	s_wait_loadcnt_dscnt 0x0
	s_barrier_signal -1
	s_barrier_wait -1
	s_and_saveexec_b32 s25, s26
	s_cbranch_execz .LBB181_8
; %bb.7:                                ;   in Loop: Header=BB181_3 Depth=1
	v_add_nc_u64_e32 v[4:5], s[66:67], v[4:5]
	flat_load_b128 v[10:13], v[4:5]
.LBB181_8:                              ;   in Loop: Header=BB181_3 Depth=1
	s_wait_xcnt 0x0
	s_or_b32 exec_lo, exec_lo, s25
.LBB181_9:                              ;   in Loop: Header=BB181_3 Depth=1
	s_delay_alu instid0(VALU_DEP_1) | instskip(SKIP_2) | instid1(VALU_DEP_1)
	v_add_nc_u64_e32 v[4:5], s[64:65], v[18:19]
	s_and_not1_b32 vcc_lo, exec_lo, s70
	s_mov_b32 s25, -1
	v_add_nc_u64_e32 v[40:41], v[4:5], v[34:35]
	s_cbranch_vccnz .LBB181_18
; %bb.10:                               ;   in Loop: Header=BB181_3 Depth=1
	s_mov_b32 s46, 0
	s_wait_xcnt 0x0
	s_and_saveexec_b32 s25, s19
	s_delay_alu instid0(SALU_CYCLE_1)
	s_xor_b32 s25, exec_lo, s25
; %bb.11:                               ;   in Loop: Header=BB181_3 Depth=1
	s_and_b32 s46, s35, exec_lo
; %bb.12:                               ;   in Loop: Header=BB181_3 Depth=1
	s_or_saveexec_b32 s25, s25
	v_mov_b64_e32 v[16:17], 0
	v_mov_b64_e32 v[14:15], 0
	s_xor_b32 exec_lo, exec_lo, s25
	s_cbranch_execnz .LBB181_482
; %bb.13:                               ;   in Loop: Header=BB181_3 Depth=1
	s_or_b32 exec_lo, exec_lo, s25
	s_and_saveexec_b32 s25, s46
	s_cbranch_execnz .LBB181_483
.LBB181_14:                             ;   in Loop: Header=BB181_3 Depth=1
	s_or_b32 exec_lo, exec_lo, s25
	s_and_saveexec_b32 s25, s20
	s_delay_alu instid0(SALU_CYCLE_1)
	s_xor_b32 s25, exec_lo, s25
	s_cbranch_execnz .LBB181_484
.LBB181_15:                             ;   in Loop: Header=BB181_3 Depth=1
	s_and_not1_saveexec_b32 s25, s25
	s_cbranch_execz .LBB181_17
.LBB181_16:                             ;   in Loop: Header=BB181_3 Depth=1
	v_lshl_add_u64 v[4:5], v[38:39], 4, v[40:41]
	flat_load_b128 v[14:17], v[4:5]
	s_wait_loadcnt_dscnt 0x0
	v_xor_b32_e32 v15, 0x80000000, v15
	v_xor_b32_e32 v17, 0x80000000, v17
	ds_store_b128 v67, v[14:17]
.LBB181_17:                             ;   in Loop: Header=BB181_3 Depth=1
	s_or_b32 exec_lo, exec_lo, s25
	s_mov_b32 s25, 0
.LBB181_18:                             ;   in Loop: Header=BB181_3 Depth=1
	s_delay_alu instid0(SALU_CYCLE_1)
	s_and_b32 vcc_lo, exec_lo, s25
	s_cbranch_vccz .LBB181_27
; %bb.19:                               ;   in Loop: Header=BB181_3 Depth=1
	s_mov_b32 s46, 0
	s_wait_xcnt 0x0
	s_and_saveexec_b32 s25, s27
	s_delay_alu instid0(SALU_CYCLE_1)
	s_xor_b32 s25, exec_lo, s25
; %bb.20:                               ;   in Loop: Header=BB181_3 Depth=1
	s_and_b32 s46, s35, exec_lo
; %bb.21:                               ;   in Loop: Header=BB181_3 Depth=1
	s_or_saveexec_b32 s25, s25
	v_mov_b64_e32 v[16:17], 0
	v_mov_b64_e32 v[14:15], 0
	s_xor_b32 exec_lo, exec_lo, s25
	s_cbranch_execnz .LBB181_487
; %bb.22:                               ;   in Loop: Header=BB181_3 Depth=1
	s_or_b32 exec_lo, exec_lo, s25
	s_and_saveexec_b32 s25, s46
	s_cbranch_execnz .LBB181_488
.LBB181_23:                             ;   in Loop: Header=BB181_3 Depth=1
	s_or_b32 exec_lo, exec_lo, s25
	s_and_saveexec_b32 s25, s22
	s_delay_alu instid0(SALU_CYCLE_1)
	s_xor_b32 s25, exec_lo, s25
	s_cbranch_execnz .LBB181_489
.LBB181_24:                             ;   in Loop: Header=BB181_3 Depth=1
	s_and_not1_saveexec_b32 s25, s25
	s_cbranch_execz .LBB181_26
.LBB181_25:                             ;   in Loop: Header=BB181_3 Depth=1
	v_lshl_add_u64 v[4:5], v[38:39], 4, v[40:41]
	flat_load_b128 v[14:17], v[4:5]
	s_wait_loadcnt_dscnt 0x0
	v_xor_b32_e32 v15, 0x80000000, v15
	v_xor_b32_e32 v17, 0x80000000, v17
	ds_store_b128 v67, v[14:17]
.LBB181_26:                             ;   in Loop: Header=BB181_3 Depth=1
	s_or_b32 exec_lo, exec_lo, s25
.LBB181_27:                             ;   in Loop: Header=BB181_3 Depth=1
	s_delay_alu instid0(SALU_CYCLE_1)
	s_and_not1_b32 vcc_lo, exec_lo, s72
	s_wait_loadcnt_dscnt 0x0
	s_barrier_signal -1
	s_barrier_wait -1
	s_cbranch_vccnz .LBB181_429
; %bb.28:                               ;   in Loop: Header=BB181_3 Depth=1
	s_wait_xcnt 0x0
	s_and_saveexec_b32 s25, s29
	s_cbranch_execz .LBB181_30
; %bb.29:                               ;   in Loop: Header=BB181_3 Depth=1
	s_mov_b32 s52, s39
	s_mov_b32 s54, s39
	;; [unrolled: 1-line block ×3, first 2 shown]
	v_mov_b64_e32 v[14:15], s[52:53]
	v_mov_b64_e32 v[16:17], s[54:55]
	ds_store_b128 v2, v[14:17] offset:15840
	ds_store_b128 v2, v[14:17] offset:16368
.LBB181_30:                             ;   in Loop: Header=BB181_3 Depth=1
	s_or_b32 exec_lo, exec_lo, s25
	v_mov_b64_e32 v[14:15], 0
	v_mov_b64_e32 v[16:17], 0
	s_wait_dscnt 0x0
	s_barrier_signal -1
	s_barrier_wait -1
	global_wb scope:SCOPE_DEV
	s_wait_storecnt 0x0
	global_inv scope:SCOPE_DEV
	s_and_saveexec_b32 s46, s3
	s_cbranch_execz .LBB181_34
; %bb.31:                               ;   in Loop: Header=BB181_3 Depth=1
	ds_load_b128 v[14:17], v47 offset:16352
	ds_load_b128 v[40:43], v46 offset:15808
	s_wait_dscnt 0x0
	v_mul_f64_e32 v[4:5], v[16:17], v[42:43]
	v_mul_f64_e32 v[42:43], v[14:15], v[42:43]
	s_delay_alu instid0(VALU_DEP_2) | instskip(NEXT) | instid1(VALU_DEP_2)
	v_fma_f64 v[4:5], v[14:15], v[40:41], -v[4:5]
	v_fmac_f64_e32 v[42:43], v[16:17], v[40:41]
	s_delay_alu instid0(VALU_DEP_2) | instskip(NEXT) | instid1(VALU_DEP_2)
	v_add_f64_e32 v[14:15], 0, v[4:5]
	v_add_f64_e32 v[16:17], 0, v[42:43]
	s_and_saveexec_b32 s25, s4
	s_cbranch_execz .LBB181_33
; %bb.32:                               ;   in Loop: Header=BB181_3 Depth=1
	ds_load_b128 v[40:43], v2 offset:16368
	ds_load_b128 v[70:73], v48 offset:16320
	s_wait_dscnt 0x0
	v_mul_f64_e32 v[4:5], v[42:43], v[72:73]
	v_mul_f64_e32 v[44:45], v[40:41], v[72:73]
	s_delay_alu instid0(VALU_DEP_2) | instskip(NEXT) | instid1(VALU_DEP_2)
	v_fma_f64 v[4:5], v[40:41], v[70:71], -v[4:5]
	v_fmac_f64_e32 v[44:45], v[42:43], v[70:71]
	s_delay_alu instid0(VALU_DEP_2) | instskip(NEXT) | instid1(VALU_DEP_2)
	v_add_f64_e32 v[14:15], v[14:15], v[4:5]
	v_add_f64_e32 v[16:17], v[16:17], v[44:45]
.LBB181_33:                             ;   in Loop: Header=BB181_3 Depth=1
	s_or_b32 exec_lo, exec_lo, s25
.LBB181_34:                             ;   in Loop: Header=BB181_3 Depth=1
	s_delay_alu instid0(SALU_CYCLE_1)
	s_or_b32 exec_lo, exec_lo, s46
	s_and_saveexec_b32 s25, s73
	s_cbranch_execz .LBB181_36
; %bb.35:                               ;   in Loop: Header=BB181_3 Depth=1
	s_delay_alu instid0(VALU_DEP_2) | instskip(NEXT) | instid1(VALU_DEP_2)
	v_xor_b32_e32 v41, 0x80000000, v15
	v_xor_b32_e32 v43, 0x80000000, v17
	s_delay_alu instid0(VALU_DEP_3)
	v_dual_mov_b32 v40, v14 :: v_dual_mov_b32 v42, v16
	ds_store_b128 v25, v[40:43]
.LBB181_36:                             ;   in Loop: Header=BB181_3 Depth=1
	s_or_b32 exec_lo, exec_lo, s25
	s_wait_loadcnt_dscnt 0x0
	s_barrier_signal -1
	s_barrier_wait -1
	s_and_saveexec_b32 s25, s74
	s_cbranch_execz .LBB181_38
; %bb.37:                               ;   in Loop: Header=BB181_3 Depth=1
	ds_load_b128 v[40:43], v25
	ds_load_b128 v[70:73], v2 offset:15296
	s_wait_dscnt 0x0
	v_mul_f64_e32 v[4:5], v[40:41], v[70:71]
	v_mul_f64_e32 v[40:41], v[40:41], v[72:73]
	s_delay_alu instid0(VALU_DEP_2) | instskip(NEXT) | instid1(VALU_DEP_2)
	v_fma_f64 v[4:5], v[42:43], v[72:73], -v[4:5]
	v_fmac_f64_e32 v[40:41], v[42:43], v[70:71]
	s_delay_alu instid0(VALU_DEP_2) | instskip(NEXT) | instid1(VALU_DEP_2)
	v_add_f64_e32 v[14:15], v[14:15], v[4:5]
	v_add_f64_e64 v[16:17], v[16:17], -v[40:41]
.LBB181_38:                             ;   in Loop: Header=BB181_3 Depth=1
	s_or_b32 exec_lo, exec_lo, s25
	s_barrier_signal -1
	s_barrier_wait -1
	s_and_saveexec_b32 s25, s74
	s_cbranch_execz .LBB181_40
; %bb.39:                               ;   in Loop: Header=BB181_3 Depth=1
	s_delay_alu instid0(VALU_DEP_2) | instskip(NEXT) | instid1(VALU_DEP_2)
	v_xor_b32_e32 v41, 0x80000000, v15
	v_xor_b32_e32 v43, 0x80000000, v17
	s_delay_alu instid0(VALU_DEP_3)
	v_dual_mov_b32 v40, v14 :: v_dual_mov_b32 v42, v16
	ds_store_b128 v25, v[40:43]
.LBB181_40:                             ;   in Loop: Header=BB181_3 Depth=1
	s_or_b32 exec_lo, exec_lo, s25
	s_wait_dscnt 0x0
	s_barrier_signal -1
	s_barrier_wait -1
	s_barrier_signal -1
	s_barrier_wait -1
	s_and_saveexec_b32 s25, s3
; %bb.41:                               ;   in Loop: Header=BB181_3 Depth=1
	ds_store_b128 v49, v[14:17] offset:16320
; %bb.42:                               ;   in Loop: Header=BB181_3 Depth=1
	s_or_b32 exec_lo, exec_lo, s25
	s_wait_dscnt 0x0
	s_barrier_signal -1
	s_barrier_wait -1
	s_barrier_signal -1
	s_barrier_wait -1
	s_and_saveexec_b32 s25, s29
	s_cbranch_execz .LBB181_44
; %bb.43:                               ;   in Loop: Header=BB181_3 Depth=1
	s_mov_b32 s52, s39
	s_mov_b32 s54, s39
	;; [unrolled: 1-line block ×3, first 2 shown]
	v_mov_b64_e32 v[14:15], s[52:53]
	v_mov_b64_e32 v[16:17], s[54:55]
	ds_store_b128 v2, v[14:17] offset:14784
	ds_store_b128 v2, v[14:17] offset:15312
.LBB181_44:                             ;   in Loop: Header=BB181_3 Depth=1
	s_or_b32 exec_lo, exec_lo, s25
	v_mov_b64_e32 v[16:17], 0
	v_mov_b64_e32 v[14:15], 0
	s_wait_dscnt 0x0
	s_barrier_signal -1
	s_barrier_wait -1
	global_wb scope:SCOPE_DEV
	s_wait_storecnt 0x0
	global_inv scope:SCOPE_DEV
	s_and_saveexec_b32 s46, s5
	s_cbranch_execz .LBB181_50
; %bb.45:                               ;   in Loop: Header=BB181_3 Depth=1
	ds_load_b128 v[14:17], v52 offset:16320
	ds_load_b128 v[40:43], v51 offset:14720
	s_wait_dscnt 0x0
	v_mul_f64_e32 v[4:5], v[16:17], v[42:43]
	v_mul_f64_e32 v[42:43], v[14:15], v[42:43]
	s_delay_alu instid0(VALU_DEP_2) | instskip(NEXT) | instid1(VALU_DEP_2)
	v_fma_f64 v[4:5], v[14:15], v[40:41], -v[4:5]
	v_fmac_f64_e32 v[42:43], v[16:17], v[40:41]
	s_delay_alu instid0(VALU_DEP_2) | instskip(NEXT) | instid1(VALU_DEP_2)
	v_add_f64_e32 v[14:15], 0, v[4:5]
	v_add_f64_e32 v[16:17], 0, v[42:43]
	s_and_saveexec_b32 s25, s6
	s_cbranch_execnz .LBB181_496
; %bb.46:                               ;   in Loop: Header=BB181_3 Depth=1
	s_or_b32 exec_lo, exec_lo, s25
	s_and_saveexec_b32 s25, s7
	s_cbranch_execnz .LBB181_497
.LBB181_47:                             ;   in Loop: Header=BB181_3 Depth=1
	s_or_b32 exec_lo, exec_lo, s25
	s_and_saveexec_b32 s25, s3
	s_cbranch_execz .LBB181_49
.LBB181_48:                             ;   in Loop: Header=BB181_3 Depth=1
	ds_load_b128 v[40:43], v2 offset:16368
	ds_load_b128 v[70:73], v48 offset:16256
	s_wait_dscnt 0x0
	v_mul_f64_e32 v[4:5], v[42:43], v[72:73]
	v_mul_f64_e32 v[44:45], v[40:41], v[72:73]
	s_delay_alu instid0(VALU_DEP_2) | instskip(NEXT) | instid1(VALU_DEP_2)
	v_fma_f64 v[4:5], v[40:41], v[70:71], -v[4:5]
	v_fmac_f64_e32 v[44:45], v[42:43], v[70:71]
	s_delay_alu instid0(VALU_DEP_2) | instskip(NEXT) | instid1(VALU_DEP_2)
	v_add_f64_e32 v[14:15], v[14:15], v[4:5]
	v_add_f64_e32 v[16:17], v[16:17], v[44:45]
.LBB181_49:                             ;   in Loop: Header=BB181_3 Depth=1
	s_or_b32 exec_lo, exec_lo, s25
.LBB181_50:                             ;   in Loop: Header=BB181_3 Depth=1
	s_delay_alu instid0(SALU_CYCLE_1)
	s_or_b32 exec_lo, exec_lo, s46
	s_and_saveexec_b32 s25, s75
	s_cbranch_execz .LBB181_52
; %bb.51:                               ;   in Loop: Header=BB181_3 Depth=1
	s_delay_alu instid0(VALU_DEP_1) | instskip(NEXT) | instid1(VALU_DEP_3)
	v_xor_b32_e32 v43, 0x80000000, v17
	v_xor_b32_e32 v41, 0x80000000, v15
	s_delay_alu instid0(VALU_DEP_3)
	v_dual_mov_b32 v40, v14 :: v_dual_mov_b32 v42, v16
	ds_store_b128 v50, v[40:43]
.LBB181_52:                             ;   in Loop: Header=BB181_3 Depth=1
	s_or_b32 exec_lo, exec_lo, s25
	s_wait_loadcnt_dscnt 0x0
	s_barrier_signal -1
	s_barrier_wait -1
	s_and_saveexec_b32 s25, s76
	s_cbranch_execz .LBB181_54
; %bb.53:                               ;   in Loop: Header=BB181_3 Depth=1
	ds_load_b128 v[40:43], v50
	ds_load_b128 v[70:73], v51 offset:14208
	s_wait_dscnt 0x0
	v_mul_f64_e32 v[4:5], v[42:43], v[72:73]
	v_mul_f64_e32 v[44:45], v[40:41], v[72:73]
	s_delay_alu instid0(VALU_DEP_2) | instskip(NEXT) | instid1(VALU_DEP_2)
	v_fma_f64 v[4:5], v[40:41], v[70:71], -v[4:5]
	v_fmac_f64_e32 v[44:45], v[42:43], v[70:71]
	s_delay_alu instid0(VALU_DEP_2) | instskip(NEXT) | instid1(VALU_DEP_2)
	v_add_f64_e64 v[14:15], v[14:15], -v[4:5]
	v_add_f64_e64 v[16:17], v[16:17], -v[44:45]
.LBB181_54:                             ;   in Loop: Header=BB181_3 Depth=1
	s_or_b32 exec_lo, exec_lo, s25
	s_barrier_signal -1
	s_barrier_wait -1
	s_and_saveexec_b32 s25, s77
	s_cbranch_execz .LBB181_56
; %bb.55:                               ;   in Loop: Header=BB181_3 Depth=1
	s_delay_alu instid0(VALU_DEP_1) | instskip(NEXT) | instid1(VALU_DEP_3)
	v_xor_b32_e32 v43, 0x80000000, v17
	v_xor_b32_e32 v41, 0x80000000, v15
	s_delay_alu instid0(VALU_DEP_3)
	v_dual_mov_b32 v40, v14 :: v_dual_mov_b32 v42, v16
	ds_store_b128 v50, v[40:43]
.LBB181_56:                             ;   in Loop: Header=BB181_3 Depth=1
	s_or_b32 exec_lo, exec_lo, s25
	s_wait_dscnt 0x0
	s_barrier_signal -1
	s_barrier_wait -1
	s_and_saveexec_b32 s25, s78
	s_cbranch_execz .LBB181_58
; %bb.57:                               ;   in Loop: Header=BB181_3 Depth=1
	ds_load_b128 v[40:43], v50
	ds_load_b128 v[70:73], v51 offset:13696
	s_wait_dscnt 0x0
	v_mul_f64_e32 v[4:5], v[42:43], v[72:73]
	v_mul_f64_e32 v[44:45], v[40:41], v[72:73]
	s_delay_alu instid0(VALU_DEP_2) | instskip(NEXT) | instid1(VALU_DEP_2)
	v_fma_f64 v[4:5], v[40:41], v[70:71], -v[4:5]
	v_fmac_f64_e32 v[44:45], v[42:43], v[70:71]
	s_delay_alu instid0(VALU_DEP_2) | instskip(NEXT) | instid1(VALU_DEP_2)
	v_add_f64_e64 v[14:15], v[14:15], -v[4:5]
	v_add_f64_e64 v[16:17], v[16:17], -v[44:45]
.LBB181_58:                             ;   in Loop: Header=BB181_3 Depth=1
	s_or_b32 exec_lo, exec_lo, s25
	s_barrier_signal -1
	s_barrier_wait -1
	s_and_saveexec_b32 s25, s79
	s_cbranch_execz .LBB181_60
; %bb.59:                               ;   in Loop: Header=BB181_3 Depth=1
	s_delay_alu instid0(VALU_DEP_1) | instskip(NEXT) | instid1(VALU_DEP_3)
	v_xor_b32_e32 v43, 0x80000000, v17
	v_xor_b32_e32 v41, 0x80000000, v15
	s_delay_alu instid0(VALU_DEP_3)
	v_dual_mov_b32 v40, v14 :: v_dual_mov_b32 v42, v16
	ds_store_b128 v50, v[40:43]
.LBB181_60:                             ;   in Loop: Header=BB181_3 Depth=1
	s_or_b32 exec_lo, exec_lo, s25
	s_wait_dscnt 0x0
	;; [unrolled: 32-line block ×3, first 2 shown]
	s_barrier_signal -1
	s_barrier_wait -1
	s_barrier_signal -1
	s_barrier_wait -1
	s_and_saveexec_b32 s25, s5
; %bb.65:                               ;   in Loop: Header=BB181_3 Depth=1
	ds_store_b128 v53, v[14:17] offset:16256
; %bb.66:                               ;   in Loop: Header=BB181_3 Depth=1
	s_or_b32 exec_lo, exec_lo, s25
	s_wait_dscnt 0x0
	s_barrier_signal -1
	s_barrier_wait -1
	s_barrier_signal -1
	s_barrier_wait -1
	s_and_saveexec_b32 s25, s29
	s_cbranch_execz .LBB181_68
; %bb.67:                               ;   in Loop: Header=BB181_3 Depth=1
	s_mov_b32 s52, s39
	s_mov_b32 s54, s39
	;; [unrolled: 1-line block ×3, first 2 shown]
	v_mov_b64_e32 v[14:15], s[52:53]
	v_mov_b64_e32 v[16:17], s[54:55]
	ds_store_b128 v2, v[14:17] offset:13728
	ds_store_b128 v2, v[14:17] offset:14256
.LBB181_68:                             ;   in Loop: Header=BB181_3 Depth=1
	s_or_b32 exec_lo, exec_lo, s25
	v_mov_b64_e32 v[14:15], 0
	v_mov_b64_e32 v[16:17], 0
	s_wait_dscnt 0x0
	s_barrier_signal -1
	s_barrier_wait -1
	global_wb scope:SCOPE_DEV
	s_wait_storecnt 0x0
	global_inv scope:SCOPE_DEV
	s_and_saveexec_b32 s46, s3
	s_cbranch_execz .LBB181_72
; %bb.69:                               ;   in Loop: Header=BB181_3 Depth=1
	ds_load_b128 v[14:17], v47 offset:14240
	ds_load_b128 v[40:43], v46 offset:13696
	s_wait_dscnt 0x0
	v_mul_f64_e32 v[4:5], v[16:17], v[42:43]
	v_mul_f64_e32 v[42:43], v[14:15], v[42:43]
	s_delay_alu instid0(VALU_DEP_2) | instskip(NEXT) | instid1(VALU_DEP_2)
	v_fma_f64 v[4:5], v[14:15], v[40:41], -v[4:5]
	v_fmac_f64_e32 v[42:43], v[16:17], v[40:41]
	s_delay_alu instid0(VALU_DEP_2) | instskip(NEXT) | instid1(VALU_DEP_2)
	v_add_f64_e32 v[14:15], 0, v[4:5]
	v_add_f64_e32 v[16:17], 0, v[42:43]
	s_and_saveexec_b32 s25, s4
	s_cbranch_execz .LBB181_71
; %bb.70:                               ;   in Loop: Header=BB181_3 Depth=1
	ds_load_b128 v[40:43], v2 offset:14256
	ds_load_b128 v[70:73], v48 offset:14208
	s_wait_dscnt 0x0
	v_mul_f64_e32 v[4:5], v[42:43], v[72:73]
	v_mul_f64_e32 v[44:45], v[40:41], v[72:73]
	s_delay_alu instid0(VALU_DEP_2) | instskip(NEXT) | instid1(VALU_DEP_2)
	v_fma_f64 v[4:5], v[40:41], v[70:71], -v[4:5]
	v_fmac_f64_e32 v[44:45], v[42:43], v[70:71]
	s_delay_alu instid0(VALU_DEP_2) | instskip(NEXT) | instid1(VALU_DEP_2)
	v_add_f64_e32 v[14:15], v[14:15], v[4:5]
	v_add_f64_e32 v[16:17], v[16:17], v[44:45]
.LBB181_71:                             ;   in Loop: Header=BB181_3 Depth=1
	s_or_b32 exec_lo, exec_lo, s25
.LBB181_72:                             ;   in Loop: Header=BB181_3 Depth=1
	s_delay_alu instid0(SALU_CYCLE_1)
	s_or_b32 exec_lo, exec_lo, s46
	s_and_saveexec_b32 s25, s73
	s_cbranch_execz .LBB181_74
; %bb.73:                               ;   in Loop: Header=BB181_3 Depth=1
	s_delay_alu instid0(VALU_DEP_2) | instskip(NEXT) | instid1(VALU_DEP_2)
	v_xor_b32_e32 v41, 0x80000000, v15
	v_xor_b32_e32 v43, 0x80000000, v17
	s_delay_alu instid0(VALU_DEP_3)
	v_dual_mov_b32 v40, v14 :: v_dual_mov_b32 v42, v16
	ds_store_b128 v25, v[40:43]
.LBB181_74:                             ;   in Loop: Header=BB181_3 Depth=1
	s_or_b32 exec_lo, exec_lo, s25
	s_wait_loadcnt_dscnt 0x0
	s_barrier_signal -1
	s_barrier_wait -1
	s_and_saveexec_b32 s25, s74
	s_cbranch_execz .LBB181_76
; %bb.75:                               ;   in Loop: Header=BB181_3 Depth=1
	ds_load_b128 v[40:43], v25
	ds_load_b128 v[70:73], v2 offset:13184
	s_wait_dscnt 0x0
	v_mul_f64_e32 v[4:5], v[40:41], v[70:71]
	v_mul_f64_e32 v[40:41], v[40:41], v[72:73]
	s_delay_alu instid0(VALU_DEP_2) | instskip(NEXT) | instid1(VALU_DEP_2)
	v_fma_f64 v[4:5], v[42:43], v[72:73], -v[4:5]
	v_fmac_f64_e32 v[40:41], v[42:43], v[70:71]
	s_delay_alu instid0(VALU_DEP_2) | instskip(NEXT) | instid1(VALU_DEP_2)
	v_add_f64_e32 v[14:15], v[14:15], v[4:5]
	v_add_f64_e64 v[16:17], v[16:17], -v[40:41]
.LBB181_76:                             ;   in Loop: Header=BB181_3 Depth=1
	s_or_b32 exec_lo, exec_lo, s25
	s_barrier_signal -1
	s_barrier_wait -1
	s_and_saveexec_b32 s25, s74
	s_cbranch_execz .LBB181_78
; %bb.77:                               ;   in Loop: Header=BB181_3 Depth=1
	s_delay_alu instid0(VALU_DEP_2) | instskip(NEXT) | instid1(VALU_DEP_2)
	v_xor_b32_e32 v41, 0x80000000, v15
	v_xor_b32_e32 v43, 0x80000000, v17
	s_delay_alu instid0(VALU_DEP_3)
	v_dual_mov_b32 v40, v14 :: v_dual_mov_b32 v42, v16
	ds_store_b128 v25, v[40:43]
.LBB181_78:                             ;   in Loop: Header=BB181_3 Depth=1
	s_or_b32 exec_lo, exec_lo, s25
	s_wait_dscnt 0x0
	s_barrier_signal -1
	s_barrier_wait -1
	s_barrier_signal -1
	s_barrier_wait -1
	s_and_saveexec_b32 s25, s3
; %bb.79:                               ;   in Loop: Header=BB181_3 Depth=1
	ds_store_b128 v49, v[14:17] offset:14208
; %bb.80:                               ;   in Loop: Header=BB181_3 Depth=1
	s_or_b32 exec_lo, exec_lo, s25
	s_wait_dscnt 0x0
	s_barrier_signal -1
	s_barrier_wait -1
	s_barrier_signal -1
	s_barrier_wait -1
	s_and_saveexec_b32 s25, s29
	s_cbranch_execz .LBB181_82
; %bb.81:                               ;   in Loop: Header=BB181_3 Depth=1
	s_mov_b32 s52, s39
	s_mov_b32 s54, s39
	;; [unrolled: 1-line block ×3, first 2 shown]
	v_mov_b64_e32 v[14:15], s[52:53]
	v_mov_b64_e32 v[16:17], s[54:55]
	ds_store_b128 v2, v[14:17] offset:12672
	ds_store_b128 v2, v[14:17] offset:13200
.LBB181_82:                             ;   in Loop: Header=BB181_3 Depth=1
	s_or_b32 exec_lo, exec_lo, s25
	v_mov_b64_e32 v[16:17], 0
	v_mov_b64_e32 v[14:15], 0
	s_wait_dscnt 0x0
	s_barrier_signal -1
	s_barrier_wait -1
	global_wb scope:SCOPE_DEV
	s_wait_storecnt 0x0
	global_inv scope:SCOPE_DEV
	s_and_saveexec_b32 s46, s8
	s_cbranch_execz .LBB181_96
; %bb.83:                               ;   in Loop: Header=BB181_3 Depth=1
	ds_load_b128 v[14:17], v56 offset:16256
	ds_load_b128 v[40:43], v55 offset:12544
	v_readlane_b32 s24, v76, 0
	s_wait_dscnt 0x0
	v_mul_f64_e32 v[4:5], v[16:17], v[42:43]
	v_mul_f64_e32 v[42:43], v[14:15], v[42:43]
	s_delay_alu instid0(VALU_DEP_2) | instskip(NEXT) | instid1(VALU_DEP_2)
	v_fma_f64 v[4:5], v[14:15], v[40:41], -v[4:5]
	v_fmac_f64_e32 v[42:43], v[16:17], v[40:41]
	s_delay_alu instid0(VALU_DEP_2) | instskip(NEXT) | instid1(VALU_DEP_2)
	v_add_f64_e32 v[14:15], 0, v[4:5]
	v_add_f64_e32 v[16:17], 0, v[42:43]
	s_and_saveexec_b32 s25, s24
	s_cbranch_execz .LBB181_85
; %bb.84:                               ;   in Loop: Header=BB181_3 Depth=1
	ds_load_b128 v[40:43], v56 offset:16272
	ds_load_b128 v[70:73], v55 offset:13056
	s_wait_dscnt 0x0
	v_mul_f64_e32 v[4:5], v[42:43], v[72:73]
	v_mul_f64_e32 v[44:45], v[40:41], v[72:73]
	s_delay_alu instid0(VALU_DEP_2) | instskip(NEXT) | instid1(VALU_DEP_2)
	v_fma_f64 v[4:5], v[40:41], v[70:71], -v[4:5]
	v_fmac_f64_e32 v[44:45], v[42:43], v[70:71]
	s_delay_alu instid0(VALU_DEP_2) | instskip(NEXT) | instid1(VALU_DEP_2)
	v_add_f64_e32 v[14:15], v[14:15], v[4:5]
	v_add_f64_e32 v[16:17], v[16:17], v[44:45]
.LBB181_85:                             ;   in Loop: Header=BB181_3 Depth=1
	s_or_b32 exec_lo, exec_lo, s25
	s_and_saveexec_b32 s25, s10
	s_cbranch_execz .LBB181_87
; %bb.86:                               ;   in Loop: Header=BB181_3 Depth=1
	ds_load_b128 v[40:43], v56 offset:16288
	ds_load_b128 v[70:73], v55 offset:13568
	s_wait_dscnt 0x0
	v_mul_f64_e32 v[4:5], v[42:43], v[72:73]
	v_mul_f64_e32 v[44:45], v[40:41], v[72:73]
	s_delay_alu instid0(VALU_DEP_2) | instskip(NEXT) | instid1(VALU_DEP_2)
	v_fma_f64 v[4:5], v[40:41], v[70:71], -v[4:5]
	v_fmac_f64_e32 v[44:45], v[42:43], v[70:71]
	s_delay_alu instid0(VALU_DEP_2) | instskip(NEXT) | instid1(VALU_DEP_2)
	v_add_f64_e32 v[14:15], v[14:15], v[4:5]
	v_add_f64_e32 v[16:17], v[16:17], v[44:45]
.LBB181_87:                             ;   in Loop: Header=BB181_3 Depth=1
	s_or_b32 exec_lo, exec_lo, s25
	v_readlane_b32 s24, v76, 1
	s_and_saveexec_b32 s25, s24
	s_cbranch_execz .LBB181_89
; %bb.88:                               ;   in Loop: Header=BB181_3 Depth=1
	ds_load_b128 v[40:43], v56 offset:16304
	ds_load_b128 v[70:73], v55 offset:14080
	s_wait_dscnt 0x0
	v_mul_f64_e32 v[4:5], v[42:43], v[72:73]
	v_mul_f64_e32 v[44:45], v[40:41], v[72:73]
	s_delay_alu instid0(VALU_DEP_2) | instskip(NEXT) | instid1(VALU_DEP_2)
	v_fma_f64 v[4:5], v[40:41], v[70:71], -v[4:5]
	v_fmac_f64_e32 v[44:45], v[42:43], v[70:71]
	s_delay_alu instid0(VALU_DEP_2) | instskip(NEXT) | instid1(VALU_DEP_2)
	v_add_f64_e32 v[14:15], v[14:15], v[4:5]
	v_add_f64_e32 v[16:17], v[16:17], v[44:45]
.LBB181_89:                             ;   in Loop: Header=BB181_3 Depth=1
	s_or_b32 exec_lo, exec_lo, s25
	s_and_saveexec_b32 s25, s12
	s_cbranch_execz .LBB181_91
; %bb.90:                               ;   in Loop: Header=BB181_3 Depth=1
	ds_load_b128 v[40:43], v56 offset:16320
	ds_load_b128 v[70:73], v55 offset:14592
	s_wait_dscnt 0x0
	v_mul_f64_e32 v[4:5], v[42:43], v[72:73]
	v_mul_f64_e32 v[44:45], v[40:41], v[72:73]
	s_delay_alu instid0(VALU_DEP_2) | instskip(NEXT) | instid1(VALU_DEP_2)
	v_fma_f64 v[4:5], v[40:41], v[70:71], -v[4:5]
	v_fmac_f64_e32 v[44:45], v[42:43], v[70:71]
	s_delay_alu instid0(VALU_DEP_2) | instskip(NEXT) | instid1(VALU_DEP_2)
	v_add_f64_e32 v[14:15], v[14:15], v[4:5]
	v_add_f64_e32 v[16:17], v[16:17], v[44:45]
.LBB181_91:                             ;   in Loop: Header=BB181_3 Depth=1
	s_or_b32 exec_lo, exec_lo, s25
	v_readlane_b32 s24, v76, 2
	s_and_saveexec_b32 s25, s24
	s_cbranch_execnz .LBB181_498
; %bb.92:                               ;   in Loop: Header=BB181_3 Depth=1
	s_or_b32 exec_lo, exec_lo, s25
	s_and_saveexec_b32 s25, s5
	s_cbranch_execnz .LBB181_499
.LBB181_93:                             ;   in Loop: Header=BB181_3 Depth=1
	s_or_b32 exec_lo, exec_lo, s25
	s_and_saveexec_b32 s25, s7
	s_cbranch_execz .LBB181_95
.LBB181_94:                             ;   in Loop: Header=BB181_3 Depth=1
	ds_load_b128 v[40:43], v2 offset:16368
	ds_load_b128 v[70:73], v48 offset:16128
	s_wait_dscnt 0x0
	v_mul_f64_e32 v[4:5], v[42:43], v[72:73]
	v_mul_f64_e32 v[44:45], v[40:41], v[72:73]
	s_delay_alu instid0(VALU_DEP_2) | instskip(NEXT) | instid1(VALU_DEP_2)
	v_fma_f64 v[4:5], v[40:41], v[70:71], -v[4:5]
	v_fmac_f64_e32 v[44:45], v[42:43], v[70:71]
	s_delay_alu instid0(VALU_DEP_2) | instskip(NEXT) | instid1(VALU_DEP_2)
	v_add_f64_e32 v[14:15], v[14:15], v[4:5]
	v_add_f64_e32 v[16:17], v[16:17], v[44:45]
.LBB181_95:                             ;   in Loop: Header=BB181_3 Depth=1
	s_or_b32 exec_lo, exec_lo, s25
.LBB181_96:                             ;   in Loop: Header=BB181_3 Depth=1
	s_delay_alu instid0(SALU_CYCLE_1)
	s_or_b32 exec_lo, exec_lo, s46
	s_and_saveexec_b32 s25, s81
	s_cbranch_execz .LBB181_98
; %bb.97:                               ;   in Loop: Header=BB181_3 Depth=1
	s_delay_alu instid0(VALU_DEP_2) | instskip(NEXT) | instid1(VALU_DEP_2)
	v_xor_b32_e32 v41, 0x80000000, v15
	v_xor_b32_e32 v43, 0x80000000, v17
	s_delay_alu instid0(VALU_DEP_3)
	v_dual_mov_b32 v40, v14 :: v_dual_mov_b32 v42, v16
	ds_store_b128 v54, v[40:43]
.LBB181_98:                             ;   in Loop: Header=BB181_3 Depth=1
	s_or_b32 exec_lo, exec_lo, s25
	s_wait_loadcnt_dscnt 0x0
	s_barrier_signal -1
	s_barrier_wait -1
	s_and_saveexec_b32 s25, s82
	s_cbranch_execz .LBB181_100
; %bb.99:                               ;   in Loop: Header=BB181_3 Depth=1
	ds_load_b128 v[40:43], v54
	ds_load_b128 v[70:73], v55 offset:12032
	s_wait_dscnt 0x0
	v_mul_f64_e32 v[4:5], v[42:43], v[72:73]
	v_mul_f64_e32 v[44:45], v[40:41], v[72:73]
	s_delay_alu instid0(VALU_DEP_2) | instskip(NEXT) | instid1(VALU_DEP_2)
	v_fma_f64 v[4:5], v[40:41], v[70:71], -v[4:5]
	v_fmac_f64_e32 v[44:45], v[42:43], v[70:71]
	s_delay_alu instid0(VALU_DEP_2) | instskip(NEXT) | instid1(VALU_DEP_2)
	v_add_f64_e64 v[14:15], v[14:15], -v[4:5]
	v_add_f64_e64 v[16:17], v[16:17], -v[44:45]
.LBB181_100:                            ;   in Loop: Header=BB181_3 Depth=1
	s_or_b32 exec_lo, exec_lo, s25
	s_barrier_signal -1
	s_barrier_wait -1
	s_and_saveexec_b32 s25, s83
	s_cbranch_execz .LBB181_102
; %bb.101:                              ;   in Loop: Header=BB181_3 Depth=1
	s_delay_alu instid0(VALU_DEP_2) | instskip(NEXT) | instid1(VALU_DEP_2)
	v_xor_b32_e32 v41, 0x80000000, v15
	v_xor_b32_e32 v43, 0x80000000, v17
	s_delay_alu instid0(VALU_DEP_3)
	v_dual_mov_b32 v40, v14 :: v_dual_mov_b32 v42, v16
	ds_store_b128 v54, v[40:43]
.LBB181_102:                            ;   in Loop: Header=BB181_3 Depth=1
	s_or_b32 exec_lo, exec_lo, s25
	s_wait_dscnt 0x0
	s_barrier_signal -1
	s_barrier_wait -1
	s_and_saveexec_b32 s25, s84
	s_cbranch_execz .LBB181_104
; %bb.103:                              ;   in Loop: Header=BB181_3 Depth=1
	ds_load_b128 v[40:43], v54
	ds_load_b128 v[70:73], v55 offset:11520
	s_wait_dscnt 0x0
	v_mul_f64_e32 v[4:5], v[42:43], v[72:73]
	v_mul_f64_e32 v[44:45], v[40:41], v[72:73]
	s_delay_alu instid0(VALU_DEP_2) | instskip(NEXT) | instid1(VALU_DEP_2)
	v_fma_f64 v[4:5], v[40:41], v[70:71], -v[4:5]
	v_fmac_f64_e32 v[44:45], v[42:43], v[70:71]
	s_delay_alu instid0(VALU_DEP_2) | instskip(NEXT) | instid1(VALU_DEP_2)
	v_add_f64_e64 v[14:15], v[14:15], -v[4:5]
	v_add_f64_e64 v[16:17], v[16:17], -v[44:45]
.LBB181_104:                            ;   in Loop: Header=BB181_3 Depth=1
	s_or_b32 exec_lo, exec_lo, s25
	s_barrier_signal -1
	s_barrier_wait -1
	s_and_saveexec_b32 s25, s85
	s_cbranch_execz .LBB181_106
; %bb.105:                              ;   in Loop: Header=BB181_3 Depth=1
	s_delay_alu instid0(VALU_DEP_2) | instskip(NEXT) | instid1(VALU_DEP_2)
	v_xor_b32_e32 v41, 0x80000000, v15
	v_xor_b32_e32 v43, 0x80000000, v17
	s_delay_alu instid0(VALU_DEP_3)
	v_dual_mov_b32 v40, v14 :: v_dual_mov_b32 v42, v16
	ds_store_b128 v54, v[40:43]
.LBB181_106:                            ;   in Loop: Header=BB181_3 Depth=1
	s_or_b32 exec_lo, exec_lo, s25
	s_wait_dscnt 0x0
	s_barrier_signal -1
	s_barrier_wait -1
	s_and_saveexec_b32 s25, s86
	s_cbranch_execz .LBB181_108
; %bb.107:                              ;   in Loop: Header=BB181_3 Depth=1
	ds_load_b128 v[40:43], v54
	ds_load_b128 v[70:73], v55 offset:11008
	s_wait_dscnt 0x0
	v_mul_f64_e32 v[4:5], v[42:43], v[72:73]
	v_mul_f64_e32 v[44:45], v[40:41], v[72:73]
	s_delay_alu instid0(VALU_DEP_2) | instskip(NEXT) | instid1(VALU_DEP_2)
	v_fma_f64 v[4:5], v[40:41], v[70:71], -v[4:5]
	v_fmac_f64_e32 v[44:45], v[42:43], v[70:71]
	s_delay_alu instid0(VALU_DEP_2) | instskip(NEXT) | instid1(VALU_DEP_2)
	v_add_f64_e64 v[14:15], v[14:15], -v[4:5]
	v_add_f64_e64 v[16:17], v[16:17], -v[44:45]
.LBB181_108:                            ;   in Loop: Header=BB181_3 Depth=1
	;; [unrolled: 32-line block ×6, first 2 shown]
	s_or_b32 exec_lo, exec_lo, s25
	s_barrier_signal -1
	s_barrier_wait -1
	s_and_saveexec_b32 s25, s94
	s_cbranch_execz .LBB181_126
; %bb.125:                              ;   in Loop: Header=BB181_3 Depth=1
	s_delay_alu instid0(VALU_DEP_2) | instskip(NEXT) | instid1(VALU_DEP_2)
	v_xor_b32_e32 v41, 0x80000000, v15
	v_xor_b32_e32 v43, 0x80000000, v17
	s_delay_alu instid0(VALU_DEP_3)
	v_dual_mov_b32 v40, v14 :: v_dual_mov_b32 v42, v16
	ds_store_b128 v54, v[40:43]
.LBB181_126:                            ;   in Loop: Header=BB181_3 Depth=1
	s_or_b32 exec_lo, exec_lo, s25
	s_wait_dscnt 0x0
	s_barrier_signal -1
	s_barrier_wait -1
	s_barrier_signal -1
	s_barrier_wait -1
	s_and_saveexec_b32 s25, s8
; %bb.127:                              ;   in Loop: Header=BB181_3 Depth=1
	ds_store_b128 v57, v[14:17] offset:16128
; %bb.128:                              ;   in Loop: Header=BB181_3 Depth=1
	s_or_b32 exec_lo, exec_lo, s25
	s_wait_dscnt 0x0
	s_barrier_signal -1
	s_barrier_wait -1
	s_barrier_signal -1
	s_barrier_wait -1
	s_and_saveexec_b32 s25, s29
	s_cbranch_execz .LBB181_130
; %bb.129:                              ;   in Loop: Header=BB181_3 Depth=1
	s_mov_b32 s52, s39
	s_mov_b32 s54, s39
	;; [unrolled: 1-line block ×3, first 2 shown]
	v_mov_b64_e32 v[14:15], s[52:53]
	v_mov_b64_e32 v[16:17], s[54:55]
	ds_store_b128 v2, v[14:17] offset:11616
	ds_store_b128 v2, v[14:17] offset:12144
.LBB181_130:                            ;   in Loop: Header=BB181_3 Depth=1
	s_or_b32 exec_lo, exec_lo, s25
	v_mov_b64_e32 v[14:15], 0
	v_mov_b64_e32 v[16:17], 0
	s_wait_dscnt 0x0
	s_barrier_signal -1
	s_barrier_wait -1
	global_wb scope:SCOPE_DEV
	s_wait_storecnt 0x0
	global_inv scope:SCOPE_DEV
	s_and_saveexec_b32 s46, s3
	s_cbranch_execz .LBB181_134
; %bb.131:                              ;   in Loop: Header=BB181_3 Depth=1
	ds_load_b128 v[14:17], v47 offset:12128
	ds_load_b128 v[40:43], v46 offset:11584
	s_wait_dscnt 0x0
	v_mul_f64_e32 v[4:5], v[16:17], v[42:43]
	v_mul_f64_e32 v[42:43], v[14:15], v[42:43]
	s_delay_alu instid0(VALU_DEP_2) | instskip(NEXT) | instid1(VALU_DEP_2)
	v_fma_f64 v[4:5], v[14:15], v[40:41], -v[4:5]
	v_fmac_f64_e32 v[42:43], v[16:17], v[40:41]
	s_delay_alu instid0(VALU_DEP_2) | instskip(NEXT) | instid1(VALU_DEP_2)
	v_add_f64_e32 v[14:15], 0, v[4:5]
	v_add_f64_e32 v[16:17], 0, v[42:43]
	s_and_saveexec_b32 s25, s4
	s_cbranch_execz .LBB181_133
; %bb.132:                              ;   in Loop: Header=BB181_3 Depth=1
	ds_load_b128 v[40:43], v2 offset:12144
	ds_load_b128 v[70:73], v48 offset:12096
	s_wait_dscnt 0x0
	v_mul_f64_e32 v[4:5], v[42:43], v[72:73]
	v_mul_f64_e32 v[44:45], v[40:41], v[72:73]
	s_delay_alu instid0(VALU_DEP_2) | instskip(NEXT) | instid1(VALU_DEP_2)
	v_fma_f64 v[4:5], v[40:41], v[70:71], -v[4:5]
	v_fmac_f64_e32 v[44:45], v[42:43], v[70:71]
	s_delay_alu instid0(VALU_DEP_2) | instskip(NEXT) | instid1(VALU_DEP_2)
	v_add_f64_e32 v[14:15], v[14:15], v[4:5]
	v_add_f64_e32 v[16:17], v[16:17], v[44:45]
.LBB181_133:                            ;   in Loop: Header=BB181_3 Depth=1
	s_or_b32 exec_lo, exec_lo, s25
.LBB181_134:                            ;   in Loop: Header=BB181_3 Depth=1
	s_delay_alu instid0(SALU_CYCLE_1)
	s_or_b32 exec_lo, exec_lo, s46
	s_and_saveexec_b32 s25, s73
	s_cbranch_execz .LBB181_136
; %bb.135:                              ;   in Loop: Header=BB181_3 Depth=1
	s_delay_alu instid0(VALU_DEP_2) | instskip(NEXT) | instid1(VALU_DEP_2)
	v_xor_b32_e32 v41, 0x80000000, v15
	v_xor_b32_e32 v43, 0x80000000, v17
	s_delay_alu instid0(VALU_DEP_3)
	v_dual_mov_b32 v40, v14 :: v_dual_mov_b32 v42, v16
	ds_store_b128 v25, v[40:43]
.LBB181_136:                            ;   in Loop: Header=BB181_3 Depth=1
	s_or_b32 exec_lo, exec_lo, s25
	s_wait_loadcnt_dscnt 0x0
	s_barrier_signal -1
	s_barrier_wait -1
	s_and_saveexec_b32 s25, s74
	s_cbranch_execz .LBB181_138
; %bb.137:                              ;   in Loop: Header=BB181_3 Depth=1
	ds_load_b128 v[40:43], v25
	ds_load_b128 v[70:73], v2 offset:11072
	s_wait_dscnt 0x0
	v_mul_f64_e32 v[4:5], v[40:41], v[70:71]
	v_mul_f64_e32 v[40:41], v[40:41], v[72:73]
	s_delay_alu instid0(VALU_DEP_2) | instskip(NEXT) | instid1(VALU_DEP_2)
	v_fma_f64 v[4:5], v[42:43], v[72:73], -v[4:5]
	v_fmac_f64_e32 v[40:41], v[42:43], v[70:71]
	s_delay_alu instid0(VALU_DEP_2) | instskip(NEXT) | instid1(VALU_DEP_2)
	v_add_f64_e32 v[14:15], v[14:15], v[4:5]
	v_add_f64_e64 v[16:17], v[16:17], -v[40:41]
.LBB181_138:                            ;   in Loop: Header=BB181_3 Depth=1
	s_or_b32 exec_lo, exec_lo, s25
	s_barrier_signal -1
	s_barrier_wait -1
	s_and_saveexec_b32 s25, s74
	s_cbranch_execz .LBB181_140
; %bb.139:                              ;   in Loop: Header=BB181_3 Depth=1
	s_delay_alu instid0(VALU_DEP_2) | instskip(NEXT) | instid1(VALU_DEP_2)
	v_xor_b32_e32 v41, 0x80000000, v15
	v_xor_b32_e32 v43, 0x80000000, v17
	s_delay_alu instid0(VALU_DEP_3)
	v_dual_mov_b32 v40, v14 :: v_dual_mov_b32 v42, v16
	ds_store_b128 v25, v[40:43]
.LBB181_140:                            ;   in Loop: Header=BB181_3 Depth=1
	s_or_b32 exec_lo, exec_lo, s25
	s_wait_dscnt 0x0
	s_barrier_signal -1
	s_barrier_wait -1
	s_barrier_signal -1
	s_barrier_wait -1
	s_and_saveexec_b32 s25, s3
; %bb.141:                              ;   in Loop: Header=BB181_3 Depth=1
	ds_store_b128 v49, v[14:17] offset:12096
; %bb.142:                              ;   in Loop: Header=BB181_3 Depth=1
	s_or_b32 exec_lo, exec_lo, s25
	s_wait_dscnt 0x0
	s_barrier_signal -1
	s_barrier_wait -1
	s_barrier_signal -1
	s_barrier_wait -1
	s_and_saveexec_b32 s25, s29
	s_cbranch_execz .LBB181_144
; %bb.143:                              ;   in Loop: Header=BB181_3 Depth=1
	s_mov_b32 s52, s39
	s_mov_b32 s54, s39
	;; [unrolled: 1-line block ×3, first 2 shown]
	v_mov_b64_e32 v[14:15], s[52:53]
	v_mov_b64_e32 v[16:17], s[54:55]
	ds_store_b128 v2, v[14:17] offset:10560
	ds_store_b128 v2, v[14:17] offset:11088
.LBB181_144:                            ;   in Loop: Header=BB181_3 Depth=1
	s_or_b32 exec_lo, exec_lo, s25
	v_mov_b64_e32 v[16:17], 0
	v_mov_b64_e32 v[14:15], 0
	s_wait_dscnt 0x0
	s_barrier_signal -1
	s_barrier_wait -1
	global_wb scope:SCOPE_DEV
	s_wait_storecnt 0x0
	global_inv scope:SCOPE_DEV
	s_and_saveexec_b32 s46, s5
	s_cbranch_execz .LBB181_150
; %bb.145:                              ;   in Loop: Header=BB181_3 Depth=1
	ds_load_b128 v[14:17], v52 offset:12096
	ds_load_b128 v[40:43], v51 offset:10496
	s_wait_dscnt 0x0
	v_mul_f64_e32 v[4:5], v[16:17], v[42:43]
	v_mul_f64_e32 v[42:43], v[14:15], v[42:43]
	s_delay_alu instid0(VALU_DEP_2) | instskip(NEXT) | instid1(VALU_DEP_2)
	v_fma_f64 v[4:5], v[14:15], v[40:41], -v[4:5]
	v_fmac_f64_e32 v[42:43], v[16:17], v[40:41]
	s_delay_alu instid0(VALU_DEP_2) | instskip(NEXT) | instid1(VALU_DEP_2)
	v_add_f64_e32 v[14:15], 0, v[4:5]
	v_add_f64_e32 v[16:17], 0, v[42:43]
	s_and_saveexec_b32 s25, s6
	s_cbranch_execnz .LBB181_500
; %bb.146:                              ;   in Loop: Header=BB181_3 Depth=1
	s_or_b32 exec_lo, exec_lo, s25
	s_and_saveexec_b32 s25, s7
	s_cbranch_execnz .LBB181_501
.LBB181_147:                            ;   in Loop: Header=BB181_3 Depth=1
	s_or_b32 exec_lo, exec_lo, s25
	s_and_saveexec_b32 s25, s3
	s_cbranch_execz .LBB181_149
.LBB181_148:                            ;   in Loop: Header=BB181_3 Depth=1
	ds_load_b128 v[40:43], v2 offset:12144
	ds_load_b128 v[70:73], v48 offset:12032
	s_wait_dscnt 0x0
	v_mul_f64_e32 v[4:5], v[42:43], v[72:73]
	v_mul_f64_e32 v[44:45], v[40:41], v[72:73]
	s_delay_alu instid0(VALU_DEP_2) | instskip(NEXT) | instid1(VALU_DEP_2)
	v_fma_f64 v[4:5], v[40:41], v[70:71], -v[4:5]
	v_fmac_f64_e32 v[44:45], v[42:43], v[70:71]
	s_delay_alu instid0(VALU_DEP_2) | instskip(NEXT) | instid1(VALU_DEP_2)
	v_add_f64_e32 v[14:15], v[14:15], v[4:5]
	v_add_f64_e32 v[16:17], v[16:17], v[44:45]
.LBB181_149:                            ;   in Loop: Header=BB181_3 Depth=1
	s_or_b32 exec_lo, exec_lo, s25
.LBB181_150:                            ;   in Loop: Header=BB181_3 Depth=1
	s_delay_alu instid0(SALU_CYCLE_1)
	s_or_b32 exec_lo, exec_lo, s46
	s_and_saveexec_b32 s25, s75
	s_cbranch_execz .LBB181_152
; %bb.151:                              ;   in Loop: Header=BB181_3 Depth=1
	s_delay_alu instid0(VALU_DEP_1) | instskip(NEXT) | instid1(VALU_DEP_3)
	v_xor_b32_e32 v43, 0x80000000, v17
	v_xor_b32_e32 v41, 0x80000000, v15
	s_delay_alu instid0(VALU_DEP_3)
	v_dual_mov_b32 v40, v14 :: v_dual_mov_b32 v42, v16
	ds_store_b128 v50, v[40:43]
.LBB181_152:                            ;   in Loop: Header=BB181_3 Depth=1
	s_or_b32 exec_lo, exec_lo, s25
	s_wait_loadcnt_dscnt 0x0
	s_barrier_signal -1
	s_barrier_wait -1
	s_and_saveexec_b32 s25, s76
	s_cbranch_execz .LBB181_154
; %bb.153:                              ;   in Loop: Header=BB181_3 Depth=1
	ds_load_b128 v[40:43], v50
	ds_load_b128 v[70:73], v51 offset:9984
	s_wait_dscnt 0x0
	v_mul_f64_e32 v[4:5], v[42:43], v[72:73]
	v_mul_f64_e32 v[44:45], v[40:41], v[72:73]
	s_delay_alu instid0(VALU_DEP_2) | instskip(NEXT) | instid1(VALU_DEP_2)
	v_fma_f64 v[4:5], v[40:41], v[70:71], -v[4:5]
	v_fmac_f64_e32 v[44:45], v[42:43], v[70:71]
	s_delay_alu instid0(VALU_DEP_2) | instskip(NEXT) | instid1(VALU_DEP_2)
	v_add_f64_e64 v[14:15], v[14:15], -v[4:5]
	v_add_f64_e64 v[16:17], v[16:17], -v[44:45]
.LBB181_154:                            ;   in Loop: Header=BB181_3 Depth=1
	s_or_b32 exec_lo, exec_lo, s25
	s_barrier_signal -1
	s_barrier_wait -1
	s_and_saveexec_b32 s25, s77
	s_cbranch_execz .LBB181_156
; %bb.155:                              ;   in Loop: Header=BB181_3 Depth=1
	s_delay_alu instid0(VALU_DEP_1) | instskip(NEXT) | instid1(VALU_DEP_3)
	v_xor_b32_e32 v43, 0x80000000, v17
	v_xor_b32_e32 v41, 0x80000000, v15
	s_delay_alu instid0(VALU_DEP_3)
	v_dual_mov_b32 v40, v14 :: v_dual_mov_b32 v42, v16
	ds_store_b128 v50, v[40:43]
.LBB181_156:                            ;   in Loop: Header=BB181_3 Depth=1
	s_or_b32 exec_lo, exec_lo, s25
	s_wait_dscnt 0x0
	s_barrier_signal -1
	s_barrier_wait -1
	s_and_saveexec_b32 s25, s78
	s_cbranch_execz .LBB181_158
; %bb.157:                              ;   in Loop: Header=BB181_3 Depth=1
	ds_load_b128 v[40:43], v50
	ds_load_b128 v[70:73], v51 offset:9472
	s_wait_dscnt 0x0
	v_mul_f64_e32 v[4:5], v[42:43], v[72:73]
	v_mul_f64_e32 v[44:45], v[40:41], v[72:73]
	s_delay_alu instid0(VALU_DEP_2) | instskip(NEXT) | instid1(VALU_DEP_2)
	v_fma_f64 v[4:5], v[40:41], v[70:71], -v[4:5]
	v_fmac_f64_e32 v[44:45], v[42:43], v[70:71]
	s_delay_alu instid0(VALU_DEP_2) | instskip(NEXT) | instid1(VALU_DEP_2)
	v_add_f64_e64 v[14:15], v[14:15], -v[4:5]
	v_add_f64_e64 v[16:17], v[16:17], -v[44:45]
.LBB181_158:                            ;   in Loop: Header=BB181_3 Depth=1
	s_or_b32 exec_lo, exec_lo, s25
	s_barrier_signal -1
	s_barrier_wait -1
	s_and_saveexec_b32 s25, s79
	s_cbranch_execz .LBB181_160
; %bb.159:                              ;   in Loop: Header=BB181_3 Depth=1
	s_delay_alu instid0(VALU_DEP_1) | instskip(NEXT) | instid1(VALU_DEP_3)
	v_xor_b32_e32 v43, 0x80000000, v17
	v_xor_b32_e32 v41, 0x80000000, v15
	s_delay_alu instid0(VALU_DEP_3)
	v_dual_mov_b32 v40, v14 :: v_dual_mov_b32 v42, v16
	ds_store_b128 v50, v[40:43]
.LBB181_160:                            ;   in Loop: Header=BB181_3 Depth=1
	s_or_b32 exec_lo, exec_lo, s25
	s_wait_dscnt 0x0
	;; [unrolled: 32-line block ×3, first 2 shown]
	s_barrier_signal -1
	s_barrier_wait -1
	s_barrier_signal -1
	s_barrier_wait -1
	s_and_saveexec_b32 s25, s5
; %bb.165:                              ;   in Loop: Header=BB181_3 Depth=1
	ds_store_b128 v53, v[14:17] offset:12032
; %bb.166:                              ;   in Loop: Header=BB181_3 Depth=1
	s_or_b32 exec_lo, exec_lo, s25
	s_wait_dscnt 0x0
	s_barrier_signal -1
	s_barrier_wait -1
	s_barrier_signal -1
	s_barrier_wait -1
	s_and_saveexec_b32 s25, s29
	s_cbranch_execz .LBB181_168
; %bb.167:                              ;   in Loop: Header=BB181_3 Depth=1
	s_mov_b32 s52, s39
	s_mov_b32 s54, s39
	;; [unrolled: 1-line block ×3, first 2 shown]
	v_mov_b64_e32 v[14:15], s[52:53]
	v_mov_b64_e32 v[16:17], s[54:55]
	ds_store_b128 v2, v[14:17] offset:9504
	ds_store_b128 v2, v[14:17] offset:10032
.LBB181_168:                            ;   in Loop: Header=BB181_3 Depth=1
	s_or_b32 exec_lo, exec_lo, s25
	v_mov_b64_e32 v[14:15], 0
	v_mov_b64_e32 v[16:17], 0
	s_wait_dscnt 0x0
	s_barrier_signal -1
	s_barrier_wait -1
	global_wb scope:SCOPE_DEV
	s_wait_storecnt 0x0
	global_inv scope:SCOPE_DEV
	s_and_saveexec_b32 s46, s3
	s_cbranch_execz .LBB181_172
; %bb.169:                              ;   in Loop: Header=BB181_3 Depth=1
	ds_load_b128 v[14:17], v47 offset:10016
	ds_load_b128 v[40:43], v46 offset:9472
	s_wait_dscnt 0x0
	v_mul_f64_e32 v[4:5], v[16:17], v[42:43]
	v_mul_f64_e32 v[42:43], v[14:15], v[42:43]
	s_delay_alu instid0(VALU_DEP_2) | instskip(NEXT) | instid1(VALU_DEP_2)
	v_fma_f64 v[4:5], v[14:15], v[40:41], -v[4:5]
	v_fmac_f64_e32 v[42:43], v[16:17], v[40:41]
	s_delay_alu instid0(VALU_DEP_2) | instskip(NEXT) | instid1(VALU_DEP_2)
	v_add_f64_e32 v[14:15], 0, v[4:5]
	v_add_f64_e32 v[16:17], 0, v[42:43]
	s_and_saveexec_b32 s25, s4
	s_cbranch_execz .LBB181_171
; %bb.170:                              ;   in Loop: Header=BB181_3 Depth=1
	ds_load_b128 v[40:43], v2 offset:10032
	ds_load_b128 v[70:73], v48 offset:9984
	s_wait_dscnt 0x0
	v_mul_f64_e32 v[4:5], v[42:43], v[72:73]
	v_mul_f64_e32 v[44:45], v[40:41], v[72:73]
	s_delay_alu instid0(VALU_DEP_2) | instskip(NEXT) | instid1(VALU_DEP_2)
	v_fma_f64 v[4:5], v[40:41], v[70:71], -v[4:5]
	v_fmac_f64_e32 v[44:45], v[42:43], v[70:71]
	s_delay_alu instid0(VALU_DEP_2) | instskip(NEXT) | instid1(VALU_DEP_2)
	v_add_f64_e32 v[14:15], v[14:15], v[4:5]
	v_add_f64_e32 v[16:17], v[16:17], v[44:45]
.LBB181_171:                            ;   in Loop: Header=BB181_3 Depth=1
	s_or_b32 exec_lo, exec_lo, s25
.LBB181_172:                            ;   in Loop: Header=BB181_3 Depth=1
	s_delay_alu instid0(SALU_CYCLE_1)
	s_or_b32 exec_lo, exec_lo, s46
	s_and_saveexec_b32 s25, s73
	s_cbranch_execz .LBB181_174
; %bb.173:                              ;   in Loop: Header=BB181_3 Depth=1
	s_delay_alu instid0(VALU_DEP_2) | instskip(NEXT) | instid1(VALU_DEP_2)
	v_xor_b32_e32 v41, 0x80000000, v15
	v_xor_b32_e32 v43, 0x80000000, v17
	s_delay_alu instid0(VALU_DEP_3)
	v_dual_mov_b32 v40, v14 :: v_dual_mov_b32 v42, v16
	ds_store_b128 v25, v[40:43]
.LBB181_174:                            ;   in Loop: Header=BB181_3 Depth=1
	s_or_b32 exec_lo, exec_lo, s25
	s_wait_loadcnt_dscnt 0x0
	s_barrier_signal -1
	s_barrier_wait -1
	s_and_saveexec_b32 s25, s74
	s_cbranch_execz .LBB181_176
; %bb.175:                              ;   in Loop: Header=BB181_3 Depth=1
	ds_load_b128 v[40:43], v25
	ds_load_b128 v[70:73], v2 offset:8960
	s_wait_dscnt 0x0
	v_mul_f64_e32 v[4:5], v[40:41], v[70:71]
	v_mul_f64_e32 v[40:41], v[40:41], v[72:73]
	s_delay_alu instid0(VALU_DEP_2) | instskip(NEXT) | instid1(VALU_DEP_2)
	v_fma_f64 v[4:5], v[42:43], v[72:73], -v[4:5]
	v_fmac_f64_e32 v[40:41], v[42:43], v[70:71]
	s_delay_alu instid0(VALU_DEP_2) | instskip(NEXT) | instid1(VALU_DEP_2)
	v_add_f64_e32 v[14:15], v[14:15], v[4:5]
	v_add_f64_e64 v[16:17], v[16:17], -v[40:41]
.LBB181_176:                            ;   in Loop: Header=BB181_3 Depth=1
	s_or_b32 exec_lo, exec_lo, s25
	s_barrier_signal -1
	s_barrier_wait -1
	s_and_saveexec_b32 s25, s74
	s_cbranch_execz .LBB181_178
; %bb.177:                              ;   in Loop: Header=BB181_3 Depth=1
	s_delay_alu instid0(VALU_DEP_2) | instskip(NEXT) | instid1(VALU_DEP_2)
	v_xor_b32_e32 v41, 0x80000000, v15
	v_xor_b32_e32 v43, 0x80000000, v17
	s_delay_alu instid0(VALU_DEP_3)
	v_dual_mov_b32 v40, v14 :: v_dual_mov_b32 v42, v16
	ds_store_b128 v25, v[40:43]
.LBB181_178:                            ;   in Loop: Header=BB181_3 Depth=1
	s_or_b32 exec_lo, exec_lo, s25
	s_wait_dscnt 0x0
	s_barrier_signal -1
	s_barrier_wait -1
	s_barrier_signal -1
	s_barrier_wait -1
	s_and_saveexec_b32 s25, s3
; %bb.179:                              ;   in Loop: Header=BB181_3 Depth=1
	ds_store_b128 v49, v[14:17] offset:9984
; %bb.180:                              ;   in Loop: Header=BB181_3 Depth=1
	s_or_b32 exec_lo, exec_lo, s25
	s_wait_dscnt 0x0
	s_barrier_signal -1
	s_barrier_wait -1
	s_barrier_signal -1
	s_barrier_wait -1
	s_and_saveexec_b32 s25, s29
	s_cbranch_execz .LBB181_182
; %bb.181:                              ;   in Loop: Header=BB181_3 Depth=1
	s_mov_b32 s52, s39
	s_mov_b32 s54, s39
	s_mov_b32 s55, s39
	v_mov_b64_e32 v[14:15], s[52:53]
	v_mov_b64_e32 v[16:17], s[54:55]
	ds_store_b128 v2, v[14:17] offset:8448
	ds_store_b128 v2, v[14:17] offset:8976
.LBB181_182:                            ;   in Loop: Header=BB181_3 Depth=1
	s_or_b32 exec_lo, exec_lo, s25
	v_mov_b64_e32 v[16:17], 0
	v_mov_b64_e32 v[14:15], 0
	s_wait_dscnt 0x0
	s_barrier_signal -1
	s_barrier_wait -1
	global_wb scope:SCOPE_DEV
	s_wait_storecnt 0x0
	global_inv scope:SCOPE_DEV
	s_and_saveexec_b32 s46, s14
	s_cbranch_execz .LBB181_210
; %bb.183:                              ;   in Loop: Header=BB181_3 Depth=1
	ds_load_b128 v[14:17], v60 offset:16128
	ds_load_b128 v[40:43], v59 offset:8192
	v_readlane_b32 s24, v76, 3
	s_wait_dscnt 0x0
	v_mul_f64_e32 v[4:5], v[16:17], v[42:43]
	v_mul_f64_e32 v[42:43], v[14:15], v[42:43]
	s_delay_alu instid0(VALU_DEP_2) | instskip(NEXT) | instid1(VALU_DEP_2)
	v_fma_f64 v[4:5], v[14:15], v[40:41], -v[4:5]
	v_fmac_f64_e32 v[42:43], v[16:17], v[40:41]
	s_delay_alu instid0(VALU_DEP_2) | instskip(NEXT) | instid1(VALU_DEP_2)
	v_add_f64_e32 v[14:15], 0, v[4:5]
	v_add_f64_e32 v[16:17], 0, v[42:43]
	s_and_saveexec_b32 s25, s24
	s_cbranch_execz .LBB181_185
; %bb.184:                              ;   in Loop: Header=BB181_3 Depth=1
	ds_load_b128 v[40:43], v60 offset:16144
	ds_load_b128 v[70:73], v59 offset:8704
	s_wait_dscnt 0x0
	v_mul_f64_e32 v[4:5], v[42:43], v[72:73]
	v_mul_f64_e32 v[44:45], v[40:41], v[72:73]
	s_delay_alu instid0(VALU_DEP_2) | instskip(NEXT) | instid1(VALU_DEP_2)
	v_fma_f64 v[4:5], v[40:41], v[70:71], -v[4:5]
	v_fmac_f64_e32 v[44:45], v[42:43], v[70:71]
	s_delay_alu instid0(VALU_DEP_2) | instskip(NEXT) | instid1(VALU_DEP_2)
	v_add_f64_e32 v[14:15], v[14:15], v[4:5]
	v_add_f64_e32 v[16:17], v[16:17], v[44:45]
.LBB181_185:                            ;   in Loop: Header=BB181_3 Depth=1
	s_or_b32 exec_lo, exec_lo, s25
	v_readlane_b32 s24, v76, 4
	s_and_saveexec_b32 s25, s24
	s_cbranch_execz .LBB181_187
; %bb.186:                              ;   in Loop: Header=BB181_3 Depth=1
	ds_load_b128 v[40:43], v60 offset:16160
	ds_load_b128 v[70:73], v59 offset:9216
	s_wait_dscnt 0x0
	v_mul_f64_e32 v[4:5], v[42:43], v[72:73]
	v_mul_f64_e32 v[44:45], v[40:41], v[72:73]
	s_delay_alu instid0(VALU_DEP_2) | instskip(NEXT) | instid1(VALU_DEP_2)
	v_fma_f64 v[4:5], v[40:41], v[70:71], -v[4:5]
	v_fmac_f64_e32 v[44:45], v[42:43], v[70:71]
	s_delay_alu instid0(VALU_DEP_2) | instskip(NEXT) | instid1(VALU_DEP_2)
	v_add_f64_e32 v[14:15], v[14:15], v[4:5]
	v_add_f64_e32 v[16:17], v[16:17], v[44:45]
.LBB181_187:                            ;   in Loop: Header=BB181_3 Depth=1
	s_or_b32 exec_lo, exec_lo, s25
	v_readlane_b32 s24, v76, 5
	;; [unrolled: 17-line block ×10, first 2 shown]
	s_and_saveexec_b32 s25, s24
	s_cbranch_execnz .LBB181_502
; %bb.204:                              ;   in Loop: Header=BB181_3 Depth=1
	s_or_b32 exec_lo, exec_lo, s25
	s_and_saveexec_b32 s25, s8
	s_cbranch_execnz .LBB181_503
.LBB181_205:                            ;   in Loop: Header=BB181_3 Depth=1
	s_or_b32 exec_lo, exec_lo, s25
	s_and_saveexec_b32 s25, s10
	s_cbranch_execnz .LBB181_504
.LBB181_206:                            ;   in Loop: Header=BB181_3 Depth=1
	s_or_b32 exec_lo, exec_lo, s25
	s_and_saveexec_b32 s25, s12
	s_cbranch_execnz .LBB181_505
.LBB181_207:                            ;   in Loop: Header=BB181_3 Depth=1
	s_or_b32 exec_lo, exec_lo, s25
	s_and_saveexec_b32 s25, s5
	s_cbranch_execz .LBB181_209
.LBB181_208:                            ;   in Loop: Header=BB181_3 Depth=1
	ds_load_b128 v[40:43], v2 offset:16368
	ds_load_b128 v[70:73], v48 offset:15872
	s_wait_dscnt 0x0
	v_mul_f64_e32 v[4:5], v[42:43], v[72:73]
	v_mul_f64_e32 v[44:45], v[40:41], v[72:73]
	s_delay_alu instid0(VALU_DEP_2) | instskip(NEXT) | instid1(VALU_DEP_2)
	v_fma_f64 v[4:5], v[40:41], v[70:71], -v[4:5]
	v_fmac_f64_e32 v[44:45], v[42:43], v[70:71]
	s_delay_alu instid0(VALU_DEP_2) | instskip(NEXT) | instid1(VALU_DEP_2)
	v_add_f64_e32 v[14:15], v[14:15], v[4:5]
	v_add_f64_e32 v[16:17], v[16:17], v[44:45]
.LBB181_209:                            ;   in Loop: Header=BB181_3 Depth=1
	s_or_b32 exec_lo, exec_lo, s25
.LBB181_210:                            ;   in Loop: Header=BB181_3 Depth=1
	s_delay_alu instid0(SALU_CYCLE_1)
	s_or_b32 exec_lo, exec_lo, s46
	v_readlane_b32 s24, v76, 6
	s_and_saveexec_b32 s25, s24
	s_cbranch_execz .LBB181_212
; %bb.211:                              ;   in Loop: Header=BB181_3 Depth=1
	v_xor_b32_e32 v43, 0x80000000, v17
	v_xor_b32_e32 v41, 0x80000000, v15
	v_dual_mov_b32 v40, v14 :: v_dual_mov_b32 v42, v16
	ds_store_b128 v58, v[40:43]
.LBB181_212:                            ;   in Loop: Header=BB181_3 Depth=1
	s_or_b32 exec_lo, exec_lo, s25
	v_readlane_b32 s24, v76, 7
	s_wait_loadcnt_dscnt 0x0
	s_barrier_signal -1
	s_barrier_wait -1
	s_and_saveexec_b32 s25, s24
	s_cbranch_execz .LBB181_214
; %bb.213:                              ;   in Loop: Header=BB181_3 Depth=1
	ds_load_b128 v[40:43], v58
	ds_load_b128 v[70:73], v59 offset:7680
	s_wait_dscnt 0x0
	v_mul_f64_e32 v[4:5], v[42:43], v[72:73]
	v_mul_f64_e32 v[44:45], v[40:41], v[72:73]
	s_delay_alu instid0(VALU_DEP_2) | instskip(NEXT) | instid1(VALU_DEP_2)
	v_fma_f64 v[4:5], v[40:41], v[70:71], -v[4:5]
	v_fmac_f64_e32 v[44:45], v[42:43], v[70:71]
	s_delay_alu instid0(VALU_DEP_2) | instskip(NEXT) | instid1(VALU_DEP_2)
	v_add_f64_e64 v[14:15], v[14:15], -v[4:5]
	v_add_f64_e64 v[16:17], v[16:17], -v[44:45]
.LBB181_214:                            ;   in Loop: Header=BB181_3 Depth=1
	s_or_b32 exec_lo, exec_lo, s25
	v_readlane_b32 s24, v76, 8
	s_barrier_signal -1
	s_barrier_wait -1
	s_and_saveexec_b32 s25, s24
	s_cbranch_execz .LBB181_216
; %bb.215:                              ;   in Loop: Header=BB181_3 Depth=1
	v_xor_b32_e32 v43, 0x80000000, v17
	v_xor_b32_e32 v41, 0x80000000, v15
	v_dual_mov_b32 v40, v14 :: v_dual_mov_b32 v42, v16
	ds_store_b128 v58, v[40:43]
.LBB181_216:                            ;   in Loop: Header=BB181_3 Depth=1
	s_or_b32 exec_lo, exec_lo, s25
	v_readlane_b32 s24, v76, 9
	s_wait_dscnt 0x0
	s_barrier_signal -1
	s_barrier_wait -1
	s_and_saveexec_b32 s25, s24
	s_cbranch_execz .LBB181_218
; %bb.217:                              ;   in Loop: Header=BB181_3 Depth=1
	ds_load_b128 v[40:43], v58
	ds_load_b128 v[70:73], v59 offset:7168
	s_wait_dscnt 0x0
	v_mul_f64_e32 v[4:5], v[42:43], v[72:73]
	v_mul_f64_e32 v[44:45], v[40:41], v[72:73]
	s_delay_alu instid0(VALU_DEP_2) | instskip(NEXT) | instid1(VALU_DEP_2)
	v_fma_f64 v[4:5], v[40:41], v[70:71], -v[4:5]
	v_fmac_f64_e32 v[44:45], v[42:43], v[70:71]
	s_delay_alu instid0(VALU_DEP_2) | instskip(NEXT) | instid1(VALU_DEP_2)
	v_add_f64_e64 v[14:15], v[14:15], -v[4:5]
	v_add_f64_e64 v[16:17], v[16:17], -v[44:45]
.LBB181_218:                            ;   in Loop: Header=BB181_3 Depth=1
	s_or_b32 exec_lo, exec_lo, s25
	v_readlane_b32 s24, v76, 10
	s_barrier_signal -1
	s_barrier_wait -1
	s_and_saveexec_b32 s25, s24
	s_cbranch_execz .LBB181_220
; %bb.219:                              ;   in Loop: Header=BB181_3 Depth=1
	v_xor_b32_e32 v43, 0x80000000, v17
	v_xor_b32_e32 v41, 0x80000000, v15
	v_dual_mov_b32 v40, v14 :: v_dual_mov_b32 v42, v16
	ds_store_b128 v58, v[40:43]
.LBB181_220:                            ;   in Loop: Header=BB181_3 Depth=1
	s_or_b32 exec_lo, exec_lo, s25
	v_readlane_b32 s24, v76, 11
	s_wait_dscnt 0x0
	;; [unrolled: 32-line block ×7, first 2 shown]
	s_barrier_signal -1
	s_barrier_wait -1
	s_and_saveexec_b32 s25, s24
	s_cbranch_execz .LBB181_242
; %bb.241:                              ;   in Loop: Header=BB181_3 Depth=1
	ds_load_b128 v[40:43], v58
	ds_load_b128 v[70:73], v59 offset:4096
	s_wait_dscnt 0x0
	v_mul_f64_e32 v[4:5], v[42:43], v[72:73]
	v_mul_f64_e32 v[44:45], v[40:41], v[72:73]
	s_delay_alu instid0(VALU_DEP_2) | instskip(NEXT) | instid1(VALU_DEP_2)
	v_fma_f64 v[4:5], v[40:41], v[70:71], -v[4:5]
	v_fmac_f64_e32 v[44:45], v[42:43], v[70:71]
	s_delay_alu instid0(VALU_DEP_2) | instskip(NEXT) | instid1(VALU_DEP_2)
	v_add_f64_e64 v[14:15], v[14:15], -v[4:5]
	v_add_f64_e64 v[16:17], v[16:17], -v[44:45]
.LBB181_242:                            ;   in Loop: Header=BB181_3 Depth=1
	s_or_b32 exec_lo, exec_lo, s25
	s_barrier_signal -1
	s_barrier_wait -1
	s_and_saveexec_b32 s25, s9
	s_cbranch_execz .LBB181_244
; %bb.243:                              ;   in Loop: Header=BB181_3 Depth=1
	s_delay_alu instid0(VALU_DEP_1) | instskip(NEXT) | instid1(VALU_DEP_3)
	v_xor_b32_e32 v43, 0x80000000, v17
	v_xor_b32_e32 v41, 0x80000000, v15
	s_delay_alu instid0(VALU_DEP_3)
	v_dual_mov_b32 v40, v14 :: v_dual_mov_b32 v42, v16
	ds_store_b128 v58, v[40:43]
.LBB181_244:                            ;   in Loop: Header=BB181_3 Depth=1
	s_or_b32 exec_lo, exec_lo, s25
	s_wait_dscnt 0x0
	s_barrier_signal -1
	s_barrier_wait -1
	s_and_saveexec_b32 s25, s11
	s_cbranch_execz .LBB181_246
; %bb.245:                              ;   in Loop: Header=BB181_3 Depth=1
	ds_load_b128 v[40:43], v58
	ds_load_b128 v[70:73], v59 offset:3584
	s_wait_dscnt 0x0
	v_mul_f64_e32 v[4:5], v[42:43], v[72:73]
	v_mul_f64_e32 v[44:45], v[40:41], v[72:73]
	s_delay_alu instid0(VALU_DEP_2) | instskip(NEXT) | instid1(VALU_DEP_2)
	v_fma_f64 v[4:5], v[40:41], v[70:71], -v[4:5]
	v_fmac_f64_e32 v[44:45], v[42:43], v[70:71]
	s_delay_alu instid0(VALU_DEP_2) | instskip(NEXT) | instid1(VALU_DEP_2)
	v_add_f64_e64 v[14:15], v[14:15], -v[4:5]
	v_add_f64_e64 v[16:17], v[16:17], -v[44:45]
.LBB181_246:                            ;   in Loop: Header=BB181_3 Depth=1
	s_or_b32 exec_lo, exec_lo, s25
	s_barrier_signal -1
	s_barrier_wait -1
	s_and_saveexec_b32 s25, s13
	s_cbranch_execz .LBB181_248
; %bb.247:                              ;   in Loop: Header=BB181_3 Depth=1
	s_delay_alu instid0(VALU_DEP_1) | instskip(NEXT) | instid1(VALU_DEP_3)
	v_xor_b32_e32 v43, 0x80000000, v17
	v_xor_b32_e32 v41, 0x80000000, v15
	s_delay_alu instid0(VALU_DEP_3)
	v_dual_mov_b32 v40, v14 :: v_dual_mov_b32 v42, v16
	ds_store_b128 v58, v[40:43]
.LBB181_248:                            ;   in Loop: Header=BB181_3 Depth=1
	s_or_b32 exec_lo, exec_lo, s25
	s_wait_dscnt 0x0
	;; [unrolled: 32-line block ×8, first 2 shown]
	s_barrier_signal -1
	s_barrier_wait -1
	s_barrier_signal -1
	s_barrier_wait -1
	s_and_saveexec_b32 s25, s14
; %bb.273:                              ;   in Loop: Header=BB181_3 Depth=1
	ds_store_b128 v61, v[14:17] offset:15872
; %bb.274:                              ;   in Loop: Header=BB181_3 Depth=1
	s_or_b32 exec_lo, exec_lo, s25
	s_wait_dscnt 0x0
	s_barrier_signal -1
	s_barrier_wait -1
	s_barrier_signal -1
	s_barrier_wait -1
	s_and_saveexec_b32 s25, s29
	s_cbranch_execz .LBB181_276
; %bb.275:                              ;   in Loop: Header=BB181_3 Depth=1
	s_mov_b32 s52, s39
	s_mov_b32 s54, s39
	;; [unrolled: 1-line block ×3, first 2 shown]
	v_mov_b64_e32 v[14:15], s[52:53]
	v_mov_b64_e32 v[16:17], s[54:55]
	ds_store_b128 v2, v[14:17] offset:7392
	ds_store_b128 v2, v[14:17] offset:7920
.LBB181_276:                            ;   in Loop: Header=BB181_3 Depth=1
	s_or_b32 exec_lo, exec_lo, s25
	v_mov_b64_e32 v[14:15], 0
	v_mov_b64_e32 v[16:17], 0
	s_wait_dscnt 0x0
	s_barrier_signal -1
	s_barrier_wait -1
	global_wb scope:SCOPE_DEV
	s_wait_storecnt 0x0
	global_inv scope:SCOPE_DEV
	s_and_saveexec_b32 s46, s3
	s_cbranch_execz .LBB181_280
; %bb.277:                              ;   in Loop: Header=BB181_3 Depth=1
	ds_load_b128 v[14:17], v47 offset:7904
	ds_load_b128 v[40:43], v46 offset:7360
	s_wait_dscnt 0x0
	v_mul_f64_e32 v[4:5], v[16:17], v[42:43]
	v_mul_f64_e32 v[42:43], v[14:15], v[42:43]
	s_delay_alu instid0(VALU_DEP_2) | instskip(NEXT) | instid1(VALU_DEP_2)
	v_fma_f64 v[4:5], v[14:15], v[40:41], -v[4:5]
	v_fmac_f64_e32 v[42:43], v[16:17], v[40:41]
	s_delay_alu instid0(VALU_DEP_2) | instskip(NEXT) | instid1(VALU_DEP_2)
	v_add_f64_e32 v[14:15], 0, v[4:5]
	v_add_f64_e32 v[16:17], 0, v[42:43]
	s_and_saveexec_b32 s25, s4
	s_cbranch_execz .LBB181_279
; %bb.278:                              ;   in Loop: Header=BB181_3 Depth=1
	ds_load_b128 v[40:43], v2 offset:7920
	ds_load_b128 v[70:73], v48 offset:7872
	s_wait_dscnt 0x0
	v_mul_f64_e32 v[4:5], v[42:43], v[72:73]
	v_mul_f64_e32 v[44:45], v[40:41], v[72:73]
	s_delay_alu instid0(VALU_DEP_2) | instskip(NEXT) | instid1(VALU_DEP_2)
	v_fma_f64 v[4:5], v[40:41], v[70:71], -v[4:5]
	v_fmac_f64_e32 v[44:45], v[42:43], v[70:71]
	s_delay_alu instid0(VALU_DEP_2) | instskip(NEXT) | instid1(VALU_DEP_2)
	v_add_f64_e32 v[14:15], v[14:15], v[4:5]
	v_add_f64_e32 v[16:17], v[16:17], v[44:45]
.LBB181_279:                            ;   in Loop: Header=BB181_3 Depth=1
	s_or_b32 exec_lo, exec_lo, s25
.LBB181_280:                            ;   in Loop: Header=BB181_3 Depth=1
	s_delay_alu instid0(SALU_CYCLE_1)
	s_or_b32 exec_lo, exec_lo, s46
	s_and_saveexec_b32 s25, s73
	s_cbranch_execz .LBB181_282
; %bb.281:                              ;   in Loop: Header=BB181_3 Depth=1
	s_delay_alu instid0(VALU_DEP_2) | instskip(NEXT) | instid1(VALU_DEP_2)
	v_xor_b32_e32 v41, 0x80000000, v15
	v_xor_b32_e32 v43, 0x80000000, v17
	s_delay_alu instid0(VALU_DEP_3)
	v_dual_mov_b32 v40, v14 :: v_dual_mov_b32 v42, v16
	ds_store_b128 v25, v[40:43]
.LBB181_282:                            ;   in Loop: Header=BB181_3 Depth=1
	s_or_b32 exec_lo, exec_lo, s25
	s_wait_loadcnt_dscnt 0x0
	s_barrier_signal -1
	s_barrier_wait -1
	s_and_saveexec_b32 s25, s74
	s_cbranch_execz .LBB181_284
; %bb.283:                              ;   in Loop: Header=BB181_3 Depth=1
	ds_load_b128 v[40:43], v25
	ds_load_b128 v[70:73], v2 offset:6848
	s_wait_dscnt 0x0
	v_mul_f64_e32 v[4:5], v[40:41], v[70:71]
	v_mul_f64_e32 v[40:41], v[40:41], v[72:73]
	s_delay_alu instid0(VALU_DEP_2) | instskip(NEXT) | instid1(VALU_DEP_2)
	v_fma_f64 v[4:5], v[42:43], v[72:73], -v[4:5]
	v_fmac_f64_e32 v[40:41], v[42:43], v[70:71]
	s_delay_alu instid0(VALU_DEP_2) | instskip(NEXT) | instid1(VALU_DEP_2)
	v_add_f64_e32 v[14:15], v[14:15], v[4:5]
	v_add_f64_e64 v[16:17], v[16:17], -v[40:41]
.LBB181_284:                            ;   in Loop: Header=BB181_3 Depth=1
	s_or_b32 exec_lo, exec_lo, s25
	s_barrier_signal -1
	s_barrier_wait -1
	s_and_saveexec_b32 s25, s74
	s_cbranch_execz .LBB181_286
; %bb.285:                              ;   in Loop: Header=BB181_3 Depth=1
	s_delay_alu instid0(VALU_DEP_2) | instskip(NEXT) | instid1(VALU_DEP_2)
	v_xor_b32_e32 v41, 0x80000000, v15
	v_xor_b32_e32 v43, 0x80000000, v17
	s_delay_alu instid0(VALU_DEP_3)
	v_dual_mov_b32 v40, v14 :: v_dual_mov_b32 v42, v16
	ds_store_b128 v25, v[40:43]
.LBB181_286:                            ;   in Loop: Header=BB181_3 Depth=1
	s_or_b32 exec_lo, exec_lo, s25
	s_wait_dscnt 0x0
	s_barrier_signal -1
	s_barrier_wait -1
	s_barrier_signal -1
	s_barrier_wait -1
	s_and_saveexec_b32 s25, s3
; %bb.287:                              ;   in Loop: Header=BB181_3 Depth=1
	ds_store_b128 v49, v[14:17] offset:7872
; %bb.288:                              ;   in Loop: Header=BB181_3 Depth=1
	s_or_b32 exec_lo, exec_lo, s25
	s_wait_dscnt 0x0
	s_barrier_signal -1
	s_barrier_wait -1
	s_barrier_signal -1
	s_barrier_wait -1
	s_and_saveexec_b32 s25, s29
	s_cbranch_execz .LBB181_290
; %bb.289:                              ;   in Loop: Header=BB181_3 Depth=1
	s_mov_b32 s52, s39
	s_mov_b32 s54, s39
	;; [unrolled: 1-line block ×3, first 2 shown]
	v_mov_b64_e32 v[14:15], s[52:53]
	v_mov_b64_e32 v[16:17], s[54:55]
	ds_store_b128 v2, v[14:17] offset:6336
	ds_store_b128 v2, v[14:17] offset:6864
.LBB181_290:                            ;   in Loop: Header=BB181_3 Depth=1
	s_or_b32 exec_lo, exec_lo, s25
	v_mov_b64_e32 v[16:17], 0
	v_mov_b64_e32 v[14:15], 0
	s_wait_dscnt 0x0
	s_barrier_signal -1
	s_barrier_wait -1
	global_wb scope:SCOPE_DEV
	s_wait_storecnt 0x0
	global_inv scope:SCOPE_DEV
	s_and_saveexec_b32 s46, s5
	s_cbranch_execz .LBB181_296
; %bb.291:                              ;   in Loop: Header=BB181_3 Depth=1
	ds_load_b128 v[14:17], v52 offset:7872
	ds_load_b128 v[40:43], v51 offset:6272
	s_wait_dscnt 0x0
	v_mul_f64_e32 v[4:5], v[16:17], v[42:43]
	v_mul_f64_e32 v[42:43], v[14:15], v[42:43]
	s_delay_alu instid0(VALU_DEP_2) | instskip(NEXT) | instid1(VALU_DEP_2)
	v_fma_f64 v[4:5], v[14:15], v[40:41], -v[4:5]
	v_fmac_f64_e32 v[42:43], v[16:17], v[40:41]
	s_delay_alu instid0(VALU_DEP_2) | instskip(NEXT) | instid1(VALU_DEP_2)
	v_add_f64_e32 v[14:15], 0, v[4:5]
	v_add_f64_e32 v[16:17], 0, v[42:43]
	s_and_saveexec_b32 s25, s6
	s_cbranch_execnz .LBB181_506
; %bb.292:                              ;   in Loop: Header=BB181_3 Depth=1
	s_or_b32 exec_lo, exec_lo, s25
	s_and_saveexec_b32 s25, s7
	s_cbranch_execnz .LBB181_507
.LBB181_293:                            ;   in Loop: Header=BB181_3 Depth=1
	s_or_b32 exec_lo, exec_lo, s25
	s_and_saveexec_b32 s25, s3
	s_cbranch_execz .LBB181_295
.LBB181_294:                            ;   in Loop: Header=BB181_3 Depth=1
	ds_load_b128 v[40:43], v2 offset:7920
	ds_load_b128 v[70:73], v48 offset:7808
	s_wait_dscnt 0x0
	v_mul_f64_e32 v[4:5], v[42:43], v[72:73]
	v_mul_f64_e32 v[44:45], v[40:41], v[72:73]
	s_delay_alu instid0(VALU_DEP_2) | instskip(NEXT) | instid1(VALU_DEP_2)
	v_fma_f64 v[4:5], v[40:41], v[70:71], -v[4:5]
	v_fmac_f64_e32 v[44:45], v[42:43], v[70:71]
	s_delay_alu instid0(VALU_DEP_2) | instskip(NEXT) | instid1(VALU_DEP_2)
	v_add_f64_e32 v[14:15], v[14:15], v[4:5]
	v_add_f64_e32 v[16:17], v[16:17], v[44:45]
.LBB181_295:                            ;   in Loop: Header=BB181_3 Depth=1
	s_or_b32 exec_lo, exec_lo, s25
.LBB181_296:                            ;   in Loop: Header=BB181_3 Depth=1
	s_delay_alu instid0(SALU_CYCLE_1)
	s_or_b32 exec_lo, exec_lo, s46
	s_and_saveexec_b32 s25, s75
	s_cbranch_execz .LBB181_298
; %bb.297:                              ;   in Loop: Header=BB181_3 Depth=1
	s_delay_alu instid0(VALU_DEP_1) | instskip(NEXT) | instid1(VALU_DEP_3)
	v_xor_b32_e32 v43, 0x80000000, v17
	v_xor_b32_e32 v41, 0x80000000, v15
	s_delay_alu instid0(VALU_DEP_3)
	v_dual_mov_b32 v40, v14 :: v_dual_mov_b32 v42, v16
	ds_store_b128 v50, v[40:43]
.LBB181_298:                            ;   in Loop: Header=BB181_3 Depth=1
	s_or_b32 exec_lo, exec_lo, s25
	s_wait_loadcnt_dscnt 0x0
	s_barrier_signal -1
	s_barrier_wait -1
	s_and_saveexec_b32 s25, s76
	s_cbranch_execz .LBB181_300
; %bb.299:                              ;   in Loop: Header=BB181_3 Depth=1
	ds_load_b128 v[40:43], v50
	ds_load_b128 v[70:73], v51 offset:5760
	s_wait_dscnt 0x0
	v_mul_f64_e32 v[4:5], v[42:43], v[72:73]
	v_mul_f64_e32 v[44:45], v[40:41], v[72:73]
	s_delay_alu instid0(VALU_DEP_2) | instskip(NEXT) | instid1(VALU_DEP_2)
	v_fma_f64 v[4:5], v[40:41], v[70:71], -v[4:5]
	v_fmac_f64_e32 v[44:45], v[42:43], v[70:71]
	s_delay_alu instid0(VALU_DEP_2) | instskip(NEXT) | instid1(VALU_DEP_2)
	v_add_f64_e64 v[14:15], v[14:15], -v[4:5]
	v_add_f64_e64 v[16:17], v[16:17], -v[44:45]
.LBB181_300:                            ;   in Loop: Header=BB181_3 Depth=1
	s_or_b32 exec_lo, exec_lo, s25
	s_barrier_signal -1
	s_barrier_wait -1
	s_and_saveexec_b32 s25, s77
	s_cbranch_execz .LBB181_302
; %bb.301:                              ;   in Loop: Header=BB181_3 Depth=1
	s_delay_alu instid0(VALU_DEP_1) | instskip(NEXT) | instid1(VALU_DEP_3)
	v_xor_b32_e32 v43, 0x80000000, v17
	v_xor_b32_e32 v41, 0x80000000, v15
	s_delay_alu instid0(VALU_DEP_3)
	v_dual_mov_b32 v40, v14 :: v_dual_mov_b32 v42, v16
	ds_store_b128 v50, v[40:43]
.LBB181_302:                            ;   in Loop: Header=BB181_3 Depth=1
	s_or_b32 exec_lo, exec_lo, s25
	s_wait_dscnt 0x0
	s_barrier_signal -1
	s_barrier_wait -1
	s_and_saveexec_b32 s25, s78
	s_cbranch_execz .LBB181_304
; %bb.303:                              ;   in Loop: Header=BB181_3 Depth=1
	ds_load_b128 v[40:43], v50
	ds_load_b128 v[70:73], v51 offset:5248
	s_wait_dscnt 0x0
	v_mul_f64_e32 v[4:5], v[42:43], v[72:73]
	v_mul_f64_e32 v[44:45], v[40:41], v[72:73]
	s_delay_alu instid0(VALU_DEP_2) | instskip(NEXT) | instid1(VALU_DEP_2)
	v_fma_f64 v[4:5], v[40:41], v[70:71], -v[4:5]
	v_fmac_f64_e32 v[44:45], v[42:43], v[70:71]
	s_delay_alu instid0(VALU_DEP_2) | instskip(NEXT) | instid1(VALU_DEP_2)
	v_add_f64_e64 v[14:15], v[14:15], -v[4:5]
	v_add_f64_e64 v[16:17], v[16:17], -v[44:45]
.LBB181_304:                            ;   in Loop: Header=BB181_3 Depth=1
	s_or_b32 exec_lo, exec_lo, s25
	s_barrier_signal -1
	s_barrier_wait -1
	s_and_saveexec_b32 s25, s79
	s_cbranch_execz .LBB181_306
; %bb.305:                              ;   in Loop: Header=BB181_3 Depth=1
	s_delay_alu instid0(VALU_DEP_1) | instskip(NEXT) | instid1(VALU_DEP_3)
	v_xor_b32_e32 v43, 0x80000000, v17
	v_xor_b32_e32 v41, 0x80000000, v15
	s_delay_alu instid0(VALU_DEP_3)
	v_dual_mov_b32 v40, v14 :: v_dual_mov_b32 v42, v16
	ds_store_b128 v50, v[40:43]
.LBB181_306:                            ;   in Loop: Header=BB181_3 Depth=1
	s_or_b32 exec_lo, exec_lo, s25
	s_wait_dscnt 0x0
	;; [unrolled: 32-line block ×3, first 2 shown]
	s_barrier_signal -1
	s_barrier_wait -1
	s_barrier_signal -1
	s_barrier_wait -1
	s_and_saveexec_b32 s25, s5
; %bb.311:                              ;   in Loop: Header=BB181_3 Depth=1
	ds_store_b128 v53, v[14:17] offset:7808
; %bb.312:                              ;   in Loop: Header=BB181_3 Depth=1
	s_or_b32 exec_lo, exec_lo, s25
	s_wait_dscnt 0x0
	s_barrier_signal -1
	s_barrier_wait -1
	s_barrier_signal -1
	s_barrier_wait -1
	s_and_saveexec_b32 s25, s29
	s_cbranch_execz .LBB181_314
; %bb.313:                              ;   in Loop: Header=BB181_3 Depth=1
	s_mov_b32 s52, s39
	s_mov_b32 s54, s39
	;; [unrolled: 1-line block ×3, first 2 shown]
	v_mov_b64_e32 v[14:15], s[52:53]
	v_mov_b64_e32 v[16:17], s[54:55]
	ds_store_b128 v2, v[14:17] offset:5280
	ds_store_b128 v2, v[14:17] offset:5808
.LBB181_314:                            ;   in Loop: Header=BB181_3 Depth=1
	s_or_b32 exec_lo, exec_lo, s25
	v_mov_b64_e32 v[14:15], 0
	v_mov_b64_e32 v[16:17], 0
	s_wait_dscnt 0x0
	s_barrier_signal -1
	s_barrier_wait -1
	global_wb scope:SCOPE_DEV
	s_wait_storecnt 0x0
	global_inv scope:SCOPE_DEV
	s_and_saveexec_b32 s46, s3
	s_cbranch_execz .LBB181_318
; %bb.315:                              ;   in Loop: Header=BB181_3 Depth=1
	ds_load_b128 v[14:17], v47 offset:5792
	ds_load_b128 v[40:43], v46 offset:5248
	s_wait_dscnt 0x0
	v_mul_f64_e32 v[4:5], v[16:17], v[42:43]
	v_mul_f64_e32 v[42:43], v[14:15], v[42:43]
	s_delay_alu instid0(VALU_DEP_2) | instskip(NEXT) | instid1(VALU_DEP_2)
	v_fma_f64 v[4:5], v[14:15], v[40:41], -v[4:5]
	v_fmac_f64_e32 v[42:43], v[16:17], v[40:41]
	s_delay_alu instid0(VALU_DEP_2) | instskip(NEXT) | instid1(VALU_DEP_2)
	v_add_f64_e32 v[14:15], 0, v[4:5]
	v_add_f64_e32 v[16:17], 0, v[42:43]
	s_and_saveexec_b32 s25, s4
	s_cbranch_execz .LBB181_317
; %bb.316:                              ;   in Loop: Header=BB181_3 Depth=1
	ds_load_b128 v[40:43], v2 offset:5808
	ds_load_b128 v[70:73], v48 offset:5760
	s_wait_dscnt 0x0
	v_mul_f64_e32 v[4:5], v[42:43], v[72:73]
	v_mul_f64_e32 v[44:45], v[40:41], v[72:73]
	s_delay_alu instid0(VALU_DEP_2) | instskip(NEXT) | instid1(VALU_DEP_2)
	v_fma_f64 v[4:5], v[40:41], v[70:71], -v[4:5]
	v_fmac_f64_e32 v[44:45], v[42:43], v[70:71]
	s_delay_alu instid0(VALU_DEP_2) | instskip(NEXT) | instid1(VALU_DEP_2)
	v_add_f64_e32 v[14:15], v[14:15], v[4:5]
	v_add_f64_e32 v[16:17], v[16:17], v[44:45]
.LBB181_317:                            ;   in Loop: Header=BB181_3 Depth=1
	s_or_b32 exec_lo, exec_lo, s25
.LBB181_318:                            ;   in Loop: Header=BB181_3 Depth=1
	s_delay_alu instid0(SALU_CYCLE_1)
	s_or_b32 exec_lo, exec_lo, s46
	s_and_saveexec_b32 s25, s73
	s_cbranch_execz .LBB181_320
; %bb.319:                              ;   in Loop: Header=BB181_3 Depth=1
	s_delay_alu instid0(VALU_DEP_2) | instskip(NEXT) | instid1(VALU_DEP_2)
	v_xor_b32_e32 v41, 0x80000000, v15
	v_xor_b32_e32 v43, 0x80000000, v17
	s_delay_alu instid0(VALU_DEP_3)
	v_dual_mov_b32 v40, v14 :: v_dual_mov_b32 v42, v16
	ds_store_b128 v25, v[40:43]
.LBB181_320:                            ;   in Loop: Header=BB181_3 Depth=1
	s_or_b32 exec_lo, exec_lo, s25
	s_wait_loadcnt_dscnt 0x0
	s_barrier_signal -1
	s_barrier_wait -1
	s_and_saveexec_b32 s25, s74
	s_cbranch_execz .LBB181_322
; %bb.321:                              ;   in Loop: Header=BB181_3 Depth=1
	ds_load_b128 v[40:43], v25
	ds_load_b128 v[70:73], v2 offset:4736
	s_wait_dscnt 0x0
	v_mul_f64_e32 v[4:5], v[40:41], v[70:71]
	v_mul_f64_e32 v[40:41], v[40:41], v[72:73]
	s_delay_alu instid0(VALU_DEP_2) | instskip(NEXT) | instid1(VALU_DEP_2)
	v_fma_f64 v[4:5], v[42:43], v[72:73], -v[4:5]
	v_fmac_f64_e32 v[40:41], v[42:43], v[70:71]
	s_delay_alu instid0(VALU_DEP_2) | instskip(NEXT) | instid1(VALU_DEP_2)
	v_add_f64_e32 v[14:15], v[14:15], v[4:5]
	v_add_f64_e64 v[16:17], v[16:17], -v[40:41]
.LBB181_322:                            ;   in Loop: Header=BB181_3 Depth=1
	s_or_b32 exec_lo, exec_lo, s25
	s_barrier_signal -1
	s_barrier_wait -1
	s_and_saveexec_b32 s25, s74
	s_cbranch_execz .LBB181_324
; %bb.323:                              ;   in Loop: Header=BB181_3 Depth=1
	s_delay_alu instid0(VALU_DEP_2) | instskip(NEXT) | instid1(VALU_DEP_2)
	v_xor_b32_e32 v41, 0x80000000, v15
	v_xor_b32_e32 v43, 0x80000000, v17
	s_delay_alu instid0(VALU_DEP_3)
	v_dual_mov_b32 v40, v14 :: v_dual_mov_b32 v42, v16
	ds_store_b128 v25, v[40:43]
.LBB181_324:                            ;   in Loop: Header=BB181_3 Depth=1
	s_or_b32 exec_lo, exec_lo, s25
	s_wait_dscnt 0x0
	s_barrier_signal -1
	s_barrier_wait -1
	s_barrier_signal -1
	s_barrier_wait -1
	s_and_saveexec_b32 s25, s3
; %bb.325:                              ;   in Loop: Header=BB181_3 Depth=1
	ds_store_b128 v49, v[14:17] offset:5760
; %bb.326:                              ;   in Loop: Header=BB181_3 Depth=1
	s_or_b32 exec_lo, exec_lo, s25
	s_wait_dscnt 0x0
	s_barrier_signal -1
	s_barrier_wait -1
	s_barrier_signal -1
	s_barrier_wait -1
	s_and_saveexec_b32 s25, s29
	s_cbranch_execz .LBB181_328
; %bb.327:                              ;   in Loop: Header=BB181_3 Depth=1
	s_mov_b32 s52, s39
	s_mov_b32 s54, s39
	;; [unrolled: 1-line block ×3, first 2 shown]
	v_mov_b64_e32 v[14:15], s[52:53]
	v_mov_b64_e32 v[16:17], s[54:55]
	ds_store_b128 v2, v[14:17] offset:4224
	ds_store_b128 v2, v[14:17] offset:4752
.LBB181_328:                            ;   in Loop: Header=BB181_3 Depth=1
	s_or_b32 exec_lo, exec_lo, s25
	v_mov_b64_e32 v[16:17], 0
	v_mov_b64_e32 v[14:15], 0
	s_wait_dscnt 0x0
	s_barrier_signal -1
	s_barrier_wait -1
	global_wb scope:SCOPE_DEV
	s_wait_storecnt 0x0
	global_inv scope:SCOPE_DEV
	s_and_saveexec_b32 s46, s8
	s_cbranch_execz .LBB181_342
; %bb.329:                              ;   in Loop: Header=BB181_3 Depth=1
	ds_load_b128 v[14:17], v56 offset:7808
	ds_load_b128 v[40:43], v55 offset:4096
	v_readlane_b32 s24, v76, 0
	s_wait_dscnt 0x0
	v_mul_f64_e32 v[4:5], v[16:17], v[42:43]
	v_mul_f64_e32 v[42:43], v[14:15], v[42:43]
	s_delay_alu instid0(VALU_DEP_2) | instskip(NEXT) | instid1(VALU_DEP_2)
	v_fma_f64 v[4:5], v[14:15], v[40:41], -v[4:5]
	v_fmac_f64_e32 v[42:43], v[16:17], v[40:41]
	s_delay_alu instid0(VALU_DEP_2) | instskip(NEXT) | instid1(VALU_DEP_2)
	v_add_f64_e32 v[14:15], 0, v[4:5]
	v_add_f64_e32 v[16:17], 0, v[42:43]
	s_and_saveexec_b32 s25, s24
	s_cbranch_execz .LBB181_331
; %bb.330:                              ;   in Loop: Header=BB181_3 Depth=1
	ds_load_b128 v[40:43], v56 offset:7824
	ds_load_b128 v[70:73], v55 offset:4608
	s_wait_dscnt 0x0
	v_mul_f64_e32 v[4:5], v[42:43], v[72:73]
	v_mul_f64_e32 v[44:45], v[40:41], v[72:73]
	s_delay_alu instid0(VALU_DEP_2) | instskip(NEXT) | instid1(VALU_DEP_2)
	v_fma_f64 v[4:5], v[40:41], v[70:71], -v[4:5]
	v_fmac_f64_e32 v[44:45], v[42:43], v[70:71]
	s_delay_alu instid0(VALU_DEP_2) | instskip(NEXT) | instid1(VALU_DEP_2)
	v_add_f64_e32 v[14:15], v[14:15], v[4:5]
	v_add_f64_e32 v[16:17], v[16:17], v[44:45]
.LBB181_331:                            ;   in Loop: Header=BB181_3 Depth=1
	s_or_b32 exec_lo, exec_lo, s25
	s_and_saveexec_b32 s25, s10
	s_cbranch_execz .LBB181_333
; %bb.332:                              ;   in Loop: Header=BB181_3 Depth=1
	ds_load_b128 v[40:43], v56 offset:7840
	ds_load_b128 v[70:73], v55 offset:5120
	s_wait_dscnt 0x0
	v_mul_f64_e32 v[4:5], v[42:43], v[72:73]
	v_mul_f64_e32 v[44:45], v[40:41], v[72:73]
	s_delay_alu instid0(VALU_DEP_2) | instskip(NEXT) | instid1(VALU_DEP_2)
	v_fma_f64 v[4:5], v[40:41], v[70:71], -v[4:5]
	v_fmac_f64_e32 v[44:45], v[42:43], v[70:71]
	s_delay_alu instid0(VALU_DEP_2) | instskip(NEXT) | instid1(VALU_DEP_2)
	v_add_f64_e32 v[14:15], v[14:15], v[4:5]
	v_add_f64_e32 v[16:17], v[16:17], v[44:45]
.LBB181_333:                            ;   in Loop: Header=BB181_3 Depth=1
	s_or_b32 exec_lo, exec_lo, s25
	v_readlane_b32 s24, v76, 1
	s_and_saveexec_b32 s25, s24
	s_cbranch_execz .LBB181_335
; %bb.334:                              ;   in Loop: Header=BB181_3 Depth=1
	ds_load_b128 v[40:43], v56 offset:7856
	ds_load_b128 v[70:73], v55 offset:5632
	s_wait_dscnt 0x0
	v_mul_f64_e32 v[4:5], v[42:43], v[72:73]
	v_mul_f64_e32 v[44:45], v[40:41], v[72:73]
	s_delay_alu instid0(VALU_DEP_2) | instskip(NEXT) | instid1(VALU_DEP_2)
	v_fma_f64 v[4:5], v[40:41], v[70:71], -v[4:5]
	v_fmac_f64_e32 v[44:45], v[42:43], v[70:71]
	s_delay_alu instid0(VALU_DEP_2) | instskip(NEXT) | instid1(VALU_DEP_2)
	v_add_f64_e32 v[14:15], v[14:15], v[4:5]
	v_add_f64_e32 v[16:17], v[16:17], v[44:45]
.LBB181_335:                            ;   in Loop: Header=BB181_3 Depth=1
	s_or_b32 exec_lo, exec_lo, s25
	s_and_saveexec_b32 s25, s12
	s_cbranch_execz .LBB181_337
; %bb.336:                              ;   in Loop: Header=BB181_3 Depth=1
	ds_load_b128 v[40:43], v56 offset:7872
	ds_load_b128 v[70:73], v55 offset:6144
	s_wait_dscnt 0x0
	v_mul_f64_e32 v[4:5], v[42:43], v[72:73]
	v_mul_f64_e32 v[44:45], v[40:41], v[72:73]
	s_delay_alu instid0(VALU_DEP_2) | instskip(NEXT) | instid1(VALU_DEP_2)
	v_fma_f64 v[4:5], v[40:41], v[70:71], -v[4:5]
	v_fmac_f64_e32 v[44:45], v[42:43], v[70:71]
	s_delay_alu instid0(VALU_DEP_2) | instskip(NEXT) | instid1(VALU_DEP_2)
	v_add_f64_e32 v[14:15], v[14:15], v[4:5]
	v_add_f64_e32 v[16:17], v[16:17], v[44:45]
.LBB181_337:                            ;   in Loop: Header=BB181_3 Depth=1
	s_or_b32 exec_lo, exec_lo, s25
	v_readlane_b32 s24, v76, 2
	s_and_saveexec_b32 s25, s24
	s_cbranch_execnz .LBB181_508
; %bb.338:                              ;   in Loop: Header=BB181_3 Depth=1
	s_or_b32 exec_lo, exec_lo, s25
	s_and_saveexec_b32 s25, s5
	s_cbranch_execnz .LBB181_509
.LBB181_339:                            ;   in Loop: Header=BB181_3 Depth=1
	s_or_b32 exec_lo, exec_lo, s25
	s_and_saveexec_b32 s25, s7
	s_cbranch_execz .LBB181_341
.LBB181_340:                            ;   in Loop: Header=BB181_3 Depth=1
	ds_load_b128 v[40:43], v2 offset:7920
	ds_load_b128 v[70:73], v48 offset:7680
	s_wait_dscnt 0x0
	v_mul_f64_e32 v[4:5], v[42:43], v[72:73]
	v_mul_f64_e32 v[44:45], v[40:41], v[72:73]
	s_delay_alu instid0(VALU_DEP_2) | instskip(NEXT) | instid1(VALU_DEP_2)
	v_fma_f64 v[4:5], v[40:41], v[70:71], -v[4:5]
	v_fmac_f64_e32 v[44:45], v[42:43], v[70:71]
	s_delay_alu instid0(VALU_DEP_2) | instskip(NEXT) | instid1(VALU_DEP_2)
	v_add_f64_e32 v[14:15], v[14:15], v[4:5]
	v_add_f64_e32 v[16:17], v[16:17], v[44:45]
.LBB181_341:                            ;   in Loop: Header=BB181_3 Depth=1
	s_or_b32 exec_lo, exec_lo, s25
.LBB181_342:                            ;   in Loop: Header=BB181_3 Depth=1
	s_delay_alu instid0(SALU_CYCLE_1)
	s_or_b32 exec_lo, exec_lo, s46
	s_and_saveexec_b32 s25, s81
	s_cbranch_execz .LBB181_344
; %bb.343:                              ;   in Loop: Header=BB181_3 Depth=1
	s_delay_alu instid0(VALU_DEP_2) | instskip(NEXT) | instid1(VALU_DEP_2)
	v_xor_b32_e32 v41, 0x80000000, v15
	v_xor_b32_e32 v43, 0x80000000, v17
	s_delay_alu instid0(VALU_DEP_3)
	v_dual_mov_b32 v40, v14 :: v_dual_mov_b32 v42, v16
	ds_store_b128 v54, v[40:43]
.LBB181_344:                            ;   in Loop: Header=BB181_3 Depth=1
	s_or_b32 exec_lo, exec_lo, s25
	s_wait_loadcnt_dscnt 0x0
	s_barrier_signal -1
	s_barrier_wait -1
	s_and_saveexec_b32 s25, s82
	s_cbranch_execz .LBB181_346
; %bb.345:                              ;   in Loop: Header=BB181_3 Depth=1
	ds_load_b128 v[40:43], v54
	ds_load_b128 v[70:73], v55 offset:3584
	s_wait_dscnt 0x0
	v_mul_f64_e32 v[4:5], v[42:43], v[72:73]
	v_mul_f64_e32 v[44:45], v[40:41], v[72:73]
	s_delay_alu instid0(VALU_DEP_2) | instskip(NEXT) | instid1(VALU_DEP_2)
	v_fma_f64 v[4:5], v[40:41], v[70:71], -v[4:5]
	v_fmac_f64_e32 v[44:45], v[42:43], v[70:71]
	s_delay_alu instid0(VALU_DEP_2) | instskip(NEXT) | instid1(VALU_DEP_2)
	v_add_f64_e64 v[14:15], v[14:15], -v[4:5]
	v_add_f64_e64 v[16:17], v[16:17], -v[44:45]
.LBB181_346:                            ;   in Loop: Header=BB181_3 Depth=1
	s_or_b32 exec_lo, exec_lo, s25
	s_barrier_signal -1
	s_barrier_wait -1
	s_and_saveexec_b32 s25, s83
	s_cbranch_execz .LBB181_348
; %bb.347:                              ;   in Loop: Header=BB181_3 Depth=1
	s_delay_alu instid0(VALU_DEP_2) | instskip(NEXT) | instid1(VALU_DEP_2)
	v_xor_b32_e32 v41, 0x80000000, v15
	v_xor_b32_e32 v43, 0x80000000, v17
	s_delay_alu instid0(VALU_DEP_3)
	v_dual_mov_b32 v40, v14 :: v_dual_mov_b32 v42, v16
	ds_store_b128 v54, v[40:43]
.LBB181_348:                            ;   in Loop: Header=BB181_3 Depth=1
	s_or_b32 exec_lo, exec_lo, s25
	s_wait_dscnt 0x0
	s_barrier_signal -1
	s_barrier_wait -1
	s_and_saveexec_b32 s25, s84
	s_cbranch_execz .LBB181_350
; %bb.349:                              ;   in Loop: Header=BB181_3 Depth=1
	ds_load_b128 v[40:43], v54
	ds_load_b128 v[70:73], v55 offset:3072
	s_wait_dscnt 0x0
	v_mul_f64_e32 v[4:5], v[42:43], v[72:73]
	v_mul_f64_e32 v[44:45], v[40:41], v[72:73]
	s_delay_alu instid0(VALU_DEP_2) | instskip(NEXT) | instid1(VALU_DEP_2)
	v_fma_f64 v[4:5], v[40:41], v[70:71], -v[4:5]
	v_fmac_f64_e32 v[44:45], v[42:43], v[70:71]
	s_delay_alu instid0(VALU_DEP_2) | instskip(NEXT) | instid1(VALU_DEP_2)
	v_add_f64_e64 v[14:15], v[14:15], -v[4:5]
	v_add_f64_e64 v[16:17], v[16:17], -v[44:45]
.LBB181_350:                            ;   in Loop: Header=BB181_3 Depth=1
	s_or_b32 exec_lo, exec_lo, s25
	s_barrier_signal -1
	s_barrier_wait -1
	s_and_saveexec_b32 s25, s85
	s_cbranch_execz .LBB181_352
; %bb.351:                              ;   in Loop: Header=BB181_3 Depth=1
	s_delay_alu instid0(VALU_DEP_2) | instskip(NEXT) | instid1(VALU_DEP_2)
	v_xor_b32_e32 v41, 0x80000000, v15
	v_xor_b32_e32 v43, 0x80000000, v17
	s_delay_alu instid0(VALU_DEP_3)
	v_dual_mov_b32 v40, v14 :: v_dual_mov_b32 v42, v16
	ds_store_b128 v54, v[40:43]
.LBB181_352:                            ;   in Loop: Header=BB181_3 Depth=1
	s_or_b32 exec_lo, exec_lo, s25
	s_wait_dscnt 0x0
	;; [unrolled: 32-line block ×7, first 2 shown]
	s_barrier_signal -1
	s_barrier_wait -1
	s_barrier_signal -1
	s_barrier_wait -1
	s_and_saveexec_b32 s25, s8
; %bb.373:                              ;   in Loop: Header=BB181_3 Depth=1
	ds_store_b128 v57, v[14:17] offset:7680
; %bb.374:                              ;   in Loop: Header=BB181_3 Depth=1
	s_or_b32 exec_lo, exec_lo, s25
	s_wait_dscnt 0x0
	s_barrier_signal -1
	s_barrier_wait -1
	s_barrier_signal -1
	s_barrier_wait -1
	s_and_saveexec_b32 s25, s29
	s_cbranch_execz .LBB181_376
; %bb.375:                              ;   in Loop: Header=BB181_3 Depth=1
	s_mov_b32 s52, s39
	s_mov_b32 s54, s39
	;; [unrolled: 1-line block ×3, first 2 shown]
	v_mov_b64_e32 v[14:15], s[52:53]
	v_mov_b64_e32 v[16:17], s[54:55]
	ds_store_b128 v2, v[14:17] offset:3168
	ds_store_b128 v2, v[14:17] offset:3696
.LBB181_376:                            ;   in Loop: Header=BB181_3 Depth=1
	s_or_b32 exec_lo, exec_lo, s25
	v_mov_b64_e32 v[14:15], 0
	v_mov_b64_e32 v[16:17], 0
	s_wait_dscnt 0x0
	s_barrier_signal -1
	s_barrier_wait -1
	global_wb scope:SCOPE_DEV
	s_wait_storecnt 0x0
	global_inv scope:SCOPE_DEV
	s_and_saveexec_b32 s46, s3
	s_cbranch_execz .LBB181_380
; %bb.377:                              ;   in Loop: Header=BB181_3 Depth=1
	ds_load_b128 v[14:17], v47 offset:3680
	ds_load_b128 v[40:43], v46 offset:3136
	s_wait_dscnt 0x0
	v_mul_f64_e32 v[4:5], v[16:17], v[42:43]
	v_mul_f64_e32 v[42:43], v[14:15], v[42:43]
	s_delay_alu instid0(VALU_DEP_2) | instskip(NEXT) | instid1(VALU_DEP_2)
	v_fma_f64 v[4:5], v[14:15], v[40:41], -v[4:5]
	v_fmac_f64_e32 v[42:43], v[16:17], v[40:41]
	s_delay_alu instid0(VALU_DEP_2) | instskip(NEXT) | instid1(VALU_DEP_2)
	v_add_f64_e32 v[14:15], 0, v[4:5]
	v_add_f64_e32 v[16:17], 0, v[42:43]
	s_and_saveexec_b32 s25, s4
	s_cbranch_execz .LBB181_379
; %bb.378:                              ;   in Loop: Header=BB181_3 Depth=1
	ds_load_b128 v[40:43], v2 offset:3696
	ds_load_b128 v[70:73], v48 offset:3648
	s_wait_dscnt 0x0
	v_mul_f64_e32 v[4:5], v[42:43], v[72:73]
	v_mul_f64_e32 v[44:45], v[40:41], v[72:73]
	s_delay_alu instid0(VALU_DEP_2) | instskip(NEXT) | instid1(VALU_DEP_2)
	v_fma_f64 v[4:5], v[40:41], v[70:71], -v[4:5]
	v_fmac_f64_e32 v[44:45], v[42:43], v[70:71]
	s_delay_alu instid0(VALU_DEP_2) | instskip(NEXT) | instid1(VALU_DEP_2)
	v_add_f64_e32 v[14:15], v[14:15], v[4:5]
	v_add_f64_e32 v[16:17], v[16:17], v[44:45]
.LBB181_379:                            ;   in Loop: Header=BB181_3 Depth=1
	s_or_b32 exec_lo, exec_lo, s25
.LBB181_380:                            ;   in Loop: Header=BB181_3 Depth=1
	s_delay_alu instid0(SALU_CYCLE_1)
	s_or_b32 exec_lo, exec_lo, s46
	s_and_saveexec_b32 s25, s73
	s_cbranch_execz .LBB181_382
; %bb.381:                              ;   in Loop: Header=BB181_3 Depth=1
	s_delay_alu instid0(VALU_DEP_2) | instskip(NEXT) | instid1(VALU_DEP_2)
	v_xor_b32_e32 v41, 0x80000000, v15
	v_xor_b32_e32 v43, 0x80000000, v17
	s_delay_alu instid0(VALU_DEP_3)
	v_dual_mov_b32 v40, v14 :: v_dual_mov_b32 v42, v16
	ds_store_b128 v25, v[40:43]
.LBB181_382:                            ;   in Loop: Header=BB181_3 Depth=1
	s_or_b32 exec_lo, exec_lo, s25
	s_wait_loadcnt_dscnt 0x0
	s_barrier_signal -1
	s_barrier_wait -1
	s_and_saveexec_b32 s25, s74
	s_cbranch_execz .LBB181_384
; %bb.383:                              ;   in Loop: Header=BB181_3 Depth=1
	ds_load_b128 v[40:43], v25
	ds_load_b128 v[70:73], v2 offset:2624
	s_wait_dscnt 0x0
	v_mul_f64_e32 v[4:5], v[40:41], v[70:71]
	v_mul_f64_e32 v[40:41], v[40:41], v[72:73]
	s_delay_alu instid0(VALU_DEP_2) | instskip(NEXT) | instid1(VALU_DEP_2)
	v_fma_f64 v[4:5], v[42:43], v[72:73], -v[4:5]
	v_fmac_f64_e32 v[40:41], v[42:43], v[70:71]
	s_delay_alu instid0(VALU_DEP_2) | instskip(NEXT) | instid1(VALU_DEP_2)
	v_add_f64_e32 v[14:15], v[14:15], v[4:5]
	v_add_f64_e64 v[16:17], v[16:17], -v[40:41]
.LBB181_384:                            ;   in Loop: Header=BB181_3 Depth=1
	s_or_b32 exec_lo, exec_lo, s25
	s_barrier_signal -1
	s_barrier_wait -1
	s_and_saveexec_b32 s25, s74
	s_cbranch_execz .LBB181_386
; %bb.385:                              ;   in Loop: Header=BB181_3 Depth=1
	s_delay_alu instid0(VALU_DEP_2) | instskip(NEXT) | instid1(VALU_DEP_2)
	v_xor_b32_e32 v41, 0x80000000, v15
	v_xor_b32_e32 v43, 0x80000000, v17
	s_delay_alu instid0(VALU_DEP_3)
	v_dual_mov_b32 v40, v14 :: v_dual_mov_b32 v42, v16
	ds_store_b128 v25, v[40:43]
.LBB181_386:                            ;   in Loop: Header=BB181_3 Depth=1
	s_or_b32 exec_lo, exec_lo, s25
	s_wait_dscnt 0x0
	s_barrier_signal -1
	s_barrier_wait -1
	s_barrier_signal -1
	s_barrier_wait -1
	s_and_saveexec_b32 s25, s3
; %bb.387:                              ;   in Loop: Header=BB181_3 Depth=1
	ds_store_b128 v49, v[14:17] offset:3648
; %bb.388:                              ;   in Loop: Header=BB181_3 Depth=1
	s_or_b32 exec_lo, exec_lo, s25
	s_wait_dscnt 0x0
	s_barrier_signal -1
	s_barrier_wait -1
	s_barrier_signal -1
	s_barrier_wait -1
	s_and_saveexec_b32 s25, s29
	s_cbranch_execz .LBB181_390
; %bb.389:                              ;   in Loop: Header=BB181_3 Depth=1
	s_mov_b32 s52, s39
	s_mov_b32 s54, s39
	;; [unrolled: 1-line block ×3, first 2 shown]
	v_mov_b64_e32 v[14:15], s[52:53]
	v_mov_b64_e32 v[16:17], s[54:55]
	ds_store_b128 v2, v[14:17] offset:2112
	ds_store_b128 v2, v[14:17] offset:2640
.LBB181_390:                            ;   in Loop: Header=BB181_3 Depth=1
	s_or_b32 exec_lo, exec_lo, s25
	v_mov_b64_e32 v[16:17], 0
	v_mov_b64_e32 v[14:15], 0
	s_wait_dscnt 0x0
	s_barrier_signal -1
	s_barrier_wait -1
	global_wb scope:SCOPE_DEV
	s_wait_storecnt 0x0
	global_inv scope:SCOPE_DEV
	s_and_saveexec_b32 s46, s5
	s_cbranch_execz .LBB181_396
; %bb.391:                              ;   in Loop: Header=BB181_3 Depth=1
	ds_load_b128 v[14:17], v52 offset:3648
	ds_load_b128 v[40:43], v51 offset:2048
	s_wait_dscnt 0x0
	v_mul_f64_e32 v[4:5], v[16:17], v[42:43]
	v_mul_f64_e32 v[42:43], v[14:15], v[42:43]
	s_delay_alu instid0(VALU_DEP_2) | instskip(NEXT) | instid1(VALU_DEP_2)
	v_fma_f64 v[4:5], v[14:15], v[40:41], -v[4:5]
	v_fmac_f64_e32 v[42:43], v[16:17], v[40:41]
	s_delay_alu instid0(VALU_DEP_2) | instskip(NEXT) | instid1(VALU_DEP_2)
	v_add_f64_e32 v[14:15], 0, v[4:5]
	v_add_f64_e32 v[16:17], 0, v[42:43]
	s_and_saveexec_b32 s25, s6
	s_cbranch_execnz .LBB181_510
; %bb.392:                              ;   in Loop: Header=BB181_3 Depth=1
	s_or_b32 exec_lo, exec_lo, s25
	s_and_saveexec_b32 s25, s7
	s_cbranch_execnz .LBB181_511
.LBB181_393:                            ;   in Loop: Header=BB181_3 Depth=1
	s_or_b32 exec_lo, exec_lo, s25
	s_and_saveexec_b32 s25, s3
	s_cbranch_execz .LBB181_395
.LBB181_394:                            ;   in Loop: Header=BB181_3 Depth=1
	ds_load_b128 v[40:43], v2 offset:3696
	ds_load_b128 v[70:73], v48 offset:3584
	s_wait_dscnt 0x0
	v_mul_f64_e32 v[4:5], v[42:43], v[72:73]
	v_mul_f64_e32 v[44:45], v[40:41], v[72:73]
	s_delay_alu instid0(VALU_DEP_2) | instskip(NEXT) | instid1(VALU_DEP_2)
	v_fma_f64 v[4:5], v[40:41], v[70:71], -v[4:5]
	v_fmac_f64_e32 v[44:45], v[42:43], v[70:71]
	s_delay_alu instid0(VALU_DEP_2) | instskip(NEXT) | instid1(VALU_DEP_2)
	v_add_f64_e32 v[14:15], v[14:15], v[4:5]
	v_add_f64_e32 v[16:17], v[16:17], v[44:45]
.LBB181_395:                            ;   in Loop: Header=BB181_3 Depth=1
	s_or_b32 exec_lo, exec_lo, s25
.LBB181_396:                            ;   in Loop: Header=BB181_3 Depth=1
	s_delay_alu instid0(SALU_CYCLE_1)
	s_or_b32 exec_lo, exec_lo, s46
	s_and_saveexec_b32 s25, s75
	s_cbranch_execz .LBB181_398
; %bb.397:                              ;   in Loop: Header=BB181_3 Depth=1
	s_delay_alu instid0(VALU_DEP_1) | instskip(NEXT) | instid1(VALU_DEP_3)
	v_xor_b32_e32 v43, 0x80000000, v17
	v_xor_b32_e32 v41, 0x80000000, v15
	s_delay_alu instid0(VALU_DEP_3)
	v_dual_mov_b32 v40, v14 :: v_dual_mov_b32 v42, v16
	ds_store_b128 v50, v[40:43]
.LBB181_398:                            ;   in Loop: Header=BB181_3 Depth=1
	s_or_b32 exec_lo, exec_lo, s25
	s_wait_loadcnt_dscnt 0x0
	s_barrier_signal -1
	s_barrier_wait -1
	s_and_saveexec_b32 s25, s76
	s_cbranch_execz .LBB181_400
; %bb.399:                              ;   in Loop: Header=BB181_3 Depth=1
	ds_load_b128 v[40:43], v50
	ds_load_b128 v[70:73], v51 offset:1536
	s_wait_dscnt 0x0
	v_mul_f64_e32 v[4:5], v[42:43], v[72:73]
	v_mul_f64_e32 v[44:45], v[40:41], v[72:73]
	s_delay_alu instid0(VALU_DEP_2) | instskip(NEXT) | instid1(VALU_DEP_2)
	v_fma_f64 v[4:5], v[40:41], v[70:71], -v[4:5]
	v_fmac_f64_e32 v[44:45], v[42:43], v[70:71]
	s_delay_alu instid0(VALU_DEP_2) | instskip(NEXT) | instid1(VALU_DEP_2)
	v_add_f64_e64 v[14:15], v[14:15], -v[4:5]
	v_add_f64_e64 v[16:17], v[16:17], -v[44:45]
.LBB181_400:                            ;   in Loop: Header=BB181_3 Depth=1
	s_or_b32 exec_lo, exec_lo, s25
	s_barrier_signal -1
	s_barrier_wait -1
	s_and_saveexec_b32 s25, s77
	s_cbranch_execz .LBB181_402
; %bb.401:                              ;   in Loop: Header=BB181_3 Depth=1
	s_delay_alu instid0(VALU_DEP_1) | instskip(NEXT) | instid1(VALU_DEP_3)
	v_xor_b32_e32 v43, 0x80000000, v17
	v_xor_b32_e32 v41, 0x80000000, v15
	s_delay_alu instid0(VALU_DEP_3)
	v_dual_mov_b32 v40, v14 :: v_dual_mov_b32 v42, v16
	ds_store_b128 v50, v[40:43]
.LBB181_402:                            ;   in Loop: Header=BB181_3 Depth=1
	s_or_b32 exec_lo, exec_lo, s25
	s_wait_dscnt 0x0
	s_barrier_signal -1
	s_barrier_wait -1
	s_and_saveexec_b32 s25, s78
	s_cbranch_execz .LBB181_404
; %bb.403:                              ;   in Loop: Header=BB181_3 Depth=1
	ds_load_b128 v[40:43], v50
	ds_load_b128 v[70:73], v51 offset:1024
	s_wait_dscnt 0x0
	v_mul_f64_e32 v[4:5], v[42:43], v[72:73]
	v_mul_f64_e32 v[44:45], v[40:41], v[72:73]
	s_delay_alu instid0(VALU_DEP_2) | instskip(NEXT) | instid1(VALU_DEP_2)
	v_fma_f64 v[4:5], v[40:41], v[70:71], -v[4:5]
	v_fmac_f64_e32 v[44:45], v[42:43], v[70:71]
	s_delay_alu instid0(VALU_DEP_2) | instskip(NEXT) | instid1(VALU_DEP_2)
	v_add_f64_e64 v[14:15], v[14:15], -v[4:5]
	v_add_f64_e64 v[16:17], v[16:17], -v[44:45]
.LBB181_404:                            ;   in Loop: Header=BB181_3 Depth=1
	s_or_b32 exec_lo, exec_lo, s25
	s_barrier_signal -1
	s_barrier_wait -1
	s_and_saveexec_b32 s25, s79
	s_cbranch_execz .LBB181_406
; %bb.405:                              ;   in Loop: Header=BB181_3 Depth=1
	s_delay_alu instid0(VALU_DEP_1) | instskip(NEXT) | instid1(VALU_DEP_3)
	v_xor_b32_e32 v43, 0x80000000, v17
	v_xor_b32_e32 v41, 0x80000000, v15
	s_delay_alu instid0(VALU_DEP_3)
	v_dual_mov_b32 v40, v14 :: v_dual_mov_b32 v42, v16
	ds_store_b128 v50, v[40:43]
.LBB181_406:                            ;   in Loop: Header=BB181_3 Depth=1
	s_or_b32 exec_lo, exec_lo, s25
	s_wait_dscnt 0x0
	;; [unrolled: 32-line block ×3, first 2 shown]
	s_barrier_signal -1
	s_barrier_wait -1
	s_barrier_signal -1
	s_barrier_wait -1
	s_and_saveexec_b32 s25, s5
; %bb.411:                              ;   in Loop: Header=BB181_3 Depth=1
	ds_store_b128 v53, v[14:17] offset:3584
; %bb.412:                              ;   in Loop: Header=BB181_3 Depth=1
	s_or_b32 exec_lo, exec_lo, s25
	s_wait_dscnt 0x0
	s_barrier_signal -1
	s_barrier_wait -1
	s_barrier_signal -1
	s_barrier_wait -1
	s_and_saveexec_b32 s25, s29
	s_cbranch_execz .LBB181_414
; %bb.413:                              ;   in Loop: Header=BB181_3 Depth=1
	s_mov_b32 s52, s39
	s_mov_b32 s54, s39
	;; [unrolled: 1-line block ×3, first 2 shown]
	v_mov_b64_e32 v[14:15], s[52:53]
	v_mov_b64_e32 v[16:17], s[54:55]
	ds_store_b128 v2, v[14:17] offset:1056
	ds_store_b128 v2, v[14:17] offset:1584
.LBB181_414:                            ;   in Loop: Header=BB181_3 Depth=1
	s_or_b32 exec_lo, exec_lo, s25
	v_mov_b64_e32 v[14:15], 0
	v_mov_b64_e32 v[16:17], 0
	s_wait_dscnt 0x0
	s_barrier_signal -1
	s_barrier_wait -1
	global_wb scope:SCOPE_DEV
	s_wait_storecnt 0x0
	global_inv scope:SCOPE_DEV
	s_and_saveexec_b32 s46, s3
	s_cbranch_execz .LBB181_418
; %bb.415:                              ;   in Loop: Header=BB181_3 Depth=1
	ds_load_b128 v[14:17], v47 offset:1568
	ds_load_b128 v[40:43], v46 offset:1024
	s_wait_dscnt 0x0
	v_mul_f64_e32 v[4:5], v[16:17], v[42:43]
	v_mul_f64_e32 v[42:43], v[14:15], v[42:43]
	s_delay_alu instid0(VALU_DEP_2) | instskip(NEXT) | instid1(VALU_DEP_2)
	v_fma_f64 v[4:5], v[14:15], v[40:41], -v[4:5]
	v_fmac_f64_e32 v[42:43], v[16:17], v[40:41]
	s_delay_alu instid0(VALU_DEP_2) | instskip(NEXT) | instid1(VALU_DEP_2)
	v_add_f64_e32 v[14:15], 0, v[4:5]
	v_add_f64_e32 v[16:17], 0, v[42:43]
	s_and_saveexec_b32 s25, s4
	s_cbranch_execz .LBB181_417
; %bb.416:                              ;   in Loop: Header=BB181_3 Depth=1
	ds_load_b128 v[40:43], v2 offset:1584
	ds_load_b128 v[70:73], v48 offset:1536
	s_wait_dscnt 0x0
	v_mul_f64_e32 v[4:5], v[42:43], v[72:73]
	v_mul_f64_e32 v[44:45], v[40:41], v[72:73]
	s_delay_alu instid0(VALU_DEP_2) | instskip(NEXT) | instid1(VALU_DEP_2)
	v_fma_f64 v[4:5], v[40:41], v[70:71], -v[4:5]
	v_fmac_f64_e32 v[44:45], v[42:43], v[70:71]
	s_delay_alu instid0(VALU_DEP_2) | instskip(NEXT) | instid1(VALU_DEP_2)
	v_add_f64_e32 v[14:15], v[14:15], v[4:5]
	v_add_f64_e32 v[16:17], v[16:17], v[44:45]
.LBB181_417:                            ;   in Loop: Header=BB181_3 Depth=1
	s_or_b32 exec_lo, exec_lo, s25
.LBB181_418:                            ;   in Loop: Header=BB181_3 Depth=1
	s_delay_alu instid0(SALU_CYCLE_1)
	s_or_b32 exec_lo, exec_lo, s46
	s_and_saveexec_b32 s25, s73
	s_cbranch_execz .LBB181_420
; %bb.419:                              ;   in Loop: Header=BB181_3 Depth=1
	s_delay_alu instid0(VALU_DEP_2) | instskip(NEXT) | instid1(VALU_DEP_2)
	v_xor_b32_e32 v41, 0x80000000, v15
	v_xor_b32_e32 v43, 0x80000000, v17
	s_delay_alu instid0(VALU_DEP_3)
	v_dual_mov_b32 v40, v14 :: v_dual_mov_b32 v42, v16
	ds_store_b128 v25, v[40:43]
.LBB181_420:                            ;   in Loop: Header=BB181_3 Depth=1
	s_or_b32 exec_lo, exec_lo, s25
	s_wait_loadcnt_dscnt 0x0
	s_barrier_signal -1
	s_barrier_wait -1
	s_and_saveexec_b32 s25, s74
	s_cbranch_execz .LBB181_422
; %bb.421:                              ;   in Loop: Header=BB181_3 Depth=1
	ds_load_b128 v[40:43], v25
	ds_load_b128 v[70:73], v2 offset:512
	s_wait_dscnt 0x0
	v_mul_f64_e32 v[4:5], v[40:41], v[70:71]
	v_mul_f64_e32 v[40:41], v[40:41], v[72:73]
	s_delay_alu instid0(VALU_DEP_2) | instskip(NEXT) | instid1(VALU_DEP_2)
	v_fma_f64 v[4:5], v[42:43], v[72:73], -v[4:5]
	v_fmac_f64_e32 v[40:41], v[42:43], v[70:71]
	s_delay_alu instid0(VALU_DEP_2) | instskip(NEXT) | instid1(VALU_DEP_2)
	v_add_f64_e32 v[14:15], v[14:15], v[4:5]
	v_add_f64_e64 v[16:17], v[16:17], -v[40:41]
.LBB181_422:                            ;   in Loop: Header=BB181_3 Depth=1
	s_or_b32 exec_lo, exec_lo, s25
	s_barrier_signal -1
	s_barrier_wait -1
	s_and_saveexec_b32 s25, s74
	s_cbranch_execz .LBB181_424
; %bb.423:                              ;   in Loop: Header=BB181_3 Depth=1
	s_delay_alu instid0(VALU_DEP_2) | instskip(NEXT) | instid1(VALU_DEP_2)
	v_xor_b32_e32 v41, 0x80000000, v15
	v_xor_b32_e32 v43, 0x80000000, v17
	s_delay_alu instid0(VALU_DEP_3)
	v_dual_mov_b32 v40, v14 :: v_dual_mov_b32 v42, v16
	ds_store_b128 v25, v[40:43]
.LBB181_424:                            ;   in Loop: Header=BB181_3 Depth=1
	s_or_b32 exec_lo, exec_lo, s25
	s_wait_dscnt 0x0
	s_barrier_signal -1
	s_barrier_wait -1
	s_barrier_signal -1
	s_barrier_wait -1
	s_and_saveexec_b32 s25, s3
; %bb.425:                              ;   in Loop: Header=BB181_3 Depth=1
	ds_store_b128 v49, v[14:17] offset:1536
; %bb.426:                              ;   in Loop: Header=BB181_3 Depth=1
	s_or_b32 exec_lo, exec_lo, s25
	s_wait_dscnt 0x0
	s_barrier_signal -1
	s_barrier_wait -1
	s_barrier_signal -1
	s_barrier_wait -1
	s_and_saveexec_b32 s25, s29
	s_cbranch_execz .LBB181_428
; %bb.427:                              ;   in Loop: Header=BB181_3 Depth=1
	s_mov_b32 s52, s39
	s_mov_b32 s54, s39
	;; [unrolled: 1-line block ×3, first 2 shown]
	v_mov_b64_e32 v[14:15], s[52:53]
	v_mov_b64_e32 v[16:17], s[54:55]
	ds_store_b128 v2, v[14:17]
	ds_store_b128 v2, v[14:17] offset:528
.LBB181_428:                            ;   in Loop: Header=BB181_3 Depth=1
	s_or_b32 exec_lo, exec_lo, s25
.LBB181_429:                            ;   in Loop: Header=BB181_3 Depth=1
	v_mov_b64_e32 v[14:15], 0
	v_add_nc_u64_e32 v[40:41], s[0:1], v[20:21]
	s_wait_dscnt 0x0
	s_barrier_signal -1
	s_barrier_wait -1
	s_delay_alu instid0(VALU_DEP_2)
	v_mov_b64_e32 v[16:17], v[14:15]
	s_wait_xcnt 0x0
	s_and_saveexec_b32 s25, s16
	s_cbranch_execz .LBB181_431
; %bb.430:                              ;   in Loop: Header=BB181_3 Depth=1
	v_lshl_add_u64 v[4:5], v[0:1], 4, v[40:41]
	flat_load_b128 v[42:45], v[4:5]
	s_wait_loadcnt_dscnt 0x0
	v_mul_f64_e32 v[4:5], s[40:41], v[42:43]
	v_mul_f64_e32 v[16:17], s[40:41], v[44:45]
	s_delay_alu instid0(VALU_DEP_2) | instskip(NEXT) | instid1(VALU_DEP_2)
	v_fma_f64 v[14:15], s[42:43], v[44:45], -v[4:5]
	v_fma_f64 v[16:17], v[42:43], -s[42:43], -v[16:17]
.LBB181_431:                            ;   in Loop: Header=BB181_3 Depth=1
	s_or_b32 exec_lo, exec_lo, s25
	s_delay_alu instid0(SALU_CYCLE_1)
	s_and_not1_b32 vcc_lo, exec_lo, s17
	s_cbranch_vccnz .LBB181_454
; %bb.432:                              ;   in Loop: Header=BB181_3 Depth=1
	v_lshl_add_u64 v[18:19], v[28:29], 4, v[18:19]
	v_mov_b32_e32 v23, -1
	s_lshl_b64 s[46:47], s[38:39], 2
	s_mov_b32 s52, 0
	s_add_nc_u64 s[46:47], s[62:63], s[46:47]
	s_branch .LBB181_435
.LBB181_433:                            ;   in Loop: Header=BB181_435 Depth=2
	ds_load_b128 v[70:73], v63 offset:256
	s_wait_loadcnt_dscnt 0x0
	v_mul_f64_e32 v[20:21], v[42:43], v[72:73]
	v_mul_f64_e32 v[44:45], v[4:5], v[72:73]
	s_delay_alu instid0(VALU_DEP_2) | instskip(NEXT) | instid1(VALU_DEP_2)
	v_fma_f64 v[4:5], v[4:5], v[70:71], -v[20:21]
	v_fmac_f64_e32 v[44:45], v[42:43], v[70:71]
	s_delay_alu instid0(VALU_DEP_2) | instskip(NEXT) | instid1(VALU_DEP_2)
	v_add_f64_e32 v[14:15], v[14:15], v[4:5]
	v_add_f64_e32 v[16:17], v[16:17], v[44:45]
.LBB181_434:                            ;   in Loop: Header=BB181_435 Depth=2
	s_or_b32 exec_lo, exec_lo, s54
	s_add_co_i32 s52, s52, 1
	s_delay_alu instid0(SALU_CYCLE_1)
	s_cmp_eq_u32 s52, s68
	s_cbranch_scc1 .LBB181_454
.LBB181_435:                            ;   Parent Loop BB181_3 Depth=1
                                        ; =>  This Loop Header: Depth=2
                                        ;       Child Loop BB181_437 Depth 3
	v_cmp_gt_i32_e32 vcc_lo, s52, v23
	s_and_b32 s54, s30, vcc_lo
	s_delay_alu instid0(SALU_CYCLE_1)
	s_and_saveexec_b32 s25, s54
	s_cbranch_execz .LBB181_438
; %bb.436:                              ;   in Loop: Header=BB181_435 Depth=2
	global_load_b32 v23, v2, s[46:47]
	s_wait_loadcnt 0x0
	v_cmp_le_i32_e32 vcc_lo, s52, v23
	s_cbranch_vccnz .LBB181_438
.LBB181_437:                            ;   Parent Loop BB181_3 Depth=1
                                        ;     Parent Loop BB181_435 Depth=2
                                        ; =>    This Inner Loop Header: Depth=3
	global_wb scope:SCOPE_DEV
	s_wait_storecnt 0x0
	global_inv scope:SCOPE_DEV
	global_load_b32 v23, v2, s[46:47]
	s_wait_loadcnt 0x0
	v_cmp_gt_i32_e32 vcc_lo, s52, v23
	s_cbranch_vccnz .LBB181_437
.LBB181_438:                            ;   in Loop: Header=BB181_435 Depth=2
	s_or_b32 exec_lo, exec_lo, s25
	s_sub_co_i32 s54, s69, s52
	global_wb scope:SCOPE_DEV
	s_wait_storecnt 0x0
	global_inv scope:SCOPE_DEV
	s_lshl_b32 s55, s54, 5
	s_wait_loadcnt 0x0
	s_barrier_signal -1
	s_barrier_wait -1
	s_and_saveexec_b32 s25, s31
	s_cbranch_execz .LBB181_443
; %bb.439:                              ;   in Loop: Header=BB181_435 Depth=2
	s_ashr_i32 vcc_lo, s55, 31
	s_delay_alu instid0(SALU_CYCLE_1) | instskip(NEXT) | instid1(VALU_DEP_1)
	v_dual_mov_b32 v5, vcc_lo :: v_dual_bitop2_b32 v4, s55, v26 bitop3:0x54
	v_cmp_le_i64_e32 vcc_lo, s[56:57], v[4:5]
	s_and_saveexec_b32 s24, vcc_lo
	s_delay_alu instid0(SALU_CYCLE_1)
	s_xor_b32 vcc_lo, exec_lo, s24
; %bb.440:                              ;   in Loop: Header=BB181_435 Depth=2
	v_dual_mov_b32 v3, v2 :: v_dual_mov_b32 v4, v2
	v_mov_b32_e32 v5, v2
	ds_store_b128 v62, v[2:5]
                                        ; implicit-def: $vgpr4_vgpr5
; %bb.441:                              ;   in Loop: Header=BB181_435 Depth=2
	s_and_not1_saveexec_b32 s24, vcc_lo
	s_cbranch_execz .LBB181_443
; %bb.442:                              ;   in Loop: Header=BB181_435 Depth=2
	v_mul_u64_e32 v[4:5], s[60:61], v[4:5]
	s_delay_alu instid0(VALU_DEP_1)
	v_lshl_add_u64 v[4:5], v[4:5], 4, v[40:41]
	flat_load_b128 v[42:45], v[4:5]
	s_wait_loadcnt_dscnt 0x0
	ds_store_2addr_b64 v62, v[42:43], v[44:45] offset1:1
.LBB181_443:                            ;   in Loop: Header=BB181_435 Depth=2
	s_or_b32 exec_lo, exec_lo, s25
	v_add_nc_u32_e32 v4, s55, v22
	s_cmp_lg_u32 s54, s23
	s_wait_dscnt 0x0
	s_cselect_b32 s25, -1, 0
	s_barrier_signal -1
	v_ashrrev_i32_e32 v5, 31, v4
	v_cmp_gt_i32_e32 vcc_lo, s56, v4
	v_cndmask_b32_e64 v3, 0, 1, s25
	s_barrier_wait -1
	s_delay_alu instid0(VALU_DEP_3) | instskip(SKIP_1) | instid1(VALU_DEP_1)
	v_mul_u64_e32 v[20:21], s[58:59], v[4:5]
	s_and_b32 s24, s2, vcc_lo
	v_lshl_add_u64 v[20:21], v[20:21], 4, v[18:19]
	s_and_saveexec_b32 s54, s24
	s_cbranch_execz .LBB181_449
; %bb.444:                              ;   in Loop: Header=BB181_435 Depth=2
	v_mov_b64_e32 v[42:43], v[6:7]
	s_and_not1_b32 vcc_lo, exec_lo, s25
	s_cbranch_vccnz .LBB181_446
; %bb.445:                              ;   in Loop: Header=BB181_435 Depth=2
	flat_load_b64 v[42:43], v[20:21]
.LBB181_446:                            ;   in Loop: Header=BB181_435 Depth=2
	v_cmp_ne_u32_e32 vcc_lo, 1, v3
	v_mov_b64_e32 v[44:45], v[8:9]
	s_cbranch_vccnz .LBB181_448
; %bb.447:                              ;   in Loop: Header=BB181_435 Depth=2
	flat_load_b64 v[44:45], v[20:21] offset:8
.LBB181_448:                            ;   in Loop: Header=BB181_435 Depth=2
	ds_load_b128 v[70:73], v63
	s_wait_loadcnt_dscnt 0x0
	v_mul_f64_e32 v[74:75], v[44:45], v[72:73]
	v_mul_f64_e32 v[72:73], v[42:43], v[72:73]
	s_delay_alu instid0(VALU_DEP_2) | instskip(NEXT) | instid1(VALU_DEP_2)
	v_fma_f64 v[42:43], v[42:43], v[70:71], -v[74:75]
	v_fmac_f64_e32 v[72:73], v[44:45], v[70:71]
	s_delay_alu instid0(VALU_DEP_2) | instskip(NEXT) | instid1(VALU_DEP_2)
	v_add_f64_e32 v[14:15], v[14:15], v[42:43]
	v_add_f64_e32 v[16:17], v[16:17], v[72:73]
.LBB181_449:                            ;   in Loop: Header=BB181_435 Depth=2
	s_or_b32 exec_lo, exec_lo, s54
	v_add_nc_u32_e32 v4, 16, v4
	s_delay_alu instid0(VALU_DEP_1) | instskip(SKIP_1) | instid1(SALU_CYCLE_1)
	v_cmp_gt_i32_e32 vcc_lo, s56, v4
	s_and_b32 s24, s2, vcc_lo
	s_and_saveexec_b32 s54, s24
	s_cbranch_execz .LBB181_434
; %bb.450:                              ;   in Loop: Header=BB181_435 Depth=2
	v_cmp_ne_u32_e32 vcc_lo, 1, v3
	v_add_nc_u64_e32 v[20:21], s[66:67], v[20:21]
	v_mov_b64_e32 v[4:5], v[10:11]
	s_cbranch_vccnz .LBB181_452
; %bb.451:                              ;   in Loop: Header=BB181_435 Depth=2
	flat_load_b64 v[4:5], v[20:21]
.LBB181_452:                            ;   in Loop: Header=BB181_435 Depth=2
	v_cmp_ne_u32_e32 vcc_lo, 1, v3
	v_mov_b64_e32 v[42:43], v[12:13]
	s_cbranch_vccnz .LBB181_433
; %bb.453:                              ;   in Loop: Header=BB181_435 Depth=2
	flat_load_b64 v[42:43], v[20:21] offset:8
	s_branch .LBB181_433
.LBB181_454:                            ;   in Loop: Header=BB181_3 Depth=1
	ds_store_b128 v64, v[14:17]
	s_wait_dscnt 0x0
	s_barrier_signal -1
	s_barrier_wait -1
	s_and_saveexec_b32 s46, s18
	s_cbranch_execz .LBB181_456
; %bb.455:                              ;   in Loop: Header=BB181_3 Depth=1
	ds_load_b128 v[18:21], v65 offset:512
	ds_load_b128 v[42:45], v65 offset:1024
	s_wait_dscnt 0x1
	v_add_f64_e32 v[4:5], v[14:15], v[18:19]
	v_add_f64_e32 v[14:15], v[16:17], v[20:21]
	s_wait_dscnt 0x0
	s_delay_alu instid0(VALU_DEP_2) | instskip(NEXT) | instid1(VALU_DEP_2)
	v_add_f64_e32 v[4:5], v[4:5], v[42:43]
	v_add_f64_e32 v[42:43], v[14:15], v[44:45]
	ds_load_b128 v[14:17], v65 offset:1536
	ds_load_b128 v[18:21], v65 offset:2048
	s_wait_dscnt 0x1
	v_add_f64_e32 v[4:5], v[4:5], v[14:15]
	v_add_f64_e32 v[14:15], v[42:43], v[16:17]
	s_wait_dscnt 0x0
	s_delay_alu instid0(VALU_DEP_2) | instskip(NEXT) | instid1(VALU_DEP_2)
	v_add_f64_e32 v[4:5], v[4:5], v[18:19]
	v_add_f64_e32 v[42:43], v[14:15], v[20:21]
	;; [unrolled: 9-line block ×7, first 2 shown]
	ds_load_b128 v[14:17], v65 offset:7680
	s_wait_dscnt 0x0
	v_add_f64_e32 v[4:5], v[4:5], v[14:15]
	v_add_f64_e32 v[16:17], v[18:19], v[16:17]
	s_delay_alu instid0(VALU_DEP_2) | instskip(NEXT) | instid1(VALU_DEP_2)
	v_xor_b32_e32 v3, 0x80000000, v5
	v_xor_b32_e32 v5, 0x80000000, v17
	s_delay_alu instid0(VALU_DEP_4) | instskip(NEXT) | instid1(VALU_DEP_4)
	v_cndmask_b32_e64 v14, v4, 0, vcc_hi
	v_cndmask_b32_e64 v16, v16, 0, vcc_hi
	s_delay_alu instid0(VALU_DEP_4) | instskip(NEXT) | instid1(VALU_DEP_4)
	v_cndmask_b32_e64 v15, v3, 0, vcc_hi
	v_cndmask_b32_e64 v17, v5, 0, vcc_hi
.LBB181_456:                            ;   in Loop: Header=BB181_3 Depth=1
	s_or_b32 exec_lo, exec_lo, s46
	s_delay_alu instid0(SALU_CYCLE_1)
	s_and_not1_b32 vcc_lo, exec_lo, s72
	s_cbranch_vccnz .LBB181_465
; %bb.457:                              ;   in Loop: Header=BB181_3 Depth=1
	s_and_saveexec_b32 s25, s18
; %bb.458:                              ;   in Loop: Header=BB181_3 Depth=1
	ds_store_b128 v27, v[14:17]
; %bb.459:                              ;   in Loop: Header=BB181_3 Depth=1
	s_or_b32 exec_lo, exec_lo, s25
	v_mov_b64_e32 v[18:19], 0
	v_mov_b64_e32 v[20:21], 0
	s_wait_dscnt 0x0
	s_barrier_signal -1
	s_barrier_wait -1
	s_and_saveexec_b32 s25, s33
	s_cbranch_execz .LBB181_461
; %bb.460:                              ;   in Loop: Header=BB181_3 Depth=1
	ds_load_b128 v[18:21], v63
	ds_load_b128 v[42:45], v66
	s_wait_dscnt 0x0
	v_mul_f64_e32 v[4:5], v[20:21], v[44:45]
	v_mul_f64_e32 v[44:45], v[18:19], v[44:45]
	s_delay_alu instid0(VALU_DEP_2) | instskip(NEXT) | instid1(VALU_DEP_2)
	v_fma_f64 v[4:5], v[18:19], v[42:43], -v[4:5]
	v_fmac_f64_e32 v[44:45], v[20:21], v[42:43]
	s_delay_alu instid0(VALU_DEP_2) | instskip(NEXT) | instid1(VALU_DEP_2)
	v_add_f64_e32 v[18:19], 0, v[4:5]
	v_add_f64_e32 v[20:21], 0, v[44:45]
.LBB181_461:                            ;   in Loop: Header=BB181_3 Depth=1
	s_or_b32 exec_lo, exec_lo, s25
	s_and_saveexec_b32 s25, s34
	s_cbranch_execz .LBB181_463
; %bb.462:                              ;   in Loop: Header=BB181_3 Depth=1
	ds_load_b128 v[42:45], v63 offset:256
	ds_load_b128 v[70:73], v66 offset:8192
	s_wait_dscnt 0x0
	v_mul_f64_e32 v[4:5], v[44:45], v[72:73]
	v_mul_f64_e32 v[72:73], v[42:43], v[72:73]
	s_delay_alu instid0(VALU_DEP_2) | instskip(NEXT) | instid1(VALU_DEP_2)
	v_fma_f64 v[4:5], v[42:43], v[70:71], -v[4:5]
	v_fmac_f64_e32 v[72:73], v[44:45], v[70:71]
	s_delay_alu instid0(VALU_DEP_2) | instskip(NEXT) | instid1(VALU_DEP_2)
	v_add_f64_e32 v[18:19], v[18:19], v[4:5]
	v_add_f64_e32 v[20:21], v[20:21], v[72:73]
.LBB181_463:                            ;   in Loop: Header=BB181_3 Depth=1
	s_or_b32 exec_lo, exec_lo, s25
	s_mov_b32 s47, 0
	s_mov_b32 s46, 0
	ds_store_b128 v64, v[18:21]
	s_wait_dscnt 0x0
	s_barrier_signal -1
	s_barrier_wait -1
                                        ; implicit-def: $vgpr4_vgpr5
                                        ; implicit-def: $vgpr42_vgpr43
	s_and_saveexec_b32 s52, s18
	s_cbranch_execz .LBB181_492
; %bb.464:                              ;   in Loop: Header=BB181_3 Depth=1
	ds_load_b128 v[42:45], v65 offset:512
	ds_load_b128 v[70:73], v65 offset:1024
	s_mov_b32 s46, exec_lo
	s_wait_dscnt 0x1
	v_add_f64_e32 v[4:5], v[18:19], v[42:43]
	v_add_f64_e32 v[18:19], v[20:21], v[44:45]
	s_wait_dscnt 0x0
	s_delay_alu instid0(VALU_DEP_2) | instskip(NEXT) | instid1(VALU_DEP_2)
	v_add_f64_e32 v[4:5], v[4:5], v[70:71]
	v_add_f64_e32 v[70:71], v[18:19], v[72:73]
	ds_load_b128 v[18:21], v65 offset:1536
	ds_load_b128 v[42:45], v65 offset:2048
	s_wait_dscnt 0x1
	v_add_f64_e32 v[4:5], v[4:5], v[18:19]
	v_add_f64_e32 v[18:19], v[70:71], v[20:21]
	s_wait_dscnt 0x0
	s_delay_alu instid0(VALU_DEP_2) | instskip(NEXT) | instid1(VALU_DEP_2)
	v_add_f64_e32 v[4:5], v[4:5], v[42:43]
	v_add_f64_e32 v[70:71], v[18:19], v[44:45]
	ds_load_b128 v[18:21], v65 offset:2560
	ds_load_b128 v[42:45], v65 offset:3072
	;; [unrolled: 9-line block ×6, first 2 shown]
	s_wait_dscnt 0x1
	v_add_f64_e32 v[4:5], v[4:5], v[18:19]
	v_add_f64_e32 v[18:19], v[70:71], v[20:21]
	s_wait_dscnt 0x0
	s_delay_alu instid0(VALU_DEP_2) | instskip(NEXT) | instid1(VALU_DEP_2)
	v_add_f64_e32 v[4:5], v[4:5], v[42:43]
	v_add_f64_e32 v[44:45], v[18:19], v[44:45]
	ds_load_b128 v[18:21], v65 offset:7680
	s_wait_dscnt 0x0
	v_add_f64_e32 v[42:43], v[4:5], v[18:19]
	v_add_f64_e32 v[4:5], v[44:45], v[20:21]
	s_or_b32 exec_lo, exec_lo, s52
	s_delay_alu instid0(SALU_CYCLE_1)
	s_and_b32 vcc_lo, exec_lo, s47
	s_cbranch_vccnz .LBB181_466
	s_branch .LBB181_493
.LBB181_465:                            ;   in Loop: Header=BB181_3 Depth=1
	s_mov_b32 s46, 0
                                        ; implicit-def: $vgpr4_vgpr5
                                        ; implicit-def: $vgpr42_vgpr43
	s_cbranch_execz .LBB181_493
.LBB181_466:                            ;   in Loop: Header=BB181_3 Depth=1
	v_dual_mov_b32 v3, v69 :: v_dual_mov_b32 v4, v68
	s_mov_b32 s47, 31
	s_branch .LBB181_468
.LBB181_467:                            ;   in Loop: Header=BB181_468 Depth=2
	s_or_b32 exec_lo, exec_lo, s25
	v_add_nc_u32_e32 v4, 0xfffffc00, v4
	v_add_nc_u32_e32 v3, 2, v3
	s_add_co_i32 s47, s47, -2
	s_cmp_lg_u32 s52, 0
	s_barrier_signal -1
	s_barrier_wait -1
	s_cbranch_scc0 .LBB181_476
.LBB181_468:                            ;   Parent Loop BB181_3 Depth=1
                                        ; =>  This Inner Loop Header: Depth=2
	s_delay_alu instid0(VALU_DEP_1) | instskip(SKIP_1) | instid1(SALU_CYCLE_1)
	v_cmp_eq_u32_e32 vcc_lo, 0, v3
	s_and_b32 s24, s18, vcc_lo
	s_and_saveexec_b32 s25, s24
; %bb.469:                              ;   in Loop: Header=BB181_468 Depth=2
	ds_store_b128 v2, v[14:17] offset:25088
; %bb.470:                              ;   in Loop: Header=BB181_468 Depth=2
	s_or_b32 exec_lo, exec_lo, s25
	v_cmp_gt_u32_e32 vcc_lo, s47, v24
	s_wait_dscnt 0x0
	s_barrier_signal -1
	s_barrier_wait -1
	s_and_b32 s24, s18, vcc_lo
	s_delay_alu instid0(SALU_CYCLE_1)
	s_and_saveexec_b32 s25, s24
	s_cbranch_execz .LBB181_472
; %bb.471:                              ;   in Loop: Header=BB181_468 Depth=2
	ds_load_b128 v[18:21], v2 offset:25088
	ds_load_b128 v[42:45], v4 offset:512
	s_wait_dscnt 0x0
	v_mul_f64_e32 v[70:71], v[20:21], v[44:45]
	v_mul_f64_e32 v[44:45], v[18:19], v[44:45]
	s_delay_alu instid0(VALU_DEP_2) | instskip(NEXT) | instid1(VALU_DEP_2)
	v_fma_f64 v[18:19], v[18:19], v[42:43], -v[70:71]
	v_fmac_f64_e32 v[44:45], v[20:21], v[42:43]
	s_delay_alu instid0(VALU_DEP_2) | instskip(NEXT) | instid1(VALU_DEP_2)
	v_add_f64_e32 v[14:15], v[14:15], v[18:19]
	v_add_f64_e32 v[16:17], v[16:17], v[44:45]
.LBB181_472:                            ;   in Loop: Header=BB181_468 Depth=2
	s_or_b32 exec_lo, exec_lo, s25
	s_add_co_i32 s52, s47, -1
	s_delay_alu instid0(SALU_CYCLE_1) | instskip(SKIP_3) | instid1(SALU_CYCLE_1)
	v_cmp_eq_u32_e32 vcc_lo, s52, v24
	s_barrier_signal -1
	s_barrier_wait -1
	s_and_b32 s24, s18, vcc_lo
	s_and_saveexec_b32 s25, s24
; %bb.473:                              ;   in Loop: Header=BB181_468 Depth=2
	ds_store_b128 v2, v[14:17] offset:25088
; %bb.474:                              ;   in Loop: Header=BB181_468 Depth=2
	s_or_b32 exec_lo, exec_lo, s25
	v_cmp_gt_u32_e32 vcc_lo, s52, v24
	s_wait_dscnt 0x0
	s_barrier_signal -1
	s_barrier_wait -1
	s_and_b32 s24, s18, vcc_lo
	s_delay_alu instid0(SALU_CYCLE_1)
	s_and_saveexec_b32 s25, s24
	s_cbranch_execz .LBB181_467
; %bb.475:                              ;   in Loop: Header=BB181_468 Depth=2
	ds_load_b128 v[18:21], v2 offset:25088
	ds_load_b128 v[42:45], v4
	s_wait_dscnt 0x0
	v_mul_f64_e32 v[70:71], v[20:21], v[44:45]
	v_mul_f64_e32 v[44:45], v[18:19], v[44:45]
	s_delay_alu instid0(VALU_DEP_2) | instskip(NEXT) | instid1(VALU_DEP_2)
	v_fma_f64 v[18:19], v[18:19], v[42:43], -v[70:71]
	v_fmac_f64_e32 v[44:45], v[20:21], v[42:43]
	s_delay_alu instid0(VALU_DEP_2) | instskip(NEXT) | instid1(VALU_DEP_2)
	v_add_f64_e32 v[14:15], v[14:15], v[18:19]
	v_add_f64_e32 v[16:17], v[16:17], v[44:45]
	s_branch .LBB181_467
.LBB181_476:                            ;   in Loop: Header=BB181_3 Depth=1
	s_and_b32 vcc_lo, exec_lo, s70
	s_mov_b32 s25, -1
	s_cbranch_vccnz .LBB181_494
; %bb.477:                              ;   in Loop: Header=BB181_3 Depth=1
	s_and_not1_b32 vcc_lo, exec_lo, s25
	s_cbranch_vccz .LBB181_495
.LBB181_478:                            ;   in Loop: Header=BB181_3 Depth=1
	s_and_saveexec_b32 s25, s46
	s_cbranch_execz .LBB181_480
.LBB181_479:                            ;   in Loop: Header=BB181_3 Depth=1
	v_lshl_add_u64 v[4:5], v[32:33], 4, v[40:41]
	flat_store_b128 v[4:5], v[14:17]
.LBB181_480:                            ;   in Loop: Header=BB181_3 Depth=1
	s_wait_xcnt 0x0
	s_or_b32 exec_lo, exec_lo, s25
	global_wb scope:SCOPE_DEV
	s_wait_storecnt_dscnt 0x0
	global_inv scope:SCOPE_DEV
	s_wait_loadcnt 0x0
	s_barrier_signal -1
	s_barrier_wait -1
	s_and_saveexec_b32 s25, s30
	s_cbranch_execz .LBB181_2
; %bb.481:                              ;   in Loop: Header=BB181_3 Depth=1
	s_lshl_b64 s[46:47], s[38:39], 2
	s_delay_alu instid0(SALU_CYCLE_1)
	s_add_nc_u64 s[46:47], s[62:63], s[46:47]
	global_load_b32 v3, v2, s[46:47]
	s_wait_loadcnt 0x0
	v_add_nc_u32_e32 v3, 1, v3
	global_store_b32 v2, v3, s[46:47]
	s_branch .LBB181_2
.LBB181_482:                            ;   in Loop: Header=BB181_3 Depth=1
	v_lshl_add_u64 v[4:5], v[36:37], 4, v[40:41]
	s_or_b32 s46, s46, exec_lo
	flat_load_b128 v[14:17], v[4:5]
	s_wait_loadcnt_dscnt 0x0
	v_xor_b32_e32 v15, 0x80000000, v15
	v_xor_b32_e32 v17, 0x80000000, v17
	s_or_b32 exec_lo, exec_lo, s25
	s_and_saveexec_b32 s25, s46
	s_cbranch_execz .LBB181_14
.LBB181_483:                            ;   in Loop: Header=BB181_3 Depth=1
	ds_store_b128 v66, v[14:17]
	s_or_b32 exec_lo, exec_lo, s25
	s_and_saveexec_b32 s25, s20
	s_delay_alu instid0(SALU_CYCLE_1)
	s_xor_b32 s25, exec_lo, s25
	s_cbranch_execz .LBB181_15
.LBB181_484:                            ;   in Loop: Header=BB181_3 Depth=1
	s_and_saveexec_b32 s46, s36
; %bb.485:                              ;   in Loop: Header=BB181_3 Depth=1
	v_dual_mov_b32 v3, v2 :: v_dual_mov_b32 v4, v2
	v_mov_b32_e32 v5, v2
	ds_store_b128 v67, v[2:5]
; %bb.486:                              ;   in Loop: Header=BB181_3 Depth=1
	s_or_b32 exec_lo, exec_lo, s46
	s_and_not1_saveexec_b32 s25, s25
	s_cbranch_execnz .LBB181_16
	s_branch .LBB181_17
.LBB181_487:                            ;   in Loop: Header=BB181_3 Depth=1
	v_lshl_add_u64 v[4:5], v[36:37], 4, v[40:41]
	s_or_b32 s46, s46, exec_lo
	flat_load_b128 v[14:17], v[4:5]
	s_wait_loadcnt_dscnt 0x0
	v_xor_b32_e32 v15, 0x80000000, v15
	v_xor_b32_e32 v17, 0x80000000, v17
	s_or_b32 exec_lo, exec_lo, s25
	s_and_saveexec_b32 s25, s46
	s_cbranch_execz .LBB181_23
.LBB181_488:                            ;   in Loop: Header=BB181_3 Depth=1
	ds_store_b128 v66, v[14:17]
	s_or_b32 exec_lo, exec_lo, s25
	s_and_saveexec_b32 s25, s22
	s_delay_alu instid0(SALU_CYCLE_1)
	s_xor_b32 s25, exec_lo, s25
	s_cbranch_execz .LBB181_24
.LBB181_489:                            ;   in Loop: Header=BB181_3 Depth=1
	s_and_saveexec_b32 s46, s36
; %bb.490:                              ;   in Loop: Header=BB181_3 Depth=1
	v_dual_mov_b32 v3, v2 :: v_dual_mov_b32 v4, v2
	v_mov_b32_e32 v5, v2
	ds_store_b128 v67, v[2:5]
; %bb.491:                              ;   in Loop: Header=BB181_3 Depth=1
	s_or_b32 exec_lo, exec_lo, s46
                                        ; implicit-def: $vgpr40_vgpr41
	s_and_not1_saveexec_b32 s25, s25
	s_cbranch_execnz .LBB181_25
	s_branch .LBB181_26
.LBB181_492:                            ;   in Loop: Header=BB181_3 Depth=1
	s_or_b32 exec_lo, exec_lo, s52
	s_delay_alu instid0(SALU_CYCLE_1)
	s_and_b32 vcc_lo, exec_lo, s47
	s_cbranch_vccnz .LBB181_466
.LBB181_493:                            ;   in Loop: Header=BB181_3 Depth=1
	s_delay_alu instid0(VALU_DEP_1) | instskip(NEXT) | instid1(VALU_DEP_3)
	v_mov_b64_e32 v[16:17], v[4:5]
	v_mov_b64_e32 v[14:15], v[42:43]
	s_and_saveexec_b32 s25, s46
	s_cbranch_execnz .LBB181_479
	s_branch .LBB181_480
.LBB181_494:                            ;   in Loop: Header=BB181_3 Depth=1
	s_and_not1_b32 s24, s46, exec_lo
	s_and_b32 s28, s18, exec_lo
	s_delay_alu instid0(SALU_CYCLE_1)
	s_or_b32 s46, s24, s28
	s_cbranch_execnz .LBB181_478
.LBB181_495:                            ;   in Loop: Header=BB181_3 Depth=1
	v_readlane_b32 s25, v76, 22
	s_and_not1_b32 s24, s46, exec_lo
	s_and_b32 s25, s25, exec_lo
	s_delay_alu instid0(SALU_CYCLE_1) | instskip(NEXT) | instid1(SALU_CYCLE_1)
	s_or_b32 s46, s24, s25
	s_and_saveexec_b32 s25, s46
	s_cbranch_execnz .LBB181_479
	s_branch .LBB181_480
.LBB181_496:                            ;   in Loop: Header=BB181_3 Depth=1
	ds_load_b128 v[40:43], v52 offset:16336
	ds_load_b128 v[70:73], v51 offset:15232
	s_wait_dscnt 0x0
	v_mul_f64_e32 v[4:5], v[42:43], v[72:73]
	v_mul_f64_e32 v[44:45], v[40:41], v[72:73]
	s_delay_alu instid0(VALU_DEP_2) | instskip(NEXT) | instid1(VALU_DEP_2)
	v_fma_f64 v[4:5], v[40:41], v[70:71], -v[4:5]
	v_fmac_f64_e32 v[44:45], v[42:43], v[70:71]
	s_delay_alu instid0(VALU_DEP_2) | instskip(NEXT) | instid1(VALU_DEP_2)
	v_add_f64_e32 v[14:15], v[14:15], v[4:5]
	v_add_f64_e32 v[16:17], v[16:17], v[44:45]
	s_or_b32 exec_lo, exec_lo, s25
	s_and_saveexec_b32 s25, s7
	s_cbranch_execz .LBB181_47
.LBB181_497:                            ;   in Loop: Header=BB181_3 Depth=1
	ds_load_b128 v[40:43], v52 offset:16352
	ds_load_b128 v[70:73], v51 offset:15744
	s_wait_dscnt 0x0
	v_mul_f64_e32 v[4:5], v[42:43], v[72:73]
	v_mul_f64_e32 v[44:45], v[40:41], v[72:73]
	s_delay_alu instid0(VALU_DEP_2) | instskip(NEXT) | instid1(VALU_DEP_2)
	v_fma_f64 v[4:5], v[40:41], v[70:71], -v[4:5]
	v_fmac_f64_e32 v[44:45], v[42:43], v[70:71]
	s_delay_alu instid0(VALU_DEP_2) | instskip(NEXT) | instid1(VALU_DEP_2)
	v_add_f64_e32 v[14:15], v[14:15], v[4:5]
	v_add_f64_e32 v[16:17], v[16:17], v[44:45]
	s_or_b32 exec_lo, exec_lo, s25
	s_and_saveexec_b32 s25, s3
	s_cbranch_execnz .LBB181_48
	s_branch .LBB181_49
.LBB181_498:                            ;   in Loop: Header=BB181_3 Depth=1
	ds_load_b128 v[40:43], v56 offset:16336
	ds_load_b128 v[70:73], v55 offset:15104
	s_wait_dscnt 0x0
	v_mul_f64_e32 v[4:5], v[42:43], v[72:73]
	v_mul_f64_e32 v[44:45], v[40:41], v[72:73]
	s_delay_alu instid0(VALU_DEP_2) | instskip(NEXT) | instid1(VALU_DEP_2)
	v_fma_f64 v[4:5], v[40:41], v[70:71], -v[4:5]
	v_fmac_f64_e32 v[44:45], v[42:43], v[70:71]
	s_delay_alu instid0(VALU_DEP_2) | instskip(NEXT) | instid1(VALU_DEP_2)
	v_add_f64_e32 v[14:15], v[14:15], v[4:5]
	v_add_f64_e32 v[16:17], v[16:17], v[44:45]
	s_or_b32 exec_lo, exec_lo, s25
	s_and_saveexec_b32 s25, s5
	s_cbranch_execz .LBB181_93
.LBB181_499:                            ;   in Loop: Header=BB181_3 Depth=1
	ds_load_b128 v[40:43], v56 offset:16352
	ds_load_b128 v[70:73], v55 offset:15616
	s_wait_dscnt 0x0
	v_mul_f64_e32 v[4:5], v[42:43], v[72:73]
	v_mul_f64_e32 v[44:45], v[40:41], v[72:73]
	s_delay_alu instid0(VALU_DEP_2) | instskip(NEXT) | instid1(VALU_DEP_2)
	v_fma_f64 v[4:5], v[40:41], v[70:71], -v[4:5]
	v_fmac_f64_e32 v[44:45], v[42:43], v[70:71]
	s_delay_alu instid0(VALU_DEP_2) | instskip(NEXT) | instid1(VALU_DEP_2)
	v_add_f64_e32 v[14:15], v[14:15], v[4:5]
	v_add_f64_e32 v[16:17], v[16:17], v[44:45]
	s_or_b32 exec_lo, exec_lo, s25
	s_and_saveexec_b32 s25, s7
	s_cbranch_execnz .LBB181_94
	s_branch .LBB181_95
.LBB181_500:                            ;   in Loop: Header=BB181_3 Depth=1
	ds_load_b128 v[40:43], v52 offset:12112
	ds_load_b128 v[70:73], v51 offset:11008
	s_wait_dscnt 0x0
	v_mul_f64_e32 v[4:5], v[42:43], v[72:73]
	v_mul_f64_e32 v[44:45], v[40:41], v[72:73]
	s_delay_alu instid0(VALU_DEP_2) | instskip(NEXT) | instid1(VALU_DEP_2)
	v_fma_f64 v[4:5], v[40:41], v[70:71], -v[4:5]
	v_fmac_f64_e32 v[44:45], v[42:43], v[70:71]
	s_delay_alu instid0(VALU_DEP_2) | instskip(NEXT) | instid1(VALU_DEP_2)
	v_add_f64_e32 v[14:15], v[14:15], v[4:5]
	v_add_f64_e32 v[16:17], v[16:17], v[44:45]
	s_or_b32 exec_lo, exec_lo, s25
	s_and_saveexec_b32 s25, s7
	s_cbranch_execz .LBB181_147
.LBB181_501:                            ;   in Loop: Header=BB181_3 Depth=1
	ds_load_b128 v[40:43], v52 offset:12128
	ds_load_b128 v[70:73], v51 offset:11520
	s_wait_dscnt 0x0
	v_mul_f64_e32 v[4:5], v[42:43], v[72:73]
	v_mul_f64_e32 v[44:45], v[40:41], v[72:73]
	s_delay_alu instid0(VALU_DEP_2) | instskip(NEXT) | instid1(VALU_DEP_2)
	v_fma_f64 v[4:5], v[40:41], v[70:71], -v[4:5]
	v_fmac_f64_e32 v[44:45], v[42:43], v[70:71]
	s_delay_alu instid0(VALU_DEP_2) | instskip(NEXT) | instid1(VALU_DEP_2)
	v_add_f64_e32 v[14:15], v[14:15], v[4:5]
	v_add_f64_e32 v[16:17], v[16:17], v[44:45]
	s_or_b32 exec_lo, exec_lo, s25
	s_and_saveexec_b32 s25, s3
	s_cbranch_execnz .LBB181_148
	s_branch .LBB181_149
.LBB181_502:                            ;   in Loop: Header=BB181_3 Depth=1
	ds_load_b128 v[40:43], v60 offset:16304
	ds_load_b128 v[70:73], v59 offset:13824
	s_wait_dscnt 0x0
	v_mul_f64_e32 v[4:5], v[42:43], v[72:73]
	v_mul_f64_e32 v[44:45], v[40:41], v[72:73]
	s_delay_alu instid0(VALU_DEP_2) | instskip(NEXT) | instid1(VALU_DEP_2)
	v_fma_f64 v[4:5], v[40:41], v[70:71], -v[4:5]
	v_fmac_f64_e32 v[44:45], v[42:43], v[70:71]
	s_delay_alu instid0(VALU_DEP_2) | instskip(NEXT) | instid1(VALU_DEP_2)
	v_add_f64_e32 v[14:15], v[14:15], v[4:5]
	v_add_f64_e32 v[16:17], v[16:17], v[44:45]
	s_or_b32 exec_lo, exec_lo, s25
	s_and_saveexec_b32 s25, s8
	s_cbranch_execz .LBB181_205
.LBB181_503:                            ;   in Loop: Header=BB181_3 Depth=1
	ds_load_b128 v[40:43], v60 offset:16320
	ds_load_b128 v[70:73], v59 offset:14336
	s_wait_dscnt 0x0
	v_mul_f64_e32 v[4:5], v[42:43], v[72:73]
	v_mul_f64_e32 v[44:45], v[40:41], v[72:73]
	s_delay_alu instid0(VALU_DEP_2) | instskip(NEXT) | instid1(VALU_DEP_2)
	v_fma_f64 v[4:5], v[40:41], v[70:71], -v[4:5]
	v_fmac_f64_e32 v[44:45], v[42:43], v[70:71]
	s_delay_alu instid0(VALU_DEP_2) | instskip(NEXT) | instid1(VALU_DEP_2)
	v_add_f64_e32 v[14:15], v[14:15], v[4:5]
	v_add_f64_e32 v[16:17], v[16:17], v[44:45]
	s_or_b32 exec_lo, exec_lo, s25
	s_and_saveexec_b32 s25, s10
	s_cbranch_execz .LBB181_206
.LBB181_504:                            ;   in Loop: Header=BB181_3 Depth=1
	ds_load_b128 v[40:43], v60 offset:16336
	ds_load_b128 v[70:73], v59 offset:14848
	s_wait_dscnt 0x0
	v_mul_f64_e32 v[4:5], v[42:43], v[72:73]
	v_mul_f64_e32 v[44:45], v[40:41], v[72:73]
	s_delay_alu instid0(VALU_DEP_2) | instskip(NEXT) | instid1(VALU_DEP_2)
	v_fma_f64 v[4:5], v[40:41], v[70:71], -v[4:5]
	v_fmac_f64_e32 v[44:45], v[42:43], v[70:71]
	s_delay_alu instid0(VALU_DEP_2) | instskip(NEXT) | instid1(VALU_DEP_2)
	v_add_f64_e32 v[14:15], v[14:15], v[4:5]
	v_add_f64_e32 v[16:17], v[16:17], v[44:45]
	s_or_b32 exec_lo, exec_lo, s25
	s_and_saveexec_b32 s25, s12
	s_cbranch_execz .LBB181_207
.LBB181_505:                            ;   in Loop: Header=BB181_3 Depth=1
	ds_load_b128 v[40:43], v60 offset:16352
	ds_load_b128 v[70:73], v59 offset:15360
	s_wait_dscnt 0x0
	v_mul_f64_e32 v[4:5], v[42:43], v[72:73]
	v_mul_f64_e32 v[44:45], v[40:41], v[72:73]
	s_delay_alu instid0(VALU_DEP_2) | instskip(NEXT) | instid1(VALU_DEP_2)
	v_fma_f64 v[4:5], v[40:41], v[70:71], -v[4:5]
	v_fmac_f64_e32 v[44:45], v[42:43], v[70:71]
	s_delay_alu instid0(VALU_DEP_2) | instskip(NEXT) | instid1(VALU_DEP_2)
	v_add_f64_e32 v[14:15], v[14:15], v[4:5]
	v_add_f64_e32 v[16:17], v[16:17], v[44:45]
	s_or_b32 exec_lo, exec_lo, s25
	s_and_saveexec_b32 s25, s5
	s_cbranch_execnz .LBB181_208
	s_branch .LBB181_209
.LBB181_506:                            ;   in Loop: Header=BB181_3 Depth=1
	ds_load_b128 v[40:43], v52 offset:7888
	ds_load_b128 v[70:73], v51 offset:6784
	s_wait_dscnt 0x0
	v_mul_f64_e32 v[4:5], v[42:43], v[72:73]
	v_mul_f64_e32 v[44:45], v[40:41], v[72:73]
	s_delay_alu instid0(VALU_DEP_2) | instskip(NEXT) | instid1(VALU_DEP_2)
	v_fma_f64 v[4:5], v[40:41], v[70:71], -v[4:5]
	v_fmac_f64_e32 v[44:45], v[42:43], v[70:71]
	s_delay_alu instid0(VALU_DEP_2) | instskip(NEXT) | instid1(VALU_DEP_2)
	v_add_f64_e32 v[14:15], v[14:15], v[4:5]
	v_add_f64_e32 v[16:17], v[16:17], v[44:45]
	s_or_b32 exec_lo, exec_lo, s25
	s_and_saveexec_b32 s25, s7
	s_cbranch_execz .LBB181_293
.LBB181_507:                            ;   in Loop: Header=BB181_3 Depth=1
	ds_load_b128 v[40:43], v52 offset:7904
	ds_load_b128 v[70:73], v51 offset:7296
	s_wait_dscnt 0x0
	v_mul_f64_e32 v[4:5], v[42:43], v[72:73]
	v_mul_f64_e32 v[44:45], v[40:41], v[72:73]
	s_delay_alu instid0(VALU_DEP_2) | instskip(NEXT) | instid1(VALU_DEP_2)
	v_fma_f64 v[4:5], v[40:41], v[70:71], -v[4:5]
	v_fmac_f64_e32 v[44:45], v[42:43], v[70:71]
	s_delay_alu instid0(VALU_DEP_2) | instskip(NEXT) | instid1(VALU_DEP_2)
	v_add_f64_e32 v[14:15], v[14:15], v[4:5]
	v_add_f64_e32 v[16:17], v[16:17], v[44:45]
	s_or_b32 exec_lo, exec_lo, s25
	s_and_saveexec_b32 s25, s3
	s_cbranch_execnz .LBB181_294
	s_branch .LBB181_295
.LBB181_508:                            ;   in Loop: Header=BB181_3 Depth=1
	ds_load_b128 v[40:43], v56 offset:7888
	ds_load_b128 v[70:73], v55 offset:6656
	s_wait_dscnt 0x0
	v_mul_f64_e32 v[4:5], v[42:43], v[72:73]
	v_mul_f64_e32 v[44:45], v[40:41], v[72:73]
	s_delay_alu instid0(VALU_DEP_2) | instskip(NEXT) | instid1(VALU_DEP_2)
	v_fma_f64 v[4:5], v[40:41], v[70:71], -v[4:5]
	v_fmac_f64_e32 v[44:45], v[42:43], v[70:71]
	s_delay_alu instid0(VALU_DEP_2) | instskip(NEXT) | instid1(VALU_DEP_2)
	v_add_f64_e32 v[14:15], v[14:15], v[4:5]
	v_add_f64_e32 v[16:17], v[16:17], v[44:45]
	s_or_b32 exec_lo, exec_lo, s25
	s_and_saveexec_b32 s25, s5
	s_cbranch_execz .LBB181_339
.LBB181_509:                            ;   in Loop: Header=BB181_3 Depth=1
	ds_load_b128 v[40:43], v56 offset:7904
	ds_load_b128 v[70:73], v55 offset:7168
	s_wait_dscnt 0x0
	v_mul_f64_e32 v[4:5], v[42:43], v[72:73]
	v_mul_f64_e32 v[44:45], v[40:41], v[72:73]
	s_delay_alu instid0(VALU_DEP_2) | instskip(NEXT) | instid1(VALU_DEP_2)
	v_fma_f64 v[4:5], v[40:41], v[70:71], -v[4:5]
	v_fmac_f64_e32 v[44:45], v[42:43], v[70:71]
	s_delay_alu instid0(VALU_DEP_2) | instskip(NEXT) | instid1(VALU_DEP_2)
	v_add_f64_e32 v[14:15], v[14:15], v[4:5]
	v_add_f64_e32 v[16:17], v[16:17], v[44:45]
	s_or_b32 exec_lo, exec_lo, s25
	s_and_saveexec_b32 s25, s7
	s_cbranch_execnz .LBB181_340
	s_branch .LBB181_341
.LBB181_510:                            ;   in Loop: Header=BB181_3 Depth=1
	ds_load_b128 v[40:43], v52 offset:3664
	ds_load_b128 v[70:73], v51 offset:2560
	s_wait_dscnt 0x0
	v_mul_f64_e32 v[4:5], v[42:43], v[72:73]
	v_mul_f64_e32 v[44:45], v[40:41], v[72:73]
	s_delay_alu instid0(VALU_DEP_2) | instskip(NEXT) | instid1(VALU_DEP_2)
	v_fma_f64 v[4:5], v[40:41], v[70:71], -v[4:5]
	v_fmac_f64_e32 v[44:45], v[42:43], v[70:71]
	s_delay_alu instid0(VALU_DEP_2) | instskip(NEXT) | instid1(VALU_DEP_2)
	v_add_f64_e32 v[14:15], v[14:15], v[4:5]
	v_add_f64_e32 v[16:17], v[16:17], v[44:45]
	s_or_b32 exec_lo, exec_lo, s25
	s_and_saveexec_b32 s25, s7
	s_cbranch_execz .LBB181_393
.LBB181_511:                            ;   in Loop: Header=BB181_3 Depth=1
	ds_load_b128 v[40:43], v52 offset:3680
	ds_load_b128 v[70:73], v51 offset:3072
	s_wait_dscnt 0x0
	v_mul_f64_e32 v[4:5], v[42:43], v[72:73]
	v_mul_f64_e32 v[44:45], v[40:41], v[72:73]
	s_delay_alu instid0(VALU_DEP_2) | instskip(NEXT) | instid1(VALU_DEP_2)
	v_fma_f64 v[4:5], v[40:41], v[70:71], -v[4:5]
	v_fmac_f64_e32 v[44:45], v[42:43], v[70:71]
	s_delay_alu instid0(VALU_DEP_2) | instskip(NEXT) | instid1(VALU_DEP_2)
	v_add_f64_e32 v[14:15], v[14:15], v[4:5]
	v_add_f64_e32 v[16:17], v[16:17], v[44:45]
	s_or_b32 exec_lo, exec_lo, s25
	s_and_saveexec_b32 s25, s3
	s_cbranch_execnz .LBB181_394
	s_branch .LBB181_395
.LBB181_512:
	s_endpgm
	.section	.rodata,"a",@progbits
	.p2align	6, 0x0
	.amdhsa_kernel _ZL19rocblas_trsv_deviceILi32ELi16ELb0ELb0ELb0ELb1E19rocblas_complex_numIdES1_PKPKS1_PKPS1_EviT7_lllT6_T8_lllPii
		.amdhsa_group_segment_fixed_size 25104
		.amdhsa_private_segment_fixed_size 0
		.amdhsa_kernarg_size 360
		.amdhsa_user_sgpr_count 2
		.amdhsa_user_sgpr_dispatch_ptr 0
		.amdhsa_user_sgpr_queue_ptr 0
		.amdhsa_user_sgpr_kernarg_segment_ptr 1
		.amdhsa_user_sgpr_dispatch_id 0
		.amdhsa_user_sgpr_kernarg_preload_length 0
		.amdhsa_user_sgpr_kernarg_preload_offset 0
		.amdhsa_user_sgpr_private_segment_size 0
		.amdhsa_wavefront_size32 1
		.amdhsa_uses_dynamic_stack 0
		.amdhsa_enable_private_segment 0
		.amdhsa_system_sgpr_workgroup_id_x 1
		.amdhsa_system_sgpr_workgroup_id_y 0
		.amdhsa_system_sgpr_workgroup_id_z 1
		.amdhsa_system_sgpr_workgroup_info 0
		.amdhsa_system_vgpr_workitem_id 1
		.amdhsa_next_free_vgpr 77
		.amdhsa_next_free_sgpr 105
		.amdhsa_named_barrier_count 0
		.amdhsa_reserve_vcc 1
		.amdhsa_float_round_mode_32 0
		.amdhsa_float_round_mode_16_64 0
		.amdhsa_float_denorm_mode_32 3
		.amdhsa_float_denorm_mode_16_64 3
		.amdhsa_fp16_overflow 0
		.amdhsa_memory_ordered 1
		.amdhsa_forward_progress 1
		.amdhsa_inst_pref_size 161
		.amdhsa_round_robin_scheduling 0
		.amdhsa_exception_fp_ieee_invalid_op 0
		.amdhsa_exception_fp_denorm_src 0
		.amdhsa_exception_fp_ieee_div_zero 0
		.amdhsa_exception_fp_ieee_overflow 0
		.amdhsa_exception_fp_ieee_underflow 0
		.amdhsa_exception_fp_ieee_inexact 0
		.amdhsa_exception_int_div_zero 0
	.end_amdhsa_kernel
	.section	.text._ZL19rocblas_trsv_deviceILi32ELi16ELb0ELb0ELb0ELb1E19rocblas_complex_numIdES1_PKPKS1_PKPS1_EviT7_lllT6_T8_lllPii,"axG",@progbits,_ZL19rocblas_trsv_deviceILi32ELi16ELb0ELb0ELb0ELb1E19rocblas_complex_numIdES1_PKPKS1_PKPS1_EviT7_lllT6_T8_lllPii,comdat
.Lfunc_end181:
	.size	_ZL19rocblas_trsv_deviceILi32ELi16ELb0ELb0ELb0ELb1E19rocblas_complex_numIdES1_PKPKS1_PKPS1_EviT7_lllT6_T8_lllPii, .Lfunc_end181-_ZL19rocblas_trsv_deviceILi32ELi16ELb0ELb0ELb0ELb1E19rocblas_complex_numIdES1_PKPKS1_PKPS1_EviT7_lllT6_T8_lllPii
                                        ; -- End function
	.set _ZL19rocblas_trsv_deviceILi32ELi16ELb0ELb0ELb0ELb1E19rocblas_complex_numIdES1_PKPKS1_PKPS1_EviT7_lllT6_T8_lllPii.num_vgpr, 77
	.set _ZL19rocblas_trsv_deviceILi32ELi16ELb0ELb0ELb0ELb1E19rocblas_complex_numIdES1_PKPKS1_PKPS1_EviT7_lllT6_T8_lllPii.num_agpr, 0
	.set _ZL19rocblas_trsv_deviceILi32ELi16ELb0ELb0ELb0ELb1E19rocblas_complex_numIdES1_PKPKS1_PKPS1_EviT7_lllT6_T8_lllPii.numbered_sgpr, 105
	.set _ZL19rocblas_trsv_deviceILi32ELi16ELb0ELb0ELb0ELb1E19rocblas_complex_numIdES1_PKPKS1_PKPS1_EviT7_lllT6_T8_lllPii.num_named_barrier, 0
	.set _ZL19rocblas_trsv_deviceILi32ELi16ELb0ELb0ELb0ELb1E19rocblas_complex_numIdES1_PKPKS1_PKPS1_EviT7_lllT6_T8_lllPii.private_seg_size, 0
	.set _ZL19rocblas_trsv_deviceILi32ELi16ELb0ELb0ELb0ELb1E19rocblas_complex_numIdES1_PKPKS1_PKPS1_EviT7_lllT6_T8_lllPii.uses_vcc, 1
	.set _ZL19rocblas_trsv_deviceILi32ELi16ELb0ELb0ELb0ELb1E19rocblas_complex_numIdES1_PKPKS1_PKPS1_EviT7_lllT6_T8_lllPii.uses_flat_scratch, 0
	.set _ZL19rocblas_trsv_deviceILi32ELi16ELb0ELb0ELb0ELb1E19rocblas_complex_numIdES1_PKPKS1_PKPS1_EviT7_lllT6_T8_lllPii.has_dyn_sized_stack, 0
	.set _ZL19rocblas_trsv_deviceILi32ELi16ELb0ELb0ELb0ELb1E19rocblas_complex_numIdES1_PKPKS1_PKPS1_EviT7_lllT6_T8_lllPii.has_recursion, 0
	.set _ZL19rocblas_trsv_deviceILi32ELi16ELb0ELb0ELb0ELb1E19rocblas_complex_numIdES1_PKPKS1_PKPS1_EviT7_lllT6_T8_lllPii.has_indirect_call, 0
	.section	.AMDGPU.csdata,"",@progbits
; Kernel info:
; codeLenInByte = 20536
; TotalNumSgprs: 107
; NumVgprs: 77
; ScratchSize: 0
; MemoryBound: 1
; FloatMode: 240
; IeeeMode: 1
; LDSByteSize: 25104 bytes/workgroup (compile time only)
; SGPRBlocks: 0
; VGPRBlocks: 4
; NumSGPRsForWavesPerEU: 107
; NumVGPRsForWavesPerEU: 77
; NamedBarCnt: 0
; Occupancy: 12
; WaveLimiterHint : 1
; COMPUTE_PGM_RSRC2:SCRATCH_EN: 0
; COMPUTE_PGM_RSRC2:USER_SGPR: 2
; COMPUTE_PGM_RSRC2:TRAP_HANDLER: 0
; COMPUTE_PGM_RSRC2:TGID_X_EN: 1
; COMPUTE_PGM_RSRC2:TGID_Y_EN: 0
; COMPUTE_PGM_RSRC2:TGID_Z_EN: 1
; COMPUTE_PGM_RSRC2:TIDIG_COMP_CNT: 1
	.section	.text._ZL19rocblas_trsv_deviceILi32ELi16ELb0ELb1ELb0ELb1E19rocblas_complex_numIdES1_PKPKS1_PKPS1_EviT7_lllT6_T8_lllPii,"axG",@progbits,_ZL19rocblas_trsv_deviceILi32ELi16ELb0ELb1ELb0ELb1E19rocblas_complex_numIdES1_PKPKS1_PKPS1_EviT7_lllT6_T8_lllPii,comdat
	.globl	_ZL19rocblas_trsv_deviceILi32ELi16ELb0ELb1ELb0ELb1E19rocblas_complex_numIdES1_PKPKS1_PKPS1_EviT7_lllT6_T8_lllPii ; -- Begin function _ZL19rocblas_trsv_deviceILi32ELi16ELb0ELb1ELb0ELb1E19rocblas_complex_numIdES1_PKPKS1_PKPS1_EviT7_lllT6_T8_lllPii
	.p2align	8
	.type	_ZL19rocblas_trsv_deviceILi32ELi16ELb0ELb1ELb0ELb1E19rocblas_complex_numIdES1_PKPKS1_PKPS1_EviT7_lllT6_T8_lllPii,@function
_ZL19rocblas_trsv_deviceILi32ELi16ELb0ELb1ELb0ELb1E19rocblas_complex_numIdES1_PKPKS1_PKPS1_EviT7_lllT6_T8_lllPii: ; @_ZL19rocblas_trsv_deviceILi32ELi16ELb0ELb1ELb0ELb1E19rocblas_complex_numIdES1_PKPKS1_PKPS1_EviT7_lllT6_T8_lllPii
; %bb.0:
	s_load_b32 s35, s[0:1], 0x60
	s_bfe_u32 s2, ttmp6, 0x40014
	s_lshr_b32 s3, ttmp7, 16
	s_add_co_i32 s2, s2, 1
	s_bfe_u32 s5, ttmp6, 0x40008
	s_mul_i32 s4, s3, s2
	s_getreg_b32 s2, hwreg(HW_REG_IB_STS2, 6, 4)
	s_add_co_i32 s5, s5, s4
	s_cmp_eq_u32 s2, 0
	s_mov_b32 s53, 0
	s_cselect_b32 s52, s3, s5
	s_wait_kmcnt 0x0
	s_cmp_ge_u32 s52, s35
	s_cbranch_scc1 .LBB182_542
; %bb.1:
	s_clause 0x2
	s_load_b32 s3, s[0:1], 0x74
	s_load_b32 s60, s[0:1], 0x0
	s_load_b64 s[22:23], s[0:1], 0x18
	s_bfe_u32 s5, ttmp6, 0x4000c
	s_and_b32 s4, ttmp6, 15
	s_add_co_i32 s5, s5, 1
	v_and_b32_e32 v22, 0x3ff, v0
	s_mul_i32 s5, ttmp9, s5
	v_mov_b32_e32 v1, 0
	s_add_co_i32 s4, s4, s5
	s_cmp_eq_u32 s2, 0
	v_bfe_u32 v20, v0, 10, 10
	s_cselect_b32 s61, ttmp9, s4
	v_dual_lshlrev_b32 v3, 5, v22 :: v_dual_mov_b32 v25, v1
                                        ; implicit-def: $vgpr210 : SGPR spill to VGPR lane
	s_clause 0x1
	s_load_b64 s[54:55], s[0:1], 0x48
	s_load_b64 s[56:57], s[0:1], 0x58
	v_add_nc_u32_e32 v2, 16, v20
	v_lshl_add_u32 v6, v20, 5, v22
	v_cmp_gt_u32_e64 s7, 2, v22
	s_load_b128 s[44:47], s[0:1], 0x8
	s_wait_kmcnt 0x0
	s_and_b32 s2, s3, 0xffff
	s_add_co_i32 s3, s60, -1
	s_ashr_i32 s4, s60, 31
	s_ashr_i32 s5, s3, 31
	s_lshr_b32 s4, s4, 27
	s_lshr_b32 s5, s5, 27
	s_add_co_i32 s4, s60, s4
	s_add_co_i32 s3, s3, s5
	s_and_not1_b32 s4, s4, 31
	s_ashr_i32 s3, s3, 5
	s_sub_co_i32 s20, s60, s4
	s_cmp_eq_u32 s3, s61
	v_sub_co_u32 v23, s5, s61, 1
	s_cselect_b32 s3, -1, 0
	s_cmp_lg_u32 s20, 0
	v_lshl_add_u32 v9, v2, 5, v22
	s_cselect_b32 s4, -1, 0
	s_lshl_b32 s24, s61, 5
	s_and_b32 s21, s4, s3
	v_dual_add_nc_u32 v7, v20, v3 :: v_dual_add_nc_u32 v8, s24, v20
	s_xor_b32 s62, s5, -1
	s_xor_b32 s63, s21, -1
	s_cmp_lt_i32 s61, 5
	v_dual_add_nc_u32 v4, s24, v22 :: v_dual_add_nc_u32 v3, v2, v3
	s_cselect_b32 vcc_lo, -1, 0
	v_dual_cndmask_b32 v7, v6, v7 :: v_dual_lshrrev_b32 v10, 1, v6
	s_or_b32 vcc_lo, vcc_lo, s21
	s_delay_alu instid0(VALU_DEP_2) | instid1(SALU_CYCLE_1)
	v_dual_cndmask_b32 v9, v9, v3, vcc_lo :: v_dual_bitop2_b32 v11, 1, v0 bitop3:0x40
	v_lshrrev_b32_e32 v3, 10, v0
	s_add_nc_u64 s[4:5], s[22:23], 1
	s_ashr_i32 s25, s24, 31
	v_cmp_gt_u32_e64 s3, 4, v6
	s_mul_u64 s[26:27], s[4:5], s[24:25]
	v_bitop3_b32 v12, v0, v3, 0x3ff bitop3:0xa8
	v_dual_lshlrev_b32 v3, 9, v10 :: v_dual_lshlrev_b32 v47, 4, v11
	v_lshlrev_b32_e32 v49, 4, v22
	v_cmp_eq_u32_e64 s5, 1, v11
	v_cmp_eq_u32_e64 s6, 0, v11
	s_delay_alu instid0(VALU_DEP_4)
	v_dual_sub_nc_u32 v48, 0, v3 :: v_dual_sub_nc_u32 v50, v47, v3
	v_dual_lshrrev_b32 v3, 2, v6 :: v_dual_bitop2_b32 v11, 3, v0 bitop3:0x40
	s_and_b32 s66, s6, s3
	v_cmp_gt_u32_e64 s6, 16, v6
	s_and_b32 s65, s5, s3
	v_lshlrev_b32_e32 v13, 9, v3
	v_cmp_eq_u32_e64 s9, 3, v11
	v_lshl_add_u32 v54, v3, 4, 0x4000
	v_cmp_ne_u32_e64 s10, 3, v11
	v_dual_lshrrev_b32 v3, 3, v6 :: v_dual_lshlrev_b32 v55, 4, v11
	v_sub_nc_u32_e32 v56, 0, v13
	s_and_b32 s68, s9, s6
	v_cmp_gt_u32_e64 s9, 2, v11
	v_cmp_eq_u32_e64 s5, 0, v20
	v_cmp_eq_u32_e64 s11, 2, v11
	;; [unrolled: 1-line block ×3, first 2 shown]
	s_and_b32 s69, s10, s6
	v_cmp_eq_u32_e64 s10, 0, v11
	s_and_b32 s71, s9, s6
	v_cmp_gt_u32_e64 s9, 4, v22
	v_dual_sub_nc_u32 v57, v55, v13 :: v_dual_bitop2_b32 v11, 7, v0 bitop3:0x40
	s_and_b32 s73, s10, s6
	v_cmp_gt_u32_e64 s10, 56, v6
	s_and_b32 s74, s5, s9
	v_cmp_gt_u32_e64 s9, 64, v6
	v_cmp_eq_u32_e64 s15, 7, v11
	v_cmp_ne_u32_e64 s16, 7, v11
	v_lshlrev_b32_e32 v13, 9, v3
	v_lshl_add_u32 v58, v3, 4, 0x4000
	v_cmp_eq_u32_e64 s17, 6, v11
	s_and_b32 s75, s15, s9
	v_cmp_eq_u32_e64 s15, 5, v11
	s_and_b32 s76, s16, s9
	v_cmp_gt_u32_e64 s16, 5, v11
	v_dual_lshlrev_b32 v3, 5, v6 :: v_dual_lshlrev_b32 v59, 4, v11
	v_sub_nc_u32_e32 v60, 0, v13
	s_and_b32 s79, s15, s9
	v_cmp_eq_u32_e64 s15, 4, v11
	s_and_b32 s80, s16, s9
	v_cmp_gt_u32_e64 s16, 3, v11
	v_writelane_b32 v210, s10, 0
	v_cmp_gt_u32_e64 s10, 40, v6
	s_and_b32 s81, s15, s9
	v_cmp_eq_u32_e64 s15, 2, v11
	s_and_b32 s77, s17, s9
	v_cmp_gt_u32_e64 s17, 4, v11
	s_and_b32 s84, s16, s9
	v_cmp_gt_u32_e64 s16, 2, v11
	;; [unrolled: 2-line block ×3, first 2 shown]
	v_dual_sub_nc_u32 v61, v59, v13 :: v_dual_bitop2_b32 v0, 15, v0 bitop3:0x40
	v_writelane_b32 v210, s10, 1
	v_cmp_gt_u32_e64 s10, 24, v6
	v_cmp_gt_u32_e64 s18, 6, v11
	s_and_b32 s82, s17, s9
	v_cmp_eq_u32_e64 s17, 1, v11
	s_and_b32 s86, s16, s9
	s_and_b32 s89, s5, s15
	v_cmp_gt_u32_e64 s15, 0x100, v6
	v_cmp_eq_u32_e64 s16, 15, v0
	v_writelane_b32 v210, s10, 2
	s_and_b32 s78, s18, s9
	v_cmp_eq_u32_e64 s18, 3, v11
	s_and_b32 s87, s17, s9
	v_cmp_ne_u32_e64 s17, 15, v0
	s_and_b32 s10, s16, s15
	v_cmp_eq_u32_e64 s16, 14, v0
	v_writelane_b32 v210, s10, 3
	s_and_b32 s83, s18, s9
	v_cmp_eq_u32_e64 s18, 0, v11
	s_and_b32 s10, s17, s15
	v_cmp_eq_u32_e64 s19, 13, v0
	v_writelane_b32 v210, s10, 4
	s_and_b32 s10, s16, s15
	s_and_b32 s88, s18, s9
	v_cmp_gt_u32_e64 s18, 14, v0
	v_cmp_gt_u32_e64 s17, 13, v0
	v_writelane_b32 v210, s10, 5
	v_cmp_eq_u32_e64 s16, 12, v0
	v_lshl_add_u32 v46, v10, 4, 0x4000
	s_and_b32 s10, s18, s15
	v_cmp_eq_u32_e64 s18, 11, v0
	v_writelane_b32 v210, s10, 6
	s_and_b32 s10, s19, s15
	v_cmp_gt_u32_e64 s19, 11, v0
	v_mad_u32_u24 v10, 0x1f0, v22, v49
	s_and_b32 s72, s12, s6
	v_writelane_b32 v210, s10, 7
	s_and_b32 s10, s17, s15
	v_cmp_gt_u32_e64 s17, 12, v0
	v_mad_i32_i24 v53, 0xfffffe10, v22, v10
	v_dual_lshlrev_b32 v71, 4, v0 :: v_dual_bitop2_b32 v11, -16, v6 bitop3:0x40
	v_writelane_b32 v210, s10, 8
	s_and_b32 s10, s16, s15
	v_cmp_eq_u32_e64 s16, 10, v0
	v_and_b32_e32 v3, 0xfffffe00, v3
	v_subrev_nc_u32_e32 v26, 32, v8
	v_writelane_b32 v210, s10, 9
	s_and_b32 s10, s17, s15
	v_cmp_gt_u32_e64 s17, 10, v0
	v_dual_sub_nc_u32 v72, 0, v3 :: v_dual_sub_nc_u32 v73, v71, v3
	v_writelane_b32 v210, s10, 10
	s_and_b32 s10, s18, s15
	v_cmp_gt_u32_e64 s18, 9, v0
	v_dual_ashrrev_i32 v5, 31, v4 :: v_dual_ashrrev_i32 v27, 31, v26
	v_writelane_b32 v210, s10, 11
	s_and_b32 s10, s19, s15
	v_cmp_eq_u32_e64 s19, 8, v0
	v_mad_u32_u24 v24, v20, s2, v22
	v_cmp_gt_i32_e64 s2, s60, v4
	v_writelane_b32 v210, s10, 12
	s_and_b32 s10, s16, s15
	v_cmp_eq_u32_e64 s16, 9, v0
	s_and_b32 s104, s19, s15
	v_cmp_gt_u32_e64 s19, 6, v0
	v_writelane_b32 v210, s10, 13
	s_and_b32 s10, s17, s15
	v_cmp_gt_u32_e64 s17, 8, v0
	s_xor_b32 s64, vcc_lo, -1
	s_and_b32 s14, s19, s15
	v_writelane_b32 v210, s10, 14
	s_and_b32 s10, s16, s15
	v_cmp_eq_u32_e64 s16, 7, v0
	s_and_b32 vcc_hi, s17, s15
	v_cmp_gt_u32_e64 s17, 7, v0
	v_writelane_b32 v210, s10, 15
	s_and_b32 s10, s18, s15
	v_cmp_eq_u32_e64 s18, 6, v0
	s_and_b32 s28, s16, s15
	v_cmp_eq_u32_e64 s16, 5, v0
	v_writelane_b32 v210, s10, 16
	s_and_b32 s10, s17, s15
	v_cmp_gt_u32_e64 s17, 5, v0
	s_and_b32 s12, s18, s15
	s_and_b32 s90, s16, s15
	v_cmp_eq_u32_e64 s16, 4, v0
	v_cmp_gt_u32_e64 s18, 4, v0
	v_cmp_eq_u32_e64 s19, 3, v0
	s_and_b32 s91, s17, s15
	v_cmp_gt_u32_e64 s17, 3, v0
	s_and_b32 s92, s16, s15
	s_and_b32 s93, s18, s15
	;; [unrolled: 1-line block ×3, first 2 shown]
	v_cmp_eq_u32_e64 s16, 2, v0
	s_and_b32 s95, s17, s15
	v_cmp_gt_u32_e64 s17, 2, v0
	v_cmp_eq_u32_e64 s18, 1, v0
	v_cmp_eq_u32_e64 s19, 0, v0
	v_add_nc_u32_e32 v0, -16, v8
	s_and_b32 s96, s16, s15
	s_and_b32 s97, s17, s15
	;; [unrolled: 1-line block ×3, first 2 shown]
	v_cmp_le_i32_e64 s17, s20, v22
	v_cmp_gt_i32_e64 s18, s60, v0
	v_mad_u32_u24 v0, 0x1f0, v22, v53
	v_cmp_gt_u32_e64 s16, 16, v22
	v_cmp_gt_i32_e32 vcc_lo, s20, v22
	s_and_b32 s101, s17, s21
	s_and_b32 s99, s19, s15
	v_mad_i32_i24 v104, 0xfffffe10, v22, v0
	v_add_nc_u32_e32 v100, 0x3980, v0
	v_add_nc_u32_e32 v101, 0x39b0, v0
	;; [unrolled: 1-line block ×4, first 2 shown]
	v_mad_u32_u24 v3, 0x1f0, v22, v104
	v_add_nc_u32_e32 v105, 0x2d40, v0
	v_add_nc_u32_e32 v106, 0x2d50, v0
	v_add_nc_u32_e32 v107, 0x1880, v0
	v_add_nc_u32_e32 v108, 0x18b0, v0
	v_mad_i32_i24 v115, 0xfffffe10, v22, v3
	v_add_nc_u32_e32 v109, 0x18a0, v0
	v_add_nc_u32_e32 v110, 0x1890, v0
	;; [unrolled: 1-line block ×4, first 2 shown]
	v_mad_u32_u24 v0, 0x1f0, v22, v115
	s_and_b32 s100, s5, s16
	s_xor_b32 s16, s101, -1
	v_add_nc_u32_e32 v113, 0x3580, v3
	v_add_nc_u32_e32 v114, 0x3590, v3
	;; [unrolled: 1-line block ×12, first 2 shown]
	v_mul_u64_e32 v[28:29], s[22:23], v[4:5]
	v_mul_u64_e32 v[30:31], s[54:55], v[4:5]
	v_dual_lshlrev_b32 v3, 4, v20 :: v_dual_lshlrev_b32 v137, 4, v9
	v_mad_i32_i24 v4, 0xfffffe10, v22, v0
	v_cmp_le_i32_e64 s19, s20, v20
	s_and_b32 s67, s5, s7
	s_and_b32 s70, s11, s6
	;; [unrolled: 1-line block ×3, first 2 shown]
	v_cmp_le_i32_e64 s20, s20, v2
	s_cmp_gt_i32 s61, 0
	v_add_nc_u32_e32 v126, 0x2500, v0
	s_cselect_b32 s103, -1, 0
	v_add_nc_u32_e32 v127, 0x2510, v0
	v_add_nc_u32_e32 v128, 0x400, v0
	v_add_nc_u32_e32 v129, 0x410, v0
	v_dual_add_nc_u32 v130, v0, v3 :: v_dual_add_nc_u32 v134, 32, v4
	v_add_nc_u32_e32 v132, 0x2120, v4
	v_add_nc_u32_e32 v133, 0x2320, v4
	v_add_nc_u32_e32 v135, 0x220, v4
	v_lshl_add_u32 v136, v20, 9, v4
	v_add_nc_u32_e32 v0, s24, v24
	v_add_nc_u64_e32 v[4:5], s[24:25], v[24:25]
	s_or_b32 s24, s19, s17
	s_and_b32 s19, s5, vcc_lo
	s_or_b32 s25, s20, s17
	v_writelane_b32 v210, s19, 17
	s_and_b32 s20, s18, s2
	v_cmp_gt_u32_e64 s18, 0xf0, v6
	v_add_nc_u32_e32 v52, 0x3dd0, v10
	v_dual_mov_b32 v21, v1 :: v_dual_add_nc_u32 v62, 0x3100, v10
	v_add_nc_u32_e32 v131, 0x6000, v3
	v_mov_b32_e32 v3, v1
	v_writelane_b32 v210, s18, 18
	v_cmp_gt_u32_e64 s18, 0xe0, v6
	v_mul_u64_e32 v[32:33], s[54:55], v[4:5]
	v_dual_lshlrev_b32 v25, 4, v7 :: v_dual_bitop2_b32 v7, v2, v22 bitop3:0x54
	v_mul_u64_e32 v[34:35], s[22:23], v[2:3]
	v_mul_u64_e32 v[38:39], s[54:55], v[0:1]
	;; [unrolled: 1-line block ×3, first 2 shown]
	v_writelane_b32 v210, s18, 19
	v_cmp_gt_u32_e64 s18, 0xd0, v6
	s_load_b256 s[36:43], s[0:1], 0x28
	v_cmp_ge_u32_e64 s16, v22, v20
	v_cmp_gt_i32_e64 s21, s60, v26
	v_cmp_ge_u32_e64 s17, v22, v2
	v_writelane_b32 v210, s18, 20
	v_cmp_gt_u32_e64 s18, 0xc0, v6
	v_cmp_gt_u32_e64 s4, 2, v6
	v_add_nc_u32_e32 v51, 0x3dc0, v10
	v_cmp_gt_u32_e64 s7, 12, v6
	v_cmp_gt_u32_e64 s8, 8, v6
	v_writelane_b32 v210, s18, 21
	v_cmp_gt_u32_e64 s18, 0xb0, v6
	v_cmp_gt_u32_e64 s11, 48, v6
	v_cmp_gt_u32_e64 s13, 32, v6
	v_add_nc_u32_e32 v63, 0x3110, v10
	v_dual_mov_b32 v37, v1 :: v_dual_add_nc_u32 v64, 0x3120, v10
	v_writelane_b32 v210, s18, 22
	v_cmp_gt_u32_e64 s18, 0xa0, v6
	v_add_nc_u32_e32 v65, 0x3130, v10
	v_add_nc_u32_e32 v66, 0x3140, v10
	;; [unrolled: 1-line block ×4, first 2 shown]
	v_writelane_b32 v210, s18, 23
	v_cmp_gt_u32_e64 s18, 0x90, v6
	v_add_nc_u32_e32 v69, 0x3170, v10
	v_add_nc_u32_e32 v70, 0x4000, v11
	;; [unrolled: 1-line block ×28, first 2 shown]
	s_and_b32 s19, s21, s2
	s_or_b32 s21, s24, s16
	s_or_b32 s24, s25, s17
	s_lshl_b64 s[58:59], s[26:27], 4
	v_dual_lshlrev_b32 v36, 4, v22 :: v_dual_add_nc_u32 v194, 64, v104
	v_add_nc_u32_e32 v138, 0x39e0, v53
	v_add_nc_u32_e32 v139, 0x3be0, v53
	v_add_nc_u32_e32 v140, 0x31c0, v53
	v_add_nc_u32_e32 v141, 0x37c0, v53
	v_add_nc_u32_e32 v142, 0x35c0, v53
	v_add_nc_u32_e32 v143, 0x33c0, v53
	v_add_nc_u32_e32 v144, 0x31a0, v115
	v_add_nc_u32_e32 v145, 0x33a0, v115
	v_add_nc_u32_e32 v146, 0x2180, v53
	v_add_nc_u32_e32 v147, 0x2380, v53
	v_add_nc_u32_e32 v148, 0x2580, v53
	v_add_nc_u32_e32 v149, 0x2780, v53
	v_add_nc_u32_e32 v150, 0x2980, v53
	v_add_nc_u32_e32 v151, 0x2b80, v53
	v_add_nc_u32_e32 v152, 0x2d80, v53
	v_add_nc_u32_e32 v153, 0x2f80, v53
	v_add_nc_u32_e32 v154, 0x2960, v104
	v_add_nc_u32_e32 v155, 0x2b60, v104
	v_add_nc_u32_e32 v156, 0x2140, v104
	v_add_nc_u32_e32 v157, 0x2740, v104
	v_add_nc_u32_e32 v158, 0x2540, v104
	v_add_nc_u32_e32 v159, 0x2340, v104
	v_add_nc_u32_e32 v160, 0x100, v53
	v_add_nc_u32_e32 v161, 0x300, v53
	v_add_nc_u32_e32 v162, 0x500, v53
	v_add_nc_u32_e32 v163, 0x700, v53
	v_add_nc_u32_e32 v164, 0x900, v53
	v_add_nc_u32_e32 v165, 0xb00, v53
	v_add_nc_u32_e32 v166, 0xd00, v53
	v_add_nc_u32_e32 v167, 0xf00, v53
	v_add_nc_u32_e32 v168, 0x1100, v53
	v_add_nc_u32_e32 v169, 0x1300, v53
	v_add_nc_u32_e32 v170, 0x1500, v53
	v_add_nc_u32_e32 v171, 0x1700, v53
	v_add_nc_u32_e32 v172, 0x1900, v53
	v_add_nc_u32_e32 v173, 0x1b00, v53
	v_add_nc_u32_e32 v174, 0x1d00, v53
	v_add_nc_u32_e32 v175, 0x1f00, v53
	v_add_nc_u32_e32 v176, 0x18e0, v53
	v_add_nc_u32_e32 v177, 0x1ae0, v53
	v_add_nc_u32_e32 v178, 0x10c0, v53
	v_add_nc_u32_e32 v179, 0x16c0, v53
	v_add_nc_u32_e32 v180, 0x14c0, v53
	v_add_nc_u32_e32 v181, 0x12c0, v53
	v_add_nc_u32_e32 v182, 0x10a0, v115
	v_add_nc_u32_e32 v183, 0x12a0, v115
	v_add_nc_u32_e32 v184, 0x80, v53
	v_add_nc_u32_e32 v185, 0x280, v53
	v_add_nc_u32_e32 v186, 0x480, v53
	v_add_nc_u32_e32 v187, 0x680, v53
	v_add_nc_u32_e32 v188, 0x880, v53
	v_add_nc_u32_e32 v189, 0xa80, v53
	v_add_nc_u32_e32 v190, 0xc80, v53
	v_add_nc_u32_e32 v191, 0xe80, v53
	v_add_nc_u32_e32 v192, 0x860, v104
	v_add_nc_u32_e32 v193, 0xa60, v104
	v_add_nc_u32_e32 v195, 0x640, v104
	v_add_nc_u32_e32 v196, 0x440, v104
	v_add_nc_u32_e32 v197, 0x240, v104
	v_lshl_add_u32 v198, v24, 4, 0x6000
	v_lshl_add_u32 v199, v6, 4, 0x4000
	v_add_nc_u32_e32 v200, 0x4000, v49
	v_add_nc_u32_e32 v201, v131, v49
	v_writelane_b32 v210, s18, 24
	v_cmp_gt_u32_e64 s25, 0x80, v6
	v_cmp_gt_u32_e64 s26, 0x70, v6
	;; [unrolled: 1-line block ×4, first 2 shown]
	v_cmp_eq_u32_e64 s29, 0, v12
	v_cmp_gt_u32_e64 s30, 32, v12
	v_cmp_gt_u32_e64 s31, 32, v7
	v_cmp_eq_u32_e64 s33, 0, v24
	v_cmp_gt_u32_e64 s34, 32, v24
	s_lshl_b64 s[46:47], s[46:47], 4
	s_wait_kmcnt 0x0
	s_lshl_b64 s[42:43], s[42:43], 4
	s_mov_b32 s49, 0x3ff00000
                                        ; implicit-def: $vgpr4_vgpr5
                                        ; implicit-def: $vgpr8_vgpr9
	s_branch .LBB182_3
.LBB182_2:                              ;   in Loop: Header=BB182_3 Depth=1
	s_wait_xcnt 0x0
	s_or_b32 exec_lo, exec_lo, s0
	s_add_co_i32 s52, s52, 0x10000
	global_wb scope:SCOPE_DEV
	s_wait_storecnt 0x0
	global_inv scope:SCOPE_DEV
	s_cmp_lt_u32 s52, s35
	s_cbranch_scc0 .LBB182_542
.LBB182_3:                              ; =>This Loop Header: Depth=1
                                        ;     Child Loop BB182_457 Depth 2
                                        ;       Child Loop BB182_459 Depth 3
                                        ;     Child Loop BB182_490 Depth 2
	v_mov_b32_e32 v0, s52
	s_and_not1_b32 vcc_lo, exec_lo, s62
	s_clause 0x1
	global_load_b64 v[2:3], v0, s[44:45] scale_offset
	global_load_b64 v[18:19], v0, s[40:41] scale_offset
	s_wait_loadcnt 0x1
	v_add_nc_u64_e32 v[2:3], s[46:47], v[2:3]
	s_delay_alu instid0(VALU_DEP_1)
	v_lshl_add_u64 v[16:17], v[28:29], 4, v[2:3]
	s_cbranch_vccnz .LBB182_9
; %bb.4:                                ;   in Loop: Header=BB182_3 Depth=1
	v_mov_b64_e32 v[10:11], 0
	v_mov_b64_e32 v[4:5], 0
	;; [unrolled: 1-line block ×3, first 2 shown]
	v_lshl_add_u64 v[12:13], v[26:27], 4, v[16:17]
	s_wait_loadcnt 0x0
	s_barrier_signal -1
	s_barrier_wait -1
	s_wait_xcnt 0x0
	s_and_saveexec_b32 s0, s19
	s_cbranch_execz .LBB182_6
; %bb.5:                                ;   in Loop: Header=BB182_3 Depth=1
	flat_load_b128 v[4:7], v[12:13]
.LBB182_6:                              ;   in Loop: Header=BB182_3 Depth=1
	s_wait_xcnt 0x0
	s_or_b32 exec_lo, exec_lo, s0
	v_mov_b64_e32 v[8:9], 0
	s_wait_loadcnt_dscnt 0x0
	s_barrier_signal -1
	s_barrier_wait -1
	s_and_saveexec_b32 s0, s20
	s_cbranch_execz .LBB182_8
; %bb.7:                                ;   in Loop: Header=BB182_3 Depth=1
	flat_load_b128 v[8:11], v[12:13] offset:256
.LBB182_8:                              ;   in Loop: Header=BB182_3 Depth=1
	s_wait_xcnt 0x0
	s_or_b32 exec_lo, exec_lo, s0
.LBB182_9:                              ;   in Loop: Header=BB182_3 Depth=1
	v_add_nc_u64_e32 v[2:3], s[58:59], v[2:3]
	s_and_not1_b32 vcc_lo, exec_lo, s63
	s_mov_b32 s0, -1
	s_delay_alu instid0(VALU_DEP_1)
	v_add_nc_u64_e32 v[12:13], v[2:3], v[36:37]
	s_cbranch_vccnz .LBB182_16
; %bb.10:                               ;   in Loop: Header=BB182_3 Depth=1
	s_wait_xcnt 0x0
	s_and_saveexec_b32 s0, s16
	s_delay_alu instid0(SALU_CYCLE_1)
	s_xor_b32 s0, exec_lo, s0
	s_cbranch_execnz .LBB182_503
; %bb.11:                               ;   in Loop: Header=BB182_3 Depth=1
	s_and_not1_saveexec_b32 s0, s0
	s_cbranch_execnz .LBB182_506
.LBB182_12:                             ;   in Loop: Header=BB182_3 Depth=1
	s_or_b32 exec_lo, exec_lo, s0
	s_and_saveexec_b32 s0, s17
	s_delay_alu instid0(SALU_CYCLE_1)
	s_xor_b32 s0, exec_lo, s0
	s_cbranch_execnz .LBB182_507
.LBB182_13:                             ;   in Loop: Header=BB182_3 Depth=1
	s_and_not1_saveexec_b32 s0, s0
	s_cbranch_execz .LBB182_15
.LBB182_14:                             ;   in Loop: Header=BB182_3 Depth=1
	v_lshl_add_u64 v[2:3], v[34:35], 4, v[12:13]
	flat_load_b128 v[42:45], v[2:3]
	s_wait_loadcnt_dscnt 0x0
	v_xor_b32_e32 v43, 0x80000000, v43
	v_xor_b32_e32 v45, 0x80000000, v45
	ds_store_b128 v137, v[42:45]
.LBB182_15:                             ;   in Loop: Header=BB182_3 Depth=1
	s_or_b32 exec_lo, exec_lo, s0
	s_mov_b32 s0, 0
.LBB182_16:                             ;   in Loop: Header=BB182_3 Depth=1
	s_delay_alu instid0(SALU_CYCLE_1)
	s_and_b32 vcc_lo, exec_lo, s0
	s_cbranch_vccz .LBB182_23
; %bb.17:                               ;   in Loop: Header=BB182_3 Depth=1
	s_wait_xcnt 0x0
	s_and_saveexec_b32 s0, s21
	s_delay_alu instid0(SALU_CYCLE_1)
	s_xor_b32 s0, exec_lo, s0
	s_cbranch_execnz .LBB182_510
; %bb.18:                               ;   in Loop: Header=BB182_3 Depth=1
	s_and_not1_saveexec_b32 s0, s0
	s_cbranch_execnz .LBB182_513
.LBB182_19:                             ;   in Loop: Header=BB182_3 Depth=1
	s_or_b32 exec_lo, exec_lo, s0
	s_and_saveexec_b32 s0, s24
	s_delay_alu instid0(SALU_CYCLE_1)
	s_xor_b32 s0, exec_lo, s0
	s_cbranch_execnz .LBB182_514
.LBB182_20:                             ;   in Loop: Header=BB182_3 Depth=1
	s_and_not1_saveexec_b32 s0, s0
	s_cbranch_execz .LBB182_22
.LBB182_21:                             ;   in Loop: Header=BB182_3 Depth=1
	v_lshl_add_u64 v[2:3], v[34:35], 4, v[12:13]
	flat_load_b128 v[12:15], v[2:3]
	s_wait_loadcnt_dscnt 0x0
	v_xor_b32_e32 v13, 0x80000000, v13
	v_xor_b32_e32 v15, 0x80000000, v15
	ds_store_b128 v137, v[12:15]
.LBB182_22:                             ;   in Loop: Header=BB182_3 Depth=1
	s_or_b32 exec_lo, exec_lo, s0
.LBB182_23:                             ;   in Loop: Header=BB182_3 Depth=1
	s_delay_alu instid0(SALU_CYCLE_1)
	s_and_not1_b32 vcc_lo, exec_lo, s64
	s_wait_loadcnt_dscnt 0x0
	s_barrier_signal -1
	s_barrier_wait -1
	s_cbranch_vccnz .LBB182_451
; %bb.24:                               ;   in Loop: Header=BB182_3 Depth=1
	s_wait_xcnt 0x0
	s_and_saveexec_b32 s0, s29
	s_cbranch_execz .LBB182_26
; %bb.25:                               ;   in Loop: Header=BB182_3 Depth=1
	s_mov_b32 s48, s53
	s_mov_b32 s50, s53
	;; [unrolled: 1-line block ×3, first 2 shown]
	v_mov_b64_e32 v[12:13], s[48:49]
	v_mov_b64_e32 v[14:15], s[50:51]
	ds_store_b128 v1, v[12:15] offset:15840
	ds_store_b128 v1, v[12:15] offset:16368
	ds_load_b128 v[12:15], v1 offset:16352
	s_wait_dscnt 0x0
	ds_store_b128 v1, v[12:15] offset:15856
.LBB182_26:                             ;   in Loop: Header=BB182_3 Depth=1
	s_or_b32 exec_lo, exec_lo, s0
	v_mov_b64_e32 v[12:13], 0
	v_mov_b64_e32 v[14:15], 0
	s_wait_dscnt 0x0
	s_barrier_signal -1
	s_barrier_wait -1
	global_wb scope:SCOPE_DEV
	s_wait_storecnt 0x0
	global_inv scope:SCOPE_DEV
	s_and_saveexec_b32 s0, s3
	s_cbranch_execz .LBB182_30
; %bb.27:                               ;   in Loop: Header=BB182_3 Depth=1
	ds_load_b128 v[12:15], v48 offset:16352
	ds_load_b128 v[42:45], v47 offset:15808
	s_wait_dscnt 0x0
	v_mul_f64_e32 v[2:3], v[14:15], v[44:45]
	v_mul_f64_e32 v[44:45], v[12:13], v[44:45]
	s_delay_alu instid0(VALU_DEP_2) | instskip(NEXT) | instid1(VALU_DEP_2)
	v_fma_f64 v[2:3], v[12:13], v[42:43], -v[2:3]
	v_fmac_f64_e32 v[44:45], v[14:15], v[42:43]
	s_delay_alu instid0(VALU_DEP_2) | instskip(NEXT) | instid1(VALU_DEP_2)
	v_add_f64_e32 v[12:13], 0, v[2:3]
	v_add_f64_e32 v[14:15], 0, v[44:45]
	s_and_saveexec_b32 s1, s4
	s_cbranch_execz .LBB182_29
; %bb.28:                               ;   in Loop: Header=BB182_3 Depth=1
	ds_load_b128 v[42:45], v1 offset:16368
	ds_load_b128 v[202:205], v49 offset:16320
	s_wait_dscnt 0x0
	v_mul_f64_e32 v[2:3], v[44:45], v[204:205]
	s_delay_alu instid0(VALU_DEP_1) | instskip(SKIP_1) | instid1(VALU_DEP_2)
	v_fma_f64 v[2:3], v[42:43], v[202:203], -v[2:3]
	v_mul_f64_e32 v[42:43], v[42:43], v[204:205]
	v_add_f64_e32 v[12:13], v[12:13], v[2:3]
	s_delay_alu instid0(VALU_DEP_2) | instskip(NEXT) | instid1(VALU_DEP_1)
	v_fmac_f64_e32 v[42:43], v[44:45], v[202:203]
	v_add_f64_e32 v[14:15], v[14:15], v[42:43]
.LBB182_29:                             ;   in Loop: Header=BB182_3 Depth=1
	s_or_b32 exec_lo, exec_lo, s1
.LBB182_30:                             ;   in Loop: Header=BB182_3 Depth=1
	s_delay_alu instid0(SALU_CYCLE_1)
	s_or_b32 exec_lo, exec_lo, s0
	s_and_saveexec_b32 s0, s65
	s_cbranch_execz .LBB182_32
; %bb.31:                               ;   in Loop: Header=BB182_3 Depth=1
	s_delay_alu instid0(VALU_DEP_2) | instskip(NEXT) | instid1(VALU_DEP_2)
	v_xor_b32_e32 v43, 0x80000000, v13
	v_xor_b32_e32 v45, 0x80000000, v15
	s_delay_alu instid0(VALU_DEP_3)
	v_dual_mov_b32 v42, v12 :: v_dual_mov_b32 v44, v14
	ds_store_b128 v46, v[42:45]
.LBB182_32:                             ;   in Loop: Header=BB182_3 Depth=1
	s_or_b32 exec_lo, exec_lo, s0
	s_wait_loadcnt_dscnt 0x0
	s_barrier_signal -1
	s_barrier_wait -1
	s_and_saveexec_b32 s0, s66
	s_cbranch_execz .LBB182_34
; %bb.33:                               ;   in Loop: Header=BB182_3 Depth=1
	ds_load_b128 v[42:45], v46
	ds_load_b128 v[202:205], v1 offset:15296
	s_wait_dscnt 0x0
	v_mul_f64_e32 v[2:3], v[42:43], v[202:203]
	v_mul_f64_e32 v[42:43], v[42:43], v[204:205]
	s_delay_alu instid0(VALU_DEP_2) | instskip(NEXT) | instid1(VALU_DEP_2)
	v_fma_f64 v[2:3], v[44:45], v[204:205], -v[2:3]
	v_fmac_f64_e32 v[42:43], v[44:45], v[202:203]
	s_delay_alu instid0(VALU_DEP_2) | instskip(NEXT) | instid1(VALU_DEP_2)
	v_add_f64_e32 v[12:13], v[12:13], v[2:3]
	v_add_f64_e64 v[14:15], v[14:15], -v[42:43]
.LBB182_34:                             ;   in Loop: Header=BB182_3 Depth=1
	s_or_b32 exec_lo, exec_lo, s0
	s_barrier_signal -1
	s_barrier_wait -1
	s_and_saveexec_b32 s0, s66
	s_cbranch_execz .LBB182_36
; %bb.35:                               ;   in Loop: Header=BB182_3 Depth=1
	s_delay_alu instid0(VALU_DEP_2) | instskip(NEXT) | instid1(VALU_DEP_2)
	v_xor_b32_e32 v43, 0x80000000, v13
	v_xor_b32_e32 v45, 0x80000000, v15
	s_delay_alu instid0(VALU_DEP_3)
	v_dual_mov_b32 v42, v12 :: v_dual_mov_b32 v44, v14
	ds_store_b128 v46, v[42:45]
.LBB182_36:                             ;   in Loop: Header=BB182_3 Depth=1
	s_or_b32 exec_lo, exec_lo, s0
	s_wait_dscnt 0x0
	s_barrier_signal -1
	s_barrier_wait -1
	s_barrier_signal -1
	s_barrier_wait -1
	s_and_saveexec_b32 s0, s3
; %bb.37:                               ;   in Loop: Header=BB182_3 Depth=1
	ds_store_b128 v50, v[12:15] offset:16320
; %bb.38:                               ;   in Loop: Header=BB182_3 Depth=1
	s_or_b32 exec_lo, exec_lo, s0
	s_wait_dscnt 0x0
	s_barrier_signal -1
	s_barrier_wait -1
	s_barrier_signal -1
	s_barrier_wait -1
	s_and_saveexec_b32 s0, s67
	s_cbranch_execz .LBB182_40
; %bb.39:                               ;   in Loop: Header=BB182_3 Depth=1
	ds_load_b128 v[12:15], v51
	s_wait_dscnt 0x0
	ds_store_b128 v138, v[12:15]
	ds_load_b128 v[12:15], v52
	s_wait_dscnt 0x0
	ds_store_b128 v139, v[12:15]
.LBB182_40:                             ;   in Loop: Header=BB182_3 Depth=1
	s_or_b32 exec_lo, exec_lo, s0
	s_wait_dscnt 0x0
	s_barrier_signal -1
	s_barrier_wait -1
	s_and_saveexec_b32 s0, s29
	s_cbranch_execz .LBB182_42
; %bb.41:                               ;   in Loop: Header=BB182_3 Depth=1
	s_mov_b32 s48, s53
	s_mov_b32 s50, s53
	;; [unrolled: 1-line block ×3, first 2 shown]
	v_mov_b64_e32 v[12:13], s[48:49]
	v_mov_b64_e32 v[14:15], s[50:51]
	ds_store_b128 v1, v[12:15] offset:14784
	ds_store_b128 v1, v[12:15] offset:15312
	ds_load_b128 v[12:15], v1 offset:15296
	s_wait_dscnt 0x0
	ds_store_b128 v1, v[12:15] offset:14800
.LBB182_42:                             ;   in Loop: Header=BB182_3 Depth=1
	s_or_b32 exec_lo, exec_lo, s0
	v_mov_b64_e32 v[14:15], 0
	v_mov_b64_e32 v[12:13], 0
	s_wait_dscnt 0x0
	s_barrier_signal -1
	s_barrier_wait -1
	global_wb scope:SCOPE_DEV
	s_wait_storecnt 0x0
	global_inv scope:SCOPE_DEV
	s_and_saveexec_b32 s0, s6
	s_cbranch_execz .LBB182_48
; %bb.43:                               ;   in Loop: Header=BB182_3 Depth=1
	ds_load_b128 v[12:15], v56 offset:16320
	ds_load_b128 v[42:45], v55 offset:14720
	s_wait_dscnt 0x0
	v_mul_f64_e32 v[2:3], v[14:15], v[44:45]
	v_mul_f64_e32 v[44:45], v[12:13], v[44:45]
	s_delay_alu instid0(VALU_DEP_2) | instskip(NEXT) | instid1(VALU_DEP_2)
	v_fma_f64 v[2:3], v[12:13], v[42:43], -v[2:3]
	v_fmac_f64_e32 v[44:45], v[14:15], v[42:43]
	s_delay_alu instid0(VALU_DEP_2) | instskip(NEXT) | instid1(VALU_DEP_2)
	v_add_f64_e32 v[12:13], 0, v[2:3]
	v_add_f64_e32 v[14:15], 0, v[44:45]
	s_and_saveexec_b32 s1, s7
	s_cbranch_execnz .LBB182_522
; %bb.44:                               ;   in Loop: Header=BB182_3 Depth=1
	s_or_b32 exec_lo, exec_lo, s1
	s_and_saveexec_b32 s1, s8
	s_cbranch_execnz .LBB182_523
.LBB182_45:                             ;   in Loop: Header=BB182_3 Depth=1
	s_or_b32 exec_lo, exec_lo, s1
	s_and_saveexec_b32 s1, s3
	s_cbranch_execz .LBB182_47
.LBB182_46:                             ;   in Loop: Header=BB182_3 Depth=1
	ds_load_b128 v[42:45], v1 offset:16368
	ds_load_b128 v[202:205], v53 offset:16256
	s_wait_dscnt 0x0
	v_mul_f64_e32 v[2:3], v[44:45], v[204:205]
	s_delay_alu instid0(VALU_DEP_1) | instskip(SKIP_1) | instid1(VALU_DEP_2)
	v_fma_f64 v[2:3], v[42:43], v[202:203], -v[2:3]
	v_mul_f64_e32 v[42:43], v[42:43], v[204:205]
	v_add_f64_e32 v[12:13], v[12:13], v[2:3]
	s_delay_alu instid0(VALU_DEP_2) | instskip(NEXT) | instid1(VALU_DEP_1)
	v_fmac_f64_e32 v[42:43], v[44:45], v[202:203]
	v_add_f64_e32 v[14:15], v[14:15], v[42:43]
.LBB182_47:                             ;   in Loop: Header=BB182_3 Depth=1
	s_or_b32 exec_lo, exec_lo, s1
.LBB182_48:                             ;   in Loop: Header=BB182_3 Depth=1
	s_delay_alu instid0(SALU_CYCLE_1)
	s_or_b32 exec_lo, exec_lo, s0
	s_and_saveexec_b32 s0, s68
	s_cbranch_execz .LBB182_50
; %bb.49:                               ;   in Loop: Header=BB182_3 Depth=1
	s_delay_alu instid0(VALU_DEP_1) | instskip(NEXT) | instid1(VALU_DEP_3)
	v_xor_b32_e32 v45, 0x80000000, v15
	v_xor_b32_e32 v43, 0x80000000, v13
	s_delay_alu instid0(VALU_DEP_3)
	v_dual_mov_b32 v42, v12 :: v_dual_mov_b32 v44, v14
	ds_store_b128 v54, v[42:45]
.LBB182_50:                             ;   in Loop: Header=BB182_3 Depth=1
	s_or_b32 exec_lo, exec_lo, s0
	s_wait_loadcnt_dscnt 0x0
	s_barrier_signal -1
	s_barrier_wait -1
	s_and_saveexec_b32 s0, s69
	s_cbranch_execz .LBB182_52
; %bb.51:                               ;   in Loop: Header=BB182_3 Depth=1
	ds_load_b128 v[42:45], v54
	ds_load_b128 v[202:205], v55 offset:14208
	s_wait_dscnt 0x0
	v_mul_f64_e32 v[2:3], v[44:45], v[204:205]
	s_delay_alu instid0(VALU_DEP_1) | instskip(SKIP_1) | instid1(VALU_DEP_2)
	v_fma_f64 v[2:3], v[42:43], v[202:203], -v[2:3]
	v_mul_f64_e32 v[42:43], v[42:43], v[204:205]
	v_add_f64_e64 v[12:13], v[12:13], -v[2:3]
	s_delay_alu instid0(VALU_DEP_2) | instskip(NEXT) | instid1(VALU_DEP_1)
	v_fmac_f64_e32 v[42:43], v[44:45], v[202:203]
	v_add_f64_e64 v[14:15], v[14:15], -v[42:43]
.LBB182_52:                             ;   in Loop: Header=BB182_3 Depth=1
	s_or_b32 exec_lo, exec_lo, s0
	s_barrier_signal -1
	s_barrier_wait -1
	s_and_saveexec_b32 s0, s70
	s_cbranch_execz .LBB182_54
; %bb.53:                               ;   in Loop: Header=BB182_3 Depth=1
	s_delay_alu instid0(VALU_DEP_1) | instskip(NEXT) | instid1(VALU_DEP_3)
	v_xor_b32_e32 v45, 0x80000000, v15
	v_xor_b32_e32 v43, 0x80000000, v13
	s_delay_alu instid0(VALU_DEP_3)
	v_dual_mov_b32 v42, v12 :: v_dual_mov_b32 v44, v14
	ds_store_b128 v54, v[42:45]
.LBB182_54:                             ;   in Loop: Header=BB182_3 Depth=1
	s_or_b32 exec_lo, exec_lo, s0
	s_wait_dscnt 0x0
	s_barrier_signal -1
	s_barrier_wait -1
	s_and_saveexec_b32 s0, s71
	s_cbranch_execz .LBB182_56
; %bb.55:                               ;   in Loop: Header=BB182_3 Depth=1
	ds_load_b128 v[42:45], v54
	ds_load_b128 v[202:205], v55 offset:13696
	s_wait_dscnt 0x0
	v_mul_f64_e32 v[2:3], v[44:45], v[204:205]
	s_delay_alu instid0(VALU_DEP_1) | instskip(SKIP_1) | instid1(VALU_DEP_2)
	v_fma_f64 v[2:3], v[42:43], v[202:203], -v[2:3]
	v_mul_f64_e32 v[42:43], v[42:43], v[204:205]
	v_add_f64_e64 v[12:13], v[12:13], -v[2:3]
	s_delay_alu instid0(VALU_DEP_2) | instskip(NEXT) | instid1(VALU_DEP_1)
	v_fmac_f64_e32 v[42:43], v[44:45], v[202:203]
	v_add_f64_e64 v[14:15], v[14:15], -v[42:43]
.LBB182_56:                             ;   in Loop: Header=BB182_3 Depth=1
	s_or_b32 exec_lo, exec_lo, s0
	s_barrier_signal -1
	s_barrier_wait -1
	s_and_saveexec_b32 s0, s72
	s_cbranch_execz .LBB182_58
; %bb.57:                               ;   in Loop: Header=BB182_3 Depth=1
	s_delay_alu instid0(VALU_DEP_1) | instskip(NEXT) | instid1(VALU_DEP_3)
	v_xor_b32_e32 v45, 0x80000000, v15
	v_xor_b32_e32 v43, 0x80000000, v13
	s_delay_alu instid0(VALU_DEP_3)
	v_dual_mov_b32 v42, v12 :: v_dual_mov_b32 v44, v14
	ds_store_b128 v54, v[42:45]
.LBB182_58:                             ;   in Loop: Header=BB182_3 Depth=1
	s_or_b32 exec_lo, exec_lo, s0
	s_wait_dscnt 0x0
	;; [unrolled: 32-line block ×3, first 2 shown]
	s_barrier_signal -1
	s_barrier_wait -1
	s_barrier_signal -1
	s_barrier_wait -1
	s_and_saveexec_b32 s0, s6
; %bb.63:                               ;   in Loop: Header=BB182_3 Depth=1
	ds_store_b128 v57, v[12:15] offset:16256
; %bb.64:                               ;   in Loop: Header=BB182_3 Depth=1
	s_or_b32 exec_lo, exec_lo, s0
	s_wait_dscnt 0x0
	s_barrier_signal -1
	s_barrier_wait -1
	s_barrier_signal -1
	s_barrier_wait -1
	s_and_saveexec_b32 s0, s74
	s_cbranch_execz .LBB182_66
; %bb.65:                               ;   in Loop: Header=BB182_3 Depth=1
	ds_load_b128 v[12:15], v100
	s_wait_dscnt 0x0
	ds_store_b128 v140, v[12:15]
	ds_load_b128 v[12:15], v103
	s_wait_dscnt 0x0
	ds_store_b128 v143, v[12:15]
	;; [unrolled: 3-line block ×4, first 2 shown]
.LBB182_66:                             ;   in Loop: Header=BB182_3 Depth=1
	s_or_b32 exec_lo, exec_lo, s0
	s_wait_dscnt 0x0
	s_barrier_signal -1
	s_barrier_wait -1
	s_and_saveexec_b32 s0, s29
	s_cbranch_execz .LBB182_68
; %bb.67:                               ;   in Loop: Header=BB182_3 Depth=1
	s_mov_b32 s48, s53
	s_mov_b32 s50, s53
	;; [unrolled: 1-line block ×3, first 2 shown]
	v_mov_b64_e32 v[12:13], s[48:49]
	v_mov_b64_e32 v[14:15], s[50:51]
	ds_store_b128 v1, v[12:15] offset:13728
	ds_store_b128 v1, v[12:15] offset:14256
	ds_load_b128 v[12:15], v1 offset:14240
	s_wait_dscnt 0x0
	ds_store_b128 v1, v[12:15] offset:13744
.LBB182_68:                             ;   in Loop: Header=BB182_3 Depth=1
	s_or_b32 exec_lo, exec_lo, s0
	v_mov_b64_e32 v[12:13], 0
	v_mov_b64_e32 v[14:15], 0
	s_wait_dscnt 0x0
	s_barrier_signal -1
	s_barrier_wait -1
	global_wb scope:SCOPE_DEV
	s_wait_storecnt 0x0
	global_inv scope:SCOPE_DEV
	s_and_saveexec_b32 s0, s3
	s_cbranch_execz .LBB182_72
; %bb.69:                               ;   in Loop: Header=BB182_3 Depth=1
	ds_load_b128 v[12:15], v48 offset:14240
	ds_load_b128 v[42:45], v47 offset:13696
	s_wait_dscnt 0x0
	v_mul_f64_e32 v[2:3], v[14:15], v[44:45]
	v_mul_f64_e32 v[44:45], v[12:13], v[44:45]
	s_delay_alu instid0(VALU_DEP_2) | instskip(NEXT) | instid1(VALU_DEP_2)
	v_fma_f64 v[2:3], v[12:13], v[42:43], -v[2:3]
	v_fmac_f64_e32 v[44:45], v[14:15], v[42:43]
	s_delay_alu instid0(VALU_DEP_2) | instskip(NEXT) | instid1(VALU_DEP_2)
	v_add_f64_e32 v[12:13], 0, v[2:3]
	v_add_f64_e32 v[14:15], 0, v[44:45]
	s_and_saveexec_b32 s1, s4
	s_cbranch_execz .LBB182_71
; %bb.70:                               ;   in Loop: Header=BB182_3 Depth=1
	ds_load_b128 v[42:45], v1 offset:14256
	ds_load_b128 v[202:205], v104 offset:14208
	s_wait_dscnt 0x0
	v_mul_f64_e32 v[2:3], v[44:45], v[204:205]
	s_delay_alu instid0(VALU_DEP_1) | instskip(SKIP_1) | instid1(VALU_DEP_2)
	v_fma_f64 v[2:3], v[42:43], v[202:203], -v[2:3]
	v_mul_f64_e32 v[42:43], v[42:43], v[204:205]
	v_add_f64_e32 v[12:13], v[12:13], v[2:3]
	s_delay_alu instid0(VALU_DEP_2) | instskip(NEXT) | instid1(VALU_DEP_1)
	v_fmac_f64_e32 v[42:43], v[44:45], v[202:203]
	v_add_f64_e32 v[14:15], v[14:15], v[42:43]
.LBB182_71:                             ;   in Loop: Header=BB182_3 Depth=1
	s_or_b32 exec_lo, exec_lo, s1
.LBB182_72:                             ;   in Loop: Header=BB182_3 Depth=1
	s_delay_alu instid0(SALU_CYCLE_1)
	s_or_b32 exec_lo, exec_lo, s0
	s_and_saveexec_b32 s0, s65
	s_cbranch_execz .LBB182_74
; %bb.73:                               ;   in Loop: Header=BB182_3 Depth=1
	s_delay_alu instid0(VALU_DEP_2) | instskip(NEXT) | instid1(VALU_DEP_2)
	v_xor_b32_e32 v43, 0x80000000, v13
	v_xor_b32_e32 v45, 0x80000000, v15
	s_delay_alu instid0(VALU_DEP_3)
	v_dual_mov_b32 v42, v12 :: v_dual_mov_b32 v44, v14
	ds_store_b128 v46, v[42:45]
.LBB182_74:                             ;   in Loop: Header=BB182_3 Depth=1
	s_or_b32 exec_lo, exec_lo, s0
	s_wait_loadcnt_dscnt 0x0
	s_barrier_signal -1
	s_barrier_wait -1
	s_and_saveexec_b32 s0, s66
	s_cbranch_execz .LBB182_76
; %bb.75:                               ;   in Loop: Header=BB182_3 Depth=1
	ds_load_b128 v[42:45], v46
	ds_load_b128 v[202:205], v1 offset:13184
	s_wait_dscnt 0x0
	v_mul_f64_e32 v[2:3], v[42:43], v[202:203]
	v_mul_f64_e32 v[42:43], v[42:43], v[204:205]
	s_delay_alu instid0(VALU_DEP_2) | instskip(NEXT) | instid1(VALU_DEP_2)
	v_fma_f64 v[2:3], v[44:45], v[204:205], -v[2:3]
	v_fmac_f64_e32 v[42:43], v[44:45], v[202:203]
	s_delay_alu instid0(VALU_DEP_2) | instskip(NEXT) | instid1(VALU_DEP_2)
	v_add_f64_e32 v[12:13], v[12:13], v[2:3]
	v_add_f64_e64 v[14:15], v[14:15], -v[42:43]
.LBB182_76:                             ;   in Loop: Header=BB182_3 Depth=1
	s_or_b32 exec_lo, exec_lo, s0
	s_barrier_signal -1
	s_barrier_wait -1
	s_and_saveexec_b32 s0, s66
	s_cbranch_execz .LBB182_78
; %bb.77:                               ;   in Loop: Header=BB182_3 Depth=1
	s_delay_alu instid0(VALU_DEP_2) | instskip(NEXT) | instid1(VALU_DEP_2)
	v_xor_b32_e32 v43, 0x80000000, v13
	v_xor_b32_e32 v45, 0x80000000, v15
	s_delay_alu instid0(VALU_DEP_3)
	v_dual_mov_b32 v42, v12 :: v_dual_mov_b32 v44, v14
	ds_store_b128 v46, v[42:45]
.LBB182_78:                             ;   in Loop: Header=BB182_3 Depth=1
	s_or_b32 exec_lo, exec_lo, s0
	s_wait_dscnt 0x0
	s_barrier_signal -1
	s_barrier_wait -1
	s_barrier_signal -1
	s_barrier_wait -1
	s_and_saveexec_b32 s0, s3
; %bb.79:                               ;   in Loop: Header=BB182_3 Depth=1
	ds_store_b128 v50, v[12:15] offset:14208
; %bb.80:                               ;   in Loop: Header=BB182_3 Depth=1
	s_or_b32 exec_lo, exec_lo, s0
	s_wait_dscnt 0x0
	s_barrier_signal -1
	s_barrier_wait -1
	s_barrier_signal -1
	s_barrier_wait -1
	s_and_saveexec_b32 s0, s67
	s_cbranch_execz .LBB182_82
; %bb.81:                               ;   in Loop: Header=BB182_3 Depth=1
	ds_load_b128 v[12:15], v113
	s_wait_dscnt 0x0
	ds_store_b128 v144, v[12:15]
	ds_load_b128 v[12:15], v114
	s_wait_dscnt 0x0
	ds_store_b128 v145, v[12:15]
.LBB182_82:                             ;   in Loop: Header=BB182_3 Depth=1
	s_or_b32 exec_lo, exec_lo, s0
	s_wait_dscnt 0x0
	s_barrier_signal -1
	s_barrier_wait -1
	s_and_saveexec_b32 s0, s29
	s_cbranch_execz .LBB182_84
; %bb.83:                               ;   in Loop: Header=BB182_3 Depth=1
	s_mov_b32 s48, s53
	s_mov_b32 s50, s53
	;; [unrolled: 1-line block ×3, first 2 shown]
	v_mov_b64_e32 v[12:13], s[48:49]
	v_mov_b64_e32 v[14:15], s[50:51]
	ds_store_b128 v1, v[12:15] offset:12672
	ds_store_b128 v1, v[12:15] offset:13200
	ds_load_b128 v[12:15], v1 offset:13184
	s_wait_dscnt 0x0
	ds_store_b128 v1, v[12:15] offset:12688
.LBB182_84:                             ;   in Loop: Header=BB182_3 Depth=1
	s_or_b32 exec_lo, exec_lo, s0
	v_mov_b64_e32 v[14:15], 0
	v_mov_b64_e32 v[12:13], 0
	s_wait_dscnt 0x0
	s_barrier_signal -1
	s_barrier_wait -1
	global_wb scope:SCOPE_DEV
	s_wait_storecnt 0x0
	global_inv scope:SCOPE_DEV
	s_and_saveexec_b32 s0, s9
	s_cbranch_execz .LBB182_98
; %bb.85:                               ;   in Loop: Header=BB182_3 Depth=1
	ds_load_b128 v[12:15], v60 offset:16256
	ds_load_b128 v[42:45], v59 offset:12544
	v_readlane_b32 s22, v210, 0
	s_wait_dscnt 0x0
	v_mul_f64_e32 v[2:3], v[14:15], v[44:45]
	v_mul_f64_e32 v[44:45], v[12:13], v[44:45]
	s_delay_alu instid0(VALU_DEP_2) | instskip(NEXT) | instid1(VALU_DEP_2)
	v_fma_f64 v[2:3], v[12:13], v[42:43], -v[2:3]
	v_fmac_f64_e32 v[44:45], v[14:15], v[42:43]
	s_delay_alu instid0(VALU_DEP_2) | instskip(NEXT) | instid1(VALU_DEP_2)
	v_add_f64_e32 v[12:13], 0, v[2:3]
	v_add_f64_e32 v[14:15], 0, v[44:45]
	s_and_saveexec_b32 s1, s22
	s_cbranch_execz .LBB182_87
; %bb.86:                               ;   in Loop: Header=BB182_3 Depth=1
	ds_load_b128 v[42:45], v60 offset:16272
	ds_load_b128 v[202:205], v59 offset:13056
	s_wait_dscnt 0x0
	v_mul_f64_e32 v[2:3], v[44:45], v[204:205]
	s_delay_alu instid0(VALU_DEP_1) | instskip(SKIP_1) | instid1(VALU_DEP_2)
	v_fma_f64 v[2:3], v[42:43], v[202:203], -v[2:3]
	v_mul_f64_e32 v[42:43], v[42:43], v[204:205]
	v_add_f64_e32 v[12:13], v[12:13], v[2:3]
	s_delay_alu instid0(VALU_DEP_2) | instskip(NEXT) | instid1(VALU_DEP_1)
	v_fmac_f64_e32 v[42:43], v[44:45], v[202:203]
	v_add_f64_e32 v[14:15], v[14:15], v[42:43]
.LBB182_87:                             ;   in Loop: Header=BB182_3 Depth=1
	s_or_b32 exec_lo, exec_lo, s1
	s_and_saveexec_b32 s1, s11
	s_cbranch_execz .LBB182_89
; %bb.88:                               ;   in Loop: Header=BB182_3 Depth=1
	ds_load_b128 v[42:45], v60 offset:16288
	ds_load_b128 v[202:205], v59 offset:13568
	s_wait_dscnt 0x0
	v_mul_f64_e32 v[2:3], v[44:45], v[204:205]
	s_delay_alu instid0(VALU_DEP_1) | instskip(SKIP_1) | instid1(VALU_DEP_2)
	v_fma_f64 v[2:3], v[42:43], v[202:203], -v[2:3]
	v_mul_f64_e32 v[42:43], v[42:43], v[204:205]
	v_add_f64_e32 v[12:13], v[12:13], v[2:3]
	s_delay_alu instid0(VALU_DEP_2) | instskip(NEXT) | instid1(VALU_DEP_1)
	v_fmac_f64_e32 v[42:43], v[44:45], v[202:203]
	v_add_f64_e32 v[14:15], v[14:15], v[42:43]
.LBB182_89:                             ;   in Loop: Header=BB182_3 Depth=1
	s_or_b32 exec_lo, exec_lo, s1
	v_readlane_b32 s22, v210, 1
	s_and_saveexec_b32 s1, s22
	s_cbranch_execz .LBB182_91
; %bb.90:                               ;   in Loop: Header=BB182_3 Depth=1
	ds_load_b128 v[42:45], v60 offset:16304
	ds_load_b128 v[202:205], v59 offset:14080
	s_wait_dscnt 0x0
	v_mul_f64_e32 v[2:3], v[44:45], v[204:205]
	s_delay_alu instid0(VALU_DEP_1) | instskip(SKIP_1) | instid1(VALU_DEP_2)
	v_fma_f64 v[2:3], v[42:43], v[202:203], -v[2:3]
	v_mul_f64_e32 v[42:43], v[42:43], v[204:205]
	v_add_f64_e32 v[12:13], v[12:13], v[2:3]
	s_delay_alu instid0(VALU_DEP_2) | instskip(NEXT) | instid1(VALU_DEP_1)
	v_fmac_f64_e32 v[42:43], v[44:45], v[202:203]
	v_add_f64_e32 v[14:15], v[14:15], v[42:43]
.LBB182_91:                             ;   in Loop: Header=BB182_3 Depth=1
	s_or_b32 exec_lo, exec_lo, s1
	s_and_saveexec_b32 s1, s13
	s_cbranch_execz .LBB182_93
; %bb.92:                               ;   in Loop: Header=BB182_3 Depth=1
	ds_load_b128 v[42:45], v60 offset:16320
	ds_load_b128 v[202:205], v59 offset:14592
	s_wait_dscnt 0x0
	v_mul_f64_e32 v[2:3], v[44:45], v[204:205]
	s_delay_alu instid0(VALU_DEP_1) | instskip(SKIP_1) | instid1(VALU_DEP_2)
	v_fma_f64 v[2:3], v[42:43], v[202:203], -v[2:3]
	v_mul_f64_e32 v[42:43], v[42:43], v[204:205]
	v_add_f64_e32 v[12:13], v[12:13], v[2:3]
	s_delay_alu instid0(VALU_DEP_2) | instskip(NEXT) | instid1(VALU_DEP_1)
	v_fmac_f64_e32 v[42:43], v[44:45], v[202:203]
	v_add_f64_e32 v[14:15], v[14:15], v[42:43]
.LBB182_93:                             ;   in Loop: Header=BB182_3 Depth=1
	s_or_b32 exec_lo, exec_lo, s1
	v_readlane_b32 s22, v210, 2
	s_and_saveexec_b32 s1, s22
	s_cbranch_execnz .LBB182_524
; %bb.94:                               ;   in Loop: Header=BB182_3 Depth=1
	s_or_b32 exec_lo, exec_lo, s1
	s_and_saveexec_b32 s1, s6
	s_cbranch_execnz .LBB182_525
.LBB182_95:                             ;   in Loop: Header=BB182_3 Depth=1
	s_or_b32 exec_lo, exec_lo, s1
	s_and_saveexec_b32 s1, s8
	s_cbranch_execz .LBB182_97
.LBB182_96:                             ;   in Loop: Header=BB182_3 Depth=1
	ds_load_b128 v[42:45], v1 offset:16368
	ds_load_b128 v[202:205], v49 offset:16128
	s_wait_dscnt 0x0
	v_mul_f64_e32 v[2:3], v[44:45], v[204:205]
	s_delay_alu instid0(VALU_DEP_1) | instskip(SKIP_1) | instid1(VALU_DEP_2)
	v_fma_f64 v[2:3], v[42:43], v[202:203], -v[2:3]
	v_mul_f64_e32 v[42:43], v[42:43], v[204:205]
	v_add_f64_e32 v[12:13], v[12:13], v[2:3]
	s_delay_alu instid0(VALU_DEP_2) | instskip(NEXT) | instid1(VALU_DEP_1)
	v_fmac_f64_e32 v[42:43], v[44:45], v[202:203]
	v_add_f64_e32 v[14:15], v[14:15], v[42:43]
.LBB182_97:                             ;   in Loop: Header=BB182_3 Depth=1
	s_or_b32 exec_lo, exec_lo, s1
.LBB182_98:                             ;   in Loop: Header=BB182_3 Depth=1
	s_delay_alu instid0(SALU_CYCLE_1)
	s_or_b32 exec_lo, exec_lo, s0
	s_and_saveexec_b32 s0, s75
	s_cbranch_execz .LBB182_100
; %bb.99:                               ;   in Loop: Header=BB182_3 Depth=1
	s_delay_alu instid0(VALU_DEP_3) | instskip(NEXT) | instid1(VALU_DEP_2)
	v_xor_b32_e32 v43, 0x80000000, v13
	v_xor_b32_e32 v45, 0x80000000, v15
	s_delay_alu instid0(VALU_DEP_3)
	v_dual_mov_b32 v42, v12 :: v_dual_mov_b32 v44, v14
	ds_store_b128 v58, v[42:45]
.LBB182_100:                            ;   in Loop: Header=BB182_3 Depth=1
	s_or_b32 exec_lo, exec_lo, s0
	s_wait_loadcnt_dscnt 0x0
	s_barrier_signal -1
	s_barrier_wait -1
	s_and_saveexec_b32 s0, s76
	s_cbranch_execz .LBB182_102
; %bb.101:                              ;   in Loop: Header=BB182_3 Depth=1
	ds_load_b128 v[42:45], v58
	ds_load_b128 v[202:205], v59 offset:12032
	s_wait_dscnt 0x0
	v_mul_f64_e32 v[2:3], v[44:45], v[204:205]
	s_delay_alu instid0(VALU_DEP_1) | instskip(SKIP_1) | instid1(VALU_DEP_2)
	v_fma_f64 v[2:3], v[42:43], v[202:203], -v[2:3]
	v_mul_f64_e32 v[42:43], v[42:43], v[204:205]
	v_add_f64_e64 v[12:13], v[12:13], -v[2:3]
	s_delay_alu instid0(VALU_DEP_2) | instskip(NEXT) | instid1(VALU_DEP_1)
	v_fmac_f64_e32 v[42:43], v[44:45], v[202:203]
	v_add_f64_e64 v[14:15], v[14:15], -v[42:43]
.LBB182_102:                            ;   in Loop: Header=BB182_3 Depth=1
	s_or_b32 exec_lo, exec_lo, s0
	s_barrier_signal -1
	s_barrier_wait -1
	s_and_saveexec_b32 s0, s77
	s_cbranch_execz .LBB182_104
; %bb.103:                              ;   in Loop: Header=BB182_3 Depth=1
	s_delay_alu instid0(VALU_DEP_3) | instskip(NEXT) | instid1(VALU_DEP_2)
	v_xor_b32_e32 v43, 0x80000000, v13
	v_xor_b32_e32 v45, 0x80000000, v15
	s_delay_alu instid0(VALU_DEP_3)
	v_dual_mov_b32 v42, v12 :: v_dual_mov_b32 v44, v14
	ds_store_b128 v58, v[42:45]
.LBB182_104:                            ;   in Loop: Header=BB182_3 Depth=1
	s_or_b32 exec_lo, exec_lo, s0
	s_wait_dscnt 0x0
	s_barrier_signal -1
	s_barrier_wait -1
	s_and_saveexec_b32 s0, s78
	s_cbranch_execz .LBB182_106
; %bb.105:                              ;   in Loop: Header=BB182_3 Depth=1
	ds_load_b128 v[42:45], v58
	ds_load_b128 v[202:205], v59 offset:11520
	s_wait_dscnt 0x0
	v_mul_f64_e32 v[2:3], v[44:45], v[204:205]
	s_delay_alu instid0(VALU_DEP_1) | instskip(SKIP_1) | instid1(VALU_DEP_2)
	v_fma_f64 v[2:3], v[42:43], v[202:203], -v[2:3]
	v_mul_f64_e32 v[42:43], v[42:43], v[204:205]
	v_add_f64_e64 v[12:13], v[12:13], -v[2:3]
	s_delay_alu instid0(VALU_DEP_2) | instskip(NEXT) | instid1(VALU_DEP_1)
	v_fmac_f64_e32 v[42:43], v[44:45], v[202:203]
	v_add_f64_e64 v[14:15], v[14:15], -v[42:43]
.LBB182_106:                            ;   in Loop: Header=BB182_3 Depth=1
	s_or_b32 exec_lo, exec_lo, s0
	s_barrier_signal -1
	s_barrier_wait -1
	s_and_saveexec_b32 s0, s79
	s_cbranch_execz .LBB182_108
; %bb.107:                              ;   in Loop: Header=BB182_3 Depth=1
	s_delay_alu instid0(VALU_DEP_3) | instskip(NEXT) | instid1(VALU_DEP_2)
	v_xor_b32_e32 v43, 0x80000000, v13
	v_xor_b32_e32 v45, 0x80000000, v15
	s_delay_alu instid0(VALU_DEP_3)
	v_dual_mov_b32 v42, v12 :: v_dual_mov_b32 v44, v14
	ds_store_b128 v58, v[42:45]
.LBB182_108:                            ;   in Loop: Header=BB182_3 Depth=1
	s_or_b32 exec_lo, exec_lo, s0
	s_wait_dscnt 0x0
	;; [unrolled: 32-line block ×7, first 2 shown]
	s_barrier_signal -1
	s_barrier_wait -1
	s_barrier_signal -1
	s_barrier_wait -1
	s_and_saveexec_b32 s0, s9
; %bb.129:                              ;   in Loop: Header=BB182_3 Depth=1
	ds_store_b128 v61, v[12:15] offset:16128
; %bb.130:                              ;   in Loop: Header=BB182_3 Depth=1
	s_or_b32 exec_lo, exec_lo, s0
	s_wait_dscnt 0x0
	s_barrier_signal -1
	s_barrier_wait -1
	s_barrier_signal -1
	s_barrier_wait -1
	s_and_saveexec_b32 s0, s89
	s_cbranch_execz .LBB182_132
; %bb.131:                              ;   in Loop: Header=BB182_3 Depth=1
	ds_load_b128 v[12:15], v62
	s_wait_dscnt 0x0
	ds_store_b128 v146, v[12:15]
	ds_load_b128 v[12:15], v63
	s_wait_dscnt 0x0
	ds_store_b128 v147, v[12:15]
	;; [unrolled: 3-line block ×8, first 2 shown]
.LBB182_132:                            ;   in Loop: Header=BB182_3 Depth=1
	s_or_b32 exec_lo, exec_lo, s0
	s_wait_dscnt 0x0
	s_barrier_signal -1
	s_barrier_wait -1
	s_and_saveexec_b32 s0, s29
	s_cbranch_execz .LBB182_134
; %bb.133:                              ;   in Loop: Header=BB182_3 Depth=1
	s_mov_b32 s48, s53
	s_mov_b32 s50, s53
	;; [unrolled: 1-line block ×3, first 2 shown]
	v_mov_b64_e32 v[12:13], s[48:49]
	v_mov_b64_e32 v[14:15], s[50:51]
	ds_store_b128 v1, v[12:15] offset:11616
	ds_store_b128 v1, v[12:15] offset:12144
	ds_load_b128 v[12:15], v1 offset:12128
	s_wait_dscnt 0x0
	ds_store_b128 v1, v[12:15] offset:11632
.LBB182_134:                            ;   in Loop: Header=BB182_3 Depth=1
	s_or_b32 exec_lo, exec_lo, s0
	v_mov_b64_e32 v[12:13], 0
	v_mov_b64_e32 v[14:15], 0
	s_wait_dscnt 0x0
	s_barrier_signal -1
	s_barrier_wait -1
	global_wb scope:SCOPE_DEV
	s_wait_storecnt 0x0
	global_inv scope:SCOPE_DEV
	s_and_saveexec_b32 s0, s3
	s_cbranch_execz .LBB182_138
; %bb.135:                              ;   in Loop: Header=BB182_3 Depth=1
	ds_load_b128 v[12:15], v48 offset:12128
	ds_load_b128 v[42:45], v47 offset:11584
	s_wait_dscnt 0x0
	v_mul_f64_e32 v[2:3], v[14:15], v[44:45]
	v_mul_f64_e32 v[44:45], v[12:13], v[44:45]
	s_delay_alu instid0(VALU_DEP_2) | instskip(NEXT) | instid1(VALU_DEP_2)
	v_fma_f64 v[2:3], v[12:13], v[42:43], -v[2:3]
	v_fmac_f64_e32 v[44:45], v[14:15], v[42:43]
	s_delay_alu instid0(VALU_DEP_2) | instskip(NEXT) | instid1(VALU_DEP_2)
	v_add_f64_e32 v[12:13], 0, v[2:3]
	v_add_f64_e32 v[14:15], 0, v[44:45]
	s_and_saveexec_b32 s1, s4
	s_cbranch_execz .LBB182_137
; %bb.136:                              ;   in Loop: Header=BB182_3 Depth=1
	ds_load_b128 v[42:45], v1 offset:12144
	ds_load_b128 v[202:205], v53 offset:12096
	s_wait_dscnt 0x0
	v_mul_f64_e32 v[2:3], v[44:45], v[204:205]
	s_delay_alu instid0(VALU_DEP_1) | instskip(SKIP_1) | instid1(VALU_DEP_2)
	v_fma_f64 v[2:3], v[42:43], v[202:203], -v[2:3]
	v_mul_f64_e32 v[42:43], v[42:43], v[204:205]
	v_add_f64_e32 v[12:13], v[12:13], v[2:3]
	s_delay_alu instid0(VALU_DEP_2) | instskip(NEXT) | instid1(VALU_DEP_1)
	v_fmac_f64_e32 v[42:43], v[44:45], v[202:203]
	v_add_f64_e32 v[14:15], v[14:15], v[42:43]
.LBB182_137:                            ;   in Loop: Header=BB182_3 Depth=1
	s_or_b32 exec_lo, exec_lo, s1
.LBB182_138:                            ;   in Loop: Header=BB182_3 Depth=1
	s_delay_alu instid0(SALU_CYCLE_1)
	s_or_b32 exec_lo, exec_lo, s0
	s_and_saveexec_b32 s0, s65
	s_cbranch_execz .LBB182_140
; %bb.139:                              ;   in Loop: Header=BB182_3 Depth=1
	s_delay_alu instid0(VALU_DEP_2) | instskip(NEXT) | instid1(VALU_DEP_2)
	v_xor_b32_e32 v43, 0x80000000, v13
	v_xor_b32_e32 v45, 0x80000000, v15
	s_delay_alu instid0(VALU_DEP_3)
	v_dual_mov_b32 v42, v12 :: v_dual_mov_b32 v44, v14
	ds_store_b128 v46, v[42:45]
.LBB182_140:                            ;   in Loop: Header=BB182_3 Depth=1
	s_or_b32 exec_lo, exec_lo, s0
	s_wait_loadcnt_dscnt 0x0
	s_barrier_signal -1
	s_barrier_wait -1
	s_and_saveexec_b32 s0, s66
	s_cbranch_execz .LBB182_142
; %bb.141:                              ;   in Loop: Header=BB182_3 Depth=1
	ds_load_b128 v[42:45], v46
	ds_load_b128 v[202:205], v1 offset:11072
	s_wait_dscnt 0x0
	v_mul_f64_e32 v[2:3], v[42:43], v[202:203]
	v_mul_f64_e32 v[42:43], v[42:43], v[204:205]
	s_delay_alu instid0(VALU_DEP_2) | instskip(NEXT) | instid1(VALU_DEP_2)
	v_fma_f64 v[2:3], v[44:45], v[204:205], -v[2:3]
	v_fmac_f64_e32 v[42:43], v[44:45], v[202:203]
	s_delay_alu instid0(VALU_DEP_2) | instskip(NEXT) | instid1(VALU_DEP_2)
	v_add_f64_e32 v[12:13], v[12:13], v[2:3]
	v_add_f64_e64 v[14:15], v[14:15], -v[42:43]
.LBB182_142:                            ;   in Loop: Header=BB182_3 Depth=1
	s_or_b32 exec_lo, exec_lo, s0
	s_barrier_signal -1
	s_barrier_wait -1
	s_and_saveexec_b32 s0, s66
	s_cbranch_execz .LBB182_144
; %bb.143:                              ;   in Loop: Header=BB182_3 Depth=1
	s_delay_alu instid0(VALU_DEP_2) | instskip(NEXT) | instid1(VALU_DEP_2)
	v_xor_b32_e32 v43, 0x80000000, v13
	v_xor_b32_e32 v45, 0x80000000, v15
	s_delay_alu instid0(VALU_DEP_3)
	v_dual_mov_b32 v42, v12 :: v_dual_mov_b32 v44, v14
	ds_store_b128 v46, v[42:45]
.LBB182_144:                            ;   in Loop: Header=BB182_3 Depth=1
	s_or_b32 exec_lo, exec_lo, s0
	s_wait_dscnt 0x0
	s_barrier_signal -1
	s_barrier_wait -1
	s_barrier_signal -1
	s_barrier_wait -1
	s_and_saveexec_b32 s0, s3
; %bb.145:                              ;   in Loop: Header=BB182_3 Depth=1
	ds_store_b128 v50, v[12:15] offset:12096
; %bb.146:                              ;   in Loop: Header=BB182_3 Depth=1
	s_or_b32 exec_lo, exec_lo, s0
	s_wait_dscnt 0x0
	s_barrier_signal -1
	s_barrier_wait -1
	s_barrier_signal -1
	s_barrier_wait -1
	s_and_saveexec_b32 s0, s67
	s_cbranch_execz .LBB182_148
; %bb.147:                              ;   in Loop: Header=BB182_3 Depth=1
	ds_load_b128 v[12:15], v105
	s_wait_dscnt 0x0
	ds_store_b128 v154, v[12:15]
	ds_load_b128 v[12:15], v106
	s_wait_dscnt 0x0
	ds_store_b128 v155, v[12:15]
.LBB182_148:                            ;   in Loop: Header=BB182_3 Depth=1
	s_or_b32 exec_lo, exec_lo, s0
	s_wait_dscnt 0x0
	s_barrier_signal -1
	s_barrier_wait -1
	s_and_saveexec_b32 s0, s29
	s_cbranch_execz .LBB182_150
; %bb.149:                              ;   in Loop: Header=BB182_3 Depth=1
	s_mov_b32 s48, s53
	s_mov_b32 s50, s53
	;; [unrolled: 1-line block ×3, first 2 shown]
	v_mov_b64_e32 v[12:13], s[48:49]
	v_mov_b64_e32 v[14:15], s[50:51]
	ds_store_b128 v1, v[12:15] offset:10560
	ds_store_b128 v1, v[12:15] offset:11088
	ds_load_b128 v[12:15], v1 offset:11072
	s_wait_dscnt 0x0
	ds_store_b128 v1, v[12:15] offset:10576
.LBB182_150:                            ;   in Loop: Header=BB182_3 Depth=1
	s_or_b32 exec_lo, exec_lo, s0
	v_mov_b64_e32 v[14:15], 0
	v_mov_b64_e32 v[12:13], 0
	s_wait_dscnt 0x0
	s_barrier_signal -1
	s_barrier_wait -1
	global_wb scope:SCOPE_DEV
	s_wait_storecnt 0x0
	global_inv scope:SCOPE_DEV
	s_and_saveexec_b32 s0, s6
	s_cbranch_execz .LBB182_156
; %bb.151:                              ;   in Loop: Header=BB182_3 Depth=1
	ds_load_b128 v[12:15], v56 offset:12096
	ds_load_b128 v[42:45], v55 offset:10496
	s_wait_dscnt 0x0
	v_mul_f64_e32 v[2:3], v[14:15], v[44:45]
	v_mul_f64_e32 v[44:45], v[12:13], v[44:45]
	s_delay_alu instid0(VALU_DEP_2) | instskip(NEXT) | instid1(VALU_DEP_2)
	v_fma_f64 v[2:3], v[12:13], v[42:43], -v[2:3]
	v_fmac_f64_e32 v[44:45], v[14:15], v[42:43]
	s_delay_alu instid0(VALU_DEP_2) | instskip(NEXT) | instid1(VALU_DEP_2)
	v_add_f64_e32 v[12:13], 0, v[2:3]
	v_add_f64_e32 v[14:15], 0, v[44:45]
	s_and_saveexec_b32 s1, s7
	s_cbranch_execnz .LBB182_526
; %bb.152:                              ;   in Loop: Header=BB182_3 Depth=1
	s_or_b32 exec_lo, exec_lo, s1
	s_and_saveexec_b32 s1, s8
	s_cbranch_execnz .LBB182_527
.LBB182_153:                            ;   in Loop: Header=BB182_3 Depth=1
	s_or_b32 exec_lo, exec_lo, s1
	s_and_saveexec_b32 s1, s3
	s_cbranch_execz .LBB182_155
.LBB182_154:                            ;   in Loop: Header=BB182_3 Depth=1
	ds_load_b128 v[42:45], v1 offset:12144
	ds_load_b128 v[202:205], v104 offset:12032
	s_wait_dscnt 0x0
	v_mul_f64_e32 v[2:3], v[44:45], v[204:205]
	s_delay_alu instid0(VALU_DEP_1) | instskip(SKIP_1) | instid1(VALU_DEP_2)
	v_fma_f64 v[2:3], v[42:43], v[202:203], -v[2:3]
	v_mul_f64_e32 v[42:43], v[42:43], v[204:205]
	v_add_f64_e32 v[12:13], v[12:13], v[2:3]
	s_delay_alu instid0(VALU_DEP_2) | instskip(NEXT) | instid1(VALU_DEP_1)
	v_fmac_f64_e32 v[42:43], v[44:45], v[202:203]
	v_add_f64_e32 v[14:15], v[14:15], v[42:43]
.LBB182_155:                            ;   in Loop: Header=BB182_3 Depth=1
	s_or_b32 exec_lo, exec_lo, s1
.LBB182_156:                            ;   in Loop: Header=BB182_3 Depth=1
	s_delay_alu instid0(SALU_CYCLE_1)
	s_or_b32 exec_lo, exec_lo, s0
	s_and_saveexec_b32 s0, s68
	s_cbranch_execz .LBB182_158
; %bb.157:                              ;   in Loop: Header=BB182_3 Depth=1
	s_delay_alu instid0(VALU_DEP_1) | instskip(NEXT) | instid1(VALU_DEP_3)
	v_xor_b32_e32 v45, 0x80000000, v15
	v_xor_b32_e32 v43, 0x80000000, v13
	s_delay_alu instid0(VALU_DEP_3)
	v_dual_mov_b32 v42, v12 :: v_dual_mov_b32 v44, v14
	ds_store_b128 v54, v[42:45]
.LBB182_158:                            ;   in Loop: Header=BB182_3 Depth=1
	s_or_b32 exec_lo, exec_lo, s0
	s_wait_loadcnt_dscnt 0x0
	s_barrier_signal -1
	s_barrier_wait -1
	s_and_saveexec_b32 s0, s69
	s_cbranch_execz .LBB182_160
; %bb.159:                              ;   in Loop: Header=BB182_3 Depth=1
	ds_load_b128 v[42:45], v54
	ds_load_b128 v[202:205], v55 offset:9984
	s_wait_dscnt 0x0
	v_mul_f64_e32 v[2:3], v[44:45], v[204:205]
	s_delay_alu instid0(VALU_DEP_1) | instskip(SKIP_1) | instid1(VALU_DEP_2)
	v_fma_f64 v[2:3], v[42:43], v[202:203], -v[2:3]
	v_mul_f64_e32 v[42:43], v[42:43], v[204:205]
	v_add_f64_e64 v[12:13], v[12:13], -v[2:3]
	s_delay_alu instid0(VALU_DEP_2) | instskip(NEXT) | instid1(VALU_DEP_1)
	v_fmac_f64_e32 v[42:43], v[44:45], v[202:203]
	v_add_f64_e64 v[14:15], v[14:15], -v[42:43]
.LBB182_160:                            ;   in Loop: Header=BB182_3 Depth=1
	s_or_b32 exec_lo, exec_lo, s0
	s_barrier_signal -1
	s_barrier_wait -1
	s_and_saveexec_b32 s0, s70
	s_cbranch_execz .LBB182_162
; %bb.161:                              ;   in Loop: Header=BB182_3 Depth=1
	s_delay_alu instid0(VALU_DEP_1) | instskip(NEXT) | instid1(VALU_DEP_3)
	v_xor_b32_e32 v45, 0x80000000, v15
	v_xor_b32_e32 v43, 0x80000000, v13
	s_delay_alu instid0(VALU_DEP_3)
	v_dual_mov_b32 v42, v12 :: v_dual_mov_b32 v44, v14
	ds_store_b128 v54, v[42:45]
.LBB182_162:                            ;   in Loop: Header=BB182_3 Depth=1
	s_or_b32 exec_lo, exec_lo, s0
	s_wait_dscnt 0x0
	s_barrier_signal -1
	s_barrier_wait -1
	s_and_saveexec_b32 s0, s71
	s_cbranch_execz .LBB182_164
; %bb.163:                              ;   in Loop: Header=BB182_3 Depth=1
	ds_load_b128 v[42:45], v54
	ds_load_b128 v[202:205], v55 offset:9472
	s_wait_dscnt 0x0
	v_mul_f64_e32 v[2:3], v[44:45], v[204:205]
	s_delay_alu instid0(VALU_DEP_1) | instskip(SKIP_1) | instid1(VALU_DEP_2)
	v_fma_f64 v[2:3], v[42:43], v[202:203], -v[2:3]
	v_mul_f64_e32 v[42:43], v[42:43], v[204:205]
	v_add_f64_e64 v[12:13], v[12:13], -v[2:3]
	s_delay_alu instid0(VALU_DEP_2) | instskip(NEXT) | instid1(VALU_DEP_1)
	v_fmac_f64_e32 v[42:43], v[44:45], v[202:203]
	v_add_f64_e64 v[14:15], v[14:15], -v[42:43]
.LBB182_164:                            ;   in Loop: Header=BB182_3 Depth=1
	s_or_b32 exec_lo, exec_lo, s0
	s_barrier_signal -1
	s_barrier_wait -1
	s_and_saveexec_b32 s0, s72
	s_cbranch_execz .LBB182_166
; %bb.165:                              ;   in Loop: Header=BB182_3 Depth=1
	s_delay_alu instid0(VALU_DEP_1) | instskip(NEXT) | instid1(VALU_DEP_3)
	v_xor_b32_e32 v45, 0x80000000, v15
	v_xor_b32_e32 v43, 0x80000000, v13
	s_delay_alu instid0(VALU_DEP_3)
	v_dual_mov_b32 v42, v12 :: v_dual_mov_b32 v44, v14
	ds_store_b128 v54, v[42:45]
.LBB182_166:                            ;   in Loop: Header=BB182_3 Depth=1
	s_or_b32 exec_lo, exec_lo, s0
	s_wait_dscnt 0x0
	s_barrier_signal -1
	s_barrier_wait -1
	s_and_saveexec_b32 s0, s73
	s_cbranch_execz .LBB182_168
; %bb.167:                              ;   in Loop: Header=BB182_3 Depth=1
	ds_load_b128 v[42:45], v54
	ds_load_b128 v[202:205], v1 offset:8960
	s_wait_dscnt 0x0
	v_mul_f64_e32 v[2:3], v[44:45], v[204:205]
	s_delay_alu instid0(VALU_DEP_1) | instskip(SKIP_1) | instid1(VALU_DEP_2)
	v_fma_f64 v[2:3], v[42:43], v[202:203], -v[2:3]
	v_mul_f64_e32 v[42:43], v[42:43], v[204:205]
	v_add_f64_e64 v[12:13], v[12:13], -v[2:3]
	s_delay_alu instid0(VALU_DEP_2) | instskip(NEXT) | instid1(VALU_DEP_1)
	v_fmac_f64_e32 v[42:43], v[44:45], v[202:203]
	v_add_f64_e64 v[14:15], v[14:15], -v[42:43]
.LBB182_168:                            ;   in Loop: Header=BB182_3 Depth=1
	s_or_b32 exec_lo, exec_lo, s0
	s_barrier_signal -1
	s_barrier_wait -1
	s_and_saveexec_b32 s0, s73
	s_cbranch_execz .LBB182_170
; %bb.169:                              ;   in Loop: Header=BB182_3 Depth=1
	s_delay_alu instid0(VALU_DEP_1) | instskip(NEXT) | instid1(VALU_DEP_3)
	v_xor_b32_e32 v45, 0x80000000, v15
	v_xor_b32_e32 v43, 0x80000000, v13
	s_delay_alu instid0(VALU_DEP_3)
	v_dual_mov_b32 v42, v12 :: v_dual_mov_b32 v44, v14
	ds_store_b128 v54, v[42:45]
.LBB182_170:                            ;   in Loop: Header=BB182_3 Depth=1
	s_or_b32 exec_lo, exec_lo, s0
	s_wait_dscnt 0x0
	s_barrier_signal -1
	s_barrier_wait -1
	s_barrier_signal -1
	s_barrier_wait -1
	s_and_saveexec_b32 s0, s6
; %bb.171:                              ;   in Loop: Header=BB182_3 Depth=1
	ds_store_b128 v57, v[12:15] offset:12032
; %bb.172:                              ;   in Loop: Header=BB182_3 Depth=1
	s_or_b32 exec_lo, exec_lo, s0
	s_wait_dscnt 0x0
	s_barrier_signal -1
	s_barrier_wait -1
	s_barrier_signal -1
	s_barrier_wait -1
	s_and_saveexec_b32 s0, s74
	s_cbranch_execz .LBB182_174
; %bb.173:                              ;   in Loop: Header=BB182_3 Depth=1
	ds_load_b128 v[12:15], v116
	s_wait_dscnt 0x0
	ds_store_b128 v156, v[12:15]
	ds_load_b128 v[12:15], v119
	s_wait_dscnt 0x0
	ds_store_b128 v159, v[12:15]
	;; [unrolled: 3-line block ×4, first 2 shown]
.LBB182_174:                            ;   in Loop: Header=BB182_3 Depth=1
	s_or_b32 exec_lo, exec_lo, s0
	s_wait_dscnt 0x0
	s_barrier_signal -1
	s_barrier_wait -1
	s_and_saveexec_b32 s0, s29
	s_cbranch_execz .LBB182_176
; %bb.175:                              ;   in Loop: Header=BB182_3 Depth=1
	s_mov_b32 s48, s53
	s_mov_b32 s50, s53
	;; [unrolled: 1-line block ×3, first 2 shown]
	v_mov_b64_e32 v[12:13], s[48:49]
	v_mov_b64_e32 v[14:15], s[50:51]
	ds_store_b128 v1, v[12:15] offset:9504
	ds_store_b128 v1, v[12:15] offset:10032
	ds_load_b128 v[12:15], v1 offset:10016
	s_wait_dscnt 0x0
	ds_store_b128 v1, v[12:15] offset:9520
.LBB182_176:                            ;   in Loop: Header=BB182_3 Depth=1
	s_or_b32 exec_lo, exec_lo, s0
	v_mov_b64_e32 v[12:13], 0
	v_mov_b64_e32 v[14:15], 0
	s_wait_dscnt 0x0
	s_barrier_signal -1
	s_barrier_wait -1
	global_wb scope:SCOPE_DEV
	s_wait_storecnt 0x0
	global_inv scope:SCOPE_DEV
	s_and_saveexec_b32 s0, s3
	s_cbranch_execz .LBB182_180
; %bb.177:                              ;   in Loop: Header=BB182_3 Depth=1
	ds_load_b128 v[12:15], v48 offset:10016
	ds_load_b128 v[42:45], v47 offset:9472
	s_wait_dscnt 0x0
	v_mul_f64_e32 v[2:3], v[14:15], v[44:45]
	v_mul_f64_e32 v[44:45], v[12:13], v[44:45]
	s_delay_alu instid0(VALU_DEP_2) | instskip(NEXT) | instid1(VALU_DEP_2)
	v_fma_f64 v[2:3], v[12:13], v[42:43], -v[2:3]
	v_fmac_f64_e32 v[44:45], v[14:15], v[42:43]
	s_delay_alu instid0(VALU_DEP_2) | instskip(NEXT) | instid1(VALU_DEP_2)
	v_add_f64_e32 v[12:13], 0, v[2:3]
	v_add_f64_e32 v[14:15], 0, v[44:45]
	s_and_saveexec_b32 s1, s4
	s_cbranch_execz .LBB182_179
; %bb.178:                              ;   in Loop: Header=BB182_3 Depth=1
	ds_load_b128 v[42:45], v1 offset:10032
	ds_load_b128 v[202:205], v115 offset:9984
	s_wait_dscnt 0x0
	v_mul_f64_e32 v[2:3], v[44:45], v[204:205]
	s_delay_alu instid0(VALU_DEP_1) | instskip(SKIP_1) | instid1(VALU_DEP_2)
	v_fma_f64 v[2:3], v[42:43], v[202:203], -v[2:3]
	v_mul_f64_e32 v[42:43], v[42:43], v[204:205]
	v_add_f64_e32 v[12:13], v[12:13], v[2:3]
	s_delay_alu instid0(VALU_DEP_2) | instskip(NEXT) | instid1(VALU_DEP_1)
	v_fmac_f64_e32 v[42:43], v[44:45], v[202:203]
	v_add_f64_e32 v[14:15], v[14:15], v[42:43]
.LBB182_179:                            ;   in Loop: Header=BB182_3 Depth=1
	s_or_b32 exec_lo, exec_lo, s1
.LBB182_180:                            ;   in Loop: Header=BB182_3 Depth=1
	s_delay_alu instid0(SALU_CYCLE_1)
	s_or_b32 exec_lo, exec_lo, s0
	s_and_saveexec_b32 s0, s65
	s_cbranch_execz .LBB182_182
; %bb.181:                              ;   in Loop: Header=BB182_3 Depth=1
	s_delay_alu instid0(VALU_DEP_2) | instskip(NEXT) | instid1(VALU_DEP_2)
	v_xor_b32_e32 v43, 0x80000000, v13
	v_xor_b32_e32 v45, 0x80000000, v15
	s_delay_alu instid0(VALU_DEP_3)
	v_dual_mov_b32 v42, v12 :: v_dual_mov_b32 v44, v14
	ds_store_b128 v46, v[42:45]
.LBB182_182:                            ;   in Loop: Header=BB182_3 Depth=1
	s_or_b32 exec_lo, exec_lo, s0
	s_wait_loadcnt_dscnt 0x0
	s_barrier_signal -1
	s_barrier_wait -1
	s_and_saveexec_b32 s0, s66
	s_cbranch_execz .LBB182_184
; %bb.183:                              ;   in Loop: Header=BB182_3 Depth=1
	ds_load_b128 v[42:45], v46
	ds_load_b128 v[202:205], v1 offset:8960
	s_wait_dscnt 0x0
	v_mul_f64_e32 v[2:3], v[42:43], v[202:203]
	v_mul_f64_e32 v[42:43], v[42:43], v[204:205]
	s_delay_alu instid0(VALU_DEP_2) | instskip(NEXT) | instid1(VALU_DEP_2)
	v_fma_f64 v[2:3], v[44:45], v[204:205], -v[2:3]
	v_fmac_f64_e32 v[42:43], v[44:45], v[202:203]
	s_delay_alu instid0(VALU_DEP_2) | instskip(NEXT) | instid1(VALU_DEP_2)
	v_add_f64_e32 v[12:13], v[12:13], v[2:3]
	v_add_f64_e64 v[14:15], v[14:15], -v[42:43]
.LBB182_184:                            ;   in Loop: Header=BB182_3 Depth=1
	s_or_b32 exec_lo, exec_lo, s0
	s_barrier_signal -1
	s_barrier_wait -1
	s_and_saveexec_b32 s0, s66
	s_cbranch_execz .LBB182_186
; %bb.185:                              ;   in Loop: Header=BB182_3 Depth=1
	s_delay_alu instid0(VALU_DEP_2) | instskip(NEXT) | instid1(VALU_DEP_2)
	v_xor_b32_e32 v43, 0x80000000, v13
	v_xor_b32_e32 v45, 0x80000000, v15
	s_delay_alu instid0(VALU_DEP_3)
	v_dual_mov_b32 v42, v12 :: v_dual_mov_b32 v44, v14
	ds_store_b128 v46, v[42:45]
.LBB182_186:                            ;   in Loop: Header=BB182_3 Depth=1
	s_or_b32 exec_lo, exec_lo, s0
	s_wait_dscnt 0x0
	s_barrier_signal -1
	s_barrier_wait -1
	s_barrier_signal -1
	s_barrier_wait -1
	s_and_saveexec_b32 s0, s3
; %bb.187:                              ;   in Loop: Header=BB182_3 Depth=1
	ds_store_b128 v50, v[12:15] offset:9984
; %bb.188:                              ;   in Loop: Header=BB182_3 Depth=1
	s_or_b32 exec_lo, exec_lo, s0
	s_wait_dscnt 0x0
	s_barrier_signal -1
	s_barrier_wait -1
	s_barrier_signal -1
	s_barrier_wait -1
	s_and_saveexec_b32 s0, s67
	s_cbranch_execz .LBB182_190
; %bb.189:                              ;   in Loop: Header=BB182_3 Depth=1
	ds_load_b128 v[12:15], v126
	s_wait_dscnt 0x0
	ds_store_b128 v132, v[12:15]
	ds_load_b128 v[12:15], v127
	s_wait_dscnt 0x0
	ds_store_b128 v133, v[12:15]
.LBB182_190:                            ;   in Loop: Header=BB182_3 Depth=1
	s_or_b32 exec_lo, exec_lo, s0
	s_wait_dscnt 0x0
	s_barrier_signal -1
	s_barrier_wait -1
	s_and_saveexec_b32 s0, s29
	s_cbranch_execz .LBB182_192
; %bb.191:                              ;   in Loop: Header=BB182_3 Depth=1
	s_mov_b32 s48, s53
	s_mov_b32 s50, s53
	;; [unrolled: 1-line block ×3, first 2 shown]
	v_mov_b64_e32 v[12:13], s[48:49]
	v_mov_b64_e32 v[14:15], s[50:51]
	ds_store_b128 v1, v[12:15] offset:8448
	ds_store_b128 v1, v[12:15] offset:8976
	ds_load_b128 v[12:15], v1 offset:8960
	s_wait_dscnt 0x0
	ds_store_b128 v1, v[12:15] offset:8464
.LBB182_192:                            ;   in Loop: Header=BB182_3 Depth=1
	s_or_b32 exec_lo, exec_lo, s0
	v_mov_b64_e32 v[14:15], 0
	v_mov_b64_e32 v[12:13], 0
	s_wait_dscnt 0x0
	s_barrier_signal -1
	s_barrier_wait -1
	global_wb scope:SCOPE_DEV
	s_wait_storecnt 0x0
	global_inv scope:SCOPE_DEV
	s_and_saveexec_b32 s0, s15
	s_cbranch_execz .LBB182_216
; %bb.193:                              ;   in Loop: Header=BB182_3 Depth=1
	ds_load_b128 v[12:15], v72 offset:16128
	ds_load_b128 v[42:45], v71 offset:8192
	v_readlane_b32 s22, v210, 18
	s_wait_dscnt 0x0
	v_mul_f64_e32 v[2:3], v[14:15], v[44:45]
	v_mul_f64_e32 v[44:45], v[12:13], v[44:45]
	s_delay_alu instid0(VALU_DEP_2) | instskip(NEXT) | instid1(VALU_DEP_2)
	v_fma_f64 v[2:3], v[12:13], v[42:43], -v[2:3]
	v_fmac_f64_e32 v[44:45], v[14:15], v[42:43]
	s_delay_alu instid0(VALU_DEP_2) | instskip(NEXT) | instid1(VALU_DEP_2)
	v_add_f64_e32 v[12:13], 0, v[2:3]
	v_add_f64_e32 v[14:15], 0, v[44:45]
	s_and_saveexec_b32 s1, s22
	s_cbranch_execz .LBB182_195
; %bb.194:                              ;   in Loop: Header=BB182_3 Depth=1
	ds_load_b128 v[42:45], v72 offset:16144
	ds_load_b128 v[202:205], v71 offset:8704
	s_wait_dscnt 0x0
	v_mul_f64_e32 v[2:3], v[44:45], v[204:205]
	s_delay_alu instid0(VALU_DEP_1) | instskip(SKIP_1) | instid1(VALU_DEP_2)
	v_fma_f64 v[2:3], v[42:43], v[202:203], -v[2:3]
	v_mul_f64_e32 v[42:43], v[42:43], v[204:205]
	v_add_f64_e32 v[12:13], v[12:13], v[2:3]
	s_delay_alu instid0(VALU_DEP_2) | instskip(NEXT) | instid1(VALU_DEP_1)
	v_fmac_f64_e32 v[42:43], v[44:45], v[202:203]
	v_add_f64_e32 v[14:15], v[14:15], v[42:43]
.LBB182_195:                            ;   in Loop: Header=BB182_3 Depth=1
	s_or_b32 exec_lo, exec_lo, s1
	v_readlane_b32 s22, v210, 19
	s_and_saveexec_b32 s1, s22
	s_cbranch_execz .LBB182_197
; %bb.196:                              ;   in Loop: Header=BB182_3 Depth=1
	ds_load_b128 v[42:45], v72 offset:16160
	ds_load_b128 v[202:205], v71 offset:9216
	s_wait_dscnt 0x0
	v_mul_f64_e32 v[2:3], v[44:45], v[204:205]
	s_delay_alu instid0(VALU_DEP_1) | instskip(SKIP_1) | instid1(VALU_DEP_2)
	v_fma_f64 v[2:3], v[42:43], v[202:203], -v[2:3]
	v_mul_f64_e32 v[42:43], v[42:43], v[204:205]
	v_add_f64_e32 v[12:13], v[12:13], v[2:3]
	s_delay_alu instid0(VALU_DEP_2) | instskip(NEXT) | instid1(VALU_DEP_1)
	v_fmac_f64_e32 v[42:43], v[44:45], v[202:203]
	v_add_f64_e32 v[14:15], v[14:15], v[42:43]
.LBB182_197:                            ;   in Loop: Header=BB182_3 Depth=1
	s_or_b32 exec_lo, exec_lo, s1
	v_readlane_b32 s22, v210, 20
	;; [unrolled: 17-line block ×6, first 2 shown]
	s_and_saveexec_b32 s1, s22
	s_cbranch_execnz .LBB182_528
; %bb.206:                              ;   in Loop: Header=BB182_3 Depth=1
	s_or_b32 exec_lo, exec_lo, s1
	s_and_saveexec_b32 s1, s25
	s_cbranch_execnz .LBB182_529
.LBB182_207:                            ;   in Loop: Header=BB182_3 Depth=1
	s_or_b32 exec_lo, exec_lo, s1
	s_and_saveexec_b32 s1, s26
	s_cbranch_execnz .LBB182_530
.LBB182_208:                            ;   in Loop: Header=BB182_3 Depth=1
	s_or_b32 exec_lo, exec_lo, s1
	s_and_saveexec_b32 s1, s27
	s_cbranch_execnz .LBB182_531
.LBB182_209:                            ;   in Loop: Header=BB182_3 Depth=1
	s_or_b32 exec_lo, exec_lo, s1
	s_and_saveexec_b32 s1, s18
	s_cbranch_execnz .LBB182_532
.LBB182_210:                            ;   in Loop: Header=BB182_3 Depth=1
	s_or_b32 exec_lo, exec_lo, s1
	s_and_saveexec_b32 s1, s9
	s_cbranch_execnz .LBB182_533
.LBB182_211:                            ;   in Loop: Header=BB182_3 Depth=1
	s_or_b32 exec_lo, exec_lo, s1
	s_and_saveexec_b32 s1, s11
	s_cbranch_execnz .LBB182_534
.LBB182_212:                            ;   in Loop: Header=BB182_3 Depth=1
	s_or_b32 exec_lo, exec_lo, s1
	s_and_saveexec_b32 s1, s13
	s_cbranch_execnz .LBB182_535
.LBB182_213:                            ;   in Loop: Header=BB182_3 Depth=1
	s_or_b32 exec_lo, exec_lo, s1
	s_and_saveexec_b32 s1, s6
	s_cbranch_execz .LBB182_215
.LBB182_214:                            ;   in Loop: Header=BB182_3 Depth=1
	ds_load_b128 v[42:45], v1 offset:16368
	ds_load_b128 v[202:205], v49 offset:15872
	s_wait_dscnt 0x0
	v_mul_f64_e32 v[2:3], v[44:45], v[204:205]
	s_delay_alu instid0(VALU_DEP_1) | instskip(SKIP_1) | instid1(VALU_DEP_2)
	v_fma_f64 v[2:3], v[42:43], v[202:203], -v[2:3]
	v_mul_f64_e32 v[42:43], v[42:43], v[204:205]
	v_add_f64_e32 v[12:13], v[12:13], v[2:3]
	s_delay_alu instid0(VALU_DEP_2) | instskip(NEXT) | instid1(VALU_DEP_1)
	v_fmac_f64_e32 v[42:43], v[44:45], v[202:203]
	v_add_f64_e32 v[14:15], v[14:15], v[42:43]
.LBB182_215:                            ;   in Loop: Header=BB182_3 Depth=1
	s_or_b32 exec_lo, exec_lo, s1
.LBB182_216:                            ;   in Loop: Header=BB182_3 Depth=1
	s_delay_alu instid0(SALU_CYCLE_1) | instskip(NEXT) | instid1(SALU_CYCLE_1)
	s_or_b32 exec_lo, exec_lo, s0
	s_mov_b32 s0, exec_lo
	v_readlane_b32 s1, v210, 3
	s_and_b32 s1, s0, s1
	s_delay_alu instid0(SALU_CYCLE_1)
	s_mov_b32 exec_lo, s1
	s_cbranch_execz .LBB182_218
; %bb.217:                              ;   in Loop: Header=BB182_3 Depth=1
	v_xor_b32_e32 v45, 0x80000000, v15
	v_xor_b32_e32 v43, 0x80000000, v13
	v_dual_mov_b32 v42, v12 :: v_dual_mov_b32 v44, v14
	ds_store_b128 v70, v[42:45]
.LBB182_218:                            ;   in Loop: Header=BB182_3 Depth=1
	s_or_b32 exec_lo, exec_lo, s0
	s_wait_loadcnt_dscnt 0x0
	s_barrier_signal -1
	s_barrier_wait -1
	s_mov_b32 s0, exec_lo
	v_readlane_b32 s1, v210, 4
	s_and_b32 s1, s0, s1
	s_delay_alu instid0(SALU_CYCLE_1)
	s_mov_b32 exec_lo, s1
	s_cbranch_execz .LBB182_220
; %bb.219:                              ;   in Loop: Header=BB182_3 Depth=1
	ds_load_b128 v[42:45], v70
	ds_load_b128 v[202:205], v71 offset:7680
	s_wait_dscnt 0x0
	v_mul_f64_e32 v[2:3], v[44:45], v[204:205]
	s_delay_alu instid0(VALU_DEP_1) | instskip(SKIP_1) | instid1(VALU_DEP_2)
	v_fma_f64 v[2:3], v[42:43], v[202:203], -v[2:3]
	v_mul_f64_e32 v[42:43], v[42:43], v[204:205]
	v_add_f64_e64 v[12:13], v[12:13], -v[2:3]
	s_delay_alu instid0(VALU_DEP_2) | instskip(NEXT) | instid1(VALU_DEP_1)
	v_fmac_f64_e32 v[42:43], v[44:45], v[202:203]
	v_add_f64_e64 v[14:15], v[14:15], -v[42:43]
.LBB182_220:                            ;   in Loop: Header=BB182_3 Depth=1
	s_or_b32 exec_lo, exec_lo, s0
	s_barrier_signal -1
	s_barrier_wait -1
	s_mov_b32 s0, exec_lo
	v_readlane_b32 s1, v210, 5
	s_and_b32 s1, s0, s1
	s_delay_alu instid0(SALU_CYCLE_1)
	s_mov_b32 exec_lo, s1
	s_cbranch_execz .LBB182_222
; %bb.221:                              ;   in Loop: Header=BB182_3 Depth=1
	v_xor_b32_e32 v45, 0x80000000, v15
	v_xor_b32_e32 v43, 0x80000000, v13
	v_dual_mov_b32 v42, v12 :: v_dual_mov_b32 v44, v14
	ds_store_b128 v70, v[42:45]
.LBB182_222:                            ;   in Loop: Header=BB182_3 Depth=1
	s_or_b32 exec_lo, exec_lo, s0
	s_wait_dscnt 0x0
	s_barrier_signal -1
	s_barrier_wait -1
	s_mov_b32 s0, exec_lo
	v_readlane_b32 s1, v210, 6
	s_and_b32 s1, s0, s1
	s_delay_alu instid0(SALU_CYCLE_1)
	s_mov_b32 exec_lo, s1
	s_cbranch_execz .LBB182_224
; %bb.223:                              ;   in Loop: Header=BB182_3 Depth=1
	ds_load_b128 v[42:45], v70
	ds_load_b128 v[202:205], v71 offset:7168
	s_wait_dscnt 0x0
	v_mul_f64_e32 v[2:3], v[44:45], v[204:205]
	s_delay_alu instid0(VALU_DEP_1) | instskip(SKIP_1) | instid1(VALU_DEP_2)
	v_fma_f64 v[2:3], v[42:43], v[202:203], -v[2:3]
	v_mul_f64_e32 v[42:43], v[42:43], v[204:205]
	v_add_f64_e64 v[12:13], v[12:13], -v[2:3]
	s_delay_alu instid0(VALU_DEP_2) | instskip(NEXT) | instid1(VALU_DEP_1)
	v_fmac_f64_e32 v[42:43], v[44:45], v[202:203]
	v_add_f64_e64 v[14:15], v[14:15], -v[42:43]
.LBB182_224:                            ;   in Loop: Header=BB182_3 Depth=1
	s_or_b32 exec_lo, exec_lo, s0
	s_barrier_signal -1
	s_barrier_wait -1
	s_mov_b32 s0, exec_lo
	v_readlane_b32 s1, v210, 7
	s_and_b32 s1, s0, s1
	s_delay_alu instid0(SALU_CYCLE_1)
	s_mov_b32 exec_lo, s1
	s_cbranch_execz .LBB182_226
; %bb.225:                              ;   in Loop: Header=BB182_3 Depth=1
	v_xor_b32_e32 v45, 0x80000000, v15
	v_xor_b32_e32 v43, 0x80000000, v13
	v_dual_mov_b32 v42, v12 :: v_dual_mov_b32 v44, v14
	ds_store_b128 v70, v[42:45]
.LBB182_226:                            ;   in Loop: Header=BB182_3 Depth=1
	s_or_b32 exec_lo, exec_lo, s0
	s_wait_dscnt 0x0
	;; [unrolled: 38-line block ×6, first 2 shown]
	s_barrier_signal -1
	s_barrier_wait -1
	s_mov_b32 s0, exec_lo
	v_readlane_b32 s1, v210, 16
	s_and_b32 s1, s0, s1
	s_delay_alu instid0(SALU_CYCLE_1)
	s_mov_b32 exec_lo, s1
	s_cbranch_execz .LBB182_244
; %bb.243:                              ;   in Loop: Header=BB182_3 Depth=1
	ds_load_b128 v[42:45], v70
	ds_load_b128 v[202:205], v71 offset:4608
	s_wait_dscnt 0x0
	v_mul_f64_e32 v[2:3], v[44:45], v[204:205]
	s_delay_alu instid0(VALU_DEP_1) | instskip(SKIP_1) | instid1(VALU_DEP_2)
	v_fma_f64 v[2:3], v[42:43], v[202:203], -v[2:3]
	v_mul_f64_e32 v[42:43], v[42:43], v[204:205]
	v_add_f64_e64 v[12:13], v[12:13], -v[2:3]
	s_delay_alu instid0(VALU_DEP_2) | instskip(NEXT) | instid1(VALU_DEP_1)
	v_fmac_f64_e32 v[42:43], v[44:45], v[202:203]
	v_add_f64_e64 v[14:15], v[14:15], -v[42:43]
.LBB182_244:                            ;   in Loop: Header=BB182_3 Depth=1
	s_or_b32 exec_lo, exec_lo, s0
	s_barrier_signal -1
	s_barrier_wait -1
	s_and_saveexec_b32 s0, s104
	s_cbranch_execz .LBB182_246
; %bb.245:                              ;   in Loop: Header=BB182_3 Depth=1
	s_delay_alu instid0(VALU_DEP_1) | instskip(NEXT) | instid1(VALU_DEP_4)
	v_xor_b32_e32 v45, 0x80000000, v15
	v_xor_b32_e32 v43, 0x80000000, v13
	s_delay_alu instid0(VALU_DEP_3)
	v_dual_mov_b32 v42, v12 :: v_dual_mov_b32 v44, v14
	ds_store_b128 v70, v[42:45]
.LBB182_246:                            ;   in Loop: Header=BB182_3 Depth=1
	s_or_b32 exec_lo, exec_lo, s0
	s_wait_dscnt 0x0
	s_barrier_signal -1
	s_barrier_wait -1
	s_and_saveexec_b32 s0, vcc_hi
	s_cbranch_execz .LBB182_248
; %bb.247:                              ;   in Loop: Header=BB182_3 Depth=1
	ds_load_b128 v[42:45], v70
	ds_load_b128 v[202:205], v71 offset:4096
	s_wait_dscnt 0x0
	v_mul_f64_e32 v[2:3], v[44:45], v[204:205]
	s_delay_alu instid0(VALU_DEP_1) | instskip(SKIP_1) | instid1(VALU_DEP_2)
	v_fma_f64 v[2:3], v[42:43], v[202:203], -v[2:3]
	v_mul_f64_e32 v[42:43], v[42:43], v[204:205]
	v_add_f64_e64 v[12:13], v[12:13], -v[2:3]
	s_delay_alu instid0(VALU_DEP_2) | instskip(NEXT) | instid1(VALU_DEP_1)
	v_fmac_f64_e32 v[42:43], v[44:45], v[202:203]
	v_add_f64_e64 v[14:15], v[14:15], -v[42:43]
.LBB182_248:                            ;   in Loop: Header=BB182_3 Depth=1
	s_or_b32 exec_lo, exec_lo, s0
	s_barrier_signal -1
	s_barrier_wait -1
	s_and_saveexec_b32 s0, s28
	s_cbranch_execz .LBB182_250
; %bb.249:                              ;   in Loop: Header=BB182_3 Depth=1
	s_delay_alu instid0(VALU_DEP_1) | instskip(NEXT) | instid1(VALU_DEP_4)
	v_xor_b32_e32 v45, 0x80000000, v15
	v_xor_b32_e32 v43, 0x80000000, v13
	s_delay_alu instid0(VALU_DEP_3)
	v_dual_mov_b32 v42, v12 :: v_dual_mov_b32 v44, v14
	ds_store_b128 v70, v[42:45]
.LBB182_250:                            ;   in Loop: Header=BB182_3 Depth=1
	s_or_b32 exec_lo, exec_lo, s0
	s_wait_dscnt 0x0
	s_barrier_signal -1
	s_barrier_wait -1
	s_and_saveexec_b32 s0, s10
	s_cbranch_execz .LBB182_252
; %bb.251:                              ;   in Loop: Header=BB182_3 Depth=1
	ds_load_b128 v[42:45], v70
	ds_load_b128 v[202:205], v71 offset:3584
	s_wait_dscnt 0x0
	v_mul_f64_e32 v[2:3], v[44:45], v[204:205]
	s_delay_alu instid0(VALU_DEP_1) | instskip(SKIP_1) | instid1(VALU_DEP_2)
	v_fma_f64 v[2:3], v[42:43], v[202:203], -v[2:3]
	v_mul_f64_e32 v[42:43], v[42:43], v[204:205]
	v_add_f64_e64 v[12:13], v[12:13], -v[2:3]
	s_delay_alu instid0(VALU_DEP_2) | instskip(NEXT) | instid1(VALU_DEP_1)
	v_fmac_f64_e32 v[42:43], v[44:45], v[202:203]
	v_add_f64_e64 v[14:15], v[14:15], -v[42:43]
.LBB182_252:                            ;   in Loop: Header=BB182_3 Depth=1
	s_or_b32 exec_lo, exec_lo, s0
	s_barrier_signal -1
	s_barrier_wait -1
	s_and_saveexec_b32 s0, s12
	s_cbranch_execz .LBB182_254
; %bb.253:                              ;   in Loop: Header=BB182_3 Depth=1
	s_delay_alu instid0(VALU_DEP_1) | instskip(NEXT) | instid1(VALU_DEP_4)
	v_xor_b32_e32 v45, 0x80000000, v15
	v_xor_b32_e32 v43, 0x80000000, v13
	s_delay_alu instid0(VALU_DEP_3)
	v_dual_mov_b32 v42, v12 :: v_dual_mov_b32 v44, v14
	ds_store_b128 v70, v[42:45]
.LBB182_254:                            ;   in Loop: Header=BB182_3 Depth=1
	s_or_b32 exec_lo, exec_lo, s0
	s_wait_dscnt 0x0
	s_barrier_signal -1
	s_barrier_wait -1
	s_and_saveexec_b32 s0, s14
	;; [unrolled: 32-line block ×7, first 2 shown]
	s_cbranch_execz .LBB182_276
; %bb.275:                              ;   in Loop: Header=BB182_3 Depth=1
	ds_load_b128 v[42:45], v70
	ds_load_b128 v[202:205], v1 offset:512
	s_wait_dscnt 0x0
	v_mul_f64_e32 v[2:3], v[44:45], v[204:205]
	s_delay_alu instid0(VALU_DEP_1) | instskip(SKIP_1) | instid1(VALU_DEP_2)
	v_fma_f64 v[2:3], v[42:43], v[202:203], -v[2:3]
	v_mul_f64_e32 v[42:43], v[42:43], v[204:205]
	v_add_f64_e64 v[12:13], v[12:13], -v[2:3]
	s_delay_alu instid0(VALU_DEP_2) | instskip(NEXT) | instid1(VALU_DEP_1)
	v_fmac_f64_e32 v[42:43], v[44:45], v[202:203]
	v_add_f64_e64 v[14:15], v[14:15], -v[42:43]
.LBB182_276:                            ;   in Loop: Header=BB182_3 Depth=1
	s_or_b32 exec_lo, exec_lo, s0
	s_barrier_signal -1
	s_barrier_wait -1
	s_and_saveexec_b32 s0, s99
	s_cbranch_execz .LBB182_278
; %bb.277:                              ;   in Loop: Header=BB182_3 Depth=1
	s_delay_alu instid0(VALU_DEP_1) | instskip(NEXT) | instid1(VALU_DEP_4)
	v_xor_b32_e32 v45, 0x80000000, v15
	v_xor_b32_e32 v43, 0x80000000, v13
	s_delay_alu instid0(VALU_DEP_3)
	v_dual_mov_b32 v42, v12 :: v_dual_mov_b32 v44, v14
	ds_store_b128 v70, v[42:45]
.LBB182_278:                            ;   in Loop: Header=BB182_3 Depth=1
	s_or_b32 exec_lo, exec_lo, s0
	s_wait_dscnt 0x0
	s_barrier_signal -1
	s_barrier_wait -1
	s_barrier_signal -1
	s_barrier_wait -1
	s_and_saveexec_b32 s0, s15
; %bb.279:                              ;   in Loop: Header=BB182_3 Depth=1
	ds_store_b128 v73, v[12:15] offset:15872
; %bb.280:                              ;   in Loop: Header=BB182_3 Depth=1
	s_or_b32 exec_lo, exec_lo, s0
	s_wait_dscnt 0x0
	s_barrier_signal -1
	s_barrier_wait -1
	s_barrier_signal -1
	s_barrier_wait -1
	s_and_saveexec_b32 s0, s100
	s_cbranch_execz .LBB182_282
; %bb.281:                              ;   in Loop: Header=BB182_3 Depth=1
	ds_load_b128 v[12:15], v74
	s_wait_dscnt 0x0
	ds_store_b128 v160, v[12:15]
	ds_load_b128 v[12:15], v75
	s_wait_dscnt 0x0
	ds_store_b128 v161, v[12:15]
	;; [unrolled: 3-line block ×16, first 2 shown]
.LBB182_282:                            ;   in Loop: Header=BB182_3 Depth=1
	s_or_b32 exec_lo, exec_lo, s0
	s_wait_dscnt 0x0
	s_barrier_signal -1
	s_barrier_wait -1
	s_and_saveexec_b32 s0, s29
	s_cbranch_execz .LBB182_284
; %bb.283:                              ;   in Loop: Header=BB182_3 Depth=1
	s_mov_b32 s48, s53
	s_mov_b32 s50, s53
	;; [unrolled: 1-line block ×3, first 2 shown]
	v_mov_b64_e32 v[12:13], s[48:49]
	v_mov_b64_e32 v[14:15], s[50:51]
	ds_store_b128 v1, v[12:15] offset:7392
	ds_store_b128 v1, v[12:15] offset:7920
	ds_load_b128 v[12:15], v1 offset:7904
	s_wait_dscnt 0x0
	ds_store_b128 v1, v[12:15] offset:7408
.LBB182_284:                            ;   in Loop: Header=BB182_3 Depth=1
	s_or_b32 exec_lo, exec_lo, s0
	v_mov_b64_e32 v[12:13], 0
	v_mov_b64_e32 v[14:15], 0
	s_wait_dscnt 0x0
	s_barrier_signal -1
	s_barrier_wait -1
	global_wb scope:SCOPE_DEV
	s_wait_storecnt 0x0
	global_inv scope:SCOPE_DEV
	s_and_saveexec_b32 s0, s3
	s_cbranch_execz .LBB182_288
; %bb.285:                              ;   in Loop: Header=BB182_3 Depth=1
	ds_load_b128 v[12:15], v48 offset:7904
	ds_load_b128 v[42:45], v47 offset:7360
	s_wait_dscnt 0x0
	v_mul_f64_e32 v[2:3], v[14:15], v[44:45]
	v_mul_f64_e32 v[44:45], v[12:13], v[44:45]
	s_delay_alu instid0(VALU_DEP_2) | instskip(NEXT) | instid1(VALU_DEP_2)
	v_fma_f64 v[2:3], v[12:13], v[42:43], -v[2:3]
	v_fmac_f64_e32 v[44:45], v[14:15], v[42:43]
	s_delay_alu instid0(VALU_DEP_2) | instskip(NEXT) | instid1(VALU_DEP_2)
	v_add_f64_e32 v[12:13], 0, v[2:3]
	v_add_f64_e32 v[14:15], 0, v[44:45]
	s_and_saveexec_b32 s1, s4
	s_cbranch_execz .LBB182_287
; %bb.286:                              ;   in Loop: Header=BB182_3 Depth=1
	ds_load_b128 v[42:45], v1 offset:7920
	ds_load_b128 v[202:205], v49 offset:7872
	s_wait_dscnt 0x0
	v_mul_f64_e32 v[2:3], v[44:45], v[204:205]
	s_delay_alu instid0(VALU_DEP_1) | instskip(SKIP_1) | instid1(VALU_DEP_2)
	v_fma_f64 v[2:3], v[42:43], v[202:203], -v[2:3]
	v_mul_f64_e32 v[42:43], v[42:43], v[204:205]
	v_add_f64_e32 v[12:13], v[12:13], v[2:3]
	s_delay_alu instid0(VALU_DEP_2) | instskip(NEXT) | instid1(VALU_DEP_1)
	v_fmac_f64_e32 v[42:43], v[44:45], v[202:203]
	v_add_f64_e32 v[14:15], v[14:15], v[42:43]
.LBB182_287:                            ;   in Loop: Header=BB182_3 Depth=1
	s_or_b32 exec_lo, exec_lo, s1
.LBB182_288:                            ;   in Loop: Header=BB182_3 Depth=1
	s_delay_alu instid0(SALU_CYCLE_1)
	s_or_b32 exec_lo, exec_lo, s0
	s_and_saveexec_b32 s0, s65
	s_cbranch_execz .LBB182_290
; %bb.289:                              ;   in Loop: Header=BB182_3 Depth=1
	s_delay_alu instid0(VALU_DEP_2) | instskip(NEXT) | instid1(VALU_DEP_2)
	v_xor_b32_e32 v43, 0x80000000, v13
	v_xor_b32_e32 v45, 0x80000000, v15
	s_delay_alu instid0(VALU_DEP_3)
	v_dual_mov_b32 v42, v12 :: v_dual_mov_b32 v44, v14
	ds_store_b128 v46, v[42:45]
.LBB182_290:                            ;   in Loop: Header=BB182_3 Depth=1
	s_or_b32 exec_lo, exec_lo, s0
	s_wait_loadcnt_dscnt 0x0
	s_barrier_signal -1
	s_barrier_wait -1
	s_and_saveexec_b32 s0, s66
	s_cbranch_execz .LBB182_292
; %bb.291:                              ;   in Loop: Header=BB182_3 Depth=1
	ds_load_b128 v[42:45], v46
	ds_load_b128 v[202:205], v1 offset:6848
	s_wait_dscnt 0x0
	v_mul_f64_e32 v[2:3], v[42:43], v[202:203]
	v_mul_f64_e32 v[42:43], v[42:43], v[204:205]
	s_delay_alu instid0(VALU_DEP_2) | instskip(NEXT) | instid1(VALU_DEP_2)
	v_fma_f64 v[2:3], v[44:45], v[204:205], -v[2:3]
	v_fmac_f64_e32 v[42:43], v[44:45], v[202:203]
	s_delay_alu instid0(VALU_DEP_2) | instskip(NEXT) | instid1(VALU_DEP_2)
	v_add_f64_e32 v[12:13], v[12:13], v[2:3]
	v_add_f64_e64 v[14:15], v[14:15], -v[42:43]
.LBB182_292:                            ;   in Loop: Header=BB182_3 Depth=1
	s_or_b32 exec_lo, exec_lo, s0
	s_barrier_signal -1
	s_barrier_wait -1
	s_and_saveexec_b32 s0, s66
	s_cbranch_execz .LBB182_294
; %bb.293:                              ;   in Loop: Header=BB182_3 Depth=1
	s_delay_alu instid0(VALU_DEP_2) | instskip(NEXT) | instid1(VALU_DEP_2)
	v_xor_b32_e32 v43, 0x80000000, v13
	v_xor_b32_e32 v45, 0x80000000, v15
	s_delay_alu instid0(VALU_DEP_3)
	v_dual_mov_b32 v42, v12 :: v_dual_mov_b32 v44, v14
	ds_store_b128 v46, v[42:45]
.LBB182_294:                            ;   in Loop: Header=BB182_3 Depth=1
	s_or_b32 exec_lo, exec_lo, s0
	s_wait_dscnt 0x0
	s_barrier_signal -1
	s_barrier_wait -1
	s_barrier_signal -1
	s_barrier_wait -1
	s_and_saveexec_b32 s0, s3
; %bb.295:                              ;   in Loop: Header=BB182_3 Depth=1
	ds_store_b128 v50, v[12:15] offset:7872
; %bb.296:                              ;   in Loop: Header=BB182_3 Depth=1
	s_or_b32 exec_lo, exec_lo, s0
	s_wait_dscnt 0x0
	s_barrier_signal -1
	s_barrier_wait -1
	s_barrier_signal -1
	s_barrier_wait -1
	s_and_saveexec_b32 s0, s67
	s_cbranch_execz .LBB182_298
; %bb.297:                              ;   in Loop: Header=BB182_3 Depth=1
	ds_load_b128 v[12:15], v90
	s_wait_dscnt 0x0
	ds_store_b128 v176, v[12:15]
	ds_load_b128 v[12:15], v91
	s_wait_dscnt 0x0
	ds_store_b128 v177, v[12:15]
.LBB182_298:                            ;   in Loop: Header=BB182_3 Depth=1
	s_or_b32 exec_lo, exec_lo, s0
	s_wait_dscnt 0x0
	s_barrier_signal -1
	s_barrier_wait -1
	s_and_saveexec_b32 s0, s29
	s_cbranch_execz .LBB182_300
; %bb.299:                              ;   in Loop: Header=BB182_3 Depth=1
	s_mov_b32 s48, s53
	s_mov_b32 s50, s53
	;; [unrolled: 1-line block ×3, first 2 shown]
	v_mov_b64_e32 v[12:13], s[48:49]
	v_mov_b64_e32 v[14:15], s[50:51]
	ds_store_b128 v1, v[12:15] offset:6336
	ds_store_b128 v1, v[12:15] offset:6864
	ds_load_b128 v[12:15], v1 offset:6848
	s_wait_dscnt 0x0
	ds_store_b128 v1, v[12:15] offset:6352
.LBB182_300:                            ;   in Loop: Header=BB182_3 Depth=1
	s_or_b32 exec_lo, exec_lo, s0
	v_mov_b64_e32 v[14:15], 0
	v_mov_b64_e32 v[12:13], 0
	s_wait_dscnt 0x0
	s_barrier_signal -1
	s_barrier_wait -1
	global_wb scope:SCOPE_DEV
	s_wait_storecnt 0x0
	global_inv scope:SCOPE_DEV
	s_and_saveexec_b32 s0, s6
	s_cbranch_execz .LBB182_306
; %bb.301:                              ;   in Loop: Header=BB182_3 Depth=1
	ds_load_b128 v[12:15], v56 offset:7872
	ds_load_b128 v[42:45], v55 offset:6272
	s_wait_dscnt 0x0
	v_mul_f64_e32 v[2:3], v[14:15], v[44:45]
	v_mul_f64_e32 v[44:45], v[12:13], v[44:45]
	s_delay_alu instid0(VALU_DEP_2) | instskip(NEXT) | instid1(VALU_DEP_2)
	v_fma_f64 v[2:3], v[12:13], v[42:43], -v[2:3]
	v_fmac_f64_e32 v[44:45], v[14:15], v[42:43]
	s_delay_alu instid0(VALU_DEP_2) | instskip(NEXT) | instid1(VALU_DEP_2)
	v_add_f64_e32 v[12:13], 0, v[2:3]
	v_add_f64_e32 v[14:15], 0, v[44:45]
	s_and_saveexec_b32 s1, s7
	s_cbranch_execnz .LBB182_536
; %bb.302:                              ;   in Loop: Header=BB182_3 Depth=1
	s_or_b32 exec_lo, exec_lo, s1
	s_and_saveexec_b32 s1, s8
	s_cbranch_execnz .LBB182_537
.LBB182_303:                            ;   in Loop: Header=BB182_3 Depth=1
	s_or_b32 exec_lo, exec_lo, s1
	s_and_saveexec_b32 s1, s3
	s_cbranch_execz .LBB182_305
.LBB182_304:                            ;   in Loop: Header=BB182_3 Depth=1
	ds_load_b128 v[42:45], v1 offset:7920
	ds_load_b128 v[202:205], v53 offset:7808
	s_wait_dscnt 0x0
	v_mul_f64_e32 v[2:3], v[44:45], v[204:205]
	s_delay_alu instid0(VALU_DEP_1) | instskip(SKIP_1) | instid1(VALU_DEP_2)
	v_fma_f64 v[2:3], v[42:43], v[202:203], -v[2:3]
	v_mul_f64_e32 v[42:43], v[42:43], v[204:205]
	v_add_f64_e32 v[12:13], v[12:13], v[2:3]
	s_delay_alu instid0(VALU_DEP_2) | instskip(NEXT) | instid1(VALU_DEP_1)
	v_fmac_f64_e32 v[42:43], v[44:45], v[202:203]
	v_add_f64_e32 v[14:15], v[14:15], v[42:43]
.LBB182_305:                            ;   in Loop: Header=BB182_3 Depth=1
	s_or_b32 exec_lo, exec_lo, s1
.LBB182_306:                            ;   in Loop: Header=BB182_3 Depth=1
	s_delay_alu instid0(SALU_CYCLE_1)
	s_or_b32 exec_lo, exec_lo, s0
	s_and_saveexec_b32 s0, s68
	s_cbranch_execz .LBB182_308
; %bb.307:                              ;   in Loop: Header=BB182_3 Depth=1
	s_delay_alu instid0(VALU_DEP_1) | instskip(NEXT) | instid1(VALU_DEP_3)
	v_xor_b32_e32 v45, 0x80000000, v15
	v_xor_b32_e32 v43, 0x80000000, v13
	s_delay_alu instid0(VALU_DEP_3)
	v_dual_mov_b32 v42, v12 :: v_dual_mov_b32 v44, v14
	ds_store_b128 v54, v[42:45]
.LBB182_308:                            ;   in Loop: Header=BB182_3 Depth=1
	s_or_b32 exec_lo, exec_lo, s0
	s_wait_loadcnt_dscnt 0x0
	s_barrier_signal -1
	s_barrier_wait -1
	s_and_saveexec_b32 s0, s69
	s_cbranch_execz .LBB182_310
; %bb.309:                              ;   in Loop: Header=BB182_3 Depth=1
	ds_load_b128 v[42:45], v54
	ds_load_b128 v[202:205], v55 offset:5760
	s_wait_dscnt 0x0
	v_mul_f64_e32 v[2:3], v[44:45], v[204:205]
	s_delay_alu instid0(VALU_DEP_1) | instskip(SKIP_1) | instid1(VALU_DEP_2)
	v_fma_f64 v[2:3], v[42:43], v[202:203], -v[2:3]
	v_mul_f64_e32 v[42:43], v[42:43], v[204:205]
	v_add_f64_e64 v[12:13], v[12:13], -v[2:3]
	s_delay_alu instid0(VALU_DEP_2) | instskip(NEXT) | instid1(VALU_DEP_1)
	v_fmac_f64_e32 v[42:43], v[44:45], v[202:203]
	v_add_f64_e64 v[14:15], v[14:15], -v[42:43]
.LBB182_310:                            ;   in Loop: Header=BB182_3 Depth=1
	s_or_b32 exec_lo, exec_lo, s0
	s_barrier_signal -1
	s_barrier_wait -1
	s_and_saveexec_b32 s0, s70
	s_cbranch_execz .LBB182_312
; %bb.311:                              ;   in Loop: Header=BB182_3 Depth=1
	s_delay_alu instid0(VALU_DEP_1) | instskip(NEXT) | instid1(VALU_DEP_3)
	v_xor_b32_e32 v45, 0x80000000, v15
	v_xor_b32_e32 v43, 0x80000000, v13
	s_delay_alu instid0(VALU_DEP_3)
	v_dual_mov_b32 v42, v12 :: v_dual_mov_b32 v44, v14
	ds_store_b128 v54, v[42:45]
.LBB182_312:                            ;   in Loop: Header=BB182_3 Depth=1
	s_or_b32 exec_lo, exec_lo, s0
	s_wait_dscnt 0x0
	s_barrier_signal -1
	s_barrier_wait -1
	s_and_saveexec_b32 s0, s71
	s_cbranch_execz .LBB182_314
; %bb.313:                              ;   in Loop: Header=BB182_3 Depth=1
	ds_load_b128 v[42:45], v54
	ds_load_b128 v[202:205], v55 offset:5248
	s_wait_dscnt 0x0
	v_mul_f64_e32 v[2:3], v[44:45], v[204:205]
	s_delay_alu instid0(VALU_DEP_1) | instskip(SKIP_1) | instid1(VALU_DEP_2)
	v_fma_f64 v[2:3], v[42:43], v[202:203], -v[2:3]
	v_mul_f64_e32 v[42:43], v[42:43], v[204:205]
	v_add_f64_e64 v[12:13], v[12:13], -v[2:3]
	s_delay_alu instid0(VALU_DEP_2) | instskip(NEXT) | instid1(VALU_DEP_1)
	v_fmac_f64_e32 v[42:43], v[44:45], v[202:203]
	v_add_f64_e64 v[14:15], v[14:15], -v[42:43]
.LBB182_314:                            ;   in Loop: Header=BB182_3 Depth=1
	s_or_b32 exec_lo, exec_lo, s0
	s_barrier_signal -1
	s_barrier_wait -1
	s_and_saveexec_b32 s0, s72
	s_cbranch_execz .LBB182_316
; %bb.315:                              ;   in Loop: Header=BB182_3 Depth=1
	s_delay_alu instid0(VALU_DEP_1) | instskip(NEXT) | instid1(VALU_DEP_3)
	v_xor_b32_e32 v45, 0x80000000, v15
	v_xor_b32_e32 v43, 0x80000000, v13
	s_delay_alu instid0(VALU_DEP_3)
	v_dual_mov_b32 v42, v12 :: v_dual_mov_b32 v44, v14
	ds_store_b128 v54, v[42:45]
.LBB182_316:                            ;   in Loop: Header=BB182_3 Depth=1
	s_or_b32 exec_lo, exec_lo, s0
	s_wait_dscnt 0x0
	s_barrier_signal -1
	s_barrier_wait -1
	s_and_saveexec_b32 s0, s73
	s_cbranch_execz .LBB182_318
; %bb.317:                              ;   in Loop: Header=BB182_3 Depth=1
	ds_load_b128 v[42:45], v54
	ds_load_b128 v[202:205], v1 offset:4736
	s_wait_dscnt 0x0
	v_mul_f64_e32 v[2:3], v[44:45], v[204:205]
	s_delay_alu instid0(VALU_DEP_1) | instskip(SKIP_1) | instid1(VALU_DEP_2)
	v_fma_f64 v[2:3], v[42:43], v[202:203], -v[2:3]
	v_mul_f64_e32 v[42:43], v[42:43], v[204:205]
	v_add_f64_e64 v[12:13], v[12:13], -v[2:3]
	s_delay_alu instid0(VALU_DEP_2) | instskip(NEXT) | instid1(VALU_DEP_1)
	v_fmac_f64_e32 v[42:43], v[44:45], v[202:203]
	v_add_f64_e64 v[14:15], v[14:15], -v[42:43]
.LBB182_318:                            ;   in Loop: Header=BB182_3 Depth=1
	s_or_b32 exec_lo, exec_lo, s0
	s_barrier_signal -1
	s_barrier_wait -1
	s_and_saveexec_b32 s0, s73
	s_cbranch_execz .LBB182_320
; %bb.319:                              ;   in Loop: Header=BB182_3 Depth=1
	s_delay_alu instid0(VALU_DEP_1) | instskip(NEXT) | instid1(VALU_DEP_3)
	v_xor_b32_e32 v45, 0x80000000, v15
	v_xor_b32_e32 v43, 0x80000000, v13
	s_delay_alu instid0(VALU_DEP_3)
	v_dual_mov_b32 v42, v12 :: v_dual_mov_b32 v44, v14
	ds_store_b128 v54, v[42:45]
.LBB182_320:                            ;   in Loop: Header=BB182_3 Depth=1
	s_or_b32 exec_lo, exec_lo, s0
	s_wait_dscnt 0x0
	s_barrier_signal -1
	s_barrier_wait -1
	s_barrier_signal -1
	s_barrier_wait -1
	s_and_saveexec_b32 s0, s6
; %bb.321:                              ;   in Loop: Header=BB182_3 Depth=1
	ds_store_b128 v57, v[12:15] offset:7808
; %bb.322:                              ;   in Loop: Header=BB182_3 Depth=1
	s_or_b32 exec_lo, exec_lo, s0
	s_wait_dscnt 0x0
	s_barrier_signal -1
	s_barrier_wait -1
	s_barrier_signal -1
	s_barrier_wait -1
	s_and_saveexec_b32 s0, s74
	s_cbranch_execz .LBB182_324
; %bb.323:                              ;   in Loop: Header=BB182_3 Depth=1
	ds_load_b128 v[12:15], v107
	s_wait_dscnt 0x0
	ds_store_b128 v178, v[12:15]
	ds_load_b128 v[12:15], v110
	s_wait_dscnt 0x0
	ds_store_b128 v181, v[12:15]
	;; [unrolled: 3-line block ×4, first 2 shown]
.LBB182_324:                            ;   in Loop: Header=BB182_3 Depth=1
	s_or_b32 exec_lo, exec_lo, s0
	s_wait_dscnt 0x0
	s_barrier_signal -1
	s_barrier_wait -1
	s_and_saveexec_b32 s0, s29
	s_cbranch_execz .LBB182_326
; %bb.325:                              ;   in Loop: Header=BB182_3 Depth=1
	s_mov_b32 s48, s53
	s_mov_b32 s50, s53
	;; [unrolled: 1-line block ×3, first 2 shown]
	v_mov_b64_e32 v[12:13], s[48:49]
	v_mov_b64_e32 v[14:15], s[50:51]
	ds_store_b128 v1, v[12:15] offset:5280
	ds_store_b128 v1, v[12:15] offset:5808
	ds_load_b128 v[12:15], v1 offset:5792
	s_wait_dscnt 0x0
	ds_store_b128 v1, v[12:15] offset:5296
.LBB182_326:                            ;   in Loop: Header=BB182_3 Depth=1
	s_or_b32 exec_lo, exec_lo, s0
	v_mov_b64_e32 v[12:13], 0
	v_mov_b64_e32 v[14:15], 0
	s_wait_dscnt 0x0
	s_barrier_signal -1
	s_barrier_wait -1
	global_wb scope:SCOPE_DEV
	s_wait_storecnt 0x0
	global_inv scope:SCOPE_DEV
	s_and_saveexec_b32 s0, s3
	s_cbranch_execz .LBB182_330
; %bb.327:                              ;   in Loop: Header=BB182_3 Depth=1
	ds_load_b128 v[12:15], v48 offset:5792
	ds_load_b128 v[42:45], v47 offset:5248
	s_wait_dscnt 0x0
	v_mul_f64_e32 v[2:3], v[14:15], v[44:45]
	v_mul_f64_e32 v[44:45], v[12:13], v[44:45]
	s_delay_alu instid0(VALU_DEP_2) | instskip(NEXT) | instid1(VALU_DEP_2)
	v_fma_f64 v[2:3], v[12:13], v[42:43], -v[2:3]
	v_fmac_f64_e32 v[44:45], v[14:15], v[42:43]
	s_delay_alu instid0(VALU_DEP_2) | instskip(NEXT) | instid1(VALU_DEP_2)
	v_add_f64_e32 v[12:13], 0, v[2:3]
	v_add_f64_e32 v[14:15], 0, v[44:45]
	s_and_saveexec_b32 s1, s4
	s_cbranch_execz .LBB182_329
; %bb.328:                              ;   in Loop: Header=BB182_3 Depth=1
	ds_load_b128 v[42:45], v1 offset:5808
	ds_load_b128 v[202:205], v104 offset:5760
	s_wait_dscnt 0x0
	v_mul_f64_e32 v[2:3], v[44:45], v[204:205]
	s_delay_alu instid0(VALU_DEP_1) | instskip(SKIP_1) | instid1(VALU_DEP_2)
	v_fma_f64 v[2:3], v[42:43], v[202:203], -v[2:3]
	v_mul_f64_e32 v[42:43], v[42:43], v[204:205]
	v_add_f64_e32 v[12:13], v[12:13], v[2:3]
	s_delay_alu instid0(VALU_DEP_2) | instskip(NEXT) | instid1(VALU_DEP_1)
	v_fmac_f64_e32 v[42:43], v[44:45], v[202:203]
	v_add_f64_e32 v[14:15], v[14:15], v[42:43]
.LBB182_329:                            ;   in Loop: Header=BB182_3 Depth=1
	s_or_b32 exec_lo, exec_lo, s1
.LBB182_330:                            ;   in Loop: Header=BB182_3 Depth=1
	s_delay_alu instid0(SALU_CYCLE_1)
	s_or_b32 exec_lo, exec_lo, s0
	s_and_saveexec_b32 s0, s65
	s_cbranch_execz .LBB182_332
; %bb.331:                              ;   in Loop: Header=BB182_3 Depth=1
	s_delay_alu instid0(VALU_DEP_2) | instskip(NEXT) | instid1(VALU_DEP_2)
	v_xor_b32_e32 v43, 0x80000000, v13
	v_xor_b32_e32 v45, 0x80000000, v15
	s_delay_alu instid0(VALU_DEP_3)
	v_dual_mov_b32 v42, v12 :: v_dual_mov_b32 v44, v14
	ds_store_b128 v46, v[42:45]
.LBB182_332:                            ;   in Loop: Header=BB182_3 Depth=1
	s_or_b32 exec_lo, exec_lo, s0
	s_wait_loadcnt_dscnt 0x0
	s_barrier_signal -1
	s_barrier_wait -1
	s_and_saveexec_b32 s0, s66
	s_cbranch_execz .LBB182_334
; %bb.333:                              ;   in Loop: Header=BB182_3 Depth=1
	ds_load_b128 v[42:45], v46
	ds_load_b128 v[202:205], v1 offset:4736
	s_wait_dscnt 0x0
	v_mul_f64_e32 v[2:3], v[42:43], v[202:203]
	v_mul_f64_e32 v[42:43], v[42:43], v[204:205]
	s_delay_alu instid0(VALU_DEP_2) | instskip(NEXT) | instid1(VALU_DEP_2)
	v_fma_f64 v[2:3], v[44:45], v[204:205], -v[2:3]
	v_fmac_f64_e32 v[42:43], v[44:45], v[202:203]
	s_delay_alu instid0(VALU_DEP_2) | instskip(NEXT) | instid1(VALU_DEP_2)
	v_add_f64_e32 v[12:13], v[12:13], v[2:3]
	v_add_f64_e64 v[14:15], v[14:15], -v[42:43]
.LBB182_334:                            ;   in Loop: Header=BB182_3 Depth=1
	s_or_b32 exec_lo, exec_lo, s0
	s_barrier_signal -1
	s_barrier_wait -1
	s_and_saveexec_b32 s0, s66
	s_cbranch_execz .LBB182_336
; %bb.335:                              ;   in Loop: Header=BB182_3 Depth=1
	s_delay_alu instid0(VALU_DEP_2) | instskip(NEXT) | instid1(VALU_DEP_2)
	v_xor_b32_e32 v43, 0x80000000, v13
	v_xor_b32_e32 v45, 0x80000000, v15
	s_delay_alu instid0(VALU_DEP_3)
	v_dual_mov_b32 v42, v12 :: v_dual_mov_b32 v44, v14
	ds_store_b128 v46, v[42:45]
.LBB182_336:                            ;   in Loop: Header=BB182_3 Depth=1
	s_or_b32 exec_lo, exec_lo, s0
	s_wait_dscnt 0x0
	s_barrier_signal -1
	s_barrier_wait -1
	s_barrier_signal -1
	s_barrier_wait -1
	s_and_saveexec_b32 s0, s3
; %bb.337:                              ;   in Loop: Header=BB182_3 Depth=1
	ds_store_b128 v50, v[12:15] offset:5760
; %bb.338:                              ;   in Loop: Header=BB182_3 Depth=1
	s_or_b32 exec_lo, exec_lo, s0
	s_wait_dscnt 0x0
	s_barrier_signal -1
	s_barrier_wait -1
	s_barrier_signal -1
	s_barrier_wait -1
	s_and_saveexec_b32 s0, s67
	s_cbranch_execz .LBB182_340
; %bb.339:                              ;   in Loop: Header=BB182_3 Depth=1
	ds_load_b128 v[12:15], v120
	s_wait_dscnt 0x0
	ds_store_b128 v182, v[12:15]
	ds_load_b128 v[12:15], v121
	s_wait_dscnt 0x0
	ds_store_b128 v183, v[12:15]
.LBB182_340:                            ;   in Loop: Header=BB182_3 Depth=1
	s_or_b32 exec_lo, exec_lo, s0
	s_wait_dscnt 0x0
	s_barrier_signal -1
	s_barrier_wait -1
	s_and_saveexec_b32 s0, s29
	s_cbranch_execz .LBB182_342
; %bb.341:                              ;   in Loop: Header=BB182_3 Depth=1
	s_mov_b32 s48, s53
	s_mov_b32 s50, s53
	;; [unrolled: 1-line block ×3, first 2 shown]
	v_mov_b64_e32 v[12:13], s[48:49]
	v_mov_b64_e32 v[14:15], s[50:51]
	ds_store_b128 v1, v[12:15] offset:4224
	ds_store_b128 v1, v[12:15] offset:4752
	ds_load_b128 v[12:15], v1 offset:4736
	s_wait_dscnt 0x0
	ds_store_b128 v1, v[12:15] offset:4240
.LBB182_342:                            ;   in Loop: Header=BB182_3 Depth=1
	s_or_b32 exec_lo, exec_lo, s0
	v_mov_b64_e32 v[14:15], 0
	v_mov_b64_e32 v[12:13], 0
	s_wait_dscnt 0x0
	s_barrier_signal -1
	s_barrier_wait -1
	global_wb scope:SCOPE_DEV
	s_wait_storecnt 0x0
	global_inv scope:SCOPE_DEV
	s_and_saveexec_b32 s0, s9
	s_cbranch_execz .LBB182_356
; %bb.343:                              ;   in Loop: Header=BB182_3 Depth=1
	ds_load_b128 v[12:15], v60 offset:7808
	ds_load_b128 v[42:45], v59 offset:4096
	v_readlane_b32 s22, v210, 0
	s_wait_dscnt 0x0
	v_mul_f64_e32 v[2:3], v[14:15], v[44:45]
	v_mul_f64_e32 v[44:45], v[12:13], v[44:45]
	s_delay_alu instid0(VALU_DEP_2) | instskip(NEXT) | instid1(VALU_DEP_2)
	v_fma_f64 v[2:3], v[12:13], v[42:43], -v[2:3]
	v_fmac_f64_e32 v[44:45], v[14:15], v[42:43]
	s_delay_alu instid0(VALU_DEP_2) | instskip(NEXT) | instid1(VALU_DEP_2)
	v_add_f64_e32 v[12:13], 0, v[2:3]
	v_add_f64_e32 v[14:15], 0, v[44:45]
	s_and_saveexec_b32 s1, s22
	s_cbranch_execz .LBB182_345
; %bb.344:                              ;   in Loop: Header=BB182_3 Depth=1
	ds_load_b128 v[42:45], v60 offset:7824
	ds_load_b128 v[202:205], v59 offset:4608
	s_wait_dscnt 0x0
	v_mul_f64_e32 v[2:3], v[44:45], v[204:205]
	s_delay_alu instid0(VALU_DEP_1) | instskip(SKIP_1) | instid1(VALU_DEP_2)
	v_fma_f64 v[2:3], v[42:43], v[202:203], -v[2:3]
	v_mul_f64_e32 v[42:43], v[42:43], v[204:205]
	v_add_f64_e32 v[12:13], v[12:13], v[2:3]
	s_delay_alu instid0(VALU_DEP_2) | instskip(NEXT) | instid1(VALU_DEP_1)
	v_fmac_f64_e32 v[42:43], v[44:45], v[202:203]
	v_add_f64_e32 v[14:15], v[14:15], v[42:43]
.LBB182_345:                            ;   in Loop: Header=BB182_3 Depth=1
	s_or_b32 exec_lo, exec_lo, s1
	s_and_saveexec_b32 s1, s11
	s_cbranch_execz .LBB182_347
; %bb.346:                              ;   in Loop: Header=BB182_3 Depth=1
	ds_load_b128 v[42:45], v60 offset:7840
	ds_load_b128 v[202:205], v59 offset:5120
	s_wait_dscnt 0x0
	v_mul_f64_e32 v[2:3], v[44:45], v[204:205]
	s_delay_alu instid0(VALU_DEP_1) | instskip(SKIP_1) | instid1(VALU_DEP_2)
	v_fma_f64 v[2:3], v[42:43], v[202:203], -v[2:3]
	v_mul_f64_e32 v[42:43], v[42:43], v[204:205]
	v_add_f64_e32 v[12:13], v[12:13], v[2:3]
	s_delay_alu instid0(VALU_DEP_2) | instskip(NEXT) | instid1(VALU_DEP_1)
	v_fmac_f64_e32 v[42:43], v[44:45], v[202:203]
	v_add_f64_e32 v[14:15], v[14:15], v[42:43]
.LBB182_347:                            ;   in Loop: Header=BB182_3 Depth=1
	s_or_b32 exec_lo, exec_lo, s1
	v_readlane_b32 s22, v210, 1
	s_and_saveexec_b32 s1, s22
	s_cbranch_execz .LBB182_349
; %bb.348:                              ;   in Loop: Header=BB182_3 Depth=1
	ds_load_b128 v[42:45], v60 offset:7856
	ds_load_b128 v[202:205], v59 offset:5632
	s_wait_dscnt 0x0
	v_mul_f64_e32 v[2:3], v[44:45], v[204:205]
	s_delay_alu instid0(VALU_DEP_1) | instskip(SKIP_1) | instid1(VALU_DEP_2)
	v_fma_f64 v[2:3], v[42:43], v[202:203], -v[2:3]
	v_mul_f64_e32 v[42:43], v[42:43], v[204:205]
	v_add_f64_e32 v[12:13], v[12:13], v[2:3]
	s_delay_alu instid0(VALU_DEP_2) | instskip(NEXT) | instid1(VALU_DEP_1)
	v_fmac_f64_e32 v[42:43], v[44:45], v[202:203]
	v_add_f64_e32 v[14:15], v[14:15], v[42:43]
.LBB182_349:                            ;   in Loop: Header=BB182_3 Depth=1
	s_or_b32 exec_lo, exec_lo, s1
	s_and_saveexec_b32 s1, s13
	s_cbranch_execz .LBB182_351
; %bb.350:                              ;   in Loop: Header=BB182_3 Depth=1
	ds_load_b128 v[42:45], v60 offset:7872
	ds_load_b128 v[202:205], v59 offset:6144
	s_wait_dscnt 0x0
	v_mul_f64_e32 v[2:3], v[44:45], v[204:205]
	s_delay_alu instid0(VALU_DEP_1) | instskip(SKIP_1) | instid1(VALU_DEP_2)
	v_fma_f64 v[2:3], v[42:43], v[202:203], -v[2:3]
	v_mul_f64_e32 v[42:43], v[42:43], v[204:205]
	v_add_f64_e32 v[12:13], v[12:13], v[2:3]
	s_delay_alu instid0(VALU_DEP_2) | instskip(NEXT) | instid1(VALU_DEP_1)
	v_fmac_f64_e32 v[42:43], v[44:45], v[202:203]
	v_add_f64_e32 v[14:15], v[14:15], v[42:43]
.LBB182_351:                            ;   in Loop: Header=BB182_3 Depth=1
	s_or_b32 exec_lo, exec_lo, s1
	v_readlane_b32 s22, v210, 2
	s_and_saveexec_b32 s1, s22
	s_cbranch_execnz .LBB182_538
; %bb.352:                              ;   in Loop: Header=BB182_3 Depth=1
	s_or_b32 exec_lo, exec_lo, s1
	s_and_saveexec_b32 s1, s6
	s_cbranch_execnz .LBB182_539
.LBB182_353:                            ;   in Loop: Header=BB182_3 Depth=1
	s_or_b32 exec_lo, exec_lo, s1
	s_and_saveexec_b32 s1, s8
	s_cbranch_execz .LBB182_355
.LBB182_354:                            ;   in Loop: Header=BB182_3 Depth=1
	ds_load_b128 v[42:45], v1 offset:7920
	ds_load_b128 v[202:205], v49 offset:7680
	s_wait_dscnt 0x0
	v_mul_f64_e32 v[2:3], v[44:45], v[204:205]
	s_delay_alu instid0(VALU_DEP_1) | instskip(SKIP_1) | instid1(VALU_DEP_2)
	v_fma_f64 v[2:3], v[42:43], v[202:203], -v[2:3]
	v_mul_f64_e32 v[42:43], v[42:43], v[204:205]
	v_add_f64_e32 v[12:13], v[12:13], v[2:3]
	s_delay_alu instid0(VALU_DEP_2) | instskip(NEXT) | instid1(VALU_DEP_1)
	v_fmac_f64_e32 v[42:43], v[44:45], v[202:203]
	v_add_f64_e32 v[14:15], v[14:15], v[42:43]
.LBB182_355:                            ;   in Loop: Header=BB182_3 Depth=1
	s_or_b32 exec_lo, exec_lo, s1
.LBB182_356:                            ;   in Loop: Header=BB182_3 Depth=1
	s_delay_alu instid0(SALU_CYCLE_1)
	s_or_b32 exec_lo, exec_lo, s0
	s_and_saveexec_b32 s0, s75
	s_cbranch_execz .LBB182_358
; %bb.357:                              ;   in Loop: Header=BB182_3 Depth=1
	s_delay_alu instid0(VALU_DEP_3) | instskip(NEXT) | instid1(VALU_DEP_2)
	v_xor_b32_e32 v43, 0x80000000, v13
	v_xor_b32_e32 v45, 0x80000000, v15
	s_delay_alu instid0(VALU_DEP_3)
	v_dual_mov_b32 v42, v12 :: v_dual_mov_b32 v44, v14
	ds_store_b128 v58, v[42:45]
.LBB182_358:                            ;   in Loop: Header=BB182_3 Depth=1
	s_or_b32 exec_lo, exec_lo, s0
	s_wait_loadcnt_dscnt 0x0
	s_barrier_signal -1
	s_barrier_wait -1
	s_and_saveexec_b32 s0, s76
	s_cbranch_execz .LBB182_360
; %bb.359:                              ;   in Loop: Header=BB182_3 Depth=1
	ds_load_b128 v[42:45], v58
	ds_load_b128 v[202:205], v59 offset:3584
	s_wait_dscnt 0x0
	v_mul_f64_e32 v[2:3], v[44:45], v[204:205]
	s_delay_alu instid0(VALU_DEP_1) | instskip(SKIP_1) | instid1(VALU_DEP_2)
	v_fma_f64 v[2:3], v[42:43], v[202:203], -v[2:3]
	v_mul_f64_e32 v[42:43], v[42:43], v[204:205]
	v_add_f64_e64 v[12:13], v[12:13], -v[2:3]
	s_delay_alu instid0(VALU_DEP_2) | instskip(NEXT) | instid1(VALU_DEP_1)
	v_fmac_f64_e32 v[42:43], v[44:45], v[202:203]
	v_add_f64_e64 v[14:15], v[14:15], -v[42:43]
.LBB182_360:                            ;   in Loop: Header=BB182_3 Depth=1
	s_or_b32 exec_lo, exec_lo, s0
	s_barrier_signal -1
	s_barrier_wait -1
	s_and_saveexec_b32 s0, s77
	s_cbranch_execz .LBB182_362
; %bb.361:                              ;   in Loop: Header=BB182_3 Depth=1
	s_delay_alu instid0(VALU_DEP_3) | instskip(NEXT) | instid1(VALU_DEP_2)
	v_xor_b32_e32 v43, 0x80000000, v13
	v_xor_b32_e32 v45, 0x80000000, v15
	s_delay_alu instid0(VALU_DEP_3)
	v_dual_mov_b32 v42, v12 :: v_dual_mov_b32 v44, v14
	ds_store_b128 v58, v[42:45]
.LBB182_362:                            ;   in Loop: Header=BB182_3 Depth=1
	s_or_b32 exec_lo, exec_lo, s0
	s_wait_dscnt 0x0
	s_barrier_signal -1
	s_barrier_wait -1
	s_and_saveexec_b32 s0, s78
	s_cbranch_execz .LBB182_364
; %bb.363:                              ;   in Loop: Header=BB182_3 Depth=1
	ds_load_b128 v[42:45], v58
	ds_load_b128 v[202:205], v59 offset:3072
	s_wait_dscnt 0x0
	v_mul_f64_e32 v[2:3], v[44:45], v[204:205]
	s_delay_alu instid0(VALU_DEP_1) | instskip(SKIP_1) | instid1(VALU_DEP_2)
	v_fma_f64 v[2:3], v[42:43], v[202:203], -v[2:3]
	v_mul_f64_e32 v[42:43], v[42:43], v[204:205]
	v_add_f64_e64 v[12:13], v[12:13], -v[2:3]
	s_delay_alu instid0(VALU_DEP_2) | instskip(NEXT) | instid1(VALU_DEP_1)
	v_fmac_f64_e32 v[42:43], v[44:45], v[202:203]
	v_add_f64_e64 v[14:15], v[14:15], -v[42:43]
.LBB182_364:                            ;   in Loop: Header=BB182_3 Depth=1
	s_or_b32 exec_lo, exec_lo, s0
	s_barrier_signal -1
	s_barrier_wait -1
	s_and_saveexec_b32 s0, s79
	s_cbranch_execz .LBB182_366
; %bb.365:                              ;   in Loop: Header=BB182_3 Depth=1
	s_delay_alu instid0(VALU_DEP_3) | instskip(NEXT) | instid1(VALU_DEP_2)
	v_xor_b32_e32 v43, 0x80000000, v13
	v_xor_b32_e32 v45, 0x80000000, v15
	s_delay_alu instid0(VALU_DEP_3)
	v_dual_mov_b32 v42, v12 :: v_dual_mov_b32 v44, v14
	ds_store_b128 v58, v[42:45]
.LBB182_366:                            ;   in Loop: Header=BB182_3 Depth=1
	s_or_b32 exec_lo, exec_lo, s0
	s_wait_dscnt 0x0
	;; [unrolled: 32-line block ×7, first 2 shown]
	s_barrier_signal -1
	s_barrier_wait -1
	s_barrier_signal -1
	s_barrier_wait -1
	s_and_saveexec_b32 s0, s9
; %bb.387:                              ;   in Loop: Header=BB182_3 Depth=1
	ds_store_b128 v61, v[12:15] offset:7680
; %bb.388:                              ;   in Loop: Header=BB182_3 Depth=1
	s_or_b32 exec_lo, exec_lo, s0
	s_wait_dscnt 0x0
	s_barrier_signal -1
	s_barrier_wait -1
	s_barrier_signal -1
	s_barrier_wait -1
	s_and_saveexec_b32 s0, s89
	s_cbranch_execz .LBB182_390
; %bb.389:                              ;   in Loop: Header=BB182_3 Depth=1
	ds_load_b128 v[12:15], v92
	s_wait_dscnt 0x0
	ds_store_b128 v184, v[12:15]
	ds_load_b128 v[12:15], v93
	s_wait_dscnt 0x0
	ds_store_b128 v185, v[12:15]
	;; [unrolled: 3-line block ×8, first 2 shown]
.LBB182_390:                            ;   in Loop: Header=BB182_3 Depth=1
	s_or_b32 exec_lo, exec_lo, s0
	s_wait_dscnt 0x0
	s_barrier_signal -1
	s_barrier_wait -1
	s_and_saveexec_b32 s0, s29
	s_cbranch_execz .LBB182_392
; %bb.391:                              ;   in Loop: Header=BB182_3 Depth=1
	s_mov_b32 s48, s53
	s_mov_b32 s50, s53
	;; [unrolled: 1-line block ×3, first 2 shown]
	v_mov_b64_e32 v[12:13], s[48:49]
	v_mov_b64_e32 v[14:15], s[50:51]
	ds_store_b128 v1, v[12:15] offset:3168
	ds_store_b128 v1, v[12:15] offset:3696
	ds_load_b128 v[12:15], v1 offset:3680
	s_wait_dscnt 0x0
	ds_store_b128 v1, v[12:15] offset:3184
.LBB182_392:                            ;   in Loop: Header=BB182_3 Depth=1
	s_or_b32 exec_lo, exec_lo, s0
	v_mov_b64_e32 v[12:13], 0
	v_mov_b64_e32 v[14:15], 0
	s_wait_dscnt 0x0
	s_barrier_signal -1
	s_barrier_wait -1
	global_wb scope:SCOPE_DEV
	s_wait_storecnt 0x0
	global_inv scope:SCOPE_DEV
	s_and_saveexec_b32 s0, s3
	s_cbranch_execz .LBB182_396
; %bb.393:                              ;   in Loop: Header=BB182_3 Depth=1
	ds_load_b128 v[12:15], v48 offset:3680
	ds_load_b128 v[42:45], v47 offset:3136
	s_wait_dscnt 0x0
	v_mul_f64_e32 v[2:3], v[14:15], v[44:45]
	v_mul_f64_e32 v[44:45], v[12:13], v[44:45]
	s_delay_alu instid0(VALU_DEP_2) | instskip(NEXT) | instid1(VALU_DEP_2)
	v_fma_f64 v[2:3], v[12:13], v[42:43], -v[2:3]
	v_fmac_f64_e32 v[44:45], v[14:15], v[42:43]
	s_delay_alu instid0(VALU_DEP_2) | instskip(NEXT) | instid1(VALU_DEP_2)
	v_add_f64_e32 v[12:13], 0, v[2:3]
	v_add_f64_e32 v[14:15], 0, v[44:45]
	s_and_saveexec_b32 s1, s4
	s_cbranch_execz .LBB182_395
; %bb.394:                              ;   in Loop: Header=BB182_3 Depth=1
	ds_load_b128 v[42:45], v1 offset:3696
	ds_load_b128 v[202:205], v53 offset:3648
	s_wait_dscnt 0x0
	v_mul_f64_e32 v[2:3], v[44:45], v[204:205]
	s_delay_alu instid0(VALU_DEP_1) | instskip(SKIP_1) | instid1(VALU_DEP_2)
	v_fma_f64 v[2:3], v[42:43], v[202:203], -v[2:3]
	v_mul_f64_e32 v[42:43], v[42:43], v[204:205]
	v_add_f64_e32 v[12:13], v[12:13], v[2:3]
	s_delay_alu instid0(VALU_DEP_2) | instskip(NEXT) | instid1(VALU_DEP_1)
	v_fmac_f64_e32 v[42:43], v[44:45], v[202:203]
	v_add_f64_e32 v[14:15], v[14:15], v[42:43]
.LBB182_395:                            ;   in Loop: Header=BB182_3 Depth=1
	s_or_b32 exec_lo, exec_lo, s1
.LBB182_396:                            ;   in Loop: Header=BB182_3 Depth=1
	s_delay_alu instid0(SALU_CYCLE_1)
	s_or_b32 exec_lo, exec_lo, s0
	s_and_saveexec_b32 s0, s65
	s_cbranch_execz .LBB182_398
; %bb.397:                              ;   in Loop: Header=BB182_3 Depth=1
	s_delay_alu instid0(VALU_DEP_2) | instskip(NEXT) | instid1(VALU_DEP_2)
	v_xor_b32_e32 v43, 0x80000000, v13
	v_xor_b32_e32 v45, 0x80000000, v15
	s_delay_alu instid0(VALU_DEP_3)
	v_dual_mov_b32 v42, v12 :: v_dual_mov_b32 v44, v14
	ds_store_b128 v46, v[42:45]
.LBB182_398:                            ;   in Loop: Header=BB182_3 Depth=1
	s_or_b32 exec_lo, exec_lo, s0
	s_wait_loadcnt_dscnt 0x0
	s_barrier_signal -1
	s_barrier_wait -1
	s_and_saveexec_b32 s0, s66
	s_cbranch_execz .LBB182_400
; %bb.399:                              ;   in Loop: Header=BB182_3 Depth=1
	ds_load_b128 v[42:45], v46
	ds_load_b128 v[202:205], v1 offset:2624
	s_wait_dscnt 0x0
	v_mul_f64_e32 v[2:3], v[42:43], v[202:203]
	v_mul_f64_e32 v[42:43], v[42:43], v[204:205]
	s_delay_alu instid0(VALU_DEP_2) | instskip(NEXT) | instid1(VALU_DEP_2)
	v_fma_f64 v[2:3], v[44:45], v[204:205], -v[2:3]
	v_fmac_f64_e32 v[42:43], v[44:45], v[202:203]
	s_delay_alu instid0(VALU_DEP_2) | instskip(NEXT) | instid1(VALU_DEP_2)
	v_add_f64_e32 v[12:13], v[12:13], v[2:3]
	v_add_f64_e64 v[14:15], v[14:15], -v[42:43]
.LBB182_400:                            ;   in Loop: Header=BB182_3 Depth=1
	s_or_b32 exec_lo, exec_lo, s0
	s_barrier_signal -1
	s_barrier_wait -1
	s_and_saveexec_b32 s0, s66
	s_cbranch_execz .LBB182_402
; %bb.401:                              ;   in Loop: Header=BB182_3 Depth=1
	s_delay_alu instid0(VALU_DEP_2) | instskip(NEXT) | instid1(VALU_DEP_2)
	v_xor_b32_e32 v43, 0x80000000, v13
	v_xor_b32_e32 v45, 0x80000000, v15
	s_delay_alu instid0(VALU_DEP_3)
	v_dual_mov_b32 v42, v12 :: v_dual_mov_b32 v44, v14
	ds_store_b128 v46, v[42:45]
.LBB182_402:                            ;   in Loop: Header=BB182_3 Depth=1
	s_or_b32 exec_lo, exec_lo, s0
	s_wait_dscnt 0x0
	s_barrier_signal -1
	s_barrier_wait -1
	s_barrier_signal -1
	s_barrier_wait -1
	s_and_saveexec_b32 s0, s3
; %bb.403:                              ;   in Loop: Header=BB182_3 Depth=1
	ds_store_b128 v50, v[12:15] offset:3648
; %bb.404:                              ;   in Loop: Header=BB182_3 Depth=1
	s_or_b32 exec_lo, exec_lo, s0
	s_wait_dscnt 0x0
	s_barrier_signal -1
	s_barrier_wait -1
	s_barrier_signal -1
	s_barrier_wait -1
	s_and_saveexec_b32 s0, s67
	s_cbranch_execz .LBB182_406
; %bb.405:                              ;   in Loop: Header=BB182_3 Depth=1
	ds_load_b128 v[12:15], v111
	s_wait_dscnt 0x0
	ds_store_b128 v192, v[12:15]
	ds_load_b128 v[12:15], v112
	s_wait_dscnt 0x0
	ds_store_b128 v193, v[12:15]
.LBB182_406:                            ;   in Loop: Header=BB182_3 Depth=1
	s_or_b32 exec_lo, exec_lo, s0
	s_wait_dscnt 0x0
	s_barrier_signal -1
	s_barrier_wait -1
	s_and_saveexec_b32 s0, s29
	s_cbranch_execz .LBB182_408
; %bb.407:                              ;   in Loop: Header=BB182_3 Depth=1
	s_mov_b32 s48, s53
	s_mov_b32 s50, s53
	;; [unrolled: 1-line block ×3, first 2 shown]
	v_mov_b64_e32 v[12:13], s[48:49]
	v_mov_b64_e32 v[14:15], s[50:51]
	ds_store_b128 v1, v[12:15] offset:2112
	ds_store_b128 v1, v[12:15] offset:2640
	ds_load_b128 v[12:15], v1 offset:2624
	s_wait_dscnt 0x0
	ds_store_b128 v1, v[12:15] offset:2128
.LBB182_408:                            ;   in Loop: Header=BB182_3 Depth=1
	s_or_b32 exec_lo, exec_lo, s0
	v_mov_b64_e32 v[14:15], 0
	v_mov_b64_e32 v[12:13], 0
	s_wait_dscnt 0x0
	s_barrier_signal -1
	s_barrier_wait -1
	global_wb scope:SCOPE_DEV
	s_wait_storecnt 0x0
	global_inv scope:SCOPE_DEV
	s_and_saveexec_b32 s0, s6
	s_cbranch_execz .LBB182_414
; %bb.409:                              ;   in Loop: Header=BB182_3 Depth=1
	ds_load_b128 v[12:15], v56 offset:3648
	ds_load_b128 v[42:45], v55 offset:2048
	s_wait_dscnt 0x0
	v_mul_f64_e32 v[2:3], v[14:15], v[44:45]
	v_mul_f64_e32 v[44:45], v[12:13], v[44:45]
	s_delay_alu instid0(VALU_DEP_2) | instskip(NEXT) | instid1(VALU_DEP_2)
	v_fma_f64 v[2:3], v[12:13], v[42:43], -v[2:3]
	v_fmac_f64_e32 v[44:45], v[14:15], v[42:43]
	s_delay_alu instid0(VALU_DEP_2) | instskip(NEXT) | instid1(VALU_DEP_2)
	v_add_f64_e32 v[12:13], 0, v[2:3]
	v_add_f64_e32 v[14:15], 0, v[44:45]
	s_and_saveexec_b32 s1, s7
	s_cbranch_execnz .LBB182_540
; %bb.410:                              ;   in Loop: Header=BB182_3 Depth=1
	s_or_b32 exec_lo, exec_lo, s1
	s_and_saveexec_b32 s1, s8
	s_cbranch_execnz .LBB182_541
.LBB182_411:                            ;   in Loop: Header=BB182_3 Depth=1
	s_or_b32 exec_lo, exec_lo, s1
	s_and_saveexec_b32 s1, s3
	s_cbranch_execz .LBB182_413
.LBB182_412:                            ;   in Loop: Header=BB182_3 Depth=1
	ds_load_b128 v[42:45], v1 offset:3696
	ds_load_b128 v[202:205], v104 offset:3584
	s_wait_dscnt 0x0
	v_mul_f64_e32 v[2:3], v[44:45], v[204:205]
	s_delay_alu instid0(VALU_DEP_1) | instskip(SKIP_1) | instid1(VALU_DEP_2)
	v_fma_f64 v[2:3], v[42:43], v[202:203], -v[2:3]
	v_mul_f64_e32 v[42:43], v[42:43], v[204:205]
	v_add_f64_e32 v[12:13], v[12:13], v[2:3]
	s_delay_alu instid0(VALU_DEP_2) | instskip(NEXT) | instid1(VALU_DEP_1)
	v_fmac_f64_e32 v[42:43], v[44:45], v[202:203]
	v_add_f64_e32 v[14:15], v[14:15], v[42:43]
.LBB182_413:                            ;   in Loop: Header=BB182_3 Depth=1
	s_or_b32 exec_lo, exec_lo, s1
.LBB182_414:                            ;   in Loop: Header=BB182_3 Depth=1
	s_delay_alu instid0(SALU_CYCLE_1)
	s_or_b32 exec_lo, exec_lo, s0
	s_and_saveexec_b32 s0, s68
	s_cbranch_execz .LBB182_416
; %bb.415:                              ;   in Loop: Header=BB182_3 Depth=1
	s_delay_alu instid0(VALU_DEP_1) | instskip(NEXT) | instid1(VALU_DEP_3)
	v_xor_b32_e32 v45, 0x80000000, v15
	v_xor_b32_e32 v43, 0x80000000, v13
	s_delay_alu instid0(VALU_DEP_3)
	v_dual_mov_b32 v42, v12 :: v_dual_mov_b32 v44, v14
	ds_store_b128 v54, v[42:45]
.LBB182_416:                            ;   in Loop: Header=BB182_3 Depth=1
	s_or_b32 exec_lo, exec_lo, s0
	s_wait_loadcnt_dscnt 0x0
	s_barrier_signal -1
	s_barrier_wait -1
	s_and_saveexec_b32 s0, s69
	s_cbranch_execz .LBB182_418
; %bb.417:                              ;   in Loop: Header=BB182_3 Depth=1
	ds_load_b128 v[42:45], v54
	ds_load_b128 v[202:205], v55 offset:1536
	s_wait_dscnt 0x0
	v_mul_f64_e32 v[2:3], v[44:45], v[204:205]
	s_delay_alu instid0(VALU_DEP_1) | instskip(SKIP_1) | instid1(VALU_DEP_2)
	v_fma_f64 v[2:3], v[42:43], v[202:203], -v[2:3]
	v_mul_f64_e32 v[42:43], v[42:43], v[204:205]
	v_add_f64_e64 v[12:13], v[12:13], -v[2:3]
	s_delay_alu instid0(VALU_DEP_2) | instskip(NEXT) | instid1(VALU_DEP_1)
	v_fmac_f64_e32 v[42:43], v[44:45], v[202:203]
	v_add_f64_e64 v[14:15], v[14:15], -v[42:43]
.LBB182_418:                            ;   in Loop: Header=BB182_3 Depth=1
	s_or_b32 exec_lo, exec_lo, s0
	s_barrier_signal -1
	s_barrier_wait -1
	s_and_saveexec_b32 s0, s70
	s_cbranch_execz .LBB182_420
; %bb.419:                              ;   in Loop: Header=BB182_3 Depth=1
	s_delay_alu instid0(VALU_DEP_1) | instskip(NEXT) | instid1(VALU_DEP_3)
	v_xor_b32_e32 v45, 0x80000000, v15
	v_xor_b32_e32 v43, 0x80000000, v13
	s_delay_alu instid0(VALU_DEP_3)
	v_dual_mov_b32 v42, v12 :: v_dual_mov_b32 v44, v14
	ds_store_b128 v54, v[42:45]
.LBB182_420:                            ;   in Loop: Header=BB182_3 Depth=1
	s_or_b32 exec_lo, exec_lo, s0
	s_wait_dscnt 0x0
	s_barrier_signal -1
	s_barrier_wait -1
	s_and_saveexec_b32 s0, s71
	s_cbranch_execz .LBB182_422
; %bb.421:                              ;   in Loop: Header=BB182_3 Depth=1
	ds_load_b128 v[42:45], v54
	ds_load_b128 v[202:205], v55 offset:1024
	s_wait_dscnt 0x0
	v_mul_f64_e32 v[2:3], v[44:45], v[204:205]
	s_delay_alu instid0(VALU_DEP_1) | instskip(SKIP_1) | instid1(VALU_DEP_2)
	v_fma_f64 v[2:3], v[42:43], v[202:203], -v[2:3]
	v_mul_f64_e32 v[42:43], v[42:43], v[204:205]
	v_add_f64_e64 v[12:13], v[12:13], -v[2:3]
	s_delay_alu instid0(VALU_DEP_2) | instskip(NEXT) | instid1(VALU_DEP_1)
	v_fmac_f64_e32 v[42:43], v[44:45], v[202:203]
	v_add_f64_e64 v[14:15], v[14:15], -v[42:43]
.LBB182_422:                            ;   in Loop: Header=BB182_3 Depth=1
	s_or_b32 exec_lo, exec_lo, s0
	s_barrier_signal -1
	s_barrier_wait -1
	s_and_saveexec_b32 s0, s72
	s_cbranch_execz .LBB182_424
; %bb.423:                              ;   in Loop: Header=BB182_3 Depth=1
	s_delay_alu instid0(VALU_DEP_1) | instskip(NEXT) | instid1(VALU_DEP_3)
	v_xor_b32_e32 v45, 0x80000000, v15
	v_xor_b32_e32 v43, 0x80000000, v13
	s_delay_alu instid0(VALU_DEP_3)
	v_dual_mov_b32 v42, v12 :: v_dual_mov_b32 v44, v14
	ds_store_b128 v54, v[42:45]
.LBB182_424:                            ;   in Loop: Header=BB182_3 Depth=1
	s_or_b32 exec_lo, exec_lo, s0
	s_wait_dscnt 0x0
	;; [unrolled: 32-line block ×3, first 2 shown]
	s_barrier_signal -1
	s_barrier_wait -1
	s_barrier_signal -1
	s_barrier_wait -1
	s_and_saveexec_b32 s0, s6
; %bb.429:                              ;   in Loop: Header=BB182_3 Depth=1
	ds_store_b128 v57, v[12:15] offset:3584
; %bb.430:                              ;   in Loop: Header=BB182_3 Depth=1
	s_or_b32 exec_lo, exec_lo, s0
	s_wait_dscnt 0x0
	s_barrier_signal -1
	s_barrier_wait -1
	s_barrier_signal -1
	s_barrier_wait -1
	s_and_saveexec_b32 s0, s74
	s_cbranch_execz .LBB182_432
; %bb.431:                              ;   in Loop: Header=BB182_3 Depth=1
	ds_load_b128 v[12:15], v122
	s_wait_dscnt 0x0
	ds_store_b128 v194, v[12:15]
	ds_load_b128 v[12:15], v125
	s_wait_dscnt 0x0
	ds_store_b128 v197, v[12:15]
	;; [unrolled: 3-line block ×4, first 2 shown]
.LBB182_432:                            ;   in Loop: Header=BB182_3 Depth=1
	s_or_b32 exec_lo, exec_lo, s0
	s_wait_dscnt 0x0
	s_barrier_signal -1
	s_barrier_wait -1
	s_and_saveexec_b32 s0, s29
	s_cbranch_execz .LBB182_434
; %bb.433:                              ;   in Loop: Header=BB182_3 Depth=1
	s_mov_b32 s48, s53
	s_mov_b32 s50, s53
	;; [unrolled: 1-line block ×3, first 2 shown]
	v_mov_b64_e32 v[12:13], s[48:49]
	v_mov_b64_e32 v[14:15], s[50:51]
	ds_store_b128 v1, v[12:15] offset:1056
	ds_store_b128 v1, v[12:15] offset:1584
	ds_load_b128 v[12:15], v1 offset:1568
	s_wait_dscnt 0x0
	ds_store_b128 v1, v[12:15] offset:1072
.LBB182_434:                            ;   in Loop: Header=BB182_3 Depth=1
	s_or_b32 exec_lo, exec_lo, s0
	v_mov_b64_e32 v[12:13], 0
	v_mov_b64_e32 v[14:15], 0
	s_wait_dscnt 0x0
	s_barrier_signal -1
	s_barrier_wait -1
	global_wb scope:SCOPE_DEV
	s_wait_storecnt 0x0
	global_inv scope:SCOPE_DEV
	s_and_saveexec_b32 s0, s3
	s_cbranch_execz .LBB182_438
; %bb.435:                              ;   in Loop: Header=BB182_3 Depth=1
	ds_load_b128 v[12:15], v48 offset:1568
	ds_load_b128 v[42:45], v47 offset:1024
	s_wait_dscnt 0x0
	v_mul_f64_e32 v[2:3], v[14:15], v[44:45]
	v_mul_f64_e32 v[44:45], v[12:13], v[44:45]
	s_delay_alu instid0(VALU_DEP_2) | instskip(NEXT) | instid1(VALU_DEP_2)
	v_fma_f64 v[2:3], v[12:13], v[42:43], -v[2:3]
	v_fmac_f64_e32 v[44:45], v[14:15], v[42:43]
	s_delay_alu instid0(VALU_DEP_2) | instskip(NEXT) | instid1(VALU_DEP_2)
	v_add_f64_e32 v[12:13], 0, v[2:3]
	v_add_f64_e32 v[14:15], 0, v[44:45]
	s_and_saveexec_b32 s1, s4
	s_cbranch_execz .LBB182_437
; %bb.436:                              ;   in Loop: Header=BB182_3 Depth=1
	ds_load_b128 v[42:45], v1 offset:1584
	ds_load_b128 v[202:205], v115 offset:1536
	s_wait_dscnt 0x0
	v_mul_f64_e32 v[2:3], v[44:45], v[204:205]
	s_delay_alu instid0(VALU_DEP_1) | instskip(SKIP_1) | instid1(VALU_DEP_2)
	v_fma_f64 v[2:3], v[42:43], v[202:203], -v[2:3]
	v_mul_f64_e32 v[42:43], v[42:43], v[204:205]
	v_add_f64_e32 v[12:13], v[12:13], v[2:3]
	s_delay_alu instid0(VALU_DEP_2) | instskip(NEXT) | instid1(VALU_DEP_1)
	v_fmac_f64_e32 v[42:43], v[44:45], v[202:203]
	v_add_f64_e32 v[14:15], v[14:15], v[42:43]
.LBB182_437:                            ;   in Loop: Header=BB182_3 Depth=1
	s_or_b32 exec_lo, exec_lo, s1
.LBB182_438:                            ;   in Loop: Header=BB182_3 Depth=1
	s_delay_alu instid0(SALU_CYCLE_1)
	s_or_b32 exec_lo, exec_lo, s0
	s_and_saveexec_b32 s0, s65
	s_cbranch_execz .LBB182_440
; %bb.439:                              ;   in Loop: Header=BB182_3 Depth=1
	s_delay_alu instid0(VALU_DEP_2) | instskip(NEXT) | instid1(VALU_DEP_2)
	v_xor_b32_e32 v43, 0x80000000, v13
	v_xor_b32_e32 v45, 0x80000000, v15
	s_delay_alu instid0(VALU_DEP_3)
	v_dual_mov_b32 v42, v12 :: v_dual_mov_b32 v44, v14
	ds_store_b128 v46, v[42:45]
.LBB182_440:                            ;   in Loop: Header=BB182_3 Depth=1
	s_or_b32 exec_lo, exec_lo, s0
	s_wait_loadcnt_dscnt 0x0
	s_barrier_signal -1
	s_barrier_wait -1
	s_and_saveexec_b32 s0, s66
	s_cbranch_execz .LBB182_442
; %bb.441:                              ;   in Loop: Header=BB182_3 Depth=1
	ds_load_b128 v[42:45], v46
	ds_load_b128 v[202:205], v1 offset:512
	s_wait_dscnt 0x0
	v_mul_f64_e32 v[2:3], v[42:43], v[202:203]
	v_mul_f64_e32 v[42:43], v[42:43], v[204:205]
	s_delay_alu instid0(VALU_DEP_2) | instskip(NEXT) | instid1(VALU_DEP_2)
	v_fma_f64 v[2:3], v[44:45], v[204:205], -v[2:3]
	v_fmac_f64_e32 v[42:43], v[44:45], v[202:203]
	s_delay_alu instid0(VALU_DEP_2) | instskip(NEXT) | instid1(VALU_DEP_2)
	v_add_f64_e32 v[12:13], v[12:13], v[2:3]
	v_add_f64_e64 v[14:15], v[14:15], -v[42:43]
.LBB182_442:                            ;   in Loop: Header=BB182_3 Depth=1
	s_or_b32 exec_lo, exec_lo, s0
	s_barrier_signal -1
	s_barrier_wait -1
	s_and_saveexec_b32 s0, s66
	s_cbranch_execz .LBB182_444
; %bb.443:                              ;   in Loop: Header=BB182_3 Depth=1
	s_delay_alu instid0(VALU_DEP_2) | instskip(NEXT) | instid1(VALU_DEP_2)
	v_xor_b32_e32 v43, 0x80000000, v13
	v_xor_b32_e32 v45, 0x80000000, v15
	s_delay_alu instid0(VALU_DEP_3)
	v_dual_mov_b32 v42, v12 :: v_dual_mov_b32 v44, v14
	ds_store_b128 v46, v[42:45]
.LBB182_444:                            ;   in Loop: Header=BB182_3 Depth=1
	s_or_b32 exec_lo, exec_lo, s0
	s_wait_dscnt 0x0
	s_barrier_signal -1
	s_barrier_wait -1
	s_barrier_signal -1
	s_barrier_wait -1
	s_and_saveexec_b32 s0, s3
; %bb.445:                              ;   in Loop: Header=BB182_3 Depth=1
	ds_store_b128 v50, v[12:15] offset:1536
; %bb.446:                              ;   in Loop: Header=BB182_3 Depth=1
	s_or_b32 exec_lo, exec_lo, s0
	s_wait_dscnt 0x0
	s_barrier_signal -1
	s_barrier_wait -1
	s_barrier_signal -1
	s_barrier_wait -1
	s_and_saveexec_b32 s0, s67
	s_cbranch_execz .LBB182_448
; %bb.447:                              ;   in Loop: Header=BB182_3 Depth=1
	ds_load_b128 v[12:15], v128
	s_wait_dscnt 0x0
	ds_store_b128 v134, v[12:15]
	ds_load_b128 v[12:15], v129
	s_wait_dscnt 0x0
	ds_store_b128 v135, v[12:15]
.LBB182_448:                            ;   in Loop: Header=BB182_3 Depth=1
	s_or_b32 exec_lo, exec_lo, s0
	s_wait_dscnt 0x0
	s_barrier_signal -1
	s_barrier_wait -1
	s_and_saveexec_b32 s0, s29
	s_cbranch_execz .LBB182_450
; %bb.449:                              ;   in Loop: Header=BB182_3 Depth=1
	s_mov_b32 s48, s53
	s_mov_b32 s50, s53
	;; [unrolled: 1-line block ×3, first 2 shown]
	v_mov_b64_e32 v[12:13], s[48:49]
	v_mov_b64_e32 v[14:15], s[50:51]
	ds_store_b128 v1, v[12:15]
	ds_store_b128 v1, v[12:15] offset:528
	ds_load_b128 v[12:15], v1 offset:512
	s_wait_dscnt 0x0
	ds_store_b128 v1, v[12:15] offset:16
.LBB182_450:                            ;   in Loop: Header=BB182_3 Depth=1
	s_or_b32 exec_lo, exec_lo, s0
.LBB182_451:                            ;   in Loop: Header=BB182_3 Depth=1
	v_mov_b64_e32 v[12:13], 0
	v_add_nc_u64_e32 v[42:43], s[42:43], v[18:19]
	s_wait_dscnt 0x0
	s_barrier_signal -1
	s_barrier_wait -1
	s_delay_alu instid0(VALU_DEP_2)
	v_mov_b64_e32 v[14:15], v[12:13]
	s_wait_xcnt 0x0
	s_and_saveexec_b32 s0, s102
	s_cbranch_execz .LBB182_453
; %bb.452:                              ;   in Loop: Header=BB182_3 Depth=1
	v_lshl_add_u64 v[2:3], v[30:31], 4, v[42:43]
	flat_load_b128 v[202:205], v[2:3]
	s_wait_loadcnt_dscnt 0x0
	v_mul_f64_e32 v[2:3], s[36:37], v[202:203]
	s_delay_alu instid0(VALU_DEP_1) | instskip(SKIP_1) | instid1(VALU_DEP_1)
	v_fma_f64 v[12:13], s[38:39], v[204:205], -v[2:3]
	v_mul_f64_e32 v[2:3], s[36:37], v[204:205]
	v_fma_f64 v[14:15], v[202:203], -s[38:39], -v[2:3]
.LBB182_453:                            ;   in Loop: Header=BB182_3 Depth=1
	s_or_b32 exec_lo, exec_lo, s0
	s_delay_alu instid0(SALU_CYCLE_1)
	s_and_not1_b32 vcc_lo, exec_lo, s103
	s_cbranch_vccnz .LBB182_476
; %bb.454:                              ;   in Loop: Header=BB182_3 Depth=1
	v_mov_b32_e32 v21, -1
	s_lshl_b64 s[0:1], s[52:53], 2
	s_delay_alu instid0(SALU_CYCLE_1)
	s_add_nc_u64 s[50:51], s[56:57], s[0:1]
	s_mov_b32 s1, 0
	s_branch .LBB182_457
.LBB182_455:                            ;   in Loop: Header=BB182_457 Depth=2
	ds_load_b128 v[202:205], v131 offset:256
	s_wait_loadcnt_dscnt 0x0
	v_mul_f64_e32 v[2:3], v[44:45], v[204:205]
	s_delay_alu instid0(VALU_DEP_1) | instskip(SKIP_1) | instid1(VALU_DEP_2)
	v_fma_f64 v[2:3], v[18:19], v[202:203], -v[2:3]
	v_mul_f64_e32 v[18:19], v[18:19], v[204:205]
	v_add_f64_e32 v[12:13], v[12:13], v[2:3]
	s_delay_alu instid0(VALU_DEP_2) | instskip(NEXT) | instid1(VALU_DEP_1)
	v_fmac_f64_e32 v[18:19], v[44:45], v[202:203]
	v_add_f64_e32 v[14:15], v[14:15], v[18:19]
.LBB182_456:                            ;   in Loop: Header=BB182_457 Depth=2
	s_or_b32 exec_lo, exec_lo, s0
	s_add_co_i32 s1, s1, 1
	s_delay_alu instid0(SALU_CYCLE_1)
	s_cmp_eq_u32 s1, s61
	s_cbranch_scc1 .LBB182_476
.LBB182_457:                            ;   Parent Loop BB182_3 Depth=1
                                        ; =>  This Loop Header: Depth=2
                                        ;       Child Loop BB182_459 Depth 3
	v_cmp_gt_i32_e32 vcc_lo, s1, v21
	s_and_b32 s48, s33, vcc_lo
	s_delay_alu instid0(SALU_CYCLE_1)
	s_and_saveexec_b32 s0, s48
	s_cbranch_execz .LBB182_460
; %bb.458:                              ;   in Loop: Header=BB182_457 Depth=2
	global_load_b32 v21, v1, s[50:51]
	s_wait_loadcnt 0x0
	v_cmp_le_i32_e32 vcc_lo, s1, v21
	s_cbranch_vccnz .LBB182_460
.LBB182_459:                            ;   Parent Loop BB182_3 Depth=1
                                        ;     Parent Loop BB182_457 Depth=2
                                        ; =>    This Inner Loop Header: Depth=3
	global_wb scope:SCOPE_DEV
	s_wait_storecnt 0x0
	global_inv scope:SCOPE_DEV
	global_load_b32 v21, v1, s[50:51]
	s_wait_loadcnt 0x0
	v_cmp_gt_i32_e32 vcc_lo, s1, v21
	s_cbranch_vccnz .LBB182_459
.LBB182_460:                            ;   in Loop: Header=BB182_457 Depth=2
	s_or_b32 exec_lo, exec_lo, s0
	s_lshl_b32 s0, s1, 5
	global_wb scope:SCOPE_DEV
	s_wait_storecnt 0x0
	global_inv scope:SCOPE_DEV
	s_wait_loadcnt 0x0
	s_barrier_signal -1
	s_barrier_wait -1
	s_and_saveexec_b32 s48, s34
	s_cbranch_execz .LBB182_465
; %bb.461:                              ;   in Loop: Header=BB182_457 Depth=2
	v_or_b32_e32 v0, s0, v24
	s_delay_alu instid0(VALU_DEP_1) | instskip(SKIP_1) | instid1(SALU_CYCLE_1)
	v_cmp_le_i32_e32 vcc_lo, s60, v0
	s_and_saveexec_b32 s23, vcc_lo
	s_xor_b32 vcc_lo, exec_lo, s23
; %bb.462:                              ;   in Loop: Header=BB182_457 Depth=2
	v_dual_mov_b32 v0, v1 :: v_dual_mov_b32 v2, v1
	v_mov_b32_e32 v3, v1
	ds_store_b128 v198, v[0:3]
; %bb.463:                              ;   in Loop: Header=BB182_457 Depth=2
	s_and_not1_saveexec_b32 s22, vcc_lo
	s_cbranch_execz .LBB182_465
; %bb.464:                              ;   in Loop: Header=BB182_457 Depth=2
	v_mul_u64_e32 v[2:3], s[54:55], v[0:1]
	s_delay_alu instid0(VALU_DEP_1)
	v_lshl_add_u64 v[2:3], v[2:3], 4, v[42:43]
	flat_load_b128 v[202:205], v[2:3]
	s_wait_loadcnt_dscnt 0x0
	ds_store_2addr_b64 v198, v[202:203], v[204:205] offset1:1
.LBB182_465:                            ;   in Loop: Header=BB182_457 Depth=2
	s_or_b32 exec_lo, exec_lo, s48
	v_add_nc_u32_e32 v0, s0, v20
	v_cmp_ne_u32_e32 vcc_lo, s1, v23
	s_wait_dscnt 0x0
	s_barrier_signal -1
	s_barrier_wait -1
	v_cmp_gt_i32_e64 s0, s60, v0
	v_lshl_add_u64 v[2:3], v[0:1], 4, v[16:17]
	v_cndmask_b32_e64 v202, 0, 1, vcc_lo
	s_and_b32 s22, s0, s2
	s_delay_alu instid0(SALU_CYCLE_1)
	s_and_saveexec_b32 s0, s22
	s_cbranch_execz .LBB182_471
; %bb.466:                              ;   in Loop: Header=BB182_457 Depth=2
	v_mov_b64_e32 v[18:19], v[4:5]
	s_and_not1_b32 vcc_lo, exec_lo, vcc_lo
	s_cbranch_vccnz .LBB182_468
; %bb.467:                              ;   in Loop: Header=BB182_457 Depth=2
	flat_load_b64 v[18:19], v[2:3]
.LBB182_468:                            ;   in Loop: Header=BB182_457 Depth=2
	v_cmp_ne_u32_e32 vcc_lo, 1, v202
	v_mov_b64_e32 v[44:45], v[6:7]
	s_cbranch_vccnz .LBB182_470
; %bb.469:                              ;   in Loop: Header=BB182_457 Depth=2
	flat_load_b64 v[44:45], v[2:3] offset:8
.LBB182_470:                            ;   in Loop: Header=BB182_457 Depth=2
	ds_load_b128 v[204:207], v131
	s_wait_loadcnt_dscnt 0x0
	v_mul_f64_e32 v[208:209], v[44:45], v[206:207]
	s_delay_alu instid0(VALU_DEP_1) | instskip(SKIP_1) | instid1(VALU_DEP_2)
	v_fma_f64 v[208:209], v[18:19], v[204:205], -v[208:209]
	v_mul_f64_e32 v[18:19], v[18:19], v[206:207]
	v_add_f64_e32 v[12:13], v[12:13], v[208:209]
	s_delay_alu instid0(VALU_DEP_2) | instskip(NEXT) | instid1(VALU_DEP_1)
	v_fmac_f64_e32 v[18:19], v[44:45], v[204:205]
	v_add_f64_e32 v[14:15], v[14:15], v[18:19]
.LBB182_471:                            ;   in Loop: Header=BB182_457 Depth=2
	s_or_b32 exec_lo, exec_lo, s0
	v_add_nc_u32_e32 v0, 16, v0
	s_delay_alu instid0(VALU_DEP_1) | instskip(SKIP_1) | instid1(SALU_CYCLE_1)
	v_cmp_gt_i32_e32 vcc_lo, s60, v0
	s_and_b32 s22, vcc_lo, s2
	s_and_saveexec_b32 s0, s22
	s_cbranch_execz .LBB182_456
; %bb.472:                              ;   in Loop: Header=BB182_457 Depth=2
	v_cmp_ne_u32_e32 vcc_lo, 1, v202
	v_mov_b64_e32 v[18:19], v[8:9]
	s_cbranch_vccnz .LBB182_474
; %bb.473:                              ;   in Loop: Header=BB182_457 Depth=2
	flat_load_b64 v[18:19], v[2:3] offset:256
.LBB182_474:                            ;   in Loop: Header=BB182_457 Depth=2
	v_cmp_ne_u32_e32 vcc_lo, 1, v202
	v_mov_b64_e32 v[44:45], v[10:11]
	s_cbranch_vccnz .LBB182_455
; %bb.475:                              ;   in Loop: Header=BB182_457 Depth=2
	flat_load_b64 v[44:45], v[2:3] offset:264
	s_branch .LBB182_455
.LBB182_476:                            ;   in Loop: Header=BB182_3 Depth=1
	ds_store_b128 v199, v[12:15]
	s_wait_dscnt 0x0
	s_barrier_signal -1
	s_barrier_wait -1
	s_and_saveexec_b32 s0, s5
	s_cbranch_execz .LBB182_478
; %bb.477:                              ;   in Loop: Header=BB182_3 Depth=1
	ds_load_b128 v[16:19], v200 offset:512
	s_wait_dscnt 0x0
	v_add_f64_e32 v[2:3], v[12:13], v[16:17]
	v_add_f64_e32 v[16:17], v[14:15], v[18:19]
	ds_load_b128 v[12:15], v200 offset:1024
	s_wait_dscnt 0x0
	v_add_f64_e32 v[2:3], v[2:3], v[12:13]
	v_add_f64_e32 v[16:17], v[16:17], v[14:15]
	;; [unrolled: 4-line block ×15, first 2 shown]
	s_delay_alu instid0(VALU_DEP_2) | instskip(NEXT) | instid1(VALU_DEP_2)
	v_xor_b32_e32 v0, 0x80000000, v3
	v_xor_b32_e32 v3, 0x80000000, v15
	s_delay_alu instid0(VALU_DEP_4) | instskip(NEXT) | instid1(VALU_DEP_4)
	v_cndmask_b32_e64 v12, v2, 0, s101
	v_cndmask_b32_e64 v14, v14, 0, s101
	s_delay_alu instid0(VALU_DEP_4) | instskip(NEXT) | instid1(VALU_DEP_4)
	v_cndmask_b32_e64 v13, v0, 0, s101
	v_cndmask_b32_e64 v15, v3, 0, s101
.LBB182_478:                            ;   in Loop: Header=BB182_3 Depth=1
	s_or_b32 exec_lo, exec_lo, s0
	s_delay_alu instid0(SALU_CYCLE_1)
	s_and_not1_b32 vcc_lo, exec_lo, s64
	s_cbranch_vccnz .LBB182_487
; %bb.479:                              ;   in Loop: Header=BB182_3 Depth=1
	s_and_saveexec_b32 s0, s5
; %bb.480:                              ;   in Loop: Header=BB182_3 Depth=1
	ds_store_b128 v201, v[12:15]
; %bb.481:                              ;   in Loop: Header=BB182_3 Depth=1
	s_or_b32 exec_lo, exec_lo, s0
	v_mov_b64_e32 v[16:17], 0
	v_mov_b64_e32 v[18:19], 0
	s_wait_dscnt 0x0
	s_barrier_signal -1
	s_barrier_wait -1
	s_and_saveexec_b32 s0, s16
	s_cbranch_execz .LBB182_483
; %bb.482:                              ;   in Loop: Header=BB182_3 Depth=1
	ds_load_b128 v[16:19], v131
	ds_load_b128 v[202:205], v136
	s_wait_dscnt 0x0
	v_mul_f64_e32 v[2:3], v[18:19], v[204:205]
	v_mul_f64_e32 v[44:45], v[16:17], v[204:205]
	s_delay_alu instid0(VALU_DEP_2) | instskip(NEXT) | instid1(VALU_DEP_2)
	v_fma_f64 v[2:3], v[16:17], v[202:203], -v[2:3]
	v_fmac_f64_e32 v[44:45], v[18:19], v[202:203]
	s_delay_alu instid0(VALU_DEP_2) | instskip(NEXT) | instid1(VALU_DEP_2)
	v_add_f64_e32 v[16:17], 0, v[2:3]
	v_add_f64_e32 v[18:19], 0, v[44:45]
.LBB182_483:                            ;   in Loop: Header=BB182_3 Depth=1
	s_or_b32 exec_lo, exec_lo, s0
	s_and_saveexec_b32 s0, s17
	s_cbranch_execz .LBB182_485
; %bb.484:                              ;   in Loop: Header=BB182_3 Depth=1
	ds_load_b128 v[202:205], v131 offset:256
	ds_load_b128 v[206:209], v136 offset:8192
	s_wait_dscnt 0x0
	v_mul_f64_e32 v[2:3], v[204:205], v[208:209]
	v_mul_f64_e32 v[44:45], v[202:203], v[208:209]
	s_delay_alu instid0(VALU_DEP_2) | instskip(NEXT) | instid1(VALU_DEP_2)
	v_fma_f64 v[2:3], v[202:203], v[206:207], -v[2:3]
	v_fmac_f64_e32 v[44:45], v[204:205], v[206:207]
	s_delay_alu instid0(VALU_DEP_2) | instskip(NEXT) | instid1(VALU_DEP_2)
	v_add_f64_e32 v[16:17], v[16:17], v[2:3]
	v_add_f64_e32 v[18:19], v[18:19], v[44:45]
.LBB182_485:                            ;   in Loop: Header=BB182_3 Depth=1
	s_or_b32 exec_lo, exec_lo, s0
	s_mov_b32 s1, 0
	s_mov_b32 s0, 0
	ds_store_b128 v199, v[16:19]
	s_wait_dscnt 0x0
	s_barrier_signal -1
	s_barrier_wait -1
                                        ; implicit-def: $vgpr2_vgpr3
                                        ; implicit-def: $vgpr44_vgpr45
	s_and_saveexec_b32 s48, s5
	s_cbranch_execz .LBB182_517
; %bb.486:                              ;   in Loop: Header=BB182_3 Depth=1
	ds_load_b128 v[202:205], v200 offset:512
	s_mov_b32 s0, exec_lo
	s_wait_dscnt 0x0
	v_add_f64_e32 v[2:3], v[16:17], v[202:203]
	v_add_f64_e32 v[44:45], v[18:19], v[204:205]
	ds_load_b128 v[16:19], v200 offset:1024
	s_wait_dscnt 0x0
	v_add_f64_e32 v[2:3], v[2:3], v[16:17]
	v_add_f64_e32 v[44:45], v[44:45], v[18:19]
	ds_load_b128 v[16:19], v200 offset:1536
	;; [unrolled: 4-line block ×14, first 2 shown]
	s_wait_dscnt 0x0
	v_add_f64_e32 v[44:45], v[2:3], v[16:17]
	v_add_f64_e32 v[2:3], v[202:203], v[18:19]
	s_or_b32 exec_lo, exec_lo, s48
	s_delay_alu instid0(SALU_CYCLE_1)
	s_and_b32 vcc_lo, exec_lo, s1
	s_cbranch_vccnz .LBB182_488
	s_branch .LBB182_518
.LBB182_487:                            ;   in Loop: Header=BB182_3 Depth=1
	s_mov_b32 s0, 0
                                        ; implicit-def: $vgpr2_vgpr3
                                        ; implicit-def: $vgpr44_vgpr45
	s_cbranch_execz .LBB182_518
.LBB182_488:                            ;   in Loop: Header=BB182_3 Depth=1
	v_dual_mov_b32 v0, v22 :: v_dual_mov_b32 v2, v49
	s_mov_b32 s1, 0
	s_branch .LBB182_490
.LBB182_489:                            ;   in Loop: Header=BB182_490 Depth=2
	s_or_b32 exec_lo, exec_lo, s48
	v_add_nc_u32_e32 v2, 0x400, v2
	v_add_nc_u32_e32 v0, -2, v0
	s_add_co_i32 s1, s1, 2
	s_delay_alu instid0(SALU_CYCLE_1)
	s_cmp_lg_u32 s1, 32
	s_barrier_signal -1
	s_barrier_wait -1
	s_cbranch_scc0 .LBB182_498
.LBB182_490:                            ;   Parent Loop BB182_3 Depth=1
                                        ; =>  This Inner Loop Header: Depth=2
	s_delay_alu instid0(VALU_DEP_1) | instskip(SKIP_1) | instid1(SALU_CYCLE_1)
	v_cmp_eq_u32_e32 vcc_lo, 0, v0
	s_and_b32 s22, s5, vcc_lo
	s_and_saveexec_b32 s48, s22
; %bb.491:                              ;   in Loop: Header=BB182_490 Depth=2
	ds_store_b128 v1, v[12:15] offset:25088
; %bb.492:                              ;   in Loop: Header=BB182_490 Depth=2
	s_or_b32 exec_lo, exec_lo, s48
	v_cmp_lt_u32_e32 vcc_lo, s1, v22
	s_wait_dscnt 0x0
	s_barrier_signal -1
	s_barrier_wait -1
	s_and_b32 s22, s5, vcc_lo
	s_delay_alu instid0(SALU_CYCLE_1)
	s_and_saveexec_b32 s48, s22
	s_cbranch_execz .LBB182_494
; %bb.493:                              ;   in Loop: Header=BB182_490 Depth=2
	ds_load_b128 v[16:19], v1 offset:25088
	ds_load_b128 v[202:205], v2
	s_wait_dscnt 0x0
	v_mul_f64_e32 v[44:45], v[18:19], v[204:205]
	s_delay_alu instid0(VALU_DEP_1) | instskip(SKIP_1) | instid1(VALU_DEP_2)
	v_fma_f64 v[44:45], v[16:17], v[202:203], -v[44:45]
	v_mul_f64_e32 v[16:17], v[16:17], v[204:205]
	v_add_f64_e32 v[12:13], v[12:13], v[44:45]
	s_delay_alu instid0(VALU_DEP_2) | instskip(NEXT) | instid1(VALU_DEP_1)
	v_fmac_f64_e32 v[16:17], v[18:19], v[202:203]
	v_add_f64_e32 v[14:15], v[14:15], v[16:17]
.LBB182_494:                            ;   in Loop: Header=BB182_490 Depth=2
	s_or_b32 exec_lo, exec_lo, s48
	s_or_b32 s48, s1, 1
	s_delay_alu instid0(SALU_CYCLE_1) | instskip(SKIP_3) | instid1(SALU_CYCLE_1)
	v_cmp_eq_u32_e32 vcc_lo, s48, v22
	s_barrier_signal -1
	s_barrier_wait -1
	s_and_b32 s22, s5, vcc_lo
	s_and_saveexec_b32 s50, s22
; %bb.495:                              ;   in Loop: Header=BB182_490 Depth=2
	ds_store_b128 v1, v[12:15] offset:25088
; %bb.496:                              ;   in Loop: Header=BB182_490 Depth=2
	s_or_b32 exec_lo, exec_lo, s50
	v_cmp_lt_u32_e32 vcc_lo, s48, v22
	s_wait_dscnt 0x0
	s_barrier_signal -1
	s_barrier_wait -1
	s_and_b32 s22, s5, vcc_lo
	s_delay_alu instid0(SALU_CYCLE_1)
	s_and_saveexec_b32 s48, s22
	s_cbranch_execz .LBB182_489
; %bb.497:                              ;   in Loop: Header=BB182_490 Depth=2
	ds_load_b128 v[16:19], v1 offset:25088
	ds_load_b128 v[202:205], v2 offset:512
	s_wait_dscnt 0x0
	v_mul_f64_e32 v[44:45], v[18:19], v[204:205]
	s_delay_alu instid0(VALU_DEP_1) | instskip(SKIP_1) | instid1(VALU_DEP_2)
	v_fma_f64 v[44:45], v[16:17], v[202:203], -v[44:45]
	v_mul_f64_e32 v[16:17], v[16:17], v[204:205]
	v_add_f64_e32 v[12:13], v[12:13], v[44:45]
	s_delay_alu instid0(VALU_DEP_2) | instskip(NEXT) | instid1(VALU_DEP_1)
	v_fmac_f64_e32 v[16:17], v[18:19], v[202:203]
	v_add_f64_e32 v[14:15], v[14:15], v[16:17]
	s_branch .LBB182_489
.LBB182_498:                            ;   in Loop: Header=BB182_3 Depth=1
	s_and_b32 vcc_lo, exec_lo, s63
	s_mov_b32 s1, -1
	s_cbranch_vccz .LBB182_500
; %bb.499:                              ;   in Loop: Header=BB182_3 Depth=1
	s_and_not1_b32 s0, s0, exec_lo
	s_and_b32 s22, s5, exec_lo
	s_mov_b32 s1, 0
	s_or_b32 s0, s0, s22
.LBB182_500:                            ;   in Loop: Header=BB182_3 Depth=1
	s_and_not1_b32 vcc_lo, exec_lo, s1
	s_cbranch_vccnz .LBB182_502
; %bb.501:                              ;   in Loop: Header=BB182_3 Depth=1
	v_readlane_b32 s1, v210, 17
	s_and_not1_b32 s0, s0, exec_lo
	s_and_b32 s1, s1, exec_lo
	s_delay_alu instid0(SALU_CYCLE_1)
	s_or_b32 s0, s0, s1
.LBB182_502:                            ;   in Loop: Header=BB182_3 Depth=1
	v_mov_b64_e32 v[2:3], v[32:33]
	s_and_saveexec_b32 s1, s0
	s_cbranch_execnz .LBB182_519
	s_branch .LBB182_520
.LBB182_503:                            ;   in Loop: Header=BB182_3 Depth=1
	s_and_saveexec_b32 s1, s30
; %bb.504:                              ;   in Loop: Header=BB182_3 Depth=1
	v_dual_mov_b32 v0, v1 :: v_dual_mov_b32 v2, v1
	v_mov_b32_e32 v3, v1
	ds_store_b128 v25, v[0:3]
; %bb.505:                              ;   in Loop: Header=BB182_3 Depth=1
	s_or_b32 exec_lo, exec_lo, s1
	s_and_not1_saveexec_b32 s0, s0
	s_cbranch_execz .LBB182_12
.LBB182_506:                            ;   in Loop: Header=BB182_3 Depth=1
	v_lshl_add_u64 v[2:3], v[40:41], 4, v[12:13]
	flat_load_b128 v[42:45], v[2:3]
	s_wait_loadcnt_dscnt 0x0
	v_xor_b32_e32 v43, 0x80000000, v43
	v_xor_b32_e32 v45, 0x80000000, v45
	ds_store_b128 v25, v[42:45]
	s_or_b32 exec_lo, exec_lo, s0
	s_and_saveexec_b32 s0, s17
	s_delay_alu instid0(SALU_CYCLE_1)
	s_xor_b32 s0, exec_lo, s0
	s_cbranch_execz .LBB182_13
.LBB182_507:                            ;   in Loop: Header=BB182_3 Depth=1
	s_and_saveexec_b32 s1, s31
; %bb.508:                              ;   in Loop: Header=BB182_3 Depth=1
	v_dual_mov_b32 v0, v1 :: v_dual_mov_b32 v2, v1
	v_mov_b32_e32 v3, v1
	ds_store_b128 v137, v[0:3]
; %bb.509:                              ;   in Loop: Header=BB182_3 Depth=1
	s_or_b32 exec_lo, exec_lo, s1
	s_and_not1_saveexec_b32 s0, s0
	s_cbranch_execnz .LBB182_14
	s_branch .LBB182_15
.LBB182_510:                            ;   in Loop: Header=BB182_3 Depth=1
	s_and_saveexec_b32 s1, s30
; %bb.511:                              ;   in Loop: Header=BB182_3 Depth=1
	v_dual_mov_b32 v0, v1 :: v_dual_mov_b32 v2, v1
	v_mov_b32_e32 v3, v1
	ds_store_b128 v130, v[0:3]
; %bb.512:                              ;   in Loop: Header=BB182_3 Depth=1
	s_or_b32 exec_lo, exec_lo, s1
	s_and_not1_saveexec_b32 s0, s0
	s_cbranch_execz .LBB182_19
.LBB182_513:                            ;   in Loop: Header=BB182_3 Depth=1
	v_lshl_add_u64 v[2:3], v[40:41], 4, v[12:13]
	flat_load_b128 v[42:45], v[2:3]
	s_wait_loadcnt_dscnt 0x0
	v_xor_b32_e32 v43, 0x80000000, v43
	v_xor_b32_e32 v45, 0x80000000, v45
	ds_store_b128 v130, v[42:45]
	s_or_b32 exec_lo, exec_lo, s0
	s_and_saveexec_b32 s0, s24
	s_delay_alu instid0(SALU_CYCLE_1)
	s_xor_b32 s0, exec_lo, s0
	s_cbranch_execz .LBB182_20
.LBB182_514:                            ;   in Loop: Header=BB182_3 Depth=1
	s_and_saveexec_b32 s1, s31
; %bb.515:                              ;   in Loop: Header=BB182_3 Depth=1
	v_dual_mov_b32 v0, v1 :: v_dual_mov_b32 v2, v1
	v_mov_b32_e32 v3, v1
	ds_store_b128 v137, v[0:3]
; %bb.516:                              ;   in Loop: Header=BB182_3 Depth=1
	s_or_b32 exec_lo, exec_lo, s1
                                        ; implicit-def: $vgpr12_vgpr13
	s_and_not1_saveexec_b32 s0, s0
	s_cbranch_execnz .LBB182_21
	s_branch .LBB182_22
.LBB182_517:                            ;   in Loop: Header=BB182_3 Depth=1
	s_or_b32 exec_lo, exec_lo, s48
	s_delay_alu instid0(SALU_CYCLE_1)
	s_and_b32 vcc_lo, exec_lo, s1
	s_cbranch_vccnz .LBB182_488
.LBB182_518:                            ;   in Loop: Header=BB182_3 Depth=1
	s_delay_alu instid0(VALU_DEP_1) | instskip(NEXT) | instid1(VALU_DEP_3)
	v_mov_b64_e32 v[14:15], v[2:3]
	v_mov_b64_e32 v[12:13], v[44:45]
	;; [unrolled: 1-line block ×3, first 2 shown]
	s_and_saveexec_b32 s1, s0
	s_cbranch_execz .LBB182_520
.LBB182_519:                            ;   in Loop: Header=BB182_3 Depth=1
	s_delay_alu instid0(VALU_DEP_1)
	v_lshl_add_u64 v[2:3], v[2:3], 4, v[42:43]
	flat_store_b128 v[2:3], v[12:15]
.LBB182_520:                            ;   in Loop: Header=BB182_3 Depth=1
	s_wait_xcnt 0x0
	s_or_b32 exec_lo, exec_lo, s1
	global_wb scope:SCOPE_DEV
	s_wait_storecnt_dscnt 0x0
	global_inv scope:SCOPE_DEV
	s_wait_loadcnt 0x0
	s_barrier_signal -1
	s_barrier_wait -1
	s_and_saveexec_b32 s0, s33
	s_cbranch_execz .LBB182_2
; %bb.521:                              ;   in Loop: Header=BB182_3 Depth=1
	s_lshl_b64 s[50:51], s[52:53], 2
	s_delay_alu instid0(SALU_CYCLE_1)
	s_add_nc_u64 s[50:51], s[56:57], s[50:51]
	global_load_b32 v0, v1, s[50:51]
	s_wait_loadcnt 0x0
	v_add_nc_u32_e32 v0, 1, v0
	global_store_b32 v1, v0, s[50:51]
	s_branch .LBB182_2
.LBB182_522:                            ;   in Loop: Header=BB182_3 Depth=1
	ds_load_b128 v[42:45], v56 offset:16336
	ds_load_b128 v[202:205], v55 offset:15232
	s_wait_dscnt 0x0
	v_mul_f64_e32 v[2:3], v[44:45], v[204:205]
	s_delay_alu instid0(VALU_DEP_1) | instskip(SKIP_1) | instid1(VALU_DEP_2)
	v_fma_f64 v[2:3], v[42:43], v[202:203], -v[2:3]
	v_mul_f64_e32 v[42:43], v[42:43], v[204:205]
	v_add_f64_e32 v[12:13], v[12:13], v[2:3]
	s_delay_alu instid0(VALU_DEP_2) | instskip(NEXT) | instid1(VALU_DEP_1)
	v_fmac_f64_e32 v[42:43], v[44:45], v[202:203]
	v_add_f64_e32 v[14:15], v[14:15], v[42:43]
	s_or_b32 exec_lo, exec_lo, s1
	s_and_saveexec_b32 s1, s8
	s_cbranch_execz .LBB182_45
.LBB182_523:                            ;   in Loop: Header=BB182_3 Depth=1
	ds_load_b128 v[42:45], v56 offset:16352
	ds_load_b128 v[202:205], v55 offset:15744
	s_wait_dscnt 0x0
	v_mul_f64_e32 v[2:3], v[44:45], v[204:205]
	s_delay_alu instid0(VALU_DEP_1) | instskip(SKIP_1) | instid1(VALU_DEP_2)
	v_fma_f64 v[2:3], v[42:43], v[202:203], -v[2:3]
	v_mul_f64_e32 v[42:43], v[42:43], v[204:205]
	v_add_f64_e32 v[12:13], v[12:13], v[2:3]
	s_delay_alu instid0(VALU_DEP_2) | instskip(NEXT) | instid1(VALU_DEP_1)
	v_fmac_f64_e32 v[42:43], v[44:45], v[202:203]
	v_add_f64_e32 v[14:15], v[14:15], v[42:43]
	s_or_b32 exec_lo, exec_lo, s1
	s_and_saveexec_b32 s1, s3
	s_cbranch_execnz .LBB182_46
	s_branch .LBB182_47
.LBB182_524:                            ;   in Loop: Header=BB182_3 Depth=1
	ds_load_b128 v[42:45], v60 offset:16336
	ds_load_b128 v[202:205], v59 offset:15104
	s_wait_dscnt 0x0
	v_mul_f64_e32 v[2:3], v[44:45], v[204:205]
	s_delay_alu instid0(VALU_DEP_1) | instskip(SKIP_1) | instid1(VALU_DEP_2)
	v_fma_f64 v[2:3], v[42:43], v[202:203], -v[2:3]
	v_mul_f64_e32 v[42:43], v[42:43], v[204:205]
	v_add_f64_e32 v[12:13], v[12:13], v[2:3]
	s_delay_alu instid0(VALU_DEP_2) | instskip(NEXT) | instid1(VALU_DEP_1)
	v_fmac_f64_e32 v[42:43], v[44:45], v[202:203]
	v_add_f64_e32 v[14:15], v[14:15], v[42:43]
	s_or_b32 exec_lo, exec_lo, s1
	s_and_saveexec_b32 s1, s6
	s_cbranch_execz .LBB182_95
.LBB182_525:                            ;   in Loop: Header=BB182_3 Depth=1
	ds_load_b128 v[42:45], v60 offset:16352
	ds_load_b128 v[202:205], v59 offset:15616
	s_wait_dscnt 0x0
	v_mul_f64_e32 v[2:3], v[44:45], v[204:205]
	s_delay_alu instid0(VALU_DEP_1) | instskip(SKIP_1) | instid1(VALU_DEP_2)
	v_fma_f64 v[2:3], v[42:43], v[202:203], -v[2:3]
	v_mul_f64_e32 v[42:43], v[42:43], v[204:205]
	v_add_f64_e32 v[12:13], v[12:13], v[2:3]
	s_delay_alu instid0(VALU_DEP_2) | instskip(NEXT) | instid1(VALU_DEP_1)
	v_fmac_f64_e32 v[42:43], v[44:45], v[202:203]
	v_add_f64_e32 v[14:15], v[14:15], v[42:43]
	s_or_b32 exec_lo, exec_lo, s1
	s_and_saveexec_b32 s1, s8
	s_cbranch_execnz .LBB182_96
	s_branch .LBB182_97
.LBB182_526:                            ;   in Loop: Header=BB182_3 Depth=1
	ds_load_b128 v[42:45], v56 offset:12112
	ds_load_b128 v[202:205], v55 offset:11008
	s_wait_dscnt 0x0
	v_mul_f64_e32 v[2:3], v[44:45], v[204:205]
	s_delay_alu instid0(VALU_DEP_1) | instskip(SKIP_1) | instid1(VALU_DEP_2)
	v_fma_f64 v[2:3], v[42:43], v[202:203], -v[2:3]
	v_mul_f64_e32 v[42:43], v[42:43], v[204:205]
	v_add_f64_e32 v[12:13], v[12:13], v[2:3]
	s_delay_alu instid0(VALU_DEP_2) | instskip(NEXT) | instid1(VALU_DEP_1)
	v_fmac_f64_e32 v[42:43], v[44:45], v[202:203]
	v_add_f64_e32 v[14:15], v[14:15], v[42:43]
	s_or_b32 exec_lo, exec_lo, s1
	s_and_saveexec_b32 s1, s8
	s_cbranch_execz .LBB182_153
.LBB182_527:                            ;   in Loop: Header=BB182_3 Depth=1
	ds_load_b128 v[42:45], v56 offset:12128
	ds_load_b128 v[202:205], v55 offset:11520
	s_wait_dscnt 0x0
	v_mul_f64_e32 v[2:3], v[44:45], v[204:205]
	s_delay_alu instid0(VALU_DEP_1) | instskip(SKIP_1) | instid1(VALU_DEP_2)
	v_fma_f64 v[2:3], v[42:43], v[202:203], -v[2:3]
	v_mul_f64_e32 v[42:43], v[42:43], v[204:205]
	v_add_f64_e32 v[12:13], v[12:13], v[2:3]
	s_delay_alu instid0(VALU_DEP_2) | instskip(NEXT) | instid1(VALU_DEP_1)
	v_fmac_f64_e32 v[42:43], v[44:45], v[202:203]
	v_add_f64_e32 v[14:15], v[14:15], v[42:43]
	s_or_b32 exec_lo, exec_lo, s1
	s_and_saveexec_b32 s1, s3
	s_cbranch_execnz .LBB182_154
	s_branch .LBB182_155
.LBB182_528:                            ;   in Loop: Header=BB182_3 Depth=1
	ds_load_b128 v[42:45], v72 offset:16240
	ds_load_b128 v[202:205], v71 offset:11776
	s_wait_dscnt 0x0
	v_mul_f64_e32 v[2:3], v[44:45], v[204:205]
	s_delay_alu instid0(VALU_DEP_1) | instskip(SKIP_1) | instid1(VALU_DEP_2)
	v_fma_f64 v[2:3], v[42:43], v[202:203], -v[2:3]
	v_mul_f64_e32 v[42:43], v[42:43], v[204:205]
	v_add_f64_e32 v[12:13], v[12:13], v[2:3]
	s_delay_alu instid0(VALU_DEP_2) | instskip(NEXT) | instid1(VALU_DEP_1)
	v_fmac_f64_e32 v[42:43], v[44:45], v[202:203]
	v_add_f64_e32 v[14:15], v[14:15], v[42:43]
	s_or_b32 exec_lo, exec_lo, s1
	s_and_saveexec_b32 s1, s25
	s_cbranch_execz .LBB182_207
.LBB182_529:                            ;   in Loop: Header=BB182_3 Depth=1
	ds_load_b128 v[42:45], v72 offset:16256
	ds_load_b128 v[202:205], v71 offset:12288
	s_wait_dscnt 0x0
	v_mul_f64_e32 v[2:3], v[44:45], v[204:205]
	s_delay_alu instid0(VALU_DEP_1) | instskip(SKIP_1) | instid1(VALU_DEP_2)
	v_fma_f64 v[2:3], v[42:43], v[202:203], -v[2:3]
	v_mul_f64_e32 v[42:43], v[42:43], v[204:205]
	v_add_f64_e32 v[12:13], v[12:13], v[2:3]
	s_delay_alu instid0(VALU_DEP_2) | instskip(NEXT) | instid1(VALU_DEP_1)
	v_fmac_f64_e32 v[42:43], v[44:45], v[202:203]
	v_add_f64_e32 v[14:15], v[14:15], v[42:43]
	s_or_b32 exec_lo, exec_lo, s1
	s_and_saveexec_b32 s1, s26
	s_cbranch_execz .LBB182_208
.LBB182_530:                            ;   in Loop: Header=BB182_3 Depth=1
	ds_load_b128 v[42:45], v72 offset:16272
	ds_load_b128 v[202:205], v71 offset:12800
	s_wait_dscnt 0x0
	v_mul_f64_e32 v[2:3], v[44:45], v[204:205]
	s_delay_alu instid0(VALU_DEP_1) | instskip(SKIP_1) | instid1(VALU_DEP_2)
	v_fma_f64 v[2:3], v[42:43], v[202:203], -v[2:3]
	v_mul_f64_e32 v[42:43], v[42:43], v[204:205]
	v_add_f64_e32 v[12:13], v[12:13], v[2:3]
	s_delay_alu instid0(VALU_DEP_2) | instskip(NEXT) | instid1(VALU_DEP_1)
	v_fmac_f64_e32 v[42:43], v[44:45], v[202:203]
	v_add_f64_e32 v[14:15], v[14:15], v[42:43]
	s_or_b32 exec_lo, exec_lo, s1
	s_and_saveexec_b32 s1, s27
	s_cbranch_execz .LBB182_209
.LBB182_531:                            ;   in Loop: Header=BB182_3 Depth=1
	ds_load_b128 v[42:45], v72 offset:16288
	ds_load_b128 v[202:205], v71 offset:13312
	s_wait_dscnt 0x0
	v_mul_f64_e32 v[2:3], v[44:45], v[204:205]
	s_delay_alu instid0(VALU_DEP_1) | instskip(SKIP_1) | instid1(VALU_DEP_2)
	v_fma_f64 v[2:3], v[42:43], v[202:203], -v[2:3]
	v_mul_f64_e32 v[42:43], v[42:43], v[204:205]
	v_add_f64_e32 v[12:13], v[12:13], v[2:3]
	s_delay_alu instid0(VALU_DEP_2) | instskip(NEXT) | instid1(VALU_DEP_1)
	v_fmac_f64_e32 v[42:43], v[44:45], v[202:203]
	v_add_f64_e32 v[14:15], v[14:15], v[42:43]
	s_or_b32 exec_lo, exec_lo, s1
	s_and_saveexec_b32 s1, s18
	s_cbranch_execz .LBB182_210
.LBB182_532:                            ;   in Loop: Header=BB182_3 Depth=1
	ds_load_b128 v[42:45], v72 offset:16304
	ds_load_b128 v[202:205], v71 offset:13824
	s_wait_dscnt 0x0
	v_mul_f64_e32 v[2:3], v[44:45], v[204:205]
	s_delay_alu instid0(VALU_DEP_1) | instskip(SKIP_1) | instid1(VALU_DEP_2)
	v_fma_f64 v[2:3], v[42:43], v[202:203], -v[2:3]
	v_mul_f64_e32 v[42:43], v[42:43], v[204:205]
	v_add_f64_e32 v[12:13], v[12:13], v[2:3]
	s_delay_alu instid0(VALU_DEP_2) | instskip(NEXT) | instid1(VALU_DEP_1)
	v_fmac_f64_e32 v[42:43], v[44:45], v[202:203]
	v_add_f64_e32 v[14:15], v[14:15], v[42:43]
	s_or_b32 exec_lo, exec_lo, s1
	s_and_saveexec_b32 s1, s9
	s_cbranch_execz .LBB182_211
.LBB182_533:                            ;   in Loop: Header=BB182_3 Depth=1
	ds_load_b128 v[42:45], v72 offset:16320
	ds_load_b128 v[202:205], v71 offset:14336
	s_wait_dscnt 0x0
	v_mul_f64_e32 v[2:3], v[44:45], v[204:205]
	s_delay_alu instid0(VALU_DEP_1) | instskip(SKIP_1) | instid1(VALU_DEP_2)
	v_fma_f64 v[2:3], v[42:43], v[202:203], -v[2:3]
	v_mul_f64_e32 v[42:43], v[42:43], v[204:205]
	v_add_f64_e32 v[12:13], v[12:13], v[2:3]
	s_delay_alu instid0(VALU_DEP_2) | instskip(NEXT) | instid1(VALU_DEP_1)
	v_fmac_f64_e32 v[42:43], v[44:45], v[202:203]
	v_add_f64_e32 v[14:15], v[14:15], v[42:43]
	s_or_b32 exec_lo, exec_lo, s1
	s_and_saveexec_b32 s1, s11
	s_cbranch_execz .LBB182_212
.LBB182_534:                            ;   in Loop: Header=BB182_3 Depth=1
	ds_load_b128 v[42:45], v72 offset:16336
	ds_load_b128 v[202:205], v71 offset:14848
	s_wait_dscnt 0x0
	v_mul_f64_e32 v[2:3], v[44:45], v[204:205]
	s_delay_alu instid0(VALU_DEP_1) | instskip(SKIP_1) | instid1(VALU_DEP_2)
	v_fma_f64 v[2:3], v[42:43], v[202:203], -v[2:3]
	v_mul_f64_e32 v[42:43], v[42:43], v[204:205]
	v_add_f64_e32 v[12:13], v[12:13], v[2:3]
	s_delay_alu instid0(VALU_DEP_2) | instskip(NEXT) | instid1(VALU_DEP_1)
	v_fmac_f64_e32 v[42:43], v[44:45], v[202:203]
	v_add_f64_e32 v[14:15], v[14:15], v[42:43]
	s_or_b32 exec_lo, exec_lo, s1
	s_and_saveexec_b32 s1, s13
	s_cbranch_execz .LBB182_213
.LBB182_535:                            ;   in Loop: Header=BB182_3 Depth=1
	ds_load_b128 v[42:45], v72 offset:16352
	ds_load_b128 v[202:205], v71 offset:15360
	s_wait_dscnt 0x0
	v_mul_f64_e32 v[2:3], v[44:45], v[204:205]
	s_delay_alu instid0(VALU_DEP_1) | instskip(SKIP_1) | instid1(VALU_DEP_2)
	v_fma_f64 v[2:3], v[42:43], v[202:203], -v[2:3]
	v_mul_f64_e32 v[42:43], v[42:43], v[204:205]
	v_add_f64_e32 v[12:13], v[12:13], v[2:3]
	s_delay_alu instid0(VALU_DEP_2) | instskip(NEXT) | instid1(VALU_DEP_1)
	v_fmac_f64_e32 v[42:43], v[44:45], v[202:203]
	v_add_f64_e32 v[14:15], v[14:15], v[42:43]
	s_or_b32 exec_lo, exec_lo, s1
	s_and_saveexec_b32 s1, s6
	s_cbranch_execnz .LBB182_214
	s_branch .LBB182_215
.LBB182_536:                            ;   in Loop: Header=BB182_3 Depth=1
	ds_load_b128 v[42:45], v56 offset:7888
	ds_load_b128 v[202:205], v55 offset:6784
	s_wait_dscnt 0x0
	v_mul_f64_e32 v[2:3], v[44:45], v[204:205]
	s_delay_alu instid0(VALU_DEP_1) | instskip(SKIP_1) | instid1(VALU_DEP_2)
	v_fma_f64 v[2:3], v[42:43], v[202:203], -v[2:3]
	v_mul_f64_e32 v[42:43], v[42:43], v[204:205]
	v_add_f64_e32 v[12:13], v[12:13], v[2:3]
	s_delay_alu instid0(VALU_DEP_2) | instskip(NEXT) | instid1(VALU_DEP_1)
	v_fmac_f64_e32 v[42:43], v[44:45], v[202:203]
	v_add_f64_e32 v[14:15], v[14:15], v[42:43]
	s_or_b32 exec_lo, exec_lo, s1
	s_and_saveexec_b32 s1, s8
	s_cbranch_execz .LBB182_303
.LBB182_537:                            ;   in Loop: Header=BB182_3 Depth=1
	ds_load_b128 v[42:45], v56 offset:7904
	ds_load_b128 v[202:205], v55 offset:7296
	s_wait_dscnt 0x0
	v_mul_f64_e32 v[2:3], v[44:45], v[204:205]
	s_delay_alu instid0(VALU_DEP_1) | instskip(SKIP_1) | instid1(VALU_DEP_2)
	v_fma_f64 v[2:3], v[42:43], v[202:203], -v[2:3]
	v_mul_f64_e32 v[42:43], v[42:43], v[204:205]
	v_add_f64_e32 v[12:13], v[12:13], v[2:3]
	s_delay_alu instid0(VALU_DEP_2) | instskip(NEXT) | instid1(VALU_DEP_1)
	v_fmac_f64_e32 v[42:43], v[44:45], v[202:203]
	v_add_f64_e32 v[14:15], v[14:15], v[42:43]
	s_or_b32 exec_lo, exec_lo, s1
	s_and_saveexec_b32 s1, s3
	s_cbranch_execnz .LBB182_304
	s_branch .LBB182_305
.LBB182_538:                            ;   in Loop: Header=BB182_3 Depth=1
	ds_load_b128 v[42:45], v60 offset:7888
	ds_load_b128 v[202:205], v59 offset:6656
	s_wait_dscnt 0x0
	v_mul_f64_e32 v[2:3], v[44:45], v[204:205]
	s_delay_alu instid0(VALU_DEP_1) | instskip(SKIP_1) | instid1(VALU_DEP_2)
	v_fma_f64 v[2:3], v[42:43], v[202:203], -v[2:3]
	v_mul_f64_e32 v[42:43], v[42:43], v[204:205]
	v_add_f64_e32 v[12:13], v[12:13], v[2:3]
	s_delay_alu instid0(VALU_DEP_2) | instskip(NEXT) | instid1(VALU_DEP_1)
	v_fmac_f64_e32 v[42:43], v[44:45], v[202:203]
	v_add_f64_e32 v[14:15], v[14:15], v[42:43]
	s_or_b32 exec_lo, exec_lo, s1
	s_and_saveexec_b32 s1, s6
	s_cbranch_execz .LBB182_353
.LBB182_539:                            ;   in Loop: Header=BB182_3 Depth=1
	ds_load_b128 v[42:45], v60 offset:7904
	ds_load_b128 v[202:205], v59 offset:7168
	s_wait_dscnt 0x0
	v_mul_f64_e32 v[2:3], v[44:45], v[204:205]
	s_delay_alu instid0(VALU_DEP_1) | instskip(SKIP_1) | instid1(VALU_DEP_2)
	v_fma_f64 v[2:3], v[42:43], v[202:203], -v[2:3]
	v_mul_f64_e32 v[42:43], v[42:43], v[204:205]
	v_add_f64_e32 v[12:13], v[12:13], v[2:3]
	s_delay_alu instid0(VALU_DEP_2) | instskip(NEXT) | instid1(VALU_DEP_1)
	v_fmac_f64_e32 v[42:43], v[44:45], v[202:203]
	v_add_f64_e32 v[14:15], v[14:15], v[42:43]
	s_or_b32 exec_lo, exec_lo, s1
	s_and_saveexec_b32 s1, s8
	s_cbranch_execnz .LBB182_354
	s_branch .LBB182_355
.LBB182_540:                            ;   in Loop: Header=BB182_3 Depth=1
	ds_load_b128 v[42:45], v56 offset:3664
	ds_load_b128 v[202:205], v55 offset:2560
	s_wait_dscnt 0x0
	v_mul_f64_e32 v[2:3], v[44:45], v[204:205]
	s_delay_alu instid0(VALU_DEP_1) | instskip(SKIP_1) | instid1(VALU_DEP_2)
	v_fma_f64 v[2:3], v[42:43], v[202:203], -v[2:3]
	v_mul_f64_e32 v[42:43], v[42:43], v[204:205]
	v_add_f64_e32 v[12:13], v[12:13], v[2:3]
	s_delay_alu instid0(VALU_DEP_2) | instskip(NEXT) | instid1(VALU_DEP_1)
	v_fmac_f64_e32 v[42:43], v[44:45], v[202:203]
	v_add_f64_e32 v[14:15], v[14:15], v[42:43]
	s_or_b32 exec_lo, exec_lo, s1
	s_and_saveexec_b32 s1, s8
	s_cbranch_execz .LBB182_411
.LBB182_541:                            ;   in Loop: Header=BB182_3 Depth=1
	ds_load_b128 v[42:45], v56 offset:3680
	ds_load_b128 v[202:205], v55 offset:3072
	s_wait_dscnt 0x0
	v_mul_f64_e32 v[2:3], v[44:45], v[204:205]
	s_delay_alu instid0(VALU_DEP_1) | instskip(SKIP_1) | instid1(VALU_DEP_2)
	v_fma_f64 v[2:3], v[42:43], v[202:203], -v[2:3]
	v_mul_f64_e32 v[42:43], v[42:43], v[204:205]
	v_add_f64_e32 v[12:13], v[12:13], v[2:3]
	s_delay_alu instid0(VALU_DEP_2) | instskip(NEXT) | instid1(VALU_DEP_1)
	v_fmac_f64_e32 v[42:43], v[44:45], v[202:203]
	v_add_f64_e32 v[14:15], v[14:15], v[42:43]
	s_or_b32 exec_lo, exec_lo, s1
	s_and_saveexec_b32 s1, s3
	s_cbranch_execnz .LBB182_412
	s_branch .LBB182_413
.LBB182_542:
	s_endpgm
	.section	.rodata,"a",@progbits
	.p2align	6, 0x0
	.amdhsa_kernel _ZL19rocblas_trsv_deviceILi32ELi16ELb0ELb1ELb0ELb1E19rocblas_complex_numIdES1_PKPKS1_PKPS1_EviT7_lllT6_T8_lllPii
		.amdhsa_group_segment_fixed_size 25104
		.amdhsa_private_segment_fixed_size 0
		.amdhsa_kernarg_size 360
		.amdhsa_user_sgpr_count 2
		.amdhsa_user_sgpr_dispatch_ptr 0
		.amdhsa_user_sgpr_queue_ptr 0
		.amdhsa_user_sgpr_kernarg_segment_ptr 1
		.amdhsa_user_sgpr_dispatch_id 0
		.amdhsa_user_sgpr_kernarg_preload_length 0
		.amdhsa_user_sgpr_kernarg_preload_offset 0
		.amdhsa_user_sgpr_private_segment_size 0
		.amdhsa_wavefront_size32 1
		.amdhsa_uses_dynamic_stack 0
		.amdhsa_enable_private_segment 0
		.amdhsa_system_sgpr_workgroup_id_x 1
		.amdhsa_system_sgpr_workgroup_id_y 0
		.amdhsa_system_sgpr_workgroup_id_z 1
		.amdhsa_system_sgpr_workgroup_info 0
		.amdhsa_system_vgpr_workitem_id 1
		.amdhsa_next_free_vgpr 211
		.amdhsa_next_free_sgpr 105
		.amdhsa_named_barrier_count 0
		.amdhsa_reserve_vcc 1
		.amdhsa_float_round_mode_32 0
		.amdhsa_float_round_mode_16_64 0
		.amdhsa_float_denorm_mode_32 3
		.amdhsa_float_denorm_mode_16_64 3
		.amdhsa_fp16_overflow 0
		.amdhsa_memory_ordered 1
		.amdhsa_forward_progress 1
		.amdhsa_inst_pref_size 186
		.amdhsa_round_robin_scheduling 0
		.amdhsa_exception_fp_ieee_invalid_op 0
		.amdhsa_exception_fp_denorm_src 0
		.amdhsa_exception_fp_ieee_div_zero 0
		.amdhsa_exception_fp_ieee_overflow 0
		.amdhsa_exception_fp_ieee_underflow 0
		.amdhsa_exception_fp_ieee_inexact 0
		.amdhsa_exception_int_div_zero 0
	.end_amdhsa_kernel
	.section	.text._ZL19rocblas_trsv_deviceILi32ELi16ELb0ELb1ELb0ELb1E19rocblas_complex_numIdES1_PKPKS1_PKPS1_EviT7_lllT6_T8_lllPii,"axG",@progbits,_ZL19rocblas_trsv_deviceILi32ELi16ELb0ELb1ELb0ELb1E19rocblas_complex_numIdES1_PKPKS1_PKPS1_EviT7_lllT6_T8_lllPii,comdat
.Lfunc_end182:
	.size	_ZL19rocblas_trsv_deviceILi32ELi16ELb0ELb1ELb0ELb1E19rocblas_complex_numIdES1_PKPKS1_PKPS1_EviT7_lllT6_T8_lllPii, .Lfunc_end182-_ZL19rocblas_trsv_deviceILi32ELi16ELb0ELb1ELb0ELb1E19rocblas_complex_numIdES1_PKPKS1_PKPS1_EviT7_lllT6_T8_lllPii
                                        ; -- End function
	.set _ZL19rocblas_trsv_deviceILi32ELi16ELb0ELb1ELb0ELb1E19rocblas_complex_numIdES1_PKPKS1_PKPS1_EviT7_lllT6_T8_lllPii.num_vgpr, 211
	.set _ZL19rocblas_trsv_deviceILi32ELi16ELb0ELb1ELb0ELb1E19rocblas_complex_numIdES1_PKPKS1_PKPS1_EviT7_lllT6_T8_lllPii.num_agpr, 0
	.set _ZL19rocblas_trsv_deviceILi32ELi16ELb0ELb1ELb0ELb1E19rocblas_complex_numIdES1_PKPKS1_PKPS1_EviT7_lllT6_T8_lllPii.numbered_sgpr, 105
	.set _ZL19rocblas_trsv_deviceILi32ELi16ELb0ELb1ELb0ELb1E19rocblas_complex_numIdES1_PKPKS1_PKPS1_EviT7_lllT6_T8_lllPii.num_named_barrier, 0
	.set _ZL19rocblas_trsv_deviceILi32ELi16ELb0ELb1ELb0ELb1E19rocblas_complex_numIdES1_PKPKS1_PKPS1_EviT7_lllT6_T8_lllPii.private_seg_size, 0
	.set _ZL19rocblas_trsv_deviceILi32ELi16ELb0ELb1ELb0ELb1E19rocblas_complex_numIdES1_PKPKS1_PKPS1_EviT7_lllT6_T8_lllPii.uses_vcc, 1
	.set _ZL19rocblas_trsv_deviceILi32ELi16ELb0ELb1ELb0ELb1E19rocblas_complex_numIdES1_PKPKS1_PKPS1_EviT7_lllT6_T8_lllPii.uses_flat_scratch, 0
	.set _ZL19rocblas_trsv_deviceILi32ELi16ELb0ELb1ELb0ELb1E19rocblas_complex_numIdES1_PKPKS1_PKPS1_EviT7_lllT6_T8_lllPii.has_dyn_sized_stack, 0
	.set _ZL19rocblas_trsv_deviceILi32ELi16ELb0ELb1ELb0ELb1E19rocblas_complex_numIdES1_PKPKS1_PKPS1_EviT7_lllT6_T8_lllPii.has_recursion, 0
	.set _ZL19rocblas_trsv_deviceILi32ELi16ELb0ELb1ELb0ELb1E19rocblas_complex_numIdES1_PKPKS1_PKPS1_EviT7_lllT6_T8_lllPii.has_indirect_call, 0
	.section	.AMDGPU.csdata,"",@progbits
; Kernel info:
; codeLenInByte = 23704
; TotalNumSgprs: 107
; NumVgprs: 211
; ScratchSize: 0
; MemoryBound: 1
; FloatMode: 240
; IeeeMode: 1
; LDSByteSize: 25104 bytes/workgroup (compile time only)
; SGPRBlocks: 0
; VGPRBlocks: 13
; NumSGPRsForWavesPerEU: 107
; NumVGPRsForWavesPerEU: 211
; NamedBarCnt: 0
; Occupancy: 4
; WaveLimiterHint : 1
; COMPUTE_PGM_RSRC2:SCRATCH_EN: 0
; COMPUTE_PGM_RSRC2:USER_SGPR: 2
; COMPUTE_PGM_RSRC2:TRAP_HANDLER: 0
; COMPUTE_PGM_RSRC2:TGID_X_EN: 1
; COMPUTE_PGM_RSRC2:TGID_Y_EN: 0
; COMPUTE_PGM_RSRC2:TGID_Z_EN: 1
; COMPUTE_PGM_RSRC2:TIDIG_COMP_CNT: 1
	.section	.text._ZL19rocblas_trsv_deviceILi32ELi16ELb0ELb1ELb1ELb1E19rocblas_complex_numIdES1_PKPKS1_PKPS1_EviT7_lllT6_T8_lllPii,"axG",@progbits,_ZL19rocblas_trsv_deviceILi32ELi16ELb0ELb1ELb1ELb1E19rocblas_complex_numIdES1_PKPKS1_PKPS1_EviT7_lllT6_T8_lllPii,comdat
	.globl	_ZL19rocblas_trsv_deviceILi32ELi16ELb0ELb1ELb1ELb1E19rocblas_complex_numIdES1_PKPKS1_PKPS1_EviT7_lllT6_T8_lllPii ; -- Begin function _ZL19rocblas_trsv_deviceILi32ELi16ELb0ELb1ELb1ELb1E19rocblas_complex_numIdES1_PKPKS1_PKPS1_EviT7_lllT6_T8_lllPii
	.p2align	8
	.type	_ZL19rocblas_trsv_deviceILi32ELi16ELb0ELb1ELb1ELb1E19rocblas_complex_numIdES1_PKPKS1_PKPS1_EviT7_lllT6_T8_lllPii,@function
_ZL19rocblas_trsv_deviceILi32ELi16ELb0ELb1ELb1ELb1E19rocblas_complex_numIdES1_PKPKS1_PKPS1_EviT7_lllT6_T8_lllPii: ; @_ZL19rocblas_trsv_deviceILi32ELi16ELb0ELb1ELb1ELb1E19rocblas_complex_numIdES1_PKPKS1_PKPS1_EviT7_lllT6_T8_lllPii
; %bb.0:
	s_load_b32 s35, s[0:1], 0x60
	s_bfe_u32 s2, ttmp6, 0x40014
	s_lshr_b32 s3, ttmp7, 16
	s_add_co_i32 s2, s2, 1
	s_bfe_u32 s5, ttmp6, 0x40008
	s_mul_i32 s4, s3, s2
	s_getreg_b32 s2, hwreg(HW_REG_IB_STS2, 6, 4)
	s_add_co_i32 s5, s5, s4
	s_cmp_eq_u32 s2, 0
	s_mov_b32 s53, 0
	s_cselect_b32 s52, s3, s5
	s_wait_kmcnt 0x0
	s_cmp_ge_u32 s52, s35
	s_cbranch_scc1 .LBB183_542
; %bb.1:
	s_clause 0x2
	s_load_b32 s3, s[0:1], 0x74
	s_load_b32 s60, s[0:1], 0x0
	s_load_b64 s[22:23], s[0:1], 0x18
	s_bfe_u32 s5, ttmp6, 0x4000c
	s_and_b32 s4, ttmp6, 15
	s_add_co_i32 s5, s5, 1
	v_and_b32_e32 v22, 0x3ff, v0
	s_mul_i32 s5, ttmp9, s5
	v_mov_b32_e32 v1, 0
	s_add_co_i32 s4, s4, s5
	s_cmp_eq_u32 s2, 0
	v_bfe_u32 v20, v0, 10, 10
	s_cselect_b32 s61, ttmp9, s4
	v_dual_lshlrev_b32 v3, 5, v22 :: v_dual_mov_b32 v25, v1
                                        ; implicit-def: $vgpr210 : SGPR spill to VGPR lane
	s_clause 0x1
	s_load_b64 s[54:55], s[0:1], 0x48
	s_load_b64 s[56:57], s[0:1], 0x58
	v_add_nc_u32_e32 v2, 16, v20
	v_lshl_add_u32 v6, v20, 5, v22
	v_cmp_gt_u32_e64 s7, 2, v22
	s_load_b128 s[44:47], s[0:1], 0x8
	s_wait_kmcnt 0x0
	s_and_b32 s2, s3, 0xffff
	s_add_co_i32 s3, s60, -1
	s_ashr_i32 s4, s60, 31
	s_ashr_i32 s5, s3, 31
	s_lshr_b32 s4, s4, 27
	s_lshr_b32 s5, s5, 27
	s_add_co_i32 s4, s60, s4
	s_add_co_i32 s3, s3, s5
	s_and_not1_b32 s4, s4, 31
	s_ashr_i32 s3, s3, 5
	s_sub_co_i32 s20, s60, s4
	s_cmp_eq_u32 s3, s61
	v_sub_co_u32 v23, s5, s61, 1
	s_cselect_b32 s3, -1, 0
	s_cmp_lg_u32 s20, 0
	v_lshl_add_u32 v9, v2, 5, v22
	s_cselect_b32 s4, -1, 0
	s_lshl_b32 s24, s61, 5
	s_and_b32 s21, s4, s3
	v_dual_add_nc_u32 v7, v20, v3 :: v_dual_add_nc_u32 v8, s24, v20
	s_xor_b32 s62, s5, -1
	s_xor_b32 s63, s21, -1
	s_cmp_lt_i32 s61, 5
	v_dual_add_nc_u32 v4, s24, v22 :: v_dual_add_nc_u32 v3, v2, v3
	s_cselect_b32 vcc_lo, -1, 0
	v_dual_cndmask_b32 v7, v6, v7 :: v_dual_lshrrev_b32 v10, 1, v6
	s_or_b32 vcc_lo, vcc_lo, s21
	s_delay_alu instid0(VALU_DEP_2) | instid1(SALU_CYCLE_1)
	v_dual_cndmask_b32 v9, v9, v3, vcc_lo :: v_dual_bitop2_b32 v11, 1, v0 bitop3:0x40
	v_lshrrev_b32_e32 v3, 10, v0
	s_add_nc_u64 s[4:5], s[22:23], 1
	s_ashr_i32 s25, s24, 31
	v_cmp_gt_u32_e64 s3, 4, v6
	s_mul_u64 s[26:27], s[4:5], s[24:25]
	v_bitop3_b32 v12, v0, v3, 0x3ff bitop3:0xa8
	v_dual_lshlrev_b32 v3, 9, v10 :: v_dual_lshlrev_b32 v47, 4, v11
	v_lshlrev_b32_e32 v49, 4, v22
	v_cmp_eq_u32_e64 s5, 1, v11
	v_cmp_eq_u32_e64 s6, 0, v11
	s_delay_alu instid0(VALU_DEP_4)
	v_dual_sub_nc_u32 v48, 0, v3 :: v_dual_sub_nc_u32 v50, v47, v3
	v_dual_lshrrev_b32 v3, 2, v6 :: v_dual_bitop2_b32 v11, 3, v0 bitop3:0x40
	s_and_b32 s66, s6, s3
	v_cmp_gt_u32_e64 s6, 16, v6
	s_and_b32 s65, s5, s3
	v_lshlrev_b32_e32 v13, 9, v3
	v_cmp_eq_u32_e64 s9, 3, v11
	v_lshl_add_u32 v54, v3, 4, 0x4000
	v_cmp_ne_u32_e64 s10, 3, v11
	v_dual_lshrrev_b32 v3, 3, v6 :: v_dual_lshlrev_b32 v55, 4, v11
	v_sub_nc_u32_e32 v56, 0, v13
	s_and_b32 s68, s9, s6
	v_cmp_gt_u32_e64 s9, 2, v11
	v_cmp_eq_u32_e64 s5, 0, v20
	v_cmp_eq_u32_e64 s11, 2, v11
	;; [unrolled: 1-line block ×3, first 2 shown]
	s_and_b32 s69, s10, s6
	v_cmp_eq_u32_e64 s10, 0, v11
	s_and_b32 s71, s9, s6
	v_cmp_gt_u32_e64 s9, 4, v22
	v_dual_sub_nc_u32 v57, v55, v13 :: v_dual_bitop2_b32 v11, 7, v0 bitop3:0x40
	s_and_b32 s73, s10, s6
	v_cmp_gt_u32_e64 s10, 56, v6
	s_and_b32 s74, s5, s9
	v_cmp_gt_u32_e64 s9, 64, v6
	v_cmp_eq_u32_e64 s15, 7, v11
	v_cmp_ne_u32_e64 s16, 7, v11
	v_lshlrev_b32_e32 v13, 9, v3
	v_lshl_add_u32 v58, v3, 4, 0x4000
	v_cmp_eq_u32_e64 s17, 6, v11
	s_and_b32 s75, s15, s9
	v_cmp_eq_u32_e64 s15, 5, v11
	s_and_b32 s76, s16, s9
	v_cmp_gt_u32_e64 s16, 5, v11
	v_dual_lshlrev_b32 v3, 5, v6 :: v_dual_lshlrev_b32 v59, 4, v11
	v_sub_nc_u32_e32 v60, 0, v13
	s_and_b32 s79, s15, s9
	v_cmp_eq_u32_e64 s15, 4, v11
	s_and_b32 s80, s16, s9
	v_cmp_gt_u32_e64 s16, 3, v11
	v_writelane_b32 v210, s10, 0
	v_cmp_gt_u32_e64 s10, 40, v6
	s_and_b32 s81, s15, s9
	v_cmp_eq_u32_e64 s15, 2, v11
	s_and_b32 s77, s17, s9
	v_cmp_gt_u32_e64 s17, 4, v11
	s_and_b32 s84, s16, s9
	v_cmp_gt_u32_e64 s16, 2, v11
	;; [unrolled: 2-line block ×3, first 2 shown]
	v_dual_sub_nc_u32 v61, v59, v13 :: v_dual_bitop2_b32 v0, 15, v0 bitop3:0x40
	v_writelane_b32 v210, s10, 1
	v_cmp_gt_u32_e64 s10, 24, v6
	v_cmp_gt_u32_e64 s18, 6, v11
	s_and_b32 s82, s17, s9
	v_cmp_eq_u32_e64 s17, 1, v11
	s_and_b32 s86, s16, s9
	s_and_b32 s89, s5, s15
	v_cmp_gt_u32_e64 s15, 0x100, v6
	v_cmp_eq_u32_e64 s16, 15, v0
	v_writelane_b32 v210, s10, 2
	s_and_b32 s78, s18, s9
	v_cmp_eq_u32_e64 s18, 3, v11
	s_and_b32 s87, s17, s9
	v_cmp_ne_u32_e64 s17, 15, v0
	s_and_b32 s10, s16, s15
	v_cmp_eq_u32_e64 s16, 14, v0
	v_writelane_b32 v210, s10, 3
	s_and_b32 s83, s18, s9
	v_cmp_eq_u32_e64 s18, 0, v11
	s_and_b32 s10, s17, s15
	v_cmp_eq_u32_e64 s19, 13, v0
	v_writelane_b32 v210, s10, 4
	s_and_b32 s10, s16, s15
	s_and_b32 s88, s18, s9
	v_cmp_gt_u32_e64 s18, 14, v0
	v_cmp_gt_u32_e64 s17, 13, v0
	v_writelane_b32 v210, s10, 5
	v_cmp_eq_u32_e64 s16, 12, v0
	v_lshl_add_u32 v46, v10, 4, 0x4000
	s_and_b32 s10, s18, s15
	v_cmp_eq_u32_e64 s18, 11, v0
	v_writelane_b32 v210, s10, 6
	s_and_b32 s10, s19, s15
	v_cmp_gt_u32_e64 s19, 11, v0
	v_mad_u32_u24 v10, 0x1f0, v22, v49
	s_and_b32 s72, s12, s6
	v_writelane_b32 v210, s10, 7
	s_and_b32 s10, s17, s15
	v_cmp_gt_u32_e64 s17, 12, v0
	v_mad_i32_i24 v53, 0xfffffe10, v22, v10
	v_dual_lshlrev_b32 v71, 4, v0 :: v_dual_bitop2_b32 v11, -16, v6 bitop3:0x40
	v_writelane_b32 v210, s10, 8
	s_and_b32 s10, s16, s15
	v_cmp_eq_u32_e64 s16, 10, v0
	v_and_b32_e32 v3, 0xfffffe00, v3
	v_subrev_nc_u32_e32 v26, 32, v8
	v_writelane_b32 v210, s10, 9
	s_and_b32 s10, s17, s15
	v_cmp_gt_u32_e64 s17, 10, v0
	v_dual_sub_nc_u32 v72, 0, v3 :: v_dual_sub_nc_u32 v73, v71, v3
	v_writelane_b32 v210, s10, 10
	s_and_b32 s10, s18, s15
	v_cmp_gt_u32_e64 s18, 9, v0
	v_dual_ashrrev_i32 v5, 31, v4 :: v_dual_ashrrev_i32 v27, 31, v26
	v_writelane_b32 v210, s10, 11
	s_and_b32 s10, s19, s15
	v_cmp_eq_u32_e64 s19, 8, v0
	v_mad_u32_u24 v24, v20, s2, v22
	v_cmp_gt_i32_e64 s2, s60, v4
	v_writelane_b32 v210, s10, 12
	s_and_b32 s10, s16, s15
	v_cmp_eq_u32_e64 s16, 9, v0
	s_and_b32 s104, s19, s15
	v_cmp_gt_u32_e64 s19, 6, v0
	v_writelane_b32 v210, s10, 13
	s_and_b32 s10, s17, s15
	v_cmp_gt_u32_e64 s17, 8, v0
	s_xor_b32 s64, vcc_lo, -1
	s_and_b32 s14, s19, s15
	v_writelane_b32 v210, s10, 14
	s_and_b32 s10, s16, s15
	v_cmp_eq_u32_e64 s16, 7, v0
	s_and_b32 vcc_hi, s17, s15
	v_cmp_gt_u32_e64 s17, 7, v0
	v_writelane_b32 v210, s10, 15
	s_and_b32 s10, s18, s15
	v_cmp_eq_u32_e64 s18, 6, v0
	s_and_b32 s28, s16, s15
	v_cmp_eq_u32_e64 s16, 5, v0
	v_writelane_b32 v210, s10, 16
	s_and_b32 s10, s17, s15
	v_cmp_gt_u32_e64 s17, 5, v0
	s_and_b32 s12, s18, s15
	s_and_b32 s90, s16, s15
	v_cmp_eq_u32_e64 s16, 4, v0
	v_cmp_gt_u32_e64 s18, 4, v0
	v_cmp_eq_u32_e64 s19, 3, v0
	s_and_b32 s91, s17, s15
	v_cmp_gt_u32_e64 s17, 3, v0
	s_and_b32 s92, s16, s15
	s_and_b32 s93, s18, s15
	;; [unrolled: 1-line block ×3, first 2 shown]
	v_cmp_eq_u32_e64 s16, 2, v0
	s_and_b32 s95, s17, s15
	v_cmp_gt_u32_e64 s17, 2, v0
	v_cmp_eq_u32_e64 s18, 1, v0
	v_cmp_eq_u32_e64 s19, 0, v0
	v_add_nc_u32_e32 v0, -16, v8
	s_and_b32 s96, s16, s15
	s_and_b32 s97, s17, s15
	;; [unrolled: 1-line block ×3, first 2 shown]
	v_cmp_le_i32_e64 s17, s20, v22
	v_cmp_gt_i32_e64 s18, s60, v0
	v_mad_u32_u24 v0, 0x1f0, v22, v53
	v_cmp_gt_u32_e64 s16, 16, v22
	v_cmp_gt_i32_e32 vcc_lo, s20, v22
	s_and_b32 s101, s17, s21
	s_and_b32 s99, s19, s15
	v_mad_i32_i24 v104, 0xfffffe10, v22, v0
	v_add_nc_u32_e32 v100, 0x3980, v0
	v_add_nc_u32_e32 v101, 0x39b0, v0
	;; [unrolled: 1-line block ×4, first 2 shown]
	v_mad_u32_u24 v3, 0x1f0, v22, v104
	v_add_nc_u32_e32 v105, 0x2d40, v0
	v_add_nc_u32_e32 v106, 0x2d50, v0
	;; [unrolled: 1-line block ×4, first 2 shown]
	v_mad_i32_i24 v115, 0xfffffe10, v22, v3
	v_add_nc_u32_e32 v109, 0x18a0, v0
	v_add_nc_u32_e32 v110, 0x1890, v0
	;; [unrolled: 1-line block ×4, first 2 shown]
	v_mad_u32_u24 v0, 0x1f0, v22, v115
	s_and_b32 s100, s5, s16
	s_xor_b32 s16, s101, -1
	v_add_nc_u32_e32 v113, 0x3580, v3
	v_add_nc_u32_e32 v114, 0x3590, v3
	;; [unrolled: 1-line block ×12, first 2 shown]
	v_mul_u64_e32 v[28:29], s[22:23], v[4:5]
	v_mul_u64_e32 v[30:31], s[54:55], v[4:5]
	v_dual_lshlrev_b32 v3, 4, v20 :: v_dual_lshlrev_b32 v137, 4, v9
	v_mad_i32_i24 v4, 0xfffffe10, v22, v0
	v_cmp_le_i32_e64 s19, s20, v20
	s_and_b32 s67, s5, s7
	s_and_b32 s70, s11, s6
	;; [unrolled: 1-line block ×3, first 2 shown]
	v_cmp_le_i32_e64 s20, s20, v2
	s_cmp_gt_i32 s61, 0
	v_add_nc_u32_e32 v126, 0x2500, v0
	s_cselect_b32 s103, -1, 0
	v_add_nc_u32_e32 v127, 0x2510, v0
	v_add_nc_u32_e32 v128, 0x400, v0
	;; [unrolled: 1-line block ×3, first 2 shown]
	v_dual_add_nc_u32 v130, v0, v3 :: v_dual_add_nc_u32 v134, 32, v4
	v_add_nc_u32_e32 v132, 0x2120, v4
	v_add_nc_u32_e32 v133, 0x2320, v4
	;; [unrolled: 1-line block ×3, first 2 shown]
	v_lshl_add_u32 v136, v20, 9, v4
	v_add_nc_u32_e32 v0, s24, v24
	v_add_nc_u64_e32 v[4:5], s[24:25], v[24:25]
	s_or_b32 s24, s19, s17
	s_and_b32 s19, s5, vcc_lo
	s_or_b32 s25, s20, s17
	v_writelane_b32 v210, s19, 17
	s_and_b32 s20, s18, s2
	v_cmp_gt_u32_e64 s18, 0xf0, v6
	v_add_nc_u32_e32 v52, 0x3dd0, v10
	v_dual_mov_b32 v21, v1 :: v_dual_add_nc_u32 v62, 0x3100, v10
	v_add_nc_u32_e32 v131, 0x6000, v3
	v_mov_b32_e32 v3, v1
	v_writelane_b32 v210, s18, 18
	v_cmp_gt_u32_e64 s18, 0xe0, v6
	v_mul_u64_e32 v[32:33], s[54:55], v[4:5]
	v_dual_lshlrev_b32 v25, 4, v7 :: v_dual_bitop2_b32 v7, v2, v22 bitop3:0x54
	v_mul_u64_e32 v[34:35], s[22:23], v[2:3]
	v_mul_u64_e32 v[38:39], s[54:55], v[0:1]
	;; [unrolled: 1-line block ×3, first 2 shown]
	v_writelane_b32 v210, s18, 19
	v_cmp_gt_u32_e64 s18, 0xd0, v6
	s_load_b256 s[36:43], s[0:1], 0x28
	v_cmp_ge_u32_e64 s16, v22, v20
	v_cmp_gt_i32_e64 s21, s60, v26
	v_cmp_ge_u32_e64 s17, v22, v2
	v_writelane_b32 v210, s18, 20
	v_cmp_gt_u32_e64 s18, 0xc0, v6
	v_cmp_gt_u32_e64 s4, 2, v6
	v_add_nc_u32_e32 v51, 0x3dc0, v10
	v_cmp_gt_u32_e64 s7, 12, v6
	v_cmp_gt_u32_e64 s8, 8, v6
	v_writelane_b32 v210, s18, 21
	v_cmp_gt_u32_e64 s18, 0xb0, v6
	v_cmp_gt_u32_e64 s11, 48, v6
	;; [unrolled: 1-line block ×3, first 2 shown]
	v_add_nc_u32_e32 v63, 0x3110, v10
	v_dual_mov_b32 v37, v1 :: v_dual_add_nc_u32 v64, 0x3120, v10
	v_writelane_b32 v210, s18, 22
	v_cmp_gt_u32_e64 s18, 0xa0, v6
	v_add_nc_u32_e32 v65, 0x3130, v10
	v_add_nc_u32_e32 v66, 0x3140, v10
	;; [unrolled: 1-line block ×4, first 2 shown]
	v_writelane_b32 v210, s18, 23
	v_cmp_gt_u32_e64 s18, 0x90, v6
	v_add_nc_u32_e32 v69, 0x3170, v10
	v_add_nc_u32_e32 v70, 0x4000, v11
	;; [unrolled: 1-line block ×28, first 2 shown]
	s_and_b32 s19, s21, s2
	s_or_b32 s21, s24, s16
	s_or_b32 s24, s25, s17
	s_lshl_b64 s[58:59], s[26:27], 4
	v_dual_lshlrev_b32 v36, 4, v22 :: v_dual_add_nc_u32 v194, 64, v104
	v_add_nc_u32_e32 v138, 0x39e0, v53
	v_add_nc_u32_e32 v139, 0x3be0, v53
	;; [unrolled: 1-line block ×59, first 2 shown]
	v_lshl_add_u32 v198, v24, 4, 0x6000
	v_lshl_add_u32 v199, v6, 4, 0x4000
	v_add_nc_u32_e32 v200, 0x4000, v49
	v_add_nc_u32_e32 v201, v131, v49
	v_writelane_b32 v210, s18, 24
	v_cmp_gt_u32_e64 s25, 0x80, v6
	v_cmp_gt_u32_e64 s26, 0x70, v6
	;; [unrolled: 1-line block ×4, first 2 shown]
	v_cmp_eq_u32_e64 s29, 0, v12
	v_cmp_gt_u32_e64 s30, 32, v12
	v_cmp_gt_u32_e64 s31, 32, v7
	v_cmp_eq_u32_e64 s33, 0, v24
	v_cmp_gt_u32_e64 s34, 32, v24
	s_lshl_b64 s[46:47], s[46:47], 4
	s_wait_kmcnt 0x0
	s_lshl_b64 s[42:43], s[42:43], 4
	s_mov_b32 s49, 0x3ff00000
                                        ; implicit-def: $vgpr4_vgpr5
                                        ; implicit-def: $vgpr8_vgpr9
	s_branch .LBB183_3
.LBB183_2:                              ;   in Loop: Header=BB183_3 Depth=1
	s_wait_xcnt 0x0
	s_or_b32 exec_lo, exec_lo, s0
	s_add_co_i32 s52, s52, 0x10000
	global_wb scope:SCOPE_DEV
	s_wait_storecnt 0x0
	global_inv scope:SCOPE_DEV
	s_cmp_lt_u32 s52, s35
	s_cbranch_scc0 .LBB183_542
.LBB183_3:                              ; =>This Loop Header: Depth=1
                                        ;     Child Loop BB183_457 Depth 2
                                        ;       Child Loop BB183_459 Depth 3
                                        ;     Child Loop BB183_490 Depth 2
	v_mov_b32_e32 v0, s52
	s_and_not1_b32 vcc_lo, exec_lo, s62
	s_clause 0x1
	global_load_b64 v[2:3], v0, s[44:45] scale_offset
	global_load_b64 v[18:19], v0, s[40:41] scale_offset
	s_wait_loadcnt 0x1
	v_add_nc_u64_e32 v[2:3], s[46:47], v[2:3]
	s_delay_alu instid0(VALU_DEP_1)
	v_lshl_add_u64 v[16:17], v[28:29], 4, v[2:3]
	s_cbranch_vccnz .LBB183_9
; %bb.4:                                ;   in Loop: Header=BB183_3 Depth=1
	v_mov_b64_e32 v[10:11], 0
	v_mov_b64_e32 v[4:5], 0
	;; [unrolled: 1-line block ×3, first 2 shown]
	v_lshl_add_u64 v[12:13], v[26:27], 4, v[16:17]
	s_wait_loadcnt 0x0
	s_barrier_signal -1
	s_barrier_wait -1
	s_wait_xcnt 0x0
	s_and_saveexec_b32 s0, s19
	s_cbranch_execz .LBB183_6
; %bb.5:                                ;   in Loop: Header=BB183_3 Depth=1
	flat_load_b128 v[4:7], v[12:13]
.LBB183_6:                              ;   in Loop: Header=BB183_3 Depth=1
	s_wait_xcnt 0x0
	s_or_b32 exec_lo, exec_lo, s0
	v_mov_b64_e32 v[8:9], 0
	s_wait_loadcnt_dscnt 0x0
	s_barrier_signal -1
	s_barrier_wait -1
	s_and_saveexec_b32 s0, s20
	s_cbranch_execz .LBB183_8
; %bb.7:                                ;   in Loop: Header=BB183_3 Depth=1
	flat_load_b128 v[8:11], v[12:13] offset:256
.LBB183_8:                              ;   in Loop: Header=BB183_3 Depth=1
	s_wait_xcnt 0x0
	s_or_b32 exec_lo, exec_lo, s0
.LBB183_9:                              ;   in Loop: Header=BB183_3 Depth=1
	v_add_nc_u64_e32 v[2:3], s[58:59], v[2:3]
	s_and_not1_b32 vcc_lo, exec_lo, s63
	s_mov_b32 s0, -1
	s_delay_alu instid0(VALU_DEP_1)
	v_add_nc_u64_e32 v[12:13], v[2:3], v[36:37]
	s_cbranch_vccnz .LBB183_16
; %bb.10:                               ;   in Loop: Header=BB183_3 Depth=1
	s_wait_xcnt 0x0
	s_and_saveexec_b32 s0, s16
	s_delay_alu instid0(SALU_CYCLE_1)
	s_xor_b32 s0, exec_lo, s0
	s_cbranch_execnz .LBB183_503
; %bb.11:                               ;   in Loop: Header=BB183_3 Depth=1
	s_and_not1_saveexec_b32 s0, s0
	s_cbranch_execnz .LBB183_506
.LBB183_12:                             ;   in Loop: Header=BB183_3 Depth=1
	s_or_b32 exec_lo, exec_lo, s0
	s_and_saveexec_b32 s0, s17
	s_delay_alu instid0(SALU_CYCLE_1)
	s_xor_b32 s0, exec_lo, s0
	s_cbranch_execnz .LBB183_507
.LBB183_13:                             ;   in Loop: Header=BB183_3 Depth=1
	s_and_not1_saveexec_b32 s0, s0
	s_cbranch_execz .LBB183_15
.LBB183_14:                             ;   in Loop: Header=BB183_3 Depth=1
	v_lshl_add_u64 v[2:3], v[34:35], 4, v[12:13]
	flat_load_b128 v[42:45], v[2:3]
	s_wait_loadcnt_dscnt 0x0
	v_xor_b32_e32 v43, 0x80000000, v43
	ds_store_b128 v137, v[42:45]
.LBB183_15:                             ;   in Loop: Header=BB183_3 Depth=1
	s_or_b32 exec_lo, exec_lo, s0
	s_mov_b32 s0, 0
.LBB183_16:                             ;   in Loop: Header=BB183_3 Depth=1
	s_delay_alu instid0(SALU_CYCLE_1)
	s_and_b32 vcc_lo, exec_lo, s0
	s_cbranch_vccz .LBB183_23
; %bb.17:                               ;   in Loop: Header=BB183_3 Depth=1
	s_wait_xcnt 0x0
	s_and_saveexec_b32 s0, s21
	s_delay_alu instid0(SALU_CYCLE_1)
	s_xor_b32 s0, exec_lo, s0
	s_cbranch_execnz .LBB183_510
; %bb.18:                               ;   in Loop: Header=BB183_3 Depth=1
	s_and_not1_saveexec_b32 s0, s0
	s_cbranch_execnz .LBB183_513
.LBB183_19:                             ;   in Loop: Header=BB183_3 Depth=1
	s_or_b32 exec_lo, exec_lo, s0
	s_and_saveexec_b32 s0, s24
	s_delay_alu instid0(SALU_CYCLE_1)
	s_xor_b32 s0, exec_lo, s0
	s_cbranch_execnz .LBB183_514
.LBB183_20:                             ;   in Loop: Header=BB183_3 Depth=1
	s_and_not1_saveexec_b32 s0, s0
	s_cbranch_execz .LBB183_22
.LBB183_21:                             ;   in Loop: Header=BB183_3 Depth=1
	v_lshl_add_u64 v[2:3], v[34:35], 4, v[12:13]
	flat_load_b128 v[12:15], v[2:3]
	s_wait_loadcnt_dscnt 0x0
	v_xor_b32_e32 v13, 0x80000000, v13
	ds_store_b128 v137, v[12:15]
.LBB183_22:                             ;   in Loop: Header=BB183_3 Depth=1
	s_or_b32 exec_lo, exec_lo, s0
.LBB183_23:                             ;   in Loop: Header=BB183_3 Depth=1
	s_delay_alu instid0(SALU_CYCLE_1)
	s_and_not1_b32 vcc_lo, exec_lo, s64
	s_wait_loadcnt_dscnt 0x0
	s_barrier_signal -1
	s_barrier_wait -1
	s_cbranch_vccnz .LBB183_451
; %bb.24:                               ;   in Loop: Header=BB183_3 Depth=1
	s_wait_xcnt 0x0
	s_and_saveexec_b32 s0, s29
	s_cbranch_execz .LBB183_26
; %bb.25:                               ;   in Loop: Header=BB183_3 Depth=1
	s_mov_b32 s48, s53
	s_mov_b32 s50, s53
	;; [unrolled: 1-line block ×3, first 2 shown]
	v_mov_b64_e32 v[12:13], s[48:49]
	v_mov_b64_e32 v[14:15], s[50:51]
	ds_store_b128 v1, v[12:15] offset:15840
	ds_store_b128 v1, v[12:15] offset:16368
	ds_load_b128 v[12:15], v1 offset:16352
	s_wait_dscnt 0x0
	ds_store_b128 v1, v[12:15] offset:15856
.LBB183_26:                             ;   in Loop: Header=BB183_3 Depth=1
	s_or_b32 exec_lo, exec_lo, s0
	v_mov_b64_e32 v[12:13], 0
	v_mov_b64_e32 v[14:15], 0
	s_wait_dscnt 0x0
	s_barrier_signal -1
	s_barrier_wait -1
	global_wb scope:SCOPE_DEV
	s_wait_storecnt 0x0
	global_inv scope:SCOPE_DEV
	s_and_saveexec_b32 s0, s3
	s_cbranch_execz .LBB183_30
; %bb.27:                               ;   in Loop: Header=BB183_3 Depth=1
	ds_load_b128 v[12:15], v48 offset:16352
	ds_load_b128 v[42:45], v47 offset:15808
	s_wait_dscnt 0x0
	v_mul_f64_e32 v[2:3], v[14:15], v[44:45]
	v_mul_f64_e32 v[44:45], v[12:13], v[44:45]
	s_delay_alu instid0(VALU_DEP_2) | instskip(NEXT) | instid1(VALU_DEP_2)
	v_fma_f64 v[2:3], v[12:13], v[42:43], -v[2:3]
	v_fmac_f64_e32 v[44:45], v[14:15], v[42:43]
	s_delay_alu instid0(VALU_DEP_2) | instskip(NEXT) | instid1(VALU_DEP_2)
	v_add_f64_e32 v[12:13], 0, v[2:3]
	v_add_f64_e32 v[14:15], 0, v[44:45]
	s_and_saveexec_b32 s1, s4
	s_cbranch_execz .LBB183_29
; %bb.28:                               ;   in Loop: Header=BB183_3 Depth=1
	ds_load_b128 v[42:45], v1 offset:16368
	ds_load_b128 v[202:205], v49 offset:16320
	s_wait_dscnt 0x0
	v_mul_f64_e32 v[2:3], v[44:45], v[204:205]
	s_delay_alu instid0(VALU_DEP_1) | instskip(SKIP_1) | instid1(VALU_DEP_2)
	v_fma_f64 v[2:3], v[42:43], v[202:203], -v[2:3]
	v_mul_f64_e32 v[42:43], v[42:43], v[204:205]
	v_add_f64_e32 v[12:13], v[12:13], v[2:3]
	s_delay_alu instid0(VALU_DEP_2) | instskip(NEXT) | instid1(VALU_DEP_1)
	v_fmac_f64_e32 v[42:43], v[44:45], v[202:203]
	v_add_f64_e32 v[14:15], v[14:15], v[42:43]
.LBB183_29:                             ;   in Loop: Header=BB183_3 Depth=1
	s_or_b32 exec_lo, exec_lo, s1
.LBB183_30:                             ;   in Loop: Header=BB183_3 Depth=1
	s_delay_alu instid0(SALU_CYCLE_1)
	s_or_b32 exec_lo, exec_lo, s0
	s_and_saveexec_b32 s0, s65
	s_cbranch_execz .LBB183_32
; %bb.31:                               ;   in Loop: Header=BB183_3 Depth=1
	s_delay_alu instid0(VALU_DEP_2) | instskip(NEXT) | instid1(VALU_DEP_2)
	v_xor_b32_e32 v43, 0x80000000, v13
	v_xor_b32_e32 v45, 0x80000000, v15
	s_delay_alu instid0(VALU_DEP_3)
	v_dual_mov_b32 v42, v12 :: v_dual_mov_b32 v44, v14
	ds_store_b128 v46, v[42:45]
.LBB183_32:                             ;   in Loop: Header=BB183_3 Depth=1
	s_or_b32 exec_lo, exec_lo, s0
	s_wait_loadcnt_dscnt 0x0
	s_barrier_signal -1
	s_barrier_wait -1
	s_and_saveexec_b32 s0, s66
	s_cbranch_execz .LBB183_34
; %bb.33:                               ;   in Loop: Header=BB183_3 Depth=1
	ds_load_b128 v[42:45], v46
	ds_load_b128 v[202:205], v1 offset:15296
	s_wait_dscnt 0x0
	v_mul_f64_e32 v[2:3], v[42:43], v[202:203]
	v_mul_f64_e32 v[42:43], v[42:43], v[204:205]
	s_delay_alu instid0(VALU_DEP_2) | instskip(NEXT) | instid1(VALU_DEP_2)
	v_fma_f64 v[2:3], v[44:45], v[204:205], -v[2:3]
	v_fmac_f64_e32 v[42:43], v[44:45], v[202:203]
	s_delay_alu instid0(VALU_DEP_2) | instskip(NEXT) | instid1(VALU_DEP_2)
	v_add_f64_e32 v[12:13], v[12:13], v[2:3]
	v_add_f64_e64 v[14:15], v[14:15], -v[42:43]
.LBB183_34:                             ;   in Loop: Header=BB183_3 Depth=1
	s_or_b32 exec_lo, exec_lo, s0
	s_barrier_signal -1
	s_barrier_wait -1
	s_and_saveexec_b32 s0, s66
	s_cbranch_execz .LBB183_36
; %bb.35:                               ;   in Loop: Header=BB183_3 Depth=1
	s_delay_alu instid0(VALU_DEP_2) | instskip(NEXT) | instid1(VALU_DEP_2)
	v_xor_b32_e32 v43, 0x80000000, v13
	v_xor_b32_e32 v45, 0x80000000, v15
	s_delay_alu instid0(VALU_DEP_3)
	v_dual_mov_b32 v42, v12 :: v_dual_mov_b32 v44, v14
	ds_store_b128 v46, v[42:45]
.LBB183_36:                             ;   in Loop: Header=BB183_3 Depth=1
	s_or_b32 exec_lo, exec_lo, s0
	s_wait_dscnt 0x0
	s_barrier_signal -1
	s_barrier_wait -1
	s_barrier_signal -1
	s_barrier_wait -1
	s_and_saveexec_b32 s0, s3
; %bb.37:                               ;   in Loop: Header=BB183_3 Depth=1
	ds_store_b128 v50, v[12:15] offset:16320
; %bb.38:                               ;   in Loop: Header=BB183_3 Depth=1
	s_or_b32 exec_lo, exec_lo, s0
	s_wait_dscnt 0x0
	s_barrier_signal -1
	s_barrier_wait -1
	s_barrier_signal -1
	s_barrier_wait -1
	s_and_saveexec_b32 s0, s67
	s_cbranch_execz .LBB183_40
; %bb.39:                               ;   in Loop: Header=BB183_3 Depth=1
	ds_load_b128 v[12:15], v51
	s_wait_dscnt 0x0
	ds_store_b128 v138, v[12:15]
	ds_load_b128 v[12:15], v52
	s_wait_dscnt 0x0
	ds_store_b128 v139, v[12:15]
.LBB183_40:                             ;   in Loop: Header=BB183_3 Depth=1
	s_or_b32 exec_lo, exec_lo, s0
	s_wait_dscnt 0x0
	s_barrier_signal -1
	s_barrier_wait -1
	s_and_saveexec_b32 s0, s29
	s_cbranch_execz .LBB183_42
; %bb.41:                               ;   in Loop: Header=BB183_3 Depth=1
	s_mov_b32 s48, s53
	s_mov_b32 s50, s53
	;; [unrolled: 1-line block ×3, first 2 shown]
	v_mov_b64_e32 v[12:13], s[48:49]
	v_mov_b64_e32 v[14:15], s[50:51]
	ds_store_b128 v1, v[12:15] offset:14784
	ds_store_b128 v1, v[12:15] offset:15312
	ds_load_b128 v[12:15], v1 offset:15296
	s_wait_dscnt 0x0
	ds_store_b128 v1, v[12:15] offset:14800
.LBB183_42:                             ;   in Loop: Header=BB183_3 Depth=1
	s_or_b32 exec_lo, exec_lo, s0
	v_mov_b64_e32 v[14:15], 0
	v_mov_b64_e32 v[12:13], 0
	s_wait_dscnt 0x0
	s_barrier_signal -1
	s_barrier_wait -1
	global_wb scope:SCOPE_DEV
	s_wait_storecnt 0x0
	global_inv scope:SCOPE_DEV
	s_and_saveexec_b32 s0, s6
	s_cbranch_execz .LBB183_48
; %bb.43:                               ;   in Loop: Header=BB183_3 Depth=1
	ds_load_b128 v[12:15], v56 offset:16320
	ds_load_b128 v[42:45], v55 offset:14720
	s_wait_dscnt 0x0
	v_mul_f64_e32 v[2:3], v[14:15], v[44:45]
	v_mul_f64_e32 v[44:45], v[12:13], v[44:45]
	s_delay_alu instid0(VALU_DEP_2) | instskip(NEXT) | instid1(VALU_DEP_2)
	v_fma_f64 v[2:3], v[12:13], v[42:43], -v[2:3]
	v_fmac_f64_e32 v[44:45], v[14:15], v[42:43]
	s_delay_alu instid0(VALU_DEP_2) | instskip(NEXT) | instid1(VALU_DEP_2)
	v_add_f64_e32 v[12:13], 0, v[2:3]
	v_add_f64_e32 v[14:15], 0, v[44:45]
	s_and_saveexec_b32 s1, s7
	s_cbranch_execnz .LBB183_522
; %bb.44:                               ;   in Loop: Header=BB183_3 Depth=1
	s_or_b32 exec_lo, exec_lo, s1
	s_and_saveexec_b32 s1, s8
	s_cbranch_execnz .LBB183_523
.LBB183_45:                             ;   in Loop: Header=BB183_3 Depth=1
	s_or_b32 exec_lo, exec_lo, s1
	s_and_saveexec_b32 s1, s3
	s_cbranch_execz .LBB183_47
.LBB183_46:                             ;   in Loop: Header=BB183_3 Depth=1
	ds_load_b128 v[42:45], v1 offset:16368
	ds_load_b128 v[202:205], v53 offset:16256
	s_wait_dscnt 0x0
	v_mul_f64_e32 v[2:3], v[44:45], v[204:205]
	s_delay_alu instid0(VALU_DEP_1) | instskip(SKIP_1) | instid1(VALU_DEP_2)
	v_fma_f64 v[2:3], v[42:43], v[202:203], -v[2:3]
	v_mul_f64_e32 v[42:43], v[42:43], v[204:205]
	v_add_f64_e32 v[12:13], v[12:13], v[2:3]
	s_delay_alu instid0(VALU_DEP_2) | instskip(NEXT) | instid1(VALU_DEP_1)
	v_fmac_f64_e32 v[42:43], v[44:45], v[202:203]
	v_add_f64_e32 v[14:15], v[14:15], v[42:43]
.LBB183_47:                             ;   in Loop: Header=BB183_3 Depth=1
	s_or_b32 exec_lo, exec_lo, s1
.LBB183_48:                             ;   in Loop: Header=BB183_3 Depth=1
	s_delay_alu instid0(SALU_CYCLE_1)
	s_or_b32 exec_lo, exec_lo, s0
	s_and_saveexec_b32 s0, s68
	s_cbranch_execz .LBB183_50
; %bb.49:                               ;   in Loop: Header=BB183_3 Depth=1
	s_delay_alu instid0(VALU_DEP_1) | instskip(NEXT) | instid1(VALU_DEP_3)
	v_xor_b32_e32 v45, 0x80000000, v15
	v_xor_b32_e32 v43, 0x80000000, v13
	s_delay_alu instid0(VALU_DEP_3)
	v_dual_mov_b32 v42, v12 :: v_dual_mov_b32 v44, v14
	ds_store_b128 v54, v[42:45]
.LBB183_50:                             ;   in Loop: Header=BB183_3 Depth=1
	s_or_b32 exec_lo, exec_lo, s0
	s_wait_loadcnt_dscnt 0x0
	s_barrier_signal -1
	s_barrier_wait -1
	s_and_saveexec_b32 s0, s69
	s_cbranch_execz .LBB183_52
; %bb.51:                               ;   in Loop: Header=BB183_3 Depth=1
	ds_load_b128 v[42:45], v54
	ds_load_b128 v[202:205], v55 offset:14208
	s_wait_dscnt 0x0
	v_mul_f64_e32 v[2:3], v[44:45], v[204:205]
	s_delay_alu instid0(VALU_DEP_1) | instskip(SKIP_1) | instid1(VALU_DEP_2)
	v_fma_f64 v[2:3], v[42:43], v[202:203], -v[2:3]
	v_mul_f64_e32 v[42:43], v[42:43], v[204:205]
	v_add_f64_e64 v[12:13], v[12:13], -v[2:3]
	s_delay_alu instid0(VALU_DEP_2) | instskip(NEXT) | instid1(VALU_DEP_1)
	v_fmac_f64_e32 v[42:43], v[44:45], v[202:203]
	v_add_f64_e64 v[14:15], v[14:15], -v[42:43]
.LBB183_52:                             ;   in Loop: Header=BB183_3 Depth=1
	s_or_b32 exec_lo, exec_lo, s0
	s_barrier_signal -1
	s_barrier_wait -1
	s_and_saveexec_b32 s0, s70
	s_cbranch_execz .LBB183_54
; %bb.53:                               ;   in Loop: Header=BB183_3 Depth=1
	s_delay_alu instid0(VALU_DEP_1) | instskip(NEXT) | instid1(VALU_DEP_3)
	v_xor_b32_e32 v45, 0x80000000, v15
	v_xor_b32_e32 v43, 0x80000000, v13
	s_delay_alu instid0(VALU_DEP_3)
	v_dual_mov_b32 v42, v12 :: v_dual_mov_b32 v44, v14
	ds_store_b128 v54, v[42:45]
.LBB183_54:                             ;   in Loop: Header=BB183_3 Depth=1
	s_or_b32 exec_lo, exec_lo, s0
	s_wait_dscnt 0x0
	s_barrier_signal -1
	s_barrier_wait -1
	s_and_saveexec_b32 s0, s71
	s_cbranch_execz .LBB183_56
; %bb.55:                               ;   in Loop: Header=BB183_3 Depth=1
	ds_load_b128 v[42:45], v54
	ds_load_b128 v[202:205], v55 offset:13696
	s_wait_dscnt 0x0
	v_mul_f64_e32 v[2:3], v[44:45], v[204:205]
	s_delay_alu instid0(VALU_DEP_1) | instskip(SKIP_1) | instid1(VALU_DEP_2)
	v_fma_f64 v[2:3], v[42:43], v[202:203], -v[2:3]
	v_mul_f64_e32 v[42:43], v[42:43], v[204:205]
	v_add_f64_e64 v[12:13], v[12:13], -v[2:3]
	s_delay_alu instid0(VALU_DEP_2) | instskip(NEXT) | instid1(VALU_DEP_1)
	v_fmac_f64_e32 v[42:43], v[44:45], v[202:203]
	v_add_f64_e64 v[14:15], v[14:15], -v[42:43]
.LBB183_56:                             ;   in Loop: Header=BB183_3 Depth=1
	s_or_b32 exec_lo, exec_lo, s0
	s_barrier_signal -1
	s_barrier_wait -1
	s_and_saveexec_b32 s0, s72
	s_cbranch_execz .LBB183_58
; %bb.57:                               ;   in Loop: Header=BB183_3 Depth=1
	s_delay_alu instid0(VALU_DEP_1) | instskip(NEXT) | instid1(VALU_DEP_3)
	v_xor_b32_e32 v45, 0x80000000, v15
	v_xor_b32_e32 v43, 0x80000000, v13
	s_delay_alu instid0(VALU_DEP_3)
	v_dual_mov_b32 v42, v12 :: v_dual_mov_b32 v44, v14
	ds_store_b128 v54, v[42:45]
.LBB183_58:                             ;   in Loop: Header=BB183_3 Depth=1
	s_or_b32 exec_lo, exec_lo, s0
	s_wait_dscnt 0x0
	;; [unrolled: 32-line block ×3, first 2 shown]
	s_barrier_signal -1
	s_barrier_wait -1
	s_barrier_signal -1
	s_barrier_wait -1
	s_and_saveexec_b32 s0, s6
; %bb.63:                               ;   in Loop: Header=BB183_3 Depth=1
	ds_store_b128 v57, v[12:15] offset:16256
; %bb.64:                               ;   in Loop: Header=BB183_3 Depth=1
	s_or_b32 exec_lo, exec_lo, s0
	s_wait_dscnt 0x0
	s_barrier_signal -1
	s_barrier_wait -1
	s_barrier_signal -1
	s_barrier_wait -1
	s_and_saveexec_b32 s0, s74
	s_cbranch_execz .LBB183_66
; %bb.65:                               ;   in Loop: Header=BB183_3 Depth=1
	ds_load_b128 v[12:15], v100
	s_wait_dscnt 0x0
	ds_store_b128 v140, v[12:15]
	ds_load_b128 v[12:15], v103
	s_wait_dscnt 0x0
	ds_store_b128 v143, v[12:15]
	;; [unrolled: 3-line block ×4, first 2 shown]
.LBB183_66:                             ;   in Loop: Header=BB183_3 Depth=1
	s_or_b32 exec_lo, exec_lo, s0
	s_wait_dscnt 0x0
	s_barrier_signal -1
	s_barrier_wait -1
	s_and_saveexec_b32 s0, s29
	s_cbranch_execz .LBB183_68
; %bb.67:                               ;   in Loop: Header=BB183_3 Depth=1
	s_mov_b32 s48, s53
	s_mov_b32 s50, s53
	;; [unrolled: 1-line block ×3, first 2 shown]
	v_mov_b64_e32 v[12:13], s[48:49]
	v_mov_b64_e32 v[14:15], s[50:51]
	ds_store_b128 v1, v[12:15] offset:13728
	ds_store_b128 v1, v[12:15] offset:14256
	ds_load_b128 v[12:15], v1 offset:14240
	s_wait_dscnt 0x0
	ds_store_b128 v1, v[12:15] offset:13744
.LBB183_68:                             ;   in Loop: Header=BB183_3 Depth=1
	s_or_b32 exec_lo, exec_lo, s0
	v_mov_b64_e32 v[12:13], 0
	v_mov_b64_e32 v[14:15], 0
	s_wait_dscnt 0x0
	s_barrier_signal -1
	s_barrier_wait -1
	global_wb scope:SCOPE_DEV
	s_wait_storecnt 0x0
	global_inv scope:SCOPE_DEV
	s_and_saveexec_b32 s0, s3
	s_cbranch_execz .LBB183_72
; %bb.69:                               ;   in Loop: Header=BB183_3 Depth=1
	ds_load_b128 v[12:15], v48 offset:14240
	ds_load_b128 v[42:45], v47 offset:13696
	s_wait_dscnt 0x0
	v_mul_f64_e32 v[2:3], v[14:15], v[44:45]
	v_mul_f64_e32 v[44:45], v[12:13], v[44:45]
	s_delay_alu instid0(VALU_DEP_2) | instskip(NEXT) | instid1(VALU_DEP_2)
	v_fma_f64 v[2:3], v[12:13], v[42:43], -v[2:3]
	v_fmac_f64_e32 v[44:45], v[14:15], v[42:43]
	s_delay_alu instid0(VALU_DEP_2) | instskip(NEXT) | instid1(VALU_DEP_2)
	v_add_f64_e32 v[12:13], 0, v[2:3]
	v_add_f64_e32 v[14:15], 0, v[44:45]
	s_and_saveexec_b32 s1, s4
	s_cbranch_execz .LBB183_71
; %bb.70:                               ;   in Loop: Header=BB183_3 Depth=1
	ds_load_b128 v[42:45], v1 offset:14256
	ds_load_b128 v[202:205], v104 offset:14208
	s_wait_dscnt 0x0
	v_mul_f64_e32 v[2:3], v[44:45], v[204:205]
	s_delay_alu instid0(VALU_DEP_1) | instskip(SKIP_1) | instid1(VALU_DEP_2)
	v_fma_f64 v[2:3], v[42:43], v[202:203], -v[2:3]
	v_mul_f64_e32 v[42:43], v[42:43], v[204:205]
	v_add_f64_e32 v[12:13], v[12:13], v[2:3]
	s_delay_alu instid0(VALU_DEP_2) | instskip(NEXT) | instid1(VALU_DEP_1)
	v_fmac_f64_e32 v[42:43], v[44:45], v[202:203]
	v_add_f64_e32 v[14:15], v[14:15], v[42:43]
.LBB183_71:                             ;   in Loop: Header=BB183_3 Depth=1
	s_or_b32 exec_lo, exec_lo, s1
.LBB183_72:                             ;   in Loop: Header=BB183_3 Depth=1
	s_delay_alu instid0(SALU_CYCLE_1)
	s_or_b32 exec_lo, exec_lo, s0
	s_and_saveexec_b32 s0, s65
	s_cbranch_execz .LBB183_74
; %bb.73:                               ;   in Loop: Header=BB183_3 Depth=1
	s_delay_alu instid0(VALU_DEP_2) | instskip(NEXT) | instid1(VALU_DEP_2)
	v_xor_b32_e32 v43, 0x80000000, v13
	v_xor_b32_e32 v45, 0x80000000, v15
	s_delay_alu instid0(VALU_DEP_3)
	v_dual_mov_b32 v42, v12 :: v_dual_mov_b32 v44, v14
	ds_store_b128 v46, v[42:45]
.LBB183_74:                             ;   in Loop: Header=BB183_3 Depth=1
	s_or_b32 exec_lo, exec_lo, s0
	s_wait_loadcnt_dscnt 0x0
	s_barrier_signal -1
	s_barrier_wait -1
	s_and_saveexec_b32 s0, s66
	s_cbranch_execz .LBB183_76
; %bb.75:                               ;   in Loop: Header=BB183_3 Depth=1
	ds_load_b128 v[42:45], v46
	ds_load_b128 v[202:205], v1 offset:13184
	s_wait_dscnt 0x0
	v_mul_f64_e32 v[2:3], v[42:43], v[202:203]
	v_mul_f64_e32 v[42:43], v[42:43], v[204:205]
	s_delay_alu instid0(VALU_DEP_2) | instskip(NEXT) | instid1(VALU_DEP_2)
	v_fma_f64 v[2:3], v[44:45], v[204:205], -v[2:3]
	v_fmac_f64_e32 v[42:43], v[44:45], v[202:203]
	s_delay_alu instid0(VALU_DEP_2) | instskip(NEXT) | instid1(VALU_DEP_2)
	v_add_f64_e32 v[12:13], v[12:13], v[2:3]
	v_add_f64_e64 v[14:15], v[14:15], -v[42:43]
.LBB183_76:                             ;   in Loop: Header=BB183_3 Depth=1
	s_or_b32 exec_lo, exec_lo, s0
	s_barrier_signal -1
	s_barrier_wait -1
	s_and_saveexec_b32 s0, s66
	s_cbranch_execz .LBB183_78
; %bb.77:                               ;   in Loop: Header=BB183_3 Depth=1
	s_delay_alu instid0(VALU_DEP_2) | instskip(NEXT) | instid1(VALU_DEP_2)
	v_xor_b32_e32 v43, 0x80000000, v13
	v_xor_b32_e32 v45, 0x80000000, v15
	s_delay_alu instid0(VALU_DEP_3)
	v_dual_mov_b32 v42, v12 :: v_dual_mov_b32 v44, v14
	ds_store_b128 v46, v[42:45]
.LBB183_78:                             ;   in Loop: Header=BB183_3 Depth=1
	s_or_b32 exec_lo, exec_lo, s0
	s_wait_dscnt 0x0
	s_barrier_signal -1
	s_barrier_wait -1
	s_barrier_signal -1
	s_barrier_wait -1
	s_and_saveexec_b32 s0, s3
; %bb.79:                               ;   in Loop: Header=BB183_3 Depth=1
	ds_store_b128 v50, v[12:15] offset:14208
; %bb.80:                               ;   in Loop: Header=BB183_3 Depth=1
	s_or_b32 exec_lo, exec_lo, s0
	s_wait_dscnt 0x0
	s_barrier_signal -1
	s_barrier_wait -1
	s_barrier_signal -1
	s_barrier_wait -1
	s_and_saveexec_b32 s0, s67
	s_cbranch_execz .LBB183_82
; %bb.81:                               ;   in Loop: Header=BB183_3 Depth=1
	ds_load_b128 v[12:15], v113
	s_wait_dscnt 0x0
	ds_store_b128 v144, v[12:15]
	ds_load_b128 v[12:15], v114
	s_wait_dscnt 0x0
	ds_store_b128 v145, v[12:15]
.LBB183_82:                             ;   in Loop: Header=BB183_3 Depth=1
	s_or_b32 exec_lo, exec_lo, s0
	s_wait_dscnt 0x0
	s_barrier_signal -1
	s_barrier_wait -1
	s_and_saveexec_b32 s0, s29
	s_cbranch_execz .LBB183_84
; %bb.83:                               ;   in Loop: Header=BB183_3 Depth=1
	s_mov_b32 s48, s53
	s_mov_b32 s50, s53
	;; [unrolled: 1-line block ×3, first 2 shown]
	v_mov_b64_e32 v[12:13], s[48:49]
	v_mov_b64_e32 v[14:15], s[50:51]
	ds_store_b128 v1, v[12:15] offset:12672
	ds_store_b128 v1, v[12:15] offset:13200
	ds_load_b128 v[12:15], v1 offset:13184
	s_wait_dscnt 0x0
	ds_store_b128 v1, v[12:15] offset:12688
.LBB183_84:                             ;   in Loop: Header=BB183_3 Depth=1
	s_or_b32 exec_lo, exec_lo, s0
	v_mov_b64_e32 v[14:15], 0
	v_mov_b64_e32 v[12:13], 0
	s_wait_dscnt 0x0
	s_barrier_signal -1
	s_barrier_wait -1
	global_wb scope:SCOPE_DEV
	s_wait_storecnt 0x0
	global_inv scope:SCOPE_DEV
	s_and_saveexec_b32 s0, s9
	s_cbranch_execz .LBB183_98
; %bb.85:                               ;   in Loop: Header=BB183_3 Depth=1
	ds_load_b128 v[12:15], v60 offset:16256
	ds_load_b128 v[42:45], v59 offset:12544
	v_readlane_b32 s22, v210, 0
	s_wait_dscnt 0x0
	v_mul_f64_e32 v[2:3], v[14:15], v[44:45]
	v_mul_f64_e32 v[44:45], v[12:13], v[44:45]
	s_delay_alu instid0(VALU_DEP_2) | instskip(NEXT) | instid1(VALU_DEP_2)
	v_fma_f64 v[2:3], v[12:13], v[42:43], -v[2:3]
	v_fmac_f64_e32 v[44:45], v[14:15], v[42:43]
	s_delay_alu instid0(VALU_DEP_2) | instskip(NEXT) | instid1(VALU_DEP_2)
	v_add_f64_e32 v[12:13], 0, v[2:3]
	v_add_f64_e32 v[14:15], 0, v[44:45]
	s_and_saveexec_b32 s1, s22
	s_cbranch_execz .LBB183_87
; %bb.86:                               ;   in Loop: Header=BB183_3 Depth=1
	ds_load_b128 v[42:45], v60 offset:16272
	ds_load_b128 v[202:205], v59 offset:13056
	s_wait_dscnt 0x0
	v_mul_f64_e32 v[2:3], v[44:45], v[204:205]
	s_delay_alu instid0(VALU_DEP_1) | instskip(SKIP_1) | instid1(VALU_DEP_2)
	v_fma_f64 v[2:3], v[42:43], v[202:203], -v[2:3]
	v_mul_f64_e32 v[42:43], v[42:43], v[204:205]
	v_add_f64_e32 v[12:13], v[12:13], v[2:3]
	s_delay_alu instid0(VALU_DEP_2) | instskip(NEXT) | instid1(VALU_DEP_1)
	v_fmac_f64_e32 v[42:43], v[44:45], v[202:203]
	v_add_f64_e32 v[14:15], v[14:15], v[42:43]
.LBB183_87:                             ;   in Loop: Header=BB183_3 Depth=1
	s_or_b32 exec_lo, exec_lo, s1
	s_and_saveexec_b32 s1, s11
	s_cbranch_execz .LBB183_89
; %bb.88:                               ;   in Loop: Header=BB183_3 Depth=1
	ds_load_b128 v[42:45], v60 offset:16288
	ds_load_b128 v[202:205], v59 offset:13568
	s_wait_dscnt 0x0
	v_mul_f64_e32 v[2:3], v[44:45], v[204:205]
	s_delay_alu instid0(VALU_DEP_1) | instskip(SKIP_1) | instid1(VALU_DEP_2)
	v_fma_f64 v[2:3], v[42:43], v[202:203], -v[2:3]
	v_mul_f64_e32 v[42:43], v[42:43], v[204:205]
	v_add_f64_e32 v[12:13], v[12:13], v[2:3]
	s_delay_alu instid0(VALU_DEP_2) | instskip(NEXT) | instid1(VALU_DEP_1)
	v_fmac_f64_e32 v[42:43], v[44:45], v[202:203]
	v_add_f64_e32 v[14:15], v[14:15], v[42:43]
.LBB183_89:                             ;   in Loop: Header=BB183_3 Depth=1
	s_or_b32 exec_lo, exec_lo, s1
	v_readlane_b32 s22, v210, 1
	s_and_saveexec_b32 s1, s22
	s_cbranch_execz .LBB183_91
; %bb.90:                               ;   in Loop: Header=BB183_3 Depth=1
	ds_load_b128 v[42:45], v60 offset:16304
	ds_load_b128 v[202:205], v59 offset:14080
	s_wait_dscnt 0x0
	v_mul_f64_e32 v[2:3], v[44:45], v[204:205]
	s_delay_alu instid0(VALU_DEP_1) | instskip(SKIP_1) | instid1(VALU_DEP_2)
	v_fma_f64 v[2:3], v[42:43], v[202:203], -v[2:3]
	v_mul_f64_e32 v[42:43], v[42:43], v[204:205]
	v_add_f64_e32 v[12:13], v[12:13], v[2:3]
	s_delay_alu instid0(VALU_DEP_2) | instskip(NEXT) | instid1(VALU_DEP_1)
	v_fmac_f64_e32 v[42:43], v[44:45], v[202:203]
	v_add_f64_e32 v[14:15], v[14:15], v[42:43]
.LBB183_91:                             ;   in Loop: Header=BB183_3 Depth=1
	s_or_b32 exec_lo, exec_lo, s1
	s_and_saveexec_b32 s1, s13
	s_cbranch_execz .LBB183_93
; %bb.92:                               ;   in Loop: Header=BB183_3 Depth=1
	ds_load_b128 v[42:45], v60 offset:16320
	ds_load_b128 v[202:205], v59 offset:14592
	s_wait_dscnt 0x0
	v_mul_f64_e32 v[2:3], v[44:45], v[204:205]
	s_delay_alu instid0(VALU_DEP_1) | instskip(SKIP_1) | instid1(VALU_DEP_2)
	v_fma_f64 v[2:3], v[42:43], v[202:203], -v[2:3]
	v_mul_f64_e32 v[42:43], v[42:43], v[204:205]
	v_add_f64_e32 v[12:13], v[12:13], v[2:3]
	s_delay_alu instid0(VALU_DEP_2) | instskip(NEXT) | instid1(VALU_DEP_1)
	v_fmac_f64_e32 v[42:43], v[44:45], v[202:203]
	v_add_f64_e32 v[14:15], v[14:15], v[42:43]
.LBB183_93:                             ;   in Loop: Header=BB183_3 Depth=1
	s_or_b32 exec_lo, exec_lo, s1
	v_readlane_b32 s22, v210, 2
	s_and_saveexec_b32 s1, s22
	s_cbranch_execnz .LBB183_524
; %bb.94:                               ;   in Loop: Header=BB183_3 Depth=1
	s_or_b32 exec_lo, exec_lo, s1
	s_and_saveexec_b32 s1, s6
	s_cbranch_execnz .LBB183_525
.LBB183_95:                             ;   in Loop: Header=BB183_3 Depth=1
	s_or_b32 exec_lo, exec_lo, s1
	s_and_saveexec_b32 s1, s8
	s_cbranch_execz .LBB183_97
.LBB183_96:                             ;   in Loop: Header=BB183_3 Depth=1
	ds_load_b128 v[42:45], v1 offset:16368
	ds_load_b128 v[202:205], v49 offset:16128
	s_wait_dscnt 0x0
	v_mul_f64_e32 v[2:3], v[44:45], v[204:205]
	s_delay_alu instid0(VALU_DEP_1) | instskip(SKIP_1) | instid1(VALU_DEP_2)
	v_fma_f64 v[2:3], v[42:43], v[202:203], -v[2:3]
	v_mul_f64_e32 v[42:43], v[42:43], v[204:205]
	v_add_f64_e32 v[12:13], v[12:13], v[2:3]
	s_delay_alu instid0(VALU_DEP_2) | instskip(NEXT) | instid1(VALU_DEP_1)
	v_fmac_f64_e32 v[42:43], v[44:45], v[202:203]
	v_add_f64_e32 v[14:15], v[14:15], v[42:43]
.LBB183_97:                             ;   in Loop: Header=BB183_3 Depth=1
	s_or_b32 exec_lo, exec_lo, s1
.LBB183_98:                             ;   in Loop: Header=BB183_3 Depth=1
	s_delay_alu instid0(SALU_CYCLE_1)
	s_or_b32 exec_lo, exec_lo, s0
	s_and_saveexec_b32 s0, s75
	s_cbranch_execz .LBB183_100
; %bb.99:                               ;   in Loop: Header=BB183_3 Depth=1
	s_delay_alu instid0(VALU_DEP_3) | instskip(NEXT) | instid1(VALU_DEP_2)
	v_xor_b32_e32 v43, 0x80000000, v13
	v_xor_b32_e32 v45, 0x80000000, v15
	s_delay_alu instid0(VALU_DEP_3)
	v_dual_mov_b32 v42, v12 :: v_dual_mov_b32 v44, v14
	ds_store_b128 v58, v[42:45]
.LBB183_100:                            ;   in Loop: Header=BB183_3 Depth=1
	s_or_b32 exec_lo, exec_lo, s0
	s_wait_loadcnt_dscnt 0x0
	s_barrier_signal -1
	s_barrier_wait -1
	s_and_saveexec_b32 s0, s76
	s_cbranch_execz .LBB183_102
; %bb.101:                              ;   in Loop: Header=BB183_3 Depth=1
	ds_load_b128 v[42:45], v58
	ds_load_b128 v[202:205], v59 offset:12032
	s_wait_dscnt 0x0
	v_mul_f64_e32 v[2:3], v[44:45], v[204:205]
	s_delay_alu instid0(VALU_DEP_1) | instskip(SKIP_1) | instid1(VALU_DEP_2)
	v_fma_f64 v[2:3], v[42:43], v[202:203], -v[2:3]
	v_mul_f64_e32 v[42:43], v[42:43], v[204:205]
	v_add_f64_e64 v[12:13], v[12:13], -v[2:3]
	s_delay_alu instid0(VALU_DEP_2) | instskip(NEXT) | instid1(VALU_DEP_1)
	v_fmac_f64_e32 v[42:43], v[44:45], v[202:203]
	v_add_f64_e64 v[14:15], v[14:15], -v[42:43]
.LBB183_102:                            ;   in Loop: Header=BB183_3 Depth=1
	s_or_b32 exec_lo, exec_lo, s0
	s_barrier_signal -1
	s_barrier_wait -1
	s_and_saveexec_b32 s0, s77
	s_cbranch_execz .LBB183_104
; %bb.103:                              ;   in Loop: Header=BB183_3 Depth=1
	s_delay_alu instid0(VALU_DEP_3) | instskip(NEXT) | instid1(VALU_DEP_2)
	v_xor_b32_e32 v43, 0x80000000, v13
	v_xor_b32_e32 v45, 0x80000000, v15
	s_delay_alu instid0(VALU_DEP_3)
	v_dual_mov_b32 v42, v12 :: v_dual_mov_b32 v44, v14
	ds_store_b128 v58, v[42:45]
.LBB183_104:                            ;   in Loop: Header=BB183_3 Depth=1
	s_or_b32 exec_lo, exec_lo, s0
	s_wait_dscnt 0x0
	s_barrier_signal -1
	s_barrier_wait -1
	s_and_saveexec_b32 s0, s78
	s_cbranch_execz .LBB183_106
; %bb.105:                              ;   in Loop: Header=BB183_3 Depth=1
	ds_load_b128 v[42:45], v58
	ds_load_b128 v[202:205], v59 offset:11520
	s_wait_dscnt 0x0
	v_mul_f64_e32 v[2:3], v[44:45], v[204:205]
	s_delay_alu instid0(VALU_DEP_1) | instskip(SKIP_1) | instid1(VALU_DEP_2)
	v_fma_f64 v[2:3], v[42:43], v[202:203], -v[2:3]
	v_mul_f64_e32 v[42:43], v[42:43], v[204:205]
	v_add_f64_e64 v[12:13], v[12:13], -v[2:3]
	s_delay_alu instid0(VALU_DEP_2) | instskip(NEXT) | instid1(VALU_DEP_1)
	v_fmac_f64_e32 v[42:43], v[44:45], v[202:203]
	v_add_f64_e64 v[14:15], v[14:15], -v[42:43]
.LBB183_106:                            ;   in Loop: Header=BB183_3 Depth=1
	s_or_b32 exec_lo, exec_lo, s0
	s_barrier_signal -1
	s_barrier_wait -1
	s_and_saveexec_b32 s0, s79
	s_cbranch_execz .LBB183_108
; %bb.107:                              ;   in Loop: Header=BB183_3 Depth=1
	s_delay_alu instid0(VALU_DEP_3) | instskip(NEXT) | instid1(VALU_DEP_2)
	v_xor_b32_e32 v43, 0x80000000, v13
	v_xor_b32_e32 v45, 0x80000000, v15
	s_delay_alu instid0(VALU_DEP_3)
	v_dual_mov_b32 v42, v12 :: v_dual_mov_b32 v44, v14
	ds_store_b128 v58, v[42:45]
.LBB183_108:                            ;   in Loop: Header=BB183_3 Depth=1
	s_or_b32 exec_lo, exec_lo, s0
	s_wait_dscnt 0x0
	;; [unrolled: 32-line block ×7, first 2 shown]
	s_barrier_signal -1
	s_barrier_wait -1
	s_barrier_signal -1
	s_barrier_wait -1
	s_and_saveexec_b32 s0, s9
; %bb.129:                              ;   in Loop: Header=BB183_3 Depth=1
	ds_store_b128 v61, v[12:15] offset:16128
; %bb.130:                              ;   in Loop: Header=BB183_3 Depth=1
	s_or_b32 exec_lo, exec_lo, s0
	s_wait_dscnt 0x0
	s_barrier_signal -1
	s_barrier_wait -1
	s_barrier_signal -1
	s_barrier_wait -1
	s_and_saveexec_b32 s0, s89
	s_cbranch_execz .LBB183_132
; %bb.131:                              ;   in Loop: Header=BB183_3 Depth=1
	ds_load_b128 v[12:15], v62
	s_wait_dscnt 0x0
	ds_store_b128 v146, v[12:15]
	ds_load_b128 v[12:15], v63
	s_wait_dscnt 0x0
	ds_store_b128 v147, v[12:15]
	;; [unrolled: 3-line block ×8, first 2 shown]
.LBB183_132:                            ;   in Loop: Header=BB183_3 Depth=1
	s_or_b32 exec_lo, exec_lo, s0
	s_wait_dscnt 0x0
	s_barrier_signal -1
	s_barrier_wait -1
	s_and_saveexec_b32 s0, s29
	s_cbranch_execz .LBB183_134
; %bb.133:                              ;   in Loop: Header=BB183_3 Depth=1
	s_mov_b32 s48, s53
	s_mov_b32 s50, s53
	s_mov_b32 s51, s53
	v_mov_b64_e32 v[12:13], s[48:49]
	v_mov_b64_e32 v[14:15], s[50:51]
	ds_store_b128 v1, v[12:15] offset:11616
	ds_store_b128 v1, v[12:15] offset:12144
	ds_load_b128 v[12:15], v1 offset:12128
	s_wait_dscnt 0x0
	ds_store_b128 v1, v[12:15] offset:11632
.LBB183_134:                            ;   in Loop: Header=BB183_3 Depth=1
	s_or_b32 exec_lo, exec_lo, s0
	v_mov_b64_e32 v[12:13], 0
	v_mov_b64_e32 v[14:15], 0
	s_wait_dscnt 0x0
	s_barrier_signal -1
	s_barrier_wait -1
	global_wb scope:SCOPE_DEV
	s_wait_storecnt 0x0
	global_inv scope:SCOPE_DEV
	s_and_saveexec_b32 s0, s3
	s_cbranch_execz .LBB183_138
; %bb.135:                              ;   in Loop: Header=BB183_3 Depth=1
	ds_load_b128 v[12:15], v48 offset:12128
	ds_load_b128 v[42:45], v47 offset:11584
	s_wait_dscnt 0x0
	v_mul_f64_e32 v[2:3], v[14:15], v[44:45]
	v_mul_f64_e32 v[44:45], v[12:13], v[44:45]
	s_delay_alu instid0(VALU_DEP_2) | instskip(NEXT) | instid1(VALU_DEP_2)
	v_fma_f64 v[2:3], v[12:13], v[42:43], -v[2:3]
	v_fmac_f64_e32 v[44:45], v[14:15], v[42:43]
	s_delay_alu instid0(VALU_DEP_2) | instskip(NEXT) | instid1(VALU_DEP_2)
	v_add_f64_e32 v[12:13], 0, v[2:3]
	v_add_f64_e32 v[14:15], 0, v[44:45]
	s_and_saveexec_b32 s1, s4
	s_cbranch_execz .LBB183_137
; %bb.136:                              ;   in Loop: Header=BB183_3 Depth=1
	ds_load_b128 v[42:45], v1 offset:12144
	ds_load_b128 v[202:205], v53 offset:12096
	s_wait_dscnt 0x0
	v_mul_f64_e32 v[2:3], v[44:45], v[204:205]
	s_delay_alu instid0(VALU_DEP_1) | instskip(SKIP_1) | instid1(VALU_DEP_2)
	v_fma_f64 v[2:3], v[42:43], v[202:203], -v[2:3]
	v_mul_f64_e32 v[42:43], v[42:43], v[204:205]
	v_add_f64_e32 v[12:13], v[12:13], v[2:3]
	s_delay_alu instid0(VALU_DEP_2) | instskip(NEXT) | instid1(VALU_DEP_1)
	v_fmac_f64_e32 v[42:43], v[44:45], v[202:203]
	v_add_f64_e32 v[14:15], v[14:15], v[42:43]
.LBB183_137:                            ;   in Loop: Header=BB183_3 Depth=1
	s_or_b32 exec_lo, exec_lo, s1
.LBB183_138:                            ;   in Loop: Header=BB183_3 Depth=1
	s_delay_alu instid0(SALU_CYCLE_1)
	s_or_b32 exec_lo, exec_lo, s0
	s_and_saveexec_b32 s0, s65
	s_cbranch_execz .LBB183_140
; %bb.139:                              ;   in Loop: Header=BB183_3 Depth=1
	s_delay_alu instid0(VALU_DEP_2) | instskip(NEXT) | instid1(VALU_DEP_2)
	v_xor_b32_e32 v43, 0x80000000, v13
	v_xor_b32_e32 v45, 0x80000000, v15
	s_delay_alu instid0(VALU_DEP_3)
	v_dual_mov_b32 v42, v12 :: v_dual_mov_b32 v44, v14
	ds_store_b128 v46, v[42:45]
.LBB183_140:                            ;   in Loop: Header=BB183_3 Depth=1
	s_or_b32 exec_lo, exec_lo, s0
	s_wait_loadcnt_dscnt 0x0
	s_barrier_signal -1
	s_barrier_wait -1
	s_and_saveexec_b32 s0, s66
	s_cbranch_execz .LBB183_142
; %bb.141:                              ;   in Loop: Header=BB183_3 Depth=1
	ds_load_b128 v[42:45], v46
	ds_load_b128 v[202:205], v1 offset:11072
	s_wait_dscnt 0x0
	v_mul_f64_e32 v[2:3], v[42:43], v[202:203]
	v_mul_f64_e32 v[42:43], v[42:43], v[204:205]
	s_delay_alu instid0(VALU_DEP_2) | instskip(NEXT) | instid1(VALU_DEP_2)
	v_fma_f64 v[2:3], v[44:45], v[204:205], -v[2:3]
	v_fmac_f64_e32 v[42:43], v[44:45], v[202:203]
	s_delay_alu instid0(VALU_DEP_2) | instskip(NEXT) | instid1(VALU_DEP_2)
	v_add_f64_e32 v[12:13], v[12:13], v[2:3]
	v_add_f64_e64 v[14:15], v[14:15], -v[42:43]
.LBB183_142:                            ;   in Loop: Header=BB183_3 Depth=1
	s_or_b32 exec_lo, exec_lo, s0
	s_barrier_signal -1
	s_barrier_wait -1
	s_and_saveexec_b32 s0, s66
	s_cbranch_execz .LBB183_144
; %bb.143:                              ;   in Loop: Header=BB183_3 Depth=1
	s_delay_alu instid0(VALU_DEP_2) | instskip(NEXT) | instid1(VALU_DEP_2)
	v_xor_b32_e32 v43, 0x80000000, v13
	v_xor_b32_e32 v45, 0x80000000, v15
	s_delay_alu instid0(VALU_DEP_3)
	v_dual_mov_b32 v42, v12 :: v_dual_mov_b32 v44, v14
	ds_store_b128 v46, v[42:45]
.LBB183_144:                            ;   in Loop: Header=BB183_3 Depth=1
	s_or_b32 exec_lo, exec_lo, s0
	s_wait_dscnt 0x0
	s_barrier_signal -1
	s_barrier_wait -1
	s_barrier_signal -1
	s_barrier_wait -1
	s_and_saveexec_b32 s0, s3
; %bb.145:                              ;   in Loop: Header=BB183_3 Depth=1
	ds_store_b128 v50, v[12:15] offset:12096
; %bb.146:                              ;   in Loop: Header=BB183_3 Depth=1
	s_or_b32 exec_lo, exec_lo, s0
	s_wait_dscnt 0x0
	s_barrier_signal -1
	s_barrier_wait -1
	s_barrier_signal -1
	s_barrier_wait -1
	s_and_saveexec_b32 s0, s67
	s_cbranch_execz .LBB183_148
; %bb.147:                              ;   in Loop: Header=BB183_3 Depth=1
	ds_load_b128 v[12:15], v105
	s_wait_dscnt 0x0
	ds_store_b128 v154, v[12:15]
	ds_load_b128 v[12:15], v106
	s_wait_dscnt 0x0
	ds_store_b128 v155, v[12:15]
.LBB183_148:                            ;   in Loop: Header=BB183_3 Depth=1
	s_or_b32 exec_lo, exec_lo, s0
	s_wait_dscnt 0x0
	s_barrier_signal -1
	s_barrier_wait -1
	s_and_saveexec_b32 s0, s29
	s_cbranch_execz .LBB183_150
; %bb.149:                              ;   in Loop: Header=BB183_3 Depth=1
	s_mov_b32 s48, s53
	s_mov_b32 s50, s53
	;; [unrolled: 1-line block ×3, first 2 shown]
	v_mov_b64_e32 v[12:13], s[48:49]
	v_mov_b64_e32 v[14:15], s[50:51]
	ds_store_b128 v1, v[12:15] offset:10560
	ds_store_b128 v1, v[12:15] offset:11088
	ds_load_b128 v[12:15], v1 offset:11072
	s_wait_dscnt 0x0
	ds_store_b128 v1, v[12:15] offset:10576
.LBB183_150:                            ;   in Loop: Header=BB183_3 Depth=1
	s_or_b32 exec_lo, exec_lo, s0
	v_mov_b64_e32 v[14:15], 0
	v_mov_b64_e32 v[12:13], 0
	s_wait_dscnt 0x0
	s_barrier_signal -1
	s_barrier_wait -1
	global_wb scope:SCOPE_DEV
	s_wait_storecnt 0x0
	global_inv scope:SCOPE_DEV
	s_and_saveexec_b32 s0, s6
	s_cbranch_execz .LBB183_156
; %bb.151:                              ;   in Loop: Header=BB183_3 Depth=1
	ds_load_b128 v[12:15], v56 offset:12096
	ds_load_b128 v[42:45], v55 offset:10496
	s_wait_dscnt 0x0
	v_mul_f64_e32 v[2:3], v[14:15], v[44:45]
	v_mul_f64_e32 v[44:45], v[12:13], v[44:45]
	s_delay_alu instid0(VALU_DEP_2) | instskip(NEXT) | instid1(VALU_DEP_2)
	v_fma_f64 v[2:3], v[12:13], v[42:43], -v[2:3]
	v_fmac_f64_e32 v[44:45], v[14:15], v[42:43]
	s_delay_alu instid0(VALU_DEP_2) | instskip(NEXT) | instid1(VALU_DEP_2)
	v_add_f64_e32 v[12:13], 0, v[2:3]
	v_add_f64_e32 v[14:15], 0, v[44:45]
	s_and_saveexec_b32 s1, s7
	s_cbranch_execnz .LBB183_526
; %bb.152:                              ;   in Loop: Header=BB183_3 Depth=1
	s_or_b32 exec_lo, exec_lo, s1
	s_and_saveexec_b32 s1, s8
	s_cbranch_execnz .LBB183_527
.LBB183_153:                            ;   in Loop: Header=BB183_3 Depth=1
	s_or_b32 exec_lo, exec_lo, s1
	s_and_saveexec_b32 s1, s3
	s_cbranch_execz .LBB183_155
.LBB183_154:                            ;   in Loop: Header=BB183_3 Depth=1
	ds_load_b128 v[42:45], v1 offset:12144
	ds_load_b128 v[202:205], v104 offset:12032
	s_wait_dscnt 0x0
	v_mul_f64_e32 v[2:3], v[44:45], v[204:205]
	s_delay_alu instid0(VALU_DEP_1) | instskip(SKIP_1) | instid1(VALU_DEP_2)
	v_fma_f64 v[2:3], v[42:43], v[202:203], -v[2:3]
	v_mul_f64_e32 v[42:43], v[42:43], v[204:205]
	v_add_f64_e32 v[12:13], v[12:13], v[2:3]
	s_delay_alu instid0(VALU_DEP_2) | instskip(NEXT) | instid1(VALU_DEP_1)
	v_fmac_f64_e32 v[42:43], v[44:45], v[202:203]
	v_add_f64_e32 v[14:15], v[14:15], v[42:43]
.LBB183_155:                            ;   in Loop: Header=BB183_3 Depth=1
	s_or_b32 exec_lo, exec_lo, s1
.LBB183_156:                            ;   in Loop: Header=BB183_3 Depth=1
	s_delay_alu instid0(SALU_CYCLE_1)
	s_or_b32 exec_lo, exec_lo, s0
	s_and_saveexec_b32 s0, s68
	s_cbranch_execz .LBB183_158
; %bb.157:                              ;   in Loop: Header=BB183_3 Depth=1
	s_delay_alu instid0(VALU_DEP_1) | instskip(NEXT) | instid1(VALU_DEP_3)
	v_xor_b32_e32 v45, 0x80000000, v15
	v_xor_b32_e32 v43, 0x80000000, v13
	s_delay_alu instid0(VALU_DEP_3)
	v_dual_mov_b32 v42, v12 :: v_dual_mov_b32 v44, v14
	ds_store_b128 v54, v[42:45]
.LBB183_158:                            ;   in Loop: Header=BB183_3 Depth=1
	s_or_b32 exec_lo, exec_lo, s0
	s_wait_loadcnt_dscnt 0x0
	s_barrier_signal -1
	s_barrier_wait -1
	s_and_saveexec_b32 s0, s69
	s_cbranch_execz .LBB183_160
; %bb.159:                              ;   in Loop: Header=BB183_3 Depth=1
	ds_load_b128 v[42:45], v54
	ds_load_b128 v[202:205], v55 offset:9984
	s_wait_dscnt 0x0
	v_mul_f64_e32 v[2:3], v[44:45], v[204:205]
	s_delay_alu instid0(VALU_DEP_1) | instskip(SKIP_1) | instid1(VALU_DEP_2)
	v_fma_f64 v[2:3], v[42:43], v[202:203], -v[2:3]
	v_mul_f64_e32 v[42:43], v[42:43], v[204:205]
	v_add_f64_e64 v[12:13], v[12:13], -v[2:3]
	s_delay_alu instid0(VALU_DEP_2) | instskip(NEXT) | instid1(VALU_DEP_1)
	v_fmac_f64_e32 v[42:43], v[44:45], v[202:203]
	v_add_f64_e64 v[14:15], v[14:15], -v[42:43]
.LBB183_160:                            ;   in Loop: Header=BB183_3 Depth=1
	s_or_b32 exec_lo, exec_lo, s0
	s_barrier_signal -1
	s_barrier_wait -1
	s_and_saveexec_b32 s0, s70
	s_cbranch_execz .LBB183_162
; %bb.161:                              ;   in Loop: Header=BB183_3 Depth=1
	s_delay_alu instid0(VALU_DEP_1) | instskip(NEXT) | instid1(VALU_DEP_3)
	v_xor_b32_e32 v45, 0x80000000, v15
	v_xor_b32_e32 v43, 0x80000000, v13
	s_delay_alu instid0(VALU_DEP_3)
	v_dual_mov_b32 v42, v12 :: v_dual_mov_b32 v44, v14
	ds_store_b128 v54, v[42:45]
.LBB183_162:                            ;   in Loop: Header=BB183_3 Depth=1
	s_or_b32 exec_lo, exec_lo, s0
	s_wait_dscnt 0x0
	s_barrier_signal -1
	s_barrier_wait -1
	s_and_saveexec_b32 s0, s71
	s_cbranch_execz .LBB183_164
; %bb.163:                              ;   in Loop: Header=BB183_3 Depth=1
	ds_load_b128 v[42:45], v54
	ds_load_b128 v[202:205], v55 offset:9472
	s_wait_dscnt 0x0
	v_mul_f64_e32 v[2:3], v[44:45], v[204:205]
	s_delay_alu instid0(VALU_DEP_1) | instskip(SKIP_1) | instid1(VALU_DEP_2)
	v_fma_f64 v[2:3], v[42:43], v[202:203], -v[2:3]
	v_mul_f64_e32 v[42:43], v[42:43], v[204:205]
	v_add_f64_e64 v[12:13], v[12:13], -v[2:3]
	s_delay_alu instid0(VALU_DEP_2) | instskip(NEXT) | instid1(VALU_DEP_1)
	v_fmac_f64_e32 v[42:43], v[44:45], v[202:203]
	v_add_f64_e64 v[14:15], v[14:15], -v[42:43]
.LBB183_164:                            ;   in Loop: Header=BB183_3 Depth=1
	s_or_b32 exec_lo, exec_lo, s0
	s_barrier_signal -1
	s_barrier_wait -1
	s_and_saveexec_b32 s0, s72
	s_cbranch_execz .LBB183_166
; %bb.165:                              ;   in Loop: Header=BB183_3 Depth=1
	s_delay_alu instid0(VALU_DEP_1) | instskip(NEXT) | instid1(VALU_DEP_3)
	v_xor_b32_e32 v45, 0x80000000, v15
	v_xor_b32_e32 v43, 0x80000000, v13
	s_delay_alu instid0(VALU_DEP_3)
	v_dual_mov_b32 v42, v12 :: v_dual_mov_b32 v44, v14
	ds_store_b128 v54, v[42:45]
.LBB183_166:                            ;   in Loop: Header=BB183_3 Depth=1
	s_or_b32 exec_lo, exec_lo, s0
	s_wait_dscnt 0x0
	;; [unrolled: 32-line block ×3, first 2 shown]
	s_barrier_signal -1
	s_barrier_wait -1
	s_barrier_signal -1
	s_barrier_wait -1
	s_and_saveexec_b32 s0, s6
; %bb.171:                              ;   in Loop: Header=BB183_3 Depth=1
	ds_store_b128 v57, v[12:15] offset:12032
; %bb.172:                              ;   in Loop: Header=BB183_3 Depth=1
	s_or_b32 exec_lo, exec_lo, s0
	s_wait_dscnt 0x0
	s_barrier_signal -1
	s_barrier_wait -1
	s_barrier_signal -1
	s_barrier_wait -1
	s_and_saveexec_b32 s0, s74
	s_cbranch_execz .LBB183_174
; %bb.173:                              ;   in Loop: Header=BB183_3 Depth=1
	ds_load_b128 v[12:15], v116
	s_wait_dscnt 0x0
	ds_store_b128 v156, v[12:15]
	ds_load_b128 v[12:15], v119
	s_wait_dscnt 0x0
	ds_store_b128 v159, v[12:15]
	;; [unrolled: 3-line block ×4, first 2 shown]
.LBB183_174:                            ;   in Loop: Header=BB183_3 Depth=1
	s_or_b32 exec_lo, exec_lo, s0
	s_wait_dscnt 0x0
	s_barrier_signal -1
	s_barrier_wait -1
	s_and_saveexec_b32 s0, s29
	s_cbranch_execz .LBB183_176
; %bb.175:                              ;   in Loop: Header=BB183_3 Depth=1
	s_mov_b32 s48, s53
	s_mov_b32 s50, s53
	;; [unrolled: 1-line block ×3, first 2 shown]
	v_mov_b64_e32 v[12:13], s[48:49]
	v_mov_b64_e32 v[14:15], s[50:51]
	ds_store_b128 v1, v[12:15] offset:9504
	ds_store_b128 v1, v[12:15] offset:10032
	ds_load_b128 v[12:15], v1 offset:10016
	s_wait_dscnt 0x0
	ds_store_b128 v1, v[12:15] offset:9520
.LBB183_176:                            ;   in Loop: Header=BB183_3 Depth=1
	s_or_b32 exec_lo, exec_lo, s0
	v_mov_b64_e32 v[12:13], 0
	v_mov_b64_e32 v[14:15], 0
	s_wait_dscnt 0x0
	s_barrier_signal -1
	s_barrier_wait -1
	global_wb scope:SCOPE_DEV
	s_wait_storecnt 0x0
	global_inv scope:SCOPE_DEV
	s_and_saveexec_b32 s0, s3
	s_cbranch_execz .LBB183_180
; %bb.177:                              ;   in Loop: Header=BB183_3 Depth=1
	ds_load_b128 v[12:15], v48 offset:10016
	ds_load_b128 v[42:45], v47 offset:9472
	s_wait_dscnt 0x0
	v_mul_f64_e32 v[2:3], v[14:15], v[44:45]
	v_mul_f64_e32 v[44:45], v[12:13], v[44:45]
	s_delay_alu instid0(VALU_DEP_2) | instskip(NEXT) | instid1(VALU_DEP_2)
	v_fma_f64 v[2:3], v[12:13], v[42:43], -v[2:3]
	v_fmac_f64_e32 v[44:45], v[14:15], v[42:43]
	s_delay_alu instid0(VALU_DEP_2) | instskip(NEXT) | instid1(VALU_DEP_2)
	v_add_f64_e32 v[12:13], 0, v[2:3]
	v_add_f64_e32 v[14:15], 0, v[44:45]
	s_and_saveexec_b32 s1, s4
	s_cbranch_execz .LBB183_179
; %bb.178:                              ;   in Loop: Header=BB183_3 Depth=1
	ds_load_b128 v[42:45], v1 offset:10032
	ds_load_b128 v[202:205], v115 offset:9984
	s_wait_dscnt 0x0
	v_mul_f64_e32 v[2:3], v[44:45], v[204:205]
	s_delay_alu instid0(VALU_DEP_1) | instskip(SKIP_1) | instid1(VALU_DEP_2)
	v_fma_f64 v[2:3], v[42:43], v[202:203], -v[2:3]
	v_mul_f64_e32 v[42:43], v[42:43], v[204:205]
	v_add_f64_e32 v[12:13], v[12:13], v[2:3]
	s_delay_alu instid0(VALU_DEP_2) | instskip(NEXT) | instid1(VALU_DEP_1)
	v_fmac_f64_e32 v[42:43], v[44:45], v[202:203]
	v_add_f64_e32 v[14:15], v[14:15], v[42:43]
.LBB183_179:                            ;   in Loop: Header=BB183_3 Depth=1
	s_or_b32 exec_lo, exec_lo, s1
.LBB183_180:                            ;   in Loop: Header=BB183_3 Depth=1
	s_delay_alu instid0(SALU_CYCLE_1)
	s_or_b32 exec_lo, exec_lo, s0
	s_and_saveexec_b32 s0, s65
	s_cbranch_execz .LBB183_182
; %bb.181:                              ;   in Loop: Header=BB183_3 Depth=1
	s_delay_alu instid0(VALU_DEP_2) | instskip(NEXT) | instid1(VALU_DEP_2)
	v_xor_b32_e32 v43, 0x80000000, v13
	v_xor_b32_e32 v45, 0x80000000, v15
	s_delay_alu instid0(VALU_DEP_3)
	v_dual_mov_b32 v42, v12 :: v_dual_mov_b32 v44, v14
	ds_store_b128 v46, v[42:45]
.LBB183_182:                            ;   in Loop: Header=BB183_3 Depth=1
	s_or_b32 exec_lo, exec_lo, s0
	s_wait_loadcnt_dscnt 0x0
	s_barrier_signal -1
	s_barrier_wait -1
	s_and_saveexec_b32 s0, s66
	s_cbranch_execz .LBB183_184
; %bb.183:                              ;   in Loop: Header=BB183_3 Depth=1
	ds_load_b128 v[42:45], v46
	ds_load_b128 v[202:205], v1 offset:8960
	s_wait_dscnt 0x0
	v_mul_f64_e32 v[2:3], v[42:43], v[202:203]
	v_mul_f64_e32 v[42:43], v[42:43], v[204:205]
	s_delay_alu instid0(VALU_DEP_2) | instskip(NEXT) | instid1(VALU_DEP_2)
	v_fma_f64 v[2:3], v[44:45], v[204:205], -v[2:3]
	v_fmac_f64_e32 v[42:43], v[44:45], v[202:203]
	s_delay_alu instid0(VALU_DEP_2) | instskip(NEXT) | instid1(VALU_DEP_2)
	v_add_f64_e32 v[12:13], v[12:13], v[2:3]
	v_add_f64_e64 v[14:15], v[14:15], -v[42:43]
.LBB183_184:                            ;   in Loop: Header=BB183_3 Depth=1
	s_or_b32 exec_lo, exec_lo, s0
	s_barrier_signal -1
	s_barrier_wait -1
	s_and_saveexec_b32 s0, s66
	s_cbranch_execz .LBB183_186
; %bb.185:                              ;   in Loop: Header=BB183_3 Depth=1
	s_delay_alu instid0(VALU_DEP_2) | instskip(NEXT) | instid1(VALU_DEP_2)
	v_xor_b32_e32 v43, 0x80000000, v13
	v_xor_b32_e32 v45, 0x80000000, v15
	s_delay_alu instid0(VALU_DEP_3)
	v_dual_mov_b32 v42, v12 :: v_dual_mov_b32 v44, v14
	ds_store_b128 v46, v[42:45]
.LBB183_186:                            ;   in Loop: Header=BB183_3 Depth=1
	s_or_b32 exec_lo, exec_lo, s0
	s_wait_dscnt 0x0
	s_barrier_signal -1
	s_barrier_wait -1
	s_barrier_signal -1
	s_barrier_wait -1
	s_and_saveexec_b32 s0, s3
; %bb.187:                              ;   in Loop: Header=BB183_3 Depth=1
	ds_store_b128 v50, v[12:15] offset:9984
; %bb.188:                              ;   in Loop: Header=BB183_3 Depth=1
	s_or_b32 exec_lo, exec_lo, s0
	s_wait_dscnt 0x0
	s_barrier_signal -1
	s_barrier_wait -1
	s_barrier_signal -1
	s_barrier_wait -1
	s_and_saveexec_b32 s0, s67
	s_cbranch_execz .LBB183_190
; %bb.189:                              ;   in Loop: Header=BB183_3 Depth=1
	ds_load_b128 v[12:15], v126
	s_wait_dscnt 0x0
	ds_store_b128 v132, v[12:15]
	ds_load_b128 v[12:15], v127
	s_wait_dscnt 0x0
	ds_store_b128 v133, v[12:15]
.LBB183_190:                            ;   in Loop: Header=BB183_3 Depth=1
	s_or_b32 exec_lo, exec_lo, s0
	s_wait_dscnt 0x0
	s_barrier_signal -1
	s_barrier_wait -1
	s_and_saveexec_b32 s0, s29
	s_cbranch_execz .LBB183_192
; %bb.191:                              ;   in Loop: Header=BB183_3 Depth=1
	s_mov_b32 s48, s53
	s_mov_b32 s50, s53
	;; [unrolled: 1-line block ×3, first 2 shown]
	v_mov_b64_e32 v[12:13], s[48:49]
	v_mov_b64_e32 v[14:15], s[50:51]
	ds_store_b128 v1, v[12:15] offset:8448
	ds_store_b128 v1, v[12:15] offset:8976
	ds_load_b128 v[12:15], v1 offset:8960
	s_wait_dscnt 0x0
	ds_store_b128 v1, v[12:15] offset:8464
.LBB183_192:                            ;   in Loop: Header=BB183_3 Depth=1
	s_or_b32 exec_lo, exec_lo, s0
	v_mov_b64_e32 v[14:15], 0
	v_mov_b64_e32 v[12:13], 0
	s_wait_dscnt 0x0
	s_barrier_signal -1
	s_barrier_wait -1
	global_wb scope:SCOPE_DEV
	s_wait_storecnt 0x0
	global_inv scope:SCOPE_DEV
	s_and_saveexec_b32 s0, s15
	s_cbranch_execz .LBB183_216
; %bb.193:                              ;   in Loop: Header=BB183_3 Depth=1
	ds_load_b128 v[12:15], v72 offset:16128
	ds_load_b128 v[42:45], v71 offset:8192
	v_readlane_b32 s22, v210, 18
	s_wait_dscnt 0x0
	v_mul_f64_e32 v[2:3], v[14:15], v[44:45]
	v_mul_f64_e32 v[44:45], v[12:13], v[44:45]
	s_delay_alu instid0(VALU_DEP_2) | instskip(NEXT) | instid1(VALU_DEP_2)
	v_fma_f64 v[2:3], v[12:13], v[42:43], -v[2:3]
	v_fmac_f64_e32 v[44:45], v[14:15], v[42:43]
	s_delay_alu instid0(VALU_DEP_2) | instskip(NEXT) | instid1(VALU_DEP_2)
	v_add_f64_e32 v[12:13], 0, v[2:3]
	v_add_f64_e32 v[14:15], 0, v[44:45]
	s_and_saveexec_b32 s1, s22
	s_cbranch_execz .LBB183_195
; %bb.194:                              ;   in Loop: Header=BB183_3 Depth=1
	ds_load_b128 v[42:45], v72 offset:16144
	ds_load_b128 v[202:205], v71 offset:8704
	s_wait_dscnt 0x0
	v_mul_f64_e32 v[2:3], v[44:45], v[204:205]
	s_delay_alu instid0(VALU_DEP_1) | instskip(SKIP_1) | instid1(VALU_DEP_2)
	v_fma_f64 v[2:3], v[42:43], v[202:203], -v[2:3]
	v_mul_f64_e32 v[42:43], v[42:43], v[204:205]
	v_add_f64_e32 v[12:13], v[12:13], v[2:3]
	s_delay_alu instid0(VALU_DEP_2) | instskip(NEXT) | instid1(VALU_DEP_1)
	v_fmac_f64_e32 v[42:43], v[44:45], v[202:203]
	v_add_f64_e32 v[14:15], v[14:15], v[42:43]
.LBB183_195:                            ;   in Loop: Header=BB183_3 Depth=1
	s_or_b32 exec_lo, exec_lo, s1
	v_readlane_b32 s22, v210, 19
	s_and_saveexec_b32 s1, s22
	s_cbranch_execz .LBB183_197
; %bb.196:                              ;   in Loop: Header=BB183_3 Depth=1
	ds_load_b128 v[42:45], v72 offset:16160
	ds_load_b128 v[202:205], v71 offset:9216
	s_wait_dscnt 0x0
	v_mul_f64_e32 v[2:3], v[44:45], v[204:205]
	s_delay_alu instid0(VALU_DEP_1) | instskip(SKIP_1) | instid1(VALU_DEP_2)
	v_fma_f64 v[2:3], v[42:43], v[202:203], -v[2:3]
	v_mul_f64_e32 v[42:43], v[42:43], v[204:205]
	v_add_f64_e32 v[12:13], v[12:13], v[2:3]
	s_delay_alu instid0(VALU_DEP_2) | instskip(NEXT) | instid1(VALU_DEP_1)
	v_fmac_f64_e32 v[42:43], v[44:45], v[202:203]
	v_add_f64_e32 v[14:15], v[14:15], v[42:43]
.LBB183_197:                            ;   in Loop: Header=BB183_3 Depth=1
	s_or_b32 exec_lo, exec_lo, s1
	v_readlane_b32 s22, v210, 20
	;; [unrolled: 17-line block ×6, first 2 shown]
	s_and_saveexec_b32 s1, s22
	s_cbranch_execnz .LBB183_528
; %bb.206:                              ;   in Loop: Header=BB183_3 Depth=1
	s_or_b32 exec_lo, exec_lo, s1
	s_and_saveexec_b32 s1, s25
	s_cbranch_execnz .LBB183_529
.LBB183_207:                            ;   in Loop: Header=BB183_3 Depth=1
	s_or_b32 exec_lo, exec_lo, s1
	s_and_saveexec_b32 s1, s26
	s_cbranch_execnz .LBB183_530
.LBB183_208:                            ;   in Loop: Header=BB183_3 Depth=1
	s_or_b32 exec_lo, exec_lo, s1
	s_and_saveexec_b32 s1, s27
	s_cbranch_execnz .LBB183_531
.LBB183_209:                            ;   in Loop: Header=BB183_3 Depth=1
	s_or_b32 exec_lo, exec_lo, s1
	s_and_saveexec_b32 s1, s18
	s_cbranch_execnz .LBB183_532
.LBB183_210:                            ;   in Loop: Header=BB183_3 Depth=1
	s_or_b32 exec_lo, exec_lo, s1
	s_and_saveexec_b32 s1, s9
	s_cbranch_execnz .LBB183_533
.LBB183_211:                            ;   in Loop: Header=BB183_3 Depth=1
	s_or_b32 exec_lo, exec_lo, s1
	s_and_saveexec_b32 s1, s11
	s_cbranch_execnz .LBB183_534
.LBB183_212:                            ;   in Loop: Header=BB183_3 Depth=1
	s_or_b32 exec_lo, exec_lo, s1
	s_and_saveexec_b32 s1, s13
	s_cbranch_execnz .LBB183_535
.LBB183_213:                            ;   in Loop: Header=BB183_3 Depth=1
	s_or_b32 exec_lo, exec_lo, s1
	s_and_saveexec_b32 s1, s6
	s_cbranch_execz .LBB183_215
.LBB183_214:                            ;   in Loop: Header=BB183_3 Depth=1
	ds_load_b128 v[42:45], v1 offset:16368
	ds_load_b128 v[202:205], v49 offset:15872
	s_wait_dscnt 0x0
	v_mul_f64_e32 v[2:3], v[44:45], v[204:205]
	s_delay_alu instid0(VALU_DEP_1) | instskip(SKIP_1) | instid1(VALU_DEP_2)
	v_fma_f64 v[2:3], v[42:43], v[202:203], -v[2:3]
	v_mul_f64_e32 v[42:43], v[42:43], v[204:205]
	v_add_f64_e32 v[12:13], v[12:13], v[2:3]
	s_delay_alu instid0(VALU_DEP_2) | instskip(NEXT) | instid1(VALU_DEP_1)
	v_fmac_f64_e32 v[42:43], v[44:45], v[202:203]
	v_add_f64_e32 v[14:15], v[14:15], v[42:43]
.LBB183_215:                            ;   in Loop: Header=BB183_3 Depth=1
	s_or_b32 exec_lo, exec_lo, s1
.LBB183_216:                            ;   in Loop: Header=BB183_3 Depth=1
	s_delay_alu instid0(SALU_CYCLE_1) | instskip(NEXT) | instid1(SALU_CYCLE_1)
	s_or_b32 exec_lo, exec_lo, s0
	s_mov_b32 s0, exec_lo
	v_readlane_b32 s1, v210, 3
	s_and_b32 s1, s0, s1
	s_delay_alu instid0(SALU_CYCLE_1)
	s_mov_b32 exec_lo, s1
	s_cbranch_execz .LBB183_218
; %bb.217:                              ;   in Loop: Header=BB183_3 Depth=1
	v_xor_b32_e32 v45, 0x80000000, v15
	v_xor_b32_e32 v43, 0x80000000, v13
	v_dual_mov_b32 v42, v12 :: v_dual_mov_b32 v44, v14
	ds_store_b128 v70, v[42:45]
.LBB183_218:                            ;   in Loop: Header=BB183_3 Depth=1
	s_or_b32 exec_lo, exec_lo, s0
	s_wait_loadcnt_dscnt 0x0
	s_barrier_signal -1
	s_barrier_wait -1
	s_mov_b32 s0, exec_lo
	v_readlane_b32 s1, v210, 4
	s_and_b32 s1, s0, s1
	s_delay_alu instid0(SALU_CYCLE_1)
	s_mov_b32 exec_lo, s1
	s_cbranch_execz .LBB183_220
; %bb.219:                              ;   in Loop: Header=BB183_3 Depth=1
	ds_load_b128 v[42:45], v70
	ds_load_b128 v[202:205], v71 offset:7680
	s_wait_dscnt 0x0
	v_mul_f64_e32 v[2:3], v[44:45], v[204:205]
	s_delay_alu instid0(VALU_DEP_1) | instskip(SKIP_1) | instid1(VALU_DEP_2)
	v_fma_f64 v[2:3], v[42:43], v[202:203], -v[2:3]
	v_mul_f64_e32 v[42:43], v[42:43], v[204:205]
	v_add_f64_e64 v[12:13], v[12:13], -v[2:3]
	s_delay_alu instid0(VALU_DEP_2) | instskip(NEXT) | instid1(VALU_DEP_1)
	v_fmac_f64_e32 v[42:43], v[44:45], v[202:203]
	v_add_f64_e64 v[14:15], v[14:15], -v[42:43]
.LBB183_220:                            ;   in Loop: Header=BB183_3 Depth=1
	s_or_b32 exec_lo, exec_lo, s0
	s_barrier_signal -1
	s_barrier_wait -1
	s_mov_b32 s0, exec_lo
	v_readlane_b32 s1, v210, 5
	s_and_b32 s1, s0, s1
	s_delay_alu instid0(SALU_CYCLE_1)
	s_mov_b32 exec_lo, s1
	s_cbranch_execz .LBB183_222
; %bb.221:                              ;   in Loop: Header=BB183_3 Depth=1
	v_xor_b32_e32 v45, 0x80000000, v15
	v_xor_b32_e32 v43, 0x80000000, v13
	v_dual_mov_b32 v42, v12 :: v_dual_mov_b32 v44, v14
	ds_store_b128 v70, v[42:45]
.LBB183_222:                            ;   in Loop: Header=BB183_3 Depth=1
	s_or_b32 exec_lo, exec_lo, s0
	s_wait_dscnt 0x0
	s_barrier_signal -1
	s_barrier_wait -1
	s_mov_b32 s0, exec_lo
	v_readlane_b32 s1, v210, 6
	s_and_b32 s1, s0, s1
	s_delay_alu instid0(SALU_CYCLE_1)
	s_mov_b32 exec_lo, s1
	s_cbranch_execz .LBB183_224
; %bb.223:                              ;   in Loop: Header=BB183_3 Depth=1
	ds_load_b128 v[42:45], v70
	ds_load_b128 v[202:205], v71 offset:7168
	s_wait_dscnt 0x0
	v_mul_f64_e32 v[2:3], v[44:45], v[204:205]
	s_delay_alu instid0(VALU_DEP_1) | instskip(SKIP_1) | instid1(VALU_DEP_2)
	v_fma_f64 v[2:3], v[42:43], v[202:203], -v[2:3]
	v_mul_f64_e32 v[42:43], v[42:43], v[204:205]
	v_add_f64_e64 v[12:13], v[12:13], -v[2:3]
	s_delay_alu instid0(VALU_DEP_2) | instskip(NEXT) | instid1(VALU_DEP_1)
	v_fmac_f64_e32 v[42:43], v[44:45], v[202:203]
	v_add_f64_e64 v[14:15], v[14:15], -v[42:43]
.LBB183_224:                            ;   in Loop: Header=BB183_3 Depth=1
	s_or_b32 exec_lo, exec_lo, s0
	s_barrier_signal -1
	s_barrier_wait -1
	s_mov_b32 s0, exec_lo
	v_readlane_b32 s1, v210, 7
	s_and_b32 s1, s0, s1
	s_delay_alu instid0(SALU_CYCLE_1)
	s_mov_b32 exec_lo, s1
	s_cbranch_execz .LBB183_226
; %bb.225:                              ;   in Loop: Header=BB183_3 Depth=1
	v_xor_b32_e32 v45, 0x80000000, v15
	v_xor_b32_e32 v43, 0x80000000, v13
	v_dual_mov_b32 v42, v12 :: v_dual_mov_b32 v44, v14
	ds_store_b128 v70, v[42:45]
.LBB183_226:                            ;   in Loop: Header=BB183_3 Depth=1
	s_or_b32 exec_lo, exec_lo, s0
	s_wait_dscnt 0x0
	;; [unrolled: 38-line block ×6, first 2 shown]
	s_barrier_signal -1
	s_barrier_wait -1
	s_mov_b32 s0, exec_lo
	v_readlane_b32 s1, v210, 16
	s_and_b32 s1, s0, s1
	s_delay_alu instid0(SALU_CYCLE_1)
	s_mov_b32 exec_lo, s1
	s_cbranch_execz .LBB183_244
; %bb.243:                              ;   in Loop: Header=BB183_3 Depth=1
	ds_load_b128 v[42:45], v70
	ds_load_b128 v[202:205], v71 offset:4608
	s_wait_dscnt 0x0
	v_mul_f64_e32 v[2:3], v[44:45], v[204:205]
	s_delay_alu instid0(VALU_DEP_1) | instskip(SKIP_1) | instid1(VALU_DEP_2)
	v_fma_f64 v[2:3], v[42:43], v[202:203], -v[2:3]
	v_mul_f64_e32 v[42:43], v[42:43], v[204:205]
	v_add_f64_e64 v[12:13], v[12:13], -v[2:3]
	s_delay_alu instid0(VALU_DEP_2) | instskip(NEXT) | instid1(VALU_DEP_1)
	v_fmac_f64_e32 v[42:43], v[44:45], v[202:203]
	v_add_f64_e64 v[14:15], v[14:15], -v[42:43]
.LBB183_244:                            ;   in Loop: Header=BB183_3 Depth=1
	s_or_b32 exec_lo, exec_lo, s0
	s_barrier_signal -1
	s_barrier_wait -1
	s_and_saveexec_b32 s0, s104
	s_cbranch_execz .LBB183_246
; %bb.245:                              ;   in Loop: Header=BB183_3 Depth=1
	s_delay_alu instid0(VALU_DEP_1) | instskip(NEXT) | instid1(VALU_DEP_4)
	v_xor_b32_e32 v45, 0x80000000, v15
	v_xor_b32_e32 v43, 0x80000000, v13
	s_delay_alu instid0(VALU_DEP_3)
	v_dual_mov_b32 v42, v12 :: v_dual_mov_b32 v44, v14
	ds_store_b128 v70, v[42:45]
.LBB183_246:                            ;   in Loop: Header=BB183_3 Depth=1
	s_or_b32 exec_lo, exec_lo, s0
	s_wait_dscnt 0x0
	s_barrier_signal -1
	s_barrier_wait -1
	s_and_saveexec_b32 s0, vcc_hi
	s_cbranch_execz .LBB183_248
; %bb.247:                              ;   in Loop: Header=BB183_3 Depth=1
	ds_load_b128 v[42:45], v70
	ds_load_b128 v[202:205], v71 offset:4096
	s_wait_dscnt 0x0
	v_mul_f64_e32 v[2:3], v[44:45], v[204:205]
	s_delay_alu instid0(VALU_DEP_1) | instskip(SKIP_1) | instid1(VALU_DEP_2)
	v_fma_f64 v[2:3], v[42:43], v[202:203], -v[2:3]
	v_mul_f64_e32 v[42:43], v[42:43], v[204:205]
	v_add_f64_e64 v[12:13], v[12:13], -v[2:3]
	s_delay_alu instid0(VALU_DEP_2) | instskip(NEXT) | instid1(VALU_DEP_1)
	v_fmac_f64_e32 v[42:43], v[44:45], v[202:203]
	v_add_f64_e64 v[14:15], v[14:15], -v[42:43]
.LBB183_248:                            ;   in Loop: Header=BB183_3 Depth=1
	s_or_b32 exec_lo, exec_lo, s0
	s_barrier_signal -1
	s_barrier_wait -1
	s_and_saveexec_b32 s0, s28
	s_cbranch_execz .LBB183_250
; %bb.249:                              ;   in Loop: Header=BB183_3 Depth=1
	s_delay_alu instid0(VALU_DEP_1) | instskip(NEXT) | instid1(VALU_DEP_4)
	v_xor_b32_e32 v45, 0x80000000, v15
	v_xor_b32_e32 v43, 0x80000000, v13
	s_delay_alu instid0(VALU_DEP_3)
	v_dual_mov_b32 v42, v12 :: v_dual_mov_b32 v44, v14
	ds_store_b128 v70, v[42:45]
.LBB183_250:                            ;   in Loop: Header=BB183_3 Depth=1
	s_or_b32 exec_lo, exec_lo, s0
	s_wait_dscnt 0x0
	s_barrier_signal -1
	s_barrier_wait -1
	s_and_saveexec_b32 s0, s10
	s_cbranch_execz .LBB183_252
; %bb.251:                              ;   in Loop: Header=BB183_3 Depth=1
	ds_load_b128 v[42:45], v70
	ds_load_b128 v[202:205], v71 offset:3584
	s_wait_dscnt 0x0
	v_mul_f64_e32 v[2:3], v[44:45], v[204:205]
	s_delay_alu instid0(VALU_DEP_1) | instskip(SKIP_1) | instid1(VALU_DEP_2)
	v_fma_f64 v[2:3], v[42:43], v[202:203], -v[2:3]
	v_mul_f64_e32 v[42:43], v[42:43], v[204:205]
	v_add_f64_e64 v[12:13], v[12:13], -v[2:3]
	s_delay_alu instid0(VALU_DEP_2) | instskip(NEXT) | instid1(VALU_DEP_1)
	v_fmac_f64_e32 v[42:43], v[44:45], v[202:203]
	v_add_f64_e64 v[14:15], v[14:15], -v[42:43]
.LBB183_252:                            ;   in Loop: Header=BB183_3 Depth=1
	s_or_b32 exec_lo, exec_lo, s0
	s_barrier_signal -1
	s_barrier_wait -1
	s_and_saveexec_b32 s0, s12
	s_cbranch_execz .LBB183_254
; %bb.253:                              ;   in Loop: Header=BB183_3 Depth=1
	s_delay_alu instid0(VALU_DEP_1) | instskip(NEXT) | instid1(VALU_DEP_4)
	v_xor_b32_e32 v45, 0x80000000, v15
	v_xor_b32_e32 v43, 0x80000000, v13
	s_delay_alu instid0(VALU_DEP_3)
	v_dual_mov_b32 v42, v12 :: v_dual_mov_b32 v44, v14
	ds_store_b128 v70, v[42:45]
.LBB183_254:                            ;   in Loop: Header=BB183_3 Depth=1
	s_or_b32 exec_lo, exec_lo, s0
	s_wait_dscnt 0x0
	s_barrier_signal -1
	s_barrier_wait -1
	s_and_saveexec_b32 s0, s14
	s_cbranch_execz .LBB183_256
; %bb.255:                              ;   in Loop: Header=BB183_3 Depth=1
	ds_load_b128 v[42:45], v70
	ds_load_b128 v[202:205], v71 offset:3072
	s_wait_dscnt 0x0
	v_mul_f64_e32 v[2:3], v[44:45], v[204:205]
	s_delay_alu instid0(VALU_DEP_1) | instskip(SKIP_1) | instid1(VALU_DEP_2)
	v_fma_f64 v[2:3], v[42:43], v[202:203], -v[2:3]
	v_mul_f64_e32 v[42:43], v[42:43], v[204:205]
	v_add_f64_e64 v[12:13], v[12:13], -v[2:3]
	s_delay_alu instid0(VALU_DEP_2) | instskip(NEXT) | instid1(VALU_DEP_1)
	v_fmac_f64_e32 v[42:43], v[44:45], v[202:203]
	v_add_f64_e64 v[14:15], v[14:15], -v[42:43]
.LBB183_256:                            ;   in Loop: Header=BB183_3 Depth=1
	s_or_b32 exec_lo, exec_lo, s0
	s_barrier_signal -1
	s_barrier_wait -1
	s_and_saveexec_b32 s0, s90
	s_cbranch_execz .LBB183_258
; %bb.257:                              ;   in Loop: Header=BB183_3 Depth=1
	s_delay_alu instid0(VALU_DEP_1) | instskip(NEXT) | instid1(VALU_DEP_4)
	v_xor_b32_e32 v45, 0x80000000, v15
	v_xor_b32_e32 v43, 0x80000000, v13
	s_delay_alu instid0(VALU_DEP_3)
	v_dual_mov_b32 v42, v12 :: v_dual_mov_b32 v44, v14
	ds_store_b128 v70, v[42:45]
.LBB183_258:                            ;   in Loop: Header=BB183_3 Depth=1
	s_or_b32 exec_lo, exec_lo, s0
	s_wait_dscnt 0x0
	s_barrier_signal -1
	s_barrier_wait -1
	s_and_saveexec_b32 s0, s91
	s_cbranch_execz .LBB183_260
; %bb.259:                              ;   in Loop: Header=BB183_3 Depth=1
	ds_load_b128 v[42:45], v70
	ds_load_b128 v[202:205], v71 offset:2560
	s_wait_dscnt 0x0
	v_mul_f64_e32 v[2:3], v[44:45], v[204:205]
	s_delay_alu instid0(VALU_DEP_1) | instskip(SKIP_1) | instid1(VALU_DEP_2)
	v_fma_f64 v[2:3], v[42:43], v[202:203], -v[2:3]
	v_mul_f64_e32 v[42:43], v[42:43], v[204:205]
	v_add_f64_e64 v[12:13], v[12:13], -v[2:3]
	s_delay_alu instid0(VALU_DEP_2) | instskip(NEXT) | instid1(VALU_DEP_1)
	v_fmac_f64_e32 v[42:43], v[44:45], v[202:203]
	v_add_f64_e64 v[14:15], v[14:15], -v[42:43]
.LBB183_260:                            ;   in Loop: Header=BB183_3 Depth=1
	s_or_b32 exec_lo, exec_lo, s0
	s_barrier_signal -1
	s_barrier_wait -1
	s_and_saveexec_b32 s0, s92
	s_cbranch_execz .LBB183_262
; %bb.261:                              ;   in Loop: Header=BB183_3 Depth=1
	s_delay_alu instid0(VALU_DEP_1) | instskip(NEXT) | instid1(VALU_DEP_4)
	v_xor_b32_e32 v45, 0x80000000, v15
	v_xor_b32_e32 v43, 0x80000000, v13
	s_delay_alu instid0(VALU_DEP_3)
	v_dual_mov_b32 v42, v12 :: v_dual_mov_b32 v44, v14
	ds_store_b128 v70, v[42:45]
.LBB183_262:                            ;   in Loop: Header=BB183_3 Depth=1
	s_or_b32 exec_lo, exec_lo, s0
	s_wait_dscnt 0x0
	s_barrier_signal -1
	s_barrier_wait -1
	s_and_saveexec_b32 s0, s93
	s_cbranch_execz .LBB183_264
; %bb.263:                              ;   in Loop: Header=BB183_3 Depth=1
	ds_load_b128 v[42:45], v70
	ds_load_b128 v[202:205], v71 offset:2048
	s_wait_dscnt 0x0
	v_mul_f64_e32 v[2:3], v[44:45], v[204:205]
	s_delay_alu instid0(VALU_DEP_1) | instskip(SKIP_1) | instid1(VALU_DEP_2)
	v_fma_f64 v[2:3], v[42:43], v[202:203], -v[2:3]
	v_mul_f64_e32 v[42:43], v[42:43], v[204:205]
	v_add_f64_e64 v[12:13], v[12:13], -v[2:3]
	s_delay_alu instid0(VALU_DEP_2) | instskip(NEXT) | instid1(VALU_DEP_1)
	v_fmac_f64_e32 v[42:43], v[44:45], v[202:203]
	v_add_f64_e64 v[14:15], v[14:15], -v[42:43]
.LBB183_264:                            ;   in Loop: Header=BB183_3 Depth=1
	s_or_b32 exec_lo, exec_lo, s0
	s_barrier_signal -1
	s_barrier_wait -1
	s_and_saveexec_b32 s0, s94
	s_cbranch_execz .LBB183_266
; %bb.265:                              ;   in Loop: Header=BB183_3 Depth=1
	s_delay_alu instid0(VALU_DEP_1) | instskip(NEXT) | instid1(VALU_DEP_4)
	v_xor_b32_e32 v45, 0x80000000, v15
	v_xor_b32_e32 v43, 0x80000000, v13
	s_delay_alu instid0(VALU_DEP_3)
	v_dual_mov_b32 v42, v12 :: v_dual_mov_b32 v44, v14
	ds_store_b128 v70, v[42:45]
.LBB183_266:                            ;   in Loop: Header=BB183_3 Depth=1
	s_or_b32 exec_lo, exec_lo, s0
	s_wait_dscnt 0x0
	s_barrier_signal -1
	s_barrier_wait -1
	s_and_saveexec_b32 s0, s95
	s_cbranch_execz .LBB183_268
; %bb.267:                              ;   in Loop: Header=BB183_3 Depth=1
	ds_load_b128 v[42:45], v70
	ds_load_b128 v[202:205], v71 offset:1536
	s_wait_dscnt 0x0
	v_mul_f64_e32 v[2:3], v[44:45], v[204:205]
	s_delay_alu instid0(VALU_DEP_1) | instskip(SKIP_1) | instid1(VALU_DEP_2)
	v_fma_f64 v[2:3], v[42:43], v[202:203], -v[2:3]
	v_mul_f64_e32 v[42:43], v[42:43], v[204:205]
	v_add_f64_e64 v[12:13], v[12:13], -v[2:3]
	s_delay_alu instid0(VALU_DEP_2) | instskip(NEXT) | instid1(VALU_DEP_1)
	v_fmac_f64_e32 v[42:43], v[44:45], v[202:203]
	v_add_f64_e64 v[14:15], v[14:15], -v[42:43]
.LBB183_268:                            ;   in Loop: Header=BB183_3 Depth=1
	s_or_b32 exec_lo, exec_lo, s0
	s_barrier_signal -1
	s_barrier_wait -1
	s_and_saveexec_b32 s0, s96
	s_cbranch_execz .LBB183_270
; %bb.269:                              ;   in Loop: Header=BB183_3 Depth=1
	s_delay_alu instid0(VALU_DEP_1) | instskip(NEXT) | instid1(VALU_DEP_4)
	v_xor_b32_e32 v45, 0x80000000, v15
	v_xor_b32_e32 v43, 0x80000000, v13
	s_delay_alu instid0(VALU_DEP_3)
	v_dual_mov_b32 v42, v12 :: v_dual_mov_b32 v44, v14
	ds_store_b128 v70, v[42:45]
.LBB183_270:                            ;   in Loop: Header=BB183_3 Depth=1
	s_or_b32 exec_lo, exec_lo, s0
	s_wait_dscnt 0x0
	s_barrier_signal -1
	s_barrier_wait -1
	s_and_saveexec_b32 s0, s97
	s_cbranch_execz .LBB183_272
; %bb.271:                              ;   in Loop: Header=BB183_3 Depth=1
	ds_load_b128 v[42:45], v70
	ds_load_b128 v[202:205], v71 offset:1024
	s_wait_dscnt 0x0
	v_mul_f64_e32 v[2:3], v[44:45], v[204:205]
	s_delay_alu instid0(VALU_DEP_1) | instskip(SKIP_1) | instid1(VALU_DEP_2)
	v_fma_f64 v[2:3], v[42:43], v[202:203], -v[2:3]
	v_mul_f64_e32 v[42:43], v[42:43], v[204:205]
	v_add_f64_e64 v[12:13], v[12:13], -v[2:3]
	s_delay_alu instid0(VALU_DEP_2) | instskip(NEXT) | instid1(VALU_DEP_1)
	v_fmac_f64_e32 v[42:43], v[44:45], v[202:203]
	v_add_f64_e64 v[14:15], v[14:15], -v[42:43]
.LBB183_272:                            ;   in Loop: Header=BB183_3 Depth=1
	s_or_b32 exec_lo, exec_lo, s0
	s_barrier_signal -1
	s_barrier_wait -1
	s_and_saveexec_b32 s0, s98
	s_cbranch_execz .LBB183_274
; %bb.273:                              ;   in Loop: Header=BB183_3 Depth=1
	s_delay_alu instid0(VALU_DEP_1) | instskip(NEXT) | instid1(VALU_DEP_4)
	v_xor_b32_e32 v45, 0x80000000, v15
	v_xor_b32_e32 v43, 0x80000000, v13
	s_delay_alu instid0(VALU_DEP_3)
	v_dual_mov_b32 v42, v12 :: v_dual_mov_b32 v44, v14
	ds_store_b128 v70, v[42:45]
.LBB183_274:                            ;   in Loop: Header=BB183_3 Depth=1
	s_or_b32 exec_lo, exec_lo, s0
	s_wait_dscnt 0x0
	s_barrier_signal -1
	s_barrier_wait -1
	s_and_saveexec_b32 s0, s99
	s_cbranch_execz .LBB183_276
; %bb.275:                              ;   in Loop: Header=BB183_3 Depth=1
	ds_load_b128 v[42:45], v70
	ds_load_b128 v[202:205], v1 offset:512
	s_wait_dscnt 0x0
	v_mul_f64_e32 v[2:3], v[44:45], v[204:205]
	s_delay_alu instid0(VALU_DEP_1) | instskip(SKIP_1) | instid1(VALU_DEP_2)
	v_fma_f64 v[2:3], v[42:43], v[202:203], -v[2:3]
	v_mul_f64_e32 v[42:43], v[42:43], v[204:205]
	v_add_f64_e64 v[12:13], v[12:13], -v[2:3]
	s_delay_alu instid0(VALU_DEP_2) | instskip(NEXT) | instid1(VALU_DEP_1)
	v_fmac_f64_e32 v[42:43], v[44:45], v[202:203]
	v_add_f64_e64 v[14:15], v[14:15], -v[42:43]
.LBB183_276:                            ;   in Loop: Header=BB183_3 Depth=1
	s_or_b32 exec_lo, exec_lo, s0
	s_barrier_signal -1
	s_barrier_wait -1
	s_and_saveexec_b32 s0, s99
	s_cbranch_execz .LBB183_278
; %bb.277:                              ;   in Loop: Header=BB183_3 Depth=1
	s_delay_alu instid0(VALU_DEP_1) | instskip(NEXT) | instid1(VALU_DEP_4)
	v_xor_b32_e32 v45, 0x80000000, v15
	v_xor_b32_e32 v43, 0x80000000, v13
	s_delay_alu instid0(VALU_DEP_3)
	v_dual_mov_b32 v42, v12 :: v_dual_mov_b32 v44, v14
	ds_store_b128 v70, v[42:45]
.LBB183_278:                            ;   in Loop: Header=BB183_3 Depth=1
	s_or_b32 exec_lo, exec_lo, s0
	s_wait_dscnt 0x0
	s_barrier_signal -1
	s_barrier_wait -1
	s_barrier_signal -1
	s_barrier_wait -1
	s_and_saveexec_b32 s0, s15
; %bb.279:                              ;   in Loop: Header=BB183_3 Depth=1
	ds_store_b128 v73, v[12:15] offset:15872
; %bb.280:                              ;   in Loop: Header=BB183_3 Depth=1
	s_or_b32 exec_lo, exec_lo, s0
	s_wait_dscnt 0x0
	s_barrier_signal -1
	s_barrier_wait -1
	s_barrier_signal -1
	s_barrier_wait -1
	s_and_saveexec_b32 s0, s100
	s_cbranch_execz .LBB183_282
; %bb.281:                              ;   in Loop: Header=BB183_3 Depth=1
	ds_load_b128 v[12:15], v74
	s_wait_dscnt 0x0
	ds_store_b128 v160, v[12:15]
	ds_load_b128 v[12:15], v75
	s_wait_dscnt 0x0
	ds_store_b128 v161, v[12:15]
	;; [unrolled: 3-line block ×16, first 2 shown]
.LBB183_282:                            ;   in Loop: Header=BB183_3 Depth=1
	s_or_b32 exec_lo, exec_lo, s0
	s_wait_dscnt 0x0
	s_barrier_signal -1
	s_barrier_wait -1
	s_and_saveexec_b32 s0, s29
	s_cbranch_execz .LBB183_284
; %bb.283:                              ;   in Loop: Header=BB183_3 Depth=1
	s_mov_b32 s48, s53
	s_mov_b32 s50, s53
	;; [unrolled: 1-line block ×3, first 2 shown]
	v_mov_b64_e32 v[12:13], s[48:49]
	v_mov_b64_e32 v[14:15], s[50:51]
	ds_store_b128 v1, v[12:15] offset:7392
	ds_store_b128 v1, v[12:15] offset:7920
	ds_load_b128 v[12:15], v1 offset:7904
	s_wait_dscnt 0x0
	ds_store_b128 v1, v[12:15] offset:7408
.LBB183_284:                            ;   in Loop: Header=BB183_3 Depth=1
	s_or_b32 exec_lo, exec_lo, s0
	v_mov_b64_e32 v[12:13], 0
	v_mov_b64_e32 v[14:15], 0
	s_wait_dscnt 0x0
	s_barrier_signal -1
	s_barrier_wait -1
	global_wb scope:SCOPE_DEV
	s_wait_storecnt 0x0
	global_inv scope:SCOPE_DEV
	s_and_saveexec_b32 s0, s3
	s_cbranch_execz .LBB183_288
; %bb.285:                              ;   in Loop: Header=BB183_3 Depth=1
	ds_load_b128 v[12:15], v48 offset:7904
	ds_load_b128 v[42:45], v47 offset:7360
	s_wait_dscnt 0x0
	v_mul_f64_e32 v[2:3], v[14:15], v[44:45]
	v_mul_f64_e32 v[44:45], v[12:13], v[44:45]
	s_delay_alu instid0(VALU_DEP_2) | instskip(NEXT) | instid1(VALU_DEP_2)
	v_fma_f64 v[2:3], v[12:13], v[42:43], -v[2:3]
	v_fmac_f64_e32 v[44:45], v[14:15], v[42:43]
	s_delay_alu instid0(VALU_DEP_2) | instskip(NEXT) | instid1(VALU_DEP_2)
	v_add_f64_e32 v[12:13], 0, v[2:3]
	v_add_f64_e32 v[14:15], 0, v[44:45]
	s_and_saveexec_b32 s1, s4
	s_cbranch_execz .LBB183_287
; %bb.286:                              ;   in Loop: Header=BB183_3 Depth=1
	ds_load_b128 v[42:45], v1 offset:7920
	ds_load_b128 v[202:205], v49 offset:7872
	s_wait_dscnt 0x0
	v_mul_f64_e32 v[2:3], v[44:45], v[204:205]
	s_delay_alu instid0(VALU_DEP_1) | instskip(SKIP_1) | instid1(VALU_DEP_2)
	v_fma_f64 v[2:3], v[42:43], v[202:203], -v[2:3]
	v_mul_f64_e32 v[42:43], v[42:43], v[204:205]
	v_add_f64_e32 v[12:13], v[12:13], v[2:3]
	s_delay_alu instid0(VALU_DEP_2) | instskip(NEXT) | instid1(VALU_DEP_1)
	v_fmac_f64_e32 v[42:43], v[44:45], v[202:203]
	v_add_f64_e32 v[14:15], v[14:15], v[42:43]
.LBB183_287:                            ;   in Loop: Header=BB183_3 Depth=1
	s_or_b32 exec_lo, exec_lo, s1
.LBB183_288:                            ;   in Loop: Header=BB183_3 Depth=1
	s_delay_alu instid0(SALU_CYCLE_1)
	s_or_b32 exec_lo, exec_lo, s0
	s_and_saveexec_b32 s0, s65
	s_cbranch_execz .LBB183_290
; %bb.289:                              ;   in Loop: Header=BB183_3 Depth=1
	s_delay_alu instid0(VALU_DEP_2) | instskip(NEXT) | instid1(VALU_DEP_2)
	v_xor_b32_e32 v43, 0x80000000, v13
	v_xor_b32_e32 v45, 0x80000000, v15
	s_delay_alu instid0(VALU_DEP_3)
	v_dual_mov_b32 v42, v12 :: v_dual_mov_b32 v44, v14
	ds_store_b128 v46, v[42:45]
.LBB183_290:                            ;   in Loop: Header=BB183_3 Depth=1
	s_or_b32 exec_lo, exec_lo, s0
	s_wait_loadcnt_dscnt 0x0
	s_barrier_signal -1
	s_barrier_wait -1
	s_and_saveexec_b32 s0, s66
	s_cbranch_execz .LBB183_292
; %bb.291:                              ;   in Loop: Header=BB183_3 Depth=1
	ds_load_b128 v[42:45], v46
	ds_load_b128 v[202:205], v1 offset:6848
	s_wait_dscnt 0x0
	v_mul_f64_e32 v[2:3], v[42:43], v[202:203]
	v_mul_f64_e32 v[42:43], v[42:43], v[204:205]
	s_delay_alu instid0(VALU_DEP_2) | instskip(NEXT) | instid1(VALU_DEP_2)
	v_fma_f64 v[2:3], v[44:45], v[204:205], -v[2:3]
	v_fmac_f64_e32 v[42:43], v[44:45], v[202:203]
	s_delay_alu instid0(VALU_DEP_2) | instskip(NEXT) | instid1(VALU_DEP_2)
	v_add_f64_e32 v[12:13], v[12:13], v[2:3]
	v_add_f64_e64 v[14:15], v[14:15], -v[42:43]
.LBB183_292:                            ;   in Loop: Header=BB183_3 Depth=1
	s_or_b32 exec_lo, exec_lo, s0
	s_barrier_signal -1
	s_barrier_wait -1
	s_and_saveexec_b32 s0, s66
	s_cbranch_execz .LBB183_294
; %bb.293:                              ;   in Loop: Header=BB183_3 Depth=1
	s_delay_alu instid0(VALU_DEP_2) | instskip(NEXT) | instid1(VALU_DEP_2)
	v_xor_b32_e32 v43, 0x80000000, v13
	v_xor_b32_e32 v45, 0x80000000, v15
	s_delay_alu instid0(VALU_DEP_3)
	v_dual_mov_b32 v42, v12 :: v_dual_mov_b32 v44, v14
	ds_store_b128 v46, v[42:45]
.LBB183_294:                            ;   in Loop: Header=BB183_3 Depth=1
	s_or_b32 exec_lo, exec_lo, s0
	s_wait_dscnt 0x0
	s_barrier_signal -1
	s_barrier_wait -1
	s_barrier_signal -1
	s_barrier_wait -1
	s_and_saveexec_b32 s0, s3
; %bb.295:                              ;   in Loop: Header=BB183_3 Depth=1
	ds_store_b128 v50, v[12:15] offset:7872
; %bb.296:                              ;   in Loop: Header=BB183_3 Depth=1
	s_or_b32 exec_lo, exec_lo, s0
	s_wait_dscnt 0x0
	s_barrier_signal -1
	s_barrier_wait -1
	s_barrier_signal -1
	s_barrier_wait -1
	s_and_saveexec_b32 s0, s67
	s_cbranch_execz .LBB183_298
; %bb.297:                              ;   in Loop: Header=BB183_3 Depth=1
	ds_load_b128 v[12:15], v90
	s_wait_dscnt 0x0
	ds_store_b128 v176, v[12:15]
	ds_load_b128 v[12:15], v91
	s_wait_dscnt 0x0
	ds_store_b128 v177, v[12:15]
.LBB183_298:                            ;   in Loop: Header=BB183_3 Depth=1
	s_or_b32 exec_lo, exec_lo, s0
	s_wait_dscnt 0x0
	s_barrier_signal -1
	s_barrier_wait -1
	s_and_saveexec_b32 s0, s29
	s_cbranch_execz .LBB183_300
; %bb.299:                              ;   in Loop: Header=BB183_3 Depth=1
	s_mov_b32 s48, s53
	s_mov_b32 s50, s53
	;; [unrolled: 1-line block ×3, first 2 shown]
	v_mov_b64_e32 v[12:13], s[48:49]
	v_mov_b64_e32 v[14:15], s[50:51]
	ds_store_b128 v1, v[12:15] offset:6336
	ds_store_b128 v1, v[12:15] offset:6864
	ds_load_b128 v[12:15], v1 offset:6848
	s_wait_dscnt 0x0
	ds_store_b128 v1, v[12:15] offset:6352
.LBB183_300:                            ;   in Loop: Header=BB183_3 Depth=1
	s_or_b32 exec_lo, exec_lo, s0
	v_mov_b64_e32 v[14:15], 0
	v_mov_b64_e32 v[12:13], 0
	s_wait_dscnt 0x0
	s_barrier_signal -1
	s_barrier_wait -1
	global_wb scope:SCOPE_DEV
	s_wait_storecnt 0x0
	global_inv scope:SCOPE_DEV
	s_and_saveexec_b32 s0, s6
	s_cbranch_execz .LBB183_306
; %bb.301:                              ;   in Loop: Header=BB183_3 Depth=1
	ds_load_b128 v[12:15], v56 offset:7872
	ds_load_b128 v[42:45], v55 offset:6272
	s_wait_dscnt 0x0
	v_mul_f64_e32 v[2:3], v[14:15], v[44:45]
	v_mul_f64_e32 v[44:45], v[12:13], v[44:45]
	s_delay_alu instid0(VALU_DEP_2) | instskip(NEXT) | instid1(VALU_DEP_2)
	v_fma_f64 v[2:3], v[12:13], v[42:43], -v[2:3]
	v_fmac_f64_e32 v[44:45], v[14:15], v[42:43]
	s_delay_alu instid0(VALU_DEP_2) | instskip(NEXT) | instid1(VALU_DEP_2)
	v_add_f64_e32 v[12:13], 0, v[2:3]
	v_add_f64_e32 v[14:15], 0, v[44:45]
	s_and_saveexec_b32 s1, s7
	s_cbranch_execnz .LBB183_536
; %bb.302:                              ;   in Loop: Header=BB183_3 Depth=1
	s_or_b32 exec_lo, exec_lo, s1
	s_and_saveexec_b32 s1, s8
	s_cbranch_execnz .LBB183_537
.LBB183_303:                            ;   in Loop: Header=BB183_3 Depth=1
	s_or_b32 exec_lo, exec_lo, s1
	s_and_saveexec_b32 s1, s3
	s_cbranch_execz .LBB183_305
.LBB183_304:                            ;   in Loop: Header=BB183_3 Depth=1
	ds_load_b128 v[42:45], v1 offset:7920
	ds_load_b128 v[202:205], v53 offset:7808
	s_wait_dscnt 0x0
	v_mul_f64_e32 v[2:3], v[44:45], v[204:205]
	s_delay_alu instid0(VALU_DEP_1) | instskip(SKIP_1) | instid1(VALU_DEP_2)
	v_fma_f64 v[2:3], v[42:43], v[202:203], -v[2:3]
	v_mul_f64_e32 v[42:43], v[42:43], v[204:205]
	v_add_f64_e32 v[12:13], v[12:13], v[2:3]
	s_delay_alu instid0(VALU_DEP_2) | instskip(NEXT) | instid1(VALU_DEP_1)
	v_fmac_f64_e32 v[42:43], v[44:45], v[202:203]
	v_add_f64_e32 v[14:15], v[14:15], v[42:43]
.LBB183_305:                            ;   in Loop: Header=BB183_3 Depth=1
	s_or_b32 exec_lo, exec_lo, s1
.LBB183_306:                            ;   in Loop: Header=BB183_3 Depth=1
	s_delay_alu instid0(SALU_CYCLE_1)
	s_or_b32 exec_lo, exec_lo, s0
	s_and_saveexec_b32 s0, s68
	s_cbranch_execz .LBB183_308
; %bb.307:                              ;   in Loop: Header=BB183_3 Depth=1
	s_delay_alu instid0(VALU_DEP_1) | instskip(NEXT) | instid1(VALU_DEP_3)
	v_xor_b32_e32 v45, 0x80000000, v15
	v_xor_b32_e32 v43, 0x80000000, v13
	s_delay_alu instid0(VALU_DEP_3)
	v_dual_mov_b32 v42, v12 :: v_dual_mov_b32 v44, v14
	ds_store_b128 v54, v[42:45]
.LBB183_308:                            ;   in Loop: Header=BB183_3 Depth=1
	s_or_b32 exec_lo, exec_lo, s0
	s_wait_loadcnt_dscnt 0x0
	s_barrier_signal -1
	s_barrier_wait -1
	s_and_saveexec_b32 s0, s69
	s_cbranch_execz .LBB183_310
; %bb.309:                              ;   in Loop: Header=BB183_3 Depth=1
	ds_load_b128 v[42:45], v54
	ds_load_b128 v[202:205], v55 offset:5760
	s_wait_dscnt 0x0
	v_mul_f64_e32 v[2:3], v[44:45], v[204:205]
	s_delay_alu instid0(VALU_DEP_1) | instskip(SKIP_1) | instid1(VALU_DEP_2)
	v_fma_f64 v[2:3], v[42:43], v[202:203], -v[2:3]
	v_mul_f64_e32 v[42:43], v[42:43], v[204:205]
	v_add_f64_e64 v[12:13], v[12:13], -v[2:3]
	s_delay_alu instid0(VALU_DEP_2) | instskip(NEXT) | instid1(VALU_DEP_1)
	v_fmac_f64_e32 v[42:43], v[44:45], v[202:203]
	v_add_f64_e64 v[14:15], v[14:15], -v[42:43]
.LBB183_310:                            ;   in Loop: Header=BB183_3 Depth=1
	s_or_b32 exec_lo, exec_lo, s0
	s_barrier_signal -1
	s_barrier_wait -1
	s_and_saveexec_b32 s0, s70
	s_cbranch_execz .LBB183_312
; %bb.311:                              ;   in Loop: Header=BB183_3 Depth=1
	s_delay_alu instid0(VALU_DEP_1) | instskip(NEXT) | instid1(VALU_DEP_3)
	v_xor_b32_e32 v45, 0x80000000, v15
	v_xor_b32_e32 v43, 0x80000000, v13
	s_delay_alu instid0(VALU_DEP_3)
	v_dual_mov_b32 v42, v12 :: v_dual_mov_b32 v44, v14
	ds_store_b128 v54, v[42:45]
.LBB183_312:                            ;   in Loop: Header=BB183_3 Depth=1
	s_or_b32 exec_lo, exec_lo, s0
	s_wait_dscnt 0x0
	s_barrier_signal -1
	s_barrier_wait -1
	s_and_saveexec_b32 s0, s71
	s_cbranch_execz .LBB183_314
; %bb.313:                              ;   in Loop: Header=BB183_3 Depth=1
	ds_load_b128 v[42:45], v54
	ds_load_b128 v[202:205], v55 offset:5248
	s_wait_dscnt 0x0
	v_mul_f64_e32 v[2:3], v[44:45], v[204:205]
	s_delay_alu instid0(VALU_DEP_1) | instskip(SKIP_1) | instid1(VALU_DEP_2)
	v_fma_f64 v[2:3], v[42:43], v[202:203], -v[2:3]
	v_mul_f64_e32 v[42:43], v[42:43], v[204:205]
	v_add_f64_e64 v[12:13], v[12:13], -v[2:3]
	s_delay_alu instid0(VALU_DEP_2) | instskip(NEXT) | instid1(VALU_DEP_1)
	v_fmac_f64_e32 v[42:43], v[44:45], v[202:203]
	v_add_f64_e64 v[14:15], v[14:15], -v[42:43]
.LBB183_314:                            ;   in Loop: Header=BB183_3 Depth=1
	s_or_b32 exec_lo, exec_lo, s0
	s_barrier_signal -1
	s_barrier_wait -1
	s_and_saveexec_b32 s0, s72
	s_cbranch_execz .LBB183_316
; %bb.315:                              ;   in Loop: Header=BB183_3 Depth=1
	s_delay_alu instid0(VALU_DEP_1) | instskip(NEXT) | instid1(VALU_DEP_3)
	v_xor_b32_e32 v45, 0x80000000, v15
	v_xor_b32_e32 v43, 0x80000000, v13
	s_delay_alu instid0(VALU_DEP_3)
	v_dual_mov_b32 v42, v12 :: v_dual_mov_b32 v44, v14
	ds_store_b128 v54, v[42:45]
.LBB183_316:                            ;   in Loop: Header=BB183_3 Depth=1
	s_or_b32 exec_lo, exec_lo, s0
	s_wait_dscnt 0x0
	;; [unrolled: 32-line block ×3, first 2 shown]
	s_barrier_signal -1
	s_barrier_wait -1
	s_barrier_signal -1
	s_barrier_wait -1
	s_and_saveexec_b32 s0, s6
; %bb.321:                              ;   in Loop: Header=BB183_3 Depth=1
	ds_store_b128 v57, v[12:15] offset:7808
; %bb.322:                              ;   in Loop: Header=BB183_3 Depth=1
	s_or_b32 exec_lo, exec_lo, s0
	s_wait_dscnt 0x0
	s_barrier_signal -1
	s_barrier_wait -1
	s_barrier_signal -1
	s_barrier_wait -1
	s_and_saveexec_b32 s0, s74
	s_cbranch_execz .LBB183_324
; %bb.323:                              ;   in Loop: Header=BB183_3 Depth=1
	ds_load_b128 v[12:15], v107
	s_wait_dscnt 0x0
	ds_store_b128 v178, v[12:15]
	ds_load_b128 v[12:15], v110
	s_wait_dscnt 0x0
	ds_store_b128 v181, v[12:15]
	;; [unrolled: 3-line block ×4, first 2 shown]
.LBB183_324:                            ;   in Loop: Header=BB183_3 Depth=1
	s_or_b32 exec_lo, exec_lo, s0
	s_wait_dscnt 0x0
	s_barrier_signal -1
	s_barrier_wait -1
	s_and_saveexec_b32 s0, s29
	s_cbranch_execz .LBB183_326
; %bb.325:                              ;   in Loop: Header=BB183_3 Depth=1
	s_mov_b32 s48, s53
	s_mov_b32 s50, s53
	;; [unrolled: 1-line block ×3, first 2 shown]
	v_mov_b64_e32 v[12:13], s[48:49]
	v_mov_b64_e32 v[14:15], s[50:51]
	ds_store_b128 v1, v[12:15] offset:5280
	ds_store_b128 v1, v[12:15] offset:5808
	ds_load_b128 v[12:15], v1 offset:5792
	s_wait_dscnt 0x0
	ds_store_b128 v1, v[12:15] offset:5296
.LBB183_326:                            ;   in Loop: Header=BB183_3 Depth=1
	s_or_b32 exec_lo, exec_lo, s0
	v_mov_b64_e32 v[12:13], 0
	v_mov_b64_e32 v[14:15], 0
	s_wait_dscnt 0x0
	s_barrier_signal -1
	s_barrier_wait -1
	global_wb scope:SCOPE_DEV
	s_wait_storecnt 0x0
	global_inv scope:SCOPE_DEV
	s_and_saveexec_b32 s0, s3
	s_cbranch_execz .LBB183_330
; %bb.327:                              ;   in Loop: Header=BB183_3 Depth=1
	ds_load_b128 v[12:15], v48 offset:5792
	ds_load_b128 v[42:45], v47 offset:5248
	s_wait_dscnt 0x0
	v_mul_f64_e32 v[2:3], v[14:15], v[44:45]
	v_mul_f64_e32 v[44:45], v[12:13], v[44:45]
	s_delay_alu instid0(VALU_DEP_2) | instskip(NEXT) | instid1(VALU_DEP_2)
	v_fma_f64 v[2:3], v[12:13], v[42:43], -v[2:3]
	v_fmac_f64_e32 v[44:45], v[14:15], v[42:43]
	s_delay_alu instid0(VALU_DEP_2) | instskip(NEXT) | instid1(VALU_DEP_2)
	v_add_f64_e32 v[12:13], 0, v[2:3]
	v_add_f64_e32 v[14:15], 0, v[44:45]
	s_and_saveexec_b32 s1, s4
	s_cbranch_execz .LBB183_329
; %bb.328:                              ;   in Loop: Header=BB183_3 Depth=1
	ds_load_b128 v[42:45], v1 offset:5808
	ds_load_b128 v[202:205], v104 offset:5760
	s_wait_dscnt 0x0
	v_mul_f64_e32 v[2:3], v[44:45], v[204:205]
	s_delay_alu instid0(VALU_DEP_1) | instskip(SKIP_1) | instid1(VALU_DEP_2)
	v_fma_f64 v[2:3], v[42:43], v[202:203], -v[2:3]
	v_mul_f64_e32 v[42:43], v[42:43], v[204:205]
	v_add_f64_e32 v[12:13], v[12:13], v[2:3]
	s_delay_alu instid0(VALU_DEP_2) | instskip(NEXT) | instid1(VALU_DEP_1)
	v_fmac_f64_e32 v[42:43], v[44:45], v[202:203]
	v_add_f64_e32 v[14:15], v[14:15], v[42:43]
.LBB183_329:                            ;   in Loop: Header=BB183_3 Depth=1
	s_or_b32 exec_lo, exec_lo, s1
.LBB183_330:                            ;   in Loop: Header=BB183_3 Depth=1
	s_delay_alu instid0(SALU_CYCLE_1)
	s_or_b32 exec_lo, exec_lo, s0
	s_and_saveexec_b32 s0, s65
	s_cbranch_execz .LBB183_332
; %bb.331:                              ;   in Loop: Header=BB183_3 Depth=1
	s_delay_alu instid0(VALU_DEP_2) | instskip(NEXT) | instid1(VALU_DEP_2)
	v_xor_b32_e32 v43, 0x80000000, v13
	v_xor_b32_e32 v45, 0x80000000, v15
	s_delay_alu instid0(VALU_DEP_3)
	v_dual_mov_b32 v42, v12 :: v_dual_mov_b32 v44, v14
	ds_store_b128 v46, v[42:45]
.LBB183_332:                            ;   in Loop: Header=BB183_3 Depth=1
	s_or_b32 exec_lo, exec_lo, s0
	s_wait_loadcnt_dscnt 0x0
	s_barrier_signal -1
	s_barrier_wait -1
	s_and_saveexec_b32 s0, s66
	s_cbranch_execz .LBB183_334
; %bb.333:                              ;   in Loop: Header=BB183_3 Depth=1
	ds_load_b128 v[42:45], v46
	ds_load_b128 v[202:205], v1 offset:4736
	s_wait_dscnt 0x0
	v_mul_f64_e32 v[2:3], v[42:43], v[202:203]
	v_mul_f64_e32 v[42:43], v[42:43], v[204:205]
	s_delay_alu instid0(VALU_DEP_2) | instskip(NEXT) | instid1(VALU_DEP_2)
	v_fma_f64 v[2:3], v[44:45], v[204:205], -v[2:3]
	v_fmac_f64_e32 v[42:43], v[44:45], v[202:203]
	s_delay_alu instid0(VALU_DEP_2) | instskip(NEXT) | instid1(VALU_DEP_2)
	v_add_f64_e32 v[12:13], v[12:13], v[2:3]
	v_add_f64_e64 v[14:15], v[14:15], -v[42:43]
.LBB183_334:                            ;   in Loop: Header=BB183_3 Depth=1
	s_or_b32 exec_lo, exec_lo, s0
	s_barrier_signal -1
	s_barrier_wait -1
	s_and_saveexec_b32 s0, s66
	s_cbranch_execz .LBB183_336
; %bb.335:                              ;   in Loop: Header=BB183_3 Depth=1
	s_delay_alu instid0(VALU_DEP_2) | instskip(NEXT) | instid1(VALU_DEP_2)
	v_xor_b32_e32 v43, 0x80000000, v13
	v_xor_b32_e32 v45, 0x80000000, v15
	s_delay_alu instid0(VALU_DEP_3)
	v_dual_mov_b32 v42, v12 :: v_dual_mov_b32 v44, v14
	ds_store_b128 v46, v[42:45]
.LBB183_336:                            ;   in Loop: Header=BB183_3 Depth=1
	s_or_b32 exec_lo, exec_lo, s0
	s_wait_dscnt 0x0
	s_barrier_signal -1
	s_barrier_wait -1
	s_barrier_signal -1
	s_barrier_wait -1
	s_and_saveexec_b32 s0, s3
; %bb.337:                              ;   in Loop: Header=BB183_3 Depth=1
	ds_store_b128 v50, v[12:15] offset:5760
; %bb.338:                              ;   in Loop: Header=BB183_3 Depth=1
	s_or_b32 exec_lo, exec_lo, s0
	s_wait_dscnt 0x0
	s_barrier_signal -1
	s_barrier_wait -1
	s_barrier_signal -1
	s_barrier_wait -1
	s_and_saveexec_b32 s0, s67
	s_cbranch_execz .LBB183_340
; %bb.339:                              ;   in Loop: Header=BB183_3 Depth=1
	ds_load_b128 v[12:15], v120
	s_wait_dscnt 0x0
	ds_store_b128 v182, v[12:15]
	ds_load_b128 v[12:15], v121
	s_wait_dscnt 0x0
	ds_store_b128 v183, v[12:15]
.LBB183_340:                            ;   in Loop: Header=BB183_3 Depth=1
	s_or_b32 exec_lo, exec_lo, s0
	s_wait_dscnt 0x0
	s_barrier_signal -1
	s_barrier_wait -1
	s_and_saveexec_b32 s0, s29
	s_cbranch_execz .LBB183_342
; %bb.341:                              ;   in Loop: Header=BB183_3 Depth=1
	s_mov_b32 s48, s53
	s_mov_b32 s50, s53
	;; [unrolled: 1-line block ×3, first 2 shown]
	v_mov_b64_e32 v[12:13], s[48:49]
	v_mov_b64_e32 v[14:15], s[50:51]
	ds_store_b128 v1, v[12:15] offset:4224
	ds_store_b128 v1, v[12:15] offset:4752
	ds_load_b128 v[12:15], v1 offset:4736
	s_wait_dscnt 0x0
	ds_store_b128 v1, v[12:15] offset:4240
.LBB183_342:                            ;   in Loop: Header=BB183_3 Depth=1
	s_or_b32 exec_lo, exec_lo, s0
	v_mov_b64_e32 v[14:15], 0
	v_mov_b64_e32 v[12:13], 0
	s_wait_dscnt 0x0
	s_barrier_signal -1
	s_barrier_wait -1
	global_wb scope:SCOPE_DEV
	s_wait_storecnt 0x0
	global_inv scope:SCOPE_DEV
	s_and_saveexec_b32 s0, s9
	s_cbranch_execz .LBB183_356
; %bb.343:                              ;   in Loop: Header=BB183_3 Depth=1
	ds_load_b128 v[12:15], v60 offset:7808
	ds_load_b128 v[42:45], v59 offset:4096
	v_readlane_b32 s22, v210, 0
	s_wait_dscnt 0x0
	v_mul_f64_e32 v[2:3], v[14:15], v[44:45]
	v_mul_f64_e32 v[44:45], v[12:13], v[44:45]
	s_delay_alu instid0(VALU_DEP_2) | instskip(NEXT) | instid1(VALU_DEP_2)
	v_fma_f64 v[2:3], v[12:13], v[42:43], -v[2:3]
	v_fmac_f64_e32 v[44:45], v[14:15], v[42:43]
	s_delay_alu instid0(VALU_DEP_2) | instskip(NEXT) | instid1(VALU_DEP_2)
	v_add_f64_e32 v[12:13], 0, v[2:3]
	v_add_f64_e32 v[14:15], 0, v[44:45]
	s_and_saveexec_b32 s1, s22
	s_cbranch_execz .LBB183_345
; %bb.344:                              ;   in Loop: Header=BB183_3 Depth=1
	ds_load_b128 v[42:45], v60 offset:7824
	ds_load_b128 v[202:205], v59 offset:4608
	s_wait_dscnt 0x0
	v_mul_f64_e32 v[2:3], v[44:45], v[204:205]
	s_delay_alu instid0(VALU_DEP_1) | instskip(SKIP_1) | instid1(VALU_DEP_2)
	v_fma_f64 v[2:3], v[42:43], v[202:203], -v[2:3]
	v_mul_f64_e32 v[42:43], v[42:43], v[204:205]
	v_add_f64_e32 v[12:13], v[12:13], v[2:3]
	s_delay_alu instid0(VALU_DEP_2) | instskip(NEXT) | instid1(VALU_DEP_1)
	v_fmac_f64_e32 v[42:43], v[44:45], v[202:203]
	v_add_f64_e32 v[14:15], v[14:15], v[42:43]
.LBB183_345:                            ;   in Loop: Header=BB183_3 Depth=1
	s_or_b32 exec_lo, exec_lo, s1
	s_and_saveexec_b32 s1, s11
	s_cbranch_execz .LBB183_347
; %bb.346:                              ;   in Loop: Header=BB183_3 Depth=1
	ds_load_b128 v[42:45], v60 offset:7840
	ds_load_b128 v[202:205], v59 offset:5120
	s_wait_dscnt 0x0
	v_mul_f64_e32 v[2:3], v[44:45], v[204:205]
	s_delay_alu instid0(VALU_DEP_1) | instskip(SKIP_1) | instid1(VALU_DEP_2)
	v_fma_f64 v[2:3], v[42:43], v[202:203], -v[2:3]
	v_mul_f64_e32 v[42:43], v[42:43], v[204:205]
	v_add_f64_e32 v[12:13], v[12:13], v[2:3]
	s_delay_alu instid0(VALU_DEP_2) | instskip(NEXT) | instid1(VALU_DEP_1)
	v_fmac_f64_e32 v[42:43], v[44:45], v[202:203]
	v_add_f64_e32 v[14:15], v[14:15], v[42:43]
.LBB183_347:                            ;   in Loop: Header=BB183_3 Depth=1
	s_or_b32 exec_lo, exec_lo, s1
	v_readlane_b32 s22, v210, 1
	s_and_saveexec_b32 s1, s22
	s_cbranch_execz .LBB183_349
; %bb.348:                              ;   in Loop: Header=BB183_3 Depth=1
	ds_load_b128 v[42:45], v60 offset:7856
	ds_load_b128 v[202:205], v59 offset:5632
	s_wait_dscnt 0x0
	v_mul_f64_e32 v[2:3], v[44:45], v[204:205]
	s_delay_alu instid0(VALU_DEP_1) | instskip(SKIP_1) | instid1(VALU_DEP_2)
	v_fma_f64 v[2:3], v[42:43], v[202:203], -v[2:3]
	v_mul_f64_e32 v[42:43], v[42:43], v[204:205]
	v_add_f64_e32 v[12:13], v[12:13], v[2:3]
	s_delay_alu instid0(VALU_DEP_2) | instskip(NEXT) | instid1(VALU_DEP_1)
	v_fmac_f64_e32 v[42:43], v[44:45], v[202:203]
	v_add_f64_e32 v[14:15], v[14:15], v[42:43]
.LBB183_349:                            ;   in Loop: Header=BB183_3 Depth=1
	s_or_b32 exec_lo, exec_lo, s1
	s_and_saveexec_b32 s1, s13
	s_cbranch_execz .LBB183_351
; %bb.350:                              ;   in Loop: Header=BB183_3 Depth=1
	ds_load_b128 v[42:45], v60 offset:7872
	ds_load_b128 v[202:205], v59 offset:6144
	s_wait_dscnt 0x0
	v_mul_f64_e32 v[2:3], v[44:45], v[204:205]
	s_delay_alu instid0(VALU_DEP_1) | instskip(SKIP_1) | instid1(VALU_DEP_2)
	v_fma_f64 v[2:3], v[42:43], v[202:203], -v[2:3]
	v_mul_f64_e32 v[42:43], v[42:43], v[204:205]
	v_add_f64_e32 v[12:13], v[12:13], v[2:3]
	s_delay_alu instid0(VALU_DEP_2) | instskip(NEXT) | instid1(VALU_DEP_1)
	v_fmac_f64_e32 v[42:43], v[44:45], v[202:203]
	v_add_f64_e32 v[14:15], v[14:15], v[42:43]
.LBB183_351:                            ;   in Loop: Header=BB183_3 Depth=1
	s_or_b32 exec_lo, exec_lo, s1
	v_readlane_b32 s22, v210, 2
	s_and_saveexec_b32 s1, s22
	s_cbranch_execnz .LBB183_538
; %bb.352:                              ;   in Loop: Header=BB183_3 Depth=1
	s_or_b32 exec_lo, exec_lo, s1
	s_and_saveexec_b32 s1, s6
	s_cbranch_execnz .LBB183_539
.LBB183_353:                            ;   in Loop: Header=BB183_3 Depth=1
	s_or_b32 exec_lo, exec_lo, s1
	s_and_saveexec_b32 s1, s8
	s_cbranch_execz .LBB183_355
.LBB183_354:                            ;   in Loop: Header=BB183_3 Depth=1
	ds_load_b128 v[42:45], v1 offset:7920
	ds_load_b128 v[202:205], v49 offset:7680
	s_wait_dscnt 0x0
	v_mul_f64_e32 v[2:3], v[44:45], v[204:205]
	s_delay_alu instid0(VALU_DEP_1) | instskip(SKIP_1) | instid1(VALU_DEP_2)
	v_fma_f64 v[2:3], v[42:43], v[202:203], -v[2:3]
	v_mul_f64_e32 v[42:43], v[42:43], v[204:205]
	v_add_f64_e32 v[12:13], v[12:13], v[2:3]
	s_delay_alu instid0(VALU_DEP_2) | instskip(NEXT) | instid1(VALU_DEP_1)
	v_fmac_f64_e32 v[42:43], v[44:45], v[202:203]
	v_add_f64_e32 v[14:15], v[14:15], v[42:43]
.LBB183_355:                            ;   in Loop: Header=BB183_3 Depth=1
	s_or_b32 exec_lo, exec_lo, s1
.LBB183_356:                            ;   in Loop: Header=BB183_3 Depth=1
	s_delay_alu instid0(SALU_CYCLE_1)
	s_or_b32 exec_lo, exec_lo, s0
	s_and_saveexec_b32 s0, s75
	s_cbranch_execz .LBB183_358
; %bb.357:                              ;   in Loop: Header=BB183_3 Depth=1
	s_delay_alu instid0(VALU_DEP_3) | instskip(NEXT) | instid1(VALU_DEP_2)
	v_xor_b32_e32 v43, 0x80000000, v13
	v_xor_b32_e32 v45, 0x80000000, v15
	s_delay_alu instid0(VALU_DEP_3)
	v_dual_mov_b32 v42, v12 :: v_dual_mov_b32 v44, v14
	ds_store_b128 v58, v[42:45]
.LBB183_358:                            ;   in Loop: Header=BB183_3 Depth=1
	s_or_b32 exec_lo, exec_lo, s0
	s_wait_loadcnt_dscnt 0x0
	s_barrier_signal -1
	s_barrier_wait -1
	s_and_saveexec_b32 s0, s76
	s_cbranch_execz .LBB183_360
; %bb.359:                              ;   in Loop: Header=BB183_3 Depth=1
	ds_load_b128 v[42:45], v58
	ds_load_b128 v[202:205], v59 offset:3584
	s_wait_dscnt 0x0
	v_mul_f64_e32 v[2:3], v[44:45], v[204:205]
	s_delay_alu instid0(VALU_DEP_1) | instskip(SKIP_1) | instid1(VALU_DEP_2)
	v_fma_f64 v[2:3], v[42:43], v[202:203], -v[2:3]
	v_mul_f64_e32 v[42:43], v[42:43], v[204:205]
	v_add_f64_e64 v[12:13], v[12:13], -v[2:3]
	s_delay_alu instid0(VALU_DEP_2) | instskip(NEXT) | instid1(VALU_DEP_1)
	v_fmac_f64_e32 v[42:43], v[44:45], v[202:203]
	v_add_f64_e64 v[14:15], v[14:15], -v[42:43]
.LBB183_360:                            ;   in Loop: Header=BB183_3 Depth=1
	s_or_b32 exec_lo, exec_lo, s0
	s_barrier_signal -1
	s_barrier_wait -1
	s_and_saveexec_b32 s0, s77
	s_cbranch_execz .LBB183_362
; %bb.361:                              ;   in Loop: Header=BB183_3 Depth=1
	s_delay_alu instid0(VALU_DEP_3) | instskip(NEXT) | instid1(VALU_DEP_2)
	v_xor_b32_e32 v43, 0x80000000, v13
	v_xor_b32_e32 v45, 0x80000000, v15
	s_delay_alu instid0(VALU_DEP_3)
	v_dual_mov_b32 v42, v12 :: v_dual_mov_b32 v44, v14
	ds_store_b128 v58, v[42:45]
.LBB183_362:                            ;   in Loop: Header=BB183_3 Depth=1
	s_or_b32 exec_lo, exec_lo, s0
	s_wait_dscnt 0x0
	s_barrier_signal -1
	s_barrier_wait -1
	s_and_saveexec_b32 s0, s78
	s_cbranch_execz .LBB183_364
; %bb.363:                              ;   in Loop: Header=BB183_3 Depth=1
	ds_load_b128 v[42:45], v58
	ds_load_b128 v[202:205], v59 offset:3072
	s_wait_dscnt 0x0
	v_mul_f64_e32 v[2:3], v[44:45], v[204:205]
	s_delay_alu instid0(VALU_DEP_1) | instskip(SKIP_1) | instid1(VALU_DEP_2)
	v_fma_f64 v[2:3], v[42:43], v[202:203], -v[2:3]
	v_mul_f64_e32 v[42:43], v[42:43], v[204:205]
	v_add_f64_e64 v[12:13], v[12:13], -v[2:3]
	s_delay_alu instid0(VALU_DEP_2) | instskip(NEXT) | instid1(VALU_DEP_1)
	v_fmac_f64_e32 v[42:43], v[44:45], v[202:203]
	v_add_f64_e64 v[14:15], v[14:15], -v[42:43]
.LBB183_364:                            ;   in Loop: Header=BB183_3 Depth=1
	s_or_b32 exec_lo, exec_lo, s0
	s_barrier_signal -1
	s_barrier_wait -1
	s_and_saveexec_b32 s0, s79
	s_cbranch_execz .LBB183_366
; %bb.365:                              ;   in Loop: Header=BB183_3 Depth=1
	s_delay_alu instid0(VALU_DEP_3) | instskip(NEXT) | instid1(VALU_DEP_2)
	v_xor_b32_e32 v43, 0x80000000, v13
	v_xor_b32_e32 v45, 0x80000000, v15
	s_delay_alu instid0(VALU_DEP_3)
	v_dual_mov_b32 v42, v12 :: v_dual_mov_b32 v44, v14
	ds_store_b128 v58, v[42:45]
.LBB183_366:                            ;   in Loop: Header=BB183_3 Depth=1
	s_or_b32 exec_lo, exec_lo, s0
	s_wait_dscnt 0x0
	;; [unrolled: 32-line block ×7, first 2 shown]
	s_barrier_signal -1
	s_barrier_wait -1
	s_barrier_signal -1
	s_barrier_wait -1
	s_and_saveexec_b32 s0, s9
; %bb.387:                              ;   in Loop: Header=BB183_3 Depth=1
	ds_store_b128 v61, v[12:15] offset:7680
; %bb.388:                              ;   in Loop: Header=BB183_3 Depth=1
	s_or_b32 exec_lo, exec_lo, s0
	s_wait_dscnt 0x0
	s_barrier_signal -1
	s_barrier_wait -1
	s_barrier_signal -1
	s_barrier_wait -1
	s_and_saveexec_b32 s0, s89
	s_cbranch_execz .LBB183_390
; %bb.389:                              ;   in Loop: Header=BB183_3 Depth=1
	ds_load_b128 v[12:15], v92
	s_wait_dscnt 0x0
	ds_store_b128 v184, v[12:15]
	ds_load_b128 v[12:15], v93
	s_wait_dscnt 0x0
	ds_store_b128 v185, v[12:15]
	;; [unrolled: 3-line block ×8, first 2 shown]
.LBB183_390:                            ;   in Loop: Header=BB183_3 Depth=1
	s_or_b32 exec_lo, exec_lo, s0
	s_wait_dscnt 0x0
	s_barrier_signal -1
	s_barrier_wait -1
	s_and_saveexec_b32 s0, s29
	s_cbranch_execz .LBB183_392
; %bb.391:                              ;   in Loop: Header=BB183_3 Depth=1
	s_mov_b32 s48, s53
	s_mov_b32 s50, s53
	;; [unrolled: 1-line block ×3, first 2 shown]
	v_mov_b64_e32 v[12:13], s[48:49]
	v_mov_b64_e32 v[14:15], s[50:51]
	ds_store_b128 v1, v[12:15] offset:3168
	ds_store_b128 v1, v[12:15] offset:3696
	ds_load_b128 v[12:15], v1 offset:3680
	s_wait_dscnt 0x0
	ds_store_b128 v1, v[12:15] offset:3184
.LBB183_392:                            ;   in Loop: Header=BB183_3 Depth=1
	s_or_b32 exec_lo, exec_lo, s0
	v_mov_b64_e32 v[12:13], 0
	v_mov_b64_e32 v[14:15], 0
	s_wait_dscnt 0x0
	s_barrier_signal -1
	s_barrier_wait -1
	global_wb scope:SCOPE_DEV
	s_wait_storecnt 0x0
	global_inv scope:SCOPE_DEV
	s_and_saveexec_b32 s0, s3
	s_cbranch_execz .LBB183_396
; %bb.393:                              ;   in Loop: Header=BB183_3 Depth=1
	ds_load_b128 v[12:15], v48 offset:3680
	ds_load_b128 v[42:45], v47 offset:3136
	s_wait_dscnt 0x0
	v_mul_f64_e32 v[2:3], v[14:15], v[44:45]
	v_mul_f64_e32 v[44:45], v[12:13], v[44:45]
	s_delay_alu instid0(VALU_DEP_2) | instskip(NEXT) | instid1(VALU_DEP_2)
	v_fma_f64 v[2:3], v[12:13], v[42:43], -v[2:3]
	v_fmac_f64_e32 v[44:45], v[14:15], v[42:43]
	s_delay_alu instid0(VALU_DEP_2) | instskip(NEXT) | instid1(VALU_DEP_2)
	v_add_f64_e32 v[12:13], 0, v[2:3]
	v_add_f64_e32 v[14:15], 0, v[44:45]
	s_and_saveexec_b32 s1, s4
	s_cbranch_execz .LBB183_395
; %bb.394:                              ;   in Loop: Header=BB183_3 Depth=1
	ds_load_b128 v[42:45], v1 offset:3696
	ds_load_b128 v[202:205], v53 offset:3648
	s_wait_dscnt 0x0
	v_mul_f64_e32 v[2:3], v[44:45], v[204:205]
	s_delay_alu instid0(VALU_DEP_1) | instskip(SKIP_1) | instid1(VALU_DEP_2)
	v_fma_f64 v[2:3], v[42:43], v[202:203], -v[2:3]
	v_mul_f64_e32 v[42:43], v[42:43], v[204:205]
	v_add_f64_e32 v[12:13], v[12:13], v[2:3]
	s_delay_alu instid0(VALU_DEP_2) | instskip(NEXT) | instid1(VALU_DEP_1)
	v_fmac_f64_e32 v[42:43], v[44:45], v[202:203]
	v_add_f64_e32 v[14:15], v[14:15], v[42:43]
.LBB183_395:                            ;   in Loop: Header=BB183_3 Depth=1
	s_or_b32 exec_lo, exec_lo, s1
.LBB183_396:                            ;   in Loop: Header=BB183_3 Depth=1
	s_delay_alu instid0(SALU_CYCLE_1)
	s_or_b32 exec_lo, exec_lo, s0
	s_and_saveexec_b32 s0, s65
	s_cbranch_execz .LBB183_398
; %bb.397:                              ;   in Loop: Header=BB183_3 Depth=1
	s_delay_alu instid0(VALU_DEP_2) | instskip(NEXT) | instid1(VALU_DEP_2)
	v_xor_b32_e32 v43, 0x80000000, v13
	v_xor_b32_e32 v45, 0x80000000, v15
	s_delay_alu instid0(VALU_DEP_3)
	v_dual_mov_b32 v42, v12 :: v_dual_mov_b32 v44, v14
	ds_store_b128 v46, v[42:45]
.LBB183_398:                            ;   in Loop: Header=BB183_3 Depth=1
	s_or_b32 exec_lo, exec_lo, s0
	s_wait_loadcnt_dscnt 0x0
	s_barrier_signal -1
	s_barrier_wait -1
	s_and_saveexec_b32 s0, s66
	s_cbranch_execz .LBB183_400
; %bb.399:                              ;   in Loop: Header=BB183_3 Depth=1
	ds_load_b128 v[42:45], v46
	ds_load_b128 v[202:205], v1 offset:2624
	s_wait_dscnt 0x0
	v_mul_f64_e32 v[2:3], v[42:43], v[202:203]
	v_mul_f64_e32 v[42:43], v[42:43], v[204:205]
	s_delay_alu instid0(VALU_DEP_2) | instskip(NEXT) | instid1(VALU_DEP_2)
	v_fma_f64 v[2:3], v[44:45], v[204:205], -v[2:3]
	v_fmac_f64_e32 v[42:43], v[44:45], v[202:203]
	s_delay_alu instid0(VALU_DEP_2) | instskip(NEXT) | instid1(VALU_DEP_2)
	v_add_f64_e32 v[12:13], v[12:13], v[2:3]
	v_add_f64_e64 v[14:15], v[14:15], -v[42:43]
.LBB183_400:                            ;   in Loop: Header=BB183_3 Depth=1
	s_or_b32 exec_lo, exec_lo, s0
	s_barrier_signal -1
	s_barrier_wait -1
	s_and_saveexec_b32 s0, s66
	s_cbranch_execz .LBB183_402
; %bb.401:                              ;   in Loop: Header=BB183_3 Depth=1
	s_delay_alu instid0(VALU_DEP_2) | instskip(NEXT) | instid1(VALU_DEP_2)
	v_xor_b32_e32 v43, 0x80000000, v13
	v_xor_b32_e32 v45, 0x80000000, v15
	s_delay_alu instid0(VALU_DEP_3)
	v_dual_mov_b32 v42, v12 :: v_dual_mov_b32 v44, v14
	ds_store_b128 v46, v[42:45]
.LBB183_402:                            ;   in Loop: Header=BB183_3 Depth=1
	s_or_b32 exec_lo, exec_lo, s0
	s_wait_dscnt 0x0
	s_barrier_signal -1
	s_barrier_wait -1
	s_barrier_signal -1
	s_barrier_wait -1
	s_and_saveexec_b32 s0, s3
; %bb.403:                              ;   in Loop: Header=BB183_3 Depth=1
	ds_store_b128 v50, v[12:15] offset:3648
; %bb.404:                              ;   in Loop: Header=BB183_3 Depth=1
	s_or_b32 exec_lo, exec_lo, s0
	s_wait_dscnt 0x0
	s_barrier_signal -1
	s_barrier_wait -1
	s_barrier_signal -1
	s_barrier_wait -1
	s_and_saveexec_b32 s0, s67
	s_cbranch_execz .LBB183_406
; %bb.405:                              ;   in Loop: Header=BB183_3 Depth=1
	ds_load_b128 v[12:15], v111
	s_wait_dscnt 0x0
	ds_store_b128 v192, v[12:15]
	ds_load_b128 v[12:15], v112
	s_wait_dscnt 0x0
	ds_store_b128 v193, v[12:15]
.LBB183_406:                            ;   in Loop: Header=BB183_3 Depth=1
	s_or_b32 exec_lo, exec_lo, s0
	s_wait_dscnt 0x0
	s_barrier_signal -1
	s_barrier_wait -1
	s_and_saveexec_b32 s0, s29
	s_cbranch_execz .LBB183_408
; %bb.407:                              ;   in Loop: Header=BB183_3 Depth=1
	s_mov_b32 s48, s53
	s_mov_b32 s50, s53
	;; [unrolled: 1-line block ×3, first 2 shown]
	v_mov_b64_e32 v[12:13], s[48:49]
	v_mov_b64_e32 v[14:15], s[50:51]
	ds_store_b128 v1, v[12:15] offset:2112
	ds_store_b128 v1, v[12:15] offset:2640
	ds_load_b128 v[12:15], v1 offset:2624
	s_wait_dscnt 0x0
	ds_store_b128 v1, v[12:15] offset:2128
.LBB183_408:                            ;   in Loop: Header=BB183_3 Depth=1
	s_or_b32 exec_lo, exec_lo, s0
	v_mov_b64_e32 v[14:15], 0
	v_mov_b64_e32 v[12:13], 0
	s_wait_dscnt 0x0
	s_barrier_signal -1
	s_barrier_wait -1
	global_wb scope:SCOPE_DEV
	s_wait_storecnt 0x0
	global_inv scope:SCOPE_DEV
	s_and_saveexec_b32 s0, s6
	s_cbranch_execz .LBB183_414
; %bb.409:                              ;   in Loop: Header=BB183_3 Depth=1
	ds_load_b128 v[12:15], v56 offset:3648
	ds_load_b128 v[42:45], v55 offset:2048
	s_wait_dscnt 0x0
	v_mul_f64_e32 v[2:3], v[14:15], v[44:45]
	v_mul_f64_e32 v[44:45], v[12:13], v[44:45]
	s_delay_alu instid0(VALU_DEP_2) | instskip(NEXT) | instid1(VALU_DEP_2)
	v_fma_f64 v[2:3], v[12:13], v[42:43], -v[2:3]
	v_fmac_f64_e32 v[44:45], v[14:15], v[42:43]
	s_delay_alu instid0(VALU_DEP_2) | instskip(NEXT) | instid1(VALU_DEP_2)
	v_add_f64_e32 v[12:13], 0, v[2:3]
	v_add_f64_e32 v[14:15], 0, v[44:45]
	s_and_saveexec_b32 s1, s7
	s_cbranch_execnz .LBB183_540
; %bb.410:                              ;   in Loop: Header=BB183_3 Depth=1
	s_or_b32 exec_lo, exec_lo, s1
	s_and_saveexec_b32 s1, s8
	s_cbranch_execnz .LBB183_541
.LBB183_411:                            ;   in Loop: Header=BB183_3 Depth=1
	s_or_b32 exec_lo, exec_lo, s1
	s_and_saveexec_b32 s1, s3
	s_cbranch_execz .LBB183_413
.LBB183_412:                            ;   in Loop: Header=BB183_3 Depth=1
	ds_load_b128 v[42:45], v1 offset:3696
	ds_load_b128 v[202:205], v104 offset:3584
	s_wait_dscnt 0x0
	v_mul_f64_e32 v[2:3], v[44:45], v[204:205]
	s_delay_alu instid0(VALU_DEP_1) | instskip(SKIP_1) | instid1(VALU_DEP_2)
	v_fma_f64 v[2:3], v[42:43], v[202:203], -v[2:3]
	v_mul_f64_e32 v[42:43], v[42:43], v[204:205]
	v_add_f64_e32 v[12:13], v[12:13], v[2:3]
	s_delay_alu instid0(VALU_DEP_2) | instskip(NEXT) | instid1(VALU_DEP_1)
	v_fmac_f64_e32 v[42:43], v[44:45], v[202:203]
	v_add_f64_e32 v[14:15], v[14:15], v[42:43]
.LBB183_413:                            ;   in Loop: Header=BB183_3 Depth=1
	s_or_b32 exec_lo, exec_lo, s1
.LBB183_414:                            ;   in Loop: Header=BB183_3 Depth=1
	s_delay_alu instid0(SALU_CYCLE_1)
	s_or_b32 exec_lo, exec_lo, s0
	s_and_saveexec_b32 s0, s68
	s_cbranch_execz .LBB183_416
; %bb.415:                              ;   in Loop: Header=BB183_3 Depth=1
	s_delay_alu instid0(VALU_DEP_1) | instskip(NEXT) | instid1(VALU_DEP_3)
	v_xor_b32_e32 v45, 0x80000000, v15
	v_xor_b32_e32 v43, 0x80000000, v13
	s_delay_alu instid0(VALU_DEP_3)
	v_dual_mov_b32 v42, v12 :: v_dual_mov_b32 v44, v14
	ds_store_b128 v54, v[42:45]
.LBB183_416:                            ;   in Loop: Header=BB183_3 Depth=1
	s_or_b32 exec_lo, exec_lo, s0
	s_wait_loadcnt_dscnt 0x0
	s_barrier_signal -1
	s_barrier_wait -1
	s_and_saveexec_b32 s0, s69
	s_cbranch_execz .LBB183_418
; %bb.417:                              ;   in Loop: Header=BB183_3 Depth=1
	ds_load_b128 v[42:45], v54
	ds_load_b128 v[202:205], v55 offset:1536
	s_wait_dscnt 0x0
	v_mul_f64_e32 v[2:3], v[44:45], v[204:205]
	s_delay_alu instid0(VALU_DEP_1) | instskip(SKIP_1) | instid1(VALU_DEP_2)
	v_fma_f64 v[2:3], v[42:43], v[202:203], -v[2:3]
	v_mul_f64_e32 v[42:43], v[42:43], v[204:205]
	v_add_f64_e64 v[12:13], v[12:13], -v[2:3]
	s_delay_alu instid0(VALU_DEP_2) | instskip(NEXT) | instid1(VALU_DEP_1)
	v_fmac_f64_e32 v[42:43], v[44:45], v[202:203]
	v_add_f64_e64 v[14:15], v[14:15], -v[42:43]
.LBB183_418:                            ;   in Loop: Header=BB183_3 Depth=1
	s_or_b32 exec_lo, exec_lo, s0
	s_barrier_signal -1
	s_barrier_wait -1
	s_and_saveexec_b32 s0, s70
	s_cbranch_execz .LBB183_420
; %bb.419:                              ;   in Loop: Header=BB183_3 Depth=1
	s_delay_alu instid0(VALU_DEP_1) | instskip(NEXT) | instid1(VALU_DEP_3)
	v_xor_b32_e32 v45, 0x80000000, v15
	v_xor_b32_e32 v43, 0x80000000, v13
	s_delay_alu instid0(VALU_DEP_3)
	v_dual_mov_b32 v42, v12 :: v_dual_mov_b32 v44, v14
	ds_store_b128 v54, v[42:45]
.LBB183_420:                            ;   in Loop: Header=BB183_3 Depth=1
	s_or_b32 exec_lo, exec_lo, s0
	s_wait_dscnt 0x0
	s_barrier_signal -1
	s_barrier_wait -1
	s_and_saveexec_b32 s0, s71
	s_cbranch_execz .LBB183_422
; %bb.421:                              ;   in Loop: Header=BB183_3 Depth=1
	ds_load_b128 v[42:45], v54
	ds_load_b128 v[202:205], v55 offset:1024
	s_wait_dscnt 0x0
	v_mul_f64_e32 v[2:3], v[44:45], v[204:205]
	s_delay_alu instid0(VALU_DEP_1) | instskip(SKIP_1) | instid1(VALU_DEP_2)
	v_fma_f64 v[2:3], v[42:43], v[202:203], -v[2:3]
	v_mul_f64_e32 v[42:43], v[42:43], v[204:205]
	v_add_f64_e64 v[12:13], v[12:13], -v[2:3]
	s_delay_alu instid0(VALU_DEP_2) | instskip(NEXT) | instid1(VALU_DEP_1)
	v_fmac_f64_e32 v[42:43], v[44:45], v[202:203]
	v_add_f64_e64 v[14:15], v[14:15], -v[42:43]
.LBB183_422:                            ;   in Loop: Header=BB183_3 Depth=1
	s_or_b32 exec_lo, exec_lo, s0
	s_barrier_signal -1
	s_barrier_wait -1
	s_and_saveexec_b32 s0, s72
	s_cbranch_execz .LBB183_424
; %bb.423:                              ;   in Loop: Header=BB183_3 Depth=1
	s_delay_alu instid0(VALU_DEP_1) | instskip(NEXT) | instid1(VALU_DEP_3)
	v_xor_b32_e32 v45, 0x80000000, v15
	v_xor_b32_e32 v43, 0x80000000, v13
	s_delay_alu instid0(VALU_DEP_3)
	v_dual_mov_b32 v42, v12 :: v_dual_mov_b32 v44, v14
	ds_store_b128 v54, v[42:45]
.LBB183_424:                            ;   in Loop: Header=BB183_3 Depth=1
	s_or_b32 exec_lo, exec_lo, s0
	s_wait_dscnt 0x0
	;; [unrolled: 32-line block ×3, first 2 shown]
	s_barrier_signal -1
	s_barrier_wait -1
	s_barrier_signal -1
	s_barrier_wait -1
	s_and_saveexec_b32 s0, s6
; %bb.429:                              ;   in Loop: Header=BB183_3 Depth=1
	ds_store_b128 v57, v[12:15] offset:3584
; %bb.430:                              ;   in Loop: Header=BB183_3 Depth=1
	s_or_b32 exec_lo, exec_lo, s0
	s_wait_dscnt 0x0
	s_barrier_signal -1
	s_barrier_wait -1
	s_barrier_signal -1
	s_barrier_wait -1
	s_and_saveexec_b32 s0, s74
	s_cbranch_execz .LBB183_432
; %bb.431:                              ;   in Loop: Header=BB183_3 Depth=1
	ds_load_b128 v[12:15], v122
	s_wait_dscnt 0x0
	ds_store_b128 v194, v[12:15]
	ds_load_b128 v[12:15], v125
	s_wait_dscnt 0x0
	ds_store_b128 v197, v[12:15]
	;; [unrolled: 3-line block ×4, first 2 shown]
.LBB183_432:                            ;   in Loop: Header=BB183_3 Depth=1
	s_or_b32 exec_lo, exec_lo, s0
	s_wait_dscnt 0x0
	s_barrier_signal -1
	s_barrier_wait -1
	s_and_saveexec_b32 s0, s29
	s_cbranch_execz .LBB183_434
; %bb.433:                              ;   in Loop: Header=BB183_3 Depth=1
	s_mov_b32 s48, s53
	s_mov_b32 s50, s53
	s_mov_b32 s51, s53
	v_mov_b64_e32 v[12:13], s[48:49]
	v_mov_b64_e32 v[14:15], s[50:51]
	ds_store_b128 v1, v[12:15] offset:1056
	ds_store_b128 v1, v[12:15] offset:1584
	ds_load_b128 v[12:15], v1 offset:1568
	s_wait_dscnt 0x0
	ds_store_b128 v1, v[12:15] offset:1072
.LBB183_434:                            ;   in Loop: Header=BB183_3 Depth=1
	s_or_b32 exec_lo, exec_lo, s0
	v_mov_b64_e32 v[12:13], 0
	v_mov_b64_e32 v[14:15], 0
	s_wait_dscnt 0x0
	s_barrier_signal -1
	s_barrier_wait -1
	global_wb scope:SCOPE_DEV
	s_wait_storecnt 0x0
	global_inv scope:SCOPE_DEV
	s_and_saveexec_b32 s0, s3
	s_cbranch_execz .LBB183_438
; %bb.435:                              ;   in Loop: Header=BB183_3 Depth=1
	ds_load_b128 v[12:15], v48 offset:1568
	ds_load_b128 v[42:45], v47 offset:1024
	s_wait_dscnt 0x0
	v_mul_f64_e32 v[2:3], v[14:15], v[44:45]
	v_mul_f64_e32 v[44:45], v[12:13], v[44:45]
	s_delay_alu instid0(VALU_DEP_2) | instskip(NEXT) | instid1(VALU_DEP_2)
	v_fma_f64 v[2:3], v[12:13], v[42:43], -v[2:3]
	v_fmac_f64_e32 v[44:45], v[14:15], v[42:43]
	s_delay_alu instid0(VALU_DEP_2) | instskip(NEXT) | instid1(VALU_DEP_2)
	v_add_f64_e32 v[12:13], 0, v[2:3]
	v_add_f64_e32 v[14:15], 0, v[44:45]
	s_and_saveexec_b32 s1, s4
	s_cbranch_execz .LBB183_437
; %bb.436:                              ;   in Loop: Header=BB183_3 Depth=1
	ds_load_b128 v[42:45], v1 offset:1584
	ds_load_b128 v[202:205], v115 offset:1536
	s_wait_dscnt 0x0
	v_mul_f64_e32 v[2:3], v[44:45], v[204:205]
	s_delay_alu instid0(VALU_DEP_1) | instskip(SKIP_1) | instid1(VALU_DEP_2)
	v_fma_f64 v[2:3], v[42:43], v[202:203], -v[2:3]
	v_mul_f64_e32 v[42:43], v[42:43], v[204:205]
	v_add_f64_e32 v[12:13], v[12:13], v[2:3]
	s_delay_alu instid0(VALU_DEP_2) | instskip(NEXT) | instid1(VALU_DEP_1)
	v_fmac_f64_e32 v[42:43], v[44:45], v[202:203]
	v_add_f64_e32 v[14:15], v[14:15], v[42:43]
.LBB183_437:                            ;   in Loop: Header=BB183_3 Depth=1
	s_or_b32 exec_lo, exec_lo, s1
.LBB183_438:                            ;   in Loop: Header=BB183_3 Depth=1
	s_delay_alu instid0(SALU_CYCLE_1)
	s_or_b32 exec_lo, exec_lo, s0
	s_and_saveexec_b32 s0, s65
	s_cbranch_execz .LBB183_440
; %bb.439:                              ;   in Loop: Header=BB183_3 Depth=1
	s_delay_alu instid0(VALU_DEP_2) | instskip(NEXT) | instid1(VALU_DEP_2)
	v_xor_b32_e32 v43, 0x80000000, v13
	v_xor_b32_e32 v45, 0x80000000, v15
	s_delay_alu instid0(VALU_DEP_3)
	v_dual_mov_b32 v42, v12 :: v_dual_mov_b32 v44, v14
	ds_store_b128 v46, v[42:45]
.LBB183_440:                            ;   in Loop: Header=BB183_3 Depth=1
	s_or_b32 exec_lo, exec_lo, s0
	s_wait_loadcnt_dscnt 0x0
	s_barrier_signal -1
	s_barrier_wait -1
	s_and_saveexec_b32 s0, s66
	s_cbranch_execz .LBB183_442
; %bb.441:                              ;   in Loop: Header=BB183_3 Depth=1
	ds_load_b128 v[42:45], v46
	ds_load_b128 v[202:205], v1 offset:512
	s_wait_dscnt 0x0
	v_mul_f64_e32 v[2:3], v[42:43], v[202:203]
	v_mul_f64_e32 v[42:43], v[42:43], v[204:205]
	s_delay_alu instid0(VALU_DEP_2) | instskip(NEXT) | instid1(VALU_DEP_2)
	v_fma_f64 v[2:3], v[44:45], v[204:205], -v[2:3]
	v_fmac_f64_e32 v[42:43], v[44:45], v[202:203]
	s_delay_alu instid0(VALU_DEP_2) | instskip(NEXT) | instid1(VALU_DEP_2)
	v_add_f64_e32 v[12:13], v[12:13], v[2:3]
	v_add_f64_e64 v[14:15], v[14:15], -v[42:43]
.LBB183_442:                            ;   in Loop: Header=BB183_3 Depth=1
	s_or_b32 exec_lo, exec_lo, s0
	s_barrier_signal -1
	s_barrier_wait -1
	s_and_saveexec_b32 s0, s66
	s_cbranch_execz .LBB183_444
; %bb.443:                              ;   in Loop: Header=BB183_3 Depth=1
	s_delay_alu instid0(VALU_DEP_2) | instskip(NEXT) | instid1(VALU_DEP_2)
	v_xor_b32_e32 v43, 0x80000000, v13
	v_xor_b32_e32 v45, 0x80000000, v15
	s_delay_alu instid0(VALU_DEP_3)
	v_dual_mov_b32 v42, v12 :: v_dual_mov_b32 v44, v14
	ds_store_b128 v46, v[42:45]
.LBB183_444:                            ;   in Loop: Header=BB183_3 Depth=1
	s_or_b32 exec_lo, exec_lo, s0
	s_wait_dscnt 0x0
	s_barrier_signal -1
	s_barrier_wait -1
	s_barrier_signal -1
	s_barrier_wait -1
	s_and_saveexec_b32 s0, s3
; %bb.445:                              ;   in Loop: Header=BB183_3 Depth=1
	ds_store_b128 v50, v[12:15] offset:1536
; %bb.446:                              ;   in Loop: Header=BB183_3 Depth=1
	s_or_b32 exec_lo, exec_lo, s0
	s_wait_dscnt 0x0
	s_barrier_signal -1
	s_barrier_wait -1
	s_barrier_signal -1
	s_barrier_wait -1
	s_and_saveexec_b32 s0, s67
	s_cbranch_execz .LBB183_448
; %bb.447:                              ;   in Loop: Header=BB183_3 Depth=1
	ds_load_b128 v[12:15], v128
	s_wait_dscnt 0x0
	ds_store_b128 v134, v[12:15]
	ds_load_b128 v[12:15], v129
	s_wait_dscnt 0x0
	ds_store_b128 v135, v[12:15]
.LBB183_448:                            ;   in Loop: Header=BB183_3 Depth=1
	s_or_b32 exec_lo, exec_lo, s0
	s_wait_dscnt 0x0
	s_barrier_signal -1
	s_barrier_wait -1
	s_and_saveexec_b32 s0, s29
	s_cbranch_execz .LBB183_450
; %bb.449:                              ;   in Loop: Header=BB183_3 Depth=1
	s_mov_b32 s48, s53
	s_mov_b32 s50, s53
	;; [unrolled: 1-line block ×3, first 2 shown]
	v_mov_b64_e32 v[12:13], s[48:49]
	v_mov_b64_e32 v[14:15], s[50:51]
	ds_store_b128 v1, v[12:15]
	ds_store_b128 v1, v[12:15] offset:528
	ds_load_b128 v[12:15], v1 offset:512
	s_wait_dscnt 0x0
	ds_store_b128 v1, v[12:15] offset:16
.LBB183_450:                            ;   in Loop: Header=BB183_3 Depth=1
	s_or_b32 exec_lo, exec_lo, s0
.LBB183_451:                            ;   in Loop: Header=BB183_3 Depth=1
	v_mov_b64_e32 v[12:13], 0
	v_add_nc_u64_e32 v[42:43], s[42:43], v[18:19]
	s_wait_dscnt 0x0
	s_barrier_signal -1
	s_barrier_wait -1
	s_delay_alu instid0(VALU_DEP_2)
	v_mov_b64_e32 v[14:15], v[12:13]
	s_wait_xcnt 0x0
	s_and_saveexec_b32 s0, s102
	s_cbranch_execz .LBB183_453
; %bb.452:                              ;   in Loop: Header=BB183_3 Depth=1
	v_lshl_add_u64 v[2:3], v[30:31], 4, v[42:43]
	flat_load_b128 v[202:205], v[2:3]
	s_wait_loadcnt_dscnt 0x0
	v_mul_f64_e32 v[2:3], s[36:37], v[202:203]
	s_delay_alu instid0(VALU_DEP_1) | instskip(SKIP_1) | instid1(VALU_DEP_1)
	v_fma_f64 v[12:13], s[38:39], v[204:205], -v[2:3]
	v_mul_f64_e32 v[2:3], s[36:37], v[204:205]
	v_fma_f64 v[14:15], v[202:203], -s[38:39], -v[2:3]
.LBB183_453:                            ;   in Loop: Header=BB183_3 Depth=1
	s_or_b32 exec_lo, exec_lo, s0
	s_delay_alu instid0(SALU_CYCLE_1)
	s_and_not1_b32 vcc_lo, exec_lo, s103
	s_cbranch_vccnz .LBB183_476
; %bb.454:                              ;   in Loop: Header=BB183_3 Depth=1
	v_mov_b32_e32 v21, -1
	s_lshl_b64 s[0:1], s[52:53], 2
	s_delay_alu instid0(SALU_CYCLE_1)
	s_add_nc_u64 s[50:51], s[56:57], s[0:1]
	s_mov_b32 s1, 0
	s_branch .LBB183_457
.LBB183_455:                            ;   in Loop: Header=BB183_457 Depth=2
	ds_load_b128 v[202:205], v131 offset:256
	s_wait_loadcnt_dscnt 0x0
	v_mul_f64_e32 v[2:3], v[44:45], v[204:205]
	v_mul_f64_e32 v[44:45], v[44:45], v[202:203]
	s_delay_alu instid0(VALU_DEP_2) | instskip(NEXT) | instid1(VALU_DEP_2)
	v_fmac_f64_e32 v[2:3], v[18:19], v[202:203]
	v_fma_f64 v[18:19], v[18:19], v[204:205], -v[44:45]
	s_delay_alu instid0(VALU_DEP_2) | instskip(NEXT) | instid1(VALU_DEP_2)
	v_add_f64_e32 v[12:13], v[12:13], v[2:3]
	v_add_f64_e32 v[14:15], v[14:15], v[18:19]
.LBB183_456:                            ;   in Loop: Header=BB183_457 Depth=2
	s_or_b32 exec_lo, exec_lo, s0
	s_add_co_i32 s1, s1, 1
	s_delay_alu instid0(SALU_CYCLE_1)
	s_cmp_eq_u32 s1, s61
	s_cbranch_scc1 .LBB183_476
.LBB183_457:                            ;   Parent Loop BB183_3 Depth=1
                                        ; =>  This Loop Header: Depth=2
                                        ;       Child Loop BB183_459 Depth 3
	v_cmp_gt_i32_e32 vcc_lo, s1, v21
	s_and_b32 s48, s33, vcc_lo
	s_delay_alu instid0(SALU_CYCLE_1)
	s_and_saveexec_b32 s0, s48
	s_cbranch_execz .LBB183_460
; %bb.458:                              ;   in Loop: Header=BB183_457 Depth=2
	global_load_b32 v21, v1, s[50:51]
	s_wait_loadcnt 0x0
	v_cmp_le_i32_e32 vcc_lo, s1, v21
	s_cbranch_vccnz .LBB183_460
.LBB183_459:                            ;   Parent Loop BB183_3 Depth=1
                                        ;     Parent Loop BB183_457 Depth=2
                                        ; =>    This Inner Loop Header: Depth=3
	global_wb scope:SCOPE_DEV
	s_wait_storecnt 0x0
	global_inv scope:SCOPE_DEV
	global_load_b32 v21, v1, s[50:51]
	s_wait_loadcnt 0x0
	v_cmp_gt_i32_e32 vcc_lo, s1, v21
	s_cbranch_vccnz .LBB183_459
.LBB183_460:                            ;   in Loop: Header=BB183_457 Depth=2
	s_or_b32 exec_lo, exec_lo, s0
	s_lshl_b32 s0, s1, 5
	global_wb scope:SCOPE_DEV
	s_wait_storecnt 0x0
	global_inv scope:SCOPE_DEV
	s_wait_loadcnt 0x0
	s_barrier_signal -1
	s_barrier_wait -1
	s_and_saveexec_b32 s48, s34
	s_cbranch_execz .LBB183_465
; %bb.461:                              ;   in Loop: Header=BB183_457 Depth=2
	v_or_b32_e32 v0, s0, v24
	s_delay_alu instid0(VALU_DEP_1) | instskip(SKIP_1) | instid1(SALU_CYCLE_1)
	v_cmp_le_i32_e32 vcc_lo, s60, v0
	s_and_saveexec_b32 s23, vcc_lo
	s_xor_b32 vcc_lo, exec_lo, s23
; %bb.462:                              ;   in Loop: Header=BB183_457 Depth=2
	v_dual_mov_b32 v0, v1 :: v_dual_mov_b32 v2, v1
	v_mov_b32_e32 v3, v1
	ds_store_b128 v198, v[0:3]
; %bb.463:                              ;   in Loop: Header=BB183_457 Depth=2
	s_and_not1_saveexec_b32 s22, vcc_lo
	s_cbranch_execz .LBB183_465
; %bb.464:                              ;   in Loop: Header=BB183_457 Depth=2
	v_mul_u64_e32 v[2:3], s[54:55], v[0:1]
	s_delay_alu instid0(VALU_DEP_1)
	v_lshl_add_u64 v[2:3], v[2:3], 4, v[42:43]
	flat_load_b128 v[202:205], v[2:3]
	s_wait_loadcnt_dscnt 0x0
	ds_store_2addr_b64 v198, v[202:203], v[204:205] offset1:1
.LBB183_465:                            ;   in Loop: Header=BB183_457 Depth=2
	s_or_b32 exec_lo, exec_lo, s48
	v_add_nc_u32_e32 v0, s0, v20
	v_cmp_ne_u32_e32 vcc_lo, s1, v23
	s_wait_dscnt 0x0
	s_barrier_signal -1
	s_barrier_wait -1
	v_cmp_gt_i32_e64 s0, s60, v0
	v_lshl_add_u64 v[2:3], v[0:1], 4, v[16:17]
	v_cndmask_b32_e64 v202, 0, 1, vcc_lo
	s_and_b32 s22, s0, s2
	s_delay_alu instid0(SALU_CYCLE_1)
	s_and_saveexec_b32 s0, s22
	s_cbranch_execz .LBB183_471
; %bb.466:                              ;   in Loop: Header=BB183_457 Depth=2
	v_mov_b64_e32 v[18:19], v[4:5]
	s_and_not1_b32 vcc_lo, exec_lo, vcc_lo
	s_cbranch_vccnz .LBB183_468
; %bb.467:                              ;   in Loop: Header=BB183_457 Depth=2
	flat_load_b64 v[18:19], v[2:3]
.LBB183_468:                            ;   in Loop: Header=BB183_457 Depth=2
	v_cmp_ne_u32_e32 vcc_lo, 1, v202
	v_mov_b64_e32 v[44:45], v[6:7]
	s_cbranch_vccnz .LBB183_470
; %bb.469:                              ;   in Loop: Header=BB183_457 Depth=2
	flat_load_b64 v[44:45], v[2:3] offset:8
.LBB183_470:                            ;   in Loop: Header=BB183_457 Depth=2
	ds_load_b128 v[204:207], v131
	s_wait_loadcnt_dscnt 0x0
	v_mul_f64_e32 v[208:209], v[44:45], v[206:207]
	v_mul_f64_e32 v[44:45], v[44:45], v[204:205]
	s_delay_alu instid0(VALU_DEP_2) | instskip(NEXT) | instid1(VALU_DEP_2)
	v_fmac_f64_e32 v[208:209], v[18:19], v[204:205]
	v_fma_f64 v[18:19], v[18:19], v[206:207], -v[44:45]
	s_delay_alu instid0(VALU_DEP_2) | instskip(NEXT) | instid1(VALU_DEP_2)
	v_add_f64_e32 v[12:13], v[12:13], v[208:209]
	v_add_f64_e32 v[14:15], v[14:15], v[18:19]
.LBB183_471:                            ;   in Loop: Header=BB183_457 Depth=2
	s_or_b32 exec_lo, exec_lo, s0
	v_add_nc_u32_e32 v0, 16, v0
	s_delay_alu instid0(VALU_DEP_1) | instskip(SKIP_1) | instid1(SALU_CYCLE_1)
	v_cmp_gt_i32_e32 vcc_lo, s60, v0
	s_and_b32 s22, vcc_lo, s2
	s_and_saveexec_b32 s0, s22
	s_cbranch_execz .LBB183_456
; %bb.472:                              ;   in Loop: Header=BB183_457 Depth=2
	v_cmp_ne_u32_e32 vcc_lo, 1, v202
	v_mov_b64_e32 v[18:19], v[8:9]
	s_cbranch_vccnz .LBB183_474
; %bb.473:                              ;   in Loop: Header=BB183_457 Depth=2
	flat_load_b64 v[18:19], v[2:3] offset:256
.LBB183_474:                            ;   in Loop: Header=BB183_457 Depth=2
	v_cmp_ne_u32_e32 vcc_lo, 1, v202
	v_mov_b64_e32 v[44:45], v[10:11]
	s_cbranch_vccnz .LBB183_455
; %bb.475:                              ;   in Loop: Header=BB183_457 Depth=2
	flat_load_b64 v[44:45], v[2:3] offset:264
	s_branch .LBB183_455
.LBB183_476:                            ;   in Loop: Header=BB183_3 Depth=1
	ds_store_b128 v199, v[12:15]
	s_wait_dscnt 0x0
	s_barrier_signal -1
	s_barrier_wait -1
	s_and_saveexec_b32 s0, s5
	s_cbranch_execz .LBB183_478
; %bb.477:                              ;   in Loop: Header=BB183_3 Depth=1
	ds_load_b128 v[16:19], v200 offset:512
	s_wait_dscnt 0x0
	v_add_f64_e32 v[2:3], v[12:13], v[16:17]
	v_add_f64_e32 v[16:17], v[14:15], v[18:19]
	ds_load_b128 v[12:15], v200 offset:1024
	s_wait_dscnt 0x0
	v_add_f64_e32 v[2:3], v[2:3], v[12:13]
	v_add_f64_e32 v[16:17], v[16:17], v[14:15]
	;; [unrolled: 4-line block ×15, first 2 shown]
	s_delay_alu instid0(VALU_DEP_2) | instskip(NEXT) | instid1(VALU_DEP_2)
	v_xor_b32_e32 v0, 0x80000000, v3
	v_xor_b32_e32 v3, 0x80000000, v15
	s_delay_alu instid0(VALU_DEP_4) | instskip(NEXT) | instid1(VALU_DEP_4)
	v_cndmask_b32_e64 v12, v2, 0, s101
	v_cndmask_b32_e64 v14, v14, 0, s101
	s_delay_alu instid0(VALU_DEP_4) | instskip(NEXT) | instid1(VALU_DEP_4)
	v_cndmask_b32_e64 v13, v0, 0, s101
	v_cndmask_b32_e64 v15, v3, 0, s101
.LBB183_478:                            ;   in Loop: Header=BB183_3 Depth=1
	s_or_b32 exec_lo, exec_lo, s0
	s_delay_alu instid0(SALU_CYCLE_1)
	s_and_not1_b32 vcc_lo, exec_lo, s64
	s_cbranch_vccnz .LBB183_487
; %bb.479:                              ;   in Loop: Header=BB183_3 Depth=1
	s_and_saveexec_b32 s0, s5
; %bb.480:                              ;   in Loop: Header=BB183_3 Depth=1
	ds_store_b128 v201, v[12:15]
; %bb.481:                              ;   in Loop: Header=BB183_3 Depth=1
	s_or_b32 exec_lo, exec_lo, s0
	v_mov_b64_e32 v[16:17], 0
	v_mov_b64_e32 v[18:19], 0
	s_wait_dscnt 0x0
	s_barrier_signal -1
	s_barrier_wait -1
	s_and_saveexec_b32 s0, s16
	s_cbranch_execz .LBB183_483
; %bb.482:                              ;   in Loop: Header=BB183_3 Depth=1
	ds_load_b128 v[16:19], v131
	ds_load_b128 v[202:205], v136
	s_wait_dscnt 0x0
	v_mul_f64_e32 v[2:3], v[18:19], v[204:205]
	v_mul_f64_e32 v[44:45], v[16:17], v[204:205]
	s_delay_alu instid0(VALU_DEP_2) | instskip(NEXT) | instid1(VALU_DEP_2)
	v_fma_f64 v[2:3], v[16:17], v[202:203], -v[2:3]
	v_fmac_f64_e32 v[44:45], v[18:19], v[202:203]
	s_delay_alu instid0(VALU_DEP_2) | instskip(NEXT) | instid1(VALU_DEP_2)
	v_add_f64_e32 v[16:17], 0, v[2:3]
	v_add_f64_e32 v[18:19], 0, v[44:45]
.LBB183_483:                            ;   in Loop: Header=BB183_3 Depth=1
	s_or_b32 exec_lo, exec_lo, s0
	s_and_saveexec_b32 s0, s17
	s_cbranch_execz .LBB183_485
; %bb.484:                              ;   in Loop: Header=BB183_3 Depth=1
	ds_load_b128 v[202:205], v131 offset:256
	ds_load_b128 v[206:209], v136 offset:8192
	s_wait_dscnt 0x0
	v_mul_f64_e32 v[2:3], v[204:205], v[208:209]
	v_mul_f64_e32 v[44:45], v[202:203], v[208:209]
	s_delay_alu instid0(VALU_DEP_2) | instskip(NEXT) | instid1(VALU_DEP_2)
	v_fma_f64 v[2:3], v[202:203], v[206:207], -v[2:3]
	v_fmac_f64_e32 v[44:45], v[204:205], v[206:207]
	s_delay_alu instid0(VALU_DEP_2) | instskip(NEXT) | instid1(VALU_DEP_2)
	v_add_f64_e32 v[16:17], v[16:17], v[2:3]
	v_add_f64_e32 v[18:19], v[18:19], v[44:45]
.LBB183_485:                            ;   in Loop: Header=BB183_3 Depth=1
	s_or_b32 exec_lo, exec_lo, s0
	s_mov_b32 s1, 0
	s_mov_b32 s0, 0
	ds_store_b128 v199, v[16:19]
	s_wait_dscnt 0x0
	s_barrier_signal -1
	s_barrier_wait -1
                                        ; implicit-def: $vgpr2_vgpr3
                                        ; implicit-def: $vgpr44_vgpr45
	s_and_saveexec_b32 s48, s5
	s_cbranch_execz .LBB183_517
; %bb.486:                              ;   in Loop: Header=BB183_3 Depth=1
	ds_load_b128 v[202:205], v200 offset:512
	s_mov_b32 s0, exec_lo
	s_wait_dscnt 0x0
	v_add_f64_e32 v[2:3], v[16:17], v[202:203]
	v_add_f64_e32 v[44:45], v[18:19], v[204:205]
	ds_load_b128 v[16:19], v200 offset:1024
	s_wait_dscnt 0x0
	v_add_f64_e32 v[2:3], v[2:3], v[16:17]
	v_add_f64_e32 v[44:45], v[44:45], v[18:19]
	ds_load_b128 v[16:19], v200 offset:1536
	;; [unrolled: 4-line block ×14, first 2 shown]
	s_wait_dscnt 0x0
	v_add_f64_e32 v[44:45], v[2:3], v[16:17]
	v_add_f64_e32 v[2:3], v[202:203], v[18:19]
	s_or_b32 exec_lo, exec_lo, s48
	s_delay_alu instid0(SALU_CYCLE_1)
	s_and_b32 vcc_lo, exec_lo, s1
	s_cbranch_vccnz .LBB183_488
	s_branch .LBB183_518
.LBB183_487:                            ;   in Loop: Header=BB183_3 Depth=1
	s_mov_b32 s0, 0
                                        ; implicit-def: $vgpr2_vgpr3
                                        ; implicit-def: $vgpr44_vgpr45
	s_cbranch_execz .LBB183_518
.LBB183_488:                            ;   in Loop: Header=BB183_3 Depth=1
	v_dual_mov_b32 v0, v22 :: v_dual_mov_b32 v2, v49
	s_mov_b32 s1, 0
	s_branch .LBB183_490
.LBB183_489:                            ;   in Loop: Header=BB183_490 Depth=2
	s_or_b32 exec_lo, exec_lo, s48
	v_add_nc_u32_e32 v2, 0x400, v2
	v_add_nc_u32_e32 v0, -2, v0
	s_add_co_i32 s1, s1, 2
	s_delay_alu instid0(SALU_CYCLE_1)
	s_cmp_lg_u32 s1, 32
	s_barrier_signal -1
	s_barrier_wait -1
	s_cbranch_scc0 .LBB183_498
.LBB183_490:                            ;   Parent Loop BB183_3 Depth=1
                                        ; =>  This Inner Loop Header: Depth=2
	s_delay_alu instid0(VALU_DEP_1) | instskip(SKIP_1) | instid1(SALU_CYCLE_1)
	v_cmp_eq_u32_e32 vcc_lo, 0, v0
	s_and_b32 s22, s5, vcc_lo
	s_and_saveexec_b32 s48, s22
; %bb.491:                              ;   in Loop: Header=BB183_490 Depth=2
	ds_store_b128 v1, v[12:15] offset:25088
; %bb.492:                              ;   in Loop: Header=BB183_490 Depth=2
	s_or_b32 exec_lo, exec_lo, s48
	v_cmp_lt_u32_e32 vcc_lo, s1, v22
	s_wait_dscnt 0x0
	s_barrier_signal -1
	s_barrier_wait -1
	s_and_b32 s22, s5, vcc_lo
	s_delay_alu instid0(SALU_CYCLE_1)
	s_and_saveexec_b32 s48, s22
	s_cbranch_execz .LBB183_494
; %bb.493:                              ;   in Loop: Header=BB183_490 Depth=2
	ds_load_b128 v[16:19], v1 offset:25088
	ds_load_b128 v[202:205], v2
	s_wait_dscnt 0x0
	v_mul_f64_e32 v[44:45], v[18:19], v[204:205]
	s_delay_alu instid0(VALU_DEP_1) | instskip(SKIP_1) | instid1(VALU_DEP_2)
	v_fma_f64 v[44:45], v[16:17], v[202:203], -v[44:45]
	v_mul_f64_e32 v[16:17], v[16:17], v[204:205]
	v_add_f64_e32 v[12:13], v[12:13], v[44:45]
	s_delay_alu instid0(VALU_DEP_2) | instskip(NEXT) | instid1(VALU_DEP_1)
	v_fmac_f64_e32 v[16:17], v[18:19], v[202:203]
	v_add_f64_e32 v[14:15], v[14:15], v[16:17]
.LBB183_494:                            ;   in Loop: Header=BB183_490 Depth=2
	s_or_b32 exec_lo, exec_lo, s48
	s_or_b32 s48, s1, 1
	s_delay_alu instid0(SALU_CYCLE_1) | instskip(SKIP_3) | instid1(SALU_CYCLE_1)
	v_cmp_eq_u32_e32 vcc_lo, s48, v22
	s_barrier_signal -1
	s_barrier_wait -1
	s_and_b32 s22, s5, vcc_lo
	s_and_saveexec_b32 s50, s22
; %bb.495:                              ;   in Loop: Header=BB183_490 Depth=2
	ds_store_b128 v1, v[12:15] offset:25088
; %bb.496:                              ;   in Loop: Header=BB183_490 Depth=2
	s_or_b32 exec_lo, exec_lo, s50
	v_cmp_lt_u32_e32 vcc_lo, s48, v22
	s_wait_dscnt 0x0
	s_barrier_signal -1
	s_barrier_wait -1
	s_and_b32 s22, s5, vcc_lo
	s_delay_alu instid0(SALU_CYCLE_1)
	s_and_saveexec_b32 s48, s22
	s_cbranch_execz .LBB183_489
; %bb.497:                              ;   in Loop: Header=BB183_490 Depth=2
	ds_load_b128 v[16:19], v1 offset:25088
	ds_load_b128 v[202:205], v2 offset:512
	s_wait_dscnt 0x0
	v_mul_f64_e32 v[44:45], v[18:19], v[204:205]
	s_delay_alu instid0(VALU_DEP_1) | instskip(SKIP_1) | instid1(VALU_DEP_2)
	v_fma_f64 v[44:45], v[16:17], v[202:203], -v[44:45]
	v_mul_f64_e32 v[16:17], v[16:17], v[204:205]
	v_add_f64_e32 v[12:13], v[12:13], v[44:45]
	s_delay_alu instid0(VALU_DEP_2) | instskip(NEXT) | instid1(VALU_DEP_1)
	v_fmac_f64_e32 v[16:17], v[18:19], v[202:203]
	v_add_f64_e32 v[14:15], v[14:15], v[16:17]
	s_branch .LBB183_489
.LBB183_498:                            ;   in Loop: Header=BB183_3 Depth=1
	s_and_b32 vcc_lo, exec_lo, s63
	s_mov_b32 s1, -1
	s_cbranch_vccz .LBB183_500
; %bb.499:                              ;   in Loop: Header=BB183_3 Depth=1
	s_and_not1_b32 s0, s0, exec_lo
	s_and_b32 s22, s5, exec_lo
	s_mov_b32 s1, 0
	s_or_b32 s0, s0, s22
.LBB183_500:                            ;   in Loop: Header=BB183_3 Depth=1
	s_and_not1_b32 vcc_lo, exec_lo, s1
	s_cbranch_vccnz .LBB183_502
; %bb.501:                              ;   in Loop: Header=BB183_3 Depth=1
	v_readlane_b32 s1, v210, 17
	s_and_not1_b32 s0, s0, exec_lo
	s_and_b32 s1, s1, exec_lo
	s_delay_alu instid0(SALU_CYCLE_1)
	s_or_b32 s0, s0, s1
.LBB183_502:                            ;   in Loop: Header=BB183_3 Depth=1
	v_mov_b64_e32 v[2:3], v[32:33]
	s_and_saveexec_b32 s1, s0
	s_cbranch_execnz .LBB183_519
	s_branch .LBB183_520
.LBB183_503:                            ;   in Loop: Header=BB183_3 Depth=1
	s_and_saveexec_b32 s1, s30
; %bb.504:                              ;   in Loop: Header=BB183_3 Depth=1
	v_dual_mov_b32 v0, v1 :: v_dual_mov_b32 v2, v1
	v_mov_b32_e32 v3, v1
	ds_store_b128 v25, v[0:3]
; %bb.505:                              ;   in Loop: Header=BB183_3 Depth=1
	s_or_b32 exec_lo, exec_lo, s1
	s_and_not1_saveexec_b32 s0, s0
	s_cbranch_execz .LBB183_12
.LBB183_506:                            ;   in Loop: Header=BB183_3 Depth=1
	v_lshl_add_u64 v[2:3], v[40:41], 4, v[12:13]
	flat_load_b128 v[42:45], v[2:3]
	s_wait_loadcnt_dscnt 0x0
	v_xor_b32_e32 v43, 0x80000000, v43
	ds_store_b128 v25, v[42:45]
	s_or_b32 exec_lo, exec_lo, s0
	s_and_saveexec_b32 s0, s17
	s_delay_alu instid0(SALU_CYCLE_1)
	s_xor_b32 s0, exec_lo, s0
	s_cbranch_execz .LBB183_13
.LBB183_507:                            ;   in Loop: Header=BB183_3 Depth=1
	s_and_saveexec_b32 s1, s31
; %bb.508:                              ;   in Loop: Header=BB183_3 Depth=1
	v_dual_mov_b32 v0, v1 :: v_dual_mov_b32 v2, v1
	v_mov_b32_e32 v3, v1
	ds_store_b128 v137, v[0:3]
; %bb.509:                              ;   in Loop: Header=BB183_3 Depth=1
	s_or_b32 exec_lo, exec_lo, s1
	s_and_not1_saveexec_b32 s0, s0
	s_cbranch_execnz .LBB183_14
	s_branch .LBB183_15
.LBB183_510:                            ;   in Loop: Header=BB183_3 Depth=1
	s_and_saveexec_b32 s1, s30
; %bb.511:                              ;   in Loop: Header=BB183_3 Depth=1
	v_dual_mov_b32 v0, v1 :: v_dual_mov_b32 v2, v1
	v_mov_b32_e32 v3, v1
	ds_store_b128 v130, v[0:3]
; %bb.512:                              ;   in Loop: Header=BB183_3 Depth=1
	s_or_b32 exec_lo, exec_lo, s1
	s_and_not1_saveexec_b32 s0, s0
	s_cbranch_execz .LBB183_19
.LBB183_513:                            ;   in Loop: Header=BB183_3 Depth=1
	v_lshl_add_u64 v[2:3], v[40:41], 4, v[12:13]
	flat_load_b128 v[42:45], v[2:3]
	s_wait_loadcnt_dscnt 0x0
	v_xor_b32_e32 v43, 0x80000000, v43
	ds_store_b128 v130, v[42:45]
	s_or_b32 exec_lo, exec_lo, s0
	s_and_saveexec_b32 s0, s24
	s_delay_alu instid0(SALU_CYCLE_1)
	s_xor_b32 s0, exec_lo, s0
	s_cbranch_execz .LBB183_20
.LBB183_514:                            ;   in Loop: Header=BB183_3 Depth=1
	s_and_saveexec_b32 s1, s31
; %bb.515:                              ;   in Loop: Header=BB183_3 Depth=1
	v_dual_mov_b32 v0, v1 :: v_dual_mov_b32 v2, v1
	v_mov_b32_e32 v3, v1
	ds_store_b128 v137, v[0:3]
; %bb.516:                              ;   in Loop: Header=BB183_3 Depth=1
	s_or_b32 exec_lo, exec_lo, s1
                                        ; implicit-def: $vgpr12_vgpr13
	s_and_not1_saveexec_b32 s0, s0
	s_cbranch_execnz .LBB183_21
	s_branch .LBB183_22
.LBB183_517:                            ;   in Loop: Header=BB183_3 Depth=1
	s_or_b32 exec_lo, exec_lo, s48
	s_delay_alu instid0(SALU_CYCLE_1)
	s_and_b32 vcc_lo, exec_lo, s1
	s_cbranch_vccnz .LBB183_488
.LBB183_518:                            ;   in Loop: Header=BB183_3 Depth=1
	s_delay_alu instid0(VALU_DEP_1) | instskip(NEXT) | instid1(VALU_DEP_3)
	v_mov_b64_e32 v[14:15], v[2:3]
	v_mov_b64_e32 v[12:13], v[44:45]
	;; [unrolled: 1-line block ×3, first 2 shown]
	s_and_saveexec_b32 s1, s0
	s_cbranch_execz .LBB183_520
.LBB183_519:                            ;   in Loop: Header=BB183_3 Depth=1
	s_delay_alu instid0(VALU_DEP_1)
	v_lshl_add_u64 v[2:3], v[2:3], 4, v[42:43]
	flat_store_b128 v[2:3], v[12:15]
.LBB183_520:                            ;   in Loop: Header=BB183_3 Depth=1
	s_wait_xcnt 0x0
	s_or_b32 exec_lo, exec_lo, s1
	global_wb scope:SCOPE_DEV
	s_wait_storecnt_dscnt 0x0
	global_inv scope:SCOPE_DEV
	s_wait_loadcnt 0x0
	s_barrier_signal -1
	s_barrier_wait -1
	s_and_saveexec_b32 s0, s33
	s_cbranch_execz .LBB183_2
; %bb.521:                              ;   in Loop: Header=BB183_3 Depth=1
	s_lshl_b64 s[50:51], s[52:53], 2
	s_delay_alu instid0(SALU_CYCLE_1)
	s_add_nc_u64 s[50:51], s[56:57], s[50:51]
	global_load_b32 v0, v1, s[50:51]
	s_wait_loadcnt 0x0
	v_add_nc_u32_e32 v0, 1, v0
	global_store_b32 v1, v0, s[50:51]
	s_branch .LBB183_2
.LBB183_522:                            ;   in Loop: Header=BB183_3 Depth=1
	ds_load_b128 v[42:45], v56 offset:16336
	ds_load_b128 v[202:205], v55 offset:15232
	s_wait_dscnt 0x0
	v_mul_f64_e32 v[2:3], v[44:45], v[204:205]
	s_delay_alu instid0(VALU_DEP_1) | instskip(SKIP_1) | instid1(VALU_DEP_2)
	v_fma_f64 v[2:3], v[42:43], v[202:203], -v[2:3]
	v_mul_f64_e32 v[42:43], v[42:43], v[204:205]
	v_add_f64_e32 v[12:13], v[12:13], v[2:3]
	s_delay_alu instid0(VALU_DEP_2) | instskip(NEXT) | instid1(VALU_DEP_1)
	v_fmac_f64_e32 v[42:43], v[44:45], v[202:203]
	v_add_f64_e32 v[14:15], v[14:15], v[42:43]
	s_or_b32 exec_lo, exec_lo, s1
	s_and_saveexec_b32 s1, s8
	s_cbranch_execz .LBB183_45
.LBB183_523:                            ;   in Loop: Header=BB183_3 Depth=1
	ds_load_b128 v[42:45], v56 offset:16352
	ds_load_b128 v[202:205], v55 offset:15744
	s_wait_dscnt 0x0
	v_mul_f64_e32 v[2:3], v[44:45], v[204:205]
	s_delay_alu instid0(VALU_DEP_1) | instskip(SKIP_1) | instid1(VALU_DEP_2)
	v_fma_f64 v[2:3], v[42:43], v[202:203], -v[2:3]
	v_mul_f64_e32 v[42:43], v[42:43], v[204:205]
	v_add_f64_e32 v[12:13], v[12:13], v[2:3]
	s_delay_alu instid0(VALU_DEP_2) | instskip(NEXT) | instid1(VALU_DEP_1)
	v_fmac_f64_e32 v[42:43], v[44:45], v[202:203]
	v_add_f64_e32 v[14:15], v[14:15], v[42:43]
	s_or_b32 exec_lo, exec_lo, s1
	s_and_saveexec_b32 s1, s3
	s_cbranch_execnz .LBB183_46
	s_branch .LBB183_47
.LBB183_524:                            ;   in Loop: Header=BB183_3 Depth=1
	ds_load_b128 v[42:45], v60 offset:16336
	ds_load_b128 v[202:205], v59 offset:15104
	s_wait_dscnt 0x0
	v_mul_f64_e32 v[2:3], v[44:45], v[204:205]
	s_delay_alu instid0(VALU_DEP_1) | instskip(SKIP_1) | instid1(VALU_DEP_2)
	v_fma_f64 v[2:3], v[42:43], v[202:203], -v[2:3]
	v_mul_f64_e32 v[42:43], v[42:43], v[204:205]
	v_add_f64_e32 v[12:13], v[12:13], v[2:3]
	s_delay_alu instid0(VALU_DEP_2) | instskip(NEXT) | instid1(VALU_DEP_1)
	v_fmac_f64_e32 v[42:43], v[44:45], v[202:203]
	v_add_f64_e32 v[14:15], v[14:15], v[42:43]
	s_or_b32 exec_lo, exec_lo, s1
	s_and_saveexec_b32 s1, s6
	s_cbranch_execz .LBB183_95
.LBB183_525:                            ;   in Loop: Header=BB183_3 Depth=1
	ds_load_b128 v[42:45], v60 offset:16352
	ds_load_b128 v[202:205], v59 offset:15616
	s_wait_dscnt 0x0
	v_mul_f64_e32 v[2:3], v[44:45], v[204:205]
	s_delay_alu instid0(VALU_DEP_1) | instskip(SKIP_1) | instid1(VALU_DEP_2)
	v_fma_f64 v[2:3], v[42:43], v[202:203], -v[2:3]
	v_mul_f64_e32 v[42:43], v[42:43], v[204:205]
	v_add_f64_e32 v[12:13], v[12:13], v[2:3]
	s_delay_alu instid0(VALU_DEP_2) | instskip(NEXT) | instid1(VALU_DEP_1)
	v_fmac_f64_e32 v[42:43], v[44:45], v[202:203]
	v_add_f64_e32 v[14:15], v[14:15], v[42:43]
	s_or_b32 exec_lo, exec_lo, s1
	s_and_saveexec_b32 s1, s8
	s_cbranch_execnz .LBB183_96
	s_branch .LBB183_97
.LBB183_526:                            ;   in Loop: Header=BB183_3 Depth=1
	ds_load_b128 v[42:45], v56 offset:12112
	ds_load_b128 v[202:205], v55 offset:11008
	s_wait_dscnt 0x0
	v_mul_f64_e32 v[2:3], v[44:45], v[204:205]
	s_delay_alu instid0(VALU_DEP_1) | instskip(SKIP_1) | instid1(VALU_DEP_2)
	v_fma_f64 v[2:3], v[42:43], v[202:203], -v[2:3]
	v_mul_f64_e32 v[42:43], v[42:43], v[204:205]
	v_add_f64_e32 v[12:13], v[12:13], v[2:3]
	s_delay_alu instid0(VALU_DEP_2) | instskip(NEXT) | instid1(VALU_DEP_1)
	v_fmac_f64_e32 v[42:43], v[44:45], v[202:203]
	v_add_f64_e32 v[14:15], v[14:15], v[42:43]
	s_or_b32 exec_lo, exec_lo, s1
	s_and_saveexec_b32 s1, s8
	s_cbranch_execz .LBB183_153
.LBB183_527:                            ;   in Loop: Header=BB183_3 Depth=1
	ds_load_b128 v[42:45], v56 offset:12128
	ds_load_b128 v[202:205], v55 offset:11520
	s_wait_dscnt 0x0
	v_mul_f64_e32 v[2:3], v[44:45], v[204:205]
	s_delay_alu instid0(VALU_DEP_1) | instskip(SKIP_1) | instid1(VALU_DEP_2)
	v_fma_f64 v[2:3], v[42:43], v[202:203], -v[2:3]
	v_mul_f64_e32 v[42:43], v[42:43], v[204:205]
	v_add_f64_e32 v[12:13], v[12:13], v[2:3]
	s_delay_alu instid0(VALU_DEP_2) | instskip(NEXT) | instid1(VALU_DEP_1)
	v_fmac_f64_e32 v[42:43], v[44:45], v[202:203]
	v_add_f64_e32 v[14:15], v[14:15], v[42:43]
	s_or_b32 exec_lo, exec_lo, s1
	s_and_saveexec_b32 s1, s3
	s_cbranch_execnz .LBB183_154
	s_branch .LBB183_155
.LBB183_528:                            ;   in Loop: Header=BB183_3 Depth=1
	ds_load_b128 v[42:45], v72 offset:16240
	ds_load_b128 v[202:205], v71 offset:11776
	s_wait_dscnt 0x0
	v_mul_f64_e32 v[2:3], v[44:45], v[204:205]
	s_delay_alu instid0(VALU_DEP_1) | instskip(SKIP_1) | instid1(VALU_DEP_2)
	v_fma_f64 v[2:3], v[42:43], v[202:203], -v[2:3]
	v_mul_f64_e32 v[42:43], v[42:43], v[204:205]
	v_add_f64_e32 v[12:13], v[12:13], v[2:3]
	s_delay_alu instid0(VALU_DEP_2) | instskip(NEXT) | instid1(VALU_DEP_1)
	v_fmac_f64_e32 v[42:43], v[44:45], v[202:203]
	v_add_f64_e32 v[14:15], v[14:15], v[42:43]
	s_or_b32 exec_lo, exec_lo, s1
	s_and_saveexec_b32 s1, s25
	s_cbranch_execz .LBB183_207
.LBB183_529:                            ;   in Loop: Header=BB183_3 Depth=1
	ds_load_b128 v[42:45], v72 offset:16256
	ds_load_b128 v[202:205], v71 offset:12288
	s_wait_dscnt 0x0
	v_mul_f64_e32 v[2:3], v[44:45], v[204:205]
	s_delay_alu instid0(VALU_DEP_1) | instskip(SKIP_1) | instid1(VALU_DEP_2)
	v_fma_f64 v[2:3], v[42:43], v[202:203], -v[2:3]
	v_mul_f64_e32 v[42:43], v[42:43], v[204:205]
	v_add_f64_e32 v[12:13], v[12:13], v[2:3]
	s_delay_alu instid0(VALU_DEP_2) | instskip(NEXT) | instid1(VALU_DEP_1)
	v_fmac_f64_e32 v[42:43], v[44:45], v[202:203]
	v_add_f64_e32 v[14:15], v[14:15], v[42:43]
	s_or_b32 exec_lo, exec_lo, s1
	s_and_saveexec_b32 s1, s26
	s_cbranch_execz .LBB183_208
.LBB183_530:                            ;   in Loop: Header=BB183_3 Depth=1
	ds_load_b128 v[42:45], v72 offset:16272
	ds_load_b128 v[202:205], v71 offset:12800
	s_wait_dscnt 0x0
	v_mul_f64_e32 v[2:3], v[44:45], v[204:205]
	s_delay_alu instid0(VALU_DEP_1) | instskip(SKIP_1) | instid1(VALU_DEP_2)
	v_fma_f64 v[2:3], v[42:43], v[202:203], -v[2:3]
	v_mul_f64_e32 v[42:43], v[42:43], v[204:205]
	v_add_f64_e32 v[12:13], v[12:13], v[2:3]
	s_delay_alu instid0(VALU_DEP_2) | instskip(NEXT) | instid1(VALU_DEP_1)
	v_fmac_f64_e32 v[42:43], v[44:45], v[202:203]
	v_add_f64_e32 v[14:15], v[14:15], v[42:43]
	s_or_b32 exec_lo, exec_lo, s1
	s_and_saveexec_b32 s1, s27
	s_cbranch_execz .LBB183_209
.LBB183_531:                            ;   in Loop: Header=BB183_3 Depth=1
	ds_load_b128 v[42:45], v72 offset:16288
	ds_load_b128 v[202:205], v71 offset:13312
	s_wait_dscnt 0x0
	v_mul_f64_e32 v[2:3], v[44:45], v[204:205]
	s_delay_alu instid0(VALU_DEP_1) | instskip(SKIP_1) | instid1(VALU_DEP_2)
	v_fma_f64 v[2:3], v[42:43], v[202:203], -v[2:3]
	v_mul_f64_e32 v[42:43], v[42:43], v[204:205]
	v_add_f64_e32 v[12:13], v[12:13], v[2:3]
	s_delay_alu instid0(VALU_DEP_2) | instskip(NEXT) | instid1(VALU_DEP_1)
	v_fmac_f64_e32 v[42:43], v[44:45], v[202:203]
	v_add_f64_e32 v[14:15], v[14:15], v[42:43]
	s_or_b32 exec_lo, exec_lo, s1
	s_and_saveexec_b32 s1, s18
	s_cbranch_execz .LBB183_210
.LBB183_532:                            ;   in Loop: Header=BB183_3 Depth=1
	ds_load_b128 v[42:45], v72 offset:16304
	ds_load_b128 v[202:205], v71 offset:13824
	s_wait_dscnt 0x0
	v_mul_f64_e32 v[2:3], v[44:45], v[204:205]
	s_delay_alu instid0(VALU_DEP_1) | instskip(SKIP_1) | instid1(VALU_DEP_2)
	v_fma_f64 v[2:3], v[42:43], v[202:203], -v[2:3]
	v_mul_f64_e32 v[42:43], v[42:43], v[204:205]
	v_add_f64_e32 v[12:13], v[12:13], v[2:3]
	s_delay_alu instid0(VALU_DEP_2) | instskip(NEXT) | instid1(VALU_DEP_1)
	v_fmac_f64_e32 v[42:43], v[44:45], v[202:203]
	v_add_f64_e32 v[14:15], v[14:15], v[42:43]
	s_or_b32 exec_lo, exec_lo, s1
	s_and_saveexec_b32 s1, s9
	s_cbranch_execz .LBB183_211
.LBB183_533:                            ;   in Loop: Header=BB183_3 Depth=1
	ds_load_b128 v[42:45], v72 offset:16320
	ds_load_b128 v[202:205], v71 offset:14336
	s_wait_dscnt 0x0
	v_mul_f64_e32 v[2:3], v[44:45], v[204:205]
	s_delay_alu instid0(VALU_DEP_1) | instskip(SKIP_1) | instid1(VALU_DEP_2)
	v_fma_f64 v[2:3], v[42:43], v[202:203], -v[2:3]
	v_mul_f64_e32 v[42:43], v[42:43], v[204:205]
	v_add_f64_e32 v[12:13], v[12:13], v[2:3]
	s_delay_alu instid0(VALU_DEP_2) | instskip(NEXT) | instid1(VALU_DEP_1)
	v_fmac_f64_e32 v[42:43], v[44:45], v[202:203]
	v_add_f64_e32 v[14:15], v[14:15], v[42:43]
	s_or_b32 exec_lo, exec_lo, s1
	s_and_saveexec_b32 s1, s11
	s_cbranch_execz .LBB183_212
.LBB183_534:                            ;   in Loop: Header=BB183_3 Depth=1
	ds_load_b128 v[42:45], v72 offset:16336
	ds_load_b128 v[202:205], v71 offset:14848
	s_wait_dscnt 0x0
	v_mul_f64_e32 v[2:3], v[44:45], v[204:205]
	s_delay_alu instid0(VALU_DEP_1) | instskip(SKIP_1) | instid1(VALU_DEP_2)
	v_fma_f64 v[2:3], v[42:43], v[202:203], -v[2:3]
	v_mul_f64_e32 v[42:43], v[42:43], v[204:205]
	v_add_f64_e32 v[12:13], v[12:13], v[2:3]
	s_delay_alu instid0(VALU_DEP_2) | instskip(NEXT) | instid1(VALU_DEP_1)
	v_fmac_f64_e32 v[42:43], v[44:45], v[202:203]
	v_add_f64_e32 v[14:15], v[14:15], v[42:43]
	s_or_b32 exec_lo, exec_lo, s1
	s_and_saveexec_b32 s1, s13
	s_cbranch_execz .LBB183_213
.LBB183_535:                            ;   in Loop: Header=BB183_3 Depth=1
	ds_load_b128 v[42:45], v72 offset:16352
	ds_load_b128 v[202:205], v71 offset:15360
	s_wait_dscnt 0x0
	v_mul_f64_e32 v[2:3], v[44:45], v[204:205]
	s_delay_alu instid0(VALU_DEP_1) | instskip(SKIP_1) | instid1(VALU_DEP_2)
	v_fma_f64 v[2:3], v[42:43], v[202:203], -v[2:3]
	v_mul_f64_e32 v[42:43], v[42:43], v[204:205]
	v_add_f64_e32 v[12:13], v[12:13], v[2:3]
	s_delay_alu instid0(VALU_DEP_2) | instskip(NEXT) | instid1(VALU_DEP_1)
	v_fmac_f64_e32 v[42:43], v[44:45], v[202:203]
	v_add_f64_e32 v[14:15], v[14:15], v[42:43]
	s_or_b32 exec_lo, exec_lo, s1
	s_and_saveexec_b32 s1, s6
	s_cbranch_execnz .LBB183_214
	s_branch .LBB183_215
.LBB183_536:                            ;   in Loop: Header=BB183_3 Depth=1
	ds_load_b128 v[42:45], v56 offset:7888
	ds_load_b128 v[202:205], v55 offset:6784
	s_wait_dscnt 0x0
	v_mul_f64_e32 v[2:3], v[44:45], v[204:205]
	s_delay_alu instid0(VALU_DEP_1) | instskip(SKIP_1) | instid1(VALU_DEP_2)
	v_fma_f64 v[2:3], v[42:43], v[202:203], -v[2:3]
	v_mul_f64_e32 v[42:43], v[42:43], v[204:205]
	v_add_f64_e32 v[12:13], v[12:13], v[2:3]
	s_delay_alu instid0(VALU_DEP_2) | instskip(NEXT) | instid1(VALU_DEP_1)
	v_fmac_f64_e32 v[42:43], v[44:45], v[202:203]
	v_add_f64_e32 v[14:15], v[14:15], v[42:43]
	s_or_b32 exec_lo, exec_lo, s1
	s_and_saveexec_b32 s1, s8
	s_cbranch_execz .LBB183_303
.LBB183_537:                            ;   in Loop: Header=BB183_3 Depth=1
	ds_load_b128 v[42:45], v56 offset:7904
	ds_load_b128 v[202:205], v55 offset:7296
	s_wait_dscnt 0x0
	v_mul_f64_e32 v[2:3], v[44:45], v[204:205]
	s_delay_alu instid0(VALU_DEP_1) | instskip(SKIP_1) | instid1(VALU_DEP_2)
	v_fma_f64 v[2:3], v[42:43], v[202:203], -v[2:3]
	v_mul_f64_e32 v[42:43], v[42:43], v[204:205]
	v_add_f64_e32 v[12:13], v[12:13], v[2:3]
	s_delay_alu instid0(VALU_DEP_2) | instskip(NEXT) | instid1(VALU_DEP_1)
	v_fmac_f64_e32 v[42:43], v[44:45], v[202:203]
	v_add_f64_e32 v[14:15], v[14:15], v[42:43]
	s_or_b32 exec_lo, exec_lo, s1
	s_and_saveexec_b32 s1, s3
	s_cbranch_execnz .LBB183_304
	s_branch .LBB183_305
.LBB183_538:                            ;   in Loop: Header=BB183_3 Depth=1
	ds_load_b128 v[42:45], v60 offset:7888
	ds_load_b128 v[202:205], v59 offset:6656
	s_wait_dscnt 0x0
	v_mul_f64_e32 v[2:3], v[44:45], v[204:205]
	s_delay_alu instid0(VALU_DEP_1) | instskip(SKIP_1) | instid1(VALU_DEP_2)
	v_fma_f64 v[2:3], v[42:43], v[202:203], -v[2:3]
	v_mul_f64_e32 v[42:43], v[42:43], v[204:205]
	v_add_f64_e32 v[12:13], v[12:13], v[2:3]
	s_delay_alu instid0(VALU_DEP_2) | instskip(NEXT) | instid1(VALU_DEP_1)
	v_fmac_f64_e32 v[42:43], v[44:45], v[202:203]
	v_add_f64_e32 v[14:15], v[14:15], v[42:43]
	s_or_b32 exec_lo, exec_lo, s1
	s_and_saveexec_b32 s1, s6
	s_cbranch_execz .LBB183_353
.LBB183_539:                            ;   in Loop: Header=BB183_3 Depth=1
	ds_load_b128 v[42:45], v60 offset:7904
	ds_load_b128 v[202:205], v59 offset:7168
	s_wait_dscnt 0x0
	v_mul_f64_e32 v[2:3], v[44:45], v[204:205]
	s_delay_alu instid0(VALU_DEP_1) | instskip(SKIP_1) | instid1(VALU_DEP_2)
	v_fma_f64 v[2:3], v[42:43], v[202:203], -v[2:3]
	v_mul_f64_e32 v[42:43], v[42:43], v[204:205]
	v_add_f64_e32 v[12:13], v[12:13], v[2:3]
	s_delay_alu instid0(VALU_DEP_2) | instskip(NEXT) | instid1(VALU_DEP_1)
	v_fmac_f64_e32 v[42:43], v[44:45], v[202:203]
	v_add_f64_e32 v[14:15], v[14:15], v[42:43]
	s_or_b32 exec_lo, exec_lo, s1
	s_and_saveexec_b32 s1, s8
	s_cbranch_execnz .LBB183_354
	s_branch .LBB183_355
.LBB183_540:                            ;   in Loop: Header=BB183_3 Depth=1
	ds_load_b128 v[42:45], v56 offset:3664
	ds_load_b128 v[202:205], v55 offset:2560
	s_wait_dscnt 0x0
	v_mul_f64_e32 v[2:3], v[44:45], v[204:205]
	s_delay_alu instid0(VALU_DEP_1) | instskip(SKIP_1) | instid1(VALU_DEP_2)
	v_fma_f64 v[2:3], v[42:43], v[202:203], -v[2:3]
	v_mul_f64_e32 v[42:43], v[42:43], v[204:205]
	v_add_f64_e32 v[12:13], v[12:13], v[2:3]
	s_delay_alu instid0(VALU_DEP_2) | instskip(NEXT) | instid1(VALU_DEP_1)
	v_fmac_f64_e32 v[42:43], v[44:45], v[202:203]
	v_add_f64_e32 v[14:15], v[14:15], v[42:43]
	s_or_b32 exec_lo, exec_lo, s1
	s_and_saveexec_b32 s1, s8
	s_cbranch_execz .LBB183_411
.LBB183_541:                            ;   in Loop: Header=BB183_3 Depth=1
	ds_load_b128 v[42:45], v56 offset:3680
	ds_load_b128 v[202:205], v55 offset:3072
	s_wait_dscnt 0x0
	v_mul_f64_e32 v[2:3], v[44:45], v[204:205]
	s_delay_alu instid0(VALU_DEP_1) | instskip(SKIP_1) | instid1(VALU_DEP_2)
	v_fma_f64 v[2:3], v[42:43], v[202:203], -v[2:3]
	v_mul_f64_e32 v[42:43], v[42:43], v[204:205]
	v_add_f64_e32 v[12:13], v[12:13], v[2:3]
	s_delay_alu instid0(VALU_DEP_2) | instskip(NEXT) | instid1(VALU_DEP_1)
	v_fmac_f64_e32 v[42:43], v[44:45], v[202:203]
	v_add_f64_e32 v[14:15], v[14:15], v[42:43]
	s_or_b32 exec_lo, exec_lo, s1
	s_and_saveexec_b32 s1, s3
	s_cbranch_execnz .LBB183_412
	s_branch .LBB183_413
.LBB183_542:
	s_endpgm
	.section	.rodata,"a",@progbits
	.p2align	6, 0x0
	.amdhsa_kernel _ZL19rocblas_trsv_deviceILi32ELi16ELb0ELb1ELb1ELb1E19rocblas_complex_numIdES1_PKPKS1_PKPS1_EviT7_lllT6_T8_lllPii
		.amdhsa_group_segment_fixed_size 25104
		.amdhsa_private_segment_fixed_size 0
		.amdhsa_kernarg_size 360
		.amdhsa_user_sgpr_count 2
		.amdhsa_user_sgpr_dispatch_ptr 0
		.amdhsa_user_sgpr_queue_ptr 0
		.amdhsa_user_sgpr_kernarg_segment_ptr 1
		.amdhsa_user_sgpr_dispatch_id 0
		.amdhsa_user_sgpr_kernarg_preload_length 0
		.amdhsa_user_sgpr_kernarg_preload_offset 0
		.amdhsa_user_sgpr_private_segment_size 0
		.amdhsa_wavefront_size32 1
		.amdhsa_uses_dynamic_stack 0
		.amdhsa_enable_private_segment 0
		.amdhsa_system_sgpr_workgroup_id_x 1
		.amdhsa_system_sgpr_workgroup_id_y 0
		.amdhsa_system_sgpr_workgroup_id_z 1
		.amdhsa_system_sgpr_workgroup_info 0
		.amdhsa_system_vgpr_workitem_id 1
		.amdhsa_next_free_vgpr 211
		.amdhsa_next_free_sgpr 105
		.amdhsa_named_barrier_count 0
		.amdhsa_reserve_vcc 1
		.amdhsa_float_round_mode_32 0
		.amdhsa_float_round_mode_16_64 0
		.amdhsa_float_denorm_mode_32 3
		.amdhsa_float_denorm_mode_16_64 3
		.amdhsa_fp16_overflow 0
		.amdhsa_memory_ordered 1
		.amdhsa_forward_progress 1
		.amdhsa_inst_pref_size 185
		.amdhsa_round_robin_scheduling 0
		.amdhsa_exception_fp_ieee_invalid_op 0
		.amdhsa_exception_fp_denorm_src 0
		.amdhsa_exception_fp_ieee_div_zero 0
		.amdhsa_exception_fp_ieee_overflow 0
		.amdhsa_exception_fp_ieee_underflow 0
		.amdhsa_exception_fp_ieee_inexact 0
		.amdhsa_exception_int_div_zero 0
	.end_amdhsa_kernel
	.section	.text._ZL19rocblas_trsv_deviceILi32ELi16ELb0ELb1ELb1ELb1E19rocblas_complex_numIdES1_PKPKS1_PKPS1_EviT7_lllT6_T8_lllPii,"axG",@progbits,_ZL19rocblas_trsv_deviceILi32ELi16ELb0ELb1ELb1ELb1E19rocblas_complex_numIdES1_PKPKS1_PKPS1_EviT7_lllT6_T8_lllPii,comdat
.Lfunc_end183:
	.size	_ZL19rocblas_trsv_deviceILi32ELi16ELb0ELb1ELb1ELb1E19rocblas_complex_numIdES1_PKPKS1_PKPS1_EviT7_lllT6_T8_lllPii, .Lfunc_end183-_ZL19rocblas_trsv_deviceILi32ELi16ELb0ELb1ELb1ELb1E19rocblas_complex_numIdES1_PKPKS1_PKPS1_EviT7_lllT6_T8_lllPii
                                        ; -- End function
	.set _ZL19rocblas_trsv_deviceILi32ELi16ELb0ELb1ELb1ELb1E19rocblas_complex_numIdES1_PKPKS1_PKPS1_EviT7_lllT6_T8_lllPii.num_vgpr, 211
	.set _ZL19rocblas_trsv_deviceILi32ELi16ELb0ELb1ELb1ELb1E19rocblas_complex_numIdES1_PKPKS1_PKPS1_EviT7_lllT6_T8_lllPii.num_agpr, 0
	.set _ZL19rocblas_trsv_deviceILi32ELi16ELb0ELb1ELb1ELb1E19rocblas_complex_numIdES1_PKPKS1_PKPS1_EviT7_lllT6_T8_lllPii.numbered_sgpr, 105
	.set _ZL19rocblas_trsv_deviceILi32ELi16ELb0ELb1ELb1ELb1E19rocblas_complex_numIdES1_PKPKS1_PKPS1_EviT7_lllT6_T8_lllPii.num_named_barrier, 0
	.set _ZL19rocblas_trsv_deviceILi32ELi16ELb0ELb1ELb1ELb1E19rocblas_complex_numIdES1_PKPKS1_PKPS1_EviT7_lllT6_T8_lllPii.private_seg_size, 0
	.set _ZL19rocblas_trsv_deviceILi32ELi16ELb0ELb1ELb1ELb1E19rocblas_complex_numIdES1_PKPKS1_PKPS1_EviT7_lllT6_T8_lllPii.uses_vcc, 1
	.set _ZL19rocblas_trsv_deviceILi32ELi16ELb0ELb1ELb1ELb1E19rocblas_complex_numIdES1_PKPKS1_PKPS1_EviT7_lllT6_T8_lllPii.uses_flat_scratch, 0
	.set _ZL19rocblas_trsv_deviceILi32ELi16ELb0ELb1ELb1ELb1E19rocblas_complex_numIdES1_PKPKS1_PKPS1_EviT7_lllT6_T8_lllPii.has_dyn_sized_stack, 0
	.set _ZL19rocblas_trsv_deviceILi32ELi16ELb0ELb1ELb1ELb1E19rocblas_complex_numIdES1_PKPKS1_PKPS1_EviT7_lllT6_T8_lllPii.has_recursion, 0
	.set _ZL19rocblas_trsv_deviceILi32ELi16ELb0ELb1ELb1ELb1E19rocblas_complex_numIdES1_PKPKS1_PKPS1_EviT7_lllT6_T8_lllPii.has_indirect_call, 0
	.section	.AMDGPU.csdata,"",@progbits
; Kernel info:
; codeLenInByte = 23672
; TotalNumSgprs: 107
; NumVgprs: 211
; ScratchSize: 0
; MemoryBound: 1
; FloatMode: 240
; IeeeMode: 1
; LDSByteSize: 25104 bytes/workgroup (compile time only)
; SGPRBlocks: 0
; VGPRBlocks: 13
; NumSGPRsForWavesPerEU: 107
; NumVGPRsForWavesPerEU: 211
; NamedBarCnt: 0
; Occupancy: 4
; WaveLimiterHint : 1
; COMPUTE_PGM_RSRC2:SCRATCH_EN: 0
; COMPUTE_PGM_RSRC2:USER_SGPR: 2
; COMPUTE_PGM_RSRC2:TRAP_HANDLER: 0
; COMPUTE_PGM_RSRC2:TGID_X_EN: 1
; COMPUTE_PGM_RSRC2:TGID_Y_EN: 0
; COMPUTE_PGM_RSRC2:TGID_Z_EN: 1
; COMPUTE_PGM_RSRC2:TIDIG_COMP_CNT: 1
	.section	.text._ZL19rocblas_trsv_deviceILi32ELi16ELb0ELb0ELb0ELb0E19rocblas_complex_numIdES1_PKPKS1_PKPS1_EviT7_lllT6_T8_lllPii,"axG",@progbits,_ZL19rocblas_trsv_deviceILi32ELi16ELb0ELb0ELb0ELb0E19rocblas_complex_numIdES1_PKPKS1_PKPS1_EviT7_lllT6_T8_lllPii,comdat
	.globl	_ZL19rocblas_trsv_deviceILi32ELi16ELb0ELb0ELb0ELb0E19rocblas_complex_numIdES1_PKPKS1_PKPS1_EviT7_lllT6_T8_lllPii ; -- Begin function _ZL19rocblas_trsv_deviceILi32ELi16ELb0ELb0ELb0ELb0E19rocblas_complex_numIdES1_PKPKS1_PKPS1_EviT7_lllT6_T8_lllPii
	.p2align	8
	.type	_ZL19rocblas_trsv_deviceILi32ELi16ELb0ELb0ELb0ELb0E19rocblas_complex_numIdES1_PKPKS1_PKPS1_EviT7_lllT6_T8_lllPii,@function
_ZL19rocblas_trsv_deviceILi32ELi16ELb0ELb0ELb0ELb0E19rocblas_complex_numIdES1_PKPKS1_PKPS1_EviT7_lllT6_T8_lllPii: ; @_ZL19rocblas_trsv_deviceILi32ELi16ELb0ELb0ELb0ELb0E19rocblas_complex_numIdES1_PKPKS1_PKPS1_EviT7_lllT6_T8_lllPii
; %bb.0:
	s_load_b32 s39, s[0:1], 0x60
	s_bfe_u32 s2, ttmp6, 0x40014
	s_lshr_b32 s3, ttmp7, 16
	s_add_co_i32 s2, s2, 1
	s_bfe_u32 s5, ttmp6, 0x40008
	s_mul_i32 s4, s3, s2
	s_getreg_b32 s2, hwreg(HW_REG_IB_STS2, 6, 4)
	s_add_co_i32 s5, s5, s4
	s_cmp_eq_u32 s2, 0
	s_mov_b32 s53, 0
	s_cselect_b32 s52, s3, s5
	s_wait_kmcnt 0x0
	s_cmp_ge_u32 s52, s39
	s_cbranch_scc1 .LBB184_544
; %bb.1:
	s_clause 0x2
	s_load_b32 s3, s[0:1], 0x74
	s_load_b32 s65, s[0:1], 0x68
	;; [unrolled: 1-line block ×3, first 2 shown]
	s_bfe_u32 s5, ttmp6, 0x4000c
	s_and_b32 s4, ttmp6, 15
	s_add_co_i32 s5, s5, 1
	s_clause 0x1
	s_load_b64 s[56:57], s[0:1], 0x18
	s_load_b128 s[48:51], s[0:1], 0x8
	s_mul_i32 s5, ttmp9, s5
	v_bfe_u32 v42, v0, 10, 10
	s_add_co_i32 s4, s4, s5
	s_cmp_eq_u32 s2, 0
	v_and_b32_e32 v22, 0x3ff, v0
	s_cselect_b32 s64, ttmp9, s4
	v_dual_mov_b32 v2, 0 :: v_dual_lshrrev_b32 v1, 10, v0
                                        ; implicit-def: $vgpr76 : SGPR spill to VGPR lane
	s_clause 0x1
	s_load_b64 s[58:59], s[0:1], 0x48
	s_load_b64 s[60:61], s[0:1], 0x58
	v_lshl_add_u32 v3, v42, 5, v22
	v_dual_lshlrev_b32 v45, 4, v22 :: v_dual_mov_b32 v25, v2
	v_mov_b32_e32 v23, v2
	s_wait_kmcnt 0x0
	s_and_b32 s4, s3, 0xffff
	s_add_co_i32 s2, s54, -1
	s_ashr_i32 s55, s54, 31
	s_ashr_i32 s3, s2, 31
	s_lshr_b32 s5, s55, 27
	s_lshr_b32 s3, s3, 27
	s_add_co_i32 s5, s54, s5
	s_add_co_i32 s65, s65, -1
	s_add_co_i32 s2, s2, s3
	s_and_not1_b32 s5, s5, 31
	s_sub_co_i32 s33, s65, s64
	s_ashr_i32 s2, s2, 5
	s_sub_co_i32 s21, s54, s5
	s_cmp_eq_u32 s2, s33
	v_bitop3_b32 v12, v0, v1, 0x3ff bitop3:0xa8
	s_cselect_b32 s2, -1, 0
	s_cmp_lg_u32 s21, 0
	v_mad_u32_u24 v24, v42, s4, v22
	s_cselect_b32 s3, -1, 0
	v_cmp_le_i32_e64 s20, s21, v22
	s_and_b32 s34, s3, s2
	s_add_nc_u64 s[2:3], s[56:57], 1
	s_xor_b32 s66, s34, -1
	s_cmp_lg_u32 s64, 0
	v_and_b32_e32 v1, 1, v0
	s_cselect_b32 s67, -1, 0
	s_lshl_b32 s22, s33, 5
	s_delay_alu instid0(SALU_CYCLE_1)
	v_dual_lshrrev_b32 v8, 1, v3 :: v_dual_add_nc_u32 v10, s22, v42
	v_mad_nc_u64_u32 v[4:5], s2, s22, v[22:23]
	v_add_nc_u32_e32 v26, s22, v22
	s_ashr_i32 s23, s22, 31
	s_mul_i32 s3, s3, s22
	v_add_nc_u32_e32 v6, 32, v10
	s_mul_i32 s4, s2, s23
	v_lshl_add_u32 v23, v8, 4, 0x4000
	v_lshlrev_b32_e32 v43, 4, v1
	v_cmp_eq_u32_e64 s6, 1, v1
	v_ashrrev_i32_e32 v7, 31, v6
	v_cmp_eq_u32_e64 s7, 0, v1
	v_add3_u32 v5, s4, s3, v5
	v_cmp_gt_u32_e64 s4, 4, v3
	v_lshrrev_b32_e32 v1, 2, v3
	v_mul_u64_e32 v[28:29], s[56:57], v[6:7]
	v_lshlrev_b32_e32 v7, 9, v8
	v_and_b32_e32 v8, 3, v0
	s_cmp_gt_i32 s64, 4
	v_ashrrev_i32_e32 v27, 31, v26
	s_cselect_b32 s5, -1, 0
	v_sub_nc_u32_e32 v44, 0, v7
	s_and_b32 s69, s6, s4
	v_dual_sub_nc_u32 v46, v43, v7 :: v_dual_lshlrev_b32 v7, 9, v1
	v_lshlrev_b32_e32 v48, 4, v8
	v_cmp_gt_u32_e64 s6, 16, v3
	v_cmp_eq_u32_e64 s9, 3, v8
	v_cmp_ne_u32_e64 s10, 3, v8
	v_sub_nc_u32_e32 v49, 0, v7
	v_cmp_eq_u32_e64 s11, 1, v8
	v_cmp_eq_u32_e64 s12, 0, v8
	s_and_b32 s71, s9, s6
	v_cmp_eq_u32_e64 s9, 2, v8
	s_and_b32 s72, s10, s6
	v_cmp_gt_u32_e64 s10, 2, v8
	v_and_b32_e32 v8, 7, v0
	v_lshl_add_u32 v47, v1, 4, 0x4000
	s_and_b32 s73, s9, s6
	v_cmp_gt_u32_e64 s9, 64, v3
	s_delay_alu instid0(VALU_DEP_3)
	v_dual_lshrrev_b32 v1, 3, v3 :: v_dual_lshlrev_b32 v52, 4, v8
	v_cmp_eq_u32_e64 s14, 7, v8
	v_cmp_ne_u32_e64 s15, 7, v8
	v_cmp_eq_u32_e64 s16, 6, v8
	s_and_b32 s74, s10, s6
	v_cmp_gt_u32_e64 s10, 56, v3
	s_and_b32 s77, s14, s9
	s_and_b32 s78, s15, s9
	v_cmp_eq_u32_e64 s14, 5, v8
	v_cmp_gt_u32_e64 s15, 5, v8
	v_dual_lshlrev_b32 v9, 9, v1 :: v_dual_sub_nc_u32 v50, v48, v7
	s_and_b32 s79, s16, s9
	v_cmp_eq_u32_e64 s16, 4, v8
	s_and_b32 s81, s14, s9
	s_and_b32 s82, s15, s9
	v_cmp_gt_u32_e64 s14, 3, v8
	v_cmp_eq_u32_e64 s15, 2, v8
	v_dual_sub_nc_u32 v54, v52, v9 :: v_dual_bitop2_b32 v0, 15, v0 bitop3:0x40
	v_writelane_b32 v76, s10, 0
	v_cmp_gt_u32_e64 s10, 40, v3
	v_cmp_gt_u32_e64 s17, 6, v8
	s_and_b32 s83, s16, s9
	v_cmp_gt_u32_e64 s16, 2, v8
	s_and_b32 s86, s14, s9
	s_and_b32 s87, s15, s9
	v_cmp_gt_u32_e64 s14, 0x100, v3
	v_cmp_eq_u32_e64 s15, 15, v0
	v_writelane_b32 v76, s10, 1
	s_and_b32 s80, s17, s9
	v_cmp_gt_u32_e64 s17, 4, v8
	s_and_b32 s88, s16, s9
	v_cmp_ne_u32_e64 s16, 15, v0
	s_and_b32 s10, s15, s14
	v_cmp_eq_u32_e64 s15, 14, v0
	v_writelane_b32 v76, s10, 2
	s_and_b32 s84, s17, s9
	v_cmp_eq_u32_e64 s17, 1, v8
	s_and_b32 s10, s16, s14
	v_cmp_eq_u32_e64 s18, 3, v8
	v_writelane_b32 v76, s10, 3
	s_and_b32 s10, s15, s14
	s_and_b32 s89, s17, s9
	v_cmp_gt_u32_e64 s17, 14, v0
	s_and_b32 s85, s18, s9
	v_writelane_b32 v76, s10, 4
	v_cmp_eq_u32_e64 s18, 0, v8
	v_cmp_eq_u32_e64 s16, 13, v0
	s_and_b32 s10, s17, s14
	v_cmp_eq_u32_e64 s15, 12, v0
	v_writelane_b32 v76, s10, 5
	s_and_b32 s90, s18, s9
	v_cmp_gt_u32_e64 s18, 13, v0
	s_and_b32 s10, s16, s14
	v_cmp_gt_u32_e64 s16, 12, v0
	v_writelane_b32 v76, s10, 6
	v_cmp_eq_u32_e64 s17, 11, v0
	s_and_b32 s10, s18, s14
	v_cmp_eq_u32_e64 s18, 10, v0
	s_and_b32 s92, s20, s34
	v_writelane_b32 v76, s10, 7
	s_and_b32 s10, s15, s14
	v_cmp_gt_u32_e64 s15, 11, v0
	v_cmp_gt_i32_e32 vcc_lo, s21, v22
	s_and_b32 s76, s12, s6
	v_writelane_b32 v76, s10, 8
	s_and_b32 s10, s16, s14
	v_cmp_gt_u32_e64 s16, 10, v0
	s_and_b32 s68, s5, s66
	s_and_b32 s70, s7, s4
	v_writelane_b32 v76, s10, 9
	s_and_b32 s10, s17, s14
	v_cmp_gt_u32_e64 s17, 9, v0
	s_and_b32 s75, s11, s6
	v_lshl_add_u32 v51, v1, 4, 0x4000
	v_writelane_b32 v76, s10, 10
	s_and_b32 s10, s15, s14
	v_cmp_eq_u32_e64 s15, 9, v0
	s_and_b32 s104, s17, s14
	v_cmp_eq_u32_e64 s17, 6, v0
	v_writelane_b32 v76, s10, 11
	s_and_b32 s10, s18, s14
	s_and_b32 s103, s15, s14
	v_cmp_eq_u32_e64 s15, 7, v0
	v_cmp_gt_u32_e64 s18, 8, v0
	v_writelane_b32 v76, s10, 12
	s_and_b32 s10, s16, s14
	v_cmp_eq_u32_e64 s16, 8, v0
	s_and_b32 s25, s15, s14
	v_cmp_gt_u32_e64 s15, 6, v0
	s_and_b32 s24, s18, s14
	v_cmp_eq_u32_e64 s18, 5, v0
	s_and_b32 vcc_hi, s16, s14
	v_cmp_gt_u32_e64 s16, 7, v0
	s_and_b32 s28, s15, s14
	v_cmp_eq_u32_e64 s15, 4, v0
	s_and_b32 s27, s17, s14
	s_and_b32 s29, s18, s14
	;; [unrolled: 1-line block ×3, first 2 shown]
	v_cmp_gt_u32_e64 s16, 5, v0
	v_cmp_gt_u32_e64 s17, 4, v0
	;; [unrolled: 1-line block ×3, first 2 shown]
	s_and_b32 s31, s15, s14
	v_cmp_eq_u32_e64 s15, 2, v0
	s_and_b32 s30, s16, s14
	v_cmp_eq_u32_e64 s16, 3, v0
	v_writelane_b32 v76, s10, 13
	s_and_b32 s37, s17, s14
	s_and_b32 s19, s18, s14
	v_cmp_eq_u32_e64 s17, 1, v0
	s_and_b32 s38, s16, s14
	v_cmp_gt_u32_e64 s16, 2, v0
	s_and_b32 s10, s15, s14
	v_cmp_eq_u32_e64 s18, 0, v0
	v_cmp_eq_u32_e64 s15, 0, v42
	v_dual_sub_nc_u32 v53, 0, v9 :: v_dual_lshlrev_b32 v1, 5, v3
	s_and_b32 s12, s16, s14
	s_xor_b32 s16, s92, -1
	s_and_b32 s91, s17, s14
	s_and_b32 s93, s18, s14
	;; [unrolled: 1-line block ×3, first 2 shown]
	s_cmp_gt_i32 s64, 0
	v_cmp_gt_i32_e64 s2, s54, v26
	s_cselect_b32 s95, -1, 0
	v_cmp_gt_i32_e64 s16, s54, v6
	s_and_b32 s18, s15, vcc_lo
	v_and_b32_e32 v1, 0xffe00, v1
	v_lshlrev_b32_e32 v56, 4, v0
	v_writelane_b32 v76, s18, 14
	v_cmp_ne_u32_e64 s34, v22, v42
	v_cmp_le_i32_e32 vcc_lo, s21, v42
	v_add_nc_u64_e32 v[8:9], s[22:23], v[24:25]
	s_and_b32 s22, s2, s16
	v_cmp_le_u32_e64 s16, v42, v22
	s_add_co_i32 s23, s33, 1
	s_movk_i32 s33, 0x3c00
	v_dual_sub_nc_u32 v57, 0, v1 :: v_dual_sub_nc_u32 v58, v56, v1
	v_add_nc_u32_e32 v13, 16, v42
	v_writelane_b32 v76, s34, 15
	v_mad_u32_u24 v66, 0x210, v22, s33
	s_or_b32 s33, vcc_lo, s20
	v_mul_u64_e32 v[30:31], s[58:59], v[8:9]
	s_or_b32 s96, s33, s16
	s_or_b32 s33, s20, s34
	v_cmp_ne_u32_e64 s35, v22, v13
	v_writelane_b32 v76, s33, 16
	v_cmp_le_i32_e64 s21, s21, v13
	v_cmp_gt_u32_e64 s33, 0xf0, v3
	v_lshlrev_b32_e32 v8, 9, v22
	v_mul_u32_u24_e32 v64, 0x210, v22
	v_writelane_b32 v76, s35, 17
	s_or_b32 s21, s21, s20
	s_or_b32 s20, s20, s35
	v_mad_nc_u64_u32 v[32:33], s56, v42, v[4:5]
	v_mad_nc_u64_u32 v[34:35], s56, v13, v[4:5]
	v_writelane_b32 v76, s20, 18
	v_sub_nc_u32_e32 v4, v64, v8
	v_mul_u64_e32 v[0:1], s[58:59], v[26:27]
	v_cmp_gt_u32_e64 s40, 32, v12
	v_and_b32_e32 v7, 0x7ff0, v3
	v_writelane_b32 v76, s33, 19
	v_cmp_gt_u32_e64 s33, 0xe0, v3
	v_lshl_add_u32 v67, v13, 9, v4
	v_or_b32_e32 v4, v13, v22
	v_lshl_add_u32 v60, v42, 4, 0x6000
	v_add_nc_u32_e32 v55, 0x4000, v7
	v_writelane_b32 v76, s33, 20
	v_cmp_gt_u32_e64 s33, 0xd0, v3
	s_delay_alu instid0(VALU_DEP_4) | instskip(SKIP_2) | instid1(VALU_DEP_4)
	v_dual_add_nc_u32 v7, 48, v10 :: v_dual_add_nc_u32 v63, v60, v45
	v_mad_u32 v33, s57, v42, v33
	v_mad_u32 v35, s57, v13, v35
	v_writelane_b32 v76, s33, 21
	v_cmp_gt_u32_e64 s33, 0xc0, v3
	v_cmp_gt_i32_e64 s17, s54, v7
	v_cmp_le_u32_e64 s18, v13, v22
	v_cmp_eq_u32_e64 s3, 0, v12
	v_cmp_gt_u32_e64 s5, 2, v3
	v_writelane_b32 v76, s33, 22
	v_cmp_gt_u32_e64 s33, 0xb0, v3
	v_cmp_gt_u32_e64 s7, 12, v3
	;; [unrolled: 1-line block ×5, first 2 shown]
	v_writelane_b32 v76, s33, 23
	v_cmp_gt_u32_e64 s33, 0xa0, v3
	v_lshl_add_u32 v59, v24, 4, 0x6000
	v_lshl_add_u32 v25, v3, 4, 0x4000
	v_or_b32_e32 v61, 0x4000, v45
	v_lshl_add_u32 v62, v42, 9, v45
	v_writelane_b32 v76, s33, 24
	v_cmp_gt_u32_e64 s33, 0x90, v3
	v_sub_nc_u32_e32 v65, 0, v8
	v_cmp_gt_u32_e64 s20, 24, v3
	v_cmp_gt_u32_e64 s34, 32, v24
	v_cmp_le_u32_e64 s35, v22, v42
	v_writelane_b32 v76, s33, 25
	v_cmp_gt_u32_e64 s33, 0x80, v3
	v_cmp_le_u32_e64 s36, v22, v13
	s_and_b32 s17, s2, s17
	s_or_b32 s21, s21, s18
	s_lshl_b64 s[62:63], s[56:57], 8
	v_writelane_b32 v76, s33, 26
	v_cmp_gt_u32_e64 s33, 0x70, v3
	s_lshl_b64 s[50:51], s[50:51], 4
                                        ; implicit-def: $vgpr6_vgpr7
                                        ; implicit-def: $vgpr10_vgpr11
	v_writelane_b32 v76, s33, 27
	v_cmp_gt_u32_e64 s33, 0x60, v3
	s_delay_alu instid0(VALU_DEP_1) | instskip(SKIP_1) | instid1(VALU_DEP_1)
	v_writelane_b32 v76, s33, 28
	v_cmp_gt_u32_e64 s33, 0x50, v3
	v_writelane_b32 v76, s33, 29
	v_cmp_eq_u32_e64 s33, 0, v24
	v_writelane_b32 v76, s40, 30
	v_cmp_gt_u32_e64 s40, 32, v4
	s_delay_alu instid0(VALU_DEP_1)
	v_writelane_b32 v76, s40, 31
	s_load_b256 s[40:47], s[0:1], 0x28
	s_wait_kmcnt 0x0
	s_lshl_b64 s[0:1], s[46:47], 4
	s_branch .LBB184_3
.LBB184_2:                              ;   in Loop: Header=BB184_3 Depth=1
	s_wait_xcnt 0x0
	s_or_b32 exec_lo, exec_lo, s46
	s_add_co_i32 s52, s52, 0x10000
	global_wb scope:SCOPE_DEV
	s_wait_storecnt 0x0
	global_inv scope:SCOPE_DEV
	s_cmp_lt_u32 s52, s39
	s_cbranch_scc0 .LBB184_544
.LBB184_3:                              ; =>This Loop Header: Depth=1
                                        ;     Child Loop BB184_429 Depth 2
                                        ;       Child Loop BB184_431 Depth 3
                                        ;     Child Loop BB184_462 Depth 2
	v_mov_b32_e32 v3, s52
	s_and_not1_b32 vcc_lo, exec_lo, s67
	s_clause 0x1
	global_load_b64 v[4:5], v3, s[48:49] scale_offset
	global_load_b64 v[38:39], v3, s[44:45] scale_offset
	s_wait_loadcnt 0x1
	v_add_nc_u64_e32 v[36:37], s[50:51], v[4:5]
	s_cbranch_vccnz .LBB184_9
; %bb.4:                                ;   in Loop: Header=BB184_3 Depth=1
	s_delay_alu instid0(VALU_DEP_1)
	v_lshl_add_u64 v[4:5], v[28:29], 4, v[36:37]
	v_mov_b64_e32 v[12:13], 0
	v_mov_b64_e32 v[6:7], 0
	;; [unrolled: 1-line block ×3, first 2 shown]
	s_wait_loadcnt 0x0
	v_lshl_add_u64 v[4:5], v[26:27], 4, v[4:5]
	s_barrier_signal -1
	s_barrier_wait -1
	s_wait_xcnt 0x0
	s_and_saveexec_b32 s46, s22
	s_cbranch_execz .LBB184_6
; %bb.5:                                ;   in Loop: Header=BB184_3 Depth=1
	flat_load_b128 v[6:9], v[4:5]
.LBB184_6:                              ;   in Loop: Header=BB184_3 Depth=1
	s_wait_xcnt 0x0
	s_or_b32 exec_lo, exec_lo, s46
	v_mov_b64_e32 v[10:11], 0
	s_wait_loadcnt_dscnt 0x0
	s_barrier_signal -1
	s_barrier_wait -1
	s_and_saveexec_b32 s46, s17
	s_cbranch_execz .LBB184_8
; %bb.7:                                ;   in Loop: Header=BB184_3 Depth=1
	v_add_nc_u64_e32 v[4:5], s[62:63], v[4:5]
	flat_load_b128 v[10:13], v[4:5]
.LBB184_8:                              ;   in Loop: Header=BB184_3 Depth=1
	s_wait_xcnt 0x0
	s_or_b32 exec_lo, exec_lo, s46
.LBB184_9:                              ;   in Loop: Header=BB184_3 Depth=1
	s_delay_alu instid0(SALU_CYCLE_1)
	s_and_not1_b32 vcc_lo, exec_lo, s66
	s_mov_b32 s46, -1
	s_cbranch_vccnz .LBB184_17
; %bb.10:                               ;   in Loop: Header=BB184_3 Depth=1
	s_mov_b32 s47, 0
                                        ; implicit-def: $vgpr16_vgpr17
	s_wait_xcnt 0x0
	s_and_saveexec_b32 s46, s16
	s_delay_alu instid0(SALU_CYCLE_1)
	s_xor_b32 s46, exec_lo, s46
	s_cbranch_execnz .LBB184_476
; %bb.11:                               ;   in Loop: Header=BB184_3 Depth=1
	s_and_not1_saveexec_b32 s46, s46
	s_cbranch_execnz .LBB184_485
.LBB184_12:                             ;   in Loop: Header=BB184_3 Depth=1
	s_or_b32 exec_lo, exec_lo, s46
	s_and_saveexec_b32 s46, s47
	s_cbranch_execnz .LBB184_486
.LBB184_13:                             ;   in Loop: Header=BB184_3 Depth=1
	s_or_b32 exec_lo, exec_lo, s46
	s_and_saveexec_b32 s46, s18
	s_delay_alu instid0(SALU_CYCLE_1)
	s_xor_b32 s46, exec_lo, s46
	s_cbranch_execnz .LBB184_487
.LBB184_14:                             ;   in Loop: Header=BB184_3 Depth=1
	s_and_not1_saveexec_b32 s46, s46
	s_cbranch_execz .LBB184_16
.LBB184_15:                             ;   in Loop: Header=BB184_3 Depth=1
	v_lshl_add_u64 v[4:5], v[34:35], 4, v[36:37]
	flat_load_b128 v[14:17], v[4:5]
	s_wait_loadcnt_dscnt 0x0
	v_xor_b32_e32 v15, 0x80000000, v15
	v_xor_b32_e32 v17, 0x80000000, v17
	ds_store_b128 v67, v[14:17]
.LBB184_16:                             ;   in Loop: Header=BB184_3 Depth=1
	s_or_b32 exec_lo, exec_lo, s46
	s_mov_b32 s46, 0
.LBB184_17:                             ;   in Loop: Header=BB184_3 Depth=1
	s_delay_alu instid0(SALU_CYCLE_1)
	s_and_b32 vcc_lo, exec_lo, s46
	s_cbranch_vccz .LBB184_25
; %bb.18:                               ;   in Loop: Header=BB184_3 Depth=1
	s_mov_b32 s47, 0
                                        ; implicit-def: $vgpr16_vgpr17
	s_wait_xcnt 0x0
	s_and_saveexec_b32 s46, s96
	s_delay_alu instid0(SALU_CYCLE_1)
	s_xor_b32 s46, exec_lo, s46
	s_cbranch_execnz .LBB184_498
; %bb.19:                               ;   in Loop: Header=BB184_3 Depth=1
	s_and_not1_saveexec_b32 s46, s46
	s_cbranch_execnz .LBB184_507
.LBB184_20:                             ;   in Loop: Header=BB184_3 Depth=1
	s_or_b32 exec_lo, exec_lo, s46
	s_and_saveexec_b32 s46, s47
	s_cbranch_execnz .LBB184_508
.LBB184_21:                             ;   in Loop: Header=BB184_3 Depth=1
	s_or_b32 exec_lo, exec_lo, s46
	s_and_saveexec_b32 s46, s21
	s_delay_alu instid0(SALU_CYCLE_1)
	s_xor_b32 s46, exec_lo, s46
	s_cbranch_execnz .LBB184_509
.LBB184_22:                             ;   in Loop: Header=BB184_3 Depth=1
	s_and_not1_saveexec_b32 s46, s46
	s_cbranch_execz .LBB184_24
.LBB184_23:                             ;   in Loop: Header=BB184_3 Depth=1
	v_lshl_add_u64 v[4:5], v[34:35], 4, v[36:37]
	flat_load_b128 v[14:17], v[4:5]
	s_wait_loadcnt_dscnt 0x0
	v_xor_b32_e32 v15, 0x80000000, v15
	v_xor_b32_e32 v17, 0x80000000, v17
	ds_store_b128 v67, v[14:17]
.LBB184_24:                             ;   in Loop: Header=BB184_3 Depth=1
	s_or_b32 exec_lo, exec_lo, s46
.LBB184_25:                             ;   in Loop: Header=BB184_3 Depth=1
	s_delay_alu instid0(SALU_CYCLE_1)
	s_and_not1_b32 vcc_lo, exec_lo, s68
	s_wait_loadcnt_dscnt 0x0
	s_barrier_signal -1
	s_barrier_wait -1
	s_cbranch_vccnz .LBB184_423
; %bb.26:                               ;   in Loop: Header=BB184_3 Depth=1
	s_wait_xcnt 0x0
	s_and_saveexec_b32 s46, s3
	s_cbranch_execz .LBB184_28
; %bb.27:                               ;   in Loop: Header=BB184_3 Depth=1
	ds_load_b128 v[14:17], v2 offset:16368
	ds_load_b128 v[18:21], v2 offset:15840
	;; [unrolled: 1-line block ×3, first 2 shown]
	s_wait_dscnt 0x1
	v_mul_f64_e32 v[4:5], v[14:15], v[20:21]
	v_mul_f64_e32 v[20:21], v[16:17], v[20:21]
	s_delay_alu instid0(VALU_DEP_2) | instskip(NEXT) | instid1(VALU_DEP_2)
	v_fmac_f64_e32 v[4:5], v[16:17], v[18:19]
	v_fma_f64 v[14:15], v[14:15], v[18:19], -v[20:21]
	s_wait_dscnt 0x0
	s_delay_alu instid0(VALU_DEP_2) | instskip(NEXT) | instid1(VALU_DEP_2)
	v_mul_f64_e32 v[18:19], v[4:5], v[70:71]
	v_mul_f64_e32 v[16:17], v[14:15], v[70:71]
	s_delay_alu instid0(VALU_DEP_2) | instskip(NEXT) | instid1(VALU_DEP_2)
	v_fma_f64 v[14:15], v[68:69], v[14:15], -v[18:19]
	v_fmac_f64_e32 v[16:17], v[68:69], v[4:5]
	ds_store_b128 v2, v[14:17] offset:16352
.LBB184_28:                             ;   in Loop: Header=BB184_3 Depth=1
	s_or_b32 exec_lo, exec_lo, s46
	v_mov_b64_e32 v[14:15], 0
	v_mov_b64_e32 v[16:17], 0
	s_wait_dscnt 0x0
	s_barrier_signal -1
	s_barrier_wait -1
	global_wb scope:SCOPE_DEV
	s_wait_storecnt 0x0
	global_inv scope:SCOPE_DEV
	s_and_saveexec_b32 s46, s4
	s_cbranch_execz .LBB184_32
; %bb.29:                               ;   in Loop: Header=BB184_3 Depth=1
	ds_load_b128 v[14:17], v44 offset:16352
	ds_load_b128 v[18:21], v43 offset:15808
	s_wait_dscnt 0x0
	v_mul_f64_e32 v[4:5], v[16:17], v[20:21]
	v_mul_f64_e32 v[20:21], v[14:15], v[20:21]
	s_delay_alu instid0(VALU_DEP_2) | instskip(NEXT) | instid1(VALU_DEP_2)
	v_fma_f64 v[4:5], v[14:15], v[18:19], -v[4:5]
	v_fmac_f64_e32 v[20:21], v[16:17], v[18:19]
	s_delay_alu instid0(VALU_DEP_2) | instskip(NEXT) | instid1(VALU_DEP_2)
	v_add_f64_e32 v[14:15], 0, v[4:5]
	v_add_f64_e32 v[16:17], 0, v[20:21]
	s_and_saveexec_b32 s47, s5
	s_cbranch_execz .LBB184_31
; %bb.30:                               ;   in Loop: Header=BB184_3 Depth=1
	ds_load_b128 v[18:21], v2 offset:16368
	ds_load_b128 v[68:71], v45 offset:16320
	s_wait_dscnt 0x0
	v_mul_f64_e32 v[4:5], v[20:21], v[70:71]
	v_mul_f64_e32 v[40:41], v[18:19], v[70:71]
	s_delay_alu instid0(VALU_DEP_2) | instskip(NEXT) | instid1(VALU_DEP_2)
	v_fma_f64 v[4:5], v[18:19], v[68:69], -v[4:5]
	v_fmac_f64_e32 v[40:41], v[20:21], v[68:69]
	s_delay_alu instid0(VALU_DEP_2) | instskip(NEXT) | instid1(VALU_DEP_2)
	v_add_f64_e32 v[14:15], v[14:15], v[4:5]
	v_add_f64_e32 v[16:17], v[16:17], v[40:41]
.LBB184_31:                             ;   in Loop: Header=BB184_3 Depth=1
	s_or_b32 exec_lo, exec_lo, s47
.LBB184_32:                             ;   in Loop: Header=BB184_3 Depth=1
	s_delay_alu instid0(SALU_CYCLE_1)
	s_or_b32 exec_lo, exec_lo, s46
	s_and_saveexec_b32 s46, s69
	s_cbranch_execz .LBB184_34
; %bb.33:                               ;   in Loop: Header=BB184_3 Depth=1
	ds_load_b128 v[18:21], v2 offset:15312
	s_wait_dscnt 0x0
	v_mul_f64_e32 v[4:5], v[16:17], v[20:21]
	s_delay_alu instid0(VALU_DEP_1) | instskip(SKIP_1) | instid1(VALU_DEP_1)
	v_fma_f64 v[4:5], v[14:15], v[18:19], -v[4:5]
	v_mul_f64_e32 v[40:41], v[14:15], v[20:21]
	v_fmac_f64_e32 v[40:41], v[16:17], v[18:19]
	s_delay_alu instid0(VALU_DEP_1) | instskip(NEXT) | instid1(VALU_DEP_4)
	v_mov_b32_e32 v20, v40
	v_mov_b64_e32 v[14:15], v[4:5]
	s_delay_alu instid0(VALU_DEP_3)
	v_mov_b64_e32 v[16:17], v[40:41]
	v_xor_b32_e32 v19, 0x80000000, v5
	v_xor_b32_e32 v21, 0x80000000, v41
	v_mov_b32_e32 v18, v4
	ds_store_b128 v23, v[18:21]
.LBB184_34:                             ;   in Loop: Header=BB184_3 Depth=1
	s_or_b32 exec_lo, exec_lo, s46
	s_wait_loadcnt_dscnt 0x0
	s_barrier_signal -1
	s_barrier_wait -1
	s_and_saveexec_b32 s46, s70
	s_cbranch_execz .LBB184_36
; %bb.35:                               ;   in Loop: Header=BB184_3 Depth=1
	ds_load_b128 v[18:21], v23
	ds_load_b128 v[68:71], v2 offset:15296
	s_wait_dscnt 0x0
	v_mul_f64_e32 v[4:5], v[20:21], v[70:71]
	v_mul_f64_e32 v[40:41], v[18:19], v[70:71]
	s_delay_alu instid0(VALU_DEP_2) | instskip(NEXT) | instid1(VALU_DEP_2)
	v_fma_f64 v[4:5], v[18:19], v[68:69], -v[4:5]
	v_fmac_f64_e32 v[40:41], v[20:21], v[68:69]
	s_delay_alu instid0(VALU_DEP_2) | instskip(NEXT) | instid1(VALU_DEP_2)
	v_add_f64_e64 v[14:15], v[14:15], -v[4:5]
	v_add_f64_e64 v[16:17], v[16:17], -v[40:41]
.LBB184_36:                             ;   in Loop: Header=BB184_3 Depth=1
	s_or_b32 exec_lo, exec_lo, s46
	s_barrier_signal -1
	s_barrier_wait -1
	s_and_saveexec_b32 s46, s70
	s_cbranch_execz .LBB184_38
; %bb.37:                               ;   in Loop: Header=BB184_3 Depth=1
	ds_load_b128 v[18:21], v2 offset:14784
	s_wait_dscnt 0x0
	v_mul_f64_e32 v[4:5], v[16:17], v[20:21]
	s_delay_alu instid0(VALU_DEP_1) | instskip(SKIP_1) | instid1(VALU_DEP_1)
	v_fma_f64 v[4:5], v[14:15], v[18:19], -v[4:5]
	v_mul_f64_e32 v[40:41], v[14:15], v[20:21]
	v_fmac_f64_e32 v[40:41], v[16:17], v[18:19]
	s_delay_alu instid0(VALU_DEP_1) | instskip(NEXT) | instid1(VALU_DEP_4)
	v_mov_b32_e32 v20, v40
	v_mov_b64_e32 v[14:15], v[4:5]
	s_delay_alu instid0(VALU_DEP_3)
	v_mov_b64_e32 v[16:17], v[40:41]
	v_xor_b32_e32 v19, 0x80000000, v5
	v_xor_b32_e32 v21, 0x80000000, v41
	v_mov_b32_e32 v18, v4
	ds_store_b128 v23, v[18:21]
.LBB184_38:                             ;   in Loop: Header=BB184_3 Depth=1
	s_or_b32 exec_lo, exec_lo, s46
	s_wait_dscnt 0x0
	s_barrier_signal -1
	s_barrier_wait -1
	s_barrier_signal -1
	s_barrier_wait -1
	s_and_saveexec_b32 s46, s4
; %bb.39:                               ;   in Loop: Header=BB184_3 Depth=1
	ds_store_b128 v46, v[14:17] offset:16320
; %bb.40:                               ;   in Loop: Header=BB184_3 Depth=1
	s_or_b32 exec_lo, exec_lo, s46
	s_wait_dscnt 0x0
	s_barrier_signal -1
	s_barrier_wait -1
	s_barrier_signal -1
	s_barrier_wait -1
	s_and_saveexec_b32 s46, s3
	s_cbranch_execz .LBB184_42
; %bb.41:                               ;   in Loop: Header=BB184_3 Depth=1
	ds_load_b128 v[14:17], v2 offset:15312
	ds_load_b128 v[18:21], v2 offset:14784
	;; [unrolled: 1-line block ×3, first 2 shown]
	s_wait_dscnt 0x1
	v_mul_f64_e32 v[4:5], v[14:15], v[20:21]
	v_mul_f64_e32 v[20:21], v[16:17], v[20:21]
	s_delay_alu instid0(VALU_DEP_2) | instskip(NEXT) | instid1(VALU_DEP_2)
	v_fmac_f64_e32 v[4:5], v[16:17], v[18:19]
	v_fma_f64 v[14:15], v[14:15], v[18:19], -v[20:21]
	s_wait_dscnt 0x0
	s_delay_alu instid0(VALU_DEP_2) | instskip(NEXT) | instid1(VALU_DEP_2)
	v_mul_f64_e32 v[18:19], v[4:5], v[70:71]
	v_mul_f64_e32 v[16:17], v[14:15], v[70:71]
	s_delay_alu instid0(VALU_DEP_2) | instskip(NEXT) | instid1(VALU_DEP_2)
	v_fma_f64 v[14:15], v[68:69], v[14:15], -v[18:19]
	v_fmac_f64_e32 v[16:17], v[68:69], v[4:5]
	ds_store_b128 v2, v[14:17] offset:15296
.LBB184_42:                             ;   in Loop: Header=BB184_3 Depth=1
	s_or_b32 exec_lo, exec_lo, s46
	v_mov_b64_e32 v[16:17], 0
	v_mov_b64_e32 v[14:15], 0
	s_wait_dscnt 0x0
	s_barrier_signal -1
	s_barrier_wait -1
	global_wb scope:SCOPE_DEV
	s_wait_storecnt 0x0
	global_inv scope:SCOPE_DEV
	s_and_saveexec_b32 s46, s6
	s_cbranch_execz .LBB184_48
; %bb.43:                               ;   in Loop: Header=BB184_3 Depth=1
	ds_load_b128 v[14:17], v49 offset:16320
	ds_load_b128 v[18:21], v48 offset:14720
	s_wait_dscnt 0x0
	v_mul_f64_e32 v[4:5], v[16:17], v[20:21]
	v_mul_f64_e32 v[20:21], v[14:15], v[20:21]
	s_delay_alu instid0(VALU_DEP_2) | instskip(NEXT) | instid1(VALU_DEP_2)
	v_fma_f64 v[4:5], v[14:15], v[18:19], -v[4:5]
	v_fmac_f64_e32 v[20:21], v[16:17], v[18:19]
	s_delay_alu instid0(VALU_DEP_2) | instskip(NEXT) | instid1(VALU_DEP_2)
	v_add_f64_e32 v[14:15], 0, v[4:5]
	v_add_f64_e32 v[16:17], 0, v[20:21]
	s_and_saveexec_b32 s47, s7
	s_cbranch_execnz .LBB184_524
; %bb.44:                               ;   in Loop: Header=BB184_3 Depth=1
	s_or_b32 exec_lo, exec_lo, s47
	s_and_saveexec_b32 s47, s8
	s_cbranch_execnz .LBB184_525
.LBB184_45:                             ;   in Loop: Header=BB184_3 Depth=1
	s_or_b32 exec_lo, exec_lo, s47
	s_and_saveexec_b32 s47, s4
	s_cbranch_execz .LBB184_47
.LBB184_46:                             ;   in Loop: Header=BB184_3 Depth=1
	ds_load_b128 v[18:21], v2 offset:16368
	ds_load_b128 v[68:71], v45 offset:16256
	s_wait_dscnt 0x0
	v_mul_f64_e32 v[4:5], v[20:21], v[70:71]
	v_mul_f64_e32 v[40:41], v[18:19], v[70:71]
	s_delay_alu instid0(VALU_DEP_2) | instskip(NEXT) | instid1(VALU_DEP_2)
	v_fma_f64 v[4:5], v[18:19], v[68:69], -v[4:5]
	v_fmac_f64_e32 v[40:41], v[20:21], v[68:69]
	s_delay_alu instid0(VALU_DEP_2) | instskip(NEXT) | instid1(VALU_DEP_2)
	v_add_f64_e32 v[14:15], v[14:15], v[4:5]
	v_add_f64_e32 v[16:17], v[16:17], v[40:41]
.LBB184_47:                             ;   in Loop: Header=BB184_3 Depth=1
	s_or_b32 exec_lo, exec_lo, s47
.LBB184_48:                             ;   in Loop: Header=BB184_3 Depth=1
	s_delay_alu instid0(SALU_CYCLE_1)
	s_or_b32 exec_lo, exec_lo, s46
	s_and_saveexec_b32 s46, s71
	s_cbranch_execz .LBB184_50
; %bb.49:                               ;   in Loop: Header=BB184_3 Depth=1
	ds_load_b128 v[18:21], v2 offset:14256
	s_wait_dscnt 0x0
	v_mul_f64_e32 v[4:5], v[16:17], v[20:21]
	s_delay_alu instid0(VALU_DEP_1) | instskip(SKIP_1) | instid1(VALU_DEP_1)
	v_fma_f64 v[4:5], v[14:15], v[18:19], -v[4:5]
	v_mul_f64_e32 v[40:41], v[14:15], v[20:21]
	v_fmac_f64_e32 v[40:41], v[16:17], v[18:19]
	s_delay_alu instid0(VALU_DEP_1) | instskip(NEXT) | instid1(VALU_DEP_4)
	v_mov_b32_e32 v20, v40
	v_mov_b64_e32 v[14:15], v[4:5]
	s_delay_alu instid0(VALU_DEP_3)
	v_mov_b64_e32 v[16:17], v[40:41]
	v_xor_b32_e32 v19, 0x80000000, v5
	v_xor_b32_e32 v21, 0x80000000, v41
	v_mov_b32_e32 v18, v4
	ds_store_b128 v47, v[18:21]
.LBB184_50:                             ;   in Loop: Header=BB184_3 Depth=1
	s_or_b32 exec_lo, exec_lo, s46
	s_wait_loadcnt_dscnt 0x0
	s_barrier_signal -1
	s_barrier_wait -1
	s_and_saveexec_b32 s46, s72
	s_cbranch_execz .LBB184_52
; %bb.51:                               ;   in Loop: Header=BB184_3 Depth=1
	ds_load_b128 v[18:21], v47
	ds_load_b128 v[68:71], v48 offset:14208
	s_wait_dscnt 0x0
	v_mul_f64_e32 v[4:5], v[20:21], v[70:71]
	v_mul_f64_e32 v[40:41], v[18:19], v[70:71]
	s_delay_alu instid0(VALU_DEP_2) | instskip(NEXT) | instid1(VALU_DEP_2)
	v_fma_f64 v[4:5], v[18:19], v[68:69], -v[4:5]
	v_fmac_f64_e32 v[40:41], v[20:21], v[68:69]
	s_delay_alu instid0(VALU_DEP_2) | instskip(NEXT) | instid1(VALU_DEP_2)
	v_add_f64_e64 v[14:15], v[14:15], -v[4:5]
	v_add_f64_e64 v[16:17], v[16:17], -v[40:41]
.LBB184_52:                             ;   in Loop: Header=BB184_3 Depth=1
	s_or_b32 exec_lo, exec_lo, s46
	s_barrier_signal -1
	s_barrier_wait -1
	s_and_saveexec_b32 s46, s73
	s_cbranch_execz .LBB184_54
; %bb.53:                               ;   in Loop: Header=BB184_3 Depth=1
	ds_load_b128 v[18:21], v2 offset:13728
	s_wait_dscnt 0x0
	v_mul_f64_e32 v[4:5], v[16:17], v[20:21]
	s_delay_alu instid0(VALU_DEP_1) | instskip(SKIP_1) | instid1(VALU_DEP_1)
	v_fma_f64 v[4:5], v[14:15], v[18:19], -v[4:5]
	v_mul_f64_e32 v[40:41], v[14:15], v[20:21]
	v_fmac_f64_e32 v[40:41], v[16:17], v[18:19]
	s_delay_alu instid0(VALU_DEP_1) | instskip(NEXT) | instid1(VALU_DEP_4)
	v_mov_b32_e32 v20, v40
	v_mov_b64_e32 v[14:15], v[4:5]
	s_delay_alu instid0(VALU_DEP_3)
	v_mov_b64_e32 v[16:17], v[40:41]
	v_xor_b32_e32 v19, 0x80000000, v5
	v_xor_b32_e32 v21, 0x80000000, v41
	v_mov_b32_e32 v18, v4
	ds_store_b128 v47, v[18:21]
.LBB184_54:                             ;   in Loop: Header=BB184_3 Depth=1
	s_or_b32 exec_lo, exec_lo, s46
	s_wait_dscnt 0x0
	s_barrier_signal -1
	s_barrier_wait -1
	s_and_saveexec_b32 s46, s74
	s_cbranch_execz .LBB184_56
; %bb.55:                               ;   in Loop: Header=BB184_3 Depth=1
	ds_load_b128 v[18:21], v47
	ds_load_b128 v[68:71], v48 offset:13696
	s_wait_dscnt 0x0
	v_mul_f64_e32 v[4:5], v[20:21], v[70:71]
	v_mul_f64_e32 v[40:41], v[18:19], v[70:71]
	s_delay_alu instid0(VALU_DEP_2) | instskip(NEXT) | instid1(VALU_DEP_2)
	v_fma_f64 v[4:5], v[18:19], v[68:69], -v[4:5]
	v_fmac_f64_e32 v[40:41], v[20:21], v[68:69]
	s_delay_alu instid0(VALU_DEP_2) | instskip(NEXT) | instid1(VALU_DEP_2)
	v_add_f64_e64 v[14:15], v[14:15], -v[4:5]
	v_add_f64_e64 v[16:17], v[16:17], -v[40:41]
.LBB184_56:                             ;   in Loop: Header=BB184_3 Depth=1
	s_or_b32 exec_lo, exec_lo, s46
	s_barrier_signal -1
	s_barrier_wait -1
	s_and_saveexec_b32 s46, s75
	s_cbranch_execz .LBB184_58
; %bb.57:                               ;   in Loop: Header=BB184_3 Depth=1
	ds_load_b128 v[18:21], v2 offset:13200
	s_wait_dscnt 0x0
	v_mul_f64_e32 v[4:5], v[16:17], v[20:21]
	s_delay_alu instid0(VALU_DEP_1) | instskip(SKIP_1) | instid1(VALU_DEP_1)
	v_fma_f64 v[4:5], v[14:15], v[18:19], -v[4:5]
	v_mul_f64_e32 v[40:41], v[14:15], v[20:21]
	v_fmac_f64_e32 v[40:41], v[16:17], v[18:19]
	s_delay_alu instid0(VALU_DEP_1) | instskip(NEXT) | instid1(VALU_DEP_4)
	v_mov_b32_e32 v20, v40
	v_mov_b64_e32 v[14:15], v[4:5]
	s_delay_alu instid0(VALU_DEP_3)
	v_mov_b64_e32 v[16:17], v[40:41]
	v_xor_b32_e32 v19, 0x80000000, v5
	v_xor_b32_e32 v21, 0x80000000, v41
	v_mov_b32_e32 v18, v4
	ds_store_b128 v47, v[18:21]
.LBB184_58:                             ;   in Loop: Header=BB184_3 Depth=1
	s_or_b32 exec_lo, exec_lo, s46
	s_wait_dscnt 0x0
	;; [unrolled: 42-line block ×3, first 2 shown]
	s_barrier_signal -1
	s_barrier_wait -1
	s_barrier_signal -1
	s_barrier_wait -1
	s_and_saveexec_b32 s46, s6
; %bb.63:                               ;   in Loop: Header=BB184_3 Depth=1
	ds_store_b128 v50, v[14:17] offset:16256
; %bb.64:                               ;   in Loop: Header=BB184_3 Depth=1
	s_or_b32 exec_lo, exec_lo, s46
	s_wait_dscnt 0x0
	s_barrier_signal -1
	s_barrier_wait -1
	s_barrier_signal -1
	s_barrier_wait -1
	s_and_saveexec_b32 s46, s3
	s_cbranch_execz .LBB184_66
; %bb.65:                               ;   in Loop: Header=BB184_3 Depth=1
	ds_load_b128 v[14:17], v2 offset:14256
	ds_load_b128 v[18:21], v2 offset:13728
	;; [unrolled: 1-line block ×3, first 2 shown]
	s_wait_dscnt 0x1
	v_mul_f64_e32 v[4:5], v[14:15], v[20:21]
	v_mul_f64_e32 v[20:21], v[16:17], v[20:21]
	s_delay_alu instid0(VALU_DEP_2) | instskip(NEXT) | instid1(VALU_DEP_2)
	v_fmac_f64_e32 v[4:5], v[16:17], v[18:19]
	v_fma_f64 v[14:15], v[14:15], v[18:19], -v[20:21]
	s_wait_dscnt 0x0
	s_delay_alu instid0(VALU_DEP_2) | instskip(NEXT) | instid1(VALU_DEP_2)
	v_mul_f64_e32 v[18:19], v[4:5], v[70:71]
	v_mul_f64_e32 v[16:17], v[14:15], v[70:71]
	s_delay_alu instid0(VALU_DEP_2) | instskip(NEXT) | instid1(VALU_DEP_2)
	v_fma_f64 v[14:15], v[68:69], v[14:15], -v[18:19]
	v_fmac_f64_e32 v[16:17], v[68:69], v[4:5]
	ds_store_b128 v2, v[14:17] offset:14240
.LBB184_66:                             ;   in Loop: Header=BB184_3 Depth=1
	s_or_b32 exec_lo, exec_lo, s46
	v_mov_b64_e32 v[14:15], 0
	v_mov_b64_e32 v[16:17], 0
	s_wait_dscnt 0x0
	s_barrier_signal -1
	s_barrier_wait -1
	global_wb scope:SCOPE_DEV
	s_wait_storecnt 0x0
	global_inv scope:SCOPE_DEV
	s_and_saveexec_b32 s46, s4
	s_cbranch_execz .LBB184_70
; %bb.67:                               ;   in Loop: Header=BB184_3 Depth=1
	ds_load_b128 v[14:17], v44 offset:14240
	ds_load_b128 v[18:21], v43 offset:13696
	s_wait_dscnt 0x0
	v_mul_f64_e32 v[4:5], v[16:17], v[20:21]
	v_mul_f64_e32 v[20:21], v[14:15], v[20:21]
	s_delay_alu instid0(VALU_DEP_2) | instskip(NEXT) | instid1(VALU_DEP_2)
	v_fma_f64 v[4:5], v[14:15], v[18:19], -v[4:5]
	v_fmac_f64_e32 v[20:21], v[16:17], v[18:19]
	s_delay_alu instid0(VALU_DEP_2) | instskip(NEXT) | instid1(VALU_DEP_2)
	v_add_f64_e32 v[14:15], 0, v[4:5]
	v_add_f64_e32 v[16:17], 0, v[20:21]
	s_and_saveexec_b32 s47, s5
	s_cbranch_execz .LBB184_69
; %bb.68:                               ;   in Loop: Header=BB184_3 Depth=1
	ds_load_b128 v[18:21], v2 offset:14256
	ds_load_b128 v[68:71], v45 offset:14208
	s_wait_dscnt 0x0
	v_mul_f64_e32 v[4:5], v[20:21], v[70:71]
	v_mul_f64_e32 v[40:41], v[18:19], v[70:71]
	s_delay_alu instid0(VALU_DEP_2) | instskip(NEXT) | instid1(VALU_DEP_2)
	v_fma_f64 v[4:5], v[18:19], v[68:69], -v[4:5]
	v_fmac_f64_e32 v[40:41], v[20:21], v[68:69]
	s_delay_alu instid0(VALU_DEP_2) | instskip(NEXT) | instid1(VALU_DEP_2)
	v_add_f64_e32 v[14:15], v[14:15], v[4:5]
	v_add_f64_e32 v[16:17], v[16:17], v[40:41]
.LBB184_69:                             ;   in Loop: Header=BB184_3 Depth=1
	s_or_b32 exec_lo, exec_lo, s47
.LBB184_70:                             ;   in Loop: Header=BB184_3 Depth=1
	s_delay_alu instid0(SALU_CYCLE_1)
	s_or_b32 exec_lo, exec_lo, s46
	s_and_saveexec_b32 s46, s69
	s_cbranch_execz .LBB184_72
; %bb.71:                               ;   in Loop: Header=BB184_3 Depth=1
	ds_load_b128 v[18:21], v2 offset:13200
	s_wait_dscnt 0x0
	v_mul_f64_e32 v[4:5], v[16:17], v[20:21]
	s_delay_alu instid0(VALU_DEP_1) | instskip(SKIP_1) | instid1(VALU_DEP_1)
	v_fma_f64 v[4:5], v[14:15], v[18:19], -v[4:5]
	v_mul_f64_e32 v[40:41], v[14:15], v[20:21]
	v_fmac_f64_e32 v[40:41], v[16:17], v[18:19]
	s_delay_alu instid0(VALU_DEP_1) | instskip(NEXT) | instid1(VALU_DEP_4)
	v_mov_b32_e32 v20, v40
	v_mov_b64_e32 v[14:15], v[4:5]
	s_delay_alu instid0(VALU_DEP_3)
	v_mov_b64_e32 v[16:17], v[40:41]
	v_xor_b32_e32 v19, 0x80000000, v5
	v_xor_b32_e32 v21, 0x80000000, v41
	v_mov_b32_e32 v18, v4
	ds_store_b128 v23, v[18:21]
.LBB184_72:                             ;   in Loop: Header=BB184_3 Depth=1
	s_or_b32 exec_lo, exec_lo, s46
	s_wait_loadcnt_dscnt 0x0
	s_barrier_signal -1
	s_barrier_wait -1
	s_and_saveexec_b32 s46, s70
	s_cbranch_execz .LBB184_74
; %bb.73:                               ;   in Loop: Header=BB184_3 Depth=1
	ds_load_b128 v[18:21], v23
	ds_load_b128 v[68:71], v2 offset:13184
	s_wait_dscnt 0x0
	v_mul_f64_e32 v[4:5], v[20:21], v[70:71]
	v_mul_f64_e32 v[40:41], v[18:19], v[70:71]
	s_delay_alu instid0(VALU_DEP_2) | instskip(NEXT) | instid1(VALU_DEP_2)
	v_fma_f64 v[4:5], v[18:19], v[68:69], -v[4:5]
	v_fmac_f64_e32 v[40:41], v[20:21], v[68:69]
	s_delay_alu instid0(VALU_DEP_2) | instskip(NEXT) | instid1(VALU_DEP_2)
	v_add_f64_e64 v[14:15], v[14:15], -v[4:5]
	v_add_f64_e64 v[16:17], v[16:17], -v[40:41]
.LBB184_74:                             ;   in Loop: Header=BB184_3 Depth=1
	s_or_b32 exec_lo, exec_lo, s46
	s_barrier_signal -1
	s_barrier_wait -1
	s_and_saveexec_b32 s46, s70
	s_cbranch_execz .LBB184_76
; %bb.75:                               ;   in Loop: Header=BB184_3 Depth=1
	ds_load_b128 v[18:21], v2 offset:12672
	s_wait_dscnt 0x0
	v_mul_f64_e32 v[4:5], v[16:17], v[20:21]
	s_delay_alu instid0(VALU_DEP_1) | instskip(SKIP_1) | instid1(VALU_DEP_1)
	v_fma_f64 v[4:5], v[14:15], v[18:19], -v[4:5]
	v_mul_f64_e32 v[40:41], v[14:15], v[20:21]
	v_fmac_f64_e32 v[40:41], v[16:17], v[18:19]
	s_delay_alu instid0(VALU_DEP_1) | instskip(NEXT) | instid1(VALU_DEP_4)
	v_mov_b32_e32 v20, v40
	v_mov_b64_e32 v[14:15], v[4:5]
	s_delay_alu instid0(VALU_DEP_3)
	v_mov_b64_e32 v[16:17], v[40:41]
	v_xor_b32_e32 v19, 0x80000000, v5
	v_xor_b32_e32 v21, 0x80000000, v41
	v_mov_b32_e32 v18, v4
	ds_store_b128 v23, v[18:21]
.LBB184_76:                             ;   in Loop: Header=BB184_3 Depth=1
	s_or_b32 exec_lo, exec_lo, s46
	s_wait_dscnt 0x0
	s_barrier_signal -1
	s_barrier_wait -1
	s_barrier_signal -1
	s_barrier_wait -1
	s_and_saveexec_b32 s46, s4
; %bb.77:                               ;   in Loop: Header=BB184_3 Depth=1
	ds_store_b128 v46, v[14:17] offset:14208
; %bb.78:                               ;   in Loop: Header=BB184_3 Depth=1
	s_or_b32 exec_lo, exec_lo, s46
	s_wait_dscnt 0x0
	s_barrier_signal -1
	s_barrier_wait -1
	s_barrier_signal -1
	s_barrier_wait -1
	s_and_saveexec_b32 s46, s3
	s_cbranch_execz .LBB184_80
; %bb.79:                               ;   in Loop: Header=BB184_3 Depth=1
	ds_load_b128 v[14:17], v2 offset:13200
	ds_load_b128 v[18:21], v2 offset:12672
	;; [unrolled: 1-line block ×3, first 2 shown]
	s_wait_dscnt 0x1
	v_mul_f64_e32 v[4:5], v[14:15], v[20:21]
	v_mul_f64_e32 v[20:21], v[16:17], v[20:21]
	s_delay_alu instid0(VALU_DEP_2) | instskip(NEXT) | instid1(VALU_DEP_2)
	v_fmac_f64_e32 v[4:5], v[16:17], v[18:19]
	v_fma_f64 v[14:15], v[14:15], v[18:19], -v[20:21]
	s_wait_dscnt 0x0
	s_delay_alu instid0(VALU_DEP_2) | instskip(NEXT) | instid1(VALU_DEP_2)
	v_mul_f64_e32 v[18:19], v[4:5], v[70:71]
	v_mul_f64_e32 v[16:17], v[14:15], v[70:71]
	s_delay_alu instid0(VALU_DEP_2) | instskip(NEXT) | instid1(VALU_DEP_2)
	v_fma_f64 v[14:15], v[68:69], v[14:15], -v[18:19]
	v_fmac_f64_e32 v[16:17], v[68:69], v[4:5]
	ds_store_b128 v2, v[14:17] offset:13184
.LBB184_80:                             ;   in Loop: Header=BB184_3 Depth=1
	s_or_b32 exec_lo, exec_lo, s46
	v_mov_b64_e32 v[16:17], 0
	v_mov_b64_e32 v[14:15], 0
	s_wait_dscnt 0x0
	s_barrier_signal -1
	s_barrier_wait -1
	global_wb scope:SCOPE_DEV
	s_wait_storecnt 0x0
	global_inv scope:SCOPE_DEV
	s_and_saveexec_b32 s46, s9
	s_cbranch_execz .LBB184_92
; %bb.81:                               ;   in Loop: Header=BB184_3 Depth=1
	ds_load_b128 v[14:17], v53 offset:16256
	ds_load_b128 v[18:21], v52 offset:12544
	s_wait_dscnt 0x0
	v_mul_f64_e32 v[4:5], v[16:17], v[20:21]
	v_mul_f64_e32 v[20:21], v[14:15], v[20:21]
	s_delay_alu instid0(VALU_DEP_2) | instskip(NEXT) | instid1(VALU_DEP_2)
	v_fma_f64 v[4:5], v[14:15], v[18:19], -v[4:5]
	v_fmac_f64_e32 v[20:21], v[16:17], v[18:19]
	s_delay_alu instid0(VALU_DEP_2) | instskip(NEXT) | instid1(VALU_DEP_2)
	v_add_f64_e32 v[14:15], 0, v[4:5]
	v_add_f64_e32 v[16:17], 0, v[20:21]
	s_mov_b32 s47, exec_lo
	v_readlane_b32 s97, v76, 0
	s_and_b32 s97, s47, s97
	s_delay_alu instid0(SALU_CYCLE_1)
	s_mov_b32 exec_lo, s97
	s_cbranch_execz .LBB184_83
; %bb.82:                               ;   in Loop: Header=BB184_3 Depth=1
	ds_load_b128 v[18:21], v53 offset:16272
	ds_load_b128 v[68:71], v52 offset:13056
	s_wait_dscnt 0x0
	v_mul_f64_e32 v[4:5], v[20:21], v[70:71]
	v_mul_f64_e32 v[40:41], v[18:19], v[70:71]
	s_delay_alu instid0(VALU_DEP_2) | instskip(NEXT) | instid1(VALU_DEP_2)
	v_fma_f64 v[4:5], v[18:19], v[68:69], -v[4:5]
	v_fmac_f64_e32 v[40:41], v[20:21], v[68:69]
	s_delay_alu instid0(VALU_DEP_2) | instskip(NEXT) | instid1(VALU_DEP_2)
	v_add_f64_e32 v[14:15], v[14:15], v[4:5]
	v_add_f64_e32 v[16:17], v[16:17], v[40:41]
.LBB184_83:                             ;   in Loop: Header=BB184_3 Depth=1
	s_or_b32 exec_lo, exec_lo, s47
	s_and_saveexec_b32 s47, s11
	s_cbranch_execz .LBB184_85
; %bb.84:                               ;   in Loop: Header=BB184_3 Depth=1
	ds_load_b128 v[18:21], v53 offset:16288
	ds_load_b128 v[68:71], v52 offset:13568
	s_wait_dscnt 0x0
	v_mul_f64_e32 v[4:5], v[20:21], v[70:71]
	v_mul_f64_e32 v[40:41], v[18:19], v[70:71]
	s_delay_alu instid0(VALU_DEP_2) | instskip(NEXT) | instid1(VALU_DEP_2)
	v_fma_f64 v[4:5], v[18:19], v[68:69], -v[4:5]
	v_fmac_f64_e32 v[40:41], v[20:21], v[68:69]
	s_delay_alu instid0(VALU_DEP_2) | instskip(NEXT) | instid1(VALU_DEP_2)
	v_add_f64_e32 v[14:15], v[14:15], v[4:5]
	v_add_f64_e32 v[16:17], v[16:17], v[40:41]
.LBB184_85:                             ;   in Loop: Header=BB184_3 Depth=1
	s_or_b32 exec_lo, exec_lo, s47
	s_delay_alu instid0(SALU_CYCLE_1) | instskip(SKIP_2) | instid1(SALU_CYCLE_1)
	s_mov_b32 s47, exec_lo
	v_readlane_b32 s97, v76, 1
	s_and_b32 s97, s47, s97
	s_mov_b32 exec_lo, s97
	s_cbranch_execnz .LBB184_526
; %bb.86:                               ;   in Loop: Header=BB184_3 Depth=1
	s_or_b32 exec_lo, exec_lo, s47
	s_and_saveexec_b32 s47, s13
	s_cbranch_execnz .LBB184_527
.LBB184_87:                             ;   in Loop: Header=BB184_3 Depth=1
	s_or_b32 exec_lo, exec_lo, s47
	s_and_saveexec_b32 s47, s20
	s_cbranch_execnz .LBB184_528
.LBB184_88:                             ;   in Loop: Header=BB184_3 Depth=1
	s_or_b32 exec_lo, exec_lo, s47
	s_and_saveexec_b32 s47, s6
	s_cbranch_execnz .LBB184_529
.LBB184_89:                             ;   in Loop: Header=BB184_3 Depth=1
	s_or_b32 exec_lo, exec_lo, s47
	s_and_saveexec_b32 s47, s8
	s_cbranch_execz .LBB184_91
.LBB184_90:                             ;   in Loop: Header=BB184_3 Depth=1
	ds_load_b128 v[18:21], v2 offset:16368
	ds_load_b128 v[68:71], v45 offset:16128
	s_wait_dscnt 0x0
	v_mul_f64_e32 v[4:5], v[20:21], v[70:71]
	v_mul_f64_e32 v[40:41], v[18:19], v[70:71]
	s_delay_alu instid0(VALU_DEP_2) | instskip(NEXT) | instid1(VALU_DEP_2)
	v_fma_f64 v[4:5], v[18:19], v[68:69], -v[4:5]
	v_fmac_f64_e32 v[40:41], v[20:21], v[68:69]
	s_delay_alu instid0(VALU_DEP_2) | instskip(NEXT) | instid1(VALU_DEP_2)
	v_add_f64_e32 v[14:15], v[14:15], v[4:5]
	v_add_f64_e32 v[16:17], v[16:17], v[40:41]
.LBB184_91:                             ;   in Loop: Header=BB184_3 Depth=1
	s_or_b32 exec_lo, exec_lo, s47
.LBB184_92:                             ;   in Loop: Header=BB184_3 Depth=1
	s_delay_alu instid0(SALU_CYCLE_1)
	s_or_b32 exec_lo, exec_lo, s46
	s_and_saveexec_b32 s46, s77
	s_cbranch_execz .LBB184_94
; %bb.93:                               ;   in Loop: Header=BB184_3 Depth=1
	ds_load_b128 v[18:21], v2 offset:12144
	s_wait_dscnt 0x0
	v_mul_f64_e32 v[4:5], v[16:17], v[20:21]
	s_delay_alu instid0(VALU_DEP_1) | instskip(SKIP_1) | instid1(VALU_DEP_1)
	v_fma_f64 v[4:5], v[14:15], v[18:19], -v[4:5]
	v_mul_f64_e32 v[40:41], v[14:15], v[20:21]
	v_fmac_f64_e32 v[40:41], v[16:17], v[18:19]
	s_delay_alu instid0(VALU_DEP_1) | instskip(NEXT) | instid1(VALU_DEP_4)
	v_mov_b32_e32 v20, v40
	v_mov_b64_e32 v[14:15], v[4:5]
	s_delay_alu instid0(VALU_DEP_3)
	v_mov_b64_e32 v[16:17], v[40:41]
	v_xor_b32_e32 v19, 0x80000000, v5
	v_xor_b32_e32 v21, 0x80000000, v41
	v_mov_b32_e32 v18, v4
	ds_store_b128 v51, v[18:21]
.LBB184_94:                             ;   in Loop: Header=BB184_3 Depth=1
	s_or_b32 exec_lo, exec_lo, s46
	s_wait_loadcnt_dscnt 0x0
	s_barrier_signal -1
	s_barrier_wait -1
	s_and_saveexec_b32 s46, s78
	s_cbranch_execz .LBB184_96
; %bb.95:                               ;   in Loop: Header=BB184_3 Depth=1
	ds_load_b128 v[18:21], v51
	ds_load_b128 v[68:71], v52 offset:12032
	s_wait_dscnt 0x0
	v_mul_f64_e32 v[4:5], v[20:21], v[70:71]
	v_mul_f64_e32 v[40:41], v[18:19], v[70:71]
	s_delay_alu instid0(VALU_DEP_2) | instskip(NEXT) | instid1(VALU_DEP_2)
	v_fma_f64 v[4:5], v[18:19], v[68:69], -v[4:5]
	v_fmac_f64_e32 v[40:41], v[20:21], v[68:69]
	s_delay_alu instid0(VALU_DEP_2) | instskip(NEXT) | instid1(VALU_DEP_2)
	v_add_f64_e64 v[14:15], v[14:15], -v[4:5]
	v_add_f64_e64 v[16:17], v[16:17], -v[40:41]
.LBB184_96:                             ;   in Loop: Header=BB184_3 Depth=1
	s_or_b32 exec_lo, exec_lo, s46
	s_barrier_signal -1
	s_barrier_wait -1
	s_and_saveexec_b32 s46, s79
	s_cbranch_execz .LBB184_98
; %bb.97:                               ;   in Loop: Header=BB184_3 Depth=1
	ds_load_b128 v[18:21], v2 offset:11616
	s_wait_dscnt 0x0
	v_mul_f64_e32 v[4:5], v[16:17], v[20:21]
	s_delay_alu instid0(VALU_DEP_1) | instskip(SKIP_1) | instid1(VALU_DEP_1)
	v_fma_f64 v[4:5], v[14:15], v[18:19], -v[4:5]
	v_mul_f64_e32 v[40:41], v[14:15], v[20:21]
	v_fmac_f64_e32 v[40:41], v[16:17], v[18:19]
	s_delay_alu instid0(VALU_DEP_1) | instskip(NEXT) | instid1(VALU_DEP_4)
	v_mov_b32_e32 v20, v40
	v_mov_b64_e32 v[14:15], v[4:5]
	s_delay_alu instid0(VALU_DEP_3)
	v_mov_b64_e32 v[16:17], v[40:41]
	v_xor_b32_e32 v19, 0x80000000, v5
	v_xor_b32_e32 v21, 0x80000000, v41
	v_mov_b32_e32 v18, v4
	ds_store_b128 v51, v[18:21]
.LBB184_98:                             ;   in Loop: Header=BB184_3 Depth=1
	s_or_b32 exec_lo, exec_lo, s46
	s_wait_dscnt 0x0
	s_barrier_signal -1
	s_barrier_wait -1
	s_and_saveexec_b32 s46, s80
	s_cbranch_execz .LBB184_100
; %bb.99:                               ;   in Loop: Header=BB184_3 Depth=1
	ds_load_b128 v[18:21], v51
	ds_load_b128 v[68:71], v52 offset:11520
	s_wait_dscnt 0x0
	v_mul_f64_e32 v[4:5], v[20:21], v[70:71]
	v_mul_f64_e32 v[40:41], v[18:19], v[70:71]
	s_delay_alu instid0(VALU_DEP_2) | instskip(NEXT) | instid1(VALU_DEP_2)
	v_fma_f64 v[4:5], v[18:19], v[68:69], -v[4:5]
	v_fmac_f64_e32 v[40:41], v[20:21], v[68:69]
	s_delay_alu instid0(VALU_DEP_2) | instskip(NEXT) | instid1(VALU_DEP_2)
	v_add_f64_e64 v[14:15], v[14:15], -v[4:5]
	v_add_f64_e64 v[16:17], v[16:17], -v[40:41]
.LBB184_100:                            ;   in Loop: Header=BB184_3 Depth=1
	s_or_b32 exec_lo, exec_lo, s46
	s_barrier_signal -1
	s_barrier_wait -1
	s_and_saveexec_b32 s46, s81
	s_cbranch_execz .LBB184_102
; %bb.101:                              ;   in Loop: Header=BB184_3 Depth=1
	ds_load_b128 v[18:21], v2 offset:11088
	s_wait_dscnt 0x0
	v_mul_f64_e32 v[4:5], v[16:17], v[20:21]
	s_delay_alu instid0(VALU_DEP_1) | instskip(SKIP_1) | instid1(VALU_DEP_1)
	v_fma_f64 v[4:5], v[14:15], v[18:19], -v[4:5]
	v_mul_f64_e32 v[40:41], v[14:15], v[20:21]
	v_fmac_f64_e32 v[40:41], v[16:17], v[18:19]
	s_delay_alu instid0(VALU_DEP_1) | instskip(NEXT) | instid1(VALU_DEP_4)
	v_mov_b32_e32 v20, v40
	v_mov_b64_e32 v[14:15], v[4:5]
	s_delay_alu instid0(VALU_DEP_3)
	v_mov_b64_e32 v[16:17], v[40:41]
	v_xor_b32_e32 v19, 0x80000000, v5
	v_xor_b32_e32 v21, 0x80000000, v41
	v_mov_b32_e32 v18, v4
	ds_store_b128 v51, v[18:21]
.LBB184_102:                            ;   in Loop: Header=BB184_3 Depth=1
	s_or_b32 exec_lo, exec_lo, s46
	s_wait_dscnt 0x0
	s_barrier_signal -1
	s_barrier_wait -1
	s_and_saveexec_b32 s46, s82
	s_cbranch_execz .LBB184_104
; %bb.103:                              ;   in Loop: Header=BB184_3 Depth=1
	ds_load_b128 v[18:21], v51
	ds_load_b128 v[68:71], v52 offset:11008
	s_wait_dscnt 0x0
	v_mul_f64_e32 v[4:5], v[20:21], v[70:71]
	v_mul_f64_e32 v[40:41], v[18:19], v[70:71]
	s_delay_alu instid0(VALU_DEP_2) | instskip(NEXT) | instid1(VALU_DEP_2)
	v_fma_f64 v[4:5], v[18:19], v[68:69], -v[4:5]
	v_fmac_f64_e32 v[40:41], v[20:21], v[68:69]
	s_delay_alu instid0(VALU_DEP_2) | instskip(NEXT) | instid1(VALU_DEP_2)
	v_add_f64_e64 v[14:15], v[14:15], -v[4:5]
	v_add_f64_e64 v[16:17], v[16:17], -v[40:41]
.LBB184_104:                            ;   in Loop: Header=BB184_3 Depth=1
	s_or_b32 exec_lo, exec_lo, s46
	s_barrier_signal -1
	s_barrier_wait -1
	s_and_saveexec_b32 s46, s83
	s_cbranch_execz .LBB184_106
; %bb.105:                              ;   in Loop: Header=BB184_3 Depth=1
	ds_load_b128 v[18:21], v2 offset:10560
	s_wait_dscnt 0x0
	v_mul_f64_e32 v[4:5], v[16:17], v[20:21]
	s_delay_alu instid0(VALU_DEP_1) | instskip(SKIP_1) | instid1(VALU_DEP_1)
	v_fma_f64 v[4:5], v[14:15], v[18:19], -v[4:5]
	v_mul_f64_e32 v[40:41], v[14:15], v[20:21]
	v_fmac_f64_e32 v[40:41], v[16:17], v[18:19]
	s_delay_alu instid0(VALU_DEP_1) | instskip(NEXT) | instid1(VALU_DEP_4)
	v_mov_b32_e32 v20, v40
	v_mov_b64_e32 v[14:15], v[4:5]
	s_delay_alu instid0(VALU_DEP_3)
	v_mov_b64_e32 v[16:17], v[40:41]
	v_xor_b32_e32 v19, 0x80000000, v5
	v_xor_b32_e32 v21, 0x80000000, v41
	v_mov_b32_e32 v18, v4
	ds_store_b128 v51, v[18:21]
.LBB184_106:                            ;   in Loop: Header=BB184_3 Depth=1
	s_or_b32 exec_lo, exec_lo, s46
	s_wait_dscnt 0x0
	s_barrier_signal -1
	s_barrier_wait -1
	s_and_saveexec_b32 s46, s84
	s_cbranch_execz .LBB184_108
; %bb.107:                              ;   in Loop: Header=BB184_3 Depth=1
	ds_load_b128 v[18:21], v51
	ds_load_b128 v[68:71], v52 offset:10496
	s_wait_dscnt 0x0
	v_mul_f64_e32 v[4:5], v[20:21], v[70:71]
	v_mul_f64_e32 v[40:41], v[18:19], v[70:71]
	s_delay_alu instid0(VALU_DEP_2) | instskip(NEXT) | instid1(VALU_DEP_2)
	v_fma_f64 v[4:5], v[18:19], v[68:69], -v[4:5]
	v_fmac_f64_e32 v[40:41], v[20:21], v[68:69]
	s_delay_alu instid0(VALU_DEP_2) | instskip(NEXT) | instid1(VALU_DEP_2)
	v_add_f64_e64 v[14:15], v[14:15], -v[4:5]
	v_add_f64_e64 v[16:17], v[16:17], -v[40:41]
.LBB184_108:                            ;   in Loop: Header=BB184_3 Depth=1
	;; [unrolled: 42-line block ×5, first 2 shown]
	s_or_b32 exec_lo, exec_lo, s46
	s_barrier_signal -1
	s_barrier_wait -1
	s_and_saveexec_b32 s46, s90
	s_cbranch_execz .LBB184_122
; %bb.121:                              ;   in Loop: Header=BB184_3 Depth=1
	ds_load_b128 v[18:21], v2 offset:8448
	s_wait_dscnt 0x0
	v_mul_f64_e32 v[4:5], v[16:17], v[20:21]
	s_delay_alu instid0(VALU_DEP_1) | instskip(SKIP_1) | instid1(VALU_DEP_1)
	v_fma_f64 v[4:5], v[14:15], v[18:19], -v[4:5]
	v_mul_f64_e32 v[40:41], v[14:15], v[20:21]
	v_fmac_f64_e32 v[40:41], v[16:17], v[18:19]
	s_delay_alu instid0(VALU_DEP_1) | instskip(NEXT) | instid1(VALU_DEP_4)
	v_mov_b32_e32 v20, v40
	v_mov_b64_e32 v[14:15], v[4:5]
	s_delay_alu instid0(VALU_DEP_3)
	v_mov_b64_e32 v[16:17], v[40:41]
	v_xor_b32_e32 v19, 0x80000000, v5
	v_xor_b32_e32 v21, 0x80000000, v41
	v_mov_b32_e32 v18, v4
	ds_store_b128 v51, v[18:21]
.LBB184_122:                            ;   in Loop: Header=BB184_3 Depth=1
	s_or_b32 exec_lo, exec_lo, s46
	s_wait_dscnt 0x0
	s_barrier_signal -1
	s_barrier_wait -1
	s_barrier_signal -1
	s_barrier_wait -1
	s_and_saveexec_b32 s46, s9
; %bb.123:                              ;   in Loop: Header=BB184_3 Depth=1
	ds_store_b128 v54, v[14:17] offset:16128
; %bb.124:                              ;   in Loop: Header=BB184_3 Depth=1
	s_or_b32 exec_lo, exec_lo, s46
	s_wait_dscnt 0x0
	s_barrier_signal -1
	s_barrier_wait -1
	s_barrier_signal -1
	s_barrier_wait -1
	s_and_saveexec_b32 s46, s3
	s_cbranch_execz .LBB184_126
; %bb.125:                              ;   in Loop: Header=BB184_3 Depth=1
	ds_load_b128 v[14:17], v2 offset:12144
	ds_load_b128 v[18:21], v2 offset:11616
	;; [unrolled: 1-line block ×3, first 2 shown]
	s_wait_dscnt 0x1
	v_mul_f64_e32 v[4:5], v[14:15], v[20:21]
	v_mul_f64_e32 v[20:21], v[16:17], v[20:21]
	s_delay_alu instid0(VALU_DEP_2) | instskip(NEXT) | instid1(VALU_DEP_2)
	v_fmac_f64_e32 v[4:5], v[16:17], v[18:19]
	v_fma_f64 v[14:15], v[14:15], v[18:19], -v[20:21]
	s_wait_dscnt 0x0
	s_delay_alu instid0(VALU_DEP_2) | instskip(NEXT) | instid1(VALU_DEP_2)
	v_mul_f64_e32 v[18:19], v[4:5], v[70:71]
	v_mul_f64_e32 v[16:17], v[14:15], v[70:71]
	s_delay_alu instid0(VALU_DEP_2) | instskip(NEXT) | instid1(VALU_DEP_2)
	v_fma_f64 v[14:15], v[68:69], v[14:15], -v[18:19]
	v_fmac_f64_e32 v[16:17], v[68:69], v[4:5]
	ds_store_b128 v2, v[14:17] offset:12128
.LBB184_126:                            ;   in Loop: Header=BB184_3 Depth=1
	s_or_b32 exec_lo, exec_lo, s46
	v_mov_b64_e32 v[14:15], 0
	v_mov_b64_e32 v[16:17], 0
	s_wait_dscnt 0x0
	s_barrier_signal -1
	s_barrier_wait -1
	global_wb scope:SCOPE_DEV
	s_wait_storecnt 0x0
	global_inv scope:SCOPE_DEV
	s_and_saveexec_b32 s46, s4
	s_cbranch_execz .LBB184_130
; %bb.127:                              ;   in Loop: Header=BB184_3 Depth=1
	ds_load_b128 v[14:17], v44 offset:12128
	ds_load_b128 v[18:21], v43 offset:11584
	s_wait_dscnt 0x0
	v_mul_f64_e32 v[4:5], v[16:17], v[20:21]
	v_mul_f64_e32 v[20:21], v[14:15], v[20:21]
	s_delay_alu instid0(VALU_DEP_2) | instskip(NEXT) | instid1(VALU_DEP_2)
	v_fma_f64 v[4:5], v[14:15], v[18:19], -v[4:5]
	v_fmac_f64_e32 v[20:21], v[16:17], v[18:19]
	s_delay_alu instid0(VALU_DEP_2) | instskip(NEXT) | instid1(VALU_DEP_2)
	v_add_f64_e32 v[14:15], 0, v[4:5]
	v_add_f64_e32 v[16:17], 0, v[20:21]
	s_and_saveexec_b32 s47, s5
	s_cbranch_execz .LBB184_129
; %bb.128:                              ;   in Loop: Header=BB184_3 Depth=1
	ds_load_b128 v[18:21], v2 offset:12144
	ds_load_b128 v[68:71], v45 offset:12096
	s_wait_dscnt 0x0
	v_mul_f64_e32 v[4:5], v[20:21], v[70:71]
	v_mul_f64_e32 v[40:41], v[18:19], v[70:71]
	s_delay_alu instid0(VALU_DEP_2) | instskip(NEXT) | instid1(VALU_DEP_2)
	v_fma_f64 v[4:5], v[18:19], v[68:69], -v[4:5]
	v_fmac_f64_e32 v[40:41], v[20:21], v[68:69]
	s_delay_alu instid0(VALU_DEP_2) | instskip(NEXT) | instid1(VALU_DEP_2)
	v_add_f64_e32 v[14:15], v[14:15], v[4:5]
	v_add_f64_e32 v[16:17], v[16:17], v[40:41]
.LBB184_129:                            ;   in Loop: Header=BB184_3 Depth=1
	s_or_b32 exec_lo, exec_lo, s47
.LBB184_130:                            ;   in Loop: Header=BB184_3 Depth=1
	s_delay_alu instid0(SALU_CYCLE_1)
	s_or_b32 exec_lo, exec_lo, s46
	s_and_saveexec_b32 s46, s69
	s_cbranch_execz .LBB184_132
; %bb.131:                              ;   in Loop: Header=BB184_3 Depth=1
	ds_load_b128 v[18:21], v2 offset:11088
	s_wait_dscnt 0x0
	v_mul_f64_e32 v[4:5], v[16:17], v[20:21]
	s_delay_alu instid0(VALU_DEP_1) | instskip(SKIP_1) | instid1(VALU_DEP_1)
	v_fma_f64 v[4:5], v[14:15], v[18:19], -v[4:5]
	v_mul_f64_e32 v[40:41], v[14:15], v[20:21]
	v_fmac_f64_e32 v[40:41], v[16:17], v[18:19]
	s_delay_alu instid0(VALU_DEP_1) | instskip(NEXT) | instid1(VALU_DEP_4)
	v_mov_b32_e32 v20, v40
	v_mov_b64_e32 v[14:15], v[4:5]
	s_delay_alu instid0(VALU_DEP_3)
	v_mov_b64_e32 v[16:17], v[40:41]
	v_xor_b32_e32 v19, 0x80000000, v5
	v_xor_b32_e32 v21, 0x80000000, v41
	v_mov_b32_e32 v18, v4
	ds_store_b128 v23, v[18:21]
.LBB184_132:                            ;   in Loop: Header=BB184_3 Depth=1
	s_or_b32 exec_lo, exec_lo, s46
	s_wait_loadcnt_dscnt 0x0
	s_barrier_signal -1
	s_barrier_wait -1
	s_and_saveexec_b32 s46, s70
	s_cbranch_execz .LBB184_134
; %bb.133:                              ;   in Loop: Header=BB184_3 Depth=1
	ds_load_b128 v[18:21], v23
	ds_load_b128 v[68:71], v2 offset:11072
	s_wait_dscnt 0x0
	v_mul_f64_e32 v[4:5], v[20:21], v[70:71]
	v_mul_f64_e32 v[40:41], v[18:19], v[70:71]
	s_delay_alu instid0(VALU_DEP_2) | instskip(NEXT) | instid1(VALU_DEP_2)
	v_fma_f64 v[4:5], v[18:19], v[68:69], -v[4:5]
	v_fmac_f64_e32 v[40:41], v[20:21], v[68:69]
	s_delay_alu instid0(VALU_DEP_2) | instskip(NEXT) | instid1(VALU_DEP_2)
	v_add_f64_e64 v[14:15], v[14:15], -v[4:5]
	v_add_f64_e64 v[16:17], v[16:17], -v[40:41]
.LBB184_134:                            ;   in Loop: Header=BB184_3 Depth=1
	s_or_b32 exec_lo, exec_lo, s46
	s_barrier_signal -1
	s_barrier_wait -1
	s_and_saveexec_b32 s46, s70
	s_cbranch_execz .LBB184_136
; %bb.135:                              ;   in Loop: Header=BB184_3 Depth=1
	ds_load_b128 v[18:21], v2 offset:10560
	s_wait_dscnt 0x0
	v_mul_f64_e32 v[4:5], v[16:17], v[20:21]
	s_delay_alu instid0(VALU_DEP_1) | instskip(SKIP_1) | instid1(VALU_DEP_1)
	v_fma_f64 v[4:5], v[14:15], v[18:19], -v[4:5]
	v_mul_f64_e32 v[40:41], v[14:15], v[20:21]
	v_fmac_f64_e32 v[40:41], v[16:17], v[18:19]
	s_delay_alu instid0(VALU_DEP_1) | instskip(NEXT) | instid1(VALU_DEP_4)
	v_mov_b32_e32 v20, v40
	v_mov_b64_e32 v[14:15], v[4:5]
	s_delay_alu instid0(VALU_DEP_3)
	v_mov_b64_e32 v[16:17], v[40:41]
	v_xor_b32_e32 v19, 0x80000000, v5
	v_xor_b32_e32 v21, 0x80000000, v41
	v_mov_b32_e32 v18, v4
	ds_store_b128 v23, v[18:21]
.LBB184_136:                            ;   in Loop: Header=BB184_3 Depth=1
	s_or_b32 exec_lo, exec_lo, s46
	s_wait_dscnt 0x0
	s_barrier_signal -1
	s_barrier_wait -1
	s_barrier_signal -1
	s_barrier_wait -1
	s_and_saveexec_b32 s46, s4
; %bb.137:                              ;   in Loop: Header=BB184_3 Depth=1
	ds_store_b128 v46, v[14:17] offset:12096
; %bb.138:                              ;   in Loop: Header=BB184_3 Depth=1
	s_or_b32 exec_lo, exec_lo, s46
	s_wait_dscnt 0x0
	s_barrier_signal -1
	s_barrier_wait -1
	s_barrier_signal -1
	s_barrier_wait -1
	s_and_saveexec_b32 s46, s3
	s_cbranch_execz .LBB184_140
; %bb.139:                              ;   in Loop: Header=BB184_3 Depth=1
	ds_load_b128 v[14:17], v2 offset:11088
	ds_load_b128 v[18:21], v2 offset:10560
	;; [unrolled: 1-line block ×3, first 2 shown]
	s_wait_dscnt 0x1
	v_mul_f64_e32 v[4:5], v[14:15], v[20:21]
	v_mul_f64_e32 v[20:21], v[16:17], v[20:21]
	s_delay_alu instid0(VALU_DEP_2) | instskip(NEXT) | instid1(VALU_DEP_2)
	v_fmac_f64_e32 v[4:5], v[16:17], v[18:19]
	v_fma_f64 v[14:15], v[14:15], v[18:19], -v[20:21]
	s_wait_dscnt 0x0
	s_delay_alu instid0(VALU_DEP_2) | instskip(NEXT) | instid1(VALU_DEP_2)
	v_mul_f64_e32 v[18:19], v[4:5], v[70:71]
	v_mul_f64_e32 v[16:17], v[14:15], v[70:71]
	s_delay_alu instid0(VALU_DEP_2) | instskip(NEXT) | instid1(VALU_DEP_2)
	v_fma_f64 v[14:15], v[68:69], v[14:15], -v[18:19]
	v_fmac_f64_e32 v[16:17], v[68:69], v[4:5]
	ds_store_b128 v2, v[14:17] offset:11072
.LBB184_140:                            ;   in Loop: Header=BB184_3 Depth=1
	s_or_b32 exec_lo, exec_lo, s46
	v_mov_b64_e32 v[16:17], 0
	v_mov_b64_e32 v[14:15], 0
	s_wait_dscnt 0x0
	s_barrier_signal -1
	s_barrier_wait -1
	global_wb scope:SCOPE_DEV
	s_wait_storecnt 0x0
	global_inv scope:SCOPE_DEV
	s_and_saveexec_b32 s46, s6
	s_cbranch_execz .LBB184_146
; %bb.141:                              ;   in Loop: Header=BB184_3 Depth=1
	ds_load_b128 v[14:17], v49 offset:12096
	ds_load_b128 v[18:21], v48 offset:10496
	s_wait_dscnt 0x0
	v_mul_f64_e32 v[4:5], v[16:17], v[20:21]
	v_mul_f64_e32 v[20:21], v[14:15], v[20:21]
	s_delay_alu instid0(VALU_DEP_2) | instskip(NEXT) | instid1(VALU_DEP_2)
	v_fma_f64 v[4:5], v[14:15], v[18:19], -v[4:5]
	v_fmac_f64_e32 v[20:21], v[16:17], v[18:19]
	s_delay_alu instid0(VALU_DEP_2) | instskip(NEXT) | instid1(VALU_DEP_2)
	v_add_f64_e32 v[14:15], 0, v[4:5]
	v_add_f64_e32 v[16:17], 0, v[20:21]
	s_and_saveexec_b32 s47, s7
	s_cbranch_execnz .LBB184_530
; %bb.142:                              ;   in Loop: Header=BB184_3 Depth=1
	s_or_b32 exec_lo, exec_lo, s47
	s_and_saveexec_b32 s47, s8
	s_cbranch_execnz .LBB184_531
.LBB184_143:                            ;   in Loop: Header=BB184_3 Depth=1
	s_or_b32 exec_lo, exec_lo, s47
	s_and_saveexec_b32 s47, s4
	s_cbranch_execz .LBB184_145
.LBB184_144:                            ;   in Loop: Header=BB184_3 Depth=1
	ds_load_b128 v[18:21], v2 offset:12144
	ds_load_b128 v[68:71], v45 offset:12032
	s_wait_dscnt 0x0
	v_mul_f64_e32 v[4:5], v[20:21], v[70:71]
	v_mul_f64_e32 v[40:41], v[18:19], v[70:71]
	s_delay_alu instid0(VALU_DEP_2) | instskip(NEXT) | instid1(VALU_DEP_2)
	v_fma_f64 v[4:5], v[18:19], v[68:69], -v[4:5]
	v_fmac_f64_e32 v[40:41], v[20:21], v[68:69]
	s_delay_alu instid0(VALU_DEP_2) | instskip(NEXT) | instid1(VALU_DEP_2)
	v_add_f64_e32 v[14:15], v[14:15], v[4:5]
	v_add_f64_e32 v[16:17], v[16:17], v[40:41]
.LBB184_145:                            ;   in Loop: Header=BB184_3 Depth=1
	s_or_b32 exec_lo, exec_lo, s47
.LBB184_146:                            ;   in Loop: Header=BB184_3 Depth=1
	s_delay_alu instid0(SALU_CYCLE_1)
	s_or_b32 exec_lo, exec_lo, s46
	s_and_saveexec_b32 s46, s71
	s_cbranch_execz .LBB184_148
; %bb.147:                              ;   in Loop: Header=BB184_3 Depth=1
	ds_load_b128 v[18:21], v2 offset:10032
	s_wait_dscnt 0x0
	v_mul_f64_e32 v[4:5], v[16:17], v[20:21]
	s_delay_alu instid0(VALU_DEP_1) | instskip(SKIP_1) | instid1(VALU_DEP_1)
	v_fma_f64 v[4:5], v[14:15], v[18:19], -v[4:5]
	v_mul_f64_e32 v[40:41], v[14:15], v[20:21]
	v_fmac_f64_e32 v[40:41], v[16:17], v[18:19]
	s_delay_alu instid0(VALU_DEP_1) | instskip(NEXT) | instid1(VALU_DEP_4)
	v_mov_b32_e32 v20, v40
	v_mov_b64_e32 v[14:15], v[4:5]
	s_delay_alu instid0(VALU_DEP_3)
	v_mov_b64_e32 v[16:17], v[40:41]
	v_xor_b32_e32 v19, 0x80000000, v5
	v_xor_b32_e32 v21, 0x80000000, v41
	v_mov_b32_e32 v18, v4
	ds_store_b128 v47, v[18:21]
.LBB184_148:                            ;   in Loop: Header=BB184_3 Depth=1
	s_or_b32 exec_lo, exec_lo, s46
	s_wait_loadcnt_dscnt 0x0
	s_barrier_signal -1
	s_barrier_wait -1
	s_and_saveexec_b32 s46, s72
	s_cbranch_execz .LBB184_150
; %bb.149:                              ;   in Loop: Header=BB184_3 Depth=1
	ds_load_b128 v[18:21], v47
	ds_load_b128 v[68:71], v48 offset:9984
	s_wait_dscnt 0x0
	v_mul_f64_e32 v[4:5], v[20:21], v[70:71]
	v_mul_f64_e32 v[40:41], v[18:19], v[70:71]
	s_delay_alu instid0(VALU_DEP_2) | instskip(NEXT) | instid1(VALU_DEP_2)
	v_fma_f64 v[4:5], v[18:19], v[68:69], -v[4:5]
	v_fmac_f64_e32 v[40:41], v[20:21], v[68:69]
	s_delay_alu instid0(VALU_DEP_2) | instskip(NEXT) | instid1(VALU_DEP_2)
	v_add_f64_e64 v[14:15], v[14:15], -v[4:5]
	v_add_f64_e64 v[16:17], v[16:17], -v[40:41]
.LBB184_150:                            ;   in Loop: Header=BB184_3 Depth=1
	s_or_b32 exec_lo, exec_lo, s46
	s_barrier_signal -1
	s_barrier_wait -1
	s_and_saveexec_b32 s46, s73
	s_cbranch_execz .LBB184_152
; %bb.151:                              ;   in Loop: Header=BB184_3 Depth=1
	ds_load_b128 v[18:21], v2 offset:9504
	s_wait_dscnt 0x0
	v_mul_f64_e32 v[4:5], v[16:17], v[20:21]
	s_delay_alu instid0(VALU_DEP_1) | instskip(SKIP_1) | instid1(VALU_DEP_1)
	v_fma_f64 v[4:5], v[14:15], v[18:19], -v[4:5]
	v_mul_f64_e32 v[40:41], v[14:15], v[20:21]
	v_fmac_f64_e32 v[40:41], v[16:17], v[18:19]
	s_delay_alu instid0(VALU_DEP_1) | instskip(NEXT) | instid1(VALU_DEP_4)
	v_mov_b32_e32 v20, v40
	v_mov_b64_e32 v[14:15], v[4:5]
	s_delay_alu instid0(VALU_DEP_3)
	v_mov_b64_e32 v[16:17], v[40:41]
	v_xor_b32_e32 v19, 0x80000000, v5
	v_xor_b32_e32 v21, 0x80000000, v41
	v_mov_b32_e32 v18, v4
	ds_store_b128 v47, v[18:21]
.LBB184_152:                            ;   in Loop: Header=BB184_3 Depth=1
	s_or_b32 exec_lo, exec_lo, s46
	s_wait_dscnt 0x0
	s_barrier_signal -1
	s_barrier_wait -1
	s_and_saveexec_b32 s46, s74
	s_cbranch_execz .LBB184_154
; %bb.153:                              ;   in Loop: Header=BB184_3 Depth=1
	ds_load_b128 v[18:21], v47
	ds_load_b128 v[68:71], v48 offset:9472
	s_wait_dscnt 0x0
	v_mul_f64_e32 v[4:5], v[20:21], v[70:71]
	v_mul_f64_e32 v[40:41], v[18:19], v[70:71]
	s_delay_alu instid0(VALU_DEP_2) | instskip(NEXT) | instid1(VALU_DEP_2)
	v_fma_f64 v[4:5], v[18:19], v[68:69], -v[4:5]
	v_fmac_f64_e32 v[40:41], v[20:21], v[68:69]
	s_delay_alu instid0(VALU_DEP_2) | instskip(NEXT) | instid1(VALU_DEP_2)
	v_add_f64_e64 v[14:15], v[14:15], -v[4:5]
	v_add_f64_e64 v[16:17], v[16:17], -v[40:41]
.LBB184_154:                            ;   in Loop: Header=BB184_3 Depth=1
	s_or_b32 exec_lo, exec_lo, s46
	s_barrier_signal -1
	s_barrier_wait -1
	s_and_saveexec_b32 s46, s75
	s_cbranch_execz .LBB184_156
; %bb.155:                              ;   in Loop: Header=BB184_3 Depth=1
	ds_load_b128 v[18:21], v2 offset:8976
	s_wait_dscnt 0x0
	v_mul_f64_e32 v[4:5], v[16:17], v[20:21]
	s_delay_alu instid0(VALU_DEP_1) | instskip(SKIP_1) | instid1(VALU_DEP_1)
	v_fma_f64 v[4:5], v[14:15], v[18:19], -v[4:5]
	v_mul_f64_e32 v[40:41], v[14:15], v[20:21]
	v_fmac_f64_e32 v[40:41], v[16:17], v[18:19]
	s_delay_alu instid0(VALU_DEP_1) | instskip(NEXT) | instid1(VALU_DEP_4)
	v_mov_b32_e32 v20, v40
	v_mov_b64_e32 v[14:15], v[4:5]
	s_delay_alu instid0(VALU_DEP_3)
	v_mov_b64_e32 v[16:17], v[40:41]
	v_xor_b32_e32 v19, 0x80000000, v5
	v_xor_b32_e32 v21, 0x80000000, v41
	v_mov_b32_e32 v18, v4
	ds_store_b128 v47, v[18:21]
.LBB184_156:                            ;   in Loop: Header=BB184_3 Depth=1
	s_or_b32 exec_lo, exec_lo, s46
	s_wait_dscnt 0x0
	;; [unrolled: 42-line block ×3, first 2 shown]
	s_barrier_signal -1
	s_barrier_wait -1
	s_barrier_signal -1
	s_barrier_wait -1
	s_and_saveexec_b32 s46, s6
; %bb.161:                              ;   in Loop: Header=BB184_3 Depth=1
	ds_store_b128 v50, v[14:17] offset:12032
; %bb.162:                              ;   in Loop: Header=BB184_3 Depth=1
	s_or_b32 exec_lo, exec_lo, s46
	s_wait_dscnt 0x0
	s_barrier_signal -1
	s_barrier_wait -1
	s_barrier_signal -1
	s_barrier_wait -1
	s_and_saveexec_b32 s46, s3
	s_cbranch_execz .LBB184_164
; %bb.163:                              ;   in Loop: Header=BB184_3 Depth=1
	ds_load_b128 v[14:17], v2 offset:10032
	ds_load_b128 v[18:21], v2 offset:9504
	;; [unrolled: 1-line block ×3, first 2 shown]
	s_wait_dscnt 0x1
	v_mul_f64_e32 v[4:5], v[14:15], v[20:21]
	v_mul_f64_e32 v[20:21], v[16:17], v[20:21]
	s_delay_alu instid0(VALU_DEP_2) | instskip(NEXT) | instid1(VALU_DEP_2)
	v_fmac_f64_e32 v[4:5], v[16:17], v[18:19]
	v_fma_f64 v[14:15], v[14:15], v[18:19], -v[20:21]
	s_wait_dscnt 0x0
	s_delay_alu instid0(VALU_DEP_2) | instskip(NEXT) | instid1(VALU_DEP_2)
	v_mul_f64_e32 v[18:19], v[4:5], v[70:71]
	v_mul_f64_e32 v[16:17], v[14:15], v[70:71]
	s_delay_alu instid0(VALU_DEP_2) | instskip(NEXT) | instid1(VALU_DEP_2)
	v_fma_f64 v[14:15], v[68:69], v[14:15], -v[18:19]
	v_fmac_f64_e32 v[16:17], v[68:69], v[4:5]
	ds_store_b128 v2, v[14:17] offset:10016
.LBB184_164:                            ;   in Loop: Header=BB184_3 Depth=1
	s_or_b32 exec_lo, exec_lo, s46
	v_mov_b64_e32 v[14:15], 0
	v_mov_b64_e32 v[16:17], 0
	s_wait_dscnt 0x0
	s_barrier_signal -1
	s_barrier_wait -1
	global_wb scope:SCOPE_DEV
	s_wait_storecnt 0x0
	global_inv scope:SCOPE_DEV
	s_and_saveexec_b32 s46, s4
	s_cbranch_execz .LBB184_168
; %bb.165:                              ;   in Loop: Header=BB184_3 Depth=1
	ds_load_b128 v[14:17], v44 offset:10016
	ds_load_b128 v[18:21], v43 offset:9472
	s_wait_dscnt 0x0
	v_mul_f64_e32 v[4:5], v[16:17], v[20:21]
	v_mul_f64_e32 v[20:21], v[14:15], v[20:21]
	s_delay_alu instid0(VALU_DEP_2) | instskip(NEXT) | instid1(VALU_DEP_2)
	v_fma_f64 v[4:5], v[14:15], v[18:19], -v[4:5]
	v_fmac_f64_e32 v[20:21], v[16:17], v[18:19]
	s_delay_alu instid0(VALU_DEP_2) | instskip(NEXT) | instid1(VALU_DEP_2)
	v_add_f64_e32 v[14:15], 0, v[4:5]
	v_add_f64_e32 v[16:17], 0, v[20:21]
	s_and_saveexec_b32 s47, s5
	s_cbranch_execz .LBB184_167
; %bb.166:                              ;   in Loop: Header=BB184_3 Depth=1
	ds_load_b128 v[18:21], v2 offset:10032
	ds_load_b128 v[68:71], v45 offset:9984
	s_wait_dscnt 0x0
	v_mul_f64_e32 v[4:5], v[20:21], v[70:71]
	v_mul_f64_e32 v[40:41], v[18:19], v[70:71]
	s_delay_alu instid0(VALU_DEP_2) | instskip(NEXT) | instid1(VALU_DEP_2)
	v_fma_f64 v[4:5], v[18:19], v[68:69], -v[4:5]
	v_fmac_f64_e32 v[40:41], v[20:21], v[68:69]
	s_delay_alu instid0(VALU_DEP_2) | instskip(NEXT) | instid1(VALU_DEP_2)
	v_add_f64_e32 v[14:15], v[14:15], v[4:5]
	v_add_f64_e32 v[16:17], v[16:17], v[40:41]
.LBB184_167:                            ;   in Loop: Header=BB184_3 Depth=1
	s_or_b32 exec_lo, exec_lo, s47
.LBB184_168:                            ;   in Loop: Header=BB184_3 Depth=1
	s_delay_alu instid0(SALU_CYCLE_1)
	s_or_b32 exec_lo, exec_lo, s46
	s_and_saveexec_b32 s46, s69
	s_cbranch_execz .LBB184_170
; %bb.169:                              ;   in Loop: Header=BB184_3 Depth=1
	ds_load_b128 v[18:21], v2 offset:8976
	s_wait_dscnt 0x0
	v_mul_f64_e32 v[4:5], v[16:17], v[20:21]
	s_delay_alu instid0(VALU_DEP_1) | instskip(SKIP_1) | instid1(VALU_DEP_1)
	v_fma_f64 v[4:5], v[14:15], v[18:19], -v[4:5]
	v_mul_f64_e32 v[40:41], v[14:15], v[20:21]
	v_fmac_f64_e32 v[40:41], v[16:17], v[18:19]
	s_delay_alu instid0(VALU_DEP_1) | instskip(NEXT) | instid1(VALU_DEP_4)
	v_mov_b32_e32 v20, v40
	v_mov_b64_e32 v[14:15], v[4:5]
	s_delay_alu instid0(VALU_DEP_3)
	v_mov_b64_e32 v[16:17], v[40:41]
	v_xor_b32_e32 v19, 0x80000000, v5
	v_xor_b32_e32 v21, 0x80000000, v41
	v_mov_b32_e32 v18, v4
	ds_store_b128 v23, v[18:21]
.LBB184_170:                            ;   in Loop: Header=BB184_3 Depth=1
	s_or_b32 exec_lo, exec_lo, s46
	s_wait_loadcnt_dscnt 0x0
	s_barrier_signal -1
	s_barrier_wait -1
	s_and_saveexec_b32 s46, s70
	s_cbranch_execz .LBB184_172
; %bb.171:                              ;   in Loop: Header=BB184_3 Depth=1
	ds_load_b128 v[18:21], v23
	ds_load_b128 v[68:71], v2 offset:8960
	s_wait_dscnt 0x0
	v_mul_f64_e32 v[4:5], v[20:21], v[70:71]
	v_mul_f64_e32 v[40:41], v[18:19], v[70:71]
	s_delay_alu instid0(VALU_DEP_2) | instskip(NEXT) | instid1(VALU_DEP_2)
	v_fma_f64 v[4:5], v[18:19], v[68:69], -v[4:5]
	v_fmac_f64_e32 v[40:41], v[20:21], v[68:69]
	s_delay_alu instid0(VALU_DEP_2) | instskip(NEXT) | instid1(VALU_DEP_2)
	v_add_f64_e64 v[14:15], v[14:15], -v[4:5]
	v_add_f64_e64 v[16:17], v[16:17], -v[40:41]
.LBB184_172:                            ;   in Loop: Header=BB184_3 Depth=1
	s_or_b32 exec_lo, exec_lo, s46
	s_barrier_signal -1
	s_barrier_wait -1
	s_and_saveexec_b32 s46, s70
	s_cbranch_execz .LBB184_174
; %bb.173:                              ;   in Loop: Header=BB184_3 Depth=1
	ds_load_b128 v[18:21], v2 offset:8448
	s_wait_dscnt 0x0
	v_mul_f64_e32 v[4:5], v[16:17], v[20:21]
	s_delay_alu instid0(VALU_DEP_1) | instskip(SKIP_1) | instid1(VALU_DEP_1)
	v_fma_f64 v[4:5], v[14:15], v[18:19], -v[4:5]
	v_mul_f64_e32 v[40:41], v[14:15], v[20:21]
	v_fmac_f64_e32 v[40:41], v[16:17], v[18:19]
	s_delay_alu instid0(VALU_DEP_1) | instskip(NEXT) | instid1(VALU_DEP_4)
	v_mov_b32_e32 v20, v40
	v_mov_b64_e32 v[14:15], v[4:5]
	s_delay_alu instid0(VALU_DEP_3)
	v_mov_b64_e32 v[16:17], v[40:41]
	v_xor_b32_e32 v19, 0x80000000, v5
	v_xor_b32_e32 v21, 0x80000000, v41
	v_mov_b32_e32 v18, v4
	ds_store_b128 v23, v[18:21]
.LBB184_174:                            ;   in Loop: Header=BB184_3 Depth=1
	s_or_b32 exec_lo, exec_lo, s46
	s_wait_dscnt 0x0
	s_barrier_signal -1
	s_barrier_wait -1
	s_barrier_signal -1
	s_barrier_wait -1
	s_and_saveexec_b32 s46, s4
; %bb.175:                              ;   in Loop: Header=BB184_3 Depth=1
	ds_store_b128 v46, v[14:17] offset:9984
; %bb.176:                              ;   in Loop: Header=BB184_3 Depth=1
	s_or_b32 exec_lo, exec_lo, s46
	s_wait_dscnt 0x0
	s_barrier_signal -1
	s_barrier_wait -1
	s_barrier_signal -1
	s_barrier_wait -1
	s_and_saveexec_b32 s46, s3
	s_cbranch_execz .LBB184_178
; %bb.177:                              ;   in Loop: Header=BB184_3 Depth=1
	ds_load_b128 v[14:17], v2 offset:8976
	ds_load_b128 v[18:21], v2 offset:8448
	;; [unrolled: 1-line block ×3, first 2 shown]
	s_wait_dscnt 0x1
	v_mul_f64_e32 v[4:5], v[14:15], v[20:21]
	v_mul_f64_e32 v[20:21], v[16:17], v[20:21]
	s_delay_alu instid0(VALU_DEP_2) | instskip(NEXT) | instid1(VALU_DEP_2)
	v_fmac_f64_e32 v[4:5], v[16:17], v[18:19]
	v_fma_f64 v[14:15], v[14:15], v[18:19], -v[20:21]
	s_wait_dscnt 0x0
	s_delay_alu instid0(VALU_DEP_2) | instskip(NEXT) | instid1(VALU_DEP_2)
	v_mul_f64_e32 v[18:19], v[4:5], v[70:71]
	v_mul_f64_e32 v[16:17], v[14:15], v[70:71]
	s_delay_alu instid0(VALU_DEP_2) | instskip(NEXT) | instid1(VALU_DEP_2)
	v_fma_f64 v[14:15], v[68:69], v[14:15], -v[18:19]
	v_fmac_f64_e32 v[16:17], v[68:69], v[4:5]
	ds_store_b128 v2, v[14:17] offset:8960
.LBB184_178:                            ;   in Loop: Header=BB184_3 Depth=1
	s_or_b32 exec_lo, exec_lo, s46
	v_mov_b64_e32 v[16:17], 0
	v_mov_b64_e32 v[14:15], 0
	s_wait_dscnt 0x0
	s_barrier_signal -1
	s_barrier_wait -1
	global_wb scope:SCOPE_DEV
	s_wait_storecnt 0x0
	global_inv scope:SCOPE_DEV
	s_and_saveexec_b32 s46, s14
	s_cbranch_execz .LBB184_206
; %bb.179:                              ;   in Loop: Header=BB184_3 Depth=1
	ds_load_b128 v[14:17], v57 offset:16128
	ds_load_b128 v[18:21], v56 offset:8192
	s_wait_dscnt 0x0
	v_mul_f64_e32 v[4:5], v[16:17], v[20:21]
	v_mul_f64_e32 v[20:21], v[14:15], v[20:21]
	s_delay_alu instid0(VALU_DEP_2) | instskip(NEXT) | instid1(VALU_DEP_2)
	v_fma_f64 v[4:5], v[14:15], v[18:19], -v[4:5]
	v_fmac_f64_e32 v[20:21], v[16:17], v[18:19]
	s_delay_alu instid0(VALU_DEP_2) | instskip(NEXT) | instid1(VALU_DEP_2)
	v_add_f64_e32 v[14:15], 0, v[4:5]
	v_add_f64_e32 v[16:17], 0, v[20:21]
	s_mov_b32 s47, exec_lo
	v_readlane_b32 s97, v76, 19
	s_and_b32 s97, s47, s97
	s_delay_alu instid0(SALU_CYCLE_1)
	s_mov_b32 exec_lo, s97
	s_cbranch_execz .LBB184_181
; %bb.180:                              ;   in Loop: Header=BB184_3 Depth=1
	ds_load_b128 v[18:21], v57 offset:16144
	ds_load_b128 v[68:71], v56 offset:8704
	s_wait_dscnt 0x0
	v_mul_f64_e32 v[4:5], v[20:21], v[70:71]
	v_mul_f64_e32 v[40:41], v[18:19], v[70:71]
	s_delay_alu instid0(VALU_DEP_2) | instskip(NEXT) | instid1(VALU_DEP_2)
	v_fma_f64 v[4:5], v[18:19], v[68:69], -v[4:5]
	v_fmac_f64_e32 v[40:41], v[20:21], v[68:69]
	s_delay_alu instid0(VALU_DEP_2) | instskip(NEXT) | instid1(VALU_DEP_2)
	v_add_f64_e32 v[14:15], v[14:15], v[4:5]
	v_add_f64_e32 v[16:17], v[16:17], v[40:41]
.LBB184_181:                            ;   in Loop: Header=BB184_3 Depth=1
	s_or_b32 exec_lo, exec_lo, s47
	s_delay_alu instid0(SALU_CYCLE_1) | instskip(SKIP_2) | instid1(SALU_CYCLE_1)
	s_mov_b32 s47, exec_lo
	v_readlane_b32 s97, v76, 20
	s_and_b32 s97, s47, s97
	s_mov_b32 exec_lo, s97
	s_cbranch_execz .LBB184_183
; %bb.182:                              ;   in Loop: Header=BB184_3 Depth=1
	ds_load_b128 v[18:21], v57 offset:16160
	ds_load_b128 v[68:71], v56 offset:9216
	s_wait_dscnt 0x0
	v_mul_f64_e32 v[4:5], v[20:21], v[70:71]
	v_mul_f64_e32 v[40:41], v[18:19], v[70:71]
	s_delay_alu instid0(VALU_DEP_2) | instskip(NEXT) | instid1(VALU_DEP_2)
	v_fma_f64 v[4:5], v[18:19], v[68:69], -v[4:5]
	v_fmac_f64_e32 v[40:41], v[20:21], v[68:69]
	s_delay_alu instid0(VALU_DEP_2) | instskip(NEXT) | instid1(VALU_DEP_2)
	v_add_f64_e32 v[14:15], v[14:15], v[4:5]
	v_add_f64_e32 v[16:17], v[16:17], v[40:41]
.LBB184_183:                            ;   in Loop: Header=BB184_3 Depth=1
	s_or_b32 exec_lo, exec_lo, s47
	s_delay_alu instid0(SALU_CYCLE_1) | instskip(SKIP_2) | instid1(SALU_CYCLE_1)
	s_mov_b32 s47, exec_lo
	v_readlane_b32 s97, v76, 21
	s_and_b32 s97, s47, s97
	;; [unrolled: 20-line block ×10, first 2 shown]
	s_mov_b32 exec_lo, s97
	s_cbranch_execnz .LBB184_532
; %bb.200:                              ;   in Loop: Header=BB184_3 Depth=1
	s_or_b32 exec_lo, exec_lo, s47
	s_and_saveexec_b32 s47, s9
	s_cbranch_execnz .LBB184_533
.LBB184_201:                            ;   in Loop: Header=BB184_3 Depth=1
	s_or_b32 exec_lo, exec_lo, s47
	s_and_saveexec_b32 s47, s11
	s_cbranch_execnz .LBB184_534
.LBB184_202:                            ;   in Loop: Header=BB184_3 Depth=1
	s_or_b32 exec_lo, exec_lo, s47
	s_and_saveexec_b32 s47, s13
	s_cbranch_execnz .LBB184_535
.LBB184_203:                            ;   in Loop: Header=BB184_3 Depth=1
	s_or_b32 exec_lo, exec_lo, s47
	s_and_saveexec_b32 s47, s6
	s_cbranch_execz .LBB184_205
.LBB184_204:                            ;   in Loop: Header=BB184_3 Depth=1
	ds_load_b128 v[18:21], v2 offset:16368
	ds_load_b128 v[68:71], v45 offset:15872
	s_wait_dscnt 0x0
	v_mul_f64_e32 v[4:5], v[20:21], v[70:71]
	v_mul_f64_e32 v[40:41], v[18:19], v[70:71]
	s_delay_alu instid0(VALU_DEP_2) | instskip(NEXT) | instid1(VALU_DEP_2)
	v_fma_f64 v[4:5], v[18:19], v[68:69], -v[4:5]
	v_fmac_f64_e32 v[40:41], v[20:21], v[68:69]
	s_delay_alu instid0(VALU_DEP_2) | instskip(NEXT) | instid1(VALU_DEP_2)
	v_add_f64_e32 v[14:15], v[14:15], v[4:5]
	v_add_f64_e32 v[16:17], v[16:17], v[40:41]
.LBB184_205:                            ;   in Loop: Header=BB184_3 Depth=1
	s_or_b32 exec_lo, exec_lo, s47
.LBB184_206:                            ;   in Loop: Header=BB184_3 Depth=1
	s_delay_alu instid0(SALU_CYCLE_1) | instskip(NEXT) | instid1(SALU_CYCLE_1)
	s_or_b32 exec_lo, exec_lo, s46
	s_mov_b32 s46, exec_lo
	v_readlane_b32 s47, v76, 2
	s_and_b32 s47, s46, s47
	s_delay_alu instid0(SALU_CYCLE_1)
	s_mov_b32 exec_lo, s47
	s_cbranch_execz .LBB184_208
; %bb.207:                              ;   in Loop: Header=BB184_3 Depth=1
	ds_load_b128 v[18:21], v2 offset:7920
	s_wait_dscnt 0x0
	v_mul_f64_e32 v[4:5], v[16:17], v[20:21]
	s_delay_alu instid0(VALU_DEP_1) | instskip(SKIP_1) | instid1(VALU_DEP_1)
	v_fma_f64 v[4:5], v[14:15], v[18:19], -v[4:5]
	v_mul_f64_e32 v[40:41], v[14:15], v[20:21]
	v_fmac_f64_e32 v[40:41], v[16:17], v[18:19]
	s_delay_alu instid0(VALU_DEP_1) | instskip(NEXT) | instid1(VALU_DEP_4)
	v_mov_b32_e32 v20, v40
	v_mov_b64_e32 v[14:15], v[4:5]
	s_delay_alu instid0(VALU_DEP_3)
	v_mov_b64_e32 v[16:17], v[40:41]
	v_xor_b32_e32 v19, 0x80000000, v5
	v_xor_b32_e32 v21, 0x80000000, v41
	v_mov_b32_e32 v18, v4
	ds_store_b128 v55, v[18:21]
.LBB184_208:                            ;   in Loop: Header=BB184_3 Depth=1
	s_or_b32 exec_lo, exec_lo, s46
	s_wait_loadcnt_dscnt 0x0
	s_barrier_signal -1
	s_barrier_wait -1
	s_mov_b32 s46, exec_lo
	v_readlane_b32 s47, v76, 3
	s_and_b32 s47, s46, s47
	s_delay_alu instid0(SALU_CYCLE_1)
	s_mov_b32 exec_lo, s47
	s_cbranch_execz .LBB184_210
; %bb.209:                              ;   in Loop: Header=BB184_3 Depth=1
	ds_load_b128 v[18:21], v55
	ds_load_b128 v[68:71], v56 offset:7680
	s_wait_dscnt 0x0
	v_mul_f64_e32 v[4:5], v[20:21], v[70:71]
	v_mul_f64_e32 v[40:41], v[18:19], v[70:71]
	s_delay_alu instid0(VALU_DEP_2) | instskip(NEXT) | instid1(VALU_DEP_2)
	v_fma_f64 v[4:5], v[18:19], v[68:69], -v[4:5]
	v_fmac_f64_e32 v[40:41], v[20:21], v[68:69]
	s_delay_alu instid0(VALU_DEP_2) | instskip(NEXT) | instid1(VALU_DEP_2)
	v_add_f64_e64 v[14:15], v[14:15], -v[4:5]
	v_add_f64_e64 v[16:17], v[16:17], -v[40:41]
.LBB184_210:                            ;   in Loop: Header=BB184_3 Depth=1
	s_or_b32 exec_lo, exec_lo, s46
	s_barrier_signal -1
	s_barrier_wait -1
	s_mov_b32 s46, exec_lo
	v_readlane_b32 s47, v76, 4
	s_and_b32 s47, s46, s47
	s_delay_alu instid0(SALU_CYCLE_1)
	s_mov_b32 exec_lo, s47
	s_cbranch_execz .LBB184_212
; %bb.211:                              ;   in Loop: Header=BB184_3 Depth=1
	ds_load_b128 v[18:21], v2 offset:7392
	s_wait_dscnt 0x0
	v_mul_f64_e32 v[4:5], v[16:17], v[20:21]
	s_delay_alu instid0(VALU_DEP_1) | instskip(SKIP_1) | instid1(VALU_DEP_1)
	v_fma_f64 v[4:5], v[14:15], v[18:19], -v[4:5]
	v_mul_f64_e32 v[40:41], v[14:15], v[20:21]
	v_fmac_f64_e32 v[40:41], v[16:17], v[18:19]
	s_delay_alu instid0(VALU_DEP_1) | instskip(NEXT) | instid1(VALU_DEP_4)
	v_mov_b32_e32 v20, v40
	v_mov_b64_e32 v[14:15], v[4:5]
	s_delay_alu instid0(VALU_DEP_3)
	v_mov_b64_e32 v[16:17], v[40:41]
	v_xor_b32_e32 v19, 0x80000000, v5
	v_xor_b32_e32 v21, 0x80000000, v41
	v_mov_b32_e32 v18, v4
	ds_store_b128 v55, v[18:21]
.LBB184_212:                            ;   in Loop: Header=BB184_3 Depth=1
	s_or_b32 exec_lo, exec_lo, s46
	s_wait_dscnt 0x0
	s_barrier_signal -1
	s_barrier_wait -1
	s_mov_b32 s46, exec_lo
	v_readlane_b32 s47, v76, 5
	s_and_b32 s47, s46, s47
	s_delay_alu instid0(SALU_CYCLE_1)
	s_mov_b32 exec_lo, s47
	s_cbranch_execz .LBB184_214
; %bb.213:                              ;   in Loop: Header=BB184_3 Depth=1
	ds_load_b128 v[18:21], v55
	ds_load_b128 v[68:71], v56 offset:7168
	s_wait_dscnt 0x0
	v_mul_f64_e32 v[4:5], v[20:21], v[70:71]
	v_mul_f64_e32 v[40:41], v[18:19], v[70:71]
	s_delay_alu instid0(VALU_DEP_2) | instskip(NEXT) | instid1(VALU_DEP_2)
	v_fma_f64 v[4:5], v[18:19], v[68:69], -v[4:5]
	v_fmac_f64_e32 v[40:41], v[20:21], v[68:69]
	s_delay_alu instid0(VALU_DEP_2) | instskip(NEXT) | instid1(VALU_DEP_2)
	v_add_f64_e64 v[14:15], v[14:15], -v[4:5]
	v_add_f64_e64 v[16:17], v[16:17], -v[40:41]
.LBB184_214:                            ;   in Loop: Header=BB184_3 Depth=1
	s_or_b32 exec_lo, exec_lo, s46
	s_barrier_signal -1
	s_barrier_wait -1
	s_mov_b32 s46, exec_lo
	v_readlane_b32 s47, v76, 6
	s_and_b32 s47, s46, s47
	s_delay_alu instid0(SALU_CYCLE_1)
	s_mov_b32 exec_lo, s47
	s_cbranch_execz .LBB184_216
; %bb.215:                              ;   in Loop: Header=BB184_3 Depth=1
	ds_load_b128 v[18:21], v2 offset:6864
	s_wait_dscnt 0x0
	v_mul_f64_e32 v[4:5], v[16:17], v[20:21]
	s_delay_alu instid0(VALU_DEP_1) | instskip(SKIP_1) | instid1(VALU_DEP_1)
	v_fma_f64 v[4:5], v[14:15], v[18:19], -v[4:5]
	v_mul_f64_e32 v[40:41], v[14:15], v[20:21]
	v_fmac_f64_e32 v[40:41], v[16:17], v[18:19]
	s_delay_alu instid0(VALU_DEP_1) | instskip(NEXT) | instid1(VALU_DEP_4)
	v_mov_b32_e32 v20, v40
	v_mov_b64_e32 v[14:15], v[4:5]
	s_delay_alu instid0(VALU_DEP_3)
	v_mov_b64_e32 v[16:17], v[40:41]
	v_xor_b32_e32 v19, 0x80000000, v5
	v_xor_b32_e32 v21, 0x80000000, v41
	v_mov_b32_e32 v18, v4
	ds_store_b128 v55, v[18:21]
.LBB184_216:                            ;   in Loop: Header=BB184_3 Depth=1
	s_or_b32 exec_lo, exec_lo, s46
	s_wait_dscnt 0x0
	;; [unrolled: 50-line block ×5, first 2 shown]
	s_barrier_signal -1
	s_barrier_wait -1
	s_mov_b32 s46, exec_lo
	v_readlane_b32 s47, v76, 13
	s_and_b32 s47, s46, s47
	s_delay_alu instid0(SALU_CYCLE_1)
	s_mov_b32 exec_lo, s47
	s_cbranch_execz .LBB184_230
; %bb.229:                              ;   in Loop: Header=BB184_3 Depth=1
	ds_load_b128 v[18:21], v55
	ds_load_b128 v[68:71], v56 offset:5120
	s_wait_dscnt 0x0
	v_mul_f64_e32 v[4:5], v[20:21], v[70:71]
	v_mul_f64_e32 v[40:41], v[18:19], v[70:71]
	s_delay_alu instid0(VALU_DEP_2) | instskip(NEXT) | instid1(VALU_DEP_2)
	v_fma_f64 v[4:5], v[18:19], v[68:69], -v[4:5]
	v_fmac_f64_e32 v[40:41], v[20:21], v[68:69]
	s_delay_alu instid0(VALU_DEP_2) | instskip(NEXT) | instid1(VALU_DEP_2)
	v_add_f64_e64 v[14:15], v[14:15], -v[4:5]
	v_add_f64_e64 v[16:17], v[16:17], -v[40:41]
.LBB184_230:                            ;   in Loop: Header=BB184_3 Depth=1
	s_or_b32 exec_lo, exec_lo, s46
	s_barrier_signal -1
	s_barrier_wait -1
	s_and_saveexec_b32 s46, s103
	s_cbranch_execz .LBB184_232
; %bb.231:                              ;   in Loop: Header=BB184_3 Depth=1
	ds_load_b128 v[18:21], v2 offset:4752
	s_wait_dscnt 0x0
	v_mul_f64_e32 v[4:5], v[16:17], v[20:21]
	s_delay_alu instid0(VALU_DEP_1) | instskip(SKIP_1) | instid1(VALU_DEP_1)
	v_fma_f64 v[4:5], v[14:15], v[18:19], -v[4:5]
	v_mul_f64_e32 v[40:41], v[14:15], v[20:21]
	v_fmac_f64_e32 v[40:41], v[16:17], v[18:19]
	s_delay_alu instid0(VALU_DEP_1) | instskip(NEXT) | instid1(VALU_DEP_4)
	v_mov_b32_e32 v20, v40
	v_mov_b64_e32 v[14:15], v[4:5]
	s_delay_alu instid0(VALU_DEP_3)
	v_mov_b64_e32 v[16:17], v[40:41]
	v_xor_b32_e32 v19, 0x80000000, v5
	v_xor_b32_e32 v21, 0x80000000, v41
	v_mov_b32_e32 v18, v4
	ds_store_b128 v55, v[18:21]
.LBB184_232:                            ;   in Loop: Header=BB184_3 Depth=1
	s_or_b32 exec_lo, exec_lo, s46
	s_wait_dscnt 0x0
	s_barrier_signal -1
	s_barrier_wait -1
	s_and_saveexec_b32 s46, s104
	s_cbranch_execz .LBB184_234
; %bb.233:                              ;   in Loop: Header=BB184_3 Depth=1
	ds_load_b128 v[18:21], v55
	ds_load_b128 v[68:71], v56 offset:4608
	s_wait_dscnt 0x0
	v_mul_f64_e32 v[4:5], v[20:21], v[70:71]
	v_mul_f64_e32 v[40:41], v[18:19], v[70:71]
	s_delay_alu instid0(VALU_DEP_2) | instskip(NEXT) | instid1(VALU_DEP_2)
	v_fma_f64 v[4:5], v[18:19], v[68:69], -v[4:5]
	v_fmac_f64_e32 v[40:41], v[20:21], v[68:69]
	s_delay_alu instid0(VALU_DEP_2) | instskip(NEXT) | instid1(VALU_DEP_2)
	v_add_f64_e64 v[14:15], v[14:15], -v[4:5]
	v_add_f64_e64 v[16:17], v[16:17], -v[40:41]
.LBB184_234:                            ;   in Loop: Header=BB184_3 Depth=1
	s_or_b32 exec_lo, exec_lo, s46
	s_barrier_signal -1
	s_barrier_wait -1
	s_and_saveexec_b32 s46, vcc_hi
	s_cbranch_execz .LBB184_236
; %bb.235:                              ;   in Loop: Header=BB184_3 Depth=1
	ds_load_b128 v[18:21], v2 offset:4224
	s_wait_dscnt 0x0
	v_mul_f64_e32 v[4:5], v[16:17], v[20:21]
	s_delay_alu instid0(VALU_DEP_1) | instskip(SKIP_1) | instid1(VALU_DEP_1)
	v_fma_f64 v[4:5], v[14:15], v[18:19], -v[4:5]
	v_mul_f64_e32 v[40:41], v[14:15], v[20:21]
	v_fmac_f64_e32 v[40:41], v[16:17], v[18:19]
	s_delay_alu instid0(VALU_DEP_1) | instskip(NEXT) | instid1(VALU_DEP_4)
	v_mov_b32_e32 v20, v40
	v_mov_b64_e32 v[14:15], v[4:5]
	s_delay_alu instid0(VALU_DEP_3)
	v_mov_b64_e32 v[16:17], v[40:41]
	v_xor_b32_e32 v19, 0x80000000, v5
	v_xor_b32_e32 v21, 0x80000000, v41
	v_mov_b32_e32 v18, v4
	ds_store_b128 v55, v[18:21]
.LBB184_236:                            ;   in Loop: Header=BB184_3 Depth=1
	s_or_b32 exec_lo, exec_lo, s46
	s_wait_dscnt 0x0
	s_barrier_signal -1
	s_barrier_wait -1
	s_and_saveexec_b32 s46, s24
	s_cbranch_execz .LBB184_238
; %bb.237:                              ;   in Loop: Header=BB184_3 Depth=1
	ds_load_b128 v[18:21], v55
	ds_load_b128 v[68:71], v56 offset:4096
	s_wait_dscnt 0x0
	v_mul_f64_e32 v[4:5], v[20:21], v[70:71]
	v_mul_f64_e32 v[40:41], v[18:19], v[70:71]
	s_delay_alu instid0(VALU_DEP_2) | instskip(NEXT) | instid1(VALU_DEP_2)
	v_fma_f64 v[4:5], v[18:19], v[68:69], -v[4:5]
	v_fmac_f64_e32 v[40:41], v[20:21], v[68:69]
	s_delay_alu instid0(VALU_DEP_2) | instskip(NEXT) | instid1(VALU_DEP_2)
	v_add_f64_e64 v[14:15], v[14:15], -v[4:5]
	v_add_f64_e64 v[16:17], v[16:17], -v[40:41]
.LBB184_238:                            ;   in Loop: Header=BB184_3 Depth=1
	s_or_b32 exec_lo, exec_lo, s46
	s_barrier_signal -1
	s_barrier_wait -1
	s_and_saveexec_b32 s46, s25
	s_cbranch_execz .LBB184_240
; %bb.239:                              ;   in Loop: Header=BB184_3 Depth=1
	ds_load_b128 v[18:21], v2 offset:3696
	s_wait_dscnt 0x0
	v_mul_f64_e32 v[4:5], v[16:17], v[20:21]
	s_delay_alu instid0(VALU_DEP_1) | instskip(SKIP_1) | instid1(VALU_DEP_1)
	v_fma_f64 v[4:5], v[14:15], v[18:19], -v[4:5]
	v_mul_f64_e32 v[40:41], v[14:15], v[20:21]
	v_fmac_f64_e32 v[40:41], v[16:17], v[18:19]
	s_delay_alu instid0(VALU_DEP_1) | instskip(NEXT) | instid1(VALU_DEP_4)
	v_mov_b32_e32 v20, v40
	v_mov_b64_e32 v[14:15], v[4:5]
	s_delay_alu instid0(VALU_DEP_3)
	v_mov_b64_e32 v[16:17], v[40:41]
	v_xor_b32_e32 v19, 0x80000000, v5
	v_xor_b32_e32 v21, 0x80000000, v41
	v_mov_b32_e32 v18, v4
	ds_store_b128 v55, v[18:21]
.LBB184_240:                            ;   in Loop: Header=BB184_3 Depth=1
	s_or_b32 exec_lo, exec_lo, s46
	s_wait_dscnt 0x0
	s_barrier_signal -1
	s_barrier_wait -1
	s_and_saveexec_b32 s46, s26
	s_cbranch_execz .LBB184_242
; %bb.241:                              ;   in Loop: Header=BB184_3 Depth=1
	ds_load_b128 v[18:21], v55
	ds_load_b128 v[68:71], v56 offset:3584
	s_wait_dscnt 0x0
	v_mul_f64_e32 v[4:5], v[20:21], v[70:71]
	v_mul_f64_e32 v[40:41], v[18:19], v[70:71]
	s_delay_alu instid0(VALU_DEP_2) | instskip(NEXT) | instid1(VALU_DEP_2)
	v_fma_f64 v[4:5], v[18:19], v[68:69], -v[4:5]
	v_fmac_f64_e32 v[40:41], v[20:21], v[68:69]
	s_delay_alu instid0(VALU_DEP_2) | instskip(NEXT) | instid1(VALU_DEP_2)
	v_add_f64_e64 v[14:15], v[14:15], -v[4:5]
	v_add_f64_e64 v[16:17], v[16:17], -v[40:41]
.LBB184_242:                            ;   in Loop: Header=BB184_3 Depth=1
	s_or_b32 exec_lo, exec_lo, s46
	s_barrier_signal -1
	s_barrier_wait -1
	s_and_saveexec_b32 s46, s27
	;; [unrolled: 42-line block ×8, first 2 shown]
	s_cbranch_execz .LBB184_268
; %bb.267:                              ;   in Loop: Header=BB184_3 Depth=1
	ds_load_b128 v[18:21], v2
	s_wait_dscnt 0x0
	v_mul_f64_e32 v[4:5], v[16:17], v[20:21]
	s_delay_alu instid0(VALU_DEP_1) | instskip(SKIP_1) | instid1(VALU_DEP_1)
	v_fma_f64 v[4:5], v[14:15], v[18:19], -v[4:5]
	v_mul_f64_e32 v[40:41], v[14:15], v[20:21]
	v_fmac_f64_e32 v[40:41], v[16:17], v[18:19]
	s_delay_alu instid0(VALU_DEP_1) | instskip(NEXT) | instid1(VALU_DEP_4)
	v_mov_b32_e32 v20, v40
	v_mov_b64_e32 v[14:15], v[4:5]
	s_delay_alu instid0(VALU_DEP_3)
	v_mov_b64_e32 v[16:17], v[40:41]
	v_xor_b32_e32 v19, 0x80000000, v5
	v_xor_b32_e32 v21, 0x80000000, v41
	v_mov_b32_e32 v18, v4
	ds_store_b128 v55, v[18:21]
.LBB184_268:                            ;   in Loop: Header=BB184_3 Depth=1
	s_or_b32 exec_lo, exec_lo, s46
	s_wait_dscnt 0x0
	s_barrier_signal -1
	s_barrier_wait -1
	s_barrier_signal -1
	s_barrier_wait -1
	s_and_saveexec_b32 s46, s14
; %bb.269:                              ;   in Loop: Header=BB184_3 Depth=1
	ds_store_b128 v58, v[14:17] offset:15872
; %bb.270:                              ;   in Loop: Header=BB184_3 Depth=1
	s_or_b32 exec_lo, exec_lo, s46
	s_wait_dscnt 0x0
	s_barrier_signal -1
	s_barrier_wait -1
	s_barrier_signal -1
	s_barrier_wait -1
	s_and_saveexec_b32 s46, s3
	s_cbranch_execz .LBB184_272
; %bb.271:                              ;   in Loop: Header=BB184_3 Depth=1
	ds_load_b128 v[14:17], v2 offset:7920
	ds_load_b128 v[18:21], v2 offset:7392
	;; [unrolled: 1-line block ×3, first 2 shown]
	s_wait_dscnt 0x1
	v_mul_f64_e32 v[4:5], v[14:15], v[20:21]
	v_mul_f64_e32 v[20:21], v[16:17], v[20:21]
	s_delay_alu instid0(VALU_DEP_2) | instskip(NEXT) | instid1(VALU_DEP_2)
	v_fmac_f64_e32 v[4:5], v[16:17], v[18:19]
	v_fma_f64 v[14:15], v[14:15], v[18:19], -v[20:21]
	s_wait_dscnt 0x0
	s_delay_alu instid0(VALU_DEP_2) | instskip(NEXT) | instid1(VALU_DEP_2)
	v_mul_f64_e32 v[18:19], v[4:5], v[70:71]
	v_mul_f64_e32 v[16:17], v[14:15], v[70:71]
	s_delay_alu instid0(VALU_DEP_2) | instskip(NEXT) | instid1(VALU_DEP_2)
	v_fma_f64 v[14:15], v[68:69], v[14:15], -v[18:19]
	v_fmac_f64_e32 v[16:17], v[68:69], v[4:5]
	ds_store_b128 v2, v[14:17] offset:7904
.LBB184_272:                            ;   in Loop: Header=BB184_3 Depth=1
	s_or_b32 exec_lo, exec_lo, s46
	v_mov_b64_e32 v[14:15], 0
	v_mov_b64_e32 v[16:17], 0
	s_wait_dscnt 0x0
	s_barrier_signal -1
	s_barrier_wait -1
	global_wb scope:SCOPE_DEV
	s_wait_storecnt 0x0
	global_inv scope:SCOPE_DEV
	s_and_saveexec_b32 s46, s4
	s_cbranch_execz .LBB184_276
; %bb.273:                              ;   in Loop: Header=BB184_3 Depth=1
	ds_load_b128 v[14:17], v44 offset:7904
	ds_load_b128 v[18:21], v43 offset:7360
	s_wait_dscnt 0x0
	v_mul_f64_e32 v[4:5], v[16:17], v[20:21]
	v_mul_f64_e32 v[20:21], v[14:15], v[20:21]
	s_delay_alu instid0(VALU_DEP_2) | instskip(NEXT) | instid1(VALU_DEP_2)
	v_fma_f64 v[4:5], v[14:15], v[18:19], -v[4:5]
	v_fmac_f64_e32 v[20:21], v[16:17], v[18:19]
	s_delay_alu instid0(VALU_DEP_2) | instskip(NEXT) | instid1(VALU_DEP_2)
	v_add_f64_e32 v[14:15], 0, v[4:5]
	v_add_f64_e32 v[16:17], 0, v[20:21]
	s_and_saveexec_b32 s47, s5
	s_cbranch_execz .LBB184_275
; %bb.274:                              ;   in Loop: Header=BB184_3 Depth=1
	ds_load_b128 v[18:21], v2 offset:7920
	ds_load_b128 v[68:71], v45 offset:7872
	s_wait_dscnt 0x0
	v_mul_f64_e32 v[4:5], v[20:21], v[70:71]
	v_mul_f64_e32 v[40:41], v[18:19], v[70:71]
	s_delay_alu instid0(VALU_DEP_2) | instskip(NEXT) | instid1(VALU_DEP_2)
	v_fma_f64 v[4:5], v[18:19], v[68:69], -v[4:5]
	v_fmac_f64_e32 v[40:41], v[20:21], v[68:69]
	s_delay_alu instid0(VALU_DEP_2) | instskip(NEXT) | instid1(VALU_DEP_2)
	v_add_f64_e32 v[14:15], v[14:15], v[4:5]
	v_add_f64_e32 v[16:17], v[16:17], v[40:41]
.LBB184_275:                            ;   in Loop: Header=BB184_3 Depth=1
	s_or_b32 exec_lo, exec_lo, s47
.LBB184_276:                            ;   in Loop: Header=BB184_3 Depth=1
	s_delay_alu instid0(SALU_CYCLE_1)
	s_or_b32 exec_lo, exec_lo, s46
	s_and_saveexec_b32 s46, s69
	s_cbranch_execz .LBB184_278
; %bb.277:                              ;   in Loop: Header=BB184_3 Depth=1
	ds_load_b128 v[18:21], v2 offset:6864
	s_wait_dscnt 0x0
	v_mul_f64_e32 v[4:5], v[16:17], v[20:21]
	s_delay_alu instid0(VALU_DEP_1) | instskip(SKIP_1) | instid1(VALU_DEP_1)
	v_fma_f64 v[4:5], v[14:15], v[18:19], -v[4:5]
	v_mul_f64_e32 v[40:41], v[14:15], v[20:21]
	v_fmac_f64_e32 v[40:41], v[16:17], v[18:19]
	s_delay_alu instid0(VALU_DEP_1) | instskip(NEXT) | instid1(VALU_DEP_4)
	v_mov_b32_e32 v20, v40
	v_mov_b64_e32 v[14:15], v[4:5]
	s_delay_alu instid0(VALU_DEP_3)
	v_mov_b64_e32 v[16:17], v[40:41]
	v_xor_b32_e32 v19, 0x80000000, v5
	v_xor_b32_e32 v21, 0x80000000, v41
	v_mov_b32_e32 v18, v4
	ds_store_b128 v23, v[18:21]
.LBB184_278:                            ;   in Loop: Header=BB184_3 Depth=1
	s_or_b32 exec_lo, exec_lo, s46
	s_wait_loadcnt_dscnt 0x0
	s_barrier_signal -1
	s_barrier_wait -1
	s_and_saveexec_b32 s46, s70
	s_cbranch_execz .LBB184_280
; %bb.279:                              ;   in Loop: Header=BB184_3 Depth=1
	ds_load_b128 v[18:21], v23
	ds_load_b128 v[68:71], v2 offset:6848
	s_wait_dscnt 0x0
	v_mul_f64_e32 v[4:5], v[20:21], v[70:71]
	v_mul_f64_e32 v[40:41], v[18:19], v[70:71]
	s_delay_alu instid0(VALU_DEP_2) | instskip(NEXT) | instid1(VALU_DEP_2)
	v_fma_f64 v[4:5], v[18:19], v[68:69], -v[4:5]
	v_fmac_f64_e32 v[40:41], v[20:21], v[68:69]
	s_delay_alu instid0(VALU_DEP_2) | instskip(NEXT) | instid1(VALU_DEP_2)
	v_add_f64_e64 v[14:15], v[14:15], -v[4:5]
	v_add_f64_e64 v[16:17], v[16:17], -v[40:41]
.LBB184_280:                            ;   in Loop: Header=BB184_3 Depth=1
	s_or_b32 exec_lo, exec_lo, s46
	s_barrier_signal -1
	s_barrier_wait -1
	s_and_saveexec_b32 s46, s70
	s_cbranch_execz .LBB184_282
; %bb.281:                              ;   in Loop: Header=BB184_3 Depth=1
	ds_load_b128 v[18:21], v2 offset:6336
	s_wait_dscnt 0x0
	v_mul_f64_e32 v[4:5], v[16:17], v[20:21]
	s_delay_alu instid0(VALU_DEP_1) | instskip(SKIP_1) | instid1(VALU_DEP_1)
	v_fma_f64 v[4:5], v[14:15], v[18:19], -v[4:5]
	v_mul_f64_e32 v[40:41], v[14:15], v[20:21]
	v_fmac_f64_e32 v[40:41], v[16:17], v[18:19]
	s_delay_alu instid0(VALU_DEP_1) | instskip(NEXT) | instid1(VALU_DEP_4)
	v_mov_b32_e32 v20, v40
	v_mov_b64_e32 v[14:15], v[4:5]
	s_delay_alu instid0(VALU_DEP_3)
	v_mov_b64_e32 v[16:17], v[40:41]
	v_xor_b32_e32 v19, 0x80000000, v5
	v_xor_b32_e32 v21, 0x80000000, v41
	v_mov_b32_e32 v18, v4
	ds_store_b128 v23, v[18:21]
.LBB184_282:                            ;   in Loop: Header=BB184_3 Depth=1
	s_or_b32 exec_lo, exec_lo, s46
	s_wait_dscnt 0x0
	s_barrier_signal -1
	s_barrier_wait -1
	s_barrier_signal -1
	s_barrier_wait -1
	s_and_saveexec_b32 s46, s4
; %bb.283:                              ;   in Loop: Header=BB184_3 Depth=1
	ds_store_b128 v46, v[14:17] offset:7872
; %bb.284:                              ;   in Loop: Header=BB184_3 Depth=1
	s_or_b32 exec_lo, exec_lo, s46
	s_wait_dscnt 0x0
	s_barrier_signal -1
	s_barrier_wait -1
	s_barrier_signal -1
	s_barrier_wait -1
	s_and_saveexec_b32 s46, s3
	s_cbranch_execz .LBB184_286
; %bb.285:                              ;   in Loop: Header=BB184_3 Depth=1
	ds_load_b128 v[14:17], v2 offset:6864
	ds_load_b128 v[18:21], v2 offset:6336
	;; [unrolled: 1-line block ×3, first 2 shown]
	s_wait_dscnt 0x1
	v_mul_f64_e32 v[4:5], v[14:15], v[20:21]
	v_mul_f64_e32 v[20:21], v[16:17], v[20:21]
	s_delay_alu instid0(VALU_DEP_2) | instskip(NEXT) | instid1(VALU_DEP_2)
	v_fmac_f64_e32 v[4:5], v[16:17], v[18:19]
	v_fma_f64 v[14:15], v[14:15], v[18:19], -v[20:21]
	s_wait_dscnt 0x0
	s_delay_alu instid0(VALU_DEP_2) | instskip(NEXT) | instid1(VALU_DEP_2)
	v_mul_f64_e32 v[18:19], v[4:5], v[70:71]
	v_mul_f64_e32 v[16:17], v[14:15], v[70:71]
	s_delay_alu instid0(VALU_DEP_2) | instskip(NEXT) | instid1(VALU_DEP_2)
	v_fma_f64 v[14:15], v[68:69], v[14:15], -v[18:19]
	v_fmac_f64_e32 v[16:17], v[68:69], v[4:5]
	ds_store_b128 v2, v[14:17] offset:6848
.LBB184_286:                            ;   in Loop: Header=BB184_3 Depth=1
	s_or_b32 exec_lo, exec_lo, s46
	v_mov_b64_e32 v[16:17], 0
	v_mov_b64_e32 v[14:15], 0
	s_wait_dscnt 0x0
	s_barrier_signal -1
	s_barrier_wait -1
	global_wb scope:SCOPE_DEV
	s_wait_storecnt 0x0
	global_inv scope:SCOPE_DEV
	s_and_saveexec_b32 s46, s6
	s_cbranch_execz .LBB184_292
; %bb.287:                              ;   in Loop: Header=BB184_3 Depth=1
	ds_load_b128 v[14:17], v49 offset:7872
	ds_load_b128 v[18:21], v48 offset:6272
	s_wait_dscnt 0x0
	v_mul_f64_e32 v[4:5], v[16:17], v[20:21]
	v_mul_f64_e32 v[20:21], v[14:15], v[20:21]
	s_delay_alu instid0(VALU_DEP_2) | instskip(NEXT) | instid1(VALU_DEP_2)
	v_fma_f64 v[4:5], v[14:15], v[18:19], -v[4:5]
	v_fmac_f64_e32 v[20:21], v[16:17], v[18:19]
	s_delay_alu instid0(VALU_DEP_2) | instskip(NEXT) | instid1(VALU_DEP_2)
	v_add_f64_e32 v[14:15], 0, v[4:5]
	v_add_f64_e32 v[16:17], 0, v[20:21]
	s_and_saveexec_b32 s47, s7
	s_cbranch_execnz .LBB184_536
; %bb.288:                              ;   in Loop: Header=BB184_3 Depth=1
	s_or_b32 exec_lo, exec_lo, s47
	s_and_saveexec_b32 s47, s8
	s_cbranch_execnz .LBB184_537
.LBB184_289:                            ;   in Loop: Header=BB184_3 Depth=1
	s_or_b32 exec_lo, exec_lo, s47
	s_and_saveexec_b32 s47, s4
	s_cbranch_execz .LBB184_291
.LBB184_290:                            ;   in Loop: Header=BB184_3 Depth=1
	ds_load_b128 v[18:21], v2 offset:7920
	ds_load_b128 v[68:71], v45 offset:7808
	s_wait_dscnt 0x0
	v_mul_f64_e32 v[4:5], v[20:21], v[70:71]
	v_mul_f64_e32 v[40:41], v[18:19], v[70:71]
	s_delay_alu instid0(VALU_DEP_2) | instskip(NEXT) | instid1(VALU_DEP_2)
	v_fma_f64 v[4:5], v[18:19], v[68:69], -v[4:5]
	v_fmac_f64_e32 v[40:41], v[20:21], v[68:69]
	s_delay_alu instid0(VALU_DEP_2) | instskip(NEXT) | instid1(VALU_DEP_2)
	v_add_f64_e32 v[14:15], v[14:15], v[4:5]
	v_add_f64_e32 v[16:17], v[16:17], v[40:41]
.LBB184_291:                            ;   in Loop: Header=BB184_3 Depth=1
	s_or_b32 exec_lo, exec_lo, s47
.LBB184_292:                            ;   in Loop: Header=BB184_3 Depth=1
	s_delay_alu instid0(SALU_CYCLE_1)
	s_or_b32 exec_lo, exec_lo, s46
	s_and_saveexec_b32 s46, s71
	s_cbranch_execz .LBB184_294
; %bb.293:                              ;   in Loop: Header=BB184_3 Depth=1
	ds_load_b128 v[18:21], v2 offset:5808
	s_wait_dscnt 0x0
	v_mul_f64_e32 v[4:5], v[16:17], v[20:21]
	s_delay_alu instid0(VALU_DEP_1) | instskip(SKIP_1) | instid1(VALU_DEP_1)
	v_fma_f64 v[4:5], v[14:15], v[18:19], -v[4:5]
	v_mul_f64_e32 v[40:41], v[14:15], v[20:21]
	v_fmac_f64_e32 v[40:41], v[16:17], v[18:19]
	s_delay_alu instid0(VALU_DEP_1) | instskip(NEXT) | instid1(VALU_DEP_4)
	v_mov_b32_e32 v20, v40
	v_mov_b64_e32 v[14:15], v[4:5]
	s_delay_alu instid0(VALU_DEP_3)
	v_mov_b64_e32 v[16:17], v[40:41]
	v_xor_b32_e32 v19, 0x80000000, v5
	v_xor_b32_e32 v21, 0x80000000, v41
	v_mov_b32_e32 v18, v4
	ds_store_b128 v47, v[18:21]
.LBB184_294:                            ;   in Loop: Header=BB184_3 Depth=1
	s_or_b32 exec_lo, exec_lo, s46
	s_wait_loadcnt_dscnt 0x0
	s_barrier_signal -1
	s_barrier_wait -1
	s_and_saveexec_b32 s46, s72
	s_cbranch_execz .LBB184_296
; %bb.295:                              ;   in Loop: Header=BB184_3 Depth=1
	ds_load_b128 v[18:21], v47
	ds_load_b128 v[68:71], v48 offset:5760
	s_wait_dscnt 0x0
	v_mul_f64_e32 v[4:5], v[20:21], v[70:71]
	v_mul_f64_e32 v[40:41], v[18:19], v[70:71]
	s_delay_alu instid0(VALU_DEP_2) | instskip(NEXT) | instid1(VALU_DEP_2)
	v_fma_f64 v[4:5], v[18:19], v[68:69], -v[4:5]
	v_fmac_f64_e32 v[40:41], v[20:21], v[68:69]
	s_delay_alu instid0(VALU_DEP_2) | instskip(NEXT) | instid1(VALU_DEP_2)
	v_add_f64_e64 v[14:15], v[14:15], -v[4:5]
	v_add_f64_e64 v[16:17], v[16:17], -v[40:41]
.LBB184_296:                            ;   in Loop: Header=BB184_3 Depth=1
	s_or_b32 exec_lo, exec_lo, s46
	s_barrier_signal -1
	s_barrier_wait -1
	s_and_saveexec_b32 s46, s73
	s_cbranch_execz .LBB184_298
; %bb.297:                              ;   in Loop: Header=BB184_3 Depth=1
	ds_load_b128 v[18:21], v2 offset:5280
	s_wait_dscnt 0x0
	v_mul_f64_e32 v[4:5], v[16:17], v[20:21]
	s_delay_alu instid0(VALU_DEP_1) | instskip(SKIP_1) | instid1(VALU_DEP_1)
	v_fma_f64 v[4:5], v[14:15], v[18:19], -v[4:5]
	v_mul_f64_e32 v[40:41], v[14:15], v[20:21]
	v_fmac_f64_e32 v[40:41], v[16:17], v[18:19]
	s_delay_alu instid0(VALU_DEP_1) | instskip(NEXT) | instid1(VALU_DEP_4)
	v_mov_b32_e32 v20, v40
	v_mov_b64_e32 v[14:15], v[4:5]
	s_delay_alu instid0(VALU_DEP_3)
	v_mov_b64_e32 v[16:17], v[40:41]
	v_xor_b32_e32 v19, 0x80000000, v5
	v_xor_b32_e32 v21, 0x80000000, v41
	v_mov_b32_e32 v18, v4
	ds_store_b128 v47, v[18:21]
.LBB184_298:                            ;   in Loop: Header=BB184_3 Depth=1
	s_or_b32 exec_lo, exec_lo, s46
	s_wait_dscnt 0x0
	s_barrier_signal -1
	s_barrier_wait -1
	s_and_saveexec_b32 s46, s74
	s_cbranch_execz .LBB184_300
; %bb.299:                              ;   in Loop: Header=BB184_3 Depth=1
	ds_load_b128 v[18:21], v47
	ds_load_b128 v[68:71], v48 offset:5248
	s_wait_dscnt 0x0
	v_mul_f64_e32 v[4:5], v[20:21], v[70:71]
	v_mul_f64_e32 v[40:41], v[18:19], v[70:71]
	s_delay_alu instid0(VALU_DEP_2) | instskip(NEXT) | instid1(VALU_DEP_2)
	v_fma_f64 v[4:5], v[18:19], v[68:69], -v[4:5]
	v_fmac_f64_e32 v[40:41], v[20:21], v[68:69]
	s_delay_alu instid0(VALU_DEP_2) | instskip(NEXT) | instid1(VALU_DEP_2)
	v_add_f64_e64 v[14:15], v[14:15], -v[4:5]
	v_add_f64_e64 v[16:17], v[16:17], -v[40:41]
.LBB184_300:                            ;   in Loop: Header=BB184_3 Depth=1
	s_or_b32 exec_lo, exec_lo, s46
	s_barrier_signal -1
	s_barrier_wait -1
	s_and_saveexec_b32 s46, s75
	s_cbranch_execz .LBB184_302
; %bb.301:                              ;   in Loop: Header=BB184_3 Depth=1
	ds_load_b128 v[18:21], v2 offset:4752
	s_wait_dscnt 0x0
	v_mul_f64_e32 v[4:5], v[16:17], v[20:21]
	s_delay_alu instid0(VALU_DEP_1) | instskip(SKIP_1) | instid1(VALU_DEP_1)
	v_fma_f64 v[4:5], v[14:15], v[18:19], -v[4:5]
	v_mul_f64_e32 v[40:41], v[14:15], v[20:21]
	v_fmac_f64_e32 v[40:41], v[16:17], v[18:19]
	s_delay_alu instid0(VALU_DEP_1) | instskip(NEXT) | instid1(VALU_DEP_4)
	v_mov_b32_e32 v20, v40
	v_mov_b64_e32 v[14:15], v[4:5]
	s_delay_alu instid0(VALU_DEP_3)
	v_mov_b64_e32 v[16:17], v[40:41]
	v_xor_b32_e32 v19, 0x80000000, v5
	v_xor_b32_e32 v21, 0x80000000, v41
	v_mov_b32_e32 v18, v4
	ds_store_b128 v47, v[18:21]
.LBB184_302:                            ;   in Loop: Header=BB184_3 Depth=1
	s_or_b32 exec_lo, exec_lo, s46
	s_wait_dscnt 0x0
	;; [unrolled: 42-line block ×3, first 2 shown]
	s_barrier_signal -1
	s_barrier_wait -1
	s_barrier_signal -1
	s_barrier_wait -1
	s_and_saveexec_b32 s46, s6
; %bb.307:                              ;   in Loop: Header=BB184_3 Depth=1
	ds_store_b128 v50, v[14:17] offset:7808
; %bb.308:                              ;   in Loop: Header=BB184_3 Depth=1
	s_or_b32 exec_lo, exec_lo, s46
	s_wait_dscnt 0x0
	s_barrier_signal -1
	s_barrier_wait -1
	s_barrier_signal -1
	s_barrier_wait -1
	s_and_saveexec_b32 s46, s3
	s_cbranch_execz .LBB184_310
; %bb.309:                              ;   in Loop: Header=BB184_3 Depth=1
	ds_load_b128 v[14:17], v2 offset:5808
	ds_load_b128 v[18:21], v2 offset:5280
	;; [unrolled: 1-line block ×3, first 2 shown]
	s_wait_dscnt 0x1
	v_mul_f64_e32 v[4:5], v[14:15], v[20:21]
	v_mul_f64_e32 v[20:21], v[16:17], v[20:21]
	s_delay_alu instid0(VALU_DEP_2) | instskip(NEXT) | instid1(VALU_DEP_2)
	v_fmac_f64_e32 v[4:5], v[16:17], v[18:19]
	v_fma_f64 v[14:15], v[14:15], v[18:19], -v[20:21]
	s_wait_dscnt 0x0
	s_delay_alu instid0(VALU_DEP_2) | instskip(NEXT) | instid1(VALU_DEP_2)
	v_mul_f64_e32 v[18:19], v[4:5], v[70:71]
	v_mul_f64_e32 v[16:17], v[14:15], v[70:71]
	s_delay_alu instid0(VALU_DEP_2) | instskip(NEXT) | instid1(VALU_DEP_2)
	v_fma_f64 v[14:15], v[68:69], v[14:15], -v[18:19]
	v_fmac_f64_e32 v[16:17], v[68:69], v[4:5]
	ds_store_b128 v2, v[14:17] offset:5792
.LBB184_310:                            ;   in Loop: Header=BB184_3 Depth=1
	s_or_b32 exec_lo, exec_lo, s46
	v_mov_b64_e32 v[14:15], 0
	v_mov_b64_e32 v[16:17], 0
	s_wait_dscnt 0x0
	s_barrier_signal -1
	s_barrier_wait -1
	global_wb scope:SCOPE_DEV
	s_wait_storecnt 0x0
	global_inv scope:SCOPE_DEV
	s_and_saveexec_b32 s46, s4
	s_cbranch_execz .LBB184_314
; %bb.311:                              ;   in Loop: Header=BB184_3 Depth=1
	ds_load_b128 v[14:17], v44 offset:5792
	ds_load_b128 v[18:21], v43 offset:5248
	s_wait_dscnt 0x0
	v_mul_f64_e32 v[4:5], v[16:17], v[20:21]
	v_mul_f64_e32 v[20:21], v[14:15], v[20:21]
	s_delay_alu instid0(VALU_DEP_2) | instskip(NEXT) | instid1(VALU_DEP_2)
	v_fma_f64 v[4:5], v[14:15], v[18:19], -v[4:5]
	v_fmac_f64_e32 v[20:21], v[16:17], v[18:19]
	s_delay_alu instid0(VALU_DEP_2) | instskip(NEXT) | instid1(VALU_DEP_2)
	v_add_f64_e32 v[14:15], 0, v[4:5]
	v_add_f64_e32 v[16:17], 0, v[20:21]
	s_and_saveexec_b32 s47, s5
	s_cbranch_execz .LBB184_313
; %bb.312:                              ;   in Loop: Header=BB184_3 Depth=1
	ds_load_b128 v[18:21], v2 offset:5808
	ds_load_b128 v[68:71], v45 offset:5760
	s_wait_dscnt 0x0
	v_mul_f64_e32 v[4:5], v[20:21], v[70:71]
	v_mul_f64_e32 v[40:41], v[18:19], v[70:71]
	s_delay_alu instid0(VALU_DEP_2) | instskip(NEXT) | instid1(VALU_DEP_2)
	v_fma_f64 v[4:5], v[18:19], v[68:69], -v[4:5]
	v_fmac_f64_e32 v[40:41], v[20:21], v[68:69]
	s_delay_alu instid0(VALU_DEP_2) | instskip(NEXT) | instid1(VALU_DEP_2)
	v_add_f64_e32 v[14:15], v[14:15], v[4:5]
	v_add_f64_e32 v[16:17], v[16:17], v[40:41]
.LBB184_313:                            ;   in Loop: Header=BB184_3 Depth=1
	s_or_b32 exec_lo, exec_lo, s47
.LBB184_314:                            ;   in Loop: Header=BB184_3 Depth=1
	s_delay_alu instid0(SALU_CYCLE_1)
	s_or_b32 exec_lo, exec_lo, s46
	s_and_saveexec_b32 s46, s69
	s_cbranch_execz .LBB184_316
; %bb.315:                              ;   in Loop: Header=BB184_3 Depth=1
	ds_load_b128 v[18:21], v2 offset:4752
	s_wait_dscnt 0x0
	v_mul_f64_e32 v[4:5], v[16:17], v[20:21]
	s_delay_alu instid0(VALU_DEP_1) | instskip(SKIP_1) | instid1(VALU_DEP_1)
	v_fma_f64 v[4:5], v[14:15], v[18:19], -v[4:5]
	v_mul_f64_e32 v[40:41], v[14:15], v[20:21]
	v_fmac_f64_e32 v[40:41], v[16:17], v[18:19]
	s_delay_alu instid0(VALU_DEP_1) | instskip(NEXT) | instid1(VALU_DEP_4)
	v_mov_b32_e32 v20, v40
	v_mov_b64_e32 v[14:15], v[4:5]
	s_delay_alu instid0(VALU_DEP_3)
	v_mov_b64_e32 v[16:17], v[40:41]
	v_xor_b32_e32 v19, 0x80000000, v5
	v_xor_b32_e32 v21, 0x80000000, v41
	v_mov_b32_e32 v18, v4
	ds_store_b128 v23, v[18:21]
.LBB184_316:                            ;   in Loop: Header=BB184_3 Depth=1
	s_or_b32 exec_lo, exec_lo, s46
	s_wait_loadcnt_dscnt 0x0
	s_barrier_signal -1
	s_barrier_wait -1
	s_and_saveexec_b32 s46, s70
	s_cbranch_execz .LBB184_318
; %bb.317:                              ;   in Loop: Header=BB184_3 Depth=1
	ds_load_b128 v[18:21], v23
	ds_load_b128 v[68:71], v2 offset:4736
	s_wait_dscnt 0x0
	v_mul_f64_e32 v[4:5], v[20:21], v[70:71]
	v_mul_f64_e32 v[40:41], v[18:19], v[70:71]
	s_delay_alu instid0(VALU_DEP_2) | instskip(NEXT) | instid1(VALU_DEP_2)
	v_fma_f64 v[4:5], v[18:19], v[68:69], -v[4:5]
	v_fmac_f64_e32 v[40:41], v[20:21], v[68:69]
	s_delay_alu instid0(VALU_DEP_2) | instskip(NEXT) | instid1(VALU_DEP_2)
	v_add_f64_e64 v[14:15], v[14:15], -v[4:5]
	v_add_f64_e64 v[16:17], v[16:17], -v[40:41]
.LBB184_318:                            ;   in Loop: Header=BB184_3 Depth=1
	s_or_b32 exec_lo, exec_lo, s46
	s_barrier_signal -1
	s_barrier_wait -1
	s_and_saveexec_b32 s46, s70
	s_cbranch_execz .LBB184_320
; %bb.319:                              ;   in Loop: Header=BB184_3 Depth=1
	ds_load_b128 v[18:21], v2 offset:4224
	s_wait_dscnt 0x0
	v_mul_f64_e32 v[4:5], v[16:17], v[20:21]
	s_delay_alu instid0(VALU_DEP_1) | instskip(SKIP_1) | instid1(VALU_DEP_1)
	v_fma_f64 v[4:5], v[14:15], v[18:19], -v[4:5]
	v_mul_f64_e32 v[40:41], v[14:15], v[20:21]
	v_fmac_f64_e32 v[40:41], v[16:17], v[18:19]
	s_delay_alu instid0(VALU_DEP_1) | instskip(NEXT) | instid1(VALU_DEP_4)
	v_mov_b32_e32 v20, v40
	v_mov_b64_e32 v[14:15], v[4:5]
	s_delay_alu instid0(VALU_DEP_3)
	v_mov_b64_e32 v[16:17], v[40:41]
	v_xor_b32_e32 v19, 0x80000000, v5
	v_xor_b32_e32 v21, 0x80000000, v41
	v_mov_b32_e32 v18, v4
	ds_store_b128 v23, v[18:21]
.LBB184_320:                            ;   in Loop: Header=BB184_3 Depth=1
	s_or_b32 exec_lo, exec_lo, s46
	s_wait_dscnt 0x0
	s_barrier_signal -1
	s_barrier_wait -1
	s_barrier_signal -1
	s_barrier_wait -1
	s_and_saveexec_b32 s46, s4
; %bb.321:                              ;   in Loop: Header=BB184_3 Depth=1
	ds_store_b128 v46, v[14:17] offset:5760
; %bb.322:                              ;   in Loop: Header=BB184_3 Depth=1
	s_or_b32 exec_lo, exec_lo, s46
	s_wait_dscnt 0x0
	s_barrier_signal -1
	s_barrier_wait -1
	s_barrier_signal -1
	s_barrier_wait -1
	s_and_saveexec_b32 s46, s3
	s_cbranch_execz .LBB184_324
; %bb.323:                              ;   in Loop: Header=BB184_3 Depth=1
	ds_load_b128 v[14:17], v2 offset:4752
	ds_load_b128 v[18:21], v2 offset:4224
	;; [unrolled: 1-line block ×3, first 2 shown]
	s_wait_dscnt 0x1
	v_mul_f64_e32 v[4:5], v[14:15], v[20:21]
	v_mul_f64_e32 v[20:21], v[16:17], v[20:21]
	s_delay_alu instid0(VALU_DEP_2) | instskip(NEXT) | instid1(VALU_DEP_2)
	v_fmac_f64_e32 v[4:5], v[16:17], v[18:19]
	v_fma_f64 v[14:15], v[14:15], v[18:19], -v[20:21]
	s_wait_dscnt 0x0
	s_delay_alu instid0(VALU_DEP_2) | instskip(NEXT) | instid1(VALU_DEP_2)
	v_mul_f64_e32 v[18:19], v[4:5], v[70:71]
	v_mul_f64_e32 v[16:17], v[14:15], v[70:71]
	s_delay_alu instid0(VALU_DEP_2) | instskip(NEXT) | instid1(VALU_DEP_2)
	v_fma_f64 v[14:15], v[68:69], v[14:15], -v[18:19]
	v_fmac_f64_e32 v[16:17], v[68:69], v[4:5]
	ds_store_b128 v2, v[14:17] offset:4736
.LBB184_324:                            ;   in Loop: Header=BB184_3 Depth=1
	s_or_b32 exec_lo, exec_lo, s46
	v_mov_b64_e32 v[16:17], 0
	v_mov_b64_e32 v[14:15], 0
	s_wait_dscnt 0x0
	s_barrier_signal -1
	s_barrier_wait -1
	global_wb scope:SCOPE_DEV
	s_wait_storecnt 0x0
	global_inv scope:SCOPE_DEV
	s_and_saveexec_b32 s46, s9
	s_cbranch_execz .LBB184_336
; %bb.325:                              ;   in Loop: Header=BB184_3 Depth=1
	ds_load_b128 v[14:17], v53 offset:7808
	ds_load_b128 v[18:21], v52 offset:4096
	s_wait_dscnt 0x0
	v_mul_f64_e32 v[4:5], v[16:17], v[20:21]
	v_mul_f64_e32 v[20:21], v[14:15], v[20:21]
	s_delay_alu instid0(VALU_DEP_2) | instskip(NEXT) | instid1(VALU_DEP_2)
	v_fma_f64 v[4:5], v[14:15], v[18:19], -v[4:5]
	v_fmac_f64_e32 v[20:21], v[16:17], v[18:19]
	s_delay_alu instid0(VALU_DEP_2) | instskip(NEXT) | instid1(VALU_DEP_2)
	v_add_f64_e32 v[14:15], 0, v[4:5]
	v_add_f64_e32 v[16:17], 0, v[20:21]
	s_mov_b32 s47, exec_lo
	v_readlane_b32 s97, v76, 0
	s_and_b32 s97, s47, s97
	s_delay_alu instid0(SALU_CYCLE_1)
	s_mov_b32 exec_lo, s97
	s_cbranch_execz .LBB184_327
; %bb.326:                              ;   in Loop: Header=BB184_3 Depth=1
	ds_load_b128 v[18:21], v53 offset:7824
	ds_load_b128 v[68:71], v52 offset:4608
	s_wait_dscnt 0x0
	v_mul_f64_e32 v[4:5], v[20:21], v[70:71]
	v_mul_f64_e32 v[40:41], v[18:19], v[70:71]
	s_delay_alu instid0(VALU_DEP_2) | instskip(NEXT) | instid1(VALU_DEP_2)
	v_fma_f64 v[4:5], v[18:19], v[68:69], -v[4:5]
	v_fmac_f64_e32 v[40:41], v[20:21], v[68:69]
	s_delay_alu instid0(VALU_DEP_2) | instskip(NEXT) | instid1(VALU_DEP_2)
	v_add_f64_e32 v[14:15], v[14:15], v[4:5]
	v_add_f64_e32 v[16:17], v[16:17], v[40:41]
.LBB184_327:                            ;   in Loop: Header=BB184_3 Depth=1
	s_or_b32 exec_lo, exec_lo, s47
	s_and_saveexec_b32 s47, s11
	s_cbranch_execz .LBB184_329
; %bb.328:                              ;   in Loop: Header=BB184_3 Depth=1
	ds_load_b128 v[18:21], v53 offset:7840
	ds_load_b128 v[68:71], v52 offset:5120
	s_wait_dscnt 0x0
	v_mul_f64_e32 v[4:5], v[20:21], v[70:71]
	v_mul_f64_e32 v[40:41], v[18:19], v[70:71]
	s_delay_alu instid0(VALU_DEP_2) | instskip(NEXT) | instid1(VALU_DEP_2)
	v_fma_f64 v[4:5], v[18:19], v[68:69], -v[4:5]
	v_fmac_f64_e32 v[40:41], v[20:21], v[68:69]
	s_delay_alu instid0(VALU_DEP_2) | instskip(NEXT) | instid1(VALU_DEP_2)
	v_add_f64_e32 v[14:15], v[14:15], v[4:5]
	v_add_f64_e32 v[16:17], v[16:17], v[40:41]
.LBB184_329:                            ;   in Loop: Header=BB184_3 Depth=1
	s_or_b32 exec_lo, exec_lo, s47
	s_delay_alu instid0(SALU_CYCLE_1) | instskip(SKIP_2) | instid1(SALU_CYCLE_1)
	s_mov_b32 s47, exec_lo
	v_readlane_b32 s97, v76, 1
	s_and_b32 s97, s47, s97
	s_mov_b32 exec_lo, s97
	s_cbranch_execnz .LBB184_538
; %bb.330:                              ;   in Loop: Header=BB184_3 Depth=1
	s_or_b32 exec_lo, exec_lo, s47
	s_and_saveexec_b32 s47, s13
	s_cbranch_execnz .LBB184_539
.LBB184_331:                            ;   in Loop: Header=BB184_3 Depth=1
	s_or_b32 exec_lo, exec_lo, s47
	s_and_saveexec_b32 s47, s20
	s_cbranch_execnz .LBB184_540
.LBB184_332:                            ;   in Loop: Header=BB184_3 Depth=1
	s_or_b32 exec_lo, exec_lo, s47
	s_and_saveexec_b32 s47, s6
	s_cbranch_execnz .LBB184_541
.LBB184_333:                            ;   in Loop: Header=BB184_3 Depth=1
	s_or_b32 exec_lo, exec_lo, s47
	s_and_saveexec_b32 s47, s8
	s_cbranch_execz .LBB184_335
.LBB184_334:                            ;   in Loop: Header=BB184_3 Depth=1
	ds_load_b128 v[18:21], v2 offset:7920
	ds_load_b128 v[68:71], v45 offset:7680
	s_wait_dscnt 0x0
	v_mul_f64_e32 v[4:5], v[20:21], v[70:71]
	v_mul_f64_e32 v[40:41], v[18:19], v[70:71]
	s_delay_alu instid0(VALU_DEP_2) | instskip(NEXT) | instid1(VALU_DEP_2)
	v_fma_f64 v[4:5], v[18:19], v[68:69], -v[4:5]
	v_fmac_f64_e32 v[40:41], v[20:21], v[68:69]
	s_delay_alu instid0(VALU_DEP_2) | instskip(NEXT) | instid1(VALU_DEP_2)
	v_add_f64_e32 v[14:15], v[14:15], v[4:5]
	v_add_f64_e32 v[16:17], v[16:17], v[40:41]
.LBB184_335:                            ;   in Loop: Header=BB184_3 Depth=1
	s_or_b32 exec_lo, exec_lo, s47
.LBB184_336:                            ;   in Loop: Header=BB184_3 Depth=1
	s_delay_alu instid0(SALU_CYCLE_1)
	s_or_b32 exec_lo, exec_lo, s46
	s_and_saveexec_b32 s46, s77
	s_cbranch_execz .LBB184_338
; %bb.337:                              ;   in Loop: Header=BB184_3 Depth=1
	ds_load_b128 v[18:21], v2 offset:3696
	s_wait_dscnt 0x0
	v_mul_f64_e32 v[4:5], v[16:17], v[20:21]
	s_delay_alu instid0(VALU_DEP_1) | instskip(SKIP_1) | instid1(VALU_DEP_1)
	v_fma_f64 v[4:5], v[14:15], v[18:19], -v[4:5]
	v_mul_f64_e32 v[40:41], v[14:15], v[20:21]
	v_fmac_f64_e32 v[40:41], v[16:17], v[18:19]
	s_delay_alu instid0(VALU_DEP_1) | instskip(NEXT) | instid1(VALU_DEP_4)
	v_mov_b32_e32 v20, v40
	v_mov_b64_e32 v[14:15], v[4:5]
	s_delay_alu instid0(VALU_DEP_3)
	v_mov_b64_e32 v[16:17], v[40:41]
	v_xor_b32_e32 v19, 0x80000000, v5
	v_xor_b32_e32 v21, 0x80000000, v41
	v_mov_b32_e32 v18, v4
	ds_store_b128 v51, v[18:21]
.LBB184_338:                            ;   in Loop: Header=BB184_3 Depth=1
	s_or_b32 exec_lo, exec_lo, s46
	s_wait_loadcnt_dscnt 0x0
	s_barrier_signal -1
	s_barrier_wait -1
	s_and_saveexec_b32 s46, s78
	s_cbranch_execz .LBB184_340
; %bb.339:                              ;   in Loop: Header=BB184_3 Depth=1
	ds_load_b128 v[18:21], v51
	ds_load_b128 v[68:71], v52 offset:3584
	s_wait_dscnt 0x0
	v_mul_f64_e32 v[4:5], v[20:21], v[70:71]
	v_mul_f64_e32 v[40:41], v[18:19], v[70:71]
	s_delay_alu instid0(VALU_DEP_2) | instskip(NEXT) | instid1(VALU_DEP_2)
	v_fma_f64 v[4:5], v[18:19], v[68:69], -v[4:5]
	v_fmac_f64_e32 v[40:41], v[20:21], v[68:69]
	s_delay_alu instid0(VALU_DEP_2) | instskip(NEXT) | instid1(VALU_DEP_2)
	v_add_f64_e64 v[14:15], v[14:15], -v[4:5]
	v_add_f64_e64 v[16:17], v[16:17], -v[40:41]
.LBB184_340:                            ;   in Loop: Header=BB184_3 Depth=1
	s_or_b32 exec_lo, exec_lo, s46
	s_barrier_signal -1
	s_barrier_wait -1
	s_and_saveexec_b32 s46, s79
	s_cbranch_execz .LBB184_342
; %bb.341:                              ;   in Loop: Header=BB184_3 Depth=1
	ds_load_b128 v[18:21], v2 offset:3168
	s_wait_dscnt 0x0
	v_mul_f64_e32 v[4:5], v[16:17], v[20:21]
	s_delay_alu instid0(VALU_DEP_1) | instskip(SKIP_1) | instid1(VALU_DEP_1)
	v_fma_f64 v[4:5], v[14:15], v[18:19], -v[4:5]
	v_mul_f64_e32 v[40:41], v[14:15], v[20:21]
	v_fmac_f64_e32 v[40:41], v[16:17], v[18:19]
	s_delay_alu instid0(VALU_DEP_1) | instskip(NEXT) | instid1(VALU_DEP_4)
	v_mov_b32_e32 v20, v40
	v_mov_b64_e32 v[14:15], v[4:5]
	s_delay_alu instid0(VALU_DEP_3)
	v_mov_b64_e32 v[16:17], v[40:41]
	v_xor_b32_e32 v19, 0x80000000, v5
	v_xor_b32_e32 v21, 0x80000000, v41
	v_mov_b32_e32 v18, v4
	ds_store_b128 v51, v[18:21]
.LBB184_342:                            ;   in Loop: Header=BB184_3 Depth=1
	s_or_b32 exec_lo, exec_lo, s46
	s_wait_dscnt 0x0
	s_barrier_signal -1
	s_barrier_wait -1
	s_and_saveexec_b32 s46, s80
	s_cbranch_execz .LBB184_344
; %bb.343:                              ;   in Loop: Header=BB184_3 Depth=1
	ds_load_b128 v[18:21], v51
	ds_load_b128 v[68:71], v52 offset:3072
	s_wait_dscnt 0x0
	v_mul_f64_e32 v[4:5], v[20:21], v[70:71]
	v_mul_f64_e32 v[40:41], v[18:19], v[70:71]
	s_delay_alu instid0(VALU_DEP_2) | instskip(NEXT) | instid1(VALU_DEP_2)
	v_fma_f64 v[4:5], v[18:19], v[68:69], -v[4:5]
	v_fmac_f64_e32 v[40:41], v[20:21], v[68:69]
	s_delay_alu instid0(VALU_DEP_2) | instskip(NEXT) | instid1(VALU_DEP_2)
	v_add_f64_e64 v[14:15], v[14:15], -v[4:5]
	v_add_f64_e64 v[16:17], v[16:17], -v[40:41]
.LBB184_344:                            ;   in Loop: Header=BB184_3 Depth=1
	s_or_b32 exec_lo, exec_lo, s46
	s_barrier_signal -1
	s_barrier_wait -1
	s_and_saveexec_b32 s46, s81
	s_cbranch_execz .LBB184_346
; %bb.345:                              ;   in Loop: Header=BB184_3 Depth=1
	ds_load_b128 v[18:21], v2 offset:2640
	s_wait_dscnt 0x0
	v_mul_f64_e32 v[4:5], v[16:17], v[20:21]
	s_delay_alu instid0(VALU_DEP_1) | instskip(SKIP_1) | instid1(VALU_DEP_1)
	v_fma_f64 v[4:5], v[14:15], v[18:19], -v[4:5]
	v_mul_f64_e32 v[40:41], v[14:15], v[20:21]
	v_fmac_f64_e32 v[40:41], v[16:17], v[18:19]
	s_delay_alu instid0(VALU_DEP_1) | instskip(NEXT) | instid1(VALU_DEP_4)
	v_mov_b32_e32 v20, v40
	v_mov_b64_e32 v[14:15], v[4:5]
	s_delay_alu instid0(VALU_DEP_3)
	v_mov_b64_e32 v[16:17], v[40:41]
	v_xor_b32_e32 v19, 0x80000000, v5
	v_xor_b32_e32 v21, 0x80000000, v41
	v_mov_b32_e32 v18, v4
	ds_store_b128 v51, v[18:21]
.LBB184_346:                            ;   in Loop: Header=BB184_3 Depth=1
	s_or_b32 exec_lo, exec_lo, s46
	s_wait_dscnt 0x0
	;; [unrolled: 42-line block ×6, first 2 shown]
	s_barrier_signal -1
	s_barrier_wait -1
	s_and_saveexec_b32 s46, s90
	s_cbranch_execz .LBB184_364
; %bb.363:                              ;   in Loop: Header=BB184_3 Depth=1
	ds_load_b128 v[18:21], v51
	ds_load_b128 v[68:71], v2 offset:512
	s_wait_dscnt 0x0
	v_mul_f64_e32 v[4:5], v[20:21], v[70:71]
	v_mul_f64_e32 v[40:41], v[18:19], v[70:71]
	s_delay_alu instid0(VALU_DEP_2) | instskip(NEXT) | instid1(VALU_DEP_2)
	v_fma_f64 v[4:5], v[18:19], v[68:69], -v[4:5]
	v_fmac_f64_e32 v[40:41], v[20:21], v[68:69]
	s_delay_alu instid0(VALU_DEP_2) | instskip(NEXT) | instid1(VALU_DEP_2)
	v_add_f64_e64 v[14:15], v[14:15], -v[4:5]
	v_add_f64_e64 v[16:17], v[16:17], -v[40:41]
.LBB184_364:                            ;   in Loop: Header=BB184_3 Depth=1
	s_or_b32 exec_lo, exec_lo, s46
	s_barrier_signal -1
	s_barrier_wait -1
	s_and_saveexec_b32 s46, s90
	s_cbranch_execz .LBB184_366
; %bb.365:                              ;   in Loop: Header=BB184_3 Depth=1
	ds_load_b128 v[18:21], v2
	s_wait_dscnt 0x0
	v_mul_f64_e32 v[4:5], v[16:17], v[20:21]
	s_delay_alu instid0(VALU_DEP_1) | instskip(SKIP_1) | instid1(VALU_DEP_1)
	v_fma_f64 v[4:5], v[14:15], v[18:19], -v[4:5]
	v_mul_f64_e32 v[40:41], v[14:15], v[20:21]
	v_fmac_f64_e32 v[40:41], v[16:17], v[18:19]
	s_delay_alu instid0(VALU_DEP_1) | instskip(NEXT) | instid1(VALU_DEP_4)
	v_mov_b32_e32 v20, v40
	v_mov_b64_e32 v[14:15], v[4:5]
	s_delay_alu instid0(VALU_DEP_3)
	v_mov_b64_e32 v[16:17], v[40:41]
	v_xor_b32_e32 v19, 0x80000000, v5
	v_xor_b32_e32 v21, 0x80000000, v41
	v_mov_b32_e32 v18, v4
	ds_store_b128 v51, v[18:21]
.LBB184_366:                            ;   in Loop: Header=BB184_3 Depth=1
	s_or_b32 exec_lo, exec_lo, s46
	s_wait_dscnt 0x0
	s_barrier_signal -1
	s_barrier_wait -1
	s_barrier_signal -1
	s_barrier_wait -1
	s_and_saveexec_b32 s46, s9
; %bb.367:                              ;   in Loop: Header=BB184_3 Depth=1
	ds_store_b128 v54, v[14:17] offset:7680
; %bb.368:                              ;   in Loop: Header=BB184_3 Depth=1
	s_or_b32 exec_lo, exec_lo, s46
	s_wait_dscnt 0x0
	s_barrier_signal -1
	s_barrier_wait -1
	s_barrier_signal -1
	s_barrier_wait -1
	s_and_saveexec_b32 s46, s3
	s_cbranch_execz .LBB184_370
; %bb.369:                              ;   in Loop: Header=BB184_3 Depth=1
	ds_load_b128 v[14:17], v2 offset:3696
	ds_load_b128 v[18:21], v2 offset:3168
	;; [unrolled: 1-line block ×3, first 2 shown]
	s_wait_dscnt 0x1
	v_mul_f64_e32 v[4:5], v[14:15], v[20:21]
	v_mul_f64_e32 v[20:21], v[16:17], v[20:21]
	s_delay_alu instid0(VALU_DEP_2) | instskip(NEXT) | instid1(VALU_DEP_2)
	v_fmac_f64_e32 v[4:5], v[16:17], v[18:19]
	v_fma_f64 v[14:15], v[14:15], v[18:19], -v[20:21]
	s_wait_dscnt 0x0
	s_delay_alu instid0(VALU_DEP_2) | instskip(NEXT) | instid1(VALU_DEP_2)
	v_mul_f64_e32 v[18:19], v[4:5], v[70:71]
	v_mul_f64_e32 v[16:17], v[14:15], v[70:71]
	s_delay_alu instid0(VALU_DEP_2) | instskip(NEXT) | instid1(VALU_DEP_2)
	v_fma_f64 v[14:15], v[68:69], v[14:15], -v[18:19]
	v_fmac_f64_e32 v[16:17], v[68:69], v[4:5]
	ds_store_b128 v2, v[14:17] offset:3680
.LBB184_370:                            ;   in Loop: Header=BB184_3 Depth=1
	s_or_b32 exec_lo, exec_lo, s46
	v_mov_b64_e32 v[14:15], 0
	v_mov_b64_e32 v[16:17], 0
	s_wait_dscnt 0x0
	s_barrier_signal -1
	s_barrier_wait -1
	global_wb scope:SCOPE_DEV
	s_wait_storecnt 0x0
	global_inv scope:SCOPE_DEV
	s_and_saveexec_b32 s46, s4
	s_cbranch_execz .LBB184_374
; %bb.371:                              ;   in Loop: Header=BB184_3 Depth=1
	ds_load_b128 v[14:17], v44 offset:3680
	ds_load_b128 v[18:21], v43 offset:3136
	s_wait_dscnt 0x0
	v_mul_f64_e32 v[4:5], v[16:17], v[20:21]
	v_mul_f64_e32 v[20:21], v[14:15], v[20:21]
	s_delay_alu instid0(VALU_DEP_2) | instskip(NEXT) | instid1(VALU_DEP_2)
	v_fma_f64 v[4:5], v[14:15], v[18:19], -v[4:5]
	v_fmac_f64_e32 v[20:21], v[16:17], v[18:19]
	s_delay_alu instid0(VALU_DEP_2) | instskip(NEXT) | instid1(VALU_DEP_2)
	v_add_f64_e32 v[14:15], 0, v[4:5]
	v_add_f64_e32 v[16:17], 0, v[20:21]
	s_and_saveexec_b32 s47, s5
	s_cbranch_execz .LBB184_373
; %bb.372:                              ;   in Loop: Header=BB184_3 Depth=1
	ds_load_b128 v[18:21], v2 offset:3696
	ds_load_b128 v[68:71], v45 offset:3648
	s_wait_dscnt 0x0
	v_mul_f64_e32 v[4:5], v[20:21], v[70:71]
	v_mul_f64_e32 v[40:41], v[18:19], v[70:71]
	s_delay_alu instid0(VALU_DEP_2) | instskip(NEXT) | instid1(VALU_DEP_2)
	v_fma_f64 v[4:5], v[18:19], v[68:69], -v[4:5]
	v_fmac_f64_e32 v[40:41], v[20:21], v[68:69]
	s_delay_alu instid0(VALU_DEP_2) | instskip(NEXT) | instid1(VALU_DEP_2)
	v_add_f64_e32 v[14:15], v[14:15], v[4:5]
	v_add_f64_e32 v[16:17], v[16:17], v[40:41]
.LBB184_373:                            ;   in Loop: Header=BB184_3 Depth=1
	s_or_b32 exec_lo, exec_lo, s47
.LBB184_374:                            ;   in Loop: Header=BB184_3 Depth=1
	s_delay_alu instid0(SALU_CYCLE_1)
	s_or_b32 exec_lo, exec_lo, s46
	s_and_saveexec_b32 s46, s69
	s_cbranch_execz .LBB184_376
; %bb.375:                              ;   in Loop: Header=BB184_3 Depth=1
	ds_load_b128 v[18:21], v2 offset:2640
	s_wait_dscnt 0x0
	v_mul_f64_e32 v[4:5], v[16:17], v[20:21]
	s_delay_alu instid0(VALU_DEP_1) | instskip(SKIP_1) | instid1(VALU_DEP_1)
	v_fma_f64 v[4:5], v[14:15], v[18:19], -v[4:5]
	v_mul_f64_e32 v[40:41], v[14:15], v[20:21]
	v_fmac_f64_e32 v[40:41], v[16:17], v[18:19]
	s_delay_alu instid0(VALU_DEP_1) | instskip(NEXT) | instid1(VALU_DEP_4)
	v_mov_b32_e32 v20, v40
	v_mov_b64_e32 v[14:15], v[4:5]
	s_delay_alu instid0(VALU_DEP_3)
	v_mov_b64_e32 v[16:17], v[40:41]
	v_xor_b32_e32 v19, 0x80000000, v5
	v_xor_b32_e32 v21, 0x80000000, v41
	v_mov_b32_e32 v18, v4
	ds_store_b128 v23, v[18:21]
.LBB184_376:                            ;   in Loop: Header=BB184_3 Depth=1
	s_or_b32 exec_lo, exec_lo, s46
	s_wait_loadcnt_dscnt 0x0
	s_barrier_signal -1
	s_barrier_wait -1
	s_and_saveexec_b32 s46, s70
	s_cbranch_execz .LBB184_378
; %bb.377:                              ;   in Loop: Header=BB184_3 Depth=1
	ds_load_b128 v[18:21], v23
	ds_load_b128 v[68:71], v2 offset:2624
	s_wait_dscnt 0x0
	v_mul_f64_e32 v[4:5], v[20:21], v[70:71]
	v_mul_f64_e32 v[40:41], v[18:19], v[70:71]
	s_delay_alu instid0(VALU_DEP_2) | instskip(NEXT) | instid1(VALU_DEP_2)
	v_fma_f64 v[4:5], v[18:19], v[68:69], -v[4:5]
	v_fmac_f64_e32 v[40:41], v[20:21], v[68:69]
	s_delay_alu instid0(VALU_DEP_2) | instskip(NEXT) | instid1(VALU_DEP_2)
	v_add_f64_e64 v[14:15], v[14:15], -v[4:5]
	v_add_f64_e64 v[16:17], v[16:17], -v[40:41]
.LBB184_378:                            ;   in Loop: Header=BB184_3 Depth=1
	s_or_b32 exec_lo, exec_lo, s46
	s_barrier_signal -1
	s_barrier_wait -1
	s_and_saveexec_b32 s46, s70
	s_cbranch_execz .LBB184_380
; %bb.379:                              ;   in Loop: Header=BB184_3 Depth=1
	ds_load_b128 v[18:21], v2 offset:2112
	s_wait_dscnt 0x0
	v_mul_f64_e32 v[4:5], v[16:17], v[20:21]
	s_delay_alu instid0(VALU_DEP_1) | instskip(SKIP_1) | instid1(VALU_DEP_1)
	v_fma_f64 v[4:5], v[14:15], v[18:19], -v[4:5]
	v_mul_f64_e32 v[40:41], v[14:15], v[20:21]
	v_fmac_f64_e32 v[40:41], v[16:17], v[18:19]
	s_delay_alu instid0(VALU_DEP_1) | instskip(NEXT) | instid1(VALU_DEP_4)
	v_mov_b32_e32 v20, v40
	v_mov_b64_e32 v[14:15], v[4:5]
	s_delay_alu instid0(VALU_DEP_3)
	v_mov_b64_e32 v[16:17], v[40:41]
	v_xor_b32_e32 v19, 0x80000000, v5
	v_xor_b32_e32 v21, 0x80000000, v41
	v_mov_b32_e32 v18, v4
	ds_store_b128 v23, v[18:21]
.LBB184_380:                            ;   in Loop: Header=BB184_3 Depth=1
	s_or_b32 exec_lo, exec_lo, s46
	s_wait_dscnt 0x0
	s_barrier_signal -1
	s_barrier_wait -1
	s_barrier_signal -1
	s_barrier_wait -1
	s_and_saveexec_b32 s46, s4
; %bb.381:                              ;   in Loop: Header=BB184_3 Depth=1
	ds_store_b128 v46, v[14:17] offset:3648
; %bb.382:                              ;   in Loop: Header=BB184_3 Depth=1
	s_or_b32 exec_lo, exec_lo, s46
	s_wait_dscnt 0x0
	s_barrier_signal -1
	s_barrier_wait -1
	s_barrier_signal -1
	s_barrier_wait -1
	s_and_saveexec_b32 s46, s3
	s_cbranch_execz .LBB184_384
; %bb.383:                              ;   in Loop: Header=BB184_3 Depth=1
	ds_load_b128 v[14:17], v2 offset:2640
	ds_load_b128 v[18:21], v2 offset:2112
	;; [unrolled: 1-line block ×3, first 2 shown]
	s_wait_dscnt 0x1
	v_mul_f64_e32 v[4:5], v[14:15], v[20:21]
	v_mul_f64_e32 v[20:21], v[16:17], v[20:21]
	s_delay_alu instid0(VALU_DEP_2) | instskip(NEXT) | instid1(VALU_DEP_2)
	v_fmac_f64_e32 v[4:5], v[16:17], v[18:19]
	v_fma_f64 v[14:15], v[14:15], v[18:19], -v[20:21]
	s_wait_dscnt 0x0
	s_delay_alu instid0(VALU_DEP_2) | instskip(NEXT) | instid1(VALU_DEP_2)
	v_mul_f64_e32 v[18:19], v[4:5], v[70:71]
	v_mul_f64_e32 v[16:17], v[14:15], v[70:71]
	s_delay_alu instid0(VALU_DEP_2) | instskip(NEXT) | instid1(VALU_DEP_2)
	v_fma_f64 v[14:15], v[68:69], v[14:15], -v[18:19]
	v_fmac_f64_e32 v[16:17], v[68:69], v[4:5]
	ds_store_b128 v2, v[14:17] offset:2624
.LBB184_384:                            ;   in Loop: Header=BB184_3 Depth=1
	s_or_b32 exec_lo, exec_lo, s46
	v_mov_b64_e32 v[16:17], 0
	v_mov_b64_e32 v[14:15], 0
	s_wait_dscnt 0x0
	s_barrier_signal -1
	s_barrier_wait -1
	global_wb scope:SCOPE_DEV
	s_wait_storecnt 0x0
	global_inv scope:SCOPE_DEV
	s_and_saveexec_b32 s46, s6
	s_cbranch_execz .LBB184_390
; %bb.385:                              ;   in Loop: Header=BB184_3 Depth=1
	ds_load_b128 v[14:17], v49 offset:3648
	ds_load_b128 v[18:21], v48 offset:2048
	s_wait_dscnt 0x0
	v_mul_f64_e32 v[4:5], v[16:17], v[20:21]
	v_mul_f64_e32 v[20:21], v[14:15], v[20:21]
	s_delay_alu instid0(VALU_DEP_2) | instskip(NEXT) | instid1(VALU_DEP_2)
	v_fma_f64 v[4:5], v[14:15], v[18:19], -v[4:5]
	v_fmac_f64_e32 v[20:21], v[16:17], v[18:19]
	s_delay_alu instid0(VALU_DEP_2) | instskip(NEXT) | instid1(VALU_DEP_2)
	v_add_f64_e32 v[14:15], 0, v[4:5]
	v_add_f64_e32 v[16:17], 0, v[20:21]
	s_and_saveexec_b32 s47, s7
	s_cbranch_execnz .LBB184_542
; %bb.386:                              ;   in Loop: Header=BB184_3 Depth=1
	s_or_b32 exec_lo, exec_lo, s47
	s_and_saveexec_b32 s47, s8
	s_cbranch_execnz .LBB184_543
.LBB184_387:                            ;   in Loop: Header=BB184_3 Depth=1
	s_or_b32 exec_lo, exec_lo, s47
	s_and_saveexec_b32 s47, s4
	s_cbranch_execz .LBB184_389
.LBB184_388:                            ;   in Loop: Header=BB184_3 Depth=1
	ds_load_b128 v[18:21], v2 offset:3696
	ds_load_b128 v[68:71], v45 offset:3584
	s_wait_dscnt 0x0
	v_mul_f64_e32 v[4:5], v[20:21], v[70:71]
	v_mul_f64_e32 v[40:41], v[18:19], v[70:71]
	s_delay_alu instid0(VALU_DEP_2) | instskip(NEXT) | instid1(VALU_DEP_2)
	v_fma_f64 v[4:5], v[18:19], v[68:69], -v[4:5]
	v_fmac_f64_e32 v[40:41], v[20:21], v[68:69]
	s_delay_alu instid0(VALU_DEP_2) | instskip(NEXT) | instid1(VALU_DEP_2)
	v_add_f64_e32 v[14:15], v[14:15], v[4:5]
	v_add_f64_e32 v[16:17], v[16:17], v[40:41]
.LBB184_389:                            ;   in Loop: Header=BB184_3 Depth=1
	s_or_b32 exec_lo, exec_lo, s47
.LBB184_390:                            ;   in Loop: Header=BB184_3 Depth=1
	s_delay_alu instid0(SALU_CYCLE_1)
	s_or_b32 exec_lo, exec_lo, s46
	s_and_saveexec_b32 s46, s71
	s_cbranch_execz .LBB184_392
; %bb.391:                              ;   in Loop: Header=BB184_3 Depth=1
	ds_load_b128 v[18:21], v2 offset:1584
	s_wait_dscnt 0x0
	v_mul_f64_e32 v[4:5], v[16:17], v[20:21]
	s_delay_alu instid0(VALU_DEP_1) | instskip(SKIP_1) | instid1(VALU_DEP_1)
	v_fma_f64 v[4:5], v[14:15], v[18:19], -v[4:5]
	v_mul_f64_e32 v[40:41], v[14:15], v[20:21]
	v_fmac_f64_e32 v[40:41], v[16:17], v[18:19]
	s_delay_alu instid0(VALU_DEP_1) | instskip(NEXT) | instid1(VALU_DEP_4)
	v_mov_b32_e32 v20, v40
	v_mov_b64_e32 v[14:15], v[4:5]
	s_delay_alu instid0(VALU_DEP_3)
	v_mov_b64_e32 v[16:17], v[40:41]
	v_xor_b32_e32 v19, 0x80000000, v5
	v_xor_b32_e32 v21, 0x80000000, v41
	v_mov_b32_e32 v18, v4
	ds_store_b128 v47, v[18:21]
.LBB184_392:                            ;   in Loop: Header=BB184_3 Depth=1
	s_or_b32 exec_lo, exec_lo, s46
	s_wait_loadcnt_dscnt 0x0
	s_barrier_signal -1
	s_barrier_wait -1
	s_and_saveexec_b32 s46, s72
	s_cbranch_execz .LBB184_394
; %bb.393:                              ;   in Loop: Header=BB184_3 Depth=1
	ds_load_b128 v[18:21], v47
	ds_load_b128 v[68:71], v48 offset:1536
	s_wait_dscnt 0x0
	v_mul_f64_e32 v[4:5], v[20:21], v[70:71]
	v_mul_f64_e32 v[40:41], v[18:19], v[70:71]
	s_delay_alu instid0(VALU_DEP_2) | instskip(NEXT) | instid1(VALU_DEP_2)
	v_fma_f64 v[4:5], v[18:19], v[68:69], -v[4:5]
	v_fmac_f64_e32 v[40:41], v[20:21], v[68:69]
	s_delay_alu instid0(VALU_DEP_2) | instskip(NEXT) | instid1(VALU_DEP_2)
	v_add_f64_e64 v[14:15], v[14:15], -v[4:5]
	v_add_f64_e64 v[16:17], v[16:17], -v[40:41]
.LBB184_394:                            ;   in Loop: Header=BB184_3 Depth=1
	s_or_b32 exec_lo, exec_lo, s46
	s_barrier_signal -1
	s_barrier_wait -1
	s_and_saveexec_b32 s46, s73
	s_cbranch_execz .LBB184_396
; %bb.395:                              ;   in Loop: Header=BB184_3 Depth=1
	ds_load_b128 v[18:21], v2 offset:1056
	s_wait_dscnt 0x0
	v_mul_f64_e32 v[4:5], v[16:17], v[20:21]
	s_delay_alu instid0(VALU_DEP_1) | instskip(SKIP_1) | instid1(VALU_DEP_1)
	v_fma_f64 v[4:5], v[14:15], v[18:19], -v[4:5]
	v_mul_f64_e32 v[40:41], v[14:15], v[20:21]
	v_fmac_f64_e32 v[40:41], v[16:17], v[18:19]
	s_delay_alu instid0(VALU_DEP_1) | instskip(NEXT) | instid1(VALU_DEP_4)
	v_mov_b32_e32 v20, v40
	v_mov_b64_e32 v[14:15], v[4:5]
	s_delay_alu instid0(VALU_DEP_3)
	v_mov_b64_e32 v[16:17], v[40:41]
	v_xor_b32_e32 v19, 0x80000000, v5
	v_xor_b32_e32 v21, 0x80000000, v41
	v_mov_b32_e32 v18, v4
	ds_store_b128 v47, v[18:21]
.LBB184_396:                            ;   in Loop: Header=BB184_3 Depth=1
	s_or_b32 exec_lo, exec_lo, s46
	s_wait_dscnt 0x0
	s_barrier_signal -1
	s_barrier_wait -1
	s_and_saveexec_b32 s46, s74
	s_cbranch_execz .LBB184_398
; %bb.397:                              ;   in Loop: Header=BB184_3 Depth=1
	ds_load_b128 v[18:21], v47
	ds_load_b128 v[68:71], v48 offset:1024
	s_wait_dscnt 0x0
	v_mul_f64_e32 v[4:5], v[20:21], v[70:71]
	v_mul_f64_e32 v[40:41], v[18:19], v[70:71]
	s_delay_alu instid0(VALU_DEP_2) | instskip(NEXT) | instid1(VALU_DEP_2)
	v_fma_f64 v[4:5], v[18:19], v[68:69], -v[4:5]
	v_fmac_f64_e32 v[40:41], v[20:21], v[68:69]
	s_delay_alu instid0(VALU_DEP_2) | instskip(NEXT) | instid1(VALU_DEP_2)
	v_add_f64_e64 v[14:15], v[14:15], -v[4:5]
	v_add_f64_e64 v[16:17], v[16:17], -v[40:41]
.LBB184_398:                            ;   in Loop: Header=BB184_3 Depth=1
	s_or_b32 exec_lo, exec_lo, s46
	s_barrier_signal -1
	s_barrier_wait -1
	s_and_saveexec_b32 s46, s75
	s_cbranch_execz .LBB184_400
; %bb.399:                              ;   in Loop: Header=BB184_3 Depth=1
	ds_load_b128 v[18:21], v2 offset:528
	s_wait_dscnt 0x0
	v_mul_f64_e32 v[4:5], v[16:17], v[20:21]
	s_delay_alu instid0(VALU_DEP_1) | instskip(SKIP_1) | instid1(VALU_DEP_1)
	v_fma_f64 v[4:5], v[14:15], v[18:19], -v[4:5]
	v_mul_f64_e32 v[40:41], v[14:15], v[20:21]
	v_fmac_f64_e32 v[40:41], v[16:17], v[18:19]
	s_delay_alu instid0(VALU_DEP_1) | instskip(NEXT) | instid1(VALU_DEP_4)
	v_mov_b32_e32 v20, v40
	v_mov_b64_e32 v[14:15], v[4:5]
	s_delay_alu instid0(VALU_DEP_3)
	v_mov_b64_e32 v[16:17], v[40:41]
	v_xor_b32_e32 v19, 0x80000000, v5
	v_xor_b32_e32 v21, 0x80000000, v41
	v_mov_b32_e32 v18, v4
	ds_store_b128 v47, v[18:21]
.LBB184_400:                            ;   in Loop: Header=BB184_3 Depth=1
	s_or_b32 exec_lo, exec_lo, s46
	s_wait_dscnt 0x0
	s_barrier_signal -1
	s_barrier_wait -1
	s_and_saveexec_b32 s46, s76
	s_cbranch_execz .LBB184_402
; %bb.401:                              ;   in Loop: Header=BB184_3 Depth=1
	ds_load_b128 v[18:21], v47
	ds_load_b128 v[68:71], v2 offset:512
	s_wait_dscnt 0x0
	v_mul_f64_e32 v[4:5], v[20:21], v[70:71]
	v_mul_f64_e32 v[40:41], v[18:19], v[70:71]
	s_delay_alu instid0(VALU_DEP_2) | instskip(NEXT) | instid1(VALU_DEP_2)
	v_fma_f64 v[4:5], v[18:19], v[68:69], -v[4:5]
	v_fmac_f64_e32 v[40:41], v[20:21], v[68:69]
	s_delay_alu instid0(VALU_DEP_2) | instskip(NEXT) | instid1(VALU_DEP_2)
	v_add_f64_e64 v[14:15], v[14:15], -v[4:5]
	v_add_f64_e64 v[16:17], v[16:17], -v[40:41]
.LBB184_402:                            ;   in Loop: Header=BB184_3 Depth=1
	s_or_b32 exec_lo, exec_lo, s46
	s_barrier_signal -1
	s_barrier_wait -1
	s_and_saveexec_b32 s46, s76
	s_cbranch_execz .LBB184_404
; %bb.403:                              ;   in Loop: Header=BB184_3 Depth=1
	ds_load_b128 v[18:21], v2
	s_wait_dscnt 0x0
	v_mul_f64_e32 v[4:5], v[16:17], v[20:21]
	s_delay_alu instid0(VALU_DEP_1) | instskip(SKIP_1) | instid1(VALU_DEP_1)
	v_fma_f64 v[4:5], v[14:15], v[18:19], -v[4:5]
	v_mul_f64_e32 v[40:41], v[14:15], v[20:21]
	v_fmac_f64_e32 v[40:41], v[16:17], v[18:19]
	s_delay_alu instid0(VALU_DEP_1) | instskip(NEXT) | instid1(VALU_DEP_4)
	v_mov_b32_e32 v20, v40
	v_mov_b64_e32 v[14:15], v[4:5]
	s_delay_alu instid0(VALU_DEP_3)
	v_mov_b64_e32 v[16:17], v[40:41]
	v_xor_b32_e32 v19, 0x80000000, v5
	v_xor_b32_e32 v21, 0x80000000, v41
	v_mov_b32_e32 v18, v4
	ds_store_b128 v47, v[18:21]
.LBB184_404:                            ;   in Loop: Header=BB184_3 Depth=1
	s_or_b32 exec_lo, exec_lo, s46
	s_wait_dscnt 0x0
	s_barrier_signal -1
	s_barrier_wait -1
	s_barrier_signal -1
	s_barrier_wait -1
	s_and_saveexec_b32 s46, s6
; %bb.405:                              ;   in Loop: Header=BB184_3 Depth=1
	ds_store_b128 v50, v[14:17] offset:3584
; %bb.406:                              ;   in Loop: Header=BB184_3 Depth=1
	s_or_b32 exec_lo, exec_lo, s46
	s_wait_dscnt 0x0
	s_barrier_signal -1
	s_barrier_wait -1
	s_barrier_signal -1
	s_barrier_wait -1
	s_and_saveexec_b32 s46, s3
	s_cbranch_execz .LBB184_408
; %bb.407:                              ;   in Loop: Header=BB184_3 Depth=1
	ds_load_b128 v[14:17], v2 offset:1584
	ds_load_b128 v[18:21], v2 offset:1056
	ds_load_b128 v[68:71], v2 offset:1568
	s_wait_dscnt 0x1
	v_mul_f64_e32 v[4:5], v[14:15], v[20:21]
	v_mul_f64_e32 v[20:21], v[16:17], v[20:21]
	s_delay_alu instid0(VALU_DEP_2) | instskip(NEXT) | instid1(VALU_DEP_2)
	v_fmac_f64_e32 v[4:5], v[16:17], v[18:19]
	v_fma_f64 v[14:15], v[14:15], v[18:19], -v[20:21]
	s_wait_dscnt 0x0
	s_delay_alu instid0(VALU_DEP_2) | instskip(NEXT) | instid1(VALU_DEP_2)
	v_mul_f64_e32 v[18:19], v[4:5], v[70:71]
	v_mul_f64_e32 v[16:17], v[14:15], v[70:71]
	s_delay_alu instid0(VALU_DEP_2) | instskip(NEXT) | instid1(VALU_DEP_2)
	v_fma_f64 v[14:15], v[68:69], v[14:15], -v[18:19]
	v_fmac_f64_e32 v[16:17], v[68:69], v[4:5]
	ds_store_b128 v2, v[14:17] offset:1568
.LBB184_408:                            ;   in Loop: Header=BB184_3 Depth=1
	s_or_b32 exec_lo, exec_lo, s46
	v_mov_b64_e32 v[14:15], 0
	v_mov_b64_e32 v[16:17], 0
	s_wait_dscnt 0x0
	s_barrier_signal -1
	s_barrier_wait -1
	global_wb scope:SCOPE_DEV
	s_wait_storecnt 0x0
	global_inv scope:SCOPE_DEV
	s_and_saveexec_b32 s46, s4
	s_cbranch_execz .LBB184_412
; %bb.409:                              ;   in Loop: Header=BB184_3 Depth=1
	ds_load_b128 v[14:17], v44 offset:1568
	ds_load_b128 v[18:21], v43 offset:1024
	s_wait_dscnt 0x0
	v_mul_f64_e32 v[4:5], v[16:17], v[20:21]
	v_mul_f64_e32 v[20:21], v[14:15], v[20:21]
	s_delay_alu instid0(VALU_DEP_2) | instskip(NEXT) | instid1(VALU_DEP_2)
	v_fma_f64 v[4:5], v[14:15], v[18:19], -v[4:5]
	v_fmac_f64_e32 v[20:21], v[16:17], v[18:19]
	s_delay_alu instid0(VALU_DEP_2) | instskip(NEXT) | instid1(VALU_DEP_2)
	v_add_f64_e32 v[14:15], 0, v[4:5]
	v_add_f64_e32 v[16:17], 0, v[20:21]
	s_and_saveexec_b32 s47, s5
	s_cbranch_execz .LBB184_411
; %bb.410:                              ;   in Loop: Header=BB184_3 Depth=1
	ds_load_b128 v[18:21], v2 offset:1584
	ds_load_b128 v[68:71], v45 offset:1536
	s_wait_dscnt 0x0
	v_mul_f64_e32 v[4:5], v[20:21], v[70:71]
	v_mul_f64_e32 v[40:41], v[18:19], v[70:71]
	s_delay_alu instid0(VALU_DEP_2) | instskip(NEXT) | instid1(VALU_DEP_2)
	v_fma_f64 v[4:5], v[18:19], v[68:69], -v[4:5]
	v_fmac_f64_e32 v[40:41], v[20:21], v[68:69]
	s_delay_alu instid0(VALU_DEP_2) | instskip(NEXT) | instid1(VALU_DEP_2)
	v_add_f64_e32 v[14:15], v[14:15], v[4:5]
	v_add_f64_e32 v[16:17], v[16:17], v[40:41]
.LBB184_411:                            ;   in Loop: Header=BB184_3 Depth=1
	s_or_b32 exec_lo, exec_lo, s47
.LBB184_412:                            ;   in Loop: Header=BB184_3 Depth=1
	s_delay_alu instid0(SALU_CYCLE_1)
	s_or_b32 exec_lo, exec_lo, s46
	s_and_saveexec_b32 s46, s69
	s_cbranch_execz .LBB184_414
; %bb.413:                              ;   in Loop: Header=BB184_3 Depth=1
	ds_load_b128 v[18:21], v2 offset:528
	s_wait_dscnt 0x0
	v_mul_f64_e32 v[4:5], v[16:17], v[20:21]
	s_delay_alu instid0(VALU_DEP_1) | instskip(SKIP_1) | instid1(VALU_DEP_1)
	v_fma_f64 v[4:5], v[14:15], v[18:19], -v[4:5]
	v_mul_f64_e32 v[40:41], v[14:15], v[20:21]
	v_fmac_f64_e32 v[40:41], v[16:17], v[18:19]
	s_delay_alu instid0(VALU_DEP_1) | instskip(NEXT) | instid1(VALU_DEP_4)
	v_mov_b32_e32 v20, v40
	v_mov_b64_e32 v[14:15], v[4:5]
	s_delay_alu instid0(VALU_DEP_3)
	v_mov_b64_e32 v[16:17], v[40:41]
	v_xor_b32_e32 v19, 0x80000000, v5
	v_xor_b32_e32 v21, 0x80000000, v41
	v_mov_b32_e32 v18, v4
	ds_store_b128 v23, v[18:21]
.LBB184_414:                            ;   in Loop: Header=BB184_3 Depth=1
	s_or_b32 exec_lo, exec_lo, s46
	s_wait_loadcnt_dscnt 0x0
	s_barrier_signal -1
	s_barrier_wait -1
	s_and_saveexec_b32 s46, s70
	s_cbranch_execz .LBB184_416
; %bb.415:                              ;   in Loop: Header=BB184_3 Depth=1
	ds_load_b128 v[18:21], v23
	ds_load_b128 v[68:71], v2 offset:512
	s_wait_dscnt 0x0
	v_mul_f64_e32 v[4:5], v[20:21], v[70:71]
	v_mul_f64_e32 v[40:41], v[18:19], v[70:71]
	s_delay_alu instid0(VALU_DEP_2) | instskip(NEXT) | instid1(VALU_DEP_2)
	v_fma_f64 v[4:5], v[18:19], v[68:69], -v[4:5]
	v_fmac_f64_e32 v[40:41], v[20:21], v[68:69]
	s_delay_alu instid0(VALU_DEP_2) | instskip(NEXT) | instid1(VALU_DEP_2)
	v_add_f64_e64 v[14:15], v[14:15], -v[4:5]
	v_add_f64_e64 v[16:17], v[16:17], -v[40:41]
.LBB184_416:                            ;   in Loop: Header=BB184_3 Depth=1
	s_or_b32 exec_lo, exec_lo, s46
	s_barrier_signal -1
	s_barrier_wait -1
	s_and_saveexec_b32 s46, s70
	s_cbranch_execz .LBB184_418
; %bb.417:                              ;   in Loop: Header=BB184_3 Depth=1
	ds_load_b128 v[18:21], v2
	s_wait_dscnt 0x0
	v_mul_f64_e32 v[4:5], v[16:17], v[20:21]
	s_delay_alu instid0(VALU_DEP_1) | instskip(SKIP_1) | instid1(VALU_DEP_1)
	v_fma_f64 v[4:5], v[14:15], v[18:19], -v[4:5]
	v_mul_f64_e32 v[40:41], v[14:15], v[20:21]
	v_fmac_f64_e32 v[40:41], v[16:17], v[18:19]
	s_delay_alu instid0(VALU_DEP_1) | instskip(NEXT) | instid1(VALU_DEP_4)
	v_mov_b32_e32 v20, v40
	v_mov_b64_e32 v[14:15], v[4:5]
	s_delay_alu instid0(VALU_DEP_3)
	v_mov_b64_e32 v[16:17], v[40:41]
	v_xor_b32_e32 v19, 0x80000000, v5
	v_xor_b32_e32 v21, 0x80000000, v41
	v_mov_b32_e32 v18, v4
	ds_store_b128 v23, v[18:21]
.LBB184_418:                            ;   in Loop: Header=BB184_3 Depth=1
	s_or_b32 exec_lo, exec_lo, s46
	s_wait_dscnt 0x0
	s_barrier_signal -1
	s_barrier_wait -1
	s_barrier_signal -1
	s_barrier_wait -1
	s_and_saveexec_b32 s46, s4
; %bb.419:                              ;   in Loop: Header=BB184_3 Depth=1
	ds_store_b128 v46, v[14:17] offset:1536
; %bb.420:                              ;   in Loop: Header=BB184_3 Depth=1
	s_or_b32 exec_lo, exec_lo, s46
	s_wait_dscnt 0x0
	s_barrier_signal -1
	s_barrier_wait -1
	s_barrier_signal -1
	s_barrier_wait -1
	s_and_saveexec_b32 s46, s3
	s_cbranch_execz .LBB184_422
; %bb.421:                              ;   in Loop: Header=BB184_3 Depth=1
	ds_load_b128 v[14:17], v2 offset:528
	ds_load_b128 v[18:21], v2
	ds_load_b128 v[68:71], v2 offset:512
	s_wait_dscnt 0x1
	v_mul_f64_e32 v[4:5], v[14:15], v[20:21]
	v_mul_f64_e32 v[20:21], v[16:17], v[20:21]
	s_delay_alu instid0(VALU_DEP_2) | instskip(NEXT) | instid1(VALU_DEP_2)
	v_fmac_f64_e32 v[4:5], v[16:17], v[18:19]
	v_fma_f64 v[14:15], v[14:15], v[18:19], -v[20:21]
	s_wait_dscnt 0x0
	s_delay_alu instid0(VALU_DEP_2) | instskip(NEXT) | instid1(VALU_DEP_2)
	v_mul_f64_e32 v[18:19], v[4:5], v[70:71]
	v_mul_f64_e32 v[16:17], v[14:15], v[70:71]
	s_delay_alu instid0(VALU_DEP_2) | instskip(NEXT) | instid1(VALU_DEP_2)
	v_fma_f64 v[14:15], v[68:69], v[14:15], -v[18:19]
	v_fmac_f64_e32 v[16:17], v[68:69], v[4:5]
	ds_store_b128 v2, v[14:17] offset:512
.LBB184_422:                            ;   in Loop: Header=BB184_3 Depth=1
	s_or_b32 exec_lo, exec_lo, s46
.LBB184_423:                            ;   in Loop: Header=BB184_3 Depth=1
	v_add_nc_u64_e32 v[38:39], s[0:1], v[38:39]
	v_mov_b64_e32 v[14:15], 0
	v_mov_b64_e32 v[16:17], 0
	s_wait_dscnt 0x0
	s_barrier_signal -1
	s_barrier_wait -1
	s_wait_xcnt 0x0
	s_and_saveexec_b32 s46, s94
	s_cbranch_execz .LBB184_425
; %bb.424:                              ;   in Loop: Header=BB184_3 Depth=1
	v_lshl_add_u64 v[4:5], v[0:1], 4, v[38:39]
	flat_load_b128 v[16:19], v[4:5]
	s_wait_loadcnt_dscnt 0x0
	v_mul_f64_e32 v[4:5], s[40:41], v[16:17]
	v_mul_f64_e32 v[20:21], s[40:41], v[18:19]
	s_delay_alu instid0(VALU_DEP_2) | instskip(NEXT) | instid1(VALU_DEP_2)
	v_fma_f64 v[14:15], s[42:43], v[18:19], -v[4:5]
	v_fma_f64 v[16:17], v[16:17], -s[42:43], -v[20:21]
.LBB184_425:                            ;   in Loop: Header=BB184_3 Depth=1
	s_or_b32 exec_lo, exec_lo, s46
	s_delay_alu instid0(SALU_CYCLE_1)
	s_and_not1_b32 vcc_lo, exec_lo, s95
	s_cbranch_vccnz .LBB184_448
; %bb.426:                              ;   in Loop: Header=BB184_3 Depth=1
	v_lshl_add_u64 v[18:19], v[26:27], 4, v[36:37]
	v_mov_b32_e32 v68, -1
	s_lshl_b64 s[46:47], s[52:53], 2
	s_mov_b32 s97, 0
	s_add_nc_u64 s[46:47], s[60:61], s[46:47]
	s_branch .LBB184_429
.LBB184_427:                            ;   in Loop: Header=BB184_429 Depth=2
	ds_load_b128 v[70:73], v60 offset:256
	s_wait_loadcnt_dscnt 0x0
	v_mul_f64_e32 v[20:21], v[36:37], v[72:73]
	v_mul_f64_e32 v[40:41], v[4:5], v[72:73]
	s_delay_alu instid0(VALU_DEP_2) | instskip(NEXT) | instid1(VALU_DEP_2)
	v_fma_f64 v[4:5], v[4:5], v[70:71], -v[20:21]
	v_fmac_f64_e32 v[40:41], v[36:37], v[70:71]
	s_delay_alu instid0(VALU_DEP_2) | instskip(NEXT) | instid1(VALU_DEP_2)
	v_add_f64_e32 v[14:15], v[14:15], v[4:5]
	v_add_f64_e32 v[16:17], v[16:17], v[40:41]
.LBB184_428:                            ;   in Loop: Header=BB184_429 Depth=2
	s_or_b32 exec_lo, exec_lo, s98
	s_add_co_i32 s97, s97, 1
	s_delay_alu instid0(SALU_CYCLE_1)
	s_cmp_eq_u32 s97, s64
	s_cbranch_scc1 .LBB184_448
.LBB184_429:                            ;   Parent Loop BB184_3 Depth=1
                                        ; =>  This Loop Header: Depth=2
                                        ;       Child Loop BB184_431 Depth 3
	v_cmp_gt_i32_e32 vcc_lo, s97, v68
	s_and_b32 s99, s33, vcc_lo
	s_delay_alu instid0(SALU_CYCLE_1)
	s_and_saveexec_b32 s98, s99
	s_cbranch_execz .LBB184_432
; %bb.430:                              ;   in Loop: Header=BB184_429 Depth=2
	global_load_b32 v68, v2, s[46:47]
	s_wait_loadcnt 0x0
	v_cmp_le_i32_e32 vcc_lo, s97, v68
	s_cbranch_vccnz .LBB184_432
.LBB184_431:                            ;   Parent Loop BB184_3 Depth=1
                                        ;     Parent Loop BB184_429 Depth=2
                                        ; =>    This Inner Loop Header: Depth=3
	global_wb scope:SCOPE_DEV
	s_wait_storecnt 0x0
	global_inv scope:SCOPE_DEV
	global_load_b32 v68, v2, s[46:47]
	s_wait_loadcnt 0x0
	v_cmp_gt_i32_e32 vcc_lo, s97, v68
	s_cbranch_vccnz .LBB184_431
.LBB184_432:                            ;   in Loop: Header=BB184_429 Depth=2
	s_or_b32 exec_lo, exec_lo, s98
	s_sub_co_i32 s98, s65, s97
	global_wb scope:SCOPE_DEV
	s_wait_storecnt 0x0
	global_inv scope:SCOPE_DEV
	s_lshl_b32 s99, s98, 5
	s_wait_loadcnt 0x0
	s_barrier_signal -1
	s_barrier_wait -1
	s_and_saveexec_b32 s100, s34
	s_cbranch_execz .LBB184_437
; %bb.433:                              ;   in Loop: Header=BB184_429 Depth=2
	s_ashr_i32 vcc_lo, s99, 31
	s_delay_alu instid0(SALU_CYCLE_1) | instskip(NEXT) | instid1(VALU_DEP_1)
	v_dual_mov_b32 v5, vcc_lo :: v_dual_bitop2_b32 v4, s99, v24 bitop3:0x54
	v_cmp_le_i64_e32 vcc_lo, s[54:55], v[4:5]
	s_and_saveexec_b32 s101, vcc_lo
	s_delay_alu instid0(SALU_CYCLE_1)
	s_xor_b32 vcc_lo, exec_lo, s101
; %bb.434:                              ;   in Loop: Header=BB184_429 Depth=2
	v_dual_mov_b32 v3, v2 :: v_dual_mov_b32 v4, v2
	v_mov_b32_e32 v5, v2
	ds_store_b128 v59, v[2:5]
                                        ; implicit-def: $vgpr4_vgpr5
; %bb.435:                              ;   in Loop: Header=BB184_429 Depth=2
	s_and_not1_saveexec_b32 s101, vcc_lo
	s_cbranch_execz .LBB184_437
; %bb.436:                              ;   in Loop: Header=BB184_429 Depth=2
	v_mul_u64_e32 v[4:5], s[58:59], v[4:5]
	s_delay_alu instid0(VALU_DEP_1)
	v_lshl_add_u64 v[4:5], v[4:5], 4, v[38:39]
	flat_load_b128 v[70:73], v[4:5]
	s_wait_loadcnt_dscnt 0x0
	ds_store_2addr_b64 v59, v[70:71], v[72:73] offset1:1
.LBB184_437:                            ;   in Loop: Header=BB184_429 Depth=2
	s_or_b32 exec_lo, exec_lo, s100
	v_add_nc_u32_e32 v4, s99, v42
	s_cmp_lg_u32 s98, s23
	s_wait_dscnt 0x0
	s_cselect_b32 s99, -1, 0
	s_barrier_signal -1
	v_ashrrev_i32_e32 v5, 31, v4
	v_cmp_gt_i32_e32 vcc_lo, s54, v4
	v_cndmask_b32_e64 v3, 0, 1, s99
	s_barrier_wait -1
	s_delay_alu instid0(VALU_DEP_3) | instskip(SKIP_1) | instid1(VALU_DEP_1)
	v_mul_u64_e32 v[20:21], s[56:57], v[4:5]
	s_and_b32 s100, s2, vcc_lo
	v_lshl_add_u64 v[20:21], v[20:21], 4, v[18:19]
	s_and_saveexec_b32 s98, s100
	s_cbranch_execz .LBB184_443
; %bb.438:                              ;   in Loop: Header=BB184_429 Depth=2
	v_mov_b64_e32 v[36:37], v[6:7]
	s_and_not1_b32 vcc_lo, exec_lo, s99
	s_cbranch_vccnz .LBB184_440
; %bb.439:                              ;   in Loop: Header=BB184_429 Depth=2
	flat_load_b64 v[36:37], v[20:21]
.LBB184_440:                            ;   in Loop: Header=BB184_429 Depth=2
	v_cmp_ne_u32_e32 vcc_lo, 1, v3
	v_mov_b64_e32 v[40:41], v[8:9]
	s_cbranch_vccnz .LBB184_442
; %bb.441:                              ;   in Loop: Header=BB184_429 Depth=2
	flat_load_b64 v[40:41], v[20:21] offset:8
.LBB184_442:                            ;   in Loop: Header=BB184_429 Depth=2
	ds_load_b128 v[70:73], v60
	s_wait_loadcnt_dscnt 0x0
	v_mul_f64_e32 v[74:75], v[40:41], v[72:73]
	v_mul_f64_e32 v[72:73], v[36:37], v[72:73]
	s_delay_alu instid0(VALU_DEP_2) | instskip(NEXT) | instid1(VALU_DEP_2)
	v_fma_f64 v[36:37], v[36:37], v[70:71], -v[74:75]
	v_fmac_f64_e32 v[72:73], v[40:41], v[70:71]
	s_delay_alu instid0(VALU_DEP_2) | instskip(NEXT) | instid1(VALU_DEP_2)
	v_add_f64_e32 v[14:15], v[14:15], v[36:37]
	v_add_f64_e32 v[16:17], v[16:17], v[72:73]
.LBB184_443:                            ;   in Loop: Header=BB184_429 Depth=2
	s_or_b32 exec_lo, exec_lo, s98
	v_add_nc_u32_e32 v4, 16, v4
	s_delay_alu instid0(VALU_DEP_1) | instskip(SKIP_1) | instid1(SALU_CYCLE_1)
	v_cmp_gt_i32_e32 vcc_lo, s54, v4
	s_and_b32 s99, s2, vcc_lo
	s_and_saveexec_b32 s98, s99
	s_cbranch_execz .LBB184_428
; %bb.444:                              ;   in Loop: Header=BB184_429 Depth=2
	v_cmp_ne_u32_e32 vcc_lo, 1, v3
	v_add_nc_u64_e32 v[20:21], s[62:63], v[20:21]
	v_mov_b64_e32 v[4:5], v[10:11]
	s_cbranch_vccnz .LBB184_446
; %bb.445:                              ;   in Loop: Header=BB184_429 Depth=2
	flat_load_b64 v[4:5], v[20:21]
.LBB184_446:                            ;   in Loop: Header=BB184_429 Depth=2
	v_cmp_ne_u32_e32 vcc_lo, 1, v3
	v_mov_b64_e32 v[36:37], v[12:13]
	s_cbranch_vccnz .LBB184_427
; %bb.447:                              ;   in Loop: Header=BB184_429 Depth=2
	flat_load_b64 v[36:37], v[20:21] offset:8
	s_branch .LBB184_427
.LBB184_448:                            ;   in Loop: Header=BB184_3 Depth=1
	ds_store_b128 v25, v[14:17]
	s_wait_dscnt 0x0
	s_barrier_signal -1
	s_barrier_wait -1
	s_and_saveexec_b32 s46, s15
	s_cbranch_execz .LBB184_450
; %bb.449:                              ;   in Loop: Header=BB184_3 Depth=1
	ds_load_b128 v[18:21], v61 offset:512
	ds_load_b128 v[68:71], v61 offset:1024
	s_wait_dscnt 0x1
	v_add_f64_e32 v[4:5], v[14:15], v[18:19]
	v_add_f64_e32 v[14:15], v[16:17], v[20:21]
	s_wait_dscnt 0x0
	s_delay_alu instid0(VALU_DEP_2) | instskip(NEXT) | instid1(VALU_DEP_2)
	v_add_f64_e32 v[4:5], v[4:5], v[68:69]
	v_add_f64_e32 v[36:37], v[14:15], v[70:71]
	ds_load_b128 v[14:17], v61 offset:1536
	ds_load_b128 v[18:21], v61 offset:2048
	s_wait_dscnt 0x1
	v_add_f64_e32 v[4:5], v[4:5], v[14:15]
	v_add_f64_e32 v[14:15], v[36:37], v[16:17]
	s_wait_dscnt 0x0
	s_delay_alu instid0(VALU_DEP_2) | instskip(NEXT) | instid1(VALU_DEP_2)
	v_add_f64_e32 v[4:5], v[4:5], v[18:19]
	v_add_f64_e32 v[36:37], v[14:15], v[20:21]
	;; [unrolled: 9-line block ×7, first 2 shown]
	ds_load_b128 v[14:17], v61 offset:7680
	s_wait_dscnt 0x0
	v_add_f64_e32 v[4:5], v[4:5], v[14:15]
	v_add_f64_e32 v[16:17], v[18:19], v[16:17]
	s_delay_alu instid0(VALU_DEP_2) | instskip(NEXT) | instid1(VALU_DEP_2)
	v_xor_b32_e32 v3, 0x80000000, v5
	v_xor_b32_e32 v5, 0x80000000, v17
	s_delay_alu instid0(VALU_DEP_4) | instskip(NEXT) | instid1(VALU_DEP_4)
	v_cndmask_b32_e64 v14, v4, 0, s92
	v_cndmask_b32_e64 v16, v16, 0, s92
	s_delay_alu instid0(VALU_DEP_4) | instskip(NEXT) | instid1(VALU_DEP_4)
	v_cndmask_b32_e64 v15, v3, 0, s92
	v_cndmask_b32_e64 v17, v5, 0, s92
.LBB184_450:                            ;   in Loop: Header=BB184_3 Depth=1
	s_or_b32 exec_lo, exec_lo, s46
	s_delay_alu instid0(SALU_CYCLE_1)
	s_and_not1_b32 vcc_lo, exec_lo, s68
	s_cbranch_vccnz .LBB184_459
; %bb.451:                              ;   in Loop: Header=BB184_3 Depth=1
	s_and_saveexec_b32 s46, s15
; %bb.452:                              ;   in Loop: Header=BB184_3 Depth=1
	ds_store_b128 v63, v[14:17]
; %bb.453:                              ;   in Loop: Header=BB184_3 Depth=1
	s_or_b32 exec_lo, exec_lo, s46
	v_mov_b64_e32 v[18:19], 0
	v_mov_b64_e32 v[20:21], 0
	s_wait_dscnt 0x0
	s_barrier_signal -1
	s_barrier_wait -1
	s_and_saveexec_b32 s46, s35
	s_cbranch_execz .LBB184_455
; %bb.454:                              ;   in Loop: Header=BB184_3 Depth=1
	ds_load_b128 v[18:21], v60
	ds_load_b128 v[68:71], v62
	s_wait_dscnt 0x0
	v_mul_f64_e32 v[4:5], v[20:21], v[70:71]
	v_mul_f64_e32 v[36:37], v[18:19], v[70:71]
	s_delay_alu instid0(VALU_DEP_2) | instskip(NEXT) | instid1(VALU_DEP_2)
	v_fma_f64 v[4:5], v[18:19], v[68:69], -v[4:5]
	v_fmac_f64_e32 v[36:37], v[20:21], v[68:69]
	s_delay_alu instid0(VALU_DEP_2) | instskip(NEXT) | instid1(VALU_DEP_2)
	v_add_f64_e32 v[18:19], 0, v[4:5]
	v_add_f64_e32 v[20:21], 0, v[36:37]
.LBB184_455:                            ;   in Loop: Header=BB184_3 Depth=1
	s_or_b32 exec_lo, exec_lo, s46
	s_and_saveexec_b32 s46, s36
	s_cbranch_execz .LBB184_457
; %bb.456:                              ;   in Loop: Header=BB184_3 Depth=1
	ds_load_b128 v[68:71], v60 offset:256
	ds_load_b128 v[72:75], v62 offset:8192
	s_wait_dscnt 0x0
	v_mul_f64_e32 v[4:5], v[70:71], v[74:75]
	v_mul_f64_e32 v[36:37], v[68:69], v[74:75]
	s_delay_alu instid0(VALU_DEP_2) | instskip(NEXT) | instid1(VALU_DEP_2)
	v_fma_f64 v[4:5], v[68:69], v[72:73], -v[4:5]
	v_fmac_f64_e32 v[36:37], v[70:71], v[72:73]
	s_delay_alu instid0(VALU_DEP_2) | instskip(NEXT) | instid1(VALU_DEP_2)
	v_add_f64_e32 v[18:19], v[18:19], v[4:5]
	v_add_f64_e32 v[20:21], v[20:21], v[36:37]
.LBB184_457:                            ;   in Loop: Header=BB184_3 Depth=1
	s_or_b32 exec_lo, exec_lo, s46
	s_mov_b32 s47, 0
	s_mov_b32 s46, 0
	ds_store_b128 v25, v[18:21]
	s_wait_dscnt 0x0
	s_barrier_signal -1
	s_barrier_wait -1
                                        ; implicit-def: $vgpr4_vgpr5
                                        ; implicit-def: $vgpr36_vgpr37
	s_and_saveexec_b32 s97, s15
	s_cbranch_execz .LBB184_520
; %bb.458:                              ;   in Loop: Header=BB184_3 Depth=1
	ds_load_b128 v[68:71], v61 offset:512
	ds_load_b128 v[72:75], v61 offset:1024
	s_mov_b32 s46, exec_lo
	s_wait_dscnt 0x1
	v_add_f64_e32 v[4:5], v[18:19], v[68:69]
	v_add_f64_e32 v[18:19], v[20:21], v[70:71]
	s_wait_dscnt 0x0
	s_delay_alu instid0(VALU_DEP_2) | instskip(NEXT) | instid1(VALU_DEP_2)
	v_add_f64_e32 v[4:5], v[4:5], v[72:73]
	v_add_f64_e32 v[36:37], v[18:19], v[74:75]
	ds_load_b128 v[18:21], v61 offset:1536
	ds_load_b128 v[68:71], v61 offset:2048
	s_wait_dscnt 0x1
	v_add_f64_e32 v[4:5], v[4:5], v[18:19]
	v_add_f64_e32 v[18:19], v[36:37], v[20:21]
	s_wait_dscnt 0x0
	s_delay_alu instid0(VALU_DEP_2) | instskip(NEXT) | instid1(VALU_DEP_2)
	v_add_f64_e32 v[4:5], v[4:5], v[68:69]
	v_add_f64_e32 v[36:37], v[18:19], v[70:71]
	ds_load_b128 v[18:21], v61 offset:2560
	ds_load_b128 v[68:71], v61 offset:3072
	;; [unrolled: 9-line block ×6, first 2 shown]
	s_wait_dscnt 0x1
	v_add_f64_e32 v[4:5], v[4:5], v[18:19]
	v_add_f64_e32 v[18:19], v[36:37], v[20:21]
	s_wait_dscnt 0x0
	s_delay_alu instid0(VALU_DEP_2) | instskip(NEXT) | instid1(VALU_DEP_2)
	v_add_f64_e32 v[4:5], v[4:5], v[68:69]
	v_add_f64_e32 v[40:41], v[18:19], v[70:71]
	ds_load_b128 v[18:21], v61 offset:7680
	s_wait_dscnt 0x0
	v_add_f64_e32 v[36:37], v[4:5], v[18:19]
	v_add_f64_e32 v[4:5], v[40:41], v[20:21]
	s_or_b32 exec_lo, exec_lo, s97
	s_delay_alu instid0(SALU_CYCLE_1)
	s_and_b32 vcc_lo, exec_lo, s47
	s_cbranch_vccnz .LBB184_460
	s_branch .LBB184_521
.LBB184_459:                            ;   in Loop: Header=BB184_3 Depth=1
	s_mov_b32 s46, 0
                                        ; implicit-def: $vgpr4_vgpr5
                                        ; implicit-def: $vgpr36_vgpr37
	s_cbranch_execz .LBB184_521
.LBB184_460:                            ;   in Loop: Header=BB184_3 Depth=1
	v_mov_b32_e32 v3, v65
	s_mov_b32 s47, 31
	s_branch .LBB184_462
.LBB184_461:                            ;   in Loop: Header=BB184_462 Depth=2
	s_or_b32 exec_lo, exec_lo, s98
	v_add_nc_u32_e32 v3, 0xfffffc00, v3
	s_add_co_i32 s47, s47, -2
	s_cmp_lg_u32 s97, 0
	s_barrier_signal -1
	s_barrier_wait -1
	s_cbranch_scc0 .LBB184_470
.LBB184_462:                            ;   Parent Loop BB184_3 Depth=1
                                        ; =>  This Inner Loop Header: Depth=2
	s_delay_alu instid0(VALU_DEP_1) | instskip(SKIP_1) | instid1(SALU_CYCLE_1)
	v_cmp_eq_u32_e32 vcc_lo, 0xffffc200, v3
	s_and_b32 s98, s15, vcc_lo
	s_and_saveexec_b32 s97, s98
	s_cbranch_execz .LBB184_464
; %bb.463:                              ;   in Loop: Header=BB184_462 Depth=2
	ds_load_b128 v[18:21], v64
	s_wait_dscnt 0x0
	v_mul_f64_e32 v[4:5], v[16:17], v[20:21]
	v_mul_f64_e32 v[70:71], v[14:15], v[20:21]
	s_delay_alu instid0(VALU_DEP_2) | instskip(NEXT) | instid1(VALU_DEP_2)
	v_fma_f64 v[68:69], v[14:15], v[18:19], -v[4:5]
	v_fmac_f64_e32 v[70:71], v[16:17], v[18:19]
	s_delay_alu instid0(VALU_DEP_2) | instskip(NEXT) | instid1(VALU_DEP_2)
	v_mov_b64_e32 v[14:15], v[68:69]
	v_mov_b64_e32 v[16:17], v[70:71]
	ds_store_b128 v2, v[68:71] offset:25088
.LBB184_464:                            ;   in Loop: Header=BB184_462 Depth=2
	s_or_b32 exec_lo, exec_lo, s97
	v_cmp_gt_u32_e32 vcc_lo, s47, v22
	v_add_nc_u32_e32 v4, v66, v3
	s_wait_dscnt 0x0
	s_barrier_signal -1
	s_barrier_wait -1
	s_and_b32 s98, s15, vcc_lo
	s_delay_alu instid0(SALU_CYCLE_1)
	s_and_saveexec_b32 s97, s98
	s_cbranch_execz .LBB184_466
; %bb.465:                              ;   in Loop: Header=BB184_462 Depth=2
	ds_load_b128 v[18:21], v2 offset:25088
	ds_load_b128 v[68:71], v4 offset:512
	s_wait_dscnt 0x0
	v_mul_f64_e32 v[36:37], v[20:21], v[70:71]
	v_mul_f64_e32 v[40:41], v[18:19], v[70:71]
	s_delay_alu instid0(VALU_DEP_2) | instskip(NEXT) | instid1(VALU_DEP_2)
	v_fma_f64 v[18:19], v[18:19], v[68:69], -v[36:37]
	v_fmac_f64_e32 v[40:41], v[20:21], v[68:69]
	s_delay_alu instid0(VALU_DEP_2) | instskip(NEXT) | instid1(VALU_DEP_2)
	v_add_f64_e32 v[14:15], v[14:15], v[18:19]
	v_add_f64_e32 v[16:17], v[16:17], v[40:41]
.LBB184_466:                            ;   in Loop: Header=BB184_462 Depth=2
	s_or_b32 exec_lo, exec_lo, s97
	s_add_co_i32 s97, s47, -1
	s_delay_alu instid0(SALU_CYCLE_1) | instskip(SKIP_3) | instid1(SALU_CYCLE_1)
	v_cmp_eq_u32_e32 vcc_lo, s97, v22
	s_barrier_signal -1
	s_barrier_wait -1
	s_and_b32 s99, s15, vcc_lo
	s_and_saveexec_b32 s98, s99
	s_cbranch_execz .LBB184_468
; %bb.467:                              ;   in Loop: Header=BB184_462 Depth=2
	ds_load_b128 v[18:21], v64
	s_wait_dscnt 0x0
	v_mul_f64_e32 v[36:37], v[16:17], v[20:21]
	v_mul_f64_e32 v[70:71], v[14:15], v[20:21]
	s_delay_alu instid0(VALU_DEP_2) | instskip(NEXT) | instid1(VALU_DEP_2)
	v_fma_f64 v[68:69], v[14:15], v[18:19], -v[36:37]
	v_fmac_f64_e32 v[70:71], v[16:17], v[18:19]
	s_delay_alu instid0(VALU_DEP_2) | instskip(NEXT) | instid1(VALU_DEP_2)
	v_mov_b64_e32 v[14:15], v[68:69]
	v_mov_b64_e32 v[16:17], v[70:71]
	ds_store_b128 v2, v[68:71] offset:25088
.LBB184_468:                            ;   in Loop: Header=BB184_462 Depth=2
	s_or_b32 exec_lo, exec_lo, s98
	v_cmp_gt_u32_e32 vcc_lo, s97, v22
	s_wait_dscnt 0x0
	s_barrier_signal -1
	s_barrier_wait -1
	s_and_b32 s99, s15, vcc_lo
	s_delay_alu instid0(SALU_CYCLE_1)
	s_and_saveexec_b32 s98, s99
	s_cbranch_execz .LBB184_461
; %bb.469:                              ;   in Loop: Header=BB184_462 Depth=2
	ds_load_b128 v[18:21], v2 offset:25088
	ds_load_b128 v[68:71], v4
	s_wait_dscnt 0x0
	v_mul_f64_e32 v[4:5], v[20:21], v[70:71]
	v_mul_f64_e32 v[36:37], v[18:19], v[70:71]
	s_delay_alu instid0(VALU_DEP_2) | instskip(NEXT) | instid1(VALU_DEP_2)
	v_fma_f64 v[4:5], v[18:19], v[68:69], -v[4:5]
	v_fmac_f64_e32 v[36:37], v[20:21], v[68:69]
	s_delay_alu instid0(VALU_DEP_2) | instskip(NEXT) | instid1(VALU_DEP_2)
	v_add_f64_e32 v[14:15], v[14:15], v[4:5]
	v_add_f64_e32 v[16:17], v[16:17], v[36:37]
	s_branch .LBB184_461
.LBB184_470:                            ;   in Loop: Header=BB184_3 Depth=1
	s_and_b32 vcc_lo, exec_lo, s66
	s_mov_b32 s47, -1
	s_cbranch_vccnz .LBB184_522
; %bb.471:                              ;   in Loop: Header=BB184_3 Depth=1
	s_and_not1_b32 vcc_lo, exec_lo, s47
	s_cbranch_vccz .LBB184_523
.LBB184_472:                            ;   in Loop: Header=BB184_3 Depth=1
	s_and_saveexec_b32 s47, s46
	s_cbranch_execz .LBB184_474
.LBB184_473:                            ;   in Loop: Header=BB184_3 Depth=1
	v_lshl_add_u64 v[4:5], v[30:31], 4, v[38:39]
	flat_store_b128 v[4:5], v[14:17]
.LBB184_474:                            ;   in Loop: Header=BB184_3 Depth=1
	s_wait_xcnt 0x0
	s_or_b32 exec_lo, exec_lo, s47
	global_wb scope:SCOPE_DEV
	s_wait_storecnt_dscnt 0x0
	global_inv scope:SCOPE_DEV
	s_wait_loadcnt 0x0
	s_barrier_signal -1
	s_barrier_wait -1
	s_and_saveexec_b32 s46, s33
	s_cbranch_execz .LBB184_2
; %bb.475:                              ;   in Loop: Header=BB184_3 Depth=1
	s_lshl_b64 s[98:99], s[52:53], 2
	s_delay_alu instid0(SALU_CYCLE_1)
	s_add_nc_u64 s[98:99], s[60:61], s[98:99]
	global_load_b32 v3, v2, s[98:99]
	s_wait_loadcnt 0x0
	v_add_nc_u32_e32 v3, 1, v3
	global_store_b32 v2, v3, s[98:99]
	s_branch .LBB184_2
.LBB184_476:                            ;   in Loop: Header=BB184_3 Depth=1
	s_mov_b32 s97, exec_lo
	v_readlane_b32 s98, v76, 15
	s_and_b32 s98, s97, s98
	s_delay_alu instid0(SALU_CYCLE_1)
	s_xor_b32 s97, s98, s97
	s_mov_b32 exec_lo, s98
	s_cbranch_execz .LBB184_478
; %bb.477:                              ;   in Loop: Header=BB184_3 Depth=1
	v_readlane_b32 s47, v76, 30
	s_and_b32 s47, s47, exec_lo
.LBB184_478:                            ;   in Loop: Header=BB184_3 Depth=1
	s_or_saveexec_b32 s97, s97
	v_mov_b64_e32 v[16:17], 0
	v_mov_b64_e32 v[14:15], 0
	s_xor_b32 exec_lo, exec_lo, s97
	s_cbranch_execz .LBB184_484
; %bb.479:                              ;   in Loop: Header=BB184_3 Depth=1
	v_lshl_add_u64 v[4:5], v[32:33], 4, v[36:37]
                                        ; implicit-def: $vgpr16_vgpr17
	flat_load_b128 v[18:21], v[4:5]
	s_wait_loadcnt_dscnt 0x0
	v_cmp_ngt_f64_e64 s98, |v[18:19]|, |v[20:21]|
	s_and_saveexec_b32 s99, s98
	s_delay_alu instid0(SALU_CYCLE_1)
	s_xor_b32 s98, exec_lo, s99
	s_cbranch_execz .LBB184_481
; %bb.480:                              ;   in Loop: Header=BB184_3 Depth=1
	v_div_scale_f64 v[4:5], null, v[20:21], v[20:21], v[18:19]
	v_div_scale_f64 v[40:41], vcc_lo, v[18:19], v[20:21], v[18:19]
	s_delay_alu instid0(VALU_DEP_2) | instskip(SKIP_1) | instid1(TRANS32_DEP_1)
	v_rcp_f64_e32 v[14:15], v[4:5]
	v_nop
	v_fma_f64 v[16:17], -v[4:5], v[14:15], 1.0
	s_delay_alu instid0(VALU_DEP_1) | instskip(NEXT) | instid1(VALU_DEP_1)
	v_fmac_f64_e32 v[14:15], v[14:15], v[16:17]
	v_fma_f64 v[16:17], -v[4:5], v[14:15], 1.0
	s_delay_alu instid0(VALU_DEP_1) | instskip(NEXT) | instid1(VALU_DEP_1)
	v_fmac_f64_e32 v[14:15], v[14:15], v[16:17]
	v_mul_f64_e32 v[16:17], v[40:41], v[14:15]
	s_delay_alu instid0(VALU_DEP_1) | instskip(NEXT) | instid1(VALU_DEP_1)
	v_fma_f64 v[4:5], -v[4:5], v[16:17], v[40:41]
	v_div_fmas_f64 v[4:5], v[4:5], v[14:15], v[16:17]
	s_delay_alu instid0(VALU_DEP_1) | instskip(NEXT) | instid1(VALU_DEP_1)
	v_div_fixup_f64 v[4:5], v[4:5], v[20:21], v[18:19]
	v_fmac_f64_e32 v[20:21], v[18:19], v[4:5]
	s_delay_alu instid0(VALU_DEP_1) | instskip(NEXT) | instid1(VALU_DEP_1)
	v_div_scale_f64 v[14:15], null, v[20:21], v[20:21], 1.0
	v_rcp_f64_e32 v[16:17], v[14:15]
	v_nop
	s_delay_alu instid0(TRANS32_DEP_1) | instskip(NEXT) | instid1(VALU_DEP_1)
	v_fma_f64 v[18:19], -v[14:15], v[16:17], 1.0
	v_fmac_f64_e32 v[16:17], v[16:17], v[18:19]
	s_delay_alu instid0(VALU_DEP_1) | instskip(NEXT) | instid1(VALU_DEP_1)
	v_fma_f64 v[18:19], -v[14:15], v[16:17], 1.0
	v_fmac_f64_e32 v[16:17], v[16:17], v[18:19]
	v_div_scale_f64 v[18:19], vcc_lo, 1.0, v[20:21], 1.0
	s_delay_alu instid0(VALU_DEP_1) | instskip(NEXT) | instid1(VALU_DEP_1)
	v_mul_f64_e32 v[40:41], v[18:19], v[16:17]
	v_fma_f64 v[14:15], -v[14:15], v[40:41], v[18:19]
	s_delay_alu instid0(VALU_DEP_1) | instskip(NEXT) | instid1(VALU_DEP_1)
	v_div_fmas_f64 v[14:15], v[14:15], v[16:17], v[40:41]
	v_div_fixup_f64 v[16:17], v[14:15], v[20:21], 1.0
                                        ; implicit-def: $vgpr18_vgpr19
	s_delay_alu instid0(VALU_DEP_1)
	v_mul_f64_e32 v[14:15], v[4:5], v[16:17]
	v_xor_b32_e32 v17, 0x80000000, v17
.LBB184_481:                            ;   in Loop: Header=BB184_3 Depth=1
	s_and_not1_saveexec_b32 s98, s98
	s_cbranch_execz .LBB184_483
; %bb.482:                              ;   in Loop: Header=BB184_3 Depth=1
	v_div_scale_f64 v[4:5], null, v[18:19], v[18:19], v[20:21]
	v_div_scale_f64 v[40:41], vcc_lo, v[20:21], v[18:19], v[20:21]
	s_delay_alu instid0(VALU_DEP_2) | instskip(SKIP_1) | instid1(TRANS32_DEP_1)
	v_rcp_f64_e32 v[14:15], v[4:5]
	v_nop
	v_fma_f64 v[16:17], -v[4:5], v[14:15], 1.0
	s_delay_alu instid0(VALU_DEP_1) | instskip(NEXT) | instid1(VALU_DEP_1)
	v_fmac_f64_e32 v[14:15], v[14:15], v[16:17]
	v_fma_f64 v[16:17], -v[4:5], v[14:15], 1.0
	s_delay_alu instid0(VALU_DEP_1) | instskip(NEXT) | instid1(VALU_DEP_1)
	v_fmac_f64_e32 v[14:15], v[14:15], v[16:17]
	v_mul_f64_e32 v[16:17], v[40:41], v[14:15]
	s_delay_alu instid0(VALU_DEP_1) | instskip(NEXT) | instid1(VALU_DEP_1)
	v_fma_f64 v[4:5], -v[4:5], v[16:17], v[40:41]
	v_div_fmas_f64 v[4:5], v[4:5], v[14:15], v[16:17]
	s_delay_alu instid0(VALU_DEP_1) | instskip(NEXT) | instid1(VALU_DEP_1)
	v_div_fixup_f64 v[4:5], v[4:5], v[18:19], v[20:21]
	v_fmac_f64_e32 v[18:19], v[20:21], v[4:5]
	s_delay_alu instid0(VALU_DEP_1) | instskip(NEXT) | instid1(VALU_DEP_1)
	v_div_scale_f64 v[14:15], null, v[18:19], v[18:19], 1.0
	v_rcp_f64_e32 v[16:17], v[14:15]
	v_nop
	s_delay_alu instid0(TRANS32_DEP_1) | instskip(NEXT) | instid1(VALU_DEP_1)
	v_fma_f64 v[20:21], -v[14:15], v[16:17], 1.0
	v_fmac_f64_e32 v[16:17], v[16:17], v[20:21]
	s_delay_alu instid0(VALU_DEP_1) | instskip(NEXT) | instid1(VALU_DEP_1)
	v_fma_f64 v[20:21], -v[14:15], v[16:17], 1.0
	v_fmac_f64_e32 v[16:17], v[16:17], v[20:21]
	v_div_scale_f64 v[20:21], vcc_lo, 1.0, v[18:19], 1.0
	s_delay_alu instid0(VALU_DEP_1) | instskip(NEXT) | instid1(VALU_DEP_1)
	v_mul_f64_e32 v[40:41], v[20:21], v[16:17]
	v_fma_f64 v[14:15], -v[14:15], v[40:41], v[20:21]
	s_delay_alu instid0(VALU_DEP_1) | instskip(NEXT) | instid1(VALU_DEP_1)
	v_div_fmas_f64 v[14:15], v[14:15], v[16:17], v[40:41]
	v_div_fixup_f64 v[14:15], v[14:15], v[18:19], 1.0
	s_delay_alu instid0(VALU_DEP_1)
	v_mul_f64_e64 v[16:17], v[4:5], -v[14:15]
.LBB184_483:                            ;   in Loop: Header=BB184_3 Depth=1
	s_or_b32 exec_lo, exec_lo, s98
	s_delay_alu instid0(SALU_CYCLE_1)
	s_or_b32 s47, s47, exec_lo
.LBB184_484:                            ;   in Loop: Header=BB184_3 Depth=1
	s_or_b32 exec_lo, exec_lo, s97
	s_delay_alu instid0(SALU_CYCLE_1)
	s_and_b32 s47, s47, exec_lo
	s_and_not1_saveexec_b32 s46, s46
	s_cbranch_execz .LBB184_12
.LBB184_485:                            ;   in Loop: Header=BB184_3 Depth=1
	v_lshl_add_u64 v[4:5], v[32:33], 4, v[36:37]
	s_or_b32 s47, s47, exec_lo
	flat_load_b128 v[14:17], v[4:5]
	s_wait_loadcnt_dscnt 0x0
	v_xor_b32_e32 v15, 0x80000000, v15
	v_xor_b32_e32 v17, 0x80000000, v17
	s_or_b32 exec_lo, exec_lo, s46
	s_and_saveexec_b32 s46, s47
	s_cbranch_execz .LBB184_13
.LBB184_486:                            ;   in Loop: Header=BB184_3 Depth=1
	ds_store_b128 v62, v[14:17]
	s_or_b32 exec_lo, exec_lo, s46
	s_and_saveexec_b32 s46, s18
	s_delay_alu instid0(SALU_CYCLE_1)
	s_xor_b32 s46, exec_lo, s46
	s_cbranch_execz .LBB184_14
.LBB184_487:                            ;   in Loop: Header=BB184_3 Depth=1
	s_mov_b32 s47, exec_lo
	v_readlane_b32 s97, v76, 17
	s_and_b32 s97, s47, s97
	s_delay_alu instid0(SALU_CYCLE_1)
	s_xor_b32 s47, s97, s47
	s_mov_b32 exec_lo, s97
	s_cbranch_execz .LBB184_491
; %bb.488:                              ;   in Loop: Header=BB184_3 Depth=1
	s_mov_b32 s97, exec_lo
	v_readlane_b32 s98, v76, 31
	s_and_b32 s98, s97, s98
	s_delay_alu instid0(SALU_CYCLE_1)
	s_mov_b32 exec_lo, s98
; %bb.489:                              ;   in Loop: Header=BB184_3 Depth=1
	v_dual_mov_b32 v3, v2 :: v_dual_mov_b32 v4, v2
	v_mov_b32_e32 v5, v2
	ds_store_b128 v67, v[2:5]
; %bb.490:                              ;   in Loop: Header=BB184_3 Depth=1
	s_or_b32 exec_lo, exec_lo, s97
.LBB184_491:                            ;   in Loop: Header=BB184_3 Depth=1
	s_and_not1_saveexec_b32 s47, s47
	s_cbranch_execz .LBB184_497
; %bb.492:                              ;   in Loop: Header=BB184_3 Depth=1
	v_lshl_add_u64 v[4:5], v[34:35], 4, v[36:37]
                                        ; implicit-def: $vgpr18_vgpr19
	flat_load_b128 v[14:17], v[4:5]
	s_wait_loadcnt_dscnt 0x0
	v_cmp_ngt_f64_e64 s97, |v[14:15]|, |v[16:17]|
	s_and_saveexec_b32 s98, s97
	s_delay_alu instid0(SALU_CYCLE_1)
	s_xor_b32 s97, exec_lo, s98
	s_cbranch_execz .LBB184_494
; %bb.493:                              ;   in Loop: Header=BB184_3 Depth=1
	v_div_scale_f64 v[4:5], null, v[16:17], v[16:17], v[14:15]
	v_div_scale_f64 v[40:41], vcc_lo, v[14:15], v[16:17], v[14:15]
	s_delay_alu instid0(VALU_DEP_2) | instskip(SKIP_1) | instid1(TRANS32_DEP_1)
	v_rcp_f64_e32 v[18:19], v[4:5]
	v_nop
	v_fma_f64 v[20:21], -v[4:5], v[18:19], 1.0
	s_delay_alu instid0(VALU_DEP_1) | instskip(NEXT) | instid1(VALU_DEP_1)
	v_fmac_f64_e32 v[18:19], v[18:19], v[20:21]
	v_fma_f64 v[20:21], -v[4:5], v[18:19], 1.0
	s_delay_alu instid0(VALU_DEP_1) | instskip(NEXT) | instid1(VALU_DEP_1)
	v_fmac_f64_e32 v[18:19], v[18:19], v[20:21]
	v_mul_f64_e32 v[20:21], v[40:41], v[18:19]
	s_delay_alu instid0(VALU_DEP_1) | instskip(NEXT) | instid1(VALU_DEP_1)
	v_fma_f64 v[4:5], -v[4:5], v[20:21], v[40:41]
	v_div_fmas_f64 v[4:5], v[4:5], v[18:19], v[20:21]
	s_delay_alu instid0(VALU_DEP_1) | instskip(NEXT) | instid1(VALU_DEP_1)
	v_div_fixup_f64 v[4:5], v[4:5], v[16:17], v[14:15]
	v_fmac_f64_e32 v[16:17], v[14:15], v[4:5]
	s_delay_alu instid0(VALU_DEP_1) | instskip(NEXT) | instid1(VALU_DEP_1)
	v_div_scale_f64 v[14:15], null, v[16:17], v[16:17], 1.0
	v_rcp_f64_e32 v[18:19], v[14:15]
	v_nop
	s_delay_alu instid0(TRANS32_DEP_1) | instskip(NEXT) | instid1(VALU_DEP_1)
	v_fma_f64 v[20:21], -v[14:15], v[18:19], 1.0
	v_fmac_f64_e32 v[18:19], v[18:19], v[20:21]
	s_delay_alu instid0(VALU_DEP_1) | instskip(NEXT) | instid1(VALU_DEP_1)
	v_fma_f64 v[20:21], -v[14:15], v[18:19], 1.0
	v_fmac_f64_e32 v[18:19], v[18:19], v[20:21]
	v_div_scale_f64 v[20:21], vcc_lo, 1.0, v[16:17], 1.0
	s_delay_alu instid0(VALU_DEP_1) | instskip(NEXT) | instid1(VALU_DEP_1)
	v_mul_f64_e32 v[40:41], v[20:21], v[18:19]
	v_fma_f64 v[14:15], -v[14:15], v[40:41], v[20:21]
	s_delay_alu instid0(VALU_DEP_1) | instskip(NEXT) | instid1(VALU_DEP_1)
	v_div_fmas_f64 v[14:15], v[14:15], v[18:19], v[40:41]
	v_div_fixup_f64 v[20:21], v[14:15], v[16:17], 1.0
                                        ; implicit-def: $vgpr14_vgpr15
	s_delay_alu instid0(VALU_DEP_1)
	v_mul_f64_e32 v[18:19], v[4:5], v[20:21]
	v_xor_b32_e32 v21, 0x80000000, v21
.LBB184_494:                            ;   in Loop: Header=BB184_3 Depth=1
	s_and_not1_saveexec_b32 s97, s97
	s_cbranch_execz .LBB184_496
; %bb.495:                              ;   in Loop: Header=BB184_3 Depth=1
	v_div_scale_f64 v[4:5], null, v[14:15], v[14:15], v[16:17]
	v_div_scale_f64 v[40:41], vcc_lo, v[16:17], v[14:15], v[16:17]
	s_delay_alu instid0(VALU_DEP_2) | instskip(SKIP_1) | instid1(TRANS32_DEP_1)
	v_rcp_f64_e32 v[18:19], v[4:5]
	v_nop
	v_fma_f64 v[20:21], -v[4:5], v[18:19], 1.0
	s_delay_alu instid0(VALU_DEP_1) | instskip(NEXT) | instid1(VALU_DEP_1)
	v_fmac_f64_e32 v[18:19], v[18:19], v[20:21]
	v_fma_f64 v[20:21], -v[4:5], v[18:19], 1.0
	s_delay_alu instid0(VALU_DEP_1) | instskip(NEXT) | instid1(VALU_DEP_1)
	v_fmac_f64_e32 v[18:19], v[18:19], v[20:21]
	v_mul_f64_e32 v[20:21], v[40:41], v[18:19]
	s_delay_alu instid0(VALU_DEP_1) | instskip(NEXT) | instid1(VALU_DEP_1)
	v_fma_f64 v[4:5], -v[4:5], v[20:21], v[40:41]
	v_div_fmas_f64 v[4:5], v[4:5], v[18:19], v[20:21]
	s_delay_alu instid0(VALU_DEP_1) | instskip(NEXT) | instid1(VALU_DEP_1)
	v_div_fixup_f64 v[4:5], v[4:5], v[14:15], v[16:17]
	v_fmac_f64_e32 v[14:15], v[16:17], v[4:5]
	s_delay_alu instid0(VALU_DEP_1) | instskip(NEXT) | instid1(VALU_DEP_1)
	v_div_scale_f64 v[16:17], null, v[14:15], v[14:15], 1.0
	v_rcp_f64_e32 v[18:19], v[16:17]
	v_nop
	s_delay_alu instid0(TRANS32_DEP_1) | instskip(NEXT) | instid1(VALU_DEP_1)
	v_fma_f64 v[20:21], -v[16:17], v[18:19], 1.0
	v_fmac_f64_e32 v[18:19], v[18:19], v[20:21]
	s_delay_alu instid0(VALU_DEP_1) | instskip(NEXT) | instid1(VALU_DEP_1)
	v_fma_f64 v[20:21], -v[16:17], v[18:19], 1.0
	v_fmac_f64_e32 v[18:19], v[18:19], v[20:21]
	v_div_scale_f64 v[20:21], vcc_lo, 1.0, v[14:15], 1.0
	s_delay_alu instid0(VALU_DEP_1) | instskip(NEXT) | instid1(VALU_DEP_1)
	v_mul_f64_e32 v[40:41], v[20:21], v[18:19]
	v_fma_f64 v[16:17], -v[16:17], v[40:41], v[20:21]
	s_delay_alu instid0(VALU_DEP_1) | instskip(NEXT) | instid1(VALU_DEP_1)
	v_div_fmas_f64 v[16:17], v[16:17], v[18:19], v[40:41]
	v_div_fixup_f64 v[18:19], v[16:17], v[14:15], 1.0
	s_delay_alu instid0(VALU_DEP_1)
	v_mul_f64_e64 v[20:21], v[4:5], -v[18:19]
.LBB184_496:                            ;   in Loop: Header=BB184_3 Depth=1
	s_or_b32 exec_lo, exec_lo, s97
	ds_store_b128 v67, v[18:21]
.LBB184_497:                            ;   in Loop: Header=BB184_3 Depth=1
	s_or_b32 exec_lo, exec_lo, s47
	s_and_not1_saveexec_b32 s46, s46
	s_cbranch_execnz .LBB184_15
	s_branch .LBB184_16
.LBB184_498:                            ;   in Loop: Header=BB184_3 Depth=1
	s_mov_b32 s97, exec_lo
	v_readlane_b32 s98, v76, 16
	s_and_b32 s98, s97, s98
	s_delay_alu instid0(SALU_CYCLE_1)
	s_xor_b32 s97, s98, s97
	s_mov_b32 exec_lo, s98
	s_cbranch_execz .LBB184_500
; %bb.499:                              ;   in Loop: Header=BB184_3 Depth=1
	v_readlane_b32 s47, v76, 30
	s_and_b32 s47, s47, exec_lo
.LBB184_500:                            ;   in Loop: Header=BB184_3 Depth=1
	s_or_saveexec_b32 s97, s97
	v_mov_b64_e32 v[16:17], 0
	v_mov_b64_e32 v[14:15], 0
	s_xor_b32 exec_lo, exec_lo, s97
	s_cbranch_execz .LBB184_506
; %bb.501:                              ;   in Loop: Header=BB184_3 Depth=1
	v_lshl_add_u64 v[4:5], v[32:33], 4, v[36:37]
                                        ; implicit-def: $vgpr16_vgpr17
	flat_load_b128 v[18:21], v[4:5]
	s_wait_loadcnt_dscnt 0x0
	v_cmp_ngt_f64_e64 s98, |v[18:19]|, |v[20:21]|
	s_and_saveexec_b32 s99, s98
	s_delay_alu instid0(SALU_CYCLE_1)
	s_xor_b32 s98, exec_lo, s99
	s_cbranch_execz .LBB184_503
; %bb.502:                              ;   in Loop: Header=BB184_3 Depth=1
	v_div_scale_f64 v[4:5], null, v[20:21], v[20:21], v[18:19]
	v_div_scale_f64 v[40:41], vcc_lo, v[18:19], v[20:21], v[18:19]
	s_delay_alu instid0(VALU_DEP_2) | instskip(SKIP_1) | instid1(TRANS32_DEP_1)
	v_rcp_f64_e32 v[14:15], v[4:5]
	v_nop
	v_fma_f64 v[16:17], -v[4:5], v[14:15], 1.0
	s_delay_alu instid0(VALU_DEP_1) | instskip(NEXT) | instid1(VALU_DEP_1)
	v_fmac_f64_e32 v[14:15], v[14:15], v[16:17]
	v_fma_f64 v[16:17], -v[4:5], v[14:15], 1.0
	s_delay_alu instid0(VALU_DEP_1) | instskip(NEXT) | instid1(VALU_DEP_1)
	v_fmac_f64_e32 v[14:15], v[14:15], v[16:17]
	v_mul_f64_e32 v[16:17], v[40:41], v[14:15]
	s_delay_alu instid0(VALU_DEP_1) | instskip(NEXT) | instid1(VALU_DEP_1)
	v_fma_f64 v[4:5], -v[4:5], v[16:17], v[40:41]
	v_div_fmas_f64 v[4:5], v[4:5], v[14:15], v[16:17]
	s_delay_alu instid0(VALU_DEP_1) | instskip(NEXT) | instid1(VALU_DEP_1)
	v_div_fixup_f64 v[4:5], v[4:5], v[20:21], v[18:19]
	v_fmac_f64_e32 v[20:21], v[18:19], v[4:5]
	s_delay_alu instid0(VALU_DEP_1) | instskip(NEXT) | instid1(VALU_DEP_1)
	v_div_scale_f64 v[14:15], null, v[20:21], v[20:21], 1.0
	v_rcp_f64_e32 v[16:17], v[14:15]
	v_nop
	s_delay_alu instid0(TRANS32_DEP_1) | instskip(NEXT) | instid1(VALU_DEP_1)
	v_fma_f64 v[18:19], -v[14:15], v[16:17], 1.0
	v_fmac_f64_e32 v[16:17], v[16:17], v[18:19]
	s_delay_alu instid0(VALU_DEP_1) | instskip(NEXT) | instid1(VALU_DEP_1)
	v_fma_f64 v[18:19], -v[14:15], v[16:17], 1.0
	v_fmac_f64_e32 v[16:17], v[16:17], v[18:19]
	v_div_scale_f64 v[18:19], vcc_lo, 1.0, v[20:21], 1.0
	s_delay_alu instid0(VALU_DEP_1) | instskip(NEXT) | instid1(VALU_DEP_1)
	v_mul_f64_e32 v[40:41], v[18:19], v[16:17]
	v_fma_f64 v[14:15], -v[14:15], v[40:41], v[18:19]
	s_delay_alu instid0(VALU_DEP_1) | instskip(NEXT) | instid1(VALU_DEP_1)
	v_div_fmas_f64 v[14:15], v[14:15], v[16:17], v[40:41]
	v_div_fixup_f64 v[16:17], v[14:15], v[20:21], 1.0
                                        ; implicit-def: $vgpr18_vgpr19
	s_delay_alu instid0(VALU_DEP_1)
	v_mul_f64_e32 v[14:15], v[4:5], v[16:17]
	v_xor_b32_e32 v17, 0x80000000, v17
.LBB184_503:                            ;   in Loop: Header=BB184_3 Depth=1
	s_and_not1_saveexec_b32 s98, s98
	s_cbranch_execz .LBB184_505
; %bb.504:                              ;   in Loop: Header=BB184_3 Depth=1
	v_div_scale_f64 v[4:5], null, v[18:19], v[18:19], v[20:21]
	v_div_scale_f64 v[40:41], vcc_lo, v[20:21], v[18:19], v[20:21]
	s_delay_alu instid0(VALU_DEP_2) | instskip(SKIP_1) | instid1(TRANS32_DEP_1)
	v_rcp_f64_e32 v[14:15], v[4:5]
	v_nop
	v_fma_f64 v[16:17], -v[4:5], v[14:15], 1.0
	s_delay_alu instid0(VALU_DEP_1) | instskip(NEXT) | instid1(VALU_DEP_1)
	v_fmac_f64_e32 v[14:15], v[14:15], v[16:17]
	v_fma_f64 v[16:17], -v[4:5], v[14:15], 1.0
	s_delay_alu instid0(VALU_DEP_1) | instskip(NEXT) | instid1(VALU_DEP_1)
	v_fmac_f64_e32 v[14:15], v[14:15], v[16:17]
	v_mul_f64_e32 v[16:17], v[40:41], v[14:15]
	s_delay_alu instid0(VALU_DEP_1) | instskip(NEXT) | instid1(VALU_DEP_1)
	v_fma_f64 v[4:5], -v[4:5], v[16:17], v[40:41]
	v_div_fmas_f64 v[4:5], v[4:5], v[14:15], v[16:17]
	s_delay_alu instid0(VALU_DEP_1) | instskip(NEXT) | instid1(VALU_DEP_1)
	v_div_fixup_f64 v[4:5], v[4:5], v[18:19], v[20:21]
	v_fmac_f64_e32 v[18:19], v[20:21], v[4:5]
	s_delay_alu instid0(VALU_DEP_1) | instskip(NEXT) | instid1(VALU_DEP_1)
	v_div_scale_f64 v[14:15], null, v[18:19], v[18:19], 1.0
	v_rcp_f64_e32 v[16:17], v[14:15]
	v_nop
	s_delay_alu instid0(TRANS32_DEP_1) | instskip(NEXT) | instid1(VALU_DEP_1)
	v_fma_f64 v[20:21], -v[14:15], v[16:17], 1.0
	v_fmac_f64_e32 v[16:17], v[16:17], v[20:21]
	s_delay_alu instid0(VALU_DEP_1) | instskip(NEXT) | instid1(VALU_DEP_1)
	v_fma_f64 v[20:21], -v[14:15], v[16:17], 1.0
	v_fmac_f64_e32 v[16:17], v[16:17], v[20:21]
	v_div_scale_f64 v[20:21], vcc_lo, 1.0, v[18:19], 1.0
	s_delay_alu instid0(VALU_DEP_1) | instskip(NEXT) | instid1(VALU_DEP_1)
	v_mul_f64_e32 v[40:41], v[20:21], v[16:17]
	v_fma_f64 v[14:15], -v[14:15], v[40:41], v[20:21]
	s_delay_alu instid0(VALU_DEP_1) | instskip(NEXT) | instid1(VALU_DEP_1)
	v_div_fmas_f64 v[14:15], v[14:15], v[16:17], v[40:41]
	v_div_fixup_f64 v[14:15], v[14:15], v[18:19], 1.0
	s_delay_alu instid0(VALU_DEP_1)
	v_mul_f64_e64 v[16:17], v[4:5], -v[14:15]
.LBB184_505:                            ;   in Loop: Header=BB184_3 Depth=1
	s_or_b32 exec_lo, exec_lo, s98
	s_delay_alu instid0(SALU_CYCLE_1)
	s_or_b32 s47, s47, exec_lo
.LBB184_506:                            ;   in Loop: Header=BB184_3 Depth=1
	s_or_b32 exec_lo, exec_lo, s97
	s_delay_alu instid0(SALU_CYCLE_1)
	s_and_b32 s47, s47, exec_lo
	s_and_not1_saveexec_b32 s46, s46
	s_cbranch_execz .LBB184_20
.LBB184_507:                            ;   in Loop: Header=BB184_3 Depth=1
	v_lshl_add_u64 v[4:5], v[32:33], 4, v[36:37]
	s_or_b32 s47, s47, exec_lo
	flat_load_b128 v[14:17], v[4:5]
	s_wait_loadcnt_dscnt 0x0
	v_xor_b32_e32 v15, 0x80000000, v15
	v_xor_b32_e32 v17, 0x80000000, v17
	s_or_b32 exec_lo, exec_lo, s46
	s_and_saveexec_b32 s46, s47
	s_cbranch_execz .LBB184_21
.LBB184_508:                            ;   in Loop: Header=BB184_3 Depth=1
	ds_store_b128 v62, v[14:17]
	s_or_b32 exec_lo, exec_lo, s46
	s_and_saveexec_b32 s46, s21
	s_delay_alu instid0(SALU_CYCLE_1)
	s_xor_b32 s46, exec_lo, s46
	s_cbranch_execz .LBB184_22
.LBB184_509:                            ;   in Loop: Header=BB184_3 Depth=1
	s_mov_b32 s47, exec_lo
	v_readlane_b32 s97, v76, 18
	s_and_b32 s97, s47, s97
	s_delay_alu instid0(SALU_CYCLE_1)
	s_xor_b32 s47, s97, s47
	s_mov_b32 exec_lo, s97
	s_cbranch_execz .LBB184_513
; %bb.510:                              ;   in Loop: Header=BB184_3 Depth=1
	s_mov_b32 s97, exec_lo
	v_readlane_b32 s98, v76, 31
	s_and_b32 s98, s97, s98
	s_delay_alu instid0(SALU_CYCLE_1)
	s_mov_b32 exec_lo, s98
; %bb.511:                              ;   in Loop: Header=BB184_3 Depth=1
	v_dual_mov_b32 v3, v2 :: v_dual_mov_b32 v4, v2
	v_mov_b32_e32 v5, v2
	ds_store_b128 v67, v[2:5]
; %bb.512:                              ;   in Loop: Header=BB184_3 Depth=1
	s_or_b32 exec_lo, exec_lo, s97
.LBB184_513:                            ;   in Loop: Header=BB184_3 Depth=1
	s_and_not1_saveexec_b32 s47, s47
	s_cbranch_execz .LBB184_519
; %bb.514:                              ;   in Loop: Header=BB184_3 Depth=1
	v_lshl_add_u64 v[4:5], v[34:35], 4, v[36:37]
                                        ; implicit-def: $vgpr18_vgpr19
	flat_load_b128 v[14:17], v[4:5]
	s_wait_loadcnt_dscnt 0x0
	v_cmp_ngt_f64_e64 s97, |v[14:15]|, |v[16:17]|
	s_and_saveexec_b32 s98, s97
	s_delay_alu instid0(SALU_CYCLE_1)
	s_xor_b32 s97, exec_lo, s98
	s_cbranch_execz .LBB184_516
; %bb.515:                              ;   in Loop: Header=BB184_3 Depth=1
	v_div_scale_f64 v[4:5], null, v[16:17], v[16:17], v[14:15]
	v_div_scale_f64 v[40:41], vcc_lo, v[14:15], v[16:17], v[14:15]
	s_delay_alu instid0(VALU_DEP_2) | instskip(SKIP_1) | instid1(TRANS32_DEP_1)
	v_rcp_f64_e32 v[18:19], v[4:5]
	v_nop
	v_fma_f64 v[20:21], -v[4:5], v[18:19], 1.0
	s_delay_alu instid0(VALU_DEP_1) | instskip(NEXT) | instid1(VALU_DEP_1)
	v_fmac_f64_e32 v[18:19], v[18:19], v[20:21]
	v_fma_f64 v[20:21], -v[4:5], v[18:19], 1.0
	s_delay_alu instid0(VALU_DEP_1) | instskip(NEXT) | instid1(VALU_DEP_1)
	v_fmac_f64_e32 v[18:19], v[18:19], v[20:21]
	v_mul_f64_e32 v[20:21], v[40:41], v[18:19]
	s_delay_alu instid0(VALU_DEP_1) | instskip(NEXT) | instid1(VALU_DEP_1)
	v_fma_f64 v[4:5], -v[4:5], v[20:21], v[40:41]
	v_div_fmas_f64 v[4:5], v[4:5], v[18:19], v[20:21]
	s_delay_alu instid0(VALU_DEP_1) | instskip(NEXT) | instid1(VALU_DEP_1)
	v_div_fixup_f64 v[4:5], v[4:5], v[16:17], v[14:15]
	v_fmac_f64_e32 v[16:17], v[14:15], v[4:5]
	s_delay_alu instid0(VALU_DEP_1) | instskip(NEXT) | instid1(VALU_DEP_1)
	v_div_scale_f64 v[14:15], null, v[16:17], v[16:17], 1.0
	v_rcp_f64_e32 v[18:19], v[14:15]
	v_nop
	s_delay_alu instid0(TRANS32_DEP_1) | instskip(NEXT) | instid1(VALU_DEP_1)
	v_fma_f64 v[20:21], -v[14:15], v[18:19], 1.0
	v_fmac_f64_e32 v[18:19], v[18:19], v[20:21]
	s_delay_alu instid0(VALU_DEP_1) | instskip(NEXT) | instid1(VALU_DEP_1)
	v_fma_f64 v[20:21], -v[14:15], v[18:19], 1.0
	v_fmac_f64_e32 v[18:19], v[18:19], v[20:21]
	v_div_scale_f64 v[20:21], vcc_lo, 1.0, v[16:17], 1.0
	s_delay_alu instid0(VALU_DEP_1) | instskip(NEXT) | instid1(VALU_DEP_1)
	v_mul_f64_e32 v[40:41], v[20:21], v[18:19]
	v_fma_f64 v[14:15], -v[14:15], v[40:41], v[20:21]
	s_delay_alu instid0(VALU_DEP_1) | instskip(NEXT) | instid1(VALU_DEP_1)
	v_div_fmas_f64 v[14:15], v[14:15], v[18:19], v[40:41]
	v_div_fixup_f64 v[20:21], v[14:15], v[16:17], 1.0
                                        ; implicit-def: $vgpr14_vgpr15
	s_delay_alu instid0(VALU_DEP_1)
	v_mul_f64_e32 v[18:19], v[4:5], v[20:21]
	v_xor_b32_e32 v21, 0x80000000, v21
.LBB184_516:                            ;   in Loop: Header=BB184_3 Depth=1
	s_and_not1_saveexec_b32 s97, s97
	s_cbranch_execz .LBB184_518
; %bb.517:                              ;   in Loop: Header=BB184_3 Depth=1
	v_div_scale_f64 v[4:5], null, v[14:15], v[14:15], v[16:17]
	v_div_scale_f64 v[40:41], vcc_lo, v[16:17], v[14:15], v[16:17]
	s_delay_alu instid0(VALU_DEP_2) | instskip(SKIP_1) | instid1(TRANS32_DEP_1)
	v_rcp_f64_e32 v[18:19], v[4:5]
	v_nop
	v_fma_f64 v[20:21], -v[4:5], v[18:19], 1.0
	s_delay_alu instid0(VALU_DEP_1) | instskip(NEXT) | instid1(VALU_DEP_1)
	v_fmac_f64_e32 v[18:19], v[18:19], v[20:21]
	v_fma_f64 v[20:21], -v[4:5], v[18:19], 1.0
	s_delay_alu instid0(VALU_DEP_1) | instskip(NEXT) | instid1(VALU_DEP_1)
	v_fmac_f64_e32 v[18:19], v[18:19], v[20:21]
	v_mul_f64_e32 v[20:21], v[40:41], v[18:19]
	s_delay_alu instid0(VALU_DEP_1) | instskip(NEXT) | instid1(VALU_DEP_1)
	v_fma_f64 v[4:5], -v[4:5], v[20:21], v[40:41]
	v_div_fmas_f64 v[4:5], v[4:5], v[18:19], v[20:21]
	s_delay_alu instid0(VALU_DEP_1) | instskip(NEXT) | instid1(VALU_DEP_1)
	v_div_fixup_f64 v[4:5], v[4:5], v[14:15], v[16:17]
	v_fmac_f64_e32 v[14:15], v[16:17], v[4:5]
	s_delay_alu instid0(VALU_DEP_1) | instskip(NEXT) | instid1(VALU_DEP_1)
	v_div_scale_f64 v[16:17], null, v[14:15], v[14:15], 1.0
	v_rcp_f64_e32 v[18:19], v[16:17]
	v_nop
	s_delay_alu instid0(TRANS32_DEP_1) | instskip(NEXT) | instid1(VALU_DEP_1)
	v_fma_f64 v[20:21], -v[16:17], v[18:19], 1.0
	v_fmac_f64_e32 v[18:19], v[18:19], v[20:21]
	s_delay_alu instid0(VALU_DEP_1) | instskip(NEXT) | instid1(VALU_DEP_1)
	v_fma_f64 v[20:21], -v[16:17], v[18:19], 1.0
	v_fmac_f64_e32 v[18:19], v[18:19], v[20:21]
	v_div_scale_f64 v[20:21], vcc_lo, 1.0, v[14:15], 1.0
	s_delay_alu instid0(VALU_DEP_1) | instskip(NEXT) | instid1(VALU_DEP_1)
	v_mul_f64_e32 v[40:41], v[20:21], v[18:19]
	v_fma_f64 v[16:17], -v[16:17], v[40:41], v[20:21]
	s_delay_alu instid0(VALU_DEP_1) | instskip(NEXT) | instid1(VALU_DEP_1)
	v_div_fmas_f64 v[16:17], v[16:17], v[18:19], v[40:41]
	v_div_fixup_f64 v[18:19], v[16:17], v[14:15], 1.0
	s_delay_alu instid0(VALU_DEP_1)
	v_mul_f64_e64 v[20:21], v[4:5], -v[18:19]
.LBB184_518:                            ;   in Loop: Header=BB184_3 Depth=1
	s_or_b32 exec_lo, exec_lo, s97
	ds_store_b128 v67, v[18:21]
.LBB184_519:                            ;   in Loop: Header=BB184_3 Depth=1
	s_or_b32 exec_lo, exec_lo, s47
	s_and_not1_saveexec_b32 s46, s46
	s_cbranch_execnz .LBB184_23
	s_branch .LBB184_24
.LBB184_520:                            ;   in Loop: Header=BB184_3 Depth=1
	s_or_b32 exec_lo, exec_lo, s97
	s_delay_alu instid0(SALU_CYCLE_1)
	s_and_b32 vcc_lo, exec_lo, s47
	s_cbranch_vccnz .LBB184_460
.LBB184_521:                            ;   in Loop: Header=BB184_3 Depth=1
	s_delay_alu instid0(VALU_DEP_1) | instskip(NEXT) | instid1(VALU_DEP_3)
	v_mov_b64_e32 v[16:17], v[4:5]
	v_mov_b64_e32 v[14:15], v[36:37]
	s_and_saveexec_b32 s47, s46
	s_cbranch_execnz .LBB184_473
	s_branch .LBB184_474
.LBB184_522:                            ;   in Loop: Header=BB184_3 Depth=1
	s_and_not1_b32 s46, s46, exec_lo
	s_and_b32 s97, s15, exec_lo
	s_delay_alu instid0(SALU_CYCLE_1)
	s_or_b32 s46, s46, s97
	s_cbranch_execnz .LBB184_472
.LBB184_523:                            ;   in Loop: Header=BB184_3 Depth=1
	v_readlane_b32 s47, v76, 14
	s_and_not1_b32 s46, s46, exec_lo
	s_and_b32 s47, s47, exec_lo
	s_delay_alu instid0(SALU_CYCLE_1) | instskip(NEXT) | instid1(SALU_CYCLE_1)
	s_or_b32 s46, s46, s47
	s_and_saveexec_b32 s47, s46
	s_cbranch_execnz .LBB184_473
	s_branch .LBB184_474
.LBB184_524:                            ;   in Loop: Header=BB184_3 Depth=1
	ds_load_b128 v[18:21], v49 offset:16336
	ds_load_b128 v[68:71], v48 offset:15232
	s_wait_dscnt 0x0
	v_mul_f64_e32 v[4:5], v[20:21], v[70:71]
	v_mul_f64_e32 v[40:41], v[18:19], v[70:71]
	s_delay_alu instid0(VALU_DEP_2) | instskip(NEXT) | instid1(VALU_DEP_2)
	v_fma_f64 v[4:5], v[18:19], v[68:69], -v[4:5]
	v_fmac_f64_e32 v[40:41], v[20:21], v[68:69]
	s_delay_alu instid0(VALU_DEP_2) | instskip(NEXT) | instid1(VALU_DEP_2)
	v_add_f64_e32 v[14:15], v[14:15], v[4:5]
	v_add_f64_e32 v[16:17], v[16:17], v[40:41]
	s_or_b32 exec_lo, exec_lo, s47
	s_and_saveexec_b32 s47, s8
	s_cbranch_execz .LBB184_45
.LBB184_525:                            ;   in Loop: Header=BB184_3 Depth=1
	ds_load_b128 v[18:21], v49 offset:16352
	ds_load_b128 v[68:71], v48 offset:15744
	s_wait_dscnt 0x0
	v_mul_f64_e32 v[4:5], v[20:21], v[70:71]
	v_mul_f64_e32 v[40:41], v[18:19], v[70:71]
	s_delay_alu instid0(VALU_DEP_2) | instskip(NEXT) | instid1(VALU_DEP_2)
	v_fma_f64 v[4:5], v[18:19], v[68:69], -v[4:5]
	v_fmac_f64_e32 v[40:41], v[20:21], v[68:69]
	s_delay_alu instid0(VALU_DEP_2) | instskip(NEXT) | instid1(VALU_DEP_2)
	v_add_f64_e32 v[14:15], v[14:15], v[4:5]
	v_add_f64_e32 v[16:17], v[16:17], v[40:41]
	s_or_b32 exec_lo, exec_lo, s47
	s_and_saveexec_b32 s47, s4
	s_cbranch_execnz .LBB184_46
	s_branch .LBB184_47
.LBB184_526:                            ;   in Loop: Header=BB184_3 Depth=1
	ds_load_b128 v[18:21], v53 offset:16304
	ds_load_b128 v[68:71], v52 offset:14080
	s_wait_dscnt 0x0
	v_mul_f64_e32 v[4:5], v[20:21], v[70:71]
	v_mul_f64_e32 v[40:41], v[18:19], v[70:71]
	s_delay_alu instid0(VALU_DEP_2) | instskip(NEXT) | instid1(VALU_DEP_2)
	v_fma_f64 v[4:5], v[18:19], v[68:69], -v[4:5]
	v_fmac_f64_e32 v[40:41], v[20:21], v[68:69]
	s_delay_alu instid0(VALU_DEP_2) | instskip(NEXT) | instid1(VALU_DEP_2)
	v_add_f64_e32 v[14:15], v[14:15], v[4:5]
	v_add_f64_e32 v[16:17], v[16:17], v[40:41]
	s_or_b32 exec_lo, exec_lo, s47
	s_and_saveexec_b32 s47, s13
	s_cbranch_execz .LBB184_87
.LBB184_527:                            ;   in Loop: Header=BB184_3 Depth=1
	ds_load_b128 v[18:21], v53 offset:16320
	ds_load_b128 v[68:71], v52 offset:14592
	s_wait_dscnt 0x0
	v_mul_f64_e32 v[4:5], v[20:21], v[70:71]
	v_mul_f64_e32 v[40:41], v[18:19], v[70:71]
	s_delay_alu instid0(VALU_DEP_2) | instskip(NEXT) | instid1(VALU_DEP_2)
	v_fma_f64 v[4:5], v[18:19], v[68:69], -v[4:5]
	v_fmac_f64_e32 v[40:41], v[20:21], v[68:69]
	s_delay_alu instid0(VALU_DEP_2) | instskip(NEXT) | instid1(VALU_DEP_2)
	v_add_f64_e32 v[14:15], v[14:15], v[4:5]
	v_add_f64_e32 v[16:17], v[16:17], v[40:41]
	s_or_b32 exec_lo, exec_lo, s47
	s_and_saveexec_b32 s47, s20
	s_cbranch_execz .LBB184_88
.LBB184_528:                            ;   in Loop: Header=BB184_3 Depth=1
	ds_load_b128 v[18:21], v53 offset:16336
	ds_load_b128 v[68:71], v52 offset:15104
	s_wait_dscnt 0x0
	v_mul_f64_e32 v[4:5], v[20:21], v[70:71]
	v_mul_f64_e32 v[40:41], v[18:19], v[70:71]
	s_delay_alu instid0(VALU_DEP_2) | instskip(NEXT) | instid1(VALU_DEP_2)
	v_fma_f64 v[4:5], v[18:19], v[68:69], -v[4:5]
	v_fmac_f64_e32 v[40:41], v[20:21], v[68:69]
	s_delay_alu instid0(VALU_DEP_2) | instskip(NEXT) | instid1(VALU_DEP_2)
	v_add_f64_e32 v[14:15], v[14:15], v[4:5]
	v_add_f64_e32 v[16:17], v[16:17], v[40:41]
	s_or_b32 exec_lo, exec_lo, s47
	s_and_saveexec_b32 s47, s6
	s_cbranch_execz .LBB184_89
.LBB184_529:                            ;   in Loop: Header=BB184_3 Depth=1
	ds_load_b128 v[18:21], v53 offset:16352
	ds_load_b128 v[68:71], v52 offset:15616
	s_wait_dscnt 0x0
	v_mul_f64_e32 v[4:5], v[20:21], v[70:71]
	v_mul_f64_e32 v[40:41], v[18:19], v[70:71]
	s_delay_alu instid0(VALU_DEP_2) | instskip(NEXT) | instid1(VALU_DEP_2)
	v_fma_f64 v[4:5], v[18:19], v[68:69], -v[4:5]
	v_fmac_f64_e32 v[40:41], v[20:21], v[68:69]
	s_delay_alu instid0(VALU_DEP_2) | instskip(NEXT) | instid1(VALU_DEP_2)
	v_add_f64_e32 v[14:15], v[14:15], v[4:5]
	v_add_f64_e32 v[16:17], v[16:17], v[40:41]
	s_or_b32 exec_lo, exec_lo, s47
	s_and_saveexec_b32 s47, s8
	s_cbranch_execnz .LBB184_90
	s_branch .LBB184_91
.LBB184_530:                            ;   in Loop: Header=BB184_3 Depth=1
	ds_load_b128 v[18:21], v49 offset:12112
	ds_load_b128 v[68:71], v48 offset:11008
	s_wait_dscnt 0x0
	v_mul_f64_e32 v[4:5], v[20:21], v[70:71]
	v_mul_f64_e32 v[40:41], v[18:19], v[70:71]
	s_delay_alu instid0(VALU_DEP_2) | instskip(NEXT) | instid1(VALU_DEP_2)
	v_fma_f64 v[4:5], v[18:19], v[68:69], -v[4:5]
	v_fmac_f64_e32 v[40:41], v[20:21], v[68:69]
	s_delay_alu instid0(VALU_DEP_2) | instskip(NEXT) | instid1(VALU_DEP_2)
	v_add_f64_e32 v[14:15], v[14:15], v[4:5]
	v_add_f64_e32 v[16:17], v[16:17], v[40:41]
	s_or_b32 exec_lo, exec_lo, s47
	s_and_saveexec_b32 s47, s8
	s_cbranch_execz .LBB184_143
.LBB184_531:                            ;   in Loop: Header=BB184_3 Depth=1
	ds_load_b128 v[18:21], v49 offset:12128
	ds_load_b128 v[68:71], v48 offset:11520
	s_wait_dscnt 0x0
	v_mul_f64_e32 v[4:5], v[20:21], v[70:71]
	v_mul_f64_e32 v[40:41], v[18:19], v[70:71]
	s_delay_alu instid0(VALU_DEP_2) | instskip(NEXT) | instid1(VALU_DEP_2)
	v_fma_f64 v[4:5], v[18:19], v[68:69], -v[4:5]
	v_fmac_f64_e32 v[40:41], v[20:21], v[68:69]
	s_delay_alu instid0(VALU_DEP_2) | instskip(NEXT) | instid1(VALU_DEP_2)
	v_add_f64_e32 v[14:15], v[14:15], v[4:5]
	v_add_f64_e32 v[16:17], v[16:17], v[40:41]
	s_or_b32 exec_lo, exec_lo, s47
	s_and_saveexec_b32 s47, s4
	s_cbranch_execnz .LBB184_144
	s_branch .LBB184_145
.LBB184_532:                            ;   in Loop: Header=BB184_3 Depth=1
	ds_load_b128 v[18:21], v57 offset:16304
	ds_load_b128 v[68:71], v56 offset:13824
	s_wait_dscnt 0x0
	v_mul_f64_e32 v[4:5], v[20:21], v[70:71]
	v_mul_f64_e32 v[40:41], v[18:19], v[70:71]
	s_delay_alu instid0(VALU_DEP_2) | instskip(NEXT) | instid1(VALU_DEP_2)
	v_fma_f64 v[4:5], v[18:19], v[68:69], -v[4:5]
	v_fmac_f64_e32 v[40:41], v[20:21], v[68:69]
	s_delay_alu instid0(VALU_DEP_2) | instskip(NEXT) | instid1(VALU_DEP_2)
	v_add_f64_e32 v[14:15], v[14:15], v[4:5]
	v_add_f64_e32 v[16:17], v[16:17], v[40:41]
	s_or_b32 exec_lo, exec_lo, s47
	s_and_saveexec_b32 s47, s9
	s_cbranch_execz .LBB184_201
.LBB184_533:                            ;   in Loop: Header=BB184_3 Depth=1
	ds_load_b128 v[18:21], v57 offset:16320
	ds_load_b128 v[68:71], v56 offset:14336
	s_wait_dscnt 0x0
	v_mul_f64_e32 v[4:5], v[20:21], v[70:71]
	v_mul_f64_e32 v[40:41], v[18:19], v[70:71]
	s_delay_alu instid0(VALU_DEP_2) | instskip(NEXT) | instid1(VALU_DEP_2)
	v_fma_f64 v[4:5], v[18:19], v[68:69], -v[4:5]
	v_fmac_f64_e32 v[40:41], v[20:21], v[68:69]
	s_delay_alu instid0(VALU_DEP_2) | instskip(NEXT) | instid1(VALU_DEP_2)
	v_add_f64_e32 v[14:15], v[14:15], v[4:5]
	v_add_f64_e32 v[16:17], v[16:17], v[40:41]
	s_or_b32 exec_lo, exec_lo, s47
	s_and_saveexec_b32 s47, s11
	s_cbranch_execz .LBB184_202
.LBB184_534:                            ;   in Loop: Header=BB184_3 Depth=1
	ds_load_b128 v[18:21], v57 offset:16336
	ds_load_b128 v[68:71], v56 offset:14848
	s_wait_dscnt 0x0
	v_mul_f64_e32 v[4:5], v[20:21], v[70:71]
	v_mul_f64_e32 v[40:41], v[18:19], v[70:71]
	s_delay_alu instid0(VALU_DEP_2) | instskip(NEXT) | instid1(VALU_DEP_2)
	v_fma_f64 v[4:5], v[18:19], v[68:69], -v[4:5]
	v_fmac_f64_e32 v[40:41], v[20:21], v[68:69]
	s_delay_alu instid0(VALU_DEP_2) | instskip(NEXT) | instid1(VALU_DEP_2)
	v_add_f64_e32 v[14:15], v[14:15], v[4:5]
	v_add_f64_e32 v[16:17], v[16:17], v[40:41]
	s_or_b32 exec_lo, exec_lo, s47
	s_and_saveexec_b32 s47, s13
	s_cbranch_execz .LBB184_203
.LBB184_535:                            ;   in Loop: Header=BB184_3 Depth=1
	ds_load_b128 v[18:21], v57 offset:16352
	ds_load_b128 v[68:71], v56 offset:15360
	s_wait_dscnt 0x0
	v_mul_f64_e32 v[4:5], v[20:21], v[70:71]
	v_mul_f64_e32 v[40:41], v[18:19], v[70:71]
	s_delay_alu instid0(VALU_DEP_2) | instskip(NEXT) | instid1(VALU_DEP_2)
	v_fma_f64 v[4:5], v[18:19], v[68:69], -v[4:5]
	v_fmac_f64_e32 v[40:41], v[20:21], v[68:69]
	s_delay_alu instid0(VALU_DEP_2) | instskip(NEXT) | instid1(VALU_DEP_2)
	v_add_f64_e32 v[14:15], v[14:15], v[4:5]
	v_add_f64_e32 v[16:17], v[16:17], v[40:41]
	s_or_b32 exec_lo, exec_lo, s47
	s_and_saveexec_b32 s47, s6
	s_cbranch_execnz .LBB184_204
	s_branch .LBB184_205
.LBB184_536:                            ;   in Loop: Header=BB184_3 Depth=1
	ds_load_b128 v[18:21], v49 offset:7888
	ds_load_b128 v[68:71], v48 offset:6784
	s_wait_dscnt 0x0
	v_mul_f64_e32 v[4:5], v[20:21], v[70:71]
	v_mul_f64_e32 v[40:41], v[18:19], v[70:71]
	s_delay_alu instid0(VALU_DEP_2) | instskip(NEXT) | instid1(VALU_DEP_2)
	v_fma_f64 v[4:5], v[18:19], v[68:69], -v[4:5]
	v_fmac_f64_e32 v[40:41], v[20:21], v[68:69]
	s_delay_alu instid0(VALU_DEP_2) | instskip(NEXT) | instid1(VALU_DEP_2)
	v_add_f64_e32 v[14:15], v[14:15], v[4:5]
	v_add_f64_e32 v[16:17], v[16:17], v[40:41]
	s_or_b32 exec_lo, exec_lo, s47
	s_and_saveexec_b32 s47, s8
	s_cbranch_execz .LBB184_289
.LBB184_537:                            ;   in Loop: Header=BB184_3 Depth=1
	ds_load_b128 v[18:21], v49 offset:7904
	ds_load_b128 v[68:71], v48 offset:7296
	s_wait_dscnt 0x0
	v_mul_f64_e32 v[4:5], v[20:21], v[70:71]
	v_mul_f64_e32 v[40:41], v[18:19], v[70:71]
	s_delay_alu instid0(VALU_DEP_2) | instskip(NEXT) | instid1(VALU_DEP_2)
	v_fma_f64 v[4:5], v[18:19], v[68:69], -v[4:5]
	v_fmac_f64_e32 v[40:41], v[20:21], v[68:69]
	s_delay_alu instid0(VALU_DEP_2) | instskip(NEXT) | instid1(VALU_DEP_2)
	v_add_f64_e32 v[14:15], v[14:15], v[4:5]
	v_add_f64_e32 v[16:17], v[16:17], v[40:41]
	s_or_b32 exec_lo, exec_lo, s47
	s_and_saveexec_b32 s47, s4
	s_cbranch_execnz .LBB184_290
	s_branch .LBB184_291
.LBB184_538:                            ;   in Loop: Header=BB184_3 Depth=1
	ds_load_b128 v[18:21], v53 offset:7856
	ds_load_b128 v[68:71], v52 offset:5632
	s_wait_dscnt 0x0
	v_mul_f64_e32 v[4:5], v[20:21], v[70:71]
	v_mul_f64_e32 v[40:41], v[18:19], v[70:71]
	s_delay_alu instid0(VALU_DEP_2) | instskip(NEXT) | instid1(VALU_DEP_2)
	v_fma_f64 v[4:5], v[18:19], v[68:69], -v[4:5]
	v_fmac_f64_e32 v[40:41], v[20:21], v[68:69]
	s_delay_alu instid0(VALU_DEP_2) | instskip(NEXT) | instid1(VALU_DEP_2)
	v_add_f64_e32 v[14:15], v[14:15], v[4:5]
	v_add_f64_e32 v[16:17], v[16:17], v[40:41]
	s_or_b32 exec_lo, exec_lo, s47
	s_and_saveexec_b32 s47, s13
	s_cbranch_execz .LBB184_331
.LBB184_539:                            ;   in Loop: Header=BB184_3 Depth=1
	ds_load_b128 v[18:21], v53 offset:7872
	ds_load_b128 v[68:71], v52 offset:6144
	s_wait_dscnt 0x0
	v_mul_f64_e32 v[4:5], v[20:21], v[70:71]
	v_mul_f64_e32 v[40:41], v[18:19], v[70:71]
	s_delay_alu instid0(VALU_DEP_2) | instskip(NEXT) | instid1(VALU_DEP_2)
	v_fma_f64 v[4:5], v[18:19], v[68:69], -v[4:5]
	v_fmac_f64_e32 v[40:41], v[20:21], v[68:69]
	s_delay_alu instid0(VALU_DEP_2) | instskip(NEXT) | instid1(VALU_DEP_2)
	v_add_f64_e32 v[14:15], v[14:15], v[4:5]
	v_add_f64_e32 v[16:17], v[16:17], v[40:41]
	s_or_b32 exec_lo, exec_lo, s47
	s_and_saveexec_b32 s47, s20
	s_cbranch_execz .LBB184_332
.LBB184_540:                            ;   in Loop: Header=BB184_3 Depth=1
	ds_load_b128 v[18:21], v53 offset:7888
	ds_load_b128 v[68:71], v52 offset:6656
	s_wait_dscnt 0x0
	v_mul_f64_e32 v[4:5], v[20:21], v[70:71]
	v_mul_f64_e32 v[40:41], v[18:19], v[70:71]
	s_delay_alu instid0(VALU_DEP_2) | instskip(NEXT) | instid1(VALU_DEP_2)
	v_fma_f64 v[4:5], v[18:19], v[68:69], -v[4:5]
	v_fmac_f64_e32 v[40:41], v[20:21], v[68:69]
	s_delay_alu instid0(VALU_DEP_2) | instskip(NEXT) | instid1(VALU_DEP_2)
	v_add_f64_e32 v[14:15], v[14:15], v[4:5]
	v_add_f64_e32 v[16:17], v[16:17], v[40:41]
	s_or_b32 exec_lo, exec_lo, s47
	s_and_saveexec_b32 s47, s6
	s_cbranch_execz .LBB184_333
.LBB184_541:                            ;   in Loop: Header=BB184_3 Depth=1
	ds_load_b128 v[18:21], v53 offset:7904
	ds_load_b128 v[68:71], v52 offset:7168
	s_wait_dscnt 0x0
	v_mul_f64_e32 v[4:5], v[20:21], v[70:71]
	v_mul_f64_e32 v[40:41], v[18:19], v[70:71]
	s_delay_alu instid0(VALU_DEP_2) | instskip(NEXT) | instid1(VALU_DEP_2)
	v_fma_f64 v[4:5], v[18:19], v[68:69], -v[4:5]
	v_fmac_f64_e32 v[40:41], v[20:21], v[68:69]
	s_delay_alu instid0(VALU_DEP_2) | instskip(NEXT) | instid1(VALU_DEP_2)
	v_add_f64_e32 v[14:15], v[14:15], v[4:5]
	v_add_f64_e32 v[16:17], v[16:17], v[40:41]
	s_or_b32 exec_lo, exec_lo, s47
	s_and_saveexec_b32 s47, s8
	s_cbranch_execnz .LBB184_334
	s_branch .LBB184_335
.LBB184_542:                            ;   in Loop: Header=BB184_3 Depth=1
	ds_load_b128 v[18:21], v49 offset:3664
	ds_load_b128 v[68:71], v48 offset:2560
	s_wait_dscnt 0x0
	v_mul_f64_e32 v[4:5], v[20:21], v[70:71]
	v_mul_f64_e32 v[40:41], v[18:19], v[70:71]
	s_delay_alu instid0(VALU_DEP_2) | instskip(NEXT) | instid1(VALU_DEP_2)
	v_fma_f64 v[4:5], v[18:19], v[68:69], -v[4:5]
	v_fmac_f64_e32 v[40:41], v[20:21], v[68:69]
	s_delay_alu instid0(VALU_DEP_2) | instskip(NEXT) | instid1(VALU_DEP_2)
	v_add_f64_e32 v[14:15], v[14:15], v[4:5]
	v_add_f64_e32 v[16:17], v[16:17], v[40:41]
	s_or_b32 exec_lo, exec_lo, s47
	s_and_saveexec_b32 s47, s8
	s_cbranch_execz .LBB184_387
.LBB184_543:                            ;   in Loop: Header=BB184_3 Depth=1
	ds_load_b128 v[18:21], v49 offset:3680
	ds_load_b128 v[68:71], v48 offset:3072
	s_wait_dscnt 0x0
	v_mul_f64_e32 v[4:5], v[20:21], v[70:71]
	v_mul_f64_e32 v[40:41], v[18:19], v[70:71]
	s_delay_alu instid0(VALU_DEP_2) | instskip(NEXT) | instid1(VALU_DEP_2)
	v_fma_f64 v[4:5], v[18:19], v[68:69], -v[4:5]
	v_fmac_f64_e32 v[40:41], v[20:21], v[68:69]
	s_delay_alu instid0(VALU_DEP_2) | instskip(NEXT) | instid1(VALU_DEP_2)
	v_add_f64_e32 v[14:15], v[14:15], v[4:5]
	v_add_f64_e32 v[16:17], v[16:17], v[40:41]
	s_or_b32 exec_lo, exec_lo, s47
	s_and_saveexec_b32 s47, s4
	s_cbranch_execnz .LBB184_388
	s_branch .LBB184_389
.LBB184_544:
	s_endpgm
	.section	.rodata,"a",@progbits
	.p2align	6, 0x0
	.amdhsa_kernel _ZL19rocblas_trsv_deviceILi32ELi16ELb0ELb0ELb0ELb0E19rocblas_complex_numIdES1_PKPKS1_PKPS1_EviT7_lllT6_T8_lllPii
		.amdhsa_group_segment_fixed_size 25104
		.amdhsa_private_segment_fixed_size 0
		.amdhsa_kernarg_size 360
		.amdhsa_user_sgpr_count 2
		.amdhsa_user_sgpr_dispatch_ptr 0
		.amdhsa_user_sgpr_queue_ptr 0
		.amdhsa_user_sgpr_kernarg_segment_ptr 1
		.amdhsa_user_sgpr_dispatch_id 0
		.amdhsa_user_sgpr_kernarg_preload_length 0
		.amdhsa_user_sgpr_kernarg_preload_offset 0
		.amdhsa_user_sgpr_private_segment_size 0
		.amdhsa_wavefront_size32 1
		.amdhsa_uses_dynamic_stack 0
		.amdhsa_enable_private_segment 0
		.amdhsa_system_sgpr_workgroup_id_x 1
		.amdhsa_system_sgpr_workgroup_id_y 0
		.amdhsa_system_sgpr_workgroup_id_z 1
		.amdhsa_system_sgpr_workgroup_info 0
		.amdhsa_system_vgpr_workitem_id 1
		.amdhsa_next_free_vgpr 77
		.amdhsa_next_free_sgpr 105
		.amdhsa_named_barrier_count 0
		.amdhsa_reserve_vcc 1
		.amdhsa_float_round_mode_32 0
		.amdhsa_float_round_mode_16_64 0
		.amdhsa_float_denorm_mode_32 3
		.amdhsa_float_denorm_mode_16_64 3
		.amdhsa_fp16_overflow 0
		.amdhsa_memory_ordered 1
		.amdhsa_forward_progress 1
		.amdhsa_inst_pref_size 210
		.amdhsa_round_robin_scheduling 0
		.amdhsa_exception_fp_ieee_invalid_op 0
		.amdhsa_exception_fp_denorm_src 0
		.amdhsa_exception_fp_ieee_div_zero 0
		.amdhsa_exception_fp_ieee_overflow 0
		.amdhsa_exception_fp_ieee_underflow 0
		.amdhsa_exception_fp_ieee_inexact 0
		.amdhsa_exception_int_div_zero 0
	.end_amdhsa_kernel
	.section	.text._ZL19rocblas_trsv_deviceILi32ELi16ELb0ELb0ELb0ELb0E19rocblas_complex_numIdES1_PKPKS1_PKPS1_EviT7_lllT6_T8_lllPii,"axG",@progbits,_ZL19rocblas_trsv_deviceILi32ELi16ELb0ELb0ELb0ELb0E19rocblas_complex_numIdES1_PKPKS1_PKPS1_EviT7_lllT6_T8_lllPii,comdat
.Lfunc_end184:
	.size	_ZL19rocblas_trsv_deviceILi32ELi16ELb0ELb0ELb0ELb0E19rocblas_complex_numIdES1_PKPKS1_PKPS1_EviT7_lllT6_T8_lllPii, .Lfunc_end184-_ZL19rocblas_trsv_deviceILi32ELi16ELb0ELb0ELb0ELb0E19rocblas_complex_numIdES1_PKPKS1_PKPS1_EviT7_lllT6_T8_lllPii
                                        ; -- End function
	.set _ZL19rocblas_trsv_deviceILi32ELi16ELb0ELb0ELb0ELb0E19rocblas_complex_numIdES1_PKPKS1_PKPS1_EviT7_lllT6_T8_lllPii.num_vgpr, 77
	.set _ZL19rocblas_trsv_deviceILi32ELi16ELb0ELb0ELb0ELb0E19rocblas_complex_numIdES1_PKPKS1_PKPS1_EviT7_lllT6_T8_lllPii.num_agpr, 0
	.set _ZL19rocblas_trsv_deviceILi32ELi16ELb0ELb0ELb0ELb0E19rocblas_complex_numIdES1_PKPKS1_PKPS1_EviT7_lllT6_T8_lllPii.numbered_sgpr, 105
	.set _ZL19rocblas_trsv_deviceILi32ELi16ELb0ELb0ELb0ELb0E19rocblas_complex_numIdES1_PKPKS1_PKPS1_EviT7_lllT6_T8_lllPii.num_named_barrier, 0
	.set _ZL19rocblas_trsv_deviceILi32ELi16ELb0ELb0ELb0ELb0E19rocblas_complex_numIdES1_PKPKS1_PKPS1_EviT7_lllT6_T8_lllPii.private_seg_size, 0
	.set _ZL19rocblas_trsv_deviceILi32ELi16ELb0ELb0ELb0ELb0E19rocblas_complex_numIdES1_PKPKS1_PKPS1_EviT7_lllT6_T8_lllPii.uses_vcc, 1
	.set _ZL19rocblas_trsv_deviceILi32ELi16ELb0ELb0ELb0ELb0E19rocblas_complex_numIdES1_PKPKS1_PKPS1_EviT7_lllT6_T8_lllPii.uses_flat_scratch, 0
	.set _ZL19rocblas_trsv_deviceILi32ELi16ELb0ELb0ELb0ELb0E19rocblas_complex_numIdES1_PKPKS1_PKPS1_EviT7_lllT6_T8_lllPii.has_dyn_sized_stack, 0
	.set _ZL19rocblas_trsv_deviceILi32ELi16ELb0ELb0ELb0ELb0E19rocblas_complex_numIdES1_PKPKS1_PKPS1_EviT7_lllT6_T8_lllPii.has_recursion, 0
	.set _ZL19rocblas_trsv_deviceILi32ELi16ELb0ELb0ELb0ELb0E19rocblas_complex_numIdES1_PKPKS1_PKPS1_EviT7_lllT6_T8_lllPii.has_indirect_call, 0
	.section	.AMDGPU.csdata,"",@progbits
; Kernel info:
; codeLenInByte = 26796
; TotalNumSgprs: 107
; NumVgprs: 77
; ScratchSize: 0
; MemoryBound: 1
; FloatMode: 240
; IeeeMode: 1
; LDSByteSize: 25104 bytes/workgroup (compile time only)
; SGPRBlocks: 0
; VGPRBlocks: 4
; NumSGPRsForWavesPerEU: 107
; NumVGPRsForWavesPerEU: 77
; NamedBarCnt: 0
; Occupancy: 12
; WaveLimiterHint : 1
; COMPUTE_PGM_RSRC2:SCRATCH_EN: 0
; COMPUTE_PGM_RSRC2:USER_SGPR: 2
; COMPUTE_PGM_RSRC2:TRAP_HANDLER: 0
; COMPUTE_PGM_RSRC2:TGID_X_EN: 1
; COMPUTE_PGM_RSRC2:TGID_Y_EN: 0
; COMPUTE_PGM_RSRC2:TGID_Z_EN: 1
; COMPUTE_PGM_RSRC2:TIDIG_COMP_CNT: 1
	.section	.text._ZL19rocblas_trsv_deviceILi32ELi16ELb0ELb1ELb0ELb0E19rocblas_complex_numIdES1_PKPKS1_PKPS1_EviT7_lllT6_T8_lllPii,"axG",@progbits,_ZL19rocblas_trsv_deviceILi32ELi16ELb0ELb1ELb0ELb0E19rocblas_complex_numIdES1_PKPKS1_PKPS1_EviT7_lllT6_T8_lllPii,comdat
	.globl	_ZL19rocblas_trsv_deviceILi32ELi16ELb0ELb1ELb0ELb0E19rocblas_complex_numIdES1_PKPKS1_PKPS1_EviT7_lllT6_T8_lllPii ; -- Begin function _ZL19rocblas_trsv_deviceILi32ELi16ELb0ELb1ELb0ELb0E19rocblas_complex_numIdES1_PKPKS1_PKPS1_EviT7_lllT6_T8_lllPii
	.p2align	8
	.type	_ZL19rocblas_trsv_deviceILi32ELi16ELb0ELb1ELb0ELb0E19rocblas_complex_numIdES1_PKPKS1_PKPS1_EviT7_lllT6_T8_lllPii,@function
_ZL19rocblas_trsv_deviceILi32ELi16ELb0ELb1ELb0ELb0E19rocblas_complex_numIdES1_PKPKS1_PKPS1_EviT7_lllT6_T8_lllPii: ; @_ZL19rocblas_trsv_deviceILi32ELi16ELb0ELb1ELb0ELb0E19rocblas_complex_numIdES1_PKPKS1_PKPS1_EviT7_lllT6_T8_lllPii
; %bb.0:
	s_load_b32 s37, s[0:1], 0x60
	s_bfe_u32 s2, ttmp6, 0x40014
	s_lshr_b32 s3, ttmp7, 16
	s_add_co_i32 s2, s2, 1
	s_bfe_u32 s5, ttmp6, 0x40008
	s_mul_i32 s4, s3, s2
	s_getreg_b32 s2, hwreg(HW_REG_IB_STS2, 6, 4)
	s_add_co_i32 s5, s5, s4
	s_cmp_eq_u32 s2, 0
	s_mov_b32 s39, 0
	s_cselect_b32 s38, s3, s5
	s_wait_kmcnt 0x0
	s_cmp_ge_u32 s38, s37
	s_cbranch_scc1 .LBB185_574
; %bb.1:
	s_clause 0x2
	s_load_b32 s3, s[0:1], 0x74
	s_load_b32 s58, s[0:1], 0x0
	s_load_b64 s[22:23], s[0:1], 0x18
	s_bfe_u32 s5, ttmp6, 0x4000c
	s_and_b32 s4, ttmp6, 15
	s_add_co_i32 s5, s5, 1
	v_and_b32_e32 v20, 0x3ff, v0
	s_mul_i32 s5, ttmp9, s5
	v_mov_b32_e32 v1, 0
	s_add_co_i32 s4, s4, s5
	s_cmp_eq_u32 s2, 0
	v_bfe_u32 v44, v0, 10, 10
	s_cselect_b32 s59, ttmp9, s4
	v_dual_mov_b32 v23, v1 :: v_dual_lshlrev_b32 v6, 5, v20
	v_mov_b32_e32 v21, v1
	s_delay_alu instid0(VALU_DEP_3)
	v_lshl_add_u32 v10, v44, 5, v20
	v_and_b32_e32 v13, 1, v0
	v_sub_co_u32 v45, s7, s59, 1
	s_wait_kmcnt 0x0
	s_and_b32 s2, s3, 0xffff
	s_add_co_i32 s3, s58, -1
	s_ashr_i32 s4, s58, 31
	s_ashr_i32 s5, s3, 31
	s_lshr_b32 s4, s4, 27
	s_lshr_b32 s5, s5, 27
	s_add_co_i32 s4, s58, s4
	s_add_co_i32 s3, s3, s5
	s_and_not1_b32 s4, s4, 31
	s_ashr_i32 s3, s3, 5
	s_sub_co_i32 s21, s58, s4
	s_cmp_eq_u32 s3, s59
	s_add_nc_u64 s[4:5], s[22:23], 1
	s_cselect_b32 s3, -1, 0
	s_cmp_lg_u32 s21, 0
	v_lshrrev_b32_e32 v12, 1, v10
	s_cselect_b32 s6, -1, 0
	s_lshl_b32 s24, s59, 5
	s_and_b32 s31, s6, s3
	v_mad_nc_u64_u32 v[2:3], s4, s24, v[20:21]
	s_xor_b32 s60, s7, -1
	s_xor_b32 s61, s31, -1
	s_cmp_lt_i32 s59, 5
	v_dual_lshlrev_b32 v14, 9, v12 :: v_dual_lshlrev_b32 v46, 4, v13
	s_cselect_b32 vcc_lo, -1, 0
	s_ashr_i32 s25, s24, 31
	v_cmp_eq_u32_e64 s6, 0, v13
	s_mul_i32 s3, s4, s25
	s_mul_i32 s4, s5, s24
	v_dual_sub_nc_u32 v47, 0, v14 :: v_dual_lshlrev_b32 v48, 4, v20
	v_add3_u32 v3, s3, s4, v3
	v_cmp_gt_u32_e64 s3, 4, v10
	v_dual_sub_nc_u32 v49, v46, v14 :: v_dual_bitop2_b32 v14, 3, v0 bitop3:0x40
	v_cmp_eq_u32_e64 s5, 1, v13
	v_lshrrev_b32_e32 v13, 2, v10
	s_and_b32 s64, s6, s3
	v_cmp_gt_u32_e64 s6, 16, v10
	v_cmp_eq_u32_e64 s9, 3, v14
	v_cmp_ne_u32_e64 s10, 3, v14
	v_dual_lshlrev_b32 v15, 9, v13 :: v_dual_lshlrev_b32 v54, 4, v14
	s_and_b32 s63, s5, s3
	s_and_b32 s66, s9, s6
	v_cmp_gt_u32_e64 s9, 2, v14
	v_cmp_eq_u32_e64 s5, 0, v44
	v_sub_nc_u32_e32 v55, 0, v15
	v_lshl_add_u32 v53, v13, 4, 0x4000
	v_cmp_eq_u32_e64 s11, 2, v14
	v_cmp_eq_u32_e64 s12, 1, v14
	s_and_b32 s67, s10, s6
	v_cmp_eq_u32_e64 s10, 0, v14
	s_and_b32 s69, s9, s6
	v_dual_lshrrev_b32 v13, 3, v10 :: v_dual_sub_nc_u32 v56, v54, v15
	v_cmp_gt_u32_e64 s9, 4, v20
	v_and_b32_e32 v14, 7, v0
	v_dual_add_nc_u32 v7, 16, v44 :: v_dual_add_nc_u32 v8, s24, v44
	s_delay_alu instid0(VALU_DEP_4)
	v_lshlrev_b32_e32 v15, 9, v13
	s_and_b32 s72, s5, s9
	v_cmp_gt_u32_e64 s9, 64, v10
	v_cmp_eq_u32_e64 s15, 7, v14
	v_dual_add_nc_u32 v4, s24, v20 :: v_dual_add_nc_u32 v9, v44, v6
	v_cmp_ne_u32_e64 s16, 7, v14
	v_subrev_nc_u32_e32 v24, 32, v8
	s_and_b32 s73, s15, s9
	v_cmp_eq_u32_e64 s15, 5, v14
	v_dual_ashrrev_i32 v5, 31, v4 :: v_dual_add_nc_u32 v6, v7, v6
	v_lshl_add_u32 v11, v7, 5, v20
	v_dual_lshlrev_b32 v58, 4, v14 :: v_dual_sub_nc_u32 v59, 0, v15
	s_and_b32 s74, s16, s9
	v_cmp_gt_u32_e64 s16, 5, v14
	s_and_b32 s77, s15, s9
	v_cmp_eq_u32_e64 s15, 4, v14
	s_and_b32 s71, s10, s6
	v_cmp_gt_u32_e64 s10, 56, v10
	v_dual_ashrrev_i32 v25, 31, v24 :: v_dual_cndmask_b32 v9, v10, v9, vcc_lo
	s_or_b32 vcc_lo, vcc_lo, s31
	v_lshl_add_u32 v57, v13, 4, 0x4000
	v_dual_cndmask_b32 v6, v11, v6 :: v_dual_lshrrev_b32 v11, 10, v0
	v_cmp_eq_u32_e64 s17, 6, v14
	s_and_b32 s78, s16, s9
	v_cmp_gt_u32_e64 s16, 3, v14
	s_and_b32 s79, s15, s9
	v_cmp_eq_u32_e64 s15, 2, v14
	v_dual_sub_nc_u32 v60, v58, v15 :: v_dual_lshlrev_b32 v13, 5, v10
                                        ; implicit-def: $vgpr203 : SGPR spill to VGPR lane
	v_bitop3_b32 v11, v0, v11, 0x3ff bitop3:0xa8
	v_writelane_b32 v203, s10, 0
	v_cmp_gt_u32_e64 s10, 40, v10
	s_and_b32 s75, s17, s9
	v_cmp_gt_u32_e64 s17, 4, v14
	s_and_b32 s82, s16, s9
	;; [unrolled: 2-line block ×3, first 2 shown]
	v_cmp_gt_u32_e64 s15, 8, v20
	v_and_b32_e32 v13, 0xfffffe00, v13
	v_and_b32_e32 v0, 15, v0
	v_writelane_b32 v203, s10, 1
	v_cmp_gt_u32_e64 s10, 24, v10
	v_cmp_gt_u32_e64 s18, 6, v14
	s_and_b32 s80, s17, s9
	v_cmp_eq_u32_e64 s17, 1, v14
	s_and_b32 s84, s16, s9
	s_and_b32 s87, s5, s15
	v_cmp_gt_u32_e64 s15, 0x100, v10
	v_sub_nc_u32_e32 v71, 0, v13
	v_cmp_eq_u32_e64 s16, 15, v0
	v_writelane_b32 v203, s10, 2
	s_and_b32 s76, s18, s9
	v_cmp_eq_u32_e64 s18, 3, v14
	s_and_b32 s85, s17, s9
	v_cmp_ne_u32_e64 s17, 15, v0
	s_and_b32 s10, s16, s15
	v_cmp_eq_u32_e64 s16, 14, v0
	v_writelane_b32 v203, s10, 3
	s_and_b32 s81, s18, s9
	v_cmp_eq_u32_e64 s18, 0, v14
	s_and_b32 s10, s17, s15
	v_cmp_eq_u32_e64 s19, 13, v0
	v_writelane_b32 v203, s10, 4
	s_and_b32 s10, s16, s15
	s_and_b32 s86, s18, s9
	v_cmp_gt_u32_e64 s18, 14, v0
	v_cmp_gt_u32_e64 s17, 13, v0
	v_writelane_b32 v203, s10, 5
	v_cmp_eq_u32_e64 s16, 12, v0
	v_lshl_add_u32 v21, v12, 4, 0x4000
	s_and_b32 s10, s18, s15
	v_cmp_eq_u32_e64 s18, 11, v0
	v_writelane_b32 v203, s10, 6
	s_and_b32 s10, s19, s15
	s_and_b32 s94, s16, s15
	v_cmp_eq_u32_e64 s16, 10, v0
	v_cmp_gt_u32_e64 s19, 11, v0
	v_writelane_b32 v203, s10, 7
	s_and_b32 s10, s17, s15
	v_cmp_gt_u32_e64 s17, 12, v0
	s_and_b32 s98, s16, s15
	v_cmp_eq_u32_e64 s16, 9, v0
	s_and_b32 s96, s18, s15
	s_and_b32 s97, s19, s15
	;; [unrolled: 1-line block ×3, first 2 shown]
	v_cmp_gt_u32_e64 s17, 10, v0
	v_cmp_gt_u32_e64 s18, 9, v0
	v_cmp_eq_u32_e64 s19, 8, v0
	s_and_b32 s100, s16, s15
	v_cmp_eq_u32_e64 s16, 7, v0
	s_and_b32 s99, s17, s15
	v_cmp_gt_u32_e64 s17, 8, v0
	s_and_b32 s101, s18, s15
	s_and_b32 s102, s19, s15
	v_cmp_eq_u32_e64 s18, 6, v0
	v_cmp_gt_u32_e64 s19, 6, v0
	s_and_b32 s103, s17, s15
	v_cmp_gt_u32_e64 s17, 7, v0
	s_and_b32 s104, s16, s15
	v_cmp_eq_u32_e64 s16, 5, v0
	v_mad_u32_u24 v12, 0x1f0, v20, v48
	v_dual_lshlrev_b32 v70, 4, v0 :: v_dual_bitop2_b32 v14, -16, v10 bitop3:0x40
	s_and_b32 vcc_hi, s17, s15
	v_cmp_gt_u32_e64 s17, 5, v0
	s_and_b32 s26, s18, s15
	s_and_b32 s27, s19, s15
	;; [unrolled: 1-line block ×3, first 2 shown]
	v_cmp_eq_u32_e64 s16, 4, v0
	v_cmp_gt_u32_e64 s18, 4, v0
	v_cmp_eq_u32_e64 s19, 3, v0
	s_and_b32 s29, s17, s15
	v_cmp_gt_u32_e64 s17, 3, v0
	v_mad_i32_i24 v52, 0xfffffe10, v20, v12
	v_writelane_b32 v203, s10, 8
	s_and_b32 s30, s16, s15
	s_and_b32 s33, s18, s15
	;; [unrolled: 1-line block ×3, first 2 shown]
	v_cmp_eq_u32_e64 s16, 2, v0
	s_and_b32 s10, s17, s15
	v_cmp_gt_u32_e64 s17, 2, v0
	v_cmp_eq_u32_e64 s18, 1, v0
	v_cmp_eq_u32_e64 s19, 0, v0
	v_dual_sub_nc_u32 v72, v70, v13 :: v_dual_add_nc_u32 v0, -16, v8
	s_clause 0x1
	s_load_b64 s[52:53], s[0:1], 0x48
	s_load_b64 s[54:55], s[0:1], 0x58
	s_and_b32 s88, s18, s15
	v_cmp_le_i32_e64 s20, s21, v20
	s_and_b32 s70, s12, s6
	v_cmp_gt_i32_e64 s18, s58, v0
	v_mad_u32_u24 v0, 0x1f0, v20, v52
	s_and_b32 s12, s16, s15
	v_cmp_gt_u32_e64 s16, 16, v20
	v_cmp_gt_u32_e64 s7, 2, v20
	s_and_b32 s91, s20, s31
	v_mad_i32_i24 v103, 0xfffffe10, v20, v0
	v_add_nc_u32_e32 v99, 0x3980, v0
	v_add_nc_u32_e32 v100, 0x39b0, v0
	;; [unrolled: 1-line block ×4, first 2 shown]
	v_mad_u32_u24 v8, 0x1f0, v20, v103
	v_add_nc_u32_e32 v104, 0x2d40, v0
	v_add_nc_u32_e32 v105, 0x2d50, v0
	;; [unrolled: 1-line block ×4, first 2 shown]
	v_mad_i32_i24 v114, 0xfffffe10, v20, v8
	v_add_nc_u32_e32 v108, 0x18a0, v0
	v_add_nc_u32_e32 v109, 0x1890, v0
	;; [unrolled: 1-line block ×4, first 2 shown]
	v_mad_u32_u24 v0, 0x1f0, v20, v114
	s_xor_b32 s62, vcc_lo, -1
	v_cmp_gt_i32_e32 vcc_lo, s21, v20
	s_and_b32 s90, s5, s16
	s_xor_b32 s16, s91, -1
	v_mad_u32_u24 v22, v44, s2, v20
	v_cmp_gt_i32_e64 s2, s58, v4
	s_and_b32 s65, s5, s7
	s_and_b32 s68, s11, s6
	s_and_b32 s14, s17, s15
	s_and_b32 s89, s19, s15
	s_and_b32 s92, s5, s16
	v_mul_u64_e32 v[26:27], s[22:23], v[4:5]
	s_wait_kmcnt 0x0
	v_mul_u64_e32 v[28:29], s[52:53], v[4:5]
	v_mad_i32_i24 v5, 0xfffffe10, v20, v0
	v_lshlrev_b32_e32 v4, 4, v44
	s_cmp_gt_i32 s59, 0
	v_mad_nc_u64_u32 v[30:31], s22, v44, v[2:3]
	s_cselect_b32 s93, -1, 0
	v_mad_nc_u64_u32 v[32:33], s22, v7, v[2:3]
	s_and_b32 s22, s5, vcc_lo
	v_add_nc_u32_e32 v125, 0x2500, v0
	v_add_nc_u32_e32 v126, 0x2510, v0
	;; [unrolled: 1-line block ×6, first 2 shown]
	v_dual_add_nc_u32 v133, 32, v5 :: v_dual_add_nc_u32 v129, v0, v4
	v_add_nc_u32_e32 v0, s24, v22
	v_add_nc_u32_e32 v130, 0x6000, v4
	;; [unrolled: 1-line block ×3, first 2 shown]
	v_lshl_add_u32 v135, v44, 9, v5
	v_add_nc_u64_e32 v[4:5], s[24:25], v[22:23]
	v_writelane_b32 v203, s22, 9
	s_and_b32 s24, s18, s2
	v_cmp_ne_u32_e64 s18, v20, v44
	v_cmp_gt_i32_e64 s19, s58, v24
	v_mul_u64_e32 v[36:37], s[52:53], v[0:1]
	s_load_b128 s[48:51], s[0:1], 0x8
	v_mul_u64_e32 v[34:35], s[52:53], v[4:5]
	v_writelane_b32 v203, s18, 10
	s_and_b32 s22, s19, s2
	v_cmp_ne_u32_e64 s19, v20, v7
	s_or_b32 s18, s20, s18
	s_load_b256 s[40:47], s[0:1], 0x28
	v_writelane_b32 v203, s18, 11
	v_mad_u32 v31, s23, v44, v31
	s_or_b32 s18, s20, s19
	v_mad_u32 v33, s23, v7, v33
	v_add_nc_u32_e32 v112, 0x3580, v8
	v_writelane_b32 v203, s18, 12
	v_cmp_gt_u32_e64 s18, 0xf0, v10
	v_add_nc_u32_e32 v113, 0x3590, v8
	v_add_nc_u32_e32 v115, 0x2900, v8
	v_add_nc_u32_e32 v116, 0x2930, v8
	v_add_nc_u32_e32 v117, 0x2920, v8
	v_writelane_b32 v203, s18, 13
	v_cmp_gt_u32_e64 s18, 0xe0, v10
	v_add_nc_u32_e32 v118, 0x2910, v8
	v_add_nc_u32_e32 v119, 0x1480, v8
	v_add_nc_u32_e32 v120, 0x1490, v8
	;; [unrolled: 6-line block ×3, first 2 shown]
	v_mul_u32_u24_e32 v136, 0x210, v20
	v_writelane_b32 v203, s18, 15
	v_cmp_gt_u32_e64 s18, 0xc0, v10
	v_dual_lshlrev_b32 v8, 9, v20 :: v_dual_lshlrev_b32 v137, 4, v9
	v_dual_add_nc_u32 v195, 64, v103 :: v_dual_bitop2_b32 v2, v7, v20 bitop3:0x54
	s_delay_alu instid0(VALU_DEP_3)
	v_writelane_b32 v203, s18, 16
	v_cmp_gt_u32_e64 s18, 0xb0, v10
	v_cmp_le_i32_e32 vcc_lo, s21, v44
	v_cmp_le_i32_e64 s21, s21, v7
	v_cmp_ge_u32_e64 s16, v20, v44
	v_cmp_ge_u32_e64 s17, v20, v7
	v_writelane_b32 v203, s18, 17
	v_cmp_gt_u32_e64 s18, 0xa0, v10
	v_cmp_gt_u32_e64 s4, 2, v10
	v_add_nc_u32_e32 v50, 0x3dc0, v12
	v_add_nc_u32_e32 v51, 0x3dd0, v12
	v_cmp_gt_u32_e64 s7, 12, v10
	v_writelane_b32 v203, s18, 18
	v_cmp_gt_u32_e64 s18, 0x90, v10
	v_cmp_gt_u32_e64 s8, 8, v10
	;; [unrolled: 1-line block ×4, first 2 shown]
	v_add_nc_u32_e32 v61, 0x3100, v12
	v_writelane_b32 v203, s18, 19
	v_cmp_gt_u32_e64 s18, 0x80, v10
	v_add_nc_u32_e32 v62, 0x3110, v12
	v_add_nc_u32_e32 v63, 0x3120, v12
	v_add_nc_u32_e32 v64, 0x3130, v12
	v_add_nc_u32_e32 v65, 0x3140, v12
	v_writelane_b32 v203, s18, 20
	v_cmp_gt_u32_e64 s18, 0x70, v10
	v_add_nc_u32_e32 v66, 0x3150, v12
	v_add_nc_u32_e32 v67, 0x3160, v12
	v_add_nc_u32_e32 v68, 0x3170, v12
	;; [unrolled: 6-line block ×5, first 2 shown]
	v_add_nc_u32_e32 v84, 0x20b0, v12
	v_add_nc_u32_e32 v85, 0x20c0, v12
	;; [unrolled: 1-line block ×15, first 2 shown]
	v_dual_sub_nc_u32 v23, v136, v8 :: v_dual_lshlrev_b32 v138, 4, v6
	v_add_nc_u32_e32 v139, 0x39e0, v52
	v_add_nc_u32_e32 v140, 0x3be0, v52
	v_add_nc_u32_e32 v141, 0x31c0, v52
	v_add_nc_u32_e32 v142, 0x37c0, v52
	v_add_nc_u32_e32 v143, 0x35c0, v52
	v_add_nc_u32_e32 v144, 0x33c0, v52
	v_add_nc_u32_e32 v145, 0x31a0, v114
	v_add_nc_u32_e32 v146, 0x33a0, v114
	v_add_nc_u32_e32 v147, 0x2180, v52
	v_add_nc_u32_e32 v148, 0x2380, v52
	v_add_nc_u32_e32 v149, 0x2580, v52
	v_add_nc_u32_e32 v150, 0x2780, v52
	v_add_nc_u32_e32 v151, 0x2980, v52
	v_add_nc_u32_e32 v152, 0x2b80, v52
	v_add_nc_u32_e32 v153, 0x2d80, v52
	v_add_nc_u32_e32 v154, 0x2f80, v52
	v_add_nc_u32_e32 v155, 0x2960, v103
	v_add_nc_u32_e32 v156, 0x2b60, v103
	v_add_nc_u32_e32 v157, 0x2140, v103
	v_add_nc_u32_e32 v158, 0x2740, v103
	v_add_nc_u32_e32 v159, 0x2540, v103
	v_add_nc_u32_e32 v160, 0x2340, v103
	v_add_nc_u32_e32 v161, 0x100, v52
	v_add_nc_u32_e32 v162, 0x300, v52
	v_add_nc_u32_e32 v163, 0x500, v52
	v_add_nc_u32_e32 v164, 0x700, v52
	v_add_nc_u32_e32 v165, 0x900, v52
	v_add_nc_u32_e32 v166, 0xb00, v52
	v_add_nc_u32_e32 v167, 0xd00, v52
	v_add_nc_u32_e32 v168, 0xf00, v52
	v_add_nc_u32_e32 v169, 0x1100, v52
	v_add_nc_u32_e32 v170, 0x1300, v52
	v_add_nc_u32_e32 v171, 0x1500, v52
	v_add_nc_u32_e32 v172, 0x1700, v52
	v_add_nc_u32_e32 v173, 0x1900, v52
	v_add_nc_u32_e32 v174, 0x1b00, v52
	v_add_nc_u32_e32 v175, 0x1d00, v52
	v_add_nc_u32_e32 v176, 0x1f00, v52
	v_add_nc_u32_e32 v177, 0x18e0, v52
	v_add_nc_u32_e32 v178, 0x1ae0, v52
	v_add_nc_u32_e32 v179, 0x10c0, v52
	v_add_nc_u32_e32 v180, 0x16c0, v52
	v_add_nc_u32_e32 v181, 0x14c0, v52
	v_add_nc_u32_e32 v182, 0x12c0, v52
	v_add_nc_u32_e32 v183, 0x10a0, v114
	v_add_nc_u32_e32 v184, 0x12a0, v114
	v_add_nc_u32_e32 v185, 0x80, v52
	v_add_nc_u32_e32 v186, 0x280, v52
	v_add_nc_u32_e32 v187, 0x480, v52
	v_add_nc_u32_e32 v188, 0x680, v52
	v_add_nc_u32_e32 v189, 0x880, v52
	v_add_nc_u32_e32 v190, 0xa80, v52
	v_add_nc_u32_e32 v191, 0xc80, v52
	v_add_nc_u32_e32 v192, 0xe80, v52
	v_add_nc_u32_e32 v193, 0x860, v103
	v_add_nc_u32_e32 v194, 0xa60, v103
	v_add_nc_u32_e32 v196, 0x640, v103
	v_add_nc_u32_e32 v197, 0x440, v103
	v_add_nc_u32_e32 v198, 0x240, v103
	v_lshl_add_u32 v199, v22, 4, 0x6000
	v_lshl_add_u32 v200, v10, 4, 0x4000
	v_add_nc_u32_e32 v201, 0x4000, v48
	v_add_nc_u32_e32 v202, v130, v48
	v_cmp_eq_u32_e64 s31, 0, v11
	v_writelane_b32 v203, s18, 24
	v_cmp_gt_u32_e64 s18, 32, v2
	v_cmp_eq_u32_e64 s35, 0, v22
	v_cmp_gt_u32_e64 s36, 32, v22
	s_or_b32 s23, vcc_lo, s20
	s_or_b32 s21, s21, s20
	s_or_b32 s23, s23, s16
	;; [unrolled: 1-line block ×3, first 2 shown]
	s_wait_kmcnt 0x0
	s_lshl_b64 s[50:51], s[50:51], 4
	s_lshl_b64 s[46:47], s[46:47], 4
                                        ; implicit-def: $vgpr4_vgpr5
                                        ; implicit-def: $vgpr8_vgpr9
	v_writelane_b32 v203, s18, 25
	s_branch .LBB185_3
.LBB185_2:                              ;   in Loop: Header=BB185_3 Depth=1
	s_wait_xcnt 0x0
	s_or_b32 exec_lo, exec_lo, s0
	s_add_co_i32 s38, s38, 0x10000
	global_wb scope:SCOPE_DEV
	s_wait_storecnt 0x0
	global_inv scope:SCOPE_DEV
	s_cmp_lt_u32 s38, s37
	s_cbranch_scc0 .LBB185_574
.LBB185_3:                              ; =>This Loop Header: Depth=1
                                        ;     Child Loop BB185_461 Depth 2
                                        ;       Child Loop BB185_463 Depth 3
                                        ;     Child Loop BB185_494 Depth 2
	v_mov_b32_e32 v0, s38
	s_and_not1_b32 vcc_lo, exec_lo, s60
	s_clause 0x1
	global_load_b64 v[2:3], v0, s[48:49] scale_offset
	global_load_b64 v[40:41], v0, s[44:45] scale_offset
	s_wait_loadcnt 0x1
	v_add_nc_u64_e32 v[42:43], s[50:51], v[2:3]
	s_delay_alu instid0(VALU_DEP_1)
	v_lshl_add_u64 v[38:39], v[26:27], 4, v[42:43]
	s_cbranch_vccz .LBB185_6
; %bb.4:                                ;   in Loop: Header=BB185_3 Depth=1
	s_and_not1_b32 vcc_lo, exec_lo, s61
	s_mov_b32 s0, -1
	s_cbranch_vccz .LBB185_11
.LBB185_5:                              ;   in Loop: Header=BB185_3 Depth=1
	s_and_b32 vcc_lo, exec_lo, s0
	s_cbranch_vccnz .LBB185_17
	s_branch .LBB185_23
.LBB185_6:                              ;   in Loop: Header=BB185_3 Depth=1
	v_mov_b64_e32 v[10:11], 0
	v_mov_b64_e32 v[4:5], 0
	;; [unrolled: 1-line block ×3, first 2 shown]
	v_lshl_add_u64 v[2:3], v[24:25], 4, v[38:39]
	s_wait_loadcnt 0x0
	s_barrier_signal -1
	s_barrier_wait -1
	s_wait_xcnt 0x0
	s_and_saveexec_b32 s0, s22
	s_cbranch_execz .LBB185_8
; %bb.7:                                ;   in Loop: Header=BB185_3 Depth=1
	flat_load_b128 v[4:7], v[2:3]
.LBB185_8:                              ;   in Loop: Header=BB185_3 Depth=1
	s_wait_xcnt 0x0
	s_or_b32 exec_lo, exec_lo, s0
	v_mov_b64_e32 v[8:9], 0
	s_wait_loadcnt_dscnt 0x0
	s_barrier_signal -1
	s_barrier_wait -1
	s_and_saveexec_b32 s0, s24
	s_cbranch_execz .LBB185_10
; %bb.9:                                ;   in Loop: Header=BB185_3 Depth=1
	flat_load_b128 v[8:11], v[2:3] offset:256
.LBB185_10:                             ;   in Loop: Header=BB185_3 Depth=1
	s_wait_xcnt 0x0
	s_or_b32 exec_lo, exec_lo, s0
	s_delay_alu instid0(SALU_CYCLE_1)
	s_and_not1_b32 vcc_lo, exec_lo, s61
	s_mov_b32 s0, -1
	s_cbranch_vccnz .LBB185_5
.LBB185_11:                             ;   in Loop: Header=BB185_3 Depth=1
	s_wait_xcnt 0x0
	s_and_saveexec_b32 s0, s16
	s_delay_alu instid0(SALU_CYCLE_1)
	s_xor_b32 s0, exec_lo, s0
	s_cbranch_execnz .LBB185_507
; %bb.12:                               ;   in Loop: Header=BB185_3 Depth=1
	s_and_not1_saveexec_b32 s0, s0
	s_cbranch_execnz .LBB185_518
.LBB185_13:                             ;   in Loop: Header=BB185_3 Depth=1
	s_or_b32 exec_lo, exec_lo, s0
	s_and_saveexec_b32 s0, s17
	s_delay_alu instid0(SALU_CYCLE_1)
	s_xor_b32 s0, exec_lo, s0
	s_cbranch_execnz .LBB185_519
.LBB185_14:                             ;   in Loop: Header=BB185_3 Depth=1
	s_and_not1_saveexec_b32 s0, s0
	s_cbranch_execz .LBB185_16
.LBB185_15:                             ;   in Loop: Header=BB185_3 Depth=1
	v_lshl_add_u64 v[2:3], v[32:33], 4, v[42:43]
	flat_load_b128 v[12:15], v[2:3]
	s_wait_loadcnt_dscnt 0x0
	v_xor_b32_e32 v13, 0x80000000, v13
	v_xor_b32_e32 v15, 0x80000000, v15
	ds_store_b128 v138, v[12:15]
.LBB185_16:                             ;   in Loop: Header=BB185_3 Depth=1
	s_or_b32 exec_lo, exec_lo, s0
	s_branch .LBB185_23
.LBB185_17:                             ;   in Loop: Header=BB185_3 Depth=1
	s_wait_xcnt 0x0
	s_and_saveexec_b32 s0, s23
	s_delay_alu instid0(SALU_CYCLE_1)
	s_xor_b32 s0, exec_lo, s0
	s_cbranch_execnz .LBB185_530
; %bb.18:                               ;   in Loop: Header=BB185_3 Depth=1
	s_and_not1_saveexec_b32 s0, s0
	s_cbranch_execnz .LBB185_541
.LBB185_19:                             ;   in Loop: Header=BB185_3 Depth=1
	s_or_b32 exec_lo, exec_lo, s0
	s_and_saveexec_b32 s0, s21
	s_delay_alu instid0(SALU_CYCLE_1)
	s_xor_b32 s0, exec_lo, s0
	s_cbranch_execnz .LBB185_542
.LBB185_20:                             ;   in Loop: Header=BB185_3 Depth=1
	s_and_not1_saveexec_b32 s0, s0
	s_cbranch_execz .LBB185_22
.LBB185_21:                             ;   in Loop: Header=BB185_3 Depth=1
	v_lshl_add_u64 v[2:3], v[32:33], 4, v[42:43]
	flat_load_b128 v[12:15], v[2:3]
	s_wait_loadcnt_dscnt 0x0
	v_xor_b32_e32 v13, 0x80000000, v13
	v_xor_b32_e32 v15, 0x80000000, v15
	ds_store_b128 v138, v[12:15]
.LBB185_22:                             ;   in Loop: Header=BB185_3 Depth=1
	s_or_b32 exec_lo, exec_lo, s0
.LBB185_23:                             ;   in Loop: Header=BB185_3 Depth=1
	s_delay_alu instid0(SALU_CYCLE_1)
	s_and_not1_b32 vcc_lo, exec_lo, s62
	s_wait_loadcnt_dscnt 0x0
	s_barrier_signal -1
	s_barrier_wait -1
	s_cbranch_vccnz .LBB185_455
; %bb.24:                               ;   in Loop: Header=BB185_3 Depth=1
	s_wait_xcnt 0x0
	s_and_saveexec_b32 s0, s31
	s_cbranch_execz .LBB185_26
; %bb.25:                               ;   in Loop: Header=BB185_3 Depth=1
	ds_load_b128 v[12:15], v1 offset:16368
	ds_load_b128 v[16:19], v1 offset:15840
	s_wait_dscnt 0x0
	v_mul_f64_e32 v[2:3], v[14:15], v[18:19]
	v_mul_f64_e32 v[42:43], v[12:13], v[18:19]
	s_delay_alu instid0(VALU_DEP_2) | instskip(NEXT) | instid1(VALU_DEP_2)
	v_fma_f64 v[2:3], v[12:13], v[16:17], -v[2:3]
	v_fmac_f64_e32 v[42:43], v[14:15], v[16:17]
	ds_load_b128 v[12:15], v1 offset:16352
	s_wait_dscnt 0x0
	v_mul_f64_e32 v[18:19], v[2:3], v[14:15]
	v_mul_f64_e32 v[16:17], v[42:43], v[14:15]
	s_delay_alu instid0(VALU_DEP_2) | instskip(NEXT) | instid1(VALU_DEP_2)
	v_fmac_f64_e32 v[18:19], v[12:13], v[42:43]
	v_fma_f64 v[16:17], v[12:13], v[2:3], -v[16:17]
	ds_store_b128 v1, v[16:19] offset:16352
	ds_store_b128 v1, v[16:19] offset:15856
.LBB185_26:                             ;   in Loop: Header=BB185_3 Depth=1
	s_or_b32 exec_lo, exec_lo, s0
	v_mov_b64_e32 v[12:13], 0
	v_mov_b64_e32 v[14:15], 0
	s_wait_dscnt 0x0
	s_barrier_signal -1
	s_barrier_wait -1
	global_wb scope:SCOPE_DEV
	s_wait_storecnt 0x0
	global_inv scope:SCOPE_DEV
	s_and_saveexec_b32 s0, s3
	s_cbranch_execz .LBB185_30
; %bb.27:                               ;   in Loop: Header=BB185_3 Depth=1
	ds_load_b128 v[12:15], v47 offset:16352
	ds_load_b128 v[16:19], v46 offset:15808
	s_wait_dscnt 0x0
	v_mul_f64_e32 v[2:3], v[14:15], v[18:19]
	v_mul_f64_e32 v[18:19], v[12:13], v[18:19]
	s_delay_alu instid0(VALU_DEP_2) | instskip(NEXT) | instid1(VALU_DEP_2)
	v_fma_f64 v[2:3], v[12:13], v[16:17], -v[2:3]
	v_fmac_f64_e32 v[18:19], v[14:15], v[16:17]
	s_delay_alu instid0(VALU_DEP_2) | instskip(NEXT) | instid1(VALU_DEP_2)
	v_add_f64_e32 v[12:13], 0, v[2:3]
	v_add_f64_e32 v[14:15], 0, v[18:19]
	s_and_saveexec_b32 s1, s4
	s_cbranch_execz .LBB185_29
; %bb.28:                               ;   in Loop: Header=BB185_3 Depth=1
	ds_load_b128 v[16:19], v1 offset:16368
	ds_load_b128 v[204:207], v48 offset:16320
	s_wait_dscnt 0x0
	v_mul_f64_e32 v[2:3], v[18:19], v[206:207]
	s_delay_alu instid0(VALU_DEP_1) | instskip(SKIP_1) | instid1(VALU_DEP_2)
	v_fma_f64 v[2:3], v[16:17], v[204:205], -v[2:3]
	v_mul_f64_e32 v[16:17], v[16:17], v[206:207]
	v_add_f64_e32 v[12:13], v[12:13], v[2:3]
	s_delay_alu instid0(VALU_DEP_2) | instskip(NEXT) | instid1(VALU_DEP_1)
	v_fmac_f64_e32 v[16:17], v[18:19], v[204:205]
	v_add_f64_e32 v[14:15], v[14:15], v[16:17]
.LBB185_29:                             ;   in Loop: Header=BB185_3 Depth=1
	s_or_b32 exec_lo, exec_lo, s1
.LBB185_30:                             ;   in Loop: Header=BB185_3 Depth=1
	s_delay_alu instid0(SALU_CYCLE_1)
	s_or_b32 exec_lo, exec_lo, s0
	s_and_saveexec_b32 s0, s63
	s_cbranch_execz .LBB185_32
; %bb.31:                               ;   in Loop: Header=BB185_3 Depth=1
	ds_load_b128 v[16:19], v1 offset:15312
	s_wait_dscnt 0x0
	v_mul_f64_e32 v[2:3], v[14:15], v[18:19]
	v_mul_f64_e32 v[18:19], v[12:13], v[18:19]
	s_delay_alu instid0(VALU_DEP_1) | instskip(NEXT) | instid1(VALU_DEP_1)
	v_fmac_f64_e32 v[18:19], v[14:15], v[16:17]
	v_dual_fma_f64 v[2:3], v[12:13], v[16:17], -v[2:3] :: v_dual_mov_b32 v14, v18
	s_delay_alu instid0(VALU_DEP_1) | instskip(NEXT) | instid1(VALU_DEP_3)
	v_xor_b32_e32 v13, 0x80000000, v3
	v_xor_b32_e32 v15, 0x80000000, v19
	s_delay_alu instid0(VALU_DEP_3)
	v_mov_b32_e32 v12, v2
	ds_store_b128 v21, v[12:15]
	v_mov_b64_e32 v[12:13], v[2:3]
	v_mov_b64_e32 v[14:15], v[18:19]
.LBB185_32:                             ;   in Loop: Header=BB185_3 Depth=1
	s_or_b32 exec_lo, exec_lo, s0
	s_wait_loadcnt_dscnt 0x0
	s_barrier_signal -1
	s_barrier_wait -1
	s_and_saveexec_b32 s0, s64
	s_cbranch_execz .LBB185_34
; %bb.33:                               ;   in Loop: Header=BB185_3 Depth=1
	ds_load_b128 v[16:19], v21
	ds_load_b128 v[204:207], v1 offset:15296
	s_wait_dscnt 0x0
	v_mul_f64_e32 v[2:3], v[18:19], v[206:207]
	s_delay_alu instid0(VALU_DEP_1) | instskip(SKIP_1) | instid1(VALU_DEP_2)
	v_fma_f64 v[2:3], v[16:17], v[204:205], -v[2:3]
	v_mul_f64_e32 v[16:17], v[16:17], v[206:207]
	v_add_f64_e64 v[12:13], v[12:13], -v[2:3]
	s_delay_alu instid0(VALU_DEP_2) | instskip(NEXT) | instid1(VALU_DEP_1)
	v_fmac_f64_e32 v[16:17], v[18:19], v[204:205]
	v_add_f64_e64 v[14:15], v[14:15], -v[16:17]
.LBB185_34:                             ;   in Loop: Header=BB185_3 Depth=1
	s_or_b32 exec_lo, exec_lo, s0
	s_barrier_signal -1
	s_barrier_wait -1
	s_and_saveexec_b32 s0, s64
	s_cbranch_execz .LBB185_36
; %bb.35:                               ;   in Loop: Header=BB185_3 Depth=1
	ds_load_b128 v[16:19], v1 offset:14784
	s_wait_dscnt 0x0
	v_mul_f64_e32 v[2:3], v[14:15], v[18:19]
	v_mul_f64_e32 v[18:19], v[12:13], v[18:19]
	s_delay_alu instid0(VALU_DEP_1) | instskip(NEXT) | instid1(VALU_DEP_1)
	v_fmac_f64_e32 v[18:19], v[14:15], v[16:17]
	v_dual_fma_f64 v[2:3], v[12:13], v[16:17], -v[2:3] :: v_dual_mov_b32 v14, v18
	s_delay_alu instid0(VALU_DEP_1) | instskip(NEXT) | instid1(VALU_DEP_3)
	v_xor_b32_e32 v13, 0x80000000, v3
	v_xor_b32_e32 v15, 0x80000000, v19
	s_delay_alu instid0(VALU_DEP_3)
	v_mov_b32_e32 v12, v2
	ds_store_b128 v21, v[12:15]
	v_mov_b64_e32 v[12:13], v[2:3]
	v_mov_b64_e32 v[14:15], v[18:19]
.LBB185_36:                             ;   in Loop: Header=BB185_3 Depth=1
	s_or_b32 exec_lo, exec_lo, s0
	s_wait_dscnt 0x0
	s_barrier_signal -1
	s_barrier_wait -1
	s_barrier_signal -1
	s_barrier_wait -1
	s_and_saveexec_b32 s0, s3
; %bb.37:                               ;   in Loop: Header=BB185_3 Depth=1
	ds_store_b128 v49, v[12:15] offset:16320
; %bb.38:                               ;   in Loop: Header=BB185_3 Depth=1
	s_or_b32 exec_lo, exec_lo, s0
	s_wait_dscnt 0x0
	s_barrier_signal -1
	s_barrier_wait -1
	s_barrier_signal -1
	s_barrier_wait -1
	s_and_saveexec_b32 s0, s65
	s_cbranch_execz .LBB185_40
; %bb.39:                               ;   in Loop: Header=BB185_3 Depth=1
	ds_load_b128 v[12:15], v50
	s_wait_dscnt 0x0
	ds_store_b128 v139, v[12:15]
	ds_load_b128 v[12:15], v51
	s_wait_dscnt 0x0
	ds_store_b128 v140, v[12:15]
.LBB185_40:                             ;   in Loop: Header=BB185_3 Depth=1
	s_or_b32 exec_lo, exec_lo, s0
	s_wait_dscnt 0x0
	s_barrier_signal -1
	s_barrier_wait -1
	s_and_saveexec_b32 s0, s31
	s_cbranch_execz .LBB185_42
; %bb.41:                               ;   in Loop: Header=BB185_3 Depth=1
	ds_load_b128 v[12:15], v1 offset:15312
	ds_load_b128 v[16:19], v1 offset:14784
	s_wait_dscnt 0x0
	v_mul_f64_e32 v[2:3], v[14:15], v[18:19]
	v_mul_f64_e32 v[42:43], v[12:13], v[18:19]
	s_delay_alu instid0(VALU_DEP_2) | instskip(NEXT) | instid1(VALU_DEP_2)
	v_fma_f64 v[2:3], v[12:13], v[16:17], -v[2:3]
	v_fmac_f64_e32 v[42:43], v[14:15], v[16:17]
	ds_load_b128 v[12:15], v1 offset:15296
	s_wait_dscnt 0x0
	v_mul_f64_e32 v[18:19], v[2:3], v[14:15]
	v_mul_f64_e32 v[16:17], v[42:43], v[14:15]
	s_delay_alu instid0(VALU_DEP_2) | instskip(NEXT) | instid1(VALU_DEP_2)
	v_fmac_f64_e32 v[18:19], v[12:13], v[42:43]
	v_fma_f64 v[16:17], v[12:13], v[2:3], -v[16:17]
	ds_store_b128 v1, v[16:19] offset:15296
	ds_store_b128 v1, v[16:19] offset:14800
.LBB185_42:                             ;   in Loop: Header=BB185_3 Depth=1
	s_or_b32 exec_lo, exec_lo, s0
	v_mov_b64_e32 v[14:15], 0
	v_mov_b64_e32 v[12:13], 0
	s_wait_dscnt 0x0
	s_barrier_signal -1
	s_barrier_wait -1
	global_wb scope:SCOPE_DEV
	s_wait_storecnt 0x0
	global_inv scope:SCOPE_DEV
	s_and_saveexec_b32 s0, s6
	s_cbranch_execz .LBB185_48
; %bb.43:                               ;   in Loop: Header=BB185_3 Depth=1
	ds_load_b128 v[12:15], v55 offset:16320
	ds_load_b128 v[16:19], v54 offset:14720
	s_wait_dscnt 0x0
	v_mul_f64_e32 v[2:3], v[14:15], v[18:19]
	v_mul_f64_e32 v[18:19], v[12:13], v[18:19]
	s_delay_alu instid0(VALU_DEP_2) | instskip(NEXT) | instid1(VALU_DEP_2)
	v_fma_f64 v[2:3], v[12:13], v[16:17], -v[2:3]
	v_fmac_f64_e32 v[18:19], v[14:15], v[16:17]
	s_delay_alu instid0(VALU_DEP_2) | instskip(NEXT) | instid1(VALU_DEP_2)
	v_add_f64_e32 v[12:13], 0, v[2:3]
	v_add_f64_e32 v[14:15], 0, v[18:19]
	s_and_saveexec_b32 s1, s7
	s_cbranch_execnz .LBB185_558
; %bb.44:                               ;   in Loop: Header=BB185_3 Depth=1
	s_or_b32 exec_lo, exec_lo, s1
	s_and_saveexec_b32 s1, s8
	s_cbranch_execnz .LBB185_559
.LBB185_45:                             ;   in Loop: Header=BB185_3 Depth=1
	s_or_b32 exec_lo, exec_lo, s1
	s_and_saveexec_b32 s1, s3
	s_cbranch_execz .LBB185_47
.LBB185_46:                             ;   in Loop: Header=BB185_3 Depth=1
	ds_load_b128 v[16:19], v1 offset:16368
	ds_load_b128 v[204:207], v52 offset:16256
	s_wait_dscnt 0x0
	v_mul_f64_e32 v[2:3], v[18:19], v[206:207]
	s_delay_alu instid0(VALU_DEP_1) | instskip(SKIP_1) | instid1(VALU_DEP_2)
	v_fma_f64 v[2:3], v[16:17], v[204:205], -v[2:3]
	v_mul_f64_e32 v[16:17], v[16:17], v[206:207]
	v_add_f64_e32 v[12:13], v[12:13], v[2:3]
	s_delay_alu instid0(VALU_DEP_2) | instskip(NEXT) | instid1(VALU_DEP_1)
	v_fmac_f64_e32 v[16:17], v[18:19], v[204:205]
	v_add_f64_e32 v[14:15], v[14:15], v[16:17]
.LBB185_47:                             ;   in Loop: Header=BB185_3 Depth=1
	s_or_b32 exec_lo, exec_lo, s1
.LBB185_48:                             ;   in Loop: Header=BB185_3 Depth=1
	s_delay_alu instid0(SALU_CYCLE_1)
	s_or_b32 exec_lo, exec_lo, s0
	s_and_saveexec_b32 s0, s66
	s_cbranch_execz .LBB185_50
; %bb.49:                               ;   in Loop: Header=BB185_3 Depth=1
	ds_load_b128 v[16:19], v1 offset:14256
	s_wait_dscnt 0x0
	v_mul_f64_e32 v[2:3], v[14:15], v[18:19]
	v_mul_f64_e32 v[18:19], v[12:13], v[18:19]
	s_delay_alu instid0(VALU_DEP_1) | instskip(NEXT) | instid1(VALU_DEP_1)
	v_fmac_f64_e32 v[18:19], v[14:15], v[16:17]
	v_dual_fma_f64 v[2:3], v[12:13], v[16:17], -v[2:3] :: v_dual_mov_b32 v14, v18
	s_delay_alu instid0(VALU_DEP_1) | instskip(NEXT) | instid1(VALU_DEP_3)
	v_xor_b32_e32 v13, 0x80000000, v3
	v_xor_b32_e32 v15, 0x80000000, v19
	s_delay_alu instid0(VALU_DEP_3)
	v_mov_b32_e32 v12, v2
	ds_store_b128 v53, v[12:15]
	v_mov_b64_e32 v[12:13], v[2:3]
	v_mov_b64_e32 v[14:15], v[18:19]
.LBB185_50:                             ;   in Loop: Header=BB185_3 Depth=1
	s_or_b32 exec_lo, exec_lo, s0
	s_wait_loadcnt_dscnt 0x0
	s_barrier_signal -1
	s_barrier_wait -1
	s_and_saveexec_b32 s0, s67
	s_cbranch_execz .LBB185_52
; %bb.51:                               ;   in Loop: Header=BB185_3 Depth=1
	ds_load_b128 v[16:19], v53
	ds_load_b128 v[204:207], v54 offset:14208
	s_wait_dscnt 0x0
	v_mul_f64_e32 v[2:3], v[18:19], v[206:207]
	s_delay_alu instid0(VALU_DEP_1) | instskip(SKIP_1) | instid1(VALU_DEP_2)
	v_fma_f64 v[2:3], v[16:17], v[204:205], -v[2:3]
	v_mul_f64_e32 v[16:17], v[16:17], v[206:207]
	v_add_f64_e64 v[12:13], v[12:13], -v[2:3]
	s_delay_alu instid0(VALU_DEP_2) | instskip(NEXT) | instid1(VALU_DEP_1)
	v_fmac_f64_e32 v[16:17], v[18:19], v[204:205]
	v_add_f64_e64 v[14:15], v[14:15], -v[16:17]
.LBB185_52:                             ;   in Loop: Header=BB185_3 Depth=1
	s_or_b32 exec_lo, exec_lo, s0
	s_barrier_signal -1
	s_barrier_wait -1
	s_and_saveexec_b32 s0, s68
	s_cbranch_execz .LBB185_54
; %bb.53:                               ;   in Loop: Header=BB185_3 Depth=1
	ds_load_b128 v[16:19], v1 offset:13728
	s_wait_dscnt 0x0
	v_mul_f64_e32 v[2:3], v[14:15], v[18:19]
	v_mul_f64_e32 v[18:19], v[12:13], v[18:19]
	s_delay_alu instid0(VALU_DEP_1) | instskip(NEXT) | instid1(VALU_DEP_1)
	v_fmac_f64_e32 v[18:19], v[14:15], v[16:17]
	v_dual_fma_f64 v[2:3], v[12:13], v[16:17], -v[2:3] :: v_dual_mov_b32 v14, v18
	s_delay_alu instid0(VALU_DEP_1) | instskip(NEXT) | instid1(VALU_DEP_3)
	v_xor_b32_e32 v13, 0x80000000, v3
	v_xor_b32_e32 v15, 0x80000000, v19
	s_delay_alu instid0(VALU_DEP_3)
	v_mov_b32_e32 v12, v2
	ds_store_b128 v53, v[12:15]
	v_mov_b64_e32 v[12:13], v[2:3]
	v_mov_b64_e32 v[14:15], v[18:19]
.LBB185_54:                             ;   in Loop: Header=BB185_3 Depth=1
	s_or_b32 exec_lo, exec_lo, s0
	s_wait_dscnt 0x0
	s_barrier_signal -1
	s_barrier_wait -1
	s_and_saveexec_b32 s0, s69
	s_cbranch_execz .LBB185_56
; %bb.55:                               ;   in Loop: Header=BB185_3 Depth=1
	ds_load_b128 v[16:19], v53
	ds_load_b128 v[204:207], v54 offset:13696
	s_wait_dscnt 0x0
	v_mul_f64_e32 v[2:3], v[18:19], v[206:207]
	s_delay_alu instid0(VALU_DEP_1) | instskip(SKIP_1) | instid1(VALU_DEP_2)
	v_fma_f64 v[2:3], v[16:17], v[204:205], -v[2:3]
	v_mul_f64_e32 v[16:17], v[16:17], v[206:207]
	v_add_f64_e64 v[12:13], v[12:13], -v[2:3]
	s_delay_alu instid0(VALU_DEP_2) | instskip(NEXT) | instid1(VALU_DEP_1)
	v_fmac_f64_e32 v[16:17], v[18:19], v[204:205]
	v_add_f64_e64 v[14:15], v[14:15], -v[16:17]
.LBB185_56:                             ;   in Loop: Header=BB185_3 Depth=1
	s_or_b32 exec_lo, exec_lo, s0
	s_barrier_signal -1
	s_barrier_wait -1
	s_and_saveexec_b32 s0, s70
	s_cbranch_execz .LBB185_58
; %bb.57:                               ;   in Loop: Header=BB185_3 Depth=1
	ds_load_b128 v[16:19], v1 offset:13200
	s_wait_dscnt 0x0
	v_mul_f64_e32 v[2:3], v[14:15], v[18:19]
	v_mul_f64_e32 v[18:19], v[12:13], v[18:19]
	s_delay_alu instid0(VALU_DEP_1) | instskip(NEXT) | instid1(VALU_DEP_1)
	v_fmac_f64_e32 v[18:19], v[14:15], v[16:17]
	v_dual_fma_f64 v[2:3], v[12:13], v[16:17], -v[2:3] :: v_dual_mov_b32 v14, v18
	s_delay_alu instid0(VALU_DEP_1) | instskip(NEXT) | instid1(VALU_DEP_3)
	v_xor_b32_e32 v13, 0x80000000, v3
	v_xor_b32_e32 v15, 0x80000000, v19
	s_delay_alu instid0(VALU_DEP_3)
	v_mov_b32_e32 v12, v2
	ds_store_b128 v53, v[12:15]
	v_mov_b64_e32 v[12:13], v[2:3]
	v_mov_b64_e32 v[14:15], v[18:19]
.LBB185_58:                             ;   in Loop: Header=BB185_3 Depth=1
	s_or_b32 exec_lo, exec_lo, s0
	s_wait_dscnt 0x0
	;; [unrolled: 41-line block ×3, first 2 shown]
	s_barrier_signal -1
	s_barrier_wait -1
	s_barrier_signal -1
	s_barrier_wait -1
	s_and_saveexec_b32 s0, s6
; %bb.63:                               ;   in Loop: Header=BB185_3 Depth=1
	ds_store_b128 v56, v[12:15] offset:16256
; %bb.64:                               ;   in Loop: Header=BB185_3 Depth=1
	s_or_b32 exec_lo, exec_lo, s0
	s_wait_dscnt 0x0
	s_barrier_signal -1
	s_barrier_wait -1
	s_barrier_signal -1
	s_barrier_wait -1
	s_and_saveexec_b32 s0, s72
	s_cbranch_execz .LBB185_66
; %bb.65:                               ;   in Loop: Header=BB185_3 Depth=1
	ds_load_b128 v[12:15], v99
	s_wait_dscnt 0x0
	ds_store_b128 v141, v[12:15]
	ds_load_b128 v[12:15], v102
	s_wait_dscnt 0x0
	ds_store_b128 v144, v[12:15]
	;; [unrolled: 3-line block ×4, first 2 shown]
.LBB185_66:                             ;   in Loop: Header=BB185_3 Depth=1
	s_or_b32 exec_lo, exec_lo, s0
	s_wait_dscnt 0x0
	s_barrier_signal -1
	s_barrier_wait -1
	s_and_saveexec_b32 s0, s31
	s_cbranch_execz .LBB185_68
; %bb.67:                               ;   in Loop: Header=BB185_3 Depth=1
	ds_load_b128 v[12:15], v1 offset:14256
	ds_load_b128 v[16:19], v1 offset:13728
	s_wait_dscnt 0x0
	v_mul_f64_e32 v[2:3], v[14:15], v[18:19]
	v_mul_f64_e32 v[42:43], v[12:13], v[18:19]
	s_delay_alu instid0(VALU_DEP_2) | instskip(NEXT) | instid1(VALU_DEP_2)
	v_fma_f64 v[2:3], v[12:13], v[16:17], -v[2:3]
	v_fmac_f64_e32 v[42:43], v[14:15], v[16:17]
	ds_load_b128 v[12:15], v1 offset:14240
	s_wait_dscnt 0x0
	v_mul_f64_e32 v[18:19], v[2:3], v[14:15]
	v_mul_f64_e32 v[16:17], v[42:43], v[14:15]
	s_delay_alu instid0(VALU_DEP_2) | instskip(NEXT) | instid1(VALU_DEP_2)
	v_fmac_f64_e32 v[18:19], v[12:13], v[42:43]
	v_fma_f64 v[16:17], v[12:13], v[2:3], -v[16:17]
	ds_store_b128 v1, v[16:19] offset:14240
	ds_store_b128 v1, v[16:19] offset:13744
.LBB185_68:                             ;   in Loop: Header=BB185_3 Depth=1
	s_or_b32 exec_lo, exec_lo, s0
	v_mov_b64_e32 v[12:13], 0
	v_mov_b64_e32 v[14:15], 0
	s_wait_dscnt 0x0
	s_barrier_signal -1
	s_barrier_wait -1
	global_wb scope:SCOPE_DEV
	s_wait_storecnt 0x0
	global_inv scope:SCOPE_DEV
	s_and_saveexec_b32 s0, s3
	s_cbranch_execz .LBB185_72
; %bb.69:                               ;   in Loop: Header=BB185_3 Depth=1
	ds_load_b128 v[12:15], v47 offset:14240
	ds_load_b128 v[16:19], v46 offset:13696
	s_wait_dscnt 0x0
	v_mul_f64_e32 v[2:3], v[14:15], v[18:19]
	v_mul_f64_e32 v[18:19], v[12:13], v[18:19]
	s_delay_alu instid0(VALU_DEP_2) | instskip(NEXT) | instid1(VALU_DEP_2)
	v_fma_f64 v[2:3], v[12:13], v[16:17], -v[2:3]
	v_fmac_f64_e32 v[18:19], v[14:15], v[16:17]
	s_delay_alu instid0(VALU_DEP_2) | instskip(NEXT) | instid1(VALU_DEP_2)
	v_add_f64_e32 v[12:13], 0, v[2:3]
	v_add_f64_e32 v[14:15], 0, v[18:19]
	s_and_saveexec_b32 s1, s4
	s_cbranch_execz .LBB185_71
; %bb.70:                               ;   in Loop: Header=BB185_3 Depth=1
	ds_load_b128 v[16:19], v1 offset:14256
	ds_load_b128 v[204:207], v103 offset:14208
	s_wait_dscnt 0x0
	v_mul_f64_e32 v[2:3], v[18:19], v[206:207]
	s_delay_alu instid0(VALU_DEP_1) | instskip(SKIP_1) | instid1(VALU_DEP_2)
	v_fma_f64 v[2:3], v[16:17], v[204:205], -v[2:3]
	v_mul_f64_e32 v[16:17], v[16:17], v[206:207]
	v_add_f64_e32 v[12:13], v[12:13], v[2:3]
	s_delay_alu instid0(VALU_DEP_2) | instskip(NEXT) | instid1(VALU_DEP_1)
	v_fmac_f64_e32 v[16:17], v[18:19], v[204:205]
	v_add_f64_e32 v[14:15], v[14:15], v[16:17]
.LBB185_71:                             ;   in Loop: Header=BB185_3 Depth=1
	s_or_b32 exec_lo, exec_lo, s1
.LBB185_72:                             ;   in Loop: Header=BB185_3 Depth=1
	s_delay_alu instid0(SALU_CYCLE_1)
	s_or_b32 exec_lo, exec_lo, s0
	s_and_saveexec_b32 s0, s63
	s_cbranch_execz .LBB185_74
; %bb.73:                               ;   in Loop: Header=BB185_3 Depth=1
	ds_load_b128 v[16:19], v1 offset:13200
	s_wait_dscnt 0x0
	v_mul_f64_e32 v[2:3], v[14:15], v[18:19]
	v_mul_f64_e32 v[18:19], v[12:13], v[18:19]
	s_delay_alu instid0(VALU_DEP_1) | instskip(NEXT) | instid1(VALU_DEP_1)
	v_fmac_f64_e32 v[18:19], v[14:15], v[16:17]
	v_dual_fma_f64 v[2:3], v[12:13], v[16:17], -v[2:3] :: v_dual_mov_b32 v14, v18
	s_delay_alu instid0(VALU_DEP_1) | instskip(NEXT) | instid1(VALU_DEP_3)
	v_xor_b32_e32 v13, 0x80000000, v3
	v_xor_b32_e32 v15, 0x80000000, v19
	s_delay_alu instid0(VALU_DEP_3)
	v_mov_b32_e32 v12, v2
	ds_store_b128 v21, v[12:15]
	v_mov_b64_e32 v[12:13], v[2:3]
	v_mov_b64_e32 v[14:15], v[18:19]
.LBB185_74:                             ;   in Loop: Header=BB185_3 Depth=1
	s_or_b32 exec_lo, exec_lo, s0
	s_wait_loadcnt_dscnt 0x0
	s_barrier_signal -1
	s_barrier_wait -1
	s_and_saveexec_b32 s0, s64
	s_cbranch_execz .LBB185_76
; %bb.75:                               ;   in Loop: Header=BB185_3 Depth=1
	ds_load_b128 v[16:19], v21
	ds_load_b128 v[204:207], v1 offset:13184
	s_wait_dscnt 0x0
	v_mul_f64_e32 v[2:3], v[18:19], v[206:207]
	s_delay_alu instid0(VALU_DEP_1) | instskip(SKIP_1) | instid1(VALU_DEP_2)
	v_fma_f64 v[2:3], v[16:17], v[204:205], -v[2:3]
	v_mul_f64_e32 v[16:17], v[16:17], v[206:207]
	v_add_f64_e64 v[12:13], v[12:13], -v[2:3]
	s_delay_alu instid0(VALU_DEP_2) | instskip(NEXT) | instid1(VALU_DEP_1)
	v_fmac_f64_e32 v[16:17], v[18:19], v[204:205]
	v_add_f64_e64 v[14:15], v[14:15], -v[16:17]
.LBB185_76:                             ;   in Loop: Header=BB185_3 Depth=1
	s_or_b32 exec_lo, exec_lo, s0
	s_barrier_signal -1
	s_barrier_wait -1
	s_and_saveexec_b32 s0, s64
	s_cbranch_execz .LBB185_78
; %bb.77:                               ;   in Loop: Header=BB185_3 Depth=1
	ds_load_b128 v[16:19], v1 offset:12672
	s_wait_dscnt 0x0
	v_mul_f64_e32 v[2:3], v[14:15], v[18:19]
	v_mul_f64_e32 v[18:19], v[12:13], v[18:19]
	s_delay_alu instid0(VALU_DEP_1) | instskip(NEXT) | instid1(VALU_DEP_1)
	v_fmac_f64_e32 v[18:19], v[14:15], v[16:17]
	v_dual_fma_f64 v[2:3], v[12:13], v[16:17], -v[2:3] :: v_dual_mov_b32 v14, v18
	s_delay_alu instid0(VALU_DEP_1) | instskip(NEXT) | instid1(VALU_DEP_3)
	v_xor_b32_e32 v13, 0x80000000, v3
	v_xor_b32_e32 v15, 0x80000000, v19
	s_delay_alu instid0(VALU_DEP_3)
	v_mov_b32_e32 v12, v2
	ds_store_b128 v21, v[12:15]
	v_mov_b64_e32 v[12:13], v[2:3]
	v_mov_b64_e32 v[14:15], v[18:19]
.LBB185_78:                             ;   in Loop: Header=BB185_3 Depth=1
	s_or_b32 exec_lo, exec_lo, s0
	s_wait_dscnt 0x0
	s_barrier_signal -1
	s_barrier_wait -1
	s_barrier_signal -1
	s_barrier_wait -1
	s_and_saveexec_b32 s0, s3
; %bb.79:                               ;   in Loop: Header=BB185_3 Depth=1
	ds_store_b128 v49, v[12:15] offset:14208
; %bb.80:                               ;   in Loop: Header=BB185_3 Depth=1
	s_or_b32 exec_lo, exec_lo, s0
	s_wait_dscnt 0x0
	s_barrier_signal -1
	s_barrier_wait -1
	s_barrier_signal -1
	s_barrier_wait -1
	s_and_saveexec_b32 s0, s65
	s_cbranch_execz .LBB185_82
; %bb.81:                               ;   in Loop: Header=BB185_3 Depth=1
	ds_load_b128 v[12:15], v112
	s_wait_dscnt 0x0
	ds_store_b128 v145, v[12:15]
	ds_load_b128 v[12:15], v113
	s_wait_dscnt 0x0
	ds_store_b128 v146, v[12:15]
.LBB185_82:                             ;   in Loop: Header=BB185_3 Depth=1
	s_or_b32 exec_lo, exec_lo, s0
	s_wait_dscnt 0x0
	s_barrier_signal -1
	s_barrier_wait -1
	s_and_saveexec_b32 s0, s31
	s_cbranch_execz .LBB185_84
; %bb.83:                               ;   in Loop: Header=BB185_3 Depth=1
	ds_load_b128 v[12:15], v1 offset:13200
	ds_load_b128 v[16:19], v1 offset:12672
	s_wait_dscnt 0x0
	v_mul_f64_e32 v[2:3], v[14:15], v[18:19]
	v_mul_f64_e32 v[42:43], v[12:13], v[18:19]
	s_delay_alu instid0(VALU_DEP_2) | instskip(NEXT) | instid1(VALU_DEP_2)
	v_fma_f64 v[2:3], v[12:13], v[16:17], -v[2:3]
	v_fmac_f64_e32 v[42:43], v[14:15], v[16:17]
	ds_load_b128 v[12:15], v1 offset:13184
	s_wait_dscnt 0x0
	v_mul_f64_e32 v[18:19], v[2:3], v[14:15]
	v_mul_f64_e32 v[16:17], v[42:43], v[14:15]
	s_delay_alu instid0(VALU_DEP_2) | instskip(NEXT) | instid1(VALU_DEP_2)
	v_fmac_f64_e32 v[18:19], v[12:13], v[42:43]
	v_fma_f64 v[16:17], v[12:13], v[2:3], -v[16:17]
	ds_store_b128 v1, v[16:19] offset:13184
	ds_store_b128 v1, v[16:19] offset:12688
.LBB185_84:                             ;   in Loop: Header=BB185_3 Depth=1
	s_or_b32 exec_lo, exec_lo, s0
	v_mov_b64_e32 v[14:15], 0
	v_mov_b64_e32 v[12:13], 0
	s_wait_dscnt 0x0
	s_barrier_signal -1
	s_barrier_wait -1
	global_wb scope:SCOPE_DEV
	s_wait_storecnt 0x0
	global_inv scope:SCOPE_DEV
	s_and_saveexec_b32 s0, s9
	s_cbranch_execz .LBB185_98
; %bb.85:                               ;   in Loop: Header=BB185_3 Depth=1
	ds_load_b128 v[12:15], v59 offset:16256
	ds_load_b128 v[16:19], v58 offset:12544
	v_readlane_b32 s18, v203, 0
	s_wait_dscnt 0x0
	v_mul_f64_e32 v[2:3], v[14:15], v[18:19]
	v_mul_f64_e32 v[18:19], v[12:13], v[18:19]
	s_delay_alu instid0(VALU_DEP_2) | instskip(NEXT) | instid1(VALU_DEP_2)
	v_fma_f64 v[2:3], v[12:13], v[16:17], -v[2:3]
	v_fmac_f64_e32 v[18:19], v[14:15], v[16:17]
	s_delay_alu instid0(VALU_DEP_2) | instskip(NEXT) | instid1(VALU_DEP_2)
	v_add_f64_e32 v[12:13], 0, v[2:3]
	v_add_f64_e32 v[14:15], 0, v[18:19]
	s_and_saveexec_b32 s1, s18
	s_cbranch_execz .LBB185_87
; %bb.86:                               ;   in Loop: Header=BB185_3 Depth=1
	ds_load_b128 v[16:19], v59 offset:16272
	ds_load_b128 v[204:207], v58 offset:13056
	s_wait_dscnt 0x0
	v_mul_f64_e32 v[2:3], v[18:19], v[206:207]
	s_delay_alu instid0(VALU_DEP_1) | instskip(SKIP_1) | instid1(VALU_DEP_2)
	v_fma_f64 v[2:3], v[16:17], v[204:205], -v[2:3]
	v_mul_f64_e32 v[16:17], v[16:17], v[206:207]
	v_add_f64_e32 v[12:13], v[12:13], v[2:3]
	s_delay_alu instid0(VALU_DEP_2) | instskip(NEXT) | instid1(VALU_DEP_1)
	v_fmac_f64_e32 v[16:17], v[18:19], v[204:205]
	v_add_f64_e32 v[14:15], v[14:15], v[16:17]
.LBB185_87:                             ;   in Loop: Header=BB185_3 Depth=1
	s_or_b32 exec_lo, exec_lo, s1
	s_and_saveexec_b32 s1, s11
	s_cbranch_execz .LBB185_89
; %bb.88:                               ;   in Loop: Header=BB185_3 Depth=1
	ds_load_b128 v[16:19], v59 offset:16288
	ds_load_b128 v[204:207], v58 offset:13568
	s_wait_dscnt 0x0
	v_mul_f64_e32 v[2:3], v[18:19], v[206:207]
	s_delay_alu instid0(VALU_DEP_1) | instskip(SKIP_1) | instid1(VALU_DEP_2)
	v_fma_f64 v[2:3], v[16:17], v[204:205], -v[2:3]
	v_mul_f64_e32 v[16:17], v[16:17], v[206:207]
	v_add_f64_e32 v[12:13], v[12:13], v[2:3]
	s_delay_alu instid0(VALU_DEP_2) | instskip(NEXT) | instid1(VALU_DEP_1)
	v_fmac_f64_e32 v[16:17], v[18:19], v[204:205]
	v_add_f64_e32 v[14:15], v[14:15], v[16:17]
.LBB185_89:                             ;   in Loop: Header=BB185_3 Depth=1
	s_or_b32 exec_lo, exec_lo, s1
	v_readlane_b32 s18, v203, 1
	s_and_saveexec_b32 s1, s18
	s_cbranch_execz .LBB185_91
; %bb.90:                               ;   in Loop: Header=BB185_3 Depth=1
	ds_load_b128 v[16:19], v59 offset:16304
	ds_load_b128 v[204:207], v58 offset:14080
	s_wait_dscnt 0x0
	v_mul_f64_e32 v[2:3], v[18:19], v[206:207]
	s_delay_alu instid0(VALU_DEP_1) | instskip(SKIP_1) | instid1(VALU_DEP_2)
	v_fma_f64 v[2:3], v[16:17], v[204:205], -v[2:3]
	v_mul_f64_e32 v[16:17], v[16:17], v[206:207]
	v_add_f64_e32 v[12:13], v[12:13], v[2:3]
	s_delay_alu instid0(VALU_DEP_2) | instskip(NEXT) | instid1(VALU_DEP_1)
	v_fmac_f64_e32 v[16:17], v[18:19], v[204:205]
	v_add_f64_e32 v[14:15], v[14:15], v[16:17]
.LBB185_91:                             ;   in Loop: Header=BB185_3 Depth=1
	s_or_b32 exec_lo, exec_lo, s1
	s_and_saveexec_b32 s1, s13
	s_cbranch_execz .LBB185_93
; %bb.92:                               ;   in Loop: Header=BB185_3 Depth=1
	ds_load_b128 v[16:19], v59 offset:16320
	ds_load_b128 v[204:207], v58 offset:14592
	s_wait_dscnt 0x0
	v_mul_f64_e32 v[2:3], v[18:19], v[206:207]
	s_delay_alu instid0(VALU_DEP_1) | instskip(SKIP_1) | instid1(VALU_DEP_2)
	v_fma_f64 v[2:3], v[16:17], v[204:205], -v[2:3]
	v_mul_f64_e32 v[16:17], v[16:17], v[206:207]
	v_add_f64_e32 v[12:13], v[12:13], v[2:3]
	s_delay_alu instid0(VALU_DEP_2) | instskip(NEXT) | instid1(VALU_DEP_1)
	v_fmac_f64_e32 v[16:17], v[18:19], v[204:205]
	v_add_f64_e32 v[14:15], v[14:15], v[16:17]
.LBB185_93:                             ;   in Loop: Header=BB185_3 Depth=1
	s_or_b32 exec_lo, exec_lo, s1
	v_readlane_b32 s18, v203, 2
	s_and_saveexec_b32 s1, s18
	s_cbranch_execnz .LBB185_560
; %bb.94:                               ;   in Loop: Header=BB185_3 Depth=1
	s_or_b32 exec_lo, exec_lo, s1
	s_and_saveexec_b32 s1, s6
	s_cbranch_execnz .LBB185_561
.LBB185_95:                             ;   in Loop: Header=BB185_3 Depth=1
	s_or_b32 exec_lo, exec_lo, s1
	s_and_saveexec_b32 s1, s8
	s_cbranch_execz .LBB185_97
.LBB185_96:                             ;   in Loop: Header=BB185_3 Depth=1
	ds_load_b128 v[16:19], v1 offset:16368
	ds_load_b128 v[204:207], v48 offset:16128
	s_wait_dscnt 0x0
	v_mul_f64_e32 v[2:3], v[18:19], v[206:207]
	s_delay_alu instid0(VALU_DEP_1) | instskip(SKIP_1) | instid1(VALU_DEP_2)
	v_fma_f64 v[2:3], v[16:17], v[204:205], -v[2:3]
	v_mul_f64_e32 v[16:17], v[16:17], v[206:207]
	v_add_f64_e32 v[12:13], v[12:13], v[2:3]
	s_delay_alu instid0(VALU_DEP_2) | instskip(NEXT) | instid1(VALU_DEP_1)
	v_fmac_f64_e32 v[16:17], v[18:19], v[204:205]
	v_add_f64_e32 v[14:15], v[14:15], v[16:17]
.LBB185_97:                             ;   in Loop: Header=BB185_3 Depth=1
	s_or_b32 exec_lo, exec_lo, s1
.LBB185_98:                             ;   in Loop: Header=BB185_3 Depth=1
	s_delay_alu instid0(SALU_CYCLE_1)
	s_or_b32 exec_lo, exec_lo, s0
	s_and_saveexec_b32 s0, s73
	s_cbranch_execz .LBB185_100
; %bb.99:                               ;   in Loop: Header=BB185_3 Depth=1
	ds_load_b128 v[16:19], v1 offset:12144
	s_wait_dscnt 0x0
	v_mul_f64_e32 v[2:3], v[14:15], v[18:19]
	v_mul_f64_e32 v[18:19], v[12:13], v[18:19]
	s_delay_alu instid0(VALU_DEP_1) | instskip(NEXT) | instid1(VALU_DEP_1)
	v_fmac_f64_e32 v[18:19], v[14:15], v[16:17]
	v_dual_fma_f64 v[2:3], v[12:13], v[16:17], -v[2:3] :: v_dual_mov_b32 v14, v18
	s_delay_alu instid0(VALU_DEP_1) | instskip(NEXT) | instid1(VALU_DEP_3)
	v_xor_b32_e32 v13, 0x80000000, v3
	v_xor_b32_e32 v15, 0x80000000, v19
	s_delay_alu instid0(VALU_DEP_3)
	v_mov_b32_e32 v12, v2
	ds_store_b128 v57, v[12:15]
	v_mov_b64_e32 v[12:13], v[2:3]
	v_mov_b64_e32 v[14:15], v[18:19]
.LBB185_100:                            ;   in Loop: Header=BB185_3 Depth=1
	s_or_b32 exec_lo, exec_lo, s0
	s_wait_loadcnt_dscnt 0x0
	s_barrier_signal -1
	s_barrier_wait -1
	s_and_saveexec_b32 s0, s74
	s_cbranch_execz .LBB185_102
; %bb.101:                              ;   in Loop: Header=BB185_3 Depth=1
	ds_load_b128 v[16:19], v57
	ds_load_b128 v[204:207], v58 offset:12032
	s_wait_dscnt 0x0
	v_mul_f64_e32 v[2:3], v[18:19], v[206:207]
	s_delay_alu instid0(VALU_DEP_1) | instskip(SKIP_1) | instid1(VALU_DEP_2)
	v_fma_f64 v[2:3], v[16:17], v[204:205], -v[2:3]
	v_mul_f64_e32 v[16:17], v[16:17], v[206:207]
	v_add_f64_e64 v[12:13], v[12:13], -v[2:3]
	s_delay_alu instid0(VALU_DEP_2) | instskip(NEXT) | instid1(VALU_DEP_1)
	v_fmac_f64_e32 v[16:17], v[18:19], v[204:205]
	v_add_f64_e64 v[14:15], v[14:15], -v[16:17]
.LBB185_102:                            ;   in Loop: Header=BB185_3 Depth=1
	s_or_b32 exec_lo, exec_lo, s0
	s_barrier_signal -1
	s_barrier_wait -1
	s_and_saveexec_b32 s0, s75
	s_cbranch_execz .LBB185_104
; %bb.103:                              ;   in Loop: Header=BB185_3 Depth=1
	ds_load_b128 v[16:19], v1 offset:11616
	s_wait_dscnt 0x0
	v_mul_f64_e32 v[2:3], v[14:15], v[18:19]
	v_mul_f64_e32 v[18:19], v[12:13], v[18:19]
	s_delay_alu instid0(VALU_DEP_1) | instskip(NEXT) | instid1(VALU_DEP_1)
	v_fmac_f64_e32 v[18:19], v[14:15], v[16:17]
	v_dual_fma_f64 v[2:3], v[12:13], v[16:17], -v[2:3] :: v_dual_mov_b32 v14, v18
	s_delay_alu instid0(VALU_DEP_1) | instskip(NEXT) | instid1(VALU_DEP_3)
	v_xor_b32_e32 v13, 0x80000000, v3
	v_xor_b32_e32 v15, 0x80000000, v19
	s_delay_alu instid0(VALU_DEP_3)
	v_mov_b32_e32 v12, v2
	ds_store_b128 v57, v[12:15]
	v_mov_b64_e32 v[12:13], v[2:3]
	v_mov_b64_e32 v[14:15], v[18:19]
.LBB185_104:                            ;   in Loop: Header=BB185_3 Depth=1
	s_or_b32 exec_lo, exec_lo, s0
	s_wait_dscnt 0x0
	s_barrier_signal -1
	s_barrier_wait -1
	s_and_saveexec_b32 s0, s76
	s_cbranch_execz .LBB185_106
; %bb.105:                              ;   in Loop: Header=BB185_3 Depth=1
	ds_load_b128 v[16:19], v57
	ds_load_b128 v[204:207], v58 offset:11520
	s_wait_dscnt 0x0
	v_mul_f64_e32 v[2:3], v[18:19], v[206:207]
	s_delay_alu instid0(VALU_DEP_1) | instskip(SKIP_1) | instid1(VALU_DEP_2)
	v_fma_f64 v[2:3], v[16:17], v[204:205], -v[2:3]
	v_mul_f64_e32 v[16:17], v[16:17], v[206:207]
	v_add_f64_e64 v[12:13], v[12:13], -v[2:3]
	s_delay_alu instid0(VALU_DEP_2) | instskip(NEXT) | instid1(VALU_DEP_1)
	v_fmac_f64_e32 v[16:17], v[18:19], v[204:205]
	v_add_f64_e64 v[14:15], v[14:15], -v[16:17]
.LBB185_106:                            ;   in Loop: Header=BB185_3 Depth=1
	s_or_b32 exec_lo, exec_lo, s0
	s_barrier_signal -1
	s_barrier_wait -1
	s_and_saveexec_b32 s0, s77
	s_cbranch_execz .LBB185_108
; %bb.107:                              ;   in Loop: Header=BB185_3 Depth=1
	ds_load_b128 v[16:19], v1 offset:11088
	s_wait_dscnt 0x0
	v_mul_f64_e32 v[2:3], v[14:15], v[18:19]
	v_mul_f64_e32 v[18:19], v[12:13], v[18:19]
	s_delay_alu instid0(VALU_DEP_1) | instskip(NEXT) | instid1(VALU_DEP_1)
	v_fmac_f64_e32 v[18:19], v[14:15], v[16:17]
	v_dual_fma_f64 v[2:3], v[12:13], v[16:17], -v[2:3] :: v_dual_mov_b32 v14, v18
	s_delay_alu instid0(VALU_DEP_1) | instskip(NEXT) | instid1(VALU_DEP_3)
	v_xor_b32_e32 v13, 0x80000000, v3
	v_xor_b32_e32 v15, 0x80000000, v19
	s_delay_alu instid0(VALU_DEP_3)
	v_mov_b32_e32 v12, v2
	ds_store_b128 v57, v[12:15]
	v_mov_b64_e32 v[12:13], v[2:3]
	v_mov_b64_e32 v[14:15], v[18:19]
.LBB185_108:                            ;   in Loop: Header=BB185_3 Depth=1
	s_or_b32 exec_lo, exec_lo, s0
	s_wait_dscnt 0x0
	;; [unrolled: 41-line block ×7, first 2 shown]
	s_barrier_signal -1
	s_barrier_wait -1
	s_barrier_signal -1
	s_barrier_wait -1
	s_and_saveexec_b32 s0, s9
; %bb.129:                              ;   in Loop: Header=BB185_3 Depth=1
	ds_store_b128 v60, v[12:15] offset:16128
; %bb.130:                              ;   in Loop: Header=BB185_3 Depth=1
	s_or_b32 exec_lo, exec_lo, s0
	s_wait_dscnt 0x0
	s_barrier_signal -1
	s_barrier_wait -1
	s_barrier_signal -1
	s_barrier_wait -1
	s_and_saveexec_b32 s0, s87
	s_cbranch_execz .LBB185_132
; %bb.131:                              ;   in Loop: Header=BB185_3 Depth=1
	ds_load_b128 v[12:15], v61
	s_wait_dscnt 0x0
	ds_store_b128 v147, v[12:15]
	ds_load_b128 v[12:15], v62
	s_wait_dscnt 0x0
	ds_store_b128 v148, v[12:15]
	ds_load_b128 v[12:15], v63
	s_wait_dscnt 0x0
	ds_store_b128 v149, v[12:15]
	ds_load_b128 v[12:15], v64
	s_wait_dscnt 0x0
	ds_store_b128 v150, v[12:15]
	ds_load_b128 v[12:15], v65
	s_wait_dscnt 0x0
	ds_store_b128 v151, v[12:15]
	ds_load_b128 v[12:15], v66
	s_wait_dscnt 0x0
	ds_store_b128 v152, v[12:15]
	ds_load_b128 v[12:15], v67
	s_wait_dscnt 0x0
	ds_store_b128 v153, v[12:15]
	ds_load_b128 v[12:15], v68
	s_wait_dscnt 0x0
	ds_store_b128 v154, v[12:15]
.LBB185_132:                            ;   in Loop: Header=BB185_3 Depth=1
	s_or_b32 exec_lo, exec_lo, s0
	s_wait_dscnt 0x0
	s_barrier_signal -1
	s_barrier_wait -1
	s_and_saveexec_b32 s0, s31
	s_cbranch_execz .LBB185_134
; %bb.133:                              ;   in Loop: Header=BB185_3 Depth=1
	ds_load_b128 v[12:15], v1 offset:12144
	ds_load_b128 v[16:19], v1 offset:11616
	s_wait_dscnt 0x0
	v_mul_f64_e32 v[2:3], v[14:15], v[18:19]
	v_mul_f64_e32 v[42:43], v[12:13], v[18:19]
	s_delay_alu instid0(VALU_DEP_2) | instskip(NEXT) | instid1(VALU_DEP_2)
	v_fma_f64 v[2:3], v[12:13], v[16:17], -v[2:3]
	v_fmac_f64_e32 v[42:43], v[14:15], v[16:17]
	ds_load_b128 v[12:15], v1 offset:12128
	s_wait_dscnt 0x0
	v_mul_f64_e32 v[18:19], v[2:3], v[14:15]
	v_mul_f64_e32 v[16:17], v[42:43], v[14:15]
	s_delay_alu instid0(VALU_DEP_2) | instskip(NEXT) | instid1(VALU_DEP_2)
	v_fmac_f64_e32 v[18:19], v[12:13], v[42:43]
	v_fma_f64 v[16:17], v[12:13], v[2:3], -v[16:17]
	ds_store_b128 v1, v[16:19] offset:12128
	ds_store_b128 v1, v[16:19] offset:11632
.LBB185_134:                            ;   in Loop: Header=BB185_3 Depth=1
	s_or_b32 exec_lo, exec_lo, s0
	v_mov_b64_e32 v[12:13], 0
	v_mov_b64_e32 v[14:15], 0
	s_wait_dscnt 0x0
	s_barrier_signal -1
	s_barrier_wait -1
	global_wb scope:SCOPE_DEV
	s_wait_storecnt 0x0
	global_inv scope:SCOPE_DEV
	s_and_saveexec_b32 s0, s3
	s_cbranch_execz .LBB185_138
; %bb.135:                              ;   in Loop: Header=BB185_3 Depth=1
	ds_load_b128 v[12:15], v47 offset:12128
	ds_load_b128 v[16:19], v46 offset:11584
	s_wait_dscnt 0x0
	v_mul_f64_e32 v[2:3], v[14:15], v[18:19]
	v_mul_f64_e32 v[18:19], v[12:13], v[18:19]
	s_delay_alu instid0(VALU_DEP_2) | instskip(NEXT) | instid1(VALU_DEP_2)
	v_fma_f64 v[2:3], v[12:13], v[16:17], -v[2:3]
	v_fmac_f64_e32 v[18:19], v[14:15], v[16:17]
	s_delay_alu instid0(VALU_DEP_2) | instskip(NEXT) | instid1(VALU_DEP_2)
	v_add_f64_e32 v[12:13], 0, v[2:3]
	v_add_f64_e32 v[14:15], 0, v[18:19]
	s_and_saveexec_b32 s1, s4
	s_cbranch_execz .LBB185_137
; %bb.136:                              ;   in Loop: Header=BB185_3 Depth=1
	ds_load_b128 v[16:19], v1 offset:12144
	ds_load_b128 v[204:207], v52 offset:12096
	s_wait_dscnt 0x0
	v_mul_f64_e32 v[2:3], v[18:19], v[206:207]
	s_delay_alu instid0(VALU_DEP_1) | instskip(SKIP_1) | instid1(VALU_DEP_2)
	v_fma_f64 v[2:3], v[16:17], v[204:205], -v[2:3]
	v_mul_f64_e32 v[16:17], v[16:17], v[206:207]
	v_add_f64_e32 v[12:13], v[12:13], v[2:3]
	s_delay_alu instid0(VALU_DEP_2) | instskip(NEXT) | instid1(VALU_DEP_1)
	v_fmac_f64_e32 v[16:17], v[18:19], v[204:205]
	v_add_f64_e32 v[14:15], v[14:15], v[16:17]
.LBB185_137:                            ;   in Loop: Header=BB185_3 Depth=1
	s_or_b32 exec_lo, exec_lo, s1
.LBB185_138:                            ;   in Loop: Header=BB185_3 Depth=1
	s_delay_alu instid0(SALU_CYCLE_1)
	s_or_b32 exec_lo, exec_lo, s0
	s_and_saveexec_b32 s0, s63
	s_cbranch_execz .LBB185_140
; %bb.139:                              ;   in Loop: Header=BB185_3 Depth=1
	ds_load_b128 v[16:19], v1 offset:11088
	s_wait_dscnt 0x0
	v_mul_f64_e32 v[2:3], v[14:15], v[18:19]
	v_mul_f64_e32 v[18:19], v[12:13], v[18:19]
	s_delay_alu instid0(VALU_DEP_1) | instskip(NEXT) | instid1(VALU_DEP_1)
	v_fmac_f64_e32 v[18:19], v[14:15], v[16:17]
	v_dual_fma_f64 v[2:3], v[12:13], v[16:17], -v[2:3] :: v_dual_mov_b32 v14, v18
	s_delay_alu instid0(VALU_DEP_1) | instskip(NEXT) | instid1(VALU_DEP_3)
	v_xor_b32_e32 v13, 0x80000000, v3
	v_xor_b32_e32 v15, 0x80000000, v19
	s_delay_alu instid0(VALU_DEP_3)
	v_mov_b32_e32 v12, v2
	ds_store_b128 v21, v[12:15]
	v_mov_b64_e32 v[12:13], v[2:3]
	v_mov_b64_e32 v[14:15], v[18:19]
.LBB185_140:                            ;   in Loop: Header=BB185_3 Depth=1
	s_or_b32 exec_lo, exec_lo, s0
	s_wait_loadcnt_dscnt 0x0
	s_barrier_signal -1
	s_barrier_wait -1
	s_and_saveexec_b32 s0, s64
	s_cbranch_execz .LBB185_142
; %bb.141:                              ;   in Loop: Header=BB185_3 Depth=1
	ds_load_b128 v[16:19], v21
	ds_load_b128 v[204:207], v1 offset:11072
	s_wait_dscnt 0x0
	v_mul_f64_e32 v[2:3], v[18:19], v[206:207]
	s_delay_alu instid0(VALU_DEP_1) | instskip(SKIP_1) | instid1(VALU_DEP_2)
	v_fma_f64 v[2:3], v[16:17], v[204:205], -v[2:3]
	v_mul_f64_e32 v[16:17], v[16:17], v[206:207]
	v_add_f64_e64 v[12:13], v[12:13], -v[2:3]
	s_delay_alu instid0(VALU_DEP_2) | instskip(NEXT) | instid1(VALU_DEP_1)
	v_fmac_f64_e32 v[16:17], v[18:19], v[204:205]
	v_add_f64_e64 v[14:15], v[14:15], -v[16:17]
.LBB185_142:                            ;   in Loop: Header=BB185_3 Depth=1
	s_or_b32 exec_lo, exec_lo, s0
	s_barrier_signal -1
	s_barrier_wait -1
	s_and_saveexec_b32 s0, s64
	s_cbranch_execz .LBB185_144
; %bb.143:                              ;   in Loop: Header=BB185_3 Depth=1
	ds_load_b128 v[16:19], v1 offset:10560
	s_wait_dscnt 0x0
	v_mul_f64_e32 v[2:3], v[14:15], v[18:19]
	v_mul_f64_e32 v[18:19], v[12:13], v[18:19]
	s_delay_alu instid0(VALU_DEP_1) | instskip(NEXT) | instid1(VALU_DEP_1)
	v_fmac_f64_e32 v[18:19], v[14:15], v[16:17]
	v_dual_fma_f64 v[2:3], v[12:13], v[16:17], -v[2:3] :: v_dual_mov_b32 v14, v18
	s_delay_alu instid0(VALU_DEP_1) | instskip(NEXT) | instid1(VALU_DEP_3)
	v_xor_b32_e32 v13, 0x80000000, v3
	v_xor_b32_e32 v15, 0x80000000, v19
	s_delay_alu instid0(VALU_DEP_3)
	v_mov_b32_e32 v12, v2
	ds_store_b128 v21, v[12:15]
	v_mov_b64_e32 v[12:13], v[2:3]
	v_mov_b64_e32 v[14:15], v[18:19]
.LBB185_144:                            ;   in Loop: Header=BB185_3 Depth=1
	s_or_b32 exec_lo, exec_lo, s0
	s_wait_dscnt 0x0
	s_barrier_signal -1
	s_barrier_wait -1
	s_barrier_signal -1
	s_barrier_wait -1
	s_and_saveexec_b32 s0, s3
; %bb.145:                              ;   in Loop: Header=BB185_3 Depth=1
	ds_store_b128 v49, v[12:15] offset:12096
; %bb.146:                              ;   in Loop: Header=BB185_3 Depth=1
	s_or_b32 exec_lo, exec_lo, s0
	s_wait_dscnt 0x0
	s_barrier_signal -1
	s_barrier_wait -1
	s_barrier_signal -1
	s_barrier_wait -1
	s_and_saveexec_b32 s0, s65
	s_cbranch_execz .LBB185_148
; %bb.147:                              ;   in Loop: Header=BB185_3 Depth=1
	ds_load_b128 v[12:15], v104
	s_wait_dscnt 0x0
	ds_store_b128 v155, v[12:15]
	ds_load_b128 v[12:15], v105
	s_wait_dscnt 0x0
	ds_store_b128 v156, v[12:15]
.LBB185_148:                            ;   in Loop: Header=BB185_3 Depth=1
	s_or_b32 exec_lo, exec_lo, s0
	s_wait_dscnt 0x0
	s_barrier_signal -1
	s_barrier_wait -1
	s_and_saveexec_b32 s0, s31
	s_cbranch_execz .LBB185_150
; %bb.149:                              ;   in Loop: Header=BB185_3 Depth=1
	ds_load_b128 v[12:15], v1 offset:11088
	ds_load_b128 v[16:19], v1 offset:10560
	s_wait_dscnt 0x0
	v_mul_f64_e32 v[2:3], v[14:15], v[18:19]
	v_mul_f64_e32 v[42:43], v[12:13], v[18:19]
	s_delay_alu instid0(VALU_DEP_2) | instskip(NEXT) | instid1(VALU_DEP_2)
	v_fma_f64 v[2:3], v[12:13], v[16:17], -v[2:3]
	v_fmac_f64_e32 v[42:43], v[14:15], v[16:17]
	ds_load_b128 v[12:15], v1 offset:11072
	s_wait_dscnt 0x0
	v_mul_f64_e32 v[18:19], v[2:3], v[14:15]
	v_mul_f64_e32 v[16:17], v[42:43], v[14:15]
	s_delay_alu instid0(VALU_DEP_2) | instskip(NEXT) | instid1(VALU_DEP_2)
	v_fmac_f64_e32 v[18:19], v[12:13], v[42:43]
	v_fma_f64 v[16:17], v[12:13], v[2:3], -v[16:17]
	ds_store_b128 v1, v[16:19] offset:11072
	ds_store_b128 v1, v[16:19] offset:10576
.LBB185_150:                            ;   in Loop: Header=BB185_3 Depth=1
	s_or_b32 exec_lo, exec_lo, s0
	v_mov_b64_e32 v[14:15], 0
	v_mov_b64_e32 v[12:13], 0
	s_wait_dscnt 0x0
	s_barrier_signal -1
	s_barrier_wait -1
	global_wb scope:SCOPE_DEV
	s_wait_storecnt 0x0
	global_inv scope:SCOPE_DEV
	s_and_saveexec_b32 s0, s6
	s_cbranch_execz .LBB185_156
; %bb.151:                              ;   in Loop: Header=BB185_3 Depth=1
	ds_load_b128 v[12:15], v55 offset:12096
	ds_load_b128 v[16:19], v54 offset:10496
	s_wait_dscnt 0x0
	v_mul_f64_e32 v[2:3], v[14:15], v[18:19]
	v_mul_f64_e32 v[18:19], v[12:13], v[18:19]
	s_delay_alu instid0(VALU_DEP_2) | instskip(NEXT) | instid1(VALU_DEP_2)
	v_fma_f64 v[2:3], v[12:13], v[16:17], -v[2:3]
	v_fmac_f64_e32 v[18:19], v[14:15], v[16:17]
	s_delay_alu instid0(VALU_DEP_2) | instskip(NEXT) | instid1(VALU_DEP_2)
	v_add_f64_e32 v[12:13], 0, v[2:3]
	v_add_f64_e32 v[14:15], 0, v[18:19]
	s_and_saveexec_b32 s1, s7
	s_cbranch_execnz .LBB185_562
; %bb.152:                              ;   in Loop: Header=BB185_3 Depth=1
	s_or_b32 exec_lo, exec_lo, s1
	s_and_saveexec_b32 s1, s8
	s_cbranch_execnz .LBB185_563
.LBB185_153:                            ;   in Loop: Header=BB185_3 Depth=1
	s_or_b32 exec_lo, exec_lo, s1
	s_and_saveexec_b32 s1, s3
	s_cbranch_execz .LBB185_155
.LBB185_154:                            ;   in Loop: Header=BB185_3 Depth=1
	ds_load_b128 v[16:19], v1 offset:12144
	ds_load_b128 v[204:207], v103 offset:12032
	s_wait_dscnt 0x0
	v_mul_f64_e32 v[2:3], v[18:19], v[206:207]
	s_delay_alu instid0(VALU_DEP_1) | instskip(SKIP_1) | instid1(VALU_DEP_2)
	v_fma_f64 v[2:3], v[16:17], v[204:205], -v[2:3]
	v_mul_f64_e32 v[16:17], v[16:17], v[206:207]
	v_add_f64_e32 v[12:13], v[12:13], v[2:3]
	s_delay_alu instid0(VALU_DEP_2) | instskip(NEXT) | instid1(VALU_DEP_1)
	v_fmac_f64_e32 v[16:17], v[18:19], v[204:205]
	v_add_f64_e32 v[14:15], v[14:15], v[16:17]
.LBB185_155:                            ;   in Loop: Header=BB185_3 Depth=1
	s_or_b32 exec_lo, exec_lo, s1
.LBB185_156:                            ;   in Loop: Header=BB185_3 Depth=1
	s_delay_alu instid0(SALU_CYCLE_1)
	s_or_b32 exec_lo, exec_lo, s0
	s_and_saveexec_b32 s0, s66
	s_cbranch_execz .LBB185_158
; %bb.157:                              ;   in Loop: Header=BB185_3 Depth=1
	ds_load_b128 v[16:19], v1 offset:10032
	s_wait_dscnt 0x0
	v_mul_f64_e32 v[2:3], v[14:15], v[18:19]
	v_mul_f64_e32 v[18:19], v[12:13], v[18:19]
	s_delay_alu instid0(VALU_DEP_1) | instskip(NEXT) | instid1(VALU_DEP_1)
	v_fmac_f64_e32 v[18:19], v[14:15], v[16:17]
	v_dual_fma_f64 v[2:3], v[12:13], v[16:17], -v[2:3] :: v_dual_mov_b32 v14, v18
	s_delay_alu instid0(VALU_DEP_1) | instskip(NEXT) | instid1(VALU_DEP_3)
	v_xor_b32_e32 v13, 0x80000000, v3
	v_xor_b32_e32 v15, 0x80000000, v19
	s_delay_alu instid0(VALU_DEP_3)
	v_mov_b32_e32 v12, v2
	ds_store_b128 v53, v[12:15]
	v_mov_b64_e32 v[12:13], v[2:3]
	v_mov_b64_e32 v[14:15], v[18:19]
.LBB185_158:                            ;   in Loop: Header=BB185_3 Depth=1
	s_or_b32 exec_lo, exec_lo, s0
	s_wait_loadcnt_dscnt 0x0
	s_barrier_signal -1
	s_barrier_wait -1
	s_and_saveexec_b32 s0, s67
	s_cbranch_execz .LBB185_160
; %bb.159:                              ;   in Loop: Header=BB185_3 Depth=1
	ds_load_b128 v[16:19], v53
	ds_load_b128 v[204:207], v54 offset:9984
	s_wait_dscnt 0x0
	v_mul_f64_e32 v[2:3], v[18:19], v[206:207]
	s_delay_alu instid0(VALU_DEP_1) | instskip(SKIP_1) | instid1(VALU_DEP_2)
	v_fma_f64 v[2:3], v[16:17], v[204:205], -v[2:3]
	v_mul_f64_e32 v[16:17], v[16:17], v[206:207]
	v_add_f64_e64 v[12:13], v[12:13], -v[2:3]
	s_delay_alu instid0(VALU_DEP_2) | instskip(NEXT) | instid1(VALU_DEP_1)
	v_fmac_f64_e32 v[16:17], v[18:19], v[204:205]
	v_add_f64_e64 v[14:15], v[14:15], -v[16:17]
.LBB185_160:                            ;   in Loop: Header=BB185_3 Depth=1
	s_or_b32 exec_lo, exec_lo, s0
	s_barrier_signal -1
	s_barrier_wait -1
	s_and_saveexec_b32 s0, s68
	s_cbranch_execz .LBB185_162
; %bb.161:                              ;   in Loop: Header=BB185_3 Depth=1
	ds_load_b128 v[16:19], v1 offset:9504
	s_wait_dscnt 0x0
	v_mul_f64_e32 v[2:3], v[14:15], v[18:19]
	v_mul_f64_e32 v[18:19], v[12:13], v[18:19]
	s_delay_alu instid0(VALU_DEP_1) | instskip(NEXT) | instid1(VALU_DEP_1)
	v_fmac_f64_e32 v[18:19], v[14:15], v[16:17]
	v_dual_fma_f64 v[2:3], v[12:13], v[16:17], -v[2:3] :: v_dual_mov_b32 v14, v18
	s_delay_alu instid0(VALU_DEP_1) | instskip(NEXT) | instid1(VALU_DEP_3)
	v_xor_b32_e32 v13, 0x80000000, v3
	v_xor_b32_e32 v15, 0x80000000, v19
	s_delay_alu instid0(VALU_DEP_3)
	v_mov_b32_e32 v12, v2
	ds_store_b128 v53, v[12:15]
	v_mov_b64_e32 v[12:13], v[2:3]
	v_mov_b64_e32 v[14:15], v[18:19]
.LBB185_162:                            ;   in Loop: Header=BB185_3 Depth=1
	s_or_b32 exec_lo, exec_lo, s0
	s_wait_dscnt 0x0
	s_barrier_signal -1
	s_barrier_wait -1
	s_and_saveexec_b32 s0, s69
	s_cbranch_execz .LBB185_164
; %bb.163:                              ;   in Loop: Header=BB185_3 Depth=1
	ds_load_b128 v[16:19], v53
	ds_load_b128 v[204:207], v54 offset:9472
	s_wait_dscnt 0x0
	v_mul_f64_e32 v[2:3], v[18:19], v[206:207]
	s_delay_alu instid0(VALU_DEP_1) | instskip(SKIP_1) | instid1(VALU_DEP_2)
	v_fma_f64 v[2:3], v[16:17], v[204:205], -v[2:3]
	v_mul_f64_e32 v[16:17], v[16:17], v[206:207]
	v_add_f64_e64 v[12:13], v[12:13], -v[2:3]
	s_delay_alu instid0(VALU_DEP_2) | instskip(NEXT) | instid1(VALU_DEP_1)
	v_fmac_f64_e32 v[16:17], v[18:19], v[204:205]
	v_add_f64_e64 v[14:15], v[14:15], -v[16:17]
.LBB185_164:                            ;   in Loop: Header=BB185_3 Depth=1
	s_or_b32 exec_lo, exec_lo, s0
	s_barrier_signal -1
	s_barrier_wait -1
	s_and_saveexec_b32 s0, s70
	s_cbranch_execz .LBB185_166
; %bb.165:                              ;   in Loop: Header=BB185_3 Depth=1
	ds_load_b128 v[16:19], v1 offset:8976
	s_wait_dscnt 0x0
	v_mul_f64_e32 v[2:3], v[14:15], v[18:19]
	v_mul_f64_e32 v[18:19], v[12:13], v[18:19]
	s_delay_alu instid0(VALU_DEP_1) | instskip(NEXT) | instid1(VALU_DEP_1)
	v_fmac_f64_e32 v[18:19], v[14:15], v[16:17]
	v_dual_fma_f64 v[2:3], v[12:13], v[16:17], -v[2:3] :: v_dual_mov_b32 v14, v18
	s_delay_alu instid0(VALU_DEP_1) | instskip(NEXT) | instid1(VALU_DEP_3)
	v_xor_b32_e32 v13, 0x80000000, v3
	v_xor_b32_e32 v15, 0x80000000, v19
	s_delay_alu instid0(VALU_DEP_3)
	v_mov_b32_e32 v12, v2
	ds_store_b128 v53, v[12:15]
	v_mov_b64_e32 v[12:13], v[2:3]
	v_mov_b64_e32 v[14:15], v[18:19]
.LBB185_166:                            ;   in Loop: Header=BB185_3 Depth=1
	s_or_b32 exec_lo, exec_lo, s0
	s_wait_dscnt 0x0
	;; [unrolled: 41-line block ×3, first 2 shown]
	s_barrier_signal -1
	s_barrier_wait -1
	s_barrier_signal -1
	s_barrier_wait -1
	s_and_saveexec_b32 s0, s6
; %bb.171:                              ;   in Loop: Header=BB185_3 Depth=1
	ds_store_b128 v56, v[12:15] offset:12032
; %bb.172:                              ;   in Loop: Header=BB185_3 Depth=1
	s_or_b32 exec_lo, exec_lo, s0
	s_wait_dscnt 0x0
	s_barrier_signal -1
	s_barrier_wait -1
	s_barrier_signal -1
	s_barrier_wait -1
	s_and_saveexec_b32 s0, s72
	s_cbranch_execz .LBB185_174
; %bb.173:                              ;   in Loop: Header=BB185_3 Depth=1
	ds_load_b128 v[12:15], v115
	s_wait_dscnt 0x0
	ds_store_b128 v157, v[12:15]
	ds_load_b128 v[12:15], v118
	s_wait_dscnt 0x0
	ds_store_b128 v160, v[12:15]
	;; [unrolled: 3-line block ×4, first 2 shown]
.LBB185_174:                            ;   in Loop: Header=BB185_3 Depth=1
	s_or_b32 exec_lo, exec_lo, s0
	s_wait_dscnt 0x0
	s_barrier_signal -1
	s_barrier_wait -1
	s_and_saveexec_b32 s0, s31
	s_cbranch_execz .LBB185_176
; %bb.175:                              ;   in Loop: Header=BB185_3 Depth=1
	ds_load_b128 v[12:15], v1 offset:10032
	ds_load_b128 v[16:19], v1 offset:9504
	s_wait_dscnt 0x0
	v_mul_f64_e32 v[2:3], v[14:15], v[18:19]
	v_mul_f64_e32 v[42:43], v[12:13], v[18:19]
	s_delay_alu instid0(VALU_DEP_2) | instskip(NEXT) | instid1(VALU_DEP_2)
	v_fma_f64 v[2:3], v[12:13], v[16:17], -v[2:3]
	v_fmac_f64_e32 v[42:43], v[14:15], v[16:17]
	ds_load_b128 v[12:15], v1 offset:10016
	s_wait_dscnt 0x0
	v_mul_f64_e32 v[18:19], v[2:3], v[14:15]
	v_mul_f64_e32 v[16:17], v[42:43], v[14:15]
	s_delay_alu instid0(VALU_DEP_2) | instskip(NEXT) | instid1(VALU_DEP_2)
	v_fmac_f64_e32 v[18:19], v[12:13], v[42:43]
	v_fma_f64 v[16:17], v[12:13], v[2:3], -v[16:17]
	ds_store_b128 v1, v[16:19] offset:10016
	ds_store_b128 v1, v[16:19] offset:9520
.LBB185_176:                            ;   in Loop: Header=BB185_3 Depth=1
	s_or_b32 exec_lo, exec_lo, s0
	v_mov_b64_e32 v[12:13], 0
	v_mov_b64_e32 v[14:15], 0
	s_wait_dscnt 0x0
	s_barrier_signal -1
	s_barrier_wait -1
	global_wb scope:SCOPE_DEV
	s_wait_storecnt 0x0
	global_inv scope:SCOPE_DEV
	s_and_saveexec_b32 s0, s3
	s_cbranch_execz .LBB185_180
; %bb.177:                              ;   in Loop: Header=BB185_3 Depth=1
	ds_load_b128 v[12:15], v47 offset:10016
	ds_load_b128 v[16:19], v46 offset:9472
	s_wait_dscnt 0x0
	v_mul_f64_e32 v[2:3], v[14:15], v[18:19]
	v_mul_f64_e32 v[18:19], v[12:13], v[18:19]
	s_delay_alu instid0(VALU_DEP_2) | instskip(NEXT) | instid1(VALU_DEP_2)
	v_fma_f64 v[2:3], v[12:13], v[16:17], -v[2:3]
	v_fmac_f64_e32 v[18:19], v[14:15], v[16:17]
	s_delay_alu instid0(VALU_DEP_2) | instskip(NEXT) | instid1(VALU_DEP_2)
	v_add_f64_e32 v[12:13], 0, v[2:3]
	v_add_f64_e32 v[14:15], 0, v[18:19]
	s_and_saveexec_b32 s1, s4
	s_cbranch_execz .LBB185_179
; %bb.178:                              ;   in Loop: Header=BB185_3 Depth=1
	ds_load_b128 v[16:19], v1 offset:10032
	ds_load_b128 v[204:207], v114 offset:9984
	s_wait_dscnt 0x0
	v_mul_f64_e32 v[2:3], v[18:19], v[206:207]
	s_delay_alu instid0(VALU_DEP_1) | instskip(SKIP_1) | instid1(VALU_DEP_2)
	v_fma_f64 v[2:3], v[16:17], v[204:205], -v[2:3]
	v_mul_f64_e32 v[16:17], v[16:17], v[206:207]
	v_add_f64_e32 v[12:13], v[12:13], v[2:3]
	s_delay_alu instid0(VALU_DEP_2) | instskip(NEXT) | instid1(VALU_DEP_1)
	v_fmac_f64_e32 v[16:17], v[18:19], v[204:205]
	v_add_f64_e32 v[14:15], v[14:15], v[16:17]
.LBB185_179:                            ;   in Loop: Header=BB185_3 Depth=1
	s_or_b32 exec_lo, exec_lo, s1
.LBB185_180:                            ;   in Loop: Header=BB185_3 Depth=1
	s_delay_alu instid0(SALU_CYCLE_1)
	s_or_b32 exec_lo, exec_lo, s0
	s_and_saveexec_b32 s0, s63
	s_cbranch_execz .LBB185_182
; %bb.181:                              ;   in Loop: Header=BB185_3 Depth=1
	ds_load_b128 v[16:19], v1 offset:8976
	s_wait_dscnt 0x0
	v_mul_f64_e32 v[2:3], v[14:15], v[18:19]
	v_mul_f64_e32 v[18:19], v[12:13], v[18:19]
	s_delay_alu instid0(VALU_DEP_1) | instskip(NEXT) | instid1(VALU_DEP_1)
	v_fmac_f64_e32 v[18:19], v[14:15], v[16:17]
	v_dual_fma_f64 v[2:3], v[12:13], v[16:17], -v[2:3] :: v_dual_mov_b32 v14, v18
	s_delay_alu instid0(VALU_DEP_1) | instskip(NEXT) | instid1(VALU_DEP_3)
	v_xor_b32_e32 v13, 0x80000000, v3
	v_xor_b32_e32 v15, 0x80000000, v19
	s_delay_alu instid0(VALU_DEP_3)
	v_mov_b32_e32 v12, v2
	ds_store_b128 v21, v[12:15]
	v_mov_b64_e32 v[12:13], v[2:3]
	v_mov_b64_e32 v[14:15], v[18:19]
.LBB185_182:                            ;   in Loop: Header=BB185_3 Depth=1
	s_or_b32 exec_lo, exec_lo, s0
	s_wait_loadcnt_dscnt 0x0
	s_barrier_signal -1
	s_barrier_wait -1
	s_and_saveexec_b32 s0, s64
	s_cbranch_execz .LBB185_184
; %bb.183:                              ;   in Loop: Header=BB185_3 Depth=1
	ds_load_b128 v[16:19], v21
	ds_load_b128 v[204:207], v1 offset:8960
	s_wait_dscnt 0x0
	v_mul_f64_e32 v[2:3], v[18:19], v[206:207]
	s_delay_alu instid0(VALU_DEP_1) | instskip(SKIP_1) | instid1(VALU_DEP_2)
	v_fma_f64 v[2:3], v[16:17], v[204:205], -v[2:3]
	v_mul_f64_e32 v[16:17], v[16:17], v[206:207]
	v_add_f64_e64 v[12:13], v[12:13], -v[2:3]
	s_delay_alu instid0(VALU_DEP_2) | instskip(NEXT) | instid1(VALU_DEP_1)
	v_fmac_f64_e32 v[16:17], v[18:19], v[204:205]
	v_add_f64_e64 v[14:15], v[14:15], -v[16:17]
.LBB185_184:                            ;   in Loop: Header=BB185_3 Depth=1
	s_or_b32 exec_lo, exec_lo, s0
	s_barrier_signal -1
	s_barrier_wait -1
	s_and_saveexec_b32 s0, s64
	s_cbranch_execz .LBB185_186
; %bb.185:                              ;   in Loop: Header=BB185_3 Depth=1
	ds_load_b128 v[16:19], v1 offset:8448
	s_wait_dscnt 0x0
	v_mul_f64_e32 v[2:3], v[14:15], v[18:19]
	v_mul_f64_e32 v[18:19], v[12:13], v[18:19]
	s_delay_alu instid0(VALU_DEP_1) | instskip(NEXT) | instid1(VALU_DEP_1)
	v_fmac_f64_e32 v[18:19], v[14:15], v[16:17]
	v_dual_fma_f64 v[2:3], v[12:13], v[16:17], -v[2:3] :: v_dual_mov_b32 v14, v18
	s_delay_alu instid0(VALU_DEP_1) | instskip(NEXT) | instid1(VALU_DEP_3)
	v_xor_b32_e32 v13, 0x80000000, v3
	v_xor_b32_e32 v15, 0x80000000, v19
	s_delay_alu instid0(VALU_DEP_3)
	v_mov_b32_e32 v12, v2
	ds_store_b128 v21, v[12:15]
	v_mov_b64_e32 v[12:13], v[2:3]
	v_mov_b64_e32 v[14:15], v[18:19]
.LBB185_186:                            ;   in Loop: Header=BB185_3 Depth=1
	s_or_b32 exec_lo, exec_lo, s0
	s_wait_dscnt 0x0
	s_barrier_signal -1
	s_barrier_wait -1
	s_barrier_signal -1
	s_barrier_wait -1
	s_and_saveexec_b32 s0, s3
; %bb.187:                              ;   in Loop: Header=BB185_3 Depth=1
	ds_store_b128 v49, v[12:15] offset:9984
; %bb.188:                              ;   in Loop: Header=BB185_3 Depth=1
	s_or_b32 exec_lo, exec_lo, s0
	s_wait_dscnt 0x0
	s_barrier_signal -1
	s_barrier_wait -1
	s_barrier_signal -1
	s_barrier_wait -1
	s_and_saveexec_b32 s0, s65
	s_cbranch_execz .LBB185_190
; %bb.189:                              ;   in Loop: Header=BB185_3 Depth=1
	ds_load_b128 v[12:15], v125
	s_wait_dscnt 0x0
	ds_store_b128 v131, v[12:15]
	ds_load_b128 v[12:15], v126
	s_wait_dscnt 0x0
	ds_store_b128 v132, v[12:15]
.LBB185_190:                            ;   in Loop: Header=BB185_3 Depth=1
	s_or_b32 exec_lo, exec_lo, s0
	s_wait_dscnt 0x0
	s_barrier_signal -1
	s_barrier_wait -1
	s_and_saveexec_b32 s0, s31
	s_cbranch_execz .LBB185_192
; %bb.191:                              ;   in Loop: Header=BB185_3 Depth=1
	ds_load_b128 v[12:15], v1 offset:8976
	ds_load_b128 v[16:19], v1 offset:8448
	s_wait_dscnt 0x0
	v_mul_f64_e32 v[2:3], v[14:15], v[18:19]
	v_mul_f64_e32 v[42:43], v[12:13], v[18:19]
	s_delay_alu instid0(VALU_DEP_2) | instskip(NEXT) | instid1(VALU_DEP_2)
	v_fma_f64 v[2:3], v[12:13], v[16:17], -v[2:3]
	v_fmac_f64_e32 v[42:43], v[14:15], v[16:17]
	ds_load_b128 v[12:15], v1 offset:8960
	s_wait_dscnt 0x0
	v_mul_f64_e32 v[18:19], v[2:3], v[14:15]
	v_mul_f64_e32 v[16:17], v[42:43], v[14:15]
	s_delay_alu instid0(VALU_DEP_2) | instskip(NEXT) | instid1(VALU_DEP_2)
	v_fmac_f64_e32 v[18:19], v[12:13], v[42:43]
	v_fma_f64 v[16:17], v[12:13], v[2:3], -v[16:17]
	ds_store_b128 v1, v[16:19] offset:8960
	ds_store_b128 v1, v[16:19] offset:8464
.LBB185_192:                            ;   in Loop: Header=BB185_3 Depth=1
	s_or_b32 exec_lo, exec_lo, s0
	v_mov_b64_e32 v[14:15], 0
	v_mov_b64_e32 v[12:13], 0
	s_wait_dscnt 0x0
	s_barrier_signal -1
	s_barrier_wait -1
	global_wb scope:SCOPE_DEV
	s_wait_storecnt 0x0
	global_inv scope:SCOPE_DEV
	s_and_saveexec_b32 s0, s15
	s_cbranch_execz .LBB185_220
; %bb.193:                              ;   in Loop: Header=BB185_3 Depth=1
	ds_load_b128 v[12:15], v71 offset:16128
	ds_load_b128 v[16:19], v70 offset:8192
	v_readlane_b32 s18, v203, 13
	s_wait_dscnt 0x0
	v_mul_f64_e32 v[2:3], v[14:15], v[18:19]
	v_mul_f64_e32 v[18:19], v[12:13], v[18:19]
	s_delay_alu instid0(VALU_DEP_2) | instskip(NEXT) | instid1(VALU_DEP_2)
	v_fma_f64 v[2:3], v[12:13], v[16:17], -v[2:3]
	v_fmac_f64_e32 v[18:19], v[14:15], v[16:17]
	s_delay_alu instid0(VALU_DEP_2) | instskip(NEXT) | instid1(VALU_DEP_2)
	v_add_f64_e32 v[12:13], 0, v[2:3]
	v_add_f64_e32 v[14:15], 0, v[18:19]
	s_and_saveexec_b32 s1, s18
	s_cbranch_execz .LBB185_195
; %bb.194:                              ;   in Loop: Header=BB185_3 Depth=1
	ds_load_b128 v[16:19], v71 offset:16144
	ds_load_b128 v[204:207], v70 offset:8704
	s_wait_dscnt 0x0
	v_mul_f64_e32 v[2:3], v[18:19], v[206:207]
	s_delay_alu instid0(VALU_DEP_1) | instskip(SKIP_1) | instid1(VALU_DEP_2)
	v_fma_f64 v[2:3], v[16:17], v[204:205], -v[2:3]
	v_mul_f64_e32 v[16:17], v[16:17], v[206:207]
	v_add_f64_e32 v[12:13], v[12:13], v[2:3]
	s_delay_alu instid0(VALU_DEP_2) | instskip(NEXT) | instid1(VALU_DEP_1)
	v_fmac_f64_e32 v[16:17], v[18:19], v[204:205]
	v_add_f64_e32 v[14:15], v[14:15], v[16:17]
.LBB185_195:                            ;   in Loop: Header=BB185_3 Depth=1
	s_or_b32 exec_lo, exec_lo, s1
	v_readlane_b32 s18, v203, 14
	s_and_saveexec_b32 s1, s18
	s_cbranch_execz .LBB185_197
; %bb.196:                              ;   in Loop: Header=BB185_3 Depth=1
	ds_load_b128 v[16:19], v71 offset:16160
	ds_load_b128 v[204:207], v70 offset:9216
	s_wait_dscnt 0x0
	v_mul_f64_e32 v[2:3], v[18:19], v[206:207]
	s_delay_alu instid0(VALU_DEP_1) | instskip(SKIP_1) | instid1(VALU_DEP_2)
	v_fma_f64 v[2:3], v[16:17], v[204:205], -v[2:3]
	v_mul_f64_e32 v[16:17], v[16:17], v[206:207]
	v_add_f64_e32 v[12:13], v[12:13], v[2:3]
	s_delay_alu instid0(VALU_DEP_2) | instskip(NEXT) | instid1(VALU_DEP_1)
	v_fmac_f64_e32 v[16:17], v[18:19], v[204:205]
	v_add_f64_e32 v[14:15], v[14:15], v[16:17]
.LBB185_197:                            ;   in Loop: Header=BB185_3 Depth=1
	s_or_b32 exec_lo, exec_lo, s1
	v_readlane_b32 s18, v203, 15
	;; [unrolled: 17-line block ×10, first 2 shown]
	s_and_saveexec_b32 s1, s18
	s_cbranch_execnz .LBB185_564
; %bb.214:                              ;   in Loop: Header=BB185_3 Depth=1
	s_or_b32 exec_lo, exec_lo, s1
	s_and_saveexec_b32 s1, s9
	s_cbranch_execnz .LBB185_565
.LBB185_215:                            ;   in Loop: Header=BB185_3 Depth=1
	s_or_b32 exec_lo, exec_lo, s1
	s_and_saveexec_b32 s1, s11
	s_cbranch_execnz .LBB185_566
.LBB185_216:                            ;   in Loop: Header=BB185_3 Depth=1
	s_or_b32 exec_lo, exec_lo, s1
	s_and_saveexec_b32 s1, s13
	s_cbranch_execnz .LBB185_567
.LBB185_217:                            ;   in Loop: Header=BB185_3 Depth=1
	s_or_b32 exec_lo, exec_lo, s1
	s_and_saveexec_b32 s1, s6
	s_cbranch_execz .LBB185_219
.LBB185_218:                            ;   in Loop: Header=BB185_3 Depth=1
	ds_load_b128 v[16:19], v1 offset:16368
	ds_load_b128 v[204:207], v48 offset:15872
	s_wait_dscnt 0x0
	v_mul_f64_e32 v[2:3], v[18:19], v[206:207]
	s_delay_alu instid0(VALU_DEP_1) | instskip(SKIP_1) | instid1(VALU_DEP_2)
	v_fma_f64 v[2:3], v[16:17], v[204:205], -v[2:3]
	v_mul_f64_e32 v[16:17], v[16:17], v[206:207]
	v_add_f64_e32 v[12:13], v[12:13], v[2:3]
	s_delay_alu instid0(VALU_DEP_2) | instskip(NEXT) | instid1(VALU_DEP_1)
	v_fmac_f64_e32 v[16:17], v[18:19], v[204:205]
	v_add_f64_e32 v[14:15], v[14:15], v[16:17]
.LBB185_219:                            ;   in Loop: Header=BB185_3 Depth=1
	s_or_b32 exec_lo, exec_lo, s1
.LBB185_220:                            ;   in Loop: Header=BB185_3 Depth=1
	s_delay_alu instid0(SALU_CYCLE_1) | instskip(NEXT) | instid1(SALU_CYCLE_1)
	s_or_b32 exec_lo, exec_lo, s0
	s_mov_b32 s0, exec_lo
	v_readlane_b32 s1, v203, 3
	s_and_b32 s1, s0, s1
	s_delay_alu instid0(SALU_CYCLE_1)
	s_mov_b32 exec_lo, s1
	s_cbranch_execz .LBB185_222
; %bb.221:                              ;   in Loop: Header=BB185_3 Depth=1
	ds_load_b128 v[16:19], v1 offset:7920
	s_wait_dscnt 0x0
	v_mul_f64_e32 v[2:3], v[14:15], v[18:19]
	v_mul_f64_e32 v[18:19], v[12:13], v[18:19]
	s_delay_alu instid0(VALU_DEP_1) | instskip(NEXT) | instid1(VALU_DEP_1)
	v_fmac_f64_e32 v[18:19], v[14:15], v[16:17]
	v_dual_fma_f64 v[2:3], v[12:13], v[16:17], -v[2:3] :: v_dual_mov_b32 v14, v18
	s_delay_alu instid0(VALU_DEP_1) | instskip(NEXT) | instid1(VALU_DEP_3)
	v_xor_b32_e32 v13, 0x80000000, v3
	v_xor_b32_e32 v15, 0x80000000, v19
	s_delay_alu instid0(VALU_DEP_3)
	v_mov_b32_e32 v12, v2
	ds_store_b128 v69, v[12:15]
	v_mov_b64_e32 v[12:13], v[2:3]
	v_mov_b64_e32 v[14:15], v[18:19]
.LBB185_222:                            ;   in Loop: Header=BB185_3 Depth=1
	s_or_b32 exec_lo, exec_lo, s0
	s_wait_loadcnt_dscnt 0x0
	s_barrier_signal -1
	s_barrier_wait -1
	s_mov_b32 s0, exec_lo
	v_readlane_b32 s1, v203, 4
	s_and_b32 s1, s0, s1
	s_delay_alu instid0(SALU_CYCLE_1)
	s_mov_b32 exec_lo, s1
	s_cbranch_execz .LBB185_224
; %bb.223:                              ;   in Loop: Header=BB185_3 Depth=1
	ds_load_b128 v[16:19], v69
	ds_load_b128 v[204:207], v70 offset:7680
	s_wait_dscnt 0x0
	v_mul_f64_e32 v[2:3], v[18:19], v[206:207]
	s_delay_alu instid0(VALU_DEP_1) | instskip(SKIP_1) | instid1(VALU_DEP_2)
	v_fma_f64 v[2:3], v[16:17], v[204:205], -v[2:3]
	v_mul_f64_e32 v[16:17], v[16:17], v[206:207]
	v_add_f64_e64 v[12:13], v[12:13], -v[2:3]
	s_delay_alu instid0(VALU_DEP_2) | instskip(NEXT) | instid1(VALU_DEP_1)
	v_fmac_f64_e32 v[16:17], v[18:19], v[204:205]
	v_add_f64_e64 v[14:15], v[14:15], -v[16:17]
.LBB185_224:                            ;   in Loop: Header=BB185_3 Depth=1
	s_or_b32 exec_lo, exec_lo, s0
	s_barrier_signal -1
	s_barrier_wait -1
	s_mov_b32 s0, exec_lo
	v_readlane_b32 s1, v203, 5
	s_and_b32 s1, s0, s1
	s_delay_alu instid0(SALU_CYCLE_1)
	s_mov_b32 exec_lo, s1
	s_cbranch_execz .LBB185_226
; %bb.225:                              ;   in Loop: Header=BB185_3 Depth=1
	ds_load_b128 v[16:19], v1 offset:7392
	s_wait_dscnt 0x0
	v_mul_f64_e32 v[2:3], v[14:15], v[18:19]
	v_mul_f64_e32 v[18:19], v[12:13], v[18:19]
	s_delay_alu instid0(VALU_DEP_1) | instskip(NEXT) | instid1(VALU_DEP_1)
	v_fmac_f64_e32 v[18:19], v[14:15], v[16:17]
	v_dual_fma_f64 v[2:3], v[12:13], v[16:17], -v[2:3] :: v_dual_mov_b32 v14, v18
	s_delay_alu instid0(VALU_DEP_1) | instskip(NEXT) | instid1(VALU_DEP_3)
	v_xor_b32_e32 v13, 0x80000000, v3
	v_xor_b32_e32 v15, 0x80000000, v19
	s_delay_alu instid0(VALU_DEP_3)
	v_mov_b32_e32 v12, v2
	ds_store_b128 v69, v[12:15]
	v_mov_b64_e32 v[12:13], v[2:3]
	v_mov_b64_e32 v[14:15], v[18:19]
.LBB185_226:                            ;   in Loop: Header=BB185_3 Depth=1
	s_or_b32 exec_lo, exec_lo, s0
	s_wait_dscnt 0x0
	s_barrier_signal -1
	s_barrier_wait -1
	s_mov_b32 s0, exec_lo
	v_readlane_b32 s1, v203, 6
	s_and_b32 s1, s0, s1
	s_delay_alu instid0(SALU_CYCLE_1)
	s_mov_b32 exec_lo, s1
	s_cbranch_execz .LBB185_228
; %bb.227:                              ;   in Loop: Header=BB185_3 Depth=1
	ds_load_b128 v[16:19], v69
	ds_load_b128 v[204:207], v70 offset:7168
	s_wait_dscnt 0x0
	v_mul_f64_e32 v[2:3], v[18:19], v[206:207]
	s_delay_alu instid0(VALU_DEP_1) | instskip(SKIP_1) | instid1(VALU_DEP_2)
	v_fma_f64 v[2:3], v[16:17], v[204:205], -v[2:3]
	v_mul_f64_e32 v[16:17], v[16:17], v[206:207]
	v_add_f64_e64 v[12:13], v[12:13], -v[2:3]
	s_delay_alu instid0(VALU_DEP_2) | instskip(NEXT) | instid1(VALU_DEP_1)
	v_fmac_f64_e32 v[16:17], v[18:19], v[204:205]
	v_add_f64_e64 v[14:15], v[14:15], -v[16:17]
.LBB185_228:                            ;   in Loop: Header=BB185_3 Depth=1
	s_or_b32 exec_lo, exec_lo, s0
	s_barrier_signal -1
	s_barrier_wait -1
	s_mov_b32 s0, exec_lo
	v_readlane_b32 s1, v203, 7
	s_and_b32 s1, s0, s1
	s_delay_alu instid0(SALU_CYCLE_1)
	s_mov_b32 exec_lo, s1
	s_cbranch_execz .LBB185_230
; %bb.229:                              ;   in Loop: Header=BB185_3 Depth=1
	ds_load_b128 v[16:19], v1 offset:6864
	s_wait_dscnt 0x0
	v_mul_f64_e32 v[2:3], v[14:15], v[18:19]
	v_mul_f64_e32 v[18:19], v[12:13], v[18:19]
	s_delay_alu instid0(VALU_DEP_1) | instskip(NEXT) | instid1(VALU_DEP_1)
	v_fmac_f64_e32 v[18:19], v[14:15], v[16:17]
	v_dual_fma_f64 v[2:3], v[12:13], v[16:17], -v[2:3] :: v_dual_mov_b32 v14, v18
	s_delay_alu instid0(VALU_DEP_1) | instskip(NEXT) | instid1(VALU_DEP_3)
	v_xor_b32_e32 v13, 0x80000000, v3
	v_xor_b32_e32 v15, 0x80000000, v19
	s_delay_alu instid0(VALU_DEP_3)
	v_mov_b32_e32 v12, v2
	ds_store_b128 v69, v[12:15]
	v_mov_b64_e32 v[12:13], v[2:3]
	v_mov_b64_e32 v[14:15], v[18:19]
.LBB185_230:                            ;   in Loop: Header=BB185_3 Depth=1
	s_or_b32 exec_lo, exec_lo, s0
	s_wait_dscnt 0x0
	s_barrier_signal -1
	s_barrier_wait -1
	s_mov_b32 s0, exec_lo
	v_readlane_b32 s1, v203, 8
	s_and_b32 s1, s0, s1
	s_delay_alu instid0(SALU_CYCLE_1)
	s_mov_b32 exec_lo, s1
	s_cbranch_execz .LBB185_232
; %bb.231:                              ;   in Loop: Header=BB185_3 Depth=1
	ds_load_b128 v[16:19], v69
	ds_load_b128 v[204:207], v70 offset:6656
	s_wait_dscnt 0x0
	v_mul_f64_e32 v[2:3], v[18:19], v[206:207]
	s_delay_alu instid0(VALU_DEP_1) | instskip(SKIP_1) | instid1(VALU_DEP_2)
	v_fma_f64 v[2:3], v[16:17], v[204:205], -v[2:3]
	v_mul_f64_e32 v[16:17], v[16:17], v[206:207]
	v_add_f64_e64 v[12:13], v[12:13], -v[2:3]
	s_delay_alu instid0(VALU_DEP_2) | instskip(NEXT) | instid1(VALU_DEP_1)
	v_fmac_f64_e32 v[16:17], v[18:19], v[204:205]
	v_add_f64_e64 v[14:15], v[14:15], -v[16:17]
.LBB185_232:                            ;   in Loop: Header=BB185_3 Depth=1
	s_or_b32 exec_lo, exec_lo, s0
	s_barrier_signal -1
	s_barrier_wait -1
	s_and_saveexec_b32 s0, s94
	s_cbranch_execz .LBB185_234
; %bb.233:                              ;   in Loop: Header=BB185_3 Depth=1
	ds_load_b128 v[16:19], v1 offset:6336
	s_wait_dscnt 0x0
	v_mul_f64_e32 v[2:3], v[14:15], v[18:19]
	v_mul_f64_e32 v[18:19], v[12:13], v[18:19]
	s_delay_alu instid0(VALU_DEP_1) | instskip(NEXT) | instid1(VALU_DEP_1)
	v_fmac_f64_e32 v[18:19], v[14:15], v[16:17]
	v_dual_fma_f64 v[2:3], v[12:13], v[16:17], -v[2:3] :: v_dual_mov_b32 v14, v18
	s_delay_alu instid0(VALU_DEP_1) | instskip(NEXT) | instid1(VALU_DEP_3)
	v_xor_b32_e32 v13, 0x80000000, v3
	v_xor_b32_e32 v15, 0x80000000, v19
	s_delay_alu instid0(VALU_DEP_3)
	v_mov_b32_e32 v12, v2
	ds_store_b128 v69, v[12:15]
	v_mov_b64_e32 v[12:13], v[2:3]
	v_mov_b64_e32 v[14:15], v[18:19]
.LBB185_234:                            ;   in Loop: Header=BB185_3 Depth=1
	s_or_b32 exec_lo, exec_lo, s0
	s_wait_dscnt 0x0
	s_barrier_signal -1
	s_barrier_wait -1
	s_and_saveexec_b32 s0, s95
	s_cbranch_execz .LBB185_236
; %bb.235:                              ;   in Loop: Header=BB185_3 Depth=1
	ds_load_b128 v[16:19], v69
	ds_load_b128 v[204:207], v70 offset:6144
	s_wait_dscnt 0x0
	v_mul_f64_e32 v[2:3], v[18:19], v[206:207]
	s_delay_alu instid0(VALU_DEP_1) | instskip(SKIP_1) | instid1(VALU_DEP_2)
	v_fma_f64 v[2:3], v[16:17], v[204:205], -v[2:3]
	v_mul_f64_e32 v[16:17], v[16:17], v[206:207]
	v_add_f64_e64 v[12:13], v[12:13], -v[2:3]
	s_delay_alu instid0(VALU_DEP_2) | instskip(NEXT) | instid1(VALU_DEP_1)
	v_fmac_f64_e32 v[16:17], v[18:19], v[204:205]
	v_add_f64_e64 v[14:15], v[14:15], -v[16:17]
.LBB185_236:                            ;   in Loop: Header=BB185_3 Depth=1
	s_or_b32 exec_lo, exec_lo, s0
	s_barrier_signal -1
	s_barrier_wait -1
	s_and_saveexec_b32 s0, s96
	s_cbranch_execz .LBB185_238
; %bb.237:                              ;   in Loop: Header=BB185_3 Depth=1
	ds_load_b128 v[16:19], v1 offset:5808
	s_wait_dscnt 0x0
	v_mul_f64_e32 v[2:3], v[14:15], v[18:19]
	v_mul_f64_e32 v[18:19], v[12:13], v[18:19]
	s_delay_alu instid0(VALU_DEP_1) | instskip(NEXT) | instid1(VALU_DEP_1)
	v_fmac_f64_e32 v[18:19], v[14:15], v[16:17]
	v_dual_fma_f64 v[2:3], v[12:13], v[16:17], -v[2:3] :: v_dual_mov_b32 v14, v18
	s_delay_alu instid0(VALU_DEP_1) | instskip(NEXT) | instid1(VALU_DEP_3)
	v_xor_b32_e32 v13, 0x80000000, v3
	v_xor_b32_e32 v15, 0x80000000, v19
	s_delay_alu instid0(VALU_DEP_3)
	v_mov_b32_e32 v12, v2
	ds_store_b128 v69, v[12:15]
	v_mov_b64_e32 v[12:13], v[2:3]
	v_mov_b64_e32 v[14:15], v[18:19]
.LBB185_238:                            ;   in Loop: Header=BB185_3 Depth=1
	s_or_b32 exec_lo, exec_lo, s0
	s_wait_dscnt 0x0
	s_barrier_signal -1
	s_barrier_wait -1
	s_and_saveexec_b32 s0, s97
	;; [unrolled: 41-line block ×5, first 2 shown]
	s_cbranch_execz .LBB185_252
; %bb.251:                              ;   in Loop: Header=BB185_3 Depth=1
	ds_load_b128 v[16:19], v69
	ds_load_b128 v[204:207], v70 offset:4096
	s_wait_dscnt 0x0
	v_mul_f64_e32 v[2:3], v[18:19], v[206:207]
	s_delay_alu instid0(VALU_DEP_1) | instskip(SKIP_1) | instid1(VALU_DEP_2)
	v_fma_f64 v[2:3], v[16:17], v[204:205], -v[2:3]
	v_mul_f64_e32 v[16:17], v[16:17], v[206:207]
	v_add_f64_e64 v[12:13], v[12:13], -v[2:3]
	s_delay_alu instid0(VALU_DEP_2) | instskip(NEXT) | instid1(VALU_DEP_1)
	v_fmac_f64_e32 v[16:17], v[18:19], v[204:205]
	v_add_f64_e64 v[14:15], v[14:15], -v[16:17]
.LBB185_252:                            ;   in Loop: Header=BB185_3 Depth=1
	s_or_b32 exec_lo, exec_lo, s0
	s_barrier_signal -1
	s_barrier_wait -1
	s_and_saveexec_b32 s0, s104
	s_cbranch_execz .LBB185_254
; %bb.253:                              ;   in Loop: Header=BB185_3 Depth=1
	ds_load_b128 v[16:19], v1 offset:3696
	s_wait_dscnt 0x0
	v_mul_f64_e32 v[2:3], v[14:15], v[18:19]
	v_mul_f64_e32 v[18:19], v[12:13], v[18:19]
	s_delay_alu instid0(VALU_DEP_1) | instskip(NEXT) | instid1(VALU_DEP_1)
	v_fmac_f64_e32 v[18:19], v[14:15], v[16:17]
	v_dual_fma_f64 v[2:3], v[12:13], v[16:17], -v[2:3] :: v_dual_mov_b32 v14, v18
	s_delay_alu instid0(VALU_DEP_1) | instskip(NEXT) | instid1(VALU_DEP_3)
	v_xor_b32_e32 v13, 0x80000000, v3
	v_xor_b32_e32 v15, 0x80000000, v19
	s_delay_alu instid0(VALU_DEP_3)
	v_mov_b32_e32 v12, v2
	ds_store_b128 v69, v[12:15]
	v_mov_b64_e32 v[12:13], v[2:3]
	v_mov_b64_e32 v[14:15], v[18:19]
.LBB185_254:                            ;   in Loop: Header=BB185_3 Depth=1
	s_or_b32 exec_lo, exec_lo, s0
	s_wait_dscnt 0x0
	s_barrier_signal -1
	s_barrier_wait -1
	s_and_saveexec_b32 s0, vcc_hi
	s_cbranch_execz .LBB185_256
; %bb.255:                              ;   in Loop: Header=BB185_3 Depth=1
	ds_load_b128 v[16:19], v69
	ds_load_b128 v[204:207], v70 offset:3584
	s_wait_dscnt 0x0
	v_mul_f64_e32 v[2:3], v[18:19], v[206:207]
	s_delay_alu instid0(VALU_DEP_1) | instskip(SKIP_1) | instid1(VALU_DEP_2)
	v_fma_f64 v[2:3], v[16:17], v[204:205], -v[2:3]
	v_mul_f64_e32 v[16:17], v[16:17], v[206:207]
	v_add_f64_e64 v[12:13], v[12:13], -v[2:3]
	s_delay_alu instid0(VALU_DEP_2) | instskip(NEXT) | instid1(VALU_DEP_1)
	v_fmac_f64_e32 v[16:17], v[18:19], v[204:205]
	v_add_f64_e64 v[14:15], v[14:15], -v[16:17]
.LBB185_256:                            ;   in Loop: Header=BB185_3 Depth=1
	s_or_b32 exec_lo, exec_lo, s0
	s_barrier_signal -1
	s_barrier_wait -1
	s_and_saveexec_b32 s0, s26
	s_cbranch_execz .LBB185_258
; %bb.257:                              ;   in Loop: Header=BB185_3 Depth=1
	ds_load_b128 v[16:19], v1 offset:3168
	s_wait_dscnt 0x0
	v_mul_f64_e32 v[2:3], v[14:15], v[18:19]
	v_mul_f64_e32 v[18:19], v[12:13], v[18:19]
	s_delay_alu instid0(VALU_DEP_1) | instskip(NEXT) | instid1(VALU_DEP_1)
	v_fmac_f64_e32 v[18:19], v[14:15], v[16:17]
	v_dual_fma_f64 v[2:3], v[12:13], v[16:17], -v[2:3] :: v_dual_mov_b32 v14, v18
	s_delay_alu instid0(VALU_DEP_1) | instskip(NEXT) | instid1(VALU_DEP_3)
	v_xor_b32_e32 v13, 0x80000000, v3
	v_xor_b32_e32 v15, 0x80000000, v19
	s_delay_alu instid0(VALU_DEP_3)
	v_mov_b32_e32 v12, v2
	ds_store_b128 v69, v[12:15]
	v_mov_b64_e32 v[12:13], v[2:3]
	v_mov_b64_e32 v[14:15], v[18:19]
.LBB185_258:                            ;   in Loop: Header=BB185_3 Depth=1
	s_or_b32 exec_lo, exec_lo, s0
	s_wait_dscnt 0x0
	s_barrier_signal -1
	s_barrier_wait -1
	s_and_saveexec_b32 s0, s27
	s_cbranch_execz .LBB185_260
; %bb.259:                              ;   in Loop: Header=BB185_3 Depth=1
	ds_load_b128 v[16:19], v69
	ds_load_b128 v[204:207], v70 offset:3072
	s_wait_dscnt 0x0
	v_mul_f64_e32 v[2:3], v[18:19], v[206:207]
	s_delay_alu instid0(VALU_DEP_1) | instskip(SKIP_1) | instid1(VALU_DEP_2)
	v_fma_f64 v[2:3], v[16:17], v[204:205], -v[2:3]
	v_mul_f64_e32 v[16:17], v[16:17], v[206:207]
	v_add_f64_e64 v[12:13], v[12:13], -v[2:3]
	s_delay_alu instid0(VALU_DEP_2) | instskip(NEXT) | instid1(VALU_DEP_1)
	v_fmac_f64_e32 v[16:17], v[18:19], v[204:205]
	v_add_f64_e64 v[14:15], v[14:15], -v[16:17]
.LBB185_260:                            ;   in Loop: Header=BB185_3 Depth=1
	s_or_b32 exec_lo, exec_lo, s0
	s_barrier_signal -1
	s_barrier_wait -1
	s_and_saveexec_b32 s0, s28
	s_cbranch_execz .LBB185_262
; %bb.261:                              ;   in Loop: Header=BB185_3 Depth=1
	ds_load_b128 v[16:19], v1 offset:2640
	s_wait_dscnt 0x0
	v_mul_f64_e32 v[2:3], v[14:15], v[18:19]
	v_mul_f64_e32 v[18:19], v[12:13], v[18:19]
	s_delay_alu instid0(VALU_DEP_1) | instskip(NEXT) | instid1(VALU_DEP_1)
	v_fmac_f64_e32 v[18:19], v[14:15], v[16:17]
	v_dual_fma_f64 v[2:3], v[12:13], v[16:17], -v[2:3] :: v_dual_mov_b32 v14, v18
	s_delay_alu instid0(VALU_DEP_1) | instskip(NEXT) | instid1(VALU_DEP_3)
	v_xor_b32_e32 v13, 0x80000000, v3
	v_xor_b32_e32 v15, 0x80000000, v19
	s_delay_alu instid0(VALU_DEP_3)
	v_mov_b32_e32 v12, v2
	ds_store_b128 v69, v[12:15]
	v_mov_b64_e32 v[12:13], v[2:3]
	v_mov_b64_e32 v[14:15], v[18:19]
.LBB185_262:                            ;   in Loop: Header=BB185_3 Depth=1
	s_or_b32 exec_lo, exec_lo, s0
	s_wait_dscnt 0x0
	s_barrier_signal -1
	s_barrier_wait -1
	s_and_saveexec_b32 s0, s29
	;; [unrolled: 41-line block ×6, first 2 shown]
	s_cbranch_execz .LBB185_280
; %bb.279:                              ;   in Loop: Header=BB185_3 Depth=1
	ds_load_b128 v[16:19], v69
	ds_load_b128 v[204:207], v1 offset:512
	s_wait_dscnt 0x0
	v_mul_f64_e32 v[2:3], v[18:19], v[206:207]
	s_delay_alu instid0(VALU_DEP_1) | instskip(SKIP_1) | instid1(VALU_DEP_2)
	v_fma_f64 v[2:3], v[16:17], v[204:205], -v[2:3]
	v_mul_f64_e32 v[16:17], v[16:17], v[206:207]
	v_add_f64_e64 v[12:13], v[12:13], -v[2:3]
	s_delay_alu instid0(VALU_DEP_2) | instskip(NEXT) | instid1(VALU_DEP_1)
	v_fmac_f64_e32 v[16:17], v[18:19], v[204:205]
	v_add_f64_e64 v[14:15], v[14:15], -v[16:17]
.LBB185_280:                            ;   in Loop: Header=BB185_3 Depth=1
	s_or_b32 exec_lo, exec_lo, s0
	s_barrier_signal -1
	s_barrier_wait -1
	s_and_saveexec_b32 s0, s89
	s_cbranch_execz .LBB185_282
; %bb.281:                              ;   in Loop: Header=BB185_3 Depth=1
	ds_load_b128 v[16:19], v1
	s_wait_dscnt 0x0
	v_mul_f64_e32 v[2:3], v[14:15], v[18:19]
	v_mul_f64_e32 v[18:19], v[12:13], v[18:19]
	s_delay_alu instid0(VALU_DEP_1) | instskip(NEXT) | instid1(VALU_DEP_1)
	v_fmac_f64_e32 v[18:19], v[14:15], v[16:17]
	v_dual_fma_f64 v[2:3], v[12:13], v[16:17], -v[2:3] :: v_dual_mov_b32 v14, v18
	s_delay_alu instid0(VALU_DEP_1) | instskip(NEXT) | instid1(VALU_DEP_3)
	v_xor_b32_e32 v13, 0x80000000, v3
	v_xor_b32_e32 v15, 0x80000000, v19
	s_delay_alu instid0(VALU_DEP_3)
	v_mov_b32_e32 v12, v2
	ds_store_b128 v69, v[12:15]
	v_mov_b64_e32 v[12:13], v[2:3]
	v_mov_b64_e32 v[14:15], v[18:19]
.LBB185_282:                            ;   in Loop: Header=BB185_3 Depth=1
	s_or_b32 exec_lo, exec_lo, s0
	s_wait_dscnt 0x0
	s_barrier_signal -1
	s_barrier_wait -1
	s_barrier_signal -1
	s_barrier_wait -1
	s_and_saveexec_b32 s0, s15
; %bb.283:                              ;   in Loop: Header=BB185_3 Depth=1
	ds_store_b128 v72, v[12:15] offset:15872
; %bb.284:                              ;   in Loop: Header=BB185_3 Depth=1
	s_or_b32 exec_lo, exec_lo, s0
	s_wait_dscnt 0x0
	s_barrier_signal -1
	s_barrier_wait -1
	s_barrier_signal -1
	s_barrier_wait -1
	s_and_saveexec_b32 s0, s90
	s_cbranch_execz .LBB185_286
; %bb.285:                              ;   in Loop: Header=BB185_3 Depth=1
	ds_load_b128 v[12:15], v73
	s_wait_dscnt 0x0
	ds_store_b128 v161, v[12:15]
	ds_load_b128 v[12:15], v74
	s_wait_dscnt 0x0
	ds_store_b128 v162, v[12:15]
	;; [unrolled: 3-line block ×16, first 2 shown]
.LBB185_286:                            ;   in Loop: Header=BB185_3 Depth=1
	s_or_b32 exec_lo, exec_lo, s0
	s_wait_dscnt 0x0
	s_barrier_signal -1
	s_barrier_wait -1
	s_and_saveexec_b32 s0, s31
	s_cbranch_execz .LBB185_288
; %bb.287:                              ;   in Loop: Header=BB185_3 Depth=1
	ds_load_b128 v[12:15], v1 offset:7920
	ds_load_b128 v[16:19], v1 offset:7392
	s_wait_dscnt 0x0
	v_mul_f64_e32 v[2:3], v[14:15], v[18:19]
	v_mul_f64_e32 v[42:43], v[12:13], v[18:19]
	s_delay_alu instid0(VALU_DEP_2) | instskip(NEXT) | instid1(VALU_DEP_2)
	v_fma_f64 v[2:3], v[12:13], v[16:17], -v[2:3]
	v_fmac_f64_e32 v[42:43], v[14:15], v[16:17]
	ds_load_b128 v[12:15], v1 offset:7904
	s_wait_dscnt 0x0
	v_mul_f64_e32 v[18:19], v[2:3], v[14:15]
	v_mul_f64_e32 v[16:17], v[42:43], v[14:15]
	s_delay_alu instid0(VALU_DEP_2) | instskip(NEXT) | instid1(VALU_DEP_2)
	v_fmac_f64_e32 v[18:19], v[12:13], v[42:43]
	v_fma_f64 v[16:17], v[12:13], v[2:3], -v[16:17]
	ds_store_b128 v1, v[16:19] offset:7904
	ds_store_b128 v1, v[16:19] offset:7408
.LBB185_288:                            ;   in Loop: Header=BB185_3 Depth=1
	s_or_b32 exec_lo, exec_lo, s0
	v_mov_b64_e32 v[12:13], 0
	v_mov_b64_e32 v[14:15], 0
	s_wait_dscnt 0x0
	s_barrier_signal -1
	s_barrier_wait -1
	global_wb scope:SCOPE_DEV
	s_wait_storecnt 0x0
	global_inv scope:SCOPE_DEV
	s_and_saveexec_b32 s0, s3
	s_cbranch_execz .LBB185_292
; %bb.289:                              ;   in Loop: Header=BB185_3 Depth=1
	ds_load_b128 v[12:15], v47 offset:7904
	ds_load_b128 v[16:19], v46 offset:7360
	s_wait_dscnt 0x0
	v_mul_f64_e32 v[2:3], v[14:15], v[18:19]
	v_mul_f64_e32 v[18:19], v[12:13], v[18:19]
	s_delay_alu instid0(VALU_DEP_2) | instskip(NEXT) | instid1(VALU_DEP_2)
	v_fma_f64 v[2:3], v[12:13], v[16:17], -v[2:3]
	v_fmac_f64_e32 v[18:19], v[14:15], v[16:17]
	s_delay_alu instid0(VALU_DEP_2) | instskip(NEXT) | instid1(VALU_DEP_2)
	v_add_f64_e32 v[12:13], 0, v[2:3]
	v_add_f64_e32 v[14:15], 0, v[18:19]
	s_and_saveexec_b32 s1, s4
	s_cbranch_execz .LBB185_291
; %bb.290:                              ;   in Loop: Header=BB185_3 Depth=1
	ds_load_b128 v[16:19], v1 offset:7920
	ds_load_b128 v[204:207], v48 offset:7872
	s_wait_dscnt 0x0
	v_mul_f64_e32 v[2:3], v[18:19], v[206:207]
	s_delay_alu instid0(VALU_DEP_1) | instskip(SKIP_1) | instid1(VALU_DEP_2)
	v_fma_f64 v[2:3], v[16:17], v[204:205], -v[2:3]
	v_mul_f64_e32 v[16:17], v[16:17], v[206:207]
	v_add_f64_e32 v[12:13], v[12:13], v[2:3]
	s_delay_alu instid0(VALU_DEP_2) | instskip(NEXT) | instid1(VALU_DEP_1)
	v_fmac_f64_e32 v[16:17], v[18:19], v[204:205]
	v_add_f64_e32 v[14:15], v[14:15], v[16:17]
.LBB185_291:                            ;   in Loop: Header=BB185_3 Depth=1
	s_or_b32 exec_lo, exec_lo, s1
.LBB185_292:                            ;   in Loop: Header=BB185_3 Depth=1
	s_delay_alu instid0(SALU_CYCLE_1)
	s_or_b32 exec_lo, exec_lo, s0
	s_and_saveexec_b32 s0, s63
	s_cbranch_execz .LBB185_294
; %bb.293:                              ;   in Loop: Header=BB185_3 Depth=1
	ds_load_b128 v[16:19], v1 offset:6864
	s_wait_dscnt 0x0
	v_mul_f64_e32 v[2:3], v[14:15], v[18:19]
	v_mul_f64_e32 v[18:19], v[12:13], v[18:19]
	s_delay_alu instid0(VALU_DEP_1) | instskip(NEXT) | instid1(VALU_DEP_1)
	v_fmac_f64_e32 v[18:19], v[14:15], v[16:17]
	v_dual_fma_f64 v[2:3], v[12:13], v[16:17], -v[2:3] :: v_dual_mov_b32 v14, v18
	s_delay_alu instid0(VALU_DEP_1) | instskip(NEXT) | instid1(VALU_DEP_3)
	v_xor_b32_e32 v13, 0x80000000, v3
	v_xor_b32_e32 v15, 0x80000000, v19
	s_delay_alu instid0(VALU_DEP_3)
	v_mov_b32_e32 v12, v2
	ds_store_b128 v21, v[12:15]
	v_mov_b64_e32 v[12:13], v[2:3]
	v_mov_b64_e32 v[14:15], v[18:19]
.LBB185_294:                            ;   in Loop: Header=BB185_3 Depth=1
	s_or_b32 exec_lo, exec_lo, s0
	s_wait_loadcnt_dscnt 0x0
	s_barrier_signal -1
	s_barrier_wait -1
	s_and_saveexec_b32 s0, s64
	s_cbranch_execz .LBB185_296
; %bb.295:                              ;   in Loop: Header=BB185_3 Depth=1
	ds_load_b128 v[16:19], v21
	ds_load_b128 v[204:207], v1 offset:6848
	s_wait_dscnt 0x0
	v_mul_f64_e32 v[2:3], v[18:19], v[206:207]
	s_delay_alu instid0(VALU_DEP_1) | instskip(SKIP_1) | instid1(VALU_DEP_2)
	v_fma_f64 v[2:3], v[16:17], v[204:205], -v[2:3]
	v_mul_f64_e32 v[16:17], v[16:17], v[206:207]
	v_add_f64_e64 v[12:13], v[12:13], -v[2:3]
	s_delay_alu instid0(VALU_DEP_2) | instskip(NEXT) | instid1(VALU_DEP_1)
	v_fmac_f64_e32 v[16:17], v[18:19], v[204:205]
	v_add_f64_e64 v[14:15], v[14:15], -v[16:17]
.LBB185_296:                            ;   in Loop: Header=BB185_3 Depth=1
	s_or_b32 exec_lo, exec_lo, s0
	s_barrier_signal -1
	s_barrier_wait -1
	s_and_saveexec_b32 s0, s64
	s_cbranch_execz .LBB185_298
; %bb.297:                              ;   in Loop: Header=BB185_3 Depth=1
	ds_load_b128 v[16:19], v1 offset:6336
	s_wait_dscnt 0x0
	v_mul_f64_e32 v[2:3], v[14:15], v[18:19]
	v_mul_f64_e32 v[18:19], v[12:13], v[18:19]
	s_delay_alu instid0(VALU_DEP_1) | instskip(NEXT) | instid1(VALU_DEP_1)
	v_fmac_f64_e32 v[18:19], v[14:15], v[16:17]
	v_dual_fma_f64 v[2:3], v[12:13], v[16:17], -v[2:3] :: v_dual_mov_b32 v14, v18
	s_delay_alu instid0(VALU_DEP_1) | instskip(NEXT) | instid1(VALU_DEP_3)
	v_xor_b32_e32 v13, 0x80000000, v3
	v_xor_b32_e32 v15, 0x80000000, v19
	s_delay_alu instid0(VALU_DEP_3)
	v_mov_b32_e32 v12, v2
	ds_store_b128 v21, v[12:15]
	v_mov_b64_e32 v[12:13], v[2:3]
	v_mov_b64_e32 v[14:15], v[18:19]
.LBB185_298:                            ;   in Loop: Header=BB185_3 Depth=1
	s_or_b32 exec_lo, exec_lo, s0
	s_wait_dscnt 0x0
	s_barrier_signal -1
	s_barrier_wait -1
	s_barrier_signal -1
	s_barrier_wait -1
	s_and_saveexec_b32 s0, s3
; %bb.299:                              ;   in Loop: Header=BB185_3 Depth=1
	ds_store_b128 v49, v[12:15] offset:7872
; %bb.300:                              ;   in Loop: Header=BB185_3 Depth=1
	s_or_b32 exec_lo, exec_lo, s0
	s_wait_dscnt 0x0
	s_barrier_signal -1
	s_barrier_wait -1
	s_barrier_signal -1
	s_barrier_wait -1
	s_and_saveexec_b32 s0, s65
	s_cbranch_execz .LBB185_302
; %bb.301:                              ;   in Loop: Header=BB185_3 Depth=1
	ds_load_b128 v[12:15], v89
	s_wait_dscnt 0x0
	ds_store_b128 v177, v[12:15]
	ds_load_b128 v[12:15], v90
	s_wait_dscnt 0x0
	ds_store_b128 v178, v[12:15]
.LBB185_302:                            ;   in Loop: Header=BB185_3 Depth=1
	s_or_b32 exec_lo, exec_lo, s0
	s_wait_dscnt 0x0
	s_barrier_signal -1
	s_barrier_wait -1
	s_and_saveexec_b32 s0, s31
	s_cbranch_execz .LBB185_304
; %bb.303:                              ;   in Loop: Header=BB185_3 Depth=1
	ds_load_b128 v[12:15], v1 offset:6864
	ds_load_b128 v[16:19], v1 offset:6336
	s_wait_dscnt 0x0
	v_mul_f64_e32 v[2:3], v[14:15], v[18:19]
	v_mul_f64_e32 v[42:43], v[12:13], v[18:19]
	s_delay_alu instid0(VALU_DEP_2) | instskip(NEXT) | instid1(VALU_DEP_2)
	v_fma_f64 v[2:3], v[12:13], v[16:17], -v[2:3]
	v_fmac_f64_e32 v[42:43], v[14:15], v[16:17]
	ds_load_b128 v[12:15], v1 offset:6848
	s_wait_dscnt 0x0
	v_mul_f64_e32 v[18:19], v[2:3], v[14:15]
	v_mul_f64_e32 v[16:17], v[42:43], v[14:15]
	s_delay_alu instid0(VALU_DEP_2) | instskip(NEXT) | instid1(VALU_DEP_2)
	v_fmac_f64_e32 v[18:19], v[12:13], v[42:43]
	v_fma_f64 v[16:17], v[12:13], v[2:3], -v[16:17]
	ds_store_b128 v1, v[16:19] offset:6848
	ds_store_b128 v1, v[16:19] offset:6352
.LBB185_304:                            ;   in Loop: Header=BB185_3 Depth=1
	s_or_b32 exec_lo, exec_lo, s0
	v_mov_b64_e32 v[14:15], 0
	v_mov_b64_e32 v[12:13], 0
	s_wait_dscnt 0x0
	s_barrier_signal -1
	s_barrier_wait -1
	global_wb scope:SCOPE_DEV
	s_wait_storecnt 0x0
	global_inv scope:SCOPE_DEV
	s_and_saveexec_b32 s0, s6
	s_cbranch_execz .LBB185_310
; %bb.305:                              ;   in Loop: Header=BB185_3 Depth=1
	ds_load_b128 v[12:15], v55 offset:7872
	ds_load_b128 v[16:19], v54 offset:6272
	s_wait_dscnt 0x0
	v_mul_f64_e32 v[2:3], v[14:15], v[18:19]
	v_mul_f64_e32 v[18:19], v[12:13], v[18:19]
	s_delay_alu instid0(VALU_DEP_2) | instskip(NEXT) | instid1(VALU_DEP_2)
	v_fma_f64 v[2:3], v[12:13], v[16:17], -v[2:3]
	v_fmac_f64_e32 v[18:19], v[14:15], v[16:17]
	s_delay_alu instid0(VALU_DEP_2) | instskip(NEXT) | instid1(VALU_DEP_2)
	v_add_f64_e32 v[12:13], 0, v[2:3]
	v_add_f64_e32 v[14:15], 0, v[18:19]
	s_and_saveexec_b32 s1, s7
	s_cbranch_execnz .LBB185_568
; %bb.306:                              ;   in Loop: Header=BB185_3 Depth=1
	s_or_b32 exec_lo, exec_lo, s1
	s_and_saveexec_b32 s1, s8
	s_cbranch_execnz .LBB185_569
.LBB185_307:                            ;   in Loop: Header=BB185_3 Depth=1
	s_or_b32 exec_lo, exec_lo, s1
	s_and_saveexec_b32 s1, s3
	s_cbranch_execz .LBB185_309
.LBB185_308:                            ;   in Loop: Header=BB185_3 Depth=1
	ds_load_b128 v[16:19], v1 offset:7920
	ds_load_b128 v[204:207], v52 offset:7808
	s_wait_dscnt 0x0
	v_mul_f64_e32 v[2:3], v[18:19], v[206:207]
	s_delay_alu instid0(VALU_DEP_1) | instskip(SKIP_1) | instid1(VALU_DEP_2)
	v_fma_f64 v[2:3], v[16:17], v[204:205], -v[2:3]
	v_mul_f64_e32 v[16:17], v[16:17], v[206:207]
	v_add_f64_e32 v[12:13], v[12:13], v[2:3]
	s_delay_alu instid0(VALU_DEP_2) | instskip(NEXT) | instid1(VALU_DEP_1)
	v_fmac_f64_e32 v[16:17], v[18:19], v[204:205]
	v_add_f64_e32 v[14:15], v[14:15], v[16:17]
.LBB185_309:                            ;   in Loop: Header=BB185_3 Depth=1
	s_or_b32 exec_lo, exec_lo, s1
.LBB185_310:                            ;   in Loop: Header=BB185_3 Depth=1
	s_delay_alu instid0(SALU_CYCLE_1)
	s_or_b32 exec_lo, exec_lo, s0
	s_and_saveexec_b32 s0, s66
	s_cbranch_execz .LBB185_312
; %bb.311:                              ;   in Loop: Header=BB185_3 Depth=1
	ds_load_b128 v[16:19], v1 offset:5808
	s_wait_dscnt 0x0
	v_mul_f64_e32 v[2:3], v[14:15], v[18:19]
	v_mul_f64_e32 v[18:19], v[12:13], v[18:19]
	s_delay_alu instid0(VALU_DEP_1) | instskip(NEXT) | instid1(VALU_DEP_1)
	v_fmac_f64_e32 v[18:19], v[14:15], v[16:17]
	v_dual_fma_f64 v[2:3], v[12:13], v[16:17], -v[2:3] :: v_dual_mov_b32 v14, v18
	s_delay_alu instid0(VALU_DEP_1) | instskip(NEXT) | instid1(VALU_DEP_3)
	v_xor_b32_e32 v13, 0x80000000, v3
	v_xor_b32_e32 v15, 0x80000000, v19
	s_delay_alu instid0(VALU_DEP_3)
	v_mov_b32_e32 v12, v2
	ds_store_b128 v53, v[12:15]
	v_mov_b64_e32 v[12:13], v[2:3]
	v_mov_b64_e32 v[14:15], v[18:19]
.LBB185_312:                            ;   in Loop: Header=BB185_3 Depth=1
	s_or_b32 exec_lo, exec_lo, s0
	s_wait_loadcnt_dscnt 0x0
	s_barrier_signal -1
	s_barrier_wait -1
	s_and_saveexec_b32 s0, s67
	s_cbranch_execz .LBB185_314
; %bb.313:                              ;   in Loop: Header=BB185_3 Depth=1
	ds_load_b128 v[16:19], v53
	ds_load_b128 v[204:207], v54 offset:5760
	s_wait_dscnt 0x0
	v_mul_f64_e32 v[2:3], v[18:19], v[206:207]
	s_delay_alu instid0(VALU_DEP_1) | instskip(SKIP_1) | instid1(VALU_DEP_2)
	v_fma_f64 v[2:3], v[16:17], v[204:205], -v[2:3]
	v_mul_f64_e32 v[16:17], v[16:17], v[206:207]
	v_add_f64_e64 v[12:13], v[12:13], -v[2:3]
	s_delay_alu instid0(VALU_DEP_2) | instskip(NEXT) | instid1(VALU_DEP_1)
	v_fmac_f64_e32 v[16:17], v[18:19], v[204:205]
	v_add_f64_e64 v[14:15], v[14:15], -v[16:17]
.LBB185_314:                            ;   in Loop: Header=BB185_3 Depth=1
	s_or_b32 exec_lo, exec_lo, s0
	s_barrier_signal -1
	s_barrier_wait -1
	s_and_saveexec_b32 s0, s68
	s_cbranch_execz .LBB185_316
; %bb.315:                              ;   in Loop: Header=BB185_3 Depth=1
	ds_load_b128 v[16:19], v1 offset:5280
	s_wait_dscnt 0x0
	v_mul_f64_e32 v[2:3], v[14:15], v[18:19]
	v_mul_f64_e32 v[18:19], v[12:13], v[18:19]
	s_delay_alu instid0(VALU_DEP_1) | instskip(NEXT) | instid1(VALU_DEP_1)
	v_fmac_f64_e32 v[18:19], v[14:15], v[16:17]
	v_dual_fma_f64 v[2:3], v[12:13], v[16:17], -v[2:3] :: v_dual_mov_b32 v14, v18
	s_delay_alu instid0(VALU_DEP_1) | instskip(NEXT) | instid1(VALU_DEP_3)
	v_xor_b32_e32 v13, 0x80000000, v3
	v_xor_b32_e32 v15, 0x80000000, v19
	s_delay_alu instid0(VALU_DEP_3)
	v_mov_b32_e32 v12, v2
	ds_store_b128 v53, v[12:15]
	v_mov_b64_e32 v[12:13], v[2:3]
	v_mov_b64_e32 v[14:15], v[18:19]
.LBB185_316:                            ;   in Loop: Header=BB185_3 Depth=1
	s_or_b32 exec_lo, exec_lo, s0
	s_wait_dscnt 0x0
	s_barrier_signal -1
	s_barrier_wait -1
	s_and_saveexec_b32 s0, s69
	s_cbranch_execz .LBB185_318
; %bb.317:                              ;   in Loop: Header=BB185_3 Depth=1
	ds_load_b128 v[16:19], v53
	ds_load_b128 v[204:207], v54 offset:5248
	s_wait_dscnt 0x0
	v_mul_f64_e32 v[2:3], v[18:19], v[206:207]
	s_delay_alu instid0(VALU_DEP_1) | instskip(SKIP_1) | instid1(VALU_DEP_2)
	v_fma_f64 v[2:3], v[16:17], v[204:205], -v[2:3]
	v_mul_f64_e32 v[16:17], v[16:17], v[206:207]
	v_add_f64_e64 v[12:13], v[12:13], -v[2:3]
	s_delay_alu instid0(VALU_DEP_2) | instskip(NEXT) | instid1(VALU_DEP_1)
	v_fmac_f64_e32 v[16:17], v[18:19], v[204:205]
	v_add_f64_e64 v[14:15], v[14:15], -v[16:17]
.LBB185_318:                            ;   in Loop: Header=BB185_3 Depth=1
	s_or_b32 exec_lo, exec_lo, s0
	s_barrier_signal -1
	s_barrier_wait -1
	s_and_saveexec_b32 s0, s70
	s_cbranch_execz .LBB185_320
; %bb.319:                              ;   in Loop: Header=BB185_3 Depth=1
	ds_load_b128 v[16:19], v1 offset:4752
	s_wait_dscnt 0x0
	v_mul_f64_e32 v[2:3], v[14:15], v[18:19]
	v_mul_f64_e32 v[18:19], v[12:13], v[18:19]
	s_delay_alu instid0(VALU_DEP_1) | instskip(NEXT) | instid1(VALU_DEP_1)
	v_fmac_f64_e32 v[18:19], v[14:15], v[16:17]
	v_dual_fma_f64 v[2:3], v[12:13], v[16:17], -v[2:3] :: v_dual_mov_b32 v14, v18
	s_delay_alu instid0(VALU_DEP_1) | instskip(NEXT) | instid1(VALU_DEP_3)
	v_xor_b32_e32 v13, 0x80000000, v3
	v_xor_b32_e32 v15, 0x80000000, v19
	s_delay_alu instid0(VALU_DEP_3)
	v_mov_b32_e32 v12, v2
	ds_store_b128 v53, v[12:15]
	v_mov_b64_e32 v[12:13], v[2:3]
	v_mov_b64_e32 v[14:15], v[18:19]
.LBB185_320:                            ;   in Loop: Header=BB185_3 Depth=1
	s_or_b32 exec_lo, exec_lo, s0
	s_wait_dscnt 0x0
	;; [unrolled: 41-line block ×3, first 2 shown]
	s_barrier_signal -1
	s_barrier_wait -1
	s_barrier_signal -1
	s_barrier_wait -1
	s_and_saveexec_b32 s0, s6
; %bb.325:                              ;   in Loop: Header=BB185_3 Depth=1
	ds_store_b128 v56, v[12:15] offset:7808
; %bb.326:                              ;   in Loop: Header=BB185_3 Depth=1
	s_or_b32 exec_lo, exec_lo, s0
	s_wait_dscnt 0x0
	s_barrier_signal -1
	s_barrier_wait -1
	s_barrier_signal -1
	s_barrier_wait -1
	s_and_saveexec_b32 s0, s72
	s_cbranch_execz .LBB185_328
; %bb.327:                              ;   in Loop: Header=BB185_3 Depth=1
	ds_load_b128 v[12:15], v106
	s_wait_dscnt 0x0
	ds_store_b128 v179, v[12:15]
	ds_load_b128 v[12:15], v109
	s_wait_dscnt 0x0
	ds_store_b128 v182, v[12:15]
	;; [unrolled: 3-line block ×4, first 2 shown]
.LBB185_328:                            ;   in Loop: Header=BB185_3 Depth=1
	s_or_b32 exec_lo, exec_lo, s0
	s_wait_dscnt 0x0
	s_barrier_signal -1
	s_barrier_wait -1
	s_and_saveexec_b32 s0, s31
	s_cbranch_execz .LBB185_330
; %bb.329:                              ;   in Loop: Header=BB185_3 Depth=1
	ds_load_b128 v[12:15], v1 offset:5808
	ds_load_b128 v[16:19], v1 offset:5280
	s_wait_dscnt 0x0
	v_mul_f64_e32 v[2:3], v[14:15], v[18:19]
	v_mul_f64_e32 v[42:43], v[12:13], v[18:19]
	s_delay_alu instid0(VALU_DEP_2) | instskip(NEXT) | instid1(VALU_DEP_2)
	v_fma_f64 v[2:3], v[12:13], v[16:17], -v[2:3]
	v_fmac_f64_e32 v[42:43], v[14:15], v[16:17]
	ds_load_b128 v[12:15], v1 offset:5792
	s_wait_dscnt 0x0
	v_mul_f64_e32 v[18:19], v[2:3], v[14:15]
	v_mul_f64_e32 v[16:17], v[42:43], v[14:15]
	s_delay_alu instid0(VALU_DEP_2) | instskip(NEXT) | instid1(VALU_DEP_2)
	v_fmac_f64_e32 v[18:19], v[12:13], v[42:43]
	v_fma_f64 v[16:17], v[12:13], v[2:3], -v[16:17]
	ds_store_b128 v1, v[16:19] offset:5792
	ds_store_b128 v1, v[16:19] offset:5296
.LBB185_330:                            ;   in Loop: Header=BB185_3 Depth=1
	s_or_b32 exec_lo, exec_lo, s0
	v_mov_b64_e32 v[12:13], 0
	v_mov_b64_e32 v[14:15], 0
	s_wait_dscnt 0x0
	s_barrier_signal -1
	s_barrier_wait -1
	global_wb scope:SCOPE_DEV
	s_wait_storecnt 0x0
	global_inv scope:SCOPE_DEV
	s_and_saveexec_b32 s0, s3
	s_cbranch_execz .LBB185_334
; %bb.331:                              ;   in Loop: Header=BB185_3 Depth=1
	ds_load_b128 v[12:15], v47 offset:5792
	ds_load_b128 v[16:19], v46 offset:5248
	s_wait_dscnt 0x0
	v_mul_f64_e32 v[2:3], v[14:15], v[18:19]
	v_mul_f64_e32 v[18:19], v[12:13], v[18:19]
	s_delay_alu instid0(VALU_DEP_2) | instskip(NEXT) | instid1(VALU_DEP_2)
	v_fma_f64 v[2:3], v[12:13], v[16:17], -v[2:3]
	v_fmac_f64_e32 v[18:19], v[14:15], v[16:17]
	s_delay_alu instid0(VALU_DEP_2) | instskip(NEXT) | instid1(VALU_DEP_2)
	v_add_f64_e32 v[12:13], 0, v[2:3]
	v_add_f64_e32 v[14:15], 0, v[18:19]
	s_and_saveexec_b32 s1, s4
	s_cbranch_execz .LBB185_333
; %bb.332:                              ;   in Loop: Header=BB185_3 Depth=1
	ds_load_b128 v[16:19], v1 offset:5808
	ds_load_b128 v[204:207], v103 offset:5760
	s_wait_dscnt 0x0
	v_mul_f64_e32 v[2:3], v[18:19], v[206:207]
	s_delay_alu instid0(VALU_DEP_1) | instskip(SKIP_1) | instid1(VALU_DEP_2)
	v_fma_f64 v[2:3], v[16:17], v[204:205], -v[2:3]
	v_mul_f64_e32 v[16:17], v[16:17], v[206:207]
	v_add_f64_e32 v[12:13], v[12:13], v[2:3]
	s_delay_alu instid0(VALU_DEP_2) | instskip(NEXT) | instid1(VALU_DEP_1)
	v_fmac_f64_e32 v[16:17], v[18:19], v[204:205]
	v_add_f64_e32 v[14:15], v[14:15], v[16:17]
.LBB185_333:                            ;   in Loop: Header=BB185_3 Depth=1
	s_or_b32 exec_lo, exec_lo, s1
.LBB185_334:                            ;   in Loop: Header=BB185_3 Depth=1
	s_delay_alu instid0(SALU_CYCLE_1)
	s_or_b32 exec_lo, exec_lo, s0
	s_and_saveexec_b32 s0, s63
	s_cbranch_execz .LBB185_336
; %bb.335:                              ;   in Loop: Header=BB185_3 Depth=1
	ds_load_b128 v[16:19], v1 offset:4752
	s_wait_dscnt 0x0
	v_mul_f64_e32 v[2:3], v[14:15], v[18:19]
	v_mul_f64_e32 v[18:19], v[12:13], v[18:19]
	s_delay_alu instid0(VALU_DEP_1) | instskip(NEXT) | instid1(VALU_DEP_1)
	v_fmac_f64_e32 v[18:19], v[14:15], v[16:17]
	v_dual_fma_f64 v[2:3], v[12:13], v[16:17], -v[2:3] :: v_dual_mov_b32 v14, v18
	s_delay_alu instid0(VALU_DEP_1) | instskip(NEXT) | instid1(VALU_DEP_3)
	v_xor_b32_e32 v13, 0x80000000, v3
	v_xor_b32_e32 v15, 0x80000000, v19
	s_delay_alu instid0(VALU_DEP_3)
	v_mov_b32_e32 v12, v2
	ds_store_b128 v21, v[12:15]
	v_mov_b64_e32 v[12:13], v[2:3]
	v_mov_b64_e32 v[14:15], v[18:19]
.LBB185_336:                            ;   in Loop: Header=BB185_3 Depth=1
	s_or_b32 exec_lo, exec_lo, s0
	s_wait_loadcnt_dscnt 0x0
	s_barrier_signal -1
	s_barrier_wait -1
	s_and_saveexec_b32 s0, s64
	s_cbranch_execz .LBB185_338
; %bb.337:                              ;   in Loop: Header=BB185_3 Depth=1
	ds_load_b128 v[16:19], v21
	ds_load_b128 v[204:207], v1 offset:4736
	s_wait_dscnt 0x0
	v_mul_f64_e32 v[2:3], v[18:19], v[206:207]
	s_delay_alu instid0(VALU_DEP_1) | instskip(SKIP_1) | instid1(VALU_DEP_2)
	v_fma_f64 v[2:3], v[16:17], v[204:205], -v[2:3]
	v_mul_f64_e32 v[16:17], v[16:17], v[206:207]
	v_add_f64_e64 v[12:13], v[12:13], -v[2:3]
	s_delay_alu instid0(VALU_DEP_2) | instskip(NEXT) | instid1(VALU_DEP_1)
	v_fmac_f64_e32 v[16:17], v[18:19], v[204:205]
	v_add_f64_e64 v[14:15], v[14:15], -v[16:17]
.LBB185_338:                            ;   in Loop: Header=BB185_3 Depth=1
	s_or_b32 exec_lo, exec_lo, s0
	s_barrier_signal -1
	s_barrier_wait -1
	s_and_saveexec_b32 s0, s64
	s_cbranch_execz .LBB185_340
; %bb.339:                              ;   in Loop: Header=BB185_3 Depth=1
	ds_load_b128 v[16:19], v1 offset:4224
	s_wait_dscnt 0x0
	v_mul_f64_e32 v[2:3], v[14:15], v[18:19]
	v_mul_f64_e32 v[18:19], v[12:13], v[18:19]
	s_delay_alu instid0(VALU_DEP_1) | instskip(NEXT) | instid1(VALU_DEP_1)
	v_fmac_f64_e32 v[18:19], v[14:15], v[16:17]
	v_dual_fma_f64 v[2:3], v[12:13], v[16:17], -v[2:3] :: v_dual_mov_b32 v14, v18
	s_delay_alu instid0(VALU_DEP_1) | instskip(NEXT) | instid1(VALU_DEP_3)
	v_xor_b32_e32 v13, 0x80000000, v3
	v_xor_b32_e32 v15, 0x80000000, v19
	s_delay_alu instid0(VALU_DEP_3)
	v_mov_b32_e32 v12, v2
	ds_store_b128 v21, v[12:15]
	v_mov_b64_e32 v[12:13], v[2:3]
	v_mov_b64_e32 v[14:15], v[18:19]
.LBB185_340:                            ;   in Loop: Header=BB185_3 Depth=1
	s_or_b32 exec_lo, exec_lo, s0
	s_wait_dscnt 0x0
	s_barrier_signal -1
	s_barrier_wait -1
	s_barrier_signal -1
	s_barrier_wait -1
	s_and_saveexec_b32 s0, s3
; %bb.341:                              ;   in Loop: Header=BB185_3 Depth=1
	ds_store_b128 v49, v[12:15] offset:5760
; %bb.342:                              ;   in Loop: Header=BB185_3 Depth=1
	s_or_b32 exec_lo, exec_lo, s0
	s_wait_dscnt 0x0
	s_barrier_signal -1
	s_barrier_wait -1
	s_barrier_signal -1
	s_barrier_wait -1
	s_and_saveexec_b32 s0, s65
	s_cbranch_execz .LBB185_344
; %bb.343:                              ;   in Loop: Header=BB185_3 Depth=1
	ds_load_b128 v[12:15], v119
	s_wait_dscnt 0x0
	ds_store_b128 v183, v[12:15]
	ds_load_b128 v[12:15], v120
	s_wait_dscnt 0x0
	ds_store_b128 v184, v[12:15]
.LBB185_344:                            ;   in Loop: Header=BB185_3 Depth=1
	s_or_b32 exec_lo, exec_lo, s0
	s_wait_dscnt 0x0
	s_barrier_signal -1
	s_barrier_wait -1
	s_and_saveexec_b32 s0, s31
	s_cbranch_execz .LBB185_346
; %bb.345:                              ;   in Loop: Header=BB185_3 Depth=1
	ds_load_b128 v[12:15], v1 offset:4752
	ds_load_b128 v[16:19], v1 offset:4224
	s_wait_dscnt 0x0
	v_mul_f64_e32 v[2:3], v[14:15], v[18:19]
	v_mul_f64_e32 v[42:43], v[12:13], v[18:19]
	s_delay_alu instid0(VALU_DEP_2) | instskip(NEXT) | instid1(VALU_DEP_2)
	v_fma_f64 v[2:3], v[12:13], v[16:17], -v[2:3]
	v_fmac_f64_e32 v[42:43], v[14:15], v[16:17]
	ds_load_b128 v[12:15], v1 offset:4736
	s_wait_dscnt 0x0
	v_mul_f64_e32 v[18:19], v[2:3], v[14:15]
	v_mul_f64_e32 v[16:17], v[42:43], v[14:15]
	s_delay_alu instid0(VALU_DEP_2) | instskip(NEXT) | instid1(VALU_DEP_2)
	v_fmac_f64_e32 v[18:19], v[12:13], v[42:43]
	v_fma_f64 v[16:17], v[12:13], v[2:3], -v[16:17]
	ds_store_b128 v1, v[16:19] offset:4736
	ds_store_b128 v1, v[16:19] offset:4240
.LBB185_346:                            ;   in Loop: Header=BB185_3 Depth=1
	s_or_b32 exec_lo, exec_lo, s0
	v_mov_b64_e32 v[14:15], 0
	v_mov_b64_e32 v[12:13], 0
	s_wait_dscnt 0x0
	s_barrier_signal -1
	s_barrier_wait -1
	global_wb scope:SCOPE_DEV
	s_wait_storecnt 0x0
	global_inv scope:SCOPE_DEV
	s_and_saveexec_b32 s0, s9
	s_cbranch_execz .LBB185_360
; %bb.347:                              ;   in Loop: Header=BB185_3 Depth=1
	ds_load_b128 v[12:15], v59 offset:7808
	ds_load_b128 v[16:19], v58 offset:4096
	v_readlane_b32 s18, v203, 0
	s_wait_dscnt 0x0
	v_mul_f64_e32 v[2:3], v[14:15], v[18:19]
	v_mul_f64_e32 v[18:19], v[12:13], v[18:19]
	s_delay_alu instid0(VALU_DEP_2) | instskip(NEXT) | instid1(VALU_DEP_2)
	v_fma_f64 v[2:3], v[12:13], v[16:17], -v[2:3]
	v_fmac_f64_e32 v[18:19], v[14:15], v[16:17]
	s_delay_alu instid0(VALU_DEP_2) | instskip(NEXT) | instid1(VALU_DEP_2)
	v_add_f64_e32 v[12:13], 0, v[2:3]
	v_add_f64_e32 v[14:15], 0, v[18:19]
	s_and_saveexec_b32 s1, s18
	s_cbranch_execz .LBB185_349
; %bb.348:                              ;   in Loop: Header=BB185_3 Depth=1
	ds_load_b128 v[16:19], v59 offset:7824
	ds_load_b128 v[204:207], v58 offset:4608
	s_wait_dscnt 0x0
	v_mul_f64_e32 v[2:3], v[18:19], v[206:207]
	s_delay_alu instid0(VALU_DEP_1) | instskip(SKIP_1) | instid1(VALU_DEP_2)
	v_fma_f64 v[2:3], v[16:17], v[204:205], -v[2:3]
	v_mul_f64_e32 v[16:17], v[16:17], v[206:207]
	v_add_f64_e32 v[12:13], v[12:13], v[2:3]
	s_delay_alu instid0(VALU_DEP_2) | instskip(NEXT) | instid1(VALU_DEP_1)
	v_fmac_f64_e32 v[16:17], v[18:19], v[204:205]
	v_add_f64_e32 v[14:15], v[14:15], v[16:17]
.LBB185_349:                            ;   in Loop: Header=BB185_3 Depth=1
	s_or_b32 exec_lo, exec_lo, s1
	s_and_saveexec_b32 s1, s11
	s_cbranch_execz .LBB185_351
; %bb.350:                              ;   in Loop: Header=BB185_3 Depth=1
	ds_load_b128 v[16:19], v59 offset:7840
	ds_load_b128 v[204:207], v58 offset:5120
	s_wait_dscnt 0x0
	v_mul_f64_e32 v[2:3], v[18:19], v[206:207]
	s_delay_alu instid0(VALU_DEP_1) | instskip(SKIP_1) | instid1(VALU_DEP_2)
	v_fma_f64 v[2:3], v[16:17], v[204:205], -v[2:3]
	v_mul_f64_e32 v[16:17], v[16:17], v[206:207]
	v_add_f64_e32 v[12:13], v[12:13], v[2:3]
	s_delay_alu instid0(VALU_DEP_2) | instskip(NEXT) | instid1(VALU_DEP_1)
	v_fmac_f64_e32 v[16:17], v[18:19], v[204:205]
	v_add_f64_e32 v[14:15], v[14:15], v[16:17]
.LBB185_351:                            ;   in Loop: Header=BB185_3 Depth=1
	s_or_b32 exec_lo, exec_lo, s1
	v_readlane_b32 s18, v203, 1
	s_and_saveexec_b32 s1, s18
	s_cbranch_execz .LBB185_353
; %bb.352:                              ;   in Loop: Header=BB185_3 Depth=1
	ds_load_b128 v[16:19], v59 offset:7856
	ds_load_b128 v[204:207], v58 offset:5632
	s_wait_dscnt 0x0
	v_mul_f64_e32 v[2:3], v[18:19], v[206:207]
	s_delay_alu instid0(VALU_DEP_1) | instskip(SKIP_1) | instid1(VALU_DEP_2)
	v_fma_f64 v[2:3], v[16:17], v[204:205], -v[2:3]
	v_mul_f64_e32 v[16:17], v[16:17], v[206:207]
	v_add_f64_e32 v[12:13], v[12:13], v[2:3]
	s_delay_alu instid0(VALU_DEP_2) | instskip(NEXT) | instid1(VALU_DEP_1)
	v_fmac_f64_e32 v[16:17], v[18:19], v[204:205]
	v_add_f64_e32 v[14:15], v[14:15], v[16:17]
.LBB185_353:                            ;   in Loop: Header=BB185_3 Depth=1
	s_or_b32 exec_lo, exec_lo, s1
	s_and_saveexec_b32 s1, s13
	s_cbranch_execz .LBB185_355
; %bb.354:                              ;   in Loop: Header=BB185_3 Depth=1
	ds_load_b128 v[16:19], v59 offset:7872
	ds_load_b128 v[204:207], v58 offset:6144
	s_wait_dscnt 0x0
	v_mul_f64_e32 v[2:3], v[18:19], v[206:207]
	s_delay_alu instid0(VALU_DEP_1) | instskip(SKIP_1) | instid1(VALU_DEP_2)
	v_fma_f64 v[2:3], v[16:17], v[204:205], -v[2:3]
	v_mul_f64_e32 v[16:17], v[16:17], v[206:207]
	v_add_f64_e32 v[12:13], v[12:13], v[2:3]
	s_delay_alu instid0(VALU_DEP_2) | instskip(NEXT) | instid1(VALU_DEP_1)
	v_fmac_f64_e32 v[16:17], v[18:19], v[204:205]
	v_add_f64_e32 v[14:15], v[14:15], v[16:17]
.LBB185_355:                            ;   in Loop: Header=BB185_3 Depth=1
	s_or_b32 exec_lo, exec_lo, s1
	v_readlane_b32 s18, v203, 2
	s_and_saveexec_b32 s1, s18
	s_cbranch_execnz .LBB185_570
; %bb.356:                              ;   in Loop: Header=BB185_3 Depth=1
	s_or_b32 exec_lo, exec_lo, s1
	s_and_saveexec_b32 s1, s6
	s_cbranch_execnz .LBB185_571
.LBB185_357:                            ;   in Loop: Header=BB185_3 Depth=1
	s_or_b32 exec_lo, exec_lo, s1
	s_and_saveexec_b32 s1, s8
	s_cbranch_execz .LBB185_359
.LBB185_358:                            ;   in Loop: Header=BB185_3 Depth=1
	ds_load_b128 v[16:19], v1 offset:7920
	ds_load_b128 v[204:207], v48 offset:7680
	s_wait_dscnt 0x0
	v_mul_f64_e32 v[2:3], v[18:19], v[206:207]
	s_delay_alu instid0(VALU_DEP_1) | instskip(SKIP_1) | instid1(VALU_DEP_2)
	v_fma_f64 v[2:3], v[16:17], v[204:205], -v[2:3]
	v_mul_f64_e32 v[16:17], v[16:17], v[206:207]
	v_add_f64_e32 v[12:13], v[12:13], v[2:3]
	s_delay_alu instid0(VALU_DEP_2) | instskip(NEXT) | instid1(VALU_DEP_1)
	v_fmac_f64_e32 v[16:17], v[18:19], v[204:205]
	v_add_f64_e32 v[14:15], v[14:15], v[16:17]
.LBB185_359:                            ;   in Loop: Header=BB185_3 Depth=1
	s_or_b32 exec_lo, exec_lo, s1
.LBB185_360:                            ;   in Loop: Header=BB185_3 Depth=1
	s_delay_alu instid0(SALU_CYCLE_1)
	s_or_b32 exec_lo, exec_lo, s0
	s_and_saveexec_b32 s0, s73
	s_cbranch_execz .LBB185_362
; %bb.361:                              ;   in Loop: Header=BB185_3 Depth=1
	ds_load_b128 v[16:19], v1 offset:3696
	s_wait_dscnt 0x0
	v_mul_f64_e32 v[2:3], v[14:15], v[18:19]
	v_mul_f64_e32 v[18:19], v[12:13], v[18:19]
	s_delay_alu instid0(VALU_DEP_1) | instskip(NEXT) | instid1(VALU_DEP_1)
	v_fmac_f64_e32 v[18:19], v[14:15], v[16:17]
	v_dual_fma_f64 v[2:3], v[12:13], v[16:17], -v[2:3] :: v_dual_mov_b32 v14, v18
	s_delay_alu instid0(VALU_DEP_1) | instskip(NEXT) | instid1(VALU_DEP_3)
	v_xor_b32_e32 v13, 0x80000000, v3
	v_xor_b32_e32 v15, 0x80000000, v19
	s_delay_alu instid0(VALU_DEP_3)
	v_mov_b32_e32 v12, v2
	ds_store_b128 v57, v[12:15]
	v_mov_b64_e32 v[12:13], v[2:3]
	v_mov_b64_e32 v[14:15], v[18:19]
.LBB185_362:                            ;   in Loop: Header=BB185_3 Depth=1
	s_or_b32 exec_lo, exec_lo, s0
	s_wait_loadcnt_dscnt 0x0
	s_barrier_signal -1
	s_barrier_wait -1
	s_and_saveexec_b32 s0, s74
	s_cbranch_execz .LBB185_364
; %bb.363:                              ;   in Loop: Header=BB185_3 Depth=1
	ds_load_b128 v[16:19], v57
	ds_load_b128 v[204:207], v58 offset:3584
	s_wait_dscnt 0x0
	v_mul_f64_e32 v[2:3], v[18:19], v[206:207]
	s_delay_alu instid0(VALU_DEP_1) | instskip(SKIP_1) | instid1(VALU_DEP_2)
	v_fma_f64 v[2:3], v[16:17], v[204:205], -v[2:3]
	v_mul_f64_e32 v[16:17], v[16:17], v[206:207]
	v_add_f64_e64 v[12:13], v[12:13], -v[2:3]
	s_delay_alu instid0(VALU_DEP_2) | instskip(NEXT) | instid1(VALU_DEP_1)
	v_fmac_f64_e32 v[16:17], v[18:19], v[204:205]
	v_add_f64_e64 v[14:15], v[14:15], -v[16:17]
.LBB185_364:                            ;   in Loop: Header=BB185_3 Depth=1
	s_or_b32 exec_lo, exec_lo, s0
	s_barrier_signal -1
	s_barrier_wait -1
	s_and_saveexec_b32 s0, s75
	s_cbranch_execz .LBB185_366
; %bb.365:                              ;   in Loop: Header=BB185_3 Depth=1
	ds_load_b128 v[16:19], v1 offset:3168
	s_wait_dscnt 0x0
	v_mul_f64_e32 v[2:3], v[14:15], v[18:19]
	v_mul_f64_e32 v[18:19], v[12:13], v[18:19]
	s_delay_alu instid0(VALU_DEP_1) | instskip(NEXT) | instid1(VALU_DEP_1)
	v_fmac_f64_e32 v[18:19], v[14:15], v[16:17]
	v_dual_fma_f64 v[2:3], v[12:13], v[16:17], -v[2:3] :: v_dual_mov_b32 v14, v18
	s_delay_alu instid0(VALU_DEP_1) | instskip(NEXT) | instid1(VALU_DEP_3)
	v_xor_b32_e32 v13, 0x80000000, v3
	v_xor_b32_e32 v15, 0x80000000, v19
	s_delay_alu instid0(VALU_DEP_3)
	v_mov_b32_e32 v12, v2
	ds_store_b128 v57, v[12:15]
	v_mov_b64_e32 v[12:13], v[2:3]
	v_mov_b64_e32 v[14:15], v[18:19]
.LBB185_366:                            ;   in Loop: Header=BB185_3 Depth=1
	s_or_b32 exec_lo, exec_lo, s0
	s_wait_dscnt 0x0
	s_barrier_signal -1
	s_barrier_wait -1
	s_and_saveexec_b32 s0, s76
	s_cbranch_execz .LBB185_368
; %bb.367:                              ;   in Loop: Header=BB185_3 Depth=1
	ds_load_b128 v[16:19], v57
	ds_load_b128 v[204:207], v58 offset:3072
	s_wait_dscnt 0x0
	v_mul_f64_e32 v[2:3], v[18:19], v[206:207]
	s_delay_alu instid0(VALU_DEP_1) | instskip(SKIP_1) | instid1(VALU_DEP_2)
	v_fma_f64 v[2:3], v[16:17], v[204:205], -v[2:3]
	v_mul_f64_e32 v[16:17], v[16:17], v[206:207]
	v_add_f64_e64 v[12:13], v[12:13], -v[2:3]
	s_delay_alu instid0(VALU_DEP_2) | instskip(NEXT) | instid1(VALU_DEP_1)
	v_fmac_f64_e32 v[16:17], v[18:19], v[204:205]
	v_add_f64_e64 v[14:15], v[14:15], -v[16:17]
.LBB185_368:                            ;   in Loop: Header=BB185_3 Depth=1
	s_or_b32 exec_lo, exec_lo, s0
	s_barrier_signal -1
	s_barrier_wait -1
	s_and_saveexec_b32 s0, s77
	s_cbranch_execz .LBB185_370
; %bb.369:                              ;   in Loop: Header=BB185_3 Depth=1
	ds_load_b128 v[16:19], v1 offset:2640
	s_wait_dscnt 0x0
	v_mul_f64_e32 v[2:3], v[14:15], v[18:19]
	v_mul_f64_e32 v[18:19], v[12:13], v[18:19]
	s_delay_alu instid0(VALU_DEP_1) | instskip(NEXT) | instid1(VALU_DEP_1)
	v_fmac_f64_e32 v[18:19], v[14:15], v[16:17]
	v_dual_fma_f64 v[2:3], v[12:13], v[16:17], -v[2:3] :: v_dual_mov_b32 v14, v18
	s_delay_alu instid0(VALU_DEP_1) | instskip(NEXT) | instid1(VALU_DEP_3)
	v_xor_b32_e32 v13, 0x80000000, v3
	v_xor_b32_e32 v15, 0x80000000, v19
	s_delay_alu instid0(VALU_DEP_3)
	v_mov_b32_e32 v12, v2
	ds_store_b128 v57, v[12:15]
	v_mov_b64_e32 v[12:13], v[2:3]
	v_mov_b64_e32 v[14:15], v[18:19]
.LBB185_370:                            ;   in Loop: Header=BB185_3 Depth=1
	s_or_b32 exec_lo, exec_lo, s0
	s_wait_dscnt 0x0
	;; [unrolled: 41-line block ×6, first 2 shown]
	s_barrier_signal -1
	s_barrier_wait -1
	s_and_saveexec_b32 s0, s86
	s_cbranch_execz .LBB185_388
; %bb.387:                              ;   in Loop: Header=BB185_3 Depth=1
	ds_load_b128 v[16:19], v57
	ds_load_b128 v[204:207], v1 offset:512
	s_wait_dscnt 0x0
	v_mul_f64_e32 v[2:3], v[18:19], v[206:207]
	s_delay_alu instid0(VALU_DEP_1) | instskip(SKIP_1) | instid1(VALU_DEP_2)
	v_fma_f64 v[2:3], v[16:17], v[204:205], -v[2:3]
	v_mul_f64_e32 v[16:17], v[16:17], v[206:207]
	v_add_f64_e64 v[12:13], v[12:13], -v[2:3]
	s_delay_alu instid0(VALU_DEP_2) | instskip(NEXT) | instid1(VALU_DEP_1)
	v_fmac_f64_e32 v[16:17], v[18:19], v[204:205]
	v_add_f64_e64 v[14:15], v[14:15], -v[16:17]
.LBB185_388:                            ;   in Loop: Header=BB185_3 Depth=1
	s_or_b32 exec_lo, exec_lo, s0
	s_barrier_signal -1
	s_barrier_wait -1
	s_and_saveexec_b32 s0, s86
	s_cbranch_execz .LBB185_390
; %bb.389:                              ;   in Loop: Header=BB185_3 Depth=1
	ds_load_b128 v[16:19], v1
	s_wait_dscnt 0x0
	v_mul_f64_e32 v[2:3], v[14:15], v[18:19]
	v_mul_f64_e32 v[18:19], v[12:13], v[18:19]
	s_delay_alu instid0(VALU_DEP_1) | instskip(NEXT) | instid1(VALU_DEP_1)
	v_fmac_f64_e32 v[18:19], v[14:15], v[16:17]
	v_dual_fma_f64 v[2:3], v[12:13], v[16:17], -v[2:3] :: v_dual_mov_b32 v14, v18
	s_delay_alu instid0(VALU_DEP_1) | instskip(NEXT) | instid1(VALU_DEP_3)
	v_xor_b32_e32 v13, 0x80000000, v3
	v_xor_b32_e32 v15, 0x80000000, v19
	s_delay_alu instid0(VALU_DEP_3)
	v_mov_b32_e32 v12, v2
	ds_store_b128 v57, v[12:15]
	v_mov_b64_e32 v[12:13], v[2:3]
	v_mov_b64_e32 v[14:15], v[18:19]
.LBB185_390:                            ;   in Loop: Header=BB185_3 Depth=1
	s_or_b32 exec_lo, exec_lo, s0
	s_wait_dscnt 0x0
	s_barrier_signal -1
	s_barrier_wait -1
	s_barrier_signal -1
	s_barrier_wait -1
	s_and_saveexec_b32 s0, s9
; %bb.391:                              ;   in Loop: Header=BB185_3 Depth=1
	ds_store_b128 v60, v[12:15] offset:7680
; %bb.392:                              ;   in Loop: Header=BB185_3 Depth=1
	s_or_b32 exec_lo, exec_lo, s0
	s_wait_dscnt 0x0
	s_barrier_signal -1
	s_barrier_wait -1
	s_barrier_signal -1
	s_barrier_wait -1
	s_and_saveexec_b32 s0, s87
	s_cbranch_execz .LBB185_394
; %bb.393:                              ;   in Loop: Header=BB185_3 Depth=1
	ds_load_b128 v[12:15], v91
	s_wait_dscnt 0x0
	ds_store_b128 v185, v[12:15]
	ds_load_b128 v[12:15], v92
	s_wait_dscnt 0x0
	ds_store_b128 v186, v[12:15]
	;; [unrolled: 3-line block ×8, first 2 shown]
.LBB185_394:                            ;   in Loop: Header=BB185_3 Depth=1
	s_or_b32 exec_lo, exec_lo, s0
	s_wait_dscnt 0x0
	s_barrier_signal -1
	s_barrier_wait -1
	s_and_saveexec_b32 s0, s31
	s_cbranch_execz .LBB185_396
; %bb.395:                              ;   in Loop: Header=BB185_3 Depth=1
	ds_load_b128 v[12:15], v1 offset:3696
	ds_load_b128 v[16:19], v1 offset:3168
	s_wait_dscnt 0x0
	v_mul_f64_e32 v[2:3], v[14:15], v[18:19]
	v_mul_f64_e32 v[42:43], v[12:13], v[18:19]
	s_delay_alu instid0(VALU_DEP_2) | instskip(NEXT) | instid1(VALU_DEP_2)
	v_fma_f64 v[2:3], v[12:13], v[16:17], -v[2:3]
	v_fmac_f64_e32 v[42:43], v[14:15], v[16:17]
	ds_load_b128 v[12:15], v1 offset:3680
	s_wait_dscnt 0x0
	v_mul_f64_e32 v[18:19], v[2:3], v[14:15]
	v_mul_f64_e32 v[16:17], v[42:43], v[14:15]
	s_delay_alu instid0(VALU_DEP_2) | instskip(NEXT) | instid1(VALU_DEP_2)
	v_fmac_f64_e32 v[18:19], v[12:13], v[42:43]
	v_fma_f64 v[16:17], v[12:13], v[2:3], -v[16:17]
	ds_store_b128 v1, v[16:19] offset:3680
	ds_store_b128 v1, v[16:19] offset:3184
.LBB185_396:                            ;   in Loop: Header=BB185_3 Depth=1
	s_or_b32 exec_lo, exec_lo, s0
	v_mov_b64_e32 v[12:13], 0
	v_mov_b64_e32 v[14:15], 0
	s_wait_dscnt 0x0
	s_barrier_signal -1
	s_barrier_wait -1
	global_wb scope:SCOPE_DEV
	s_wait_storecnt 0x0
	global_inv scope:SCOPE_DEV
	s_and_saveexec_b32 s0, s3
	s_cbranch_execz .LBB185_400
; %bb.397:                              ;   in Loop: Header=BB185_3 Depth=1
	ds_load_b128 v[12:15], v47 offset:3680
	ds_load_b128 v[16:19], v46 offset:3136
	s_wait_dscnt 0x0
	v_mul_f64_e32 v[2:3], v[14:15], v[18:19]
	v_mul_f64_e32 v[18:19], v[12:13], v[18:19]
	s_delay_alu instid0(VALU_DEP_2) | instskip(NEXT) | instid1(VALU_DEP_2)
	v_fma_f64 v[2:3], v[12:13], v[16:17], -v[2:3]
	v_fmac_f64_e32 v[18:19], v[14:15], v[16:17]
	s_delay_alu instid0(VALU_DEP_2) | instskip(NEXT) | instid1(VALU_DEP_2)
	v_add_f64_e32 v[12:13], 0, v[2:3]
	v_add_f64_e32 v[14:15], 0, v[18:19]
	s_and_saveexec_b32 s1, s4
	s_cbranch_execz .LBB185_399
; %bb.398:                              ;   in Loop: Header=BB185_3 Depth=1
	ds_load_b128 v[16:19], v1 offset:3696
	ds_load_b128 v[204:207], v52 offset:3648
	s_wait_dscnt 0x0
	v_mul_f64_e32 v[2:3], v[18:19], v[206:207]
	s_delay_alu instid0(VALU_DEP_1) | instskip(SKIP_1) | instid1(VALU_DEP_2)
	v_fma_f64 v[2:3], v[16:17], v[204:205], -v[2:3]
	v_mul_f64_e32 v[16:17], v[16:17], v[206:207]
	v_add_f64_e32 v[12:13], v[12:13], v[2:3]
	s_delay_alu instid0(VALU_DEP_2) | instskip(NEXT) | instid1(VALU_DEP_1)
	v_fmac_f64_e32 v[16:17], v[18:19], v[204:205]
	v_add_f64_e32 v[14:15], v[14:15], v[16:17]
.LBB185_399:                            ;   in Loop: Header=BB185_3 Depth=1
	s_or_b32 exec_lo, exec_lo, s1
.LBB185_400:                            ;   in Loop: Header=BB185_3 Depth=1
	s_delay_alu instid0(SALU_CYCLE_1)
	s_or_b32 exec_lo, exec_lo, s0
	s_and_saveexec_b32 s0, s63
	s_cbranch_execz .LBB185_402
; %bb.401:                              ;   in Loop: Header=BB185_3 Depth=1
	ds_load_b128 v[16:19], v1 offset:2640
	s_wait_dscnt 0x0
	v_mul_f64_e32 v[2:3], v[14:15], v[18:19]
	v_mul_f64_e32 v[18:19], v[12:13], v[18:19]
	s_delay_alu instid0(VALU_DEP_1) | instskip(NEXT) | instid1(VALU_DEP_1)
	v_fmac_f64_e32 v[18:19], v[14:15], v[16:17]
	v_dual_fma_f64 v[2:3], v[12:13], v[16:17], -v[2:3] :: v_dual_mov_b32 v14, v18
	s_delay_alu instid0(VALU_DEP_1) | instskip(NEXT) | instid1(VALU_DEP_3)
	v_xor_b32_e32 v13, 0x80000000, v3
	v_xor_b32_e32 v15, 0x80000000, v19
	s_delay_alu instid0(VALU_DEP_3)
	v_mov_b32_e32 v12, v2
	ds_store_b128 v21, v[12:15]
	v_mov_b64_e32 v[12:13], v[2:3]
	v_mov_b64_e32 v[14:15], v[18:19]
.LBB185_402:                            ;   in Loop: Header=BB185_3 Depth=1
	s_or_b32 exec_lo, exec_lo, s0
	s_wait_loadcnt_dscnt 0x0
	s_barrier_signal -1
	s_barrier_wait -1
	s_and_saveexec_b32 s0, s64
	s_cbranch_execz .LBB185_404
; %bb.403:                              ;   in Loop: Header=BB185_3 Depth=1
	ds_load_b128 v[16:19], v21
	ds_load_b128 v[204:207], v1 offset:2624
	s_wait_dscnt 0x0
	v_mul_f64_e32 v[2:3], v[18:19], v[206:207]
	s_delay_alu instid0(VALU_DEP_1) | instskip(SKIP_1) | instid1(VALU_DEP_2)
	v_fma_f64 v[2:3], v[16:17], v[204:205], -v[2:3]
	v_mul_f64_e32 v[16:17], v[16:17], v[206:207]
	v_add_f64_e64 v[12:13], v[12:13], -v[2:3]
	s_delay_alu instid0(VALU_DEP_2) | instskip(NEXT) | instid1(VALU_DEP_1)
	v_fmac_f64_e32 v[16:17], v[18:19], v[204:205]
	v_add_f64_e64 v[14:15], v[14:15], -v[16:17]
.LBB185_404:                            ;   in Loop: Header=BB185_3 Depth=1
	s_or_b32 exec_lo, exec_lo, s0
	s_barrier_signal -1
	s_barrier_wait -1
	s_and_saveexec_b32 s0, s64
	s_cbranch_execz .LBB185_406
; %bb.405:                              ;   in Loop: Header=BB185_3 Depth=1
	ds_load_b128 v[16:19], v1 offset:2112
	s_wait_dscnt 0x0
	v_mul_f64_e32 v[2:3], v[14:15], v[18:19]
	v_mul_f64_e32 v[18:19], v[12:13], v[18:19]
	s_delay_alu instid0(VALU_DEP_1) | instskip(NEXT) | instid1(VALU_DEP_1)
	v_fmac_f64_e32 v[18:19], v[14:15], v[16:17]
	v_dual_fma_f64 v[2:3], v[12:13], v[16:17], -v[2:3] :: v_dual_mov_b32 v14, v18
	s_delay_alu instid0(VALU_DEP_1) | instskip(NEXT) | instid1(VALU_DEP_3)
	v_xor_b32_e32 v13, 0x80000000, v3
	v_xor_b32_e32 v15, 0x80000000, v19
	s_delay_alu instid0(VALU_DEP_3)
	v_mov_b32_e32 v12, v2
	ds_store_b128 v21, v[12:15]
	v_mov_b64_e32 v[12:13], v[2:3]
	v_mov_b64_e32 v[14:15], v[18:19]
.LBB185_406:                            ;   in Loop: Header=BB185_3 Depth=1
	s_or_b32 exec_lo, exec_lo, s0
	s_wait_dscnt 0x0
	s_barrier_signal -1
	s_barrier_wait -1
	s_barrier_signal -1
	s_barrier_wait -1
	s_and_saveexec_b32 s0, s3
; %bb.407:                              ;   in Loop: Header=BB185_3 Depth=1
	ds_store_b128 v49, v[12:15] offset:3648
; %bb.408:                              ;   in Loop: Header=BB185_3 Depth=1
	s_or_b32 exec_lo, exec_lo, s0
	s_wait_dscnt 0x0
	s_barrier_signal -1
	s_barrier_wait -1
	s_barrier_signal -1
	s_barrier_wait -1
	s_and_saveexec_b32 s0, s65
	s_cbranch_execz .LBB185_410
; %bb.409:                              ;   in Loop: Header=BB185_3 Depth=1
	ds_load_b128 v[12:15], v110
	s_wait_dscnt 0x0
	ds_store_b128 v193, v[12:15]
	ds_load_b128 v[12:15], v111
	s_wait_dscnt 0x0
	ds_store_b128 v194, v[12:15]
.LBB185_410:                            ;   in Loop: Header=BB185_3 Depth=1
	s_or_b32 exec_lo, exec_lo, s0
	s_wait_dscnt 0x0
	s_barrier_signal -1
	s_barrier_wait -1
	s_and_saveexec_b32 s0, s31
	s_cbranch_execz .LBB185_412
; %bb.411:                              ;   in Loop: Header=BB185_3 Depth=1
	ds_load_b128 v[12:15], v1 offset:2640
	ds_load_b128 v[16:19], v1 offset:2112
	s_wait_dscnt 0x0
	v_mul_f64_e32 v[2:3], v[14:15], v[18:19]
	v_mul_f64_e32 v[42:43], v[12:13], v[18:19]
	s_delay_alu instid0(VALU_DEP_2) | instskip(NEXT) | instid1(VALU_DEP_2)
	v_fma_f64 v[2:3], v[12:13], v[16:17], -v[2:3]
	v_fmac_f64_e32 v[42:43], v[14:15], v[16:17]
	ds_load_b128 v[12:15], v1 offset:2624
	s_wait_dscnt 0x0
	v_mul_f64_e32 v[18:19], v[2:3], v[14:15]
	v_mul_f64_e32 v[16:17], v[42:43], v[14:15]
	s_delay_alu instid0(VALU_DEP_2) | instskip(NEXT) | instid1(VALU_DEP_2)
	v_fmac_f64_e32 v[18:19], v[12:13], v[42:43]
	v_fma_f64 v[16:17], v[12:13], v[2:3], -v[16:17]
	ds_store_b128 v1, v[16:19] offset:2624
	ds_store_b128 v1, v[16:19] offset:2128
.LBB185_412:                            ;   in Loop: Header=BB185_3 Depth=1
	s_or_b32 exec_lo, exec_lo, s0
	v_mov_b64_e32 v[14:15], 0
	v_mov_b64_e32 v[12:13], 0
	s_wait_dscnt 0x0
	s_barrier_signal -1
	s_barrier_wait -1
	global_wb scope:SCOPE_DEV
	s_wait_storecnt 0x0
	global_inv scope:SCOPE_DEV
	s_and_saveexec_b32 s0, s6
	s_cbranch_execz .LBB185_418
; %bb.413:                              ;   in Loop: Header=BB185_3 Depth=1
	ds_load_b128 v[12:15], v55 offset:3648
	ds_load_b128 v[16:19], v54 offset:2048
	s_wait_dscnt 0x0
	v_mul_f64_e32 v[2:3], v[14:15], v[18:19]
	v_mul_f64_e32 v[18:19], v[12:13], v[18:19]
	s_delay_alu instid0(VALU_DEP_2) | instskip(NEXT) | instid1(VALU_DEP_2)
	v_fma_f64 v[2:3], v[12:13], v[16:17], -v[2:3]
	v_fmac_f64_e32 v[18:19], v[14:15], v[16:17]
	s_delay_alu instid0(VALU_DEP_2) | instskip(NEXT) | instid1(VALU_DEP_2)
	v_add_f64_e32 v[12:13], 0, v[2:3]
	v_add_f64_e32 v[14:15], 0, v[18:19]
	s_and_saveexec_b32 s1, s7
	s_cbranch_execnz .LBB185_572
; %bb.414:                              ;   in Loop: Header=BB185_3 Depth=1
	s_or_b32 exec_lo, exec_lo, s1
	s_and_saveexec_b32 s1, s8
	s_cbranch_execnz .LBB185_573
.LBB185_415:                            ;   in Loop: Header=BB185_3 Depth=1
	s_or_b32 exec_lo, exec_lo, s1
	s_and_saveexec_b32 s1, s3
	s_cbranch_execz .LBB185_417
.LBB185_416:                            ;   in Loop: Header=BB185_3 Depth=1
	ds_load_b128 v[16:19], v1 offset:3696
	ds_load_b128 v[204:207], v103 offset:3584
	s_wait_dscnt 0x0
	v_mul_f64_e32 v[2:3], v[18:19], v[206:207]
	s_delay_alu instid0(VALU_DEP_1) | instskip(SKIP_1) | instid1(VALU_DEP_2)
	v_fma_f64 v[2:3], v[16:17], v[204:205], -v[2:3]
	v_mul_f64_e32 v[16:17], v[16:17], v[206:207]
	v_add_f64_e32 v[12:13], v[12:13], v[2:3]
	s_delay_alu instid0(VALU_DEP_2) | instskip(NEXT) | instid1(VALU_DEP_1)
	v_fmac_f64_e32 v[16:17], v[18:19], v[204:205]
	v_add_f64_e32 v[14:15], v[14:15], v[16:17]
.LBB185_417:                            ;   in Loop: Header=BB185_3 Depth=1
	s_or_b32 exec_lo, exec_lo, s1
.LBB185_418:                            ;   in Loop: Header=BB185_3 Depth=1
	s_delay_alu instid0(SALU_CYCLE_1)
	s_or_b32 exec_lo, exec_lo, s0
	s_and_saveexec_b32 s0, s66
	s_cbranch_execz .LBB185_420
; %bb.419:                              ;   in Loop: Header=BB185_3 Depth=1
	ds_load_b128 v[16:19], v1 offset:1584
	s_wait_dscnt 0x0
	v_mul_f64_e32 v[2:3], v[14:15], v[18:19]
	v_mul_f64_e32 v[18:19], v[12:13], v[18:19]
	s_delay_alu instid0(VALU_DEP_1) | instskip(NEXT) | instid1(VALU_DEP_1)
	v_fmac_f64_e32 v[18:19], v[14:15], v[16:17]
	v_dual_fma_f64 v[2:3], v[12:13], v[16:17], -v[2:3] :: v_dual_mov_b32 v14, v18
	s_delay_alu instid0(VALU_DEP_1) | instskip(NEXT) | instid1(VALU_DEP_3)
	v_xor_b32_e32 v13, 0x80000000, v3
	v_xor_b32_e32 v15, 0x80000000, v19
	s_delay_alu instid0(VALU_DEP_3)
	v_mov_b32_e32 v12, v2
	ds_store_b128 v53, v[12:15]
	v_mov_b64_e32 v[12:13], v[2:3]
	v_mov_b64_e32 v[14:15], v[18:19]
.LBB185_420:                            ;   in Loop: Header=BB185_3 Depth=1
	s_or_b32 exec_lo, exec_lo, s0
	s_wait_loadcnt_dscnt 0x0
	s_barrier_signal -1
	s_barrier_wait -1
	s_and_saveexec_b32 s0, s67
	s_cbranch_execz .LBB185_422
; %bb.421:                              ;   in Loop: Header=BB185_3 Depth=1
	ds_load_b128 v[16:19], v53
	ds_load_b128 v[204:207], v54 offset:1536
	s_wait_dscnt 0x0
	v_mul_f64_e32 v[2:3], v[18:19], v[206:207]
	s_delay_alu instid0(VALU_DEP_1) | instskip(SKIP_1) | instid1(VALU_DEP_2)
	v_fma_f64 v[2:3], v[16:17], v[204:205], -v[2:3]
	v_mul_f64_e32 v[16:17], v[16:17], v[206:207]
	v_add_f64_e64 v[12:13], v[12:13], -v[2:3]
	s_delay_alu instid0(VALU_DEP_2) | instskip(NEXT) | instid1(VALU_DEP_1)
	v_fmac_f64_e32 v[16:17], v[18:19], v[204:205]
	v_add_f64_e64 v[14:15], v[14:15], -v[16:17]
.LBB185_422:                            ;   in Loop: Header=BB185_3 Depth=1
	s_or_b32 exec_lo, exec_lo, s0
	s_barrier_signal -1
	s_barrier_wait -1
	s_and_saveexec_b32 s0, s68
	s_cbranch_execz .LBB185_424
; %bb.423:                              ;   in Loop: Header=BB185_3 Depth=1
	ds_load_b128 v[16:19], v1 offset:1056
	s_wait_dscnt 0x0
	v_mul_f64_e32 v[2:3], v[14:15], v[18:19]
	v_mul_f64_e32 v[18:19], v[12:13], v[18:19]
	s_delay_alu instid0(VALU_DEP_1) | instskip(NEXT) | instid1(VALU_DEP_1)
	v_fmac_f64_e32 v[18:19], v[14:15], v[16:17]
	v_dual_fma_f64 v[2:3], v[12:13], v[16:17], -v[2:3] :: v_dual_mov_b32 v14, v18
	s_delay_alu instid0(VALU_DEP_1) | instskip(NEXT) | instid1(VALU_DEP_3)
	v_xor_b32_e32 v13, 0x80000000, v3
	v_xor_b32_e32 v15, 0x80000000, v19
	s_delay_alu instid0(VALU_DEP_3)
	v_mov_b32_e32 v12, v2
	ds_store_b128 v53, v[12:15]
	v_mov_b64_e32 v[12:13], v[2:3]
	v_mov_b64_e32 v[14:15], v[18:19]
.LBB185_424:                            ;   in Loop: Header=BB185_3 Depth=1
	s_or_b32 exec_lo, exec_lo, s0
	s_wait_dscnt 0x0
	s_barrier_signal -1
	s_barrier_wait -1
	s_and_saveexec_b32 s0, s69
	s_cbranch_execz .LBB185_426
; %bb.425:                              ;   in Loop: Header=BB185_3 Depth=1
	ds_load_b128 v[16:19], v53
	ds_load_b128 v[204:207], v54 offset:1024
	s_wait_dscnt 0x0
	v_mul_f64_e32 v[2:3], v[18:19], v[206:207]
	s_delay_alu instid0(VALU_DEP_1) | instskip(SKIP_1) | instid1(VALU_DEP_2)
	v_fma_f64 v[2:3], v[16:17], v[204:205], -v[2:3]
	v_mul_f64_e32 v[16:17], v[16:17], v[206:207]
	v_add_f64_e64 v[12:13], v[12:13], -v[2:3]
	s_delay_alu instid0(VALU_DEP_2) | instskip(NEXT) | instid1(VALU_DEP_1)
	v_fmac_f64_e32 v[16:17], v[18:19], v[204:205]
	v_add_f64_e64 v[14:15], v[14:15], -v[16:17]
.LBB185_426:                            ;   in Loop: Header=BB185_3 Depth=1
	s_or_b32 exec_lo, exec_lo, s0
	s_barrier_signal -1
	s_barrier_wait -1
	s_and_saveexec_b32 s0, s70
	s_cbranch_execz .LBB185_428
; %bb.427:                              ;   in Loop: Header=BB185_3 Depth=1
	ds_load_b128 v[16:19], v1 offset:528
	s_wait_dscnt 0x0
	v_mul_f64_e32 v[2:3], v[14:15], v[18:19]
	v_mul_f64_e32 v[18:19], v[12:13], v[18:19]
	s_delay_alu instid0(VALU_DEP_1) | instskip(NEXT) | instid1(VALU_DEP_1)
	v_fmac_f64_e32 v[18:19], v[14:15], v[16:17]
	v_dual_fma_f64 v[2:3], v[12:13], v[16:17], -v[2:3] :: v_dual_mov_b32 v14, v18
	s_delay_alu instid0(VALU_DEP_1) | instskip(NEXT) | instid1(VALU_DEP_3)
	v_xor_b32_e32 v13, 0x80000000, v3
	v_xor_b32_e32 v15, 0x80000000, v19
	s_delay_alu instid0(VALU_DEP_3)
	v_mov_b32_e32 v12, v2
	ds_store_b128 v53, v[12:15]
	v_mov_b64_e32 v[12:13], v[2:3]
	v_mov_b64_e32 v[14:15], v[18:19]
.LBB185_428:                            ;   in Loop: Header=BB185_3 Depth=1
	s_or_b32 exec_lo, exec_lo, s0
	s_wait_dscnt 0x0
	s_barrier_signal -1
	s_barrier_wait -1
	s_and_saveexec_b32 s0, s71
	s_cbranch_execz .LBB185_430
; %bb.429:                              ;   in Loop: Header=BB185_3 Depth=1
	ds_load_b128 v[16:19], v53
	ds_load_b128 v[204:207], v1 offset:512
	s_wait_dscnt 0x0
	v_mul_f64_e32 v[2:3], v[18:19], v[206:207]
	s_delay_alu instid0(VALU_DEP_1) | instskip(SKIP_1) | instid1(VALU_DEP_2)
	v_fma_f64 v[2:3], v[16:17], v[204:205], -v[2:3]
	v_mul_f64_e32 v[16:17], v[16:17], v[206:207]
	v_add_f64_e64 v[12:13], v[12:13], -v[2:3]
	s_delay_alu instid0(VALU_DEP_2) | instskip(NEXT) | instid1(VALU_DEP_1)
	v_fmac_f64_e32 v[16:17], v[18:19], v[204:205]
	v_add_f64_e64 v[14:15], v[14:15], -v[16:17]
.LBB185_430:                            ;   in Loop: Header=BB185_3 Depth=1
	s_or_b32 exec_lo, exec_lo, s0
	s_barrier_signal -1
	s_barrier_wait -1
	s_and_saveexec_b32 s0, s71
	s_cbranch_execz .LBB185_432
; %bb.431:                              ;   in Loop: Header=BB185_3 Depth=1
	ds_load_b128 v[16:19], v1
	s_wait_dscnt 0x0
	v_mul_f64_e32 v[2:3], v[14:15], v[18:19]
	v_mul_f64_e32 v[18:19], v[12:13], v[18:19]
	s_delay_alu instid0(VALU_DEP_1) | instskip(NEXT) | instid1(VALU_DEP_1)
	v_fmac_f64_e32 v[18:19], v[14:15], v[16:17]
	v_dual_fma_f64 v[2:3], v[12:13], v[16:17], -v[2:3] :: v_dual_mov_b32 v14, v18
	s_delay_alu instid0(VALU_DEP_1) | instskip(NEXT) | instid1(VALU_DEP_3)
	v_xor_b32_e32 v13, 0x80000000, v3
	v_xor_b32_e32 v15, 0x80000000, v19
	s_delay_alu instid0(VALU_DEP_3)
	v_mov_b32_e32 v12, v2
	ds_store_b128 v53, v[12:15]
	v_mov_b64_e32 v[12:13], v[2:3]
	v_mov_b64_e32 v[14:15], v[18:19]
.LBB185_432:                            ;   in Loop: Header=BB185_3 Depth=1
	s_or_b32 exec_lo, exec_lo, s0
	s_wait_dscnt 0x0
	s_barrier_signal -1
	s_barrier_wait -1
	s_barrier_signal -1
	s_barrier_wait -1
	s_and_saveexec_b32 s0, s6
; %bb.433:                              ;   in Loop: Header=BB185_3 Depth=1
	ds_store_b128 v56, v[12:15] offset:3584
; %bb.434:                              ;   in Loop: Header=BB185_3 Depth=1
	s_or_b32 exec_lo, exec_lo, s0
	s_wait_dscnt 0x0
	s_barrier_signal -1
	s_barrier_wait -1
	s_barrier_signal -1
	s_barrier_wait -1
	s_and_saveexec_b32 s0, s72
	s_cbranch_execz .LBB185_436
; %bb.435:                              ;   in Loop: Header=BB185_3 Depth=1
	ds_load_b128 v[12:15], v121
	s_wait_dscnt 0x0
	ds_store_b128 v195, v[12:15]
	ds_load_b128 v[12:15], v124
	s_wait_dscnt 0x0
	ds_store_b128 v198, v[12:15]
	;; [unrolled: 3-line block ×4, first 2 shown]
.LBB185_436:                            ;   in Loop: Header=BB185_3 Depth=1
	s_or_b32 exec_lo, exec_lo, s0
	s_wait_dscnt 0x0
	s_barrier_signal -1
	s_barrier_wait -1
	s_and_saveexec_b32 s0, s31
	s_cbranch_execz .LBB185_438
; %bb.437:                              ;   in Loop: Header=BB185_3 Depth=1
	ds_load_b128 v[12:15], v1 offset:1584
	ds_load_b128 v[16:19], v1 offset:1056
	s_wait_dscnt 0x0
	v_mul_f64_e32 v[2:3], v[14:15], v[18:19]
	v_mul_f64_e32 v[42:43], v[12:13], v[18:19]
	s_delay_alu instid0(VALU_DEP_2) | instskip(NEXT) | instid1(VALU_DEP_2)
	v_fma_f64 v[2:3], v[12:13], v[16:17], -v[2:3]
	v_fmac_f64_e32 v[42:43], v[14:15], v[16:17]
	ds_load_b128 v[12:15], v1 offset:1568
	s_wait_dscnt 0x0
	v_mul_f64_e32 v[18:19], v[2:3], v[14:15]
	v_mul_f64_e32 v[16:17], v[42:43], v[14:15]
	s_delay_alu instid0(VALU_DEP_2) | instskip(NEXT) | instid1(VALU_DEP_2)
	v_fmac_f64_e32 v[18:19], v[12:13], v[42:43]
	v_fma_f64 v[16:17], v[12:13], v[2:3], -v[16:17]
	ds_store_b128 v1, v[16:19] offset:1568
	ds_store_b128 v1, v[16:19] offset:1072
.LBB185_438:                            ;   in Loop: Header=BB185_3 Depth=1
	s_or_b32 exec_lo, exec_lo, s0
	v_mov_b64_e32 v[12:13], 0
	v_mov_b64_e32 v[14:15], 0
	s_wait_dscnt 0x0
	s_barrier_signal -1
	s_barrier_wait -1
	global_wb scope:SCOPE_DEV
	s_wait_storecnt 0x0
	global_inv scope:SCOPE_DEV
	s_and_saveexec_b32 s0, s3
	s_cbranch_execz .LBB185_442
; %bb.439:                              ;   in Loop: Header=BB185_3 Depth=1
	ds_load_b128 v[12:15], v47 offset:1568
	ds_load_b128 v[16:19], v46 offset:1024
	s_wait_dscnt 0x0
	v_mul_f64_e32 v[2:3], v[14:15], v[18:19]
	v_mul_f64_e32 v[18:19], v[12:13], v[18:19]
	s_delay_alu instid0(VALU_DEP_2) | instskip(NEXT) | instid1(VALU_DEP_2)
	v_fma_f64 v[2:3], v[12:13], v[16:17], -v[2:3]
	v_fmac_f64_e32 v[18:19], v[14:15], v[16:17]
	s_delay_alu instid0(VALU_DEP_2) | instskip(NEXT) | instid1(VALU_DEP_2)
	v_add_f64_e32 v[12:13], 0, v[2:3]
	v_add_f64_e32 v[14:15], 0, v[18:19]
	s_and_saveexec_b32 s1, s4
	s_cbranch_execz .LBB185_441
; %bb.440:                              ;   in Loop: Header=BB185_3 Depth=1
	ds_load_b128 v[16:19], v1 offset:1584
	ds_load_b128 v[204:207], v114 offset:1536
	s_wait_dscnt 0x0
	v_mul_f64_e32 v[2:3], v[18:19], v[206:207]
	s_delay_alu instid0(VALU_DEP_1) | instskip(SKIP_1) | instid1(VALU_DEP_2)
	v_fma_f64 v[2:3], v[16:17], v[204:205], -v[2:3]
	v_mul_f64_e32 v[16:17], v[16:17], v[206:207]
	v_add_f64_e32 v[12:13], v[12:13], v[2:3]
	s_delay_alu instid0(VALU_DEP_2) | instskip(NEXT) | instid1(VALU_DEP_1)
	v_fmac_f64_e32 v[16:17], v[18:19], v[204:205]
	v_add_f64_e32 v[14:15], v[14:15], v[16:17]
.LBB185_441:                            ;   in Loop: Header=BB185_3 Depth=1
	s_or_b32 exec_lo, exec_lo, s1
.LBB185_442:                            ;   in Loop: Header=BB185_3 Depth=1
	s_delay_alu instid0(SALU_CYCLE_1)
	s_or_b32 exec_lo, exec_lo, s0
	s_and_saveexec_b32 s0, s63
	s_cbranch_execz .LBB185_444
; %bb.443:                              ;   in Loop: Header=BB185_3 Depth=1
	ds_load_b128 v[16:19], v1 offset:528
	s_wait_dscnt 0x0
	v_mul_f64_e32 v[2:3], v[14:15], v[18:19]
	v_mul_f64_e32 v[18:19], v[12:13], v[18:19]
	s_delay_alu instid0(VALU_DEP_1) | instskip(NEXT) | instid1(VALU_DEP_1)
	v_fmac_f64_e32 v[18:19], v[14:15], v[16:17]
	v_dual_fma_f64 v[2:3], v[12:13], v[16:17], -v[2:3] :: v_dual_mov_b32 v14, v18
	s_delay_alu instid0(VALU_DEP_1) | instskip(NEXT) | instid1(VALU_DEP_3)
	v_xor_b32_e32 v13, 0x80000000, v3
	v_xor_b32_e32 v15, 0x80000000, v19
	s_delay_alu instid0(VALU_DEP_3)
	v_mov_b32_e32 v12, v2
	ds_store_b128 v21, v[12:15]
	v_mov_b64_e32 v[12:13], v[2:3]
	v_mov_b64_e32 v[14:15], v[18:19]
.LBB185_444:                            ;   in Loop: Header=BB185_3 Depth=1
	s_or_b32 exec_lo, exec_lo, s0
	s_wait_loadcnt_dscnt 0x0
	s_barrier_signal -1
	s_barrier_wait -1
	s_and_saveexec_b32 s0, s64
	s_cbranch_execz .LBB185_446
; %bb.445:                              ;   in Loop: Header=BB185_3 Depth=1
	ds_load_b128 v[16:19], v21
	ds_load_b128 v[204:207], v1 offset:512
	s_wait_dscnt 0x0
	v_mul_f64_e32 v[2:3], v[18:19], v[206:207]
	s_delay_alu instid0(VALU_DEP_1) | instskip(SKIP_1) | instid1(VALU_DEP_2)
	v_fma_f64 v[2:3], v[16:17], v[204:205], -v[2:3]
	v_mul_f64_e32 v[16:17], v[16:17], v[206:207]
	v_add_f64_e64 v[12:13], v[12:13], -v[2:3]
	s_delay_alu instid0(VALU_DEP_2) | instskip(NEXT) | instid1(VALU_DEP_1)
	v_fmac_f64_e32 v[16:17], v[18:19], v[204:205]
	v_add_f64_e64 v[14:15], v[14:15], -v[16:17]
.LBB185_446:                            ;   in Loop: Header=BB185_3 Depth=1
	s_or_b32 exec_lo, exec_lo, s0
	s_barrier_signal -1
	s_barrier_wait -1
	s_and_saveexec_b32 s0, s64
	s_cbranch_execz .LBB185_448
; %bb.447:                              ;   in Loop: Header=BB185_3 Depth=1
	ds_load_b128 v[16:19], v1
	s_wait_dscnt 0x0
	v_mul_f64_e32 v[2:3], v[14:15], v[18:19]
	v_mul_f64_e32 v[18:19], v[12:13], v[18:19]
	s_delay_alu instid0(VALU_DEP_1) | instskip(NEXT) | instid1(VALU_DEP_1)
	v_fmac_f64_e32 v[18:19], v[14:15], v[16:17]
	v_dual_fma_f64 v[2:3], v[12:13], v[16:17], -v[2:3] :: v_dual_mov_b32 v14, v18
	s_delay_alu instid0(VALU_DEP_1) | instskip(NEXT) | instid1(VALU_DEP_3)
	v_xor_b32_e32 v13, 0x80000000, v3
	v_xor_b32_e32 v15, 0x80000000, v19
	s_delay_alu instid0(VALU_DEP_3)
	v_mov_b32_e32 v12, v2
	ds_store_b128 v21, v[12:15]
	v_mov_b64_e32 v[12:13], v[2:3]
	v_mov_b64_e32 v[14:15], v[18:19]
.LBB185_448:                            ;   in Loop: Header=BB185_3 Depth=1
	s_or_b32 exec_lo, exec_lo, s0
	s_wait_dscnt 0x0
	s_barrier_signal -1
	s_barrier_wait -1
	s_barrier_signal -1
	s_barrier_wait -1
	s_and_saveexec_b32 s0, s3
; %bb.449:                              ;   in Loop: Header=BB185_3 Depth=1
	ds_store_b128 v49, v[12:15] offset:1536
; %bb.450:                              ;   in Loop: Header=BB185_3 Depth=1
	s_or_b32 exec_lo, exec_lo, s0
	s_wait_dscnt 0x0
	s_barrier_signal -1
	s_barrier_wait -1
	s_barrier_signal -1
	s_barrier_wait -1
	s_and_saveexec_b32 s0, s65
	s_cbranch_execz .LBB185_452
; %bb.451:                              ;   in Loop: Header=BB185_3 Depth=1
	ds_load_b128 v[12:15], v127
	s_wait_dscnt 0x0
	ds_store_b128 v133, v[12:15]
	ds_load_b128 v[12:15], v128
	s_wait_dscnt 0x0
	ds_store_b128 v134, v[12:15]
.LBB185_452:                            ;   in Loop: Header=BB185_3 Depth=1
	s_or_b32 exec_lo, exec_lo, s0
	s_wait_dscnt 0x0
	s_barrier_signal -1
	s_barrier_wait -1
	s_and_saveexec_b32 s0, s31
	s_cbranch_execz .LBB185_454
; %bb.453:                              ;   in Loop: Header=BB185_3 Depth=1
	ds_load_b128 v[12:15], v1 offset:528
	ds_load_b128 v[16:19], v1
	s_wait_dscnt 0x0
	v_mul_f64_e32 v[2:3], v[14:15], v[18:19]
	v_mul_f64_e32 v[42:43], v[12:13], v[18:19]
	s_delay_alu instid0(VALU_DEP_2) | instskip(NEXT) | instid1(VALU_DEP_2)
	v_fma_f64 v[2:3], v[12:13], v[16:17], -v[2:3]
	v_fmac_f64_e32 v[42:43], v[14:15], v[16:17]
	ds_load_b128 v[12:15], v1 offset:512
	s_wait_dscnt 0x0
	v_mul_f64_e32 v[18:19], v[2:3], v[14:15]
	v_mul_f64_e32 v[16:17], v[42:43], v[14:15]
	s_delay_alu instid0(VALU_DEP_2) | instskip(NEXT) | instid1(VALU_DEP_2)
	v_fmac_f64_e32 v[18:19], v[12:13], v[42:43]
	v_fma_f64 v[16:17], v[12:13], v[2:3], -v[16:17]
	ds_store_b128 v1, v[16:19] offset:512
	ds_store_b128 v1, v[16:19] offset:16
.LBB185_454:                            ;   in Loop: Header=BB185_3 Depth=1
	s_or_b32 exec_lo, exec_lo, s0
.LBB185_455:                            ;   in Loop: Header=BB185_3 Depth=1
	v_add_nc_u64_e32 v[40:41], s[46:47], v[40:41]
	v_mov_b64_e32 v[12:13], 0
	v_mov_b64_e32 v[14:15], 0
	s_wait_dscnt 0x0
	s_barrier_signal -1
	s_barrier_wait -1
	s_wait_xcnt 0x0
	s_and_saveexec_b32 s0, s92
	s_cbranch_execz .LBB185_457
; %bb.456:                              ;   in Loop: Header=BB185_3 Depth=1
	v_lshl_add_u64 v[2:3], v[28:29], 4, v[40:41]
	flat_load_b128 v[14:17], v[2:3]
	s_wait_loadcnt_dscnt 0x0
	v_mul_f64_e32 v[2:3], s[40:41], v[14:15]
	s_delay_alu instid0(VALU_DEP_1) | instskip(SKIP_1) | instid1(VALU_DEP_1)
	v_fma_f64 v[12:13], s[42:43], v[16:17], -v[2:3]
	v_mul_f64_e32 v[2:3], s[40:41], v[16:17]
	v_fma_f64 v[14:15], v[14:15], -s[42:43], -v[2:3]
.LBB185_457:                            ;   in Loop: Header=BB185_3 Depth=1
	s_or_b32 exec_lo, exec_lo, s0
	s_delay_alu instid0(SALU_CYCLE_1)
	s_and_not1_b32 vcc_lo, exec_lo, s93
	s_cbranch_vccnz .LBB185_480
; %bb.458:                              ;   in Loop: Header=BB185_3 Depth=1
	v_mov_b32_e32 v42, -1
	s_lshl_b64 s[0:1], s[38:39], 2
	s_delay_alu instid0(SALU_CYCLE_1)
	s_add_nc_u64 s[56:57], s[54:55], s[0:1]
	s_mov_b32 s1, 0
	s_branch .LBB185_461
.LBB185_459:                            ;   in Loop: Header=BB185_461 Depth=2
	ds_load_b128 v[204:207], v130 offset:256
	s_wait_loadcnt_dscnt 0x0
	v_mul_f64_e32 v[2:3], v[18:19], v[206:207]
	s_delay_alu instid0(VALU_DEP_1) | instskip(SKIP_1) | instid1(VALU_DEP_2)
	v_fma_f64 v[2:3], v[16:17], v[204:205], -v[2:3]
	v_mul_f64_e32 v[16:17], v[16:17], v[206:207]
	v_add_f64_e32 v[12:13], v[12:13], v[2:3]
	s_delay_alu instid0(VALU_DEP_2) | instskip(NEXT) | instid1(VALU_DEP_1)
	v_fmac_f64_e32 v[16:17], v[18:19], v[204:205]
	v_add_f64_e32 v[14:15], v[14:15], v[16:17]
.LBB185_460:                            ;   in Loop: Header=BB185_461 Depth=2
	s_or_b32 exec_lo, exec_lo, s0
	s_add_co_i32 s1, s1, 1
	s_delay_alu instid0(SALU_CYCLE_1)
	s_cmp_eq_u32 s1, s59
	s_cbranch_scc1 .LBB185_480
.LBB185_461:                            ;   Parent Loop BB185_3 Depth=1
                                        ; =>  This Loop Header: Depth=2
                                        ;       Child Loop BB185_463 Depth 3
	v_cmp_gt_i32_e32 vcc_lo, s1, v42
	s_and_b32 s25, s35, vcc_lo
	s_delay_alu instid0(SALU_CYCLE_1)
	s_and_saveexec_b32 s0, s25
	s_cbranch_execz .LBB185_464
; %bb.462:                              ;   in Loop: Header=BB185_461 Depth=2
	global_load_b32 v42, v1, s[56:57]
	s_wait_loadcnt 0x0
	v_cmp_le_i32_e32 vcc_lo, s1, v42
	s_cbranch_vccnz .LBB185_464
.LBB185_463:                            ;   Parent Loop BB185_3 Depth=1
                                        ;     Parent Loop BB185_461 Depth=2
                                        ; =>    This Inner Loop Header: Depth=3
	global_wb scope:SCOPE_DEV
	s_wait_storecnt 0x0
	global_inv scope:SCOPE_DEV
	global_load_b32 v42, v1, s[56:57]
	s_wait_loadcnt 0x0
	v_cmp_gt_i32_e32 vcc_lo, s1, v42
	s_cbranch_vccnz .LBB185_463
.LBB185_464:                            ;   in Loop: Header=BB185_461 Depth=2
	s_or_b32 exec_lo, exec_lo, s0
	s_lshl_b32 s0, s1, 5
	global_wb scope:SCOPE_DEV
	s_wait_storecnt 0x0
	global_inv scope:SCOPE_DEV
	s_wait_loadcnt 0x0
	s_barrier_signal -1
	s_barrier_wait -1
	s_and_saveexec_b32 s25, s36
	s_cbranch_execz .LBB185_469
; %bb.465:                              ;   in Loop: Header=BB185_461 Depth=2
	v_or_b32_e32 v0, s0, v22
	s_delay_alu instid0(VALU_DEP_1) | instskip(SKIP_1) | instid1(SALU_CYCLE_1)
	v_cmp_le_i32_e32 vcc_lo, s58, v0
	s_and_saveexec_b32 s20, vcc_lo
	s_xor_b32 vcc_lo, exec_lo, s20
; %bb.466:                              ;   in Loop: Header=BB185_461 Depth=2
	v_dual_mov_b32 v0, v1 :: v_dual_mov_b32 v2, v1
	v_mov_b32_e32 v3, v1
	ds_store_b128 v199, v[0:3]
; %bb.467:                              ;   in Loop: Header=BB185_461 Depth=2
	s_and_not1_saveexec_b32 s18, vcc_lo
	s_cbranch_execz .LBB185_469
; %bb.468:                              ;   in Loop: Header=BB185_461 Depth=2
	v_mul_u64_e32 v[2:3], s[52:53], v[0:1]
	s_delay_alu instid0(VALU_DEP_1)
	v_lshl_add_u64 v[2:3], v[2:3], 4, v[40:41]
	flat_load_b128 v[16:19], v[2:3]
	s_wait_loadcnt_dscnt 0x0
	ds_store_2addr_b64 v199, v[16:17], v[18:19] offset1:1
.LBB185_469:                            ;   in Loop: Header=BB185_461 Depth=2
	s_or_b32 exec_lo, exec_lo, s25
	v_add_nc_u32_e32 v0, s0, v44
	v_cmp_ne_u32_e32 vcc_lo, s1, v45
	s_wait_dscnt 0x0
	s_barrier_signal -1
	s_barrier_wait -1
	v_cmp_gt_i32_e64 s0, s58, v0
	v_lshl_add_u64 v[2:3], v[0:1], 4, v[38:39]
	v_cndmask_b32_e64 v43, 0, 1, vcc_lo
	s_and_b32 s18, s0, s2
	s_delay_alu instid0(SALU_CYCLE_1)
	s_and_saveexec_b32 s0, s18
	s_cbranch_execz .LBB185_475
; %bb.470:                              ;   in Loop: Header=BB185_461 Depth=2
	v_mov_b64_e32 v[16:17], v[4:5]
	s_and_not1_b32 vcc_lo, exec_lo, vcc_lo
	s_cbranch_vccnz .LBB185_472
; %bb.471:                              ;   in Loop: Header=BB185_461 Depth=2
	flat_load_b64 v[16:17], v[2:3]
.LBB185_472:                            ;   in Loop: Header=BB185_461 Depth=2
	v_cmp_ne_u32_e32 vcc_lo, 1, v43
	v_mov_b64_e32 v[18:19], v[6:7]
	s_cbranch_vccnz .LBB185_474
; %bb.473:                              ;   in Loop: Header=BB185_461 Depth=2
	flat_load_b64 v[18:19], v[2:3] offset:8
.LBB185_474:                            ;   in Loop: Header=BB185_461 Depth=2
	ds_load_b128 v[204:207], v130
	s_wait_loadcnt_dscnt 0x0
	v_mul_f64_e32 v[208:209], v[18:19], v[206:207]
	s_delay_alu instid0(VALU_DEP_1) | instskip(SKIP_1) | instid1(VALU_DEP_2)
	v_fma_f64 v[208:209], v[16:17], v[204:205], -v[208:209]
	v_mul_f64_e32 v[16:17], v[16:17], v[206:207]
	v_add_f64_e32 v[12:13], v[12:13], v[208:209]
	s_delay_alu instid0(VALU_DEP_2) | instskip(NEXT) | instid1(VALU_DEP_1)
	v_fmac_f64_e32 v[16:17], v[18:19], v[204:205]
	v_add_f64_e32 v[14:15], v[14:15], v[16:17]
.LBB185_475:                            ;   in Loop: Header=BB185_461 Depth=2
	s_or_b32 exec_lo, exec_lo, s0
	v_add_nc_u32_e32 v0, 16, v0
	s_delay_alu instid0(VALU_DEP_1) | instskip(SKIP_1) | instid1(SALU_CYCLE_1)
	v_cmp_gt_i32_e32 vcc_lo, s58, v0
	s_and_b32 s18, vcc_lo, s2
	s_and_saveexec_b32 s0, s18
	s_cbranch_execz .LBB185_460
; %bb.476:                              ;   in Loop: Header=BB185_461 Depth=2
	v_cmp_ne_u32_e32 vcc_lo, 1, v43
	v_mov_b64_e32 v[16:17], v[8:9]
	s_cbranch_vccnz .LBB185_478
; %bb.477:                              ;   in Loop: Header=BB185_461 Depth=2
	flat_load_b64 v[16:17], v[2:3] offset:256
.LBB185_478:                            ;   in Loop: Header=BB185_461 Depth=2
	v_cmp_ne_u32_e32 vcc_lo, 1, v43
	v_mov_b64_e32 v[18:19], v[10:11]
	s_cbranch_vccnz .LBB185_459
; %bb.479:                              ;   in Loop: Header=BB185_461 Depth=2
	flat_load_b64 v[18:19], v[2:3] offset:264
	s_branch .LBB185_459
.LBB185_480:                            ;   in Loop: Header=BB185_3 Depth=1
	ds_store_b128 v200, v[12:15]
	s_wait_dscnt 0x0
	s_barrier_signal -1
	s_barrier_wait -1
	s_and_saveexec_b32 s0, s5
	s_cbranch_execz .LBB185_482
; %bb.481:                              ;   in Loop: Header=BB185_3 Depth=1
	ds_load_b128 v[16:19], v201 offset:512
	s_wait_dscnt 0x0
	v_add_f64_e32 v[2:3], v[12:13], v[16:17]
	v_add_f64_e32 v[16:17], v[14:15], v[18:19]
	ds_load_b128 v[12:15], v201 offset:1024
	s_wait_dscnt 0x0
	v_add_f64_e32 v[2:3], v[2:3], v[12:13]
	v_add_f64_e32 v[16:17], v[16:17], v[14:15]
	;; [unrolled: 4-line block ×15, first 2 shown]
	s_delay_alu instid0(VALU_DEP_2) | instskip(NEXT) | instid1(VALU_DEP_2)
	v_xor_b32_e32 v0, 0x80000000, v3
	v_xor_b32_e32 v3, 0x80000000, v15
	s_delay_alu instid0(VALU_DEP_4) | instskip(NEXT) | instid1(VALU_DEP_4)
	v_cndmask_b32_e64 v12, v2, 0, s91
	v_cndmask_b32_e64 v14, v14, 0, s91
	s_delay_alu instid0(VALU_DEP_4) | instskip(NEXT) | instid1(VALU_DEP_4)
	v_cndmask_b32_e64 v13, v0, 0, s91
	v_cndmask_b32_e64 v15, v3, 0, s91
.LBB185_482:                            ;   in Loop: Header=BB185_3 Depth=1
	s_or_b32 exec_lo, exec_lo, s0
	s_delay_alu instid0(SALU_CYCLE_1)
	s_and_not1_b32 vcc_lo, exec_lo, s62
	s_cbranch_vccnz .LBB185_491
; %bb.483:                              ;   in Loop: Header=BB185_3 Depth=1
	s_and_saveexec_b32 s0, s5
; %bb.484:                              ;   in Loop: Header=BB185_3 Depth=1
	ds_store_b128 v202, v[12:15]
; %bb.485:                              ;   in Loop: Header=BB185_3 Depth=1
	s_or_b32 exec_lo, exec_lo, s0
	v_mov_b64_e32 v[16:17], 0
	v_mov_b64_e32 v[18:19], 0
	s_wait_dscnt 0x0
	s_barrier_signal -1
	s_barrier_wait -1
	s_and_saveexec_b32 s0, s16
	s_cbranch_execz .LBB185_487
; %bb.486:                              ;   in Loop: Header=BB185_3 Depth=1
	ds_load_b128 v[16:19], v130
	ds_load_b128 v[204:207], v135
	s_wait_dscnt 0x0
	v_mul_f64_e32 v[2:3], v[18:19], v[206:207]
	v_mul_f64_e32 v[38:39], v[16:17], v[206:207]
	s_delay_alu instid0(VALU_DEP_2) | instskip(NEXT) | instid1(VALU_DEP_2)
	v_fma_f64 v[2:3], v[16:17], v[204:205], -v[2:3]
	v_fmac_f64_e32 v[38:39], v[18:19], v[204:205]
	s_delay_alu instid0(VALU_DEP_2) | instskip(NEXT) | instid1(VALU_DEP_2)
	v_add_f64_e32 v[16:17], 0, v[2:3]
	v_add_f64_e32 v[18:19], 0, v[38:39]
.LBB185_487:                            ;   in Loop: Header=BB185_3 Depth=1
	s_or_b32 exec_lo, exec_lo, s0
	s_and_saveexec_b32 s0, s17
	s_cbranch_execz .LBB185_489
; %bb.488:                              ;   in Loop: Header=BB185_3 Depth=1
	ds_load_b128 v[204:207], v130 offset:256
	ds_load_b128 v[208:211], v135 offset:8192
	s_wait_dscnt 0x0
	v_mul_f64_e32 v[2:3], v[206:207], v[210:211]
	v_mul_f64_e32 v[38:39], v[204:205], v[210:211]
	s_delay_alu instid0(VALU_DEP_2) | instskip(NEXT) | instid1(VALU_DEP_2)
	v_fma_f64 v[2:3], v[204:205], v[208:209], -v[2:3]
	v_fmac_f64_e32 v[38:39], v[206:207], v[208:209]
	s_delay_alu instid0(VALU_DEP_2) | instskip(NEXT) | instid1(VALU_DEP_2)
	v_add_f64_e32 v[16:17], v[16:17], v[2:3]
	v_add_f64_e32 v[18:19], v[18:19], v[38:39]
.LBB185_489:                            ;   in Loop: Header=BB185_3 Depth=1
	s_or_b32 exec_lo, exec_lo, s0
	s_mov_b32 s1, 0
	s_mov_b32 s0, 0
	ds_store_b128 v200, v[16:19]
	s_wait_dscnt 0x0
	s_barrier_signal -1
	s_barrier_wait -1
                                        ; implicit-def: $vgpr2_vgpr3
                                        ; implicit-def: $vgpr38_vgpr39
	s_and_saveexec_b32 s56, s5
	s_cbranch_execz .LBB185_553
; %bb.490:                              ;   in Loop: Header=BB185_3 Depth=1
	ds_load_b128 v[204:207], v201 offset:512
	s_mov_b32 s0, exec_lo
	s_wait_dscnt 0x0
	v_add_f64_e32 v[2:3], v[16:17], v[204:205]
	v_add_f64_e32 v[38:39], v[18:19], v[206:207]
	ds_load_b128 v[16:19], v201 offset:1024
	s_wait_dscnt 0x0
	v_add_f64_e32 v[2:3], v[2:3], v[16:17]
	v_add_f64_e32 v[38:39], v[38:39], v[18:19]
	ds_load_b128 v[16:19], v201 offset:1536
	;; [unrolled: 4-line block ×14, first 2 shown]
	s_wait_dscnt 0x0
	v_add_f64_e32 v[38:39], v[2:3], v[16:17]
	v_add_f64_e32 v[2:3], v[42:43], v[18:19]
	s_or_b32 exec_lo, exec_lo, s56
	s_delay_alu instid0(SALU_CYCLE_1)
	s_and_b32 vcc_lo, exec_lo, s1
	s_cbranch_vccnz .LBB185_492
	s_branch .LBB185_554
.LBB185_491:                            ;   in Loop: Header=BB185_3 Depth=1
	s_mov_b32 s0, 0
                                        ; implicit-def: $vgpr2_vgpr3
                                        ; implicit-def: $vgpr38_vgpr39
	s_cbranch_execz .LBB185_554
.LBB185_492:                            ;   in Loop: Header=BB185_3 Depth=1
	v_dual_mov_b32 v0, v20 :: v_dual_mov_b32 v2, v23
	s_mov_b32 s1, 0
	s_branch .LBB185_494
.LBB185_493:                            ;   in Loop: Header=BB185_494 Depth=2
	s_or_b32 exec_lo, exec_lo, s25
	v_add_nc_u32_e32 v2, 0x400, v2
	v_add_nc_u32_e32 v0, -2, v0
	s_add_co_i32 s1, s1, 2
	s_delay_alu instid0(SALU_CYCLE_1)
	s_cmp_lg_u32 s1, 32
	s_barrier_signal -1
	s_barrier_wait -1
	s_cbranch_scc0 .LBB185_502
.LBB185_494:                            ;   Parent Loop BB185_3 Depth=1
                                        ; =>  This Inner Loop Header: Depth=2
	s_delay_alu instid0(VALU_DEP_1) | instskip(SKIP_1) | instid1(SALU_CYCLE_1)
	v_cmp_eq_u32_e32 vcc_lo, 0, v0
	s_and_b32 s18, s5, vcc_lo
	s_and_saveexec_b32 s25, s18
	s_cbranch_execz .LBB185_496
; %bb.495:                              ;   in Loop: Header=BB185_494 Depth=2
	ds_load_b128 v[16:19], v136
	s_wait_dscnt 0x0
	v_mul_f64_e32 v[38:39], v[14:15], v[18:19]
	v_mul_f64_e32 v[206:207], v[12:13], v[18:19]
	s_delay_alu instid0(VALU_DEP_2) | instskip(NEXT) | instid1(VALU_DEP_2)
	v_fma_f64 v[204:205], v[12:13], v[16:17], -v[38:39]
	v_fmac_f64_e32 v[206:207], v[14:15], v[16:17]
	s_delay_alu instid0(VALU_DEP_2) | instskip(NEXT) | instid1(VALU_DEP_2)
	v_mov_b64_e32 v[12:13], v[204:205]
	v_mov_b64_e32 v[14:15], v[206:207]
	ds_store_b128 v1, v[204:207] offset:25088
.LBB185_496:                            ;   in Loop: Header=BB185_494 Depth=2
	s_or_b32 exec_lo, exec_lo, s25
	v_cmp_lt_u32_e32 vcc_lo, s1, v20
	s_wait_dscnt 0x0
	s_barrier_signal -1
	s_barrier_wait -1
	s_and_b32 s18, s5, vcc_lo
	s_delay_alu instid0(SALU_CYCLE_1)
	s_and_saveexec_b32 s25, s18
	s_cbranch_execz .LBB185_498
; %bb.497:                              ;   in Loop: Header=BB185_494 Depth=2
	ds_load_b128 v[16:19], v1 offset:25088
	ds_load_b128 v[204:207], v2
	s_wait_dscnt 0x0
	v_mul_f64_e32 v[38:39], v[18:19], v[206:207]
	s_delay_alu instid0(VALU_DEP_1) | instskip(SKIP_1) | instid1(VALU_DEP_2)
	v_fma_f64 v[38:39], v[16:17], v[204:205], -v[38:39]
	v_mul_f64_e32 v[16:17], v[16:17], v[206:207]
	v_add_f64_e32 v[12:13], v[12:13], v[38:39]
	s_delay_alu instid0(VALU_DEP_2) | instskip(NEXT) | instid1(VALU_DEP_1)
	v_fmac_f64_e32 v[16:17], v[18:19], v[204:205]
	v_add_f64_e32 v[14:15], v[14:15], v[16:17]
.LBB185_498:                            ;   in Loop: Header=BB185_494 Depth=2
	s_or_b32 exec_lo, exec_lo, s25
	s_or_b32 s56, s1, 1
	s_delay_alu instid0(SALU_CYCLE_1) | instskip(SKIP_3) | instid1(SALU_CYCLE_1)
	v_cmp_eq_u32_e32 vcc_lo, s56, v20
	s_barrier_signal -1
	s_barrier_wait -1
	s_and_b32 s18, s5, vcc_lo
	s_and_saveexec_b32 s25, s18
	s_cbranch_execz .LBB185_500
; %bb.499:                              ;   in Loop: Header=BB185_494 Depth=2
	ds_load_b128 v[16:19], v136
	s_wait_dscnt 0x0
	v_mul_f64_e32 v[38:39], v[14:15], v[18:19]
	v_mul_f64_e32 v[206:207], v[12:13], v[18:19]
	s_delay_alu instid0(VALU_DEP_2) | instskip(NEXT) | instid1(VALU_DEP_2)
	v_fma_f64 v[204:205], v[12:13], v[16:17], -v[38:39]
	v_fmac_f64_e32 v[206:207], v[14:15], v[16:17]
	s_delay_alu instid0(VALU_DEP_2) | instskip(NEXT) | instid1(VALU_DEP_2)
	v_mov_b64_e32 v[12:13], v[204:205]
	v_mov_b64_e32 v[14:15], v[206:207]
	ds_store_b128 v1, v[204:207] offset:25088
.LBB185_500:                            ;   in Loop: Header=BB185_494 Depth=2
	s_or_b32 exec_lo, exec_lo, s25
	v_cmp_lt_u32_e32 vcc_lo, s56, v20
	s_wait_dscnt 0x0
	s_barrier_signal -1
	s_barrier_wait -1
	s_and_b32 s18, s5, vcc_lo
	s_delay_alu instid0(SALU_CYCLE_1)
	s_and_saveexec_b32 s25, s18
	s_cbranch_execz .LBB185_493
; %bb.501:                              ;   in Loop: Header=BB185_494 Depth=2
	ds_load_b128 v[16:19], v1 offset:25088
	ds_load_b128 v[204:207], v2 offset:512
	s_wait_dscnt 0x0
	v_mul_f64_e32 v[38:39], v[18:19], v[206:207]
	s_delay_alu instid0(VALU_DEP_1) | instskip(SKIP_1) | instid1(VALU_DEP_2)
	v_fma_f64 v[38:39], v[16:17], v[204:205], -v[38:39]
	v_mul_f64_e32 v[16:17], v[16:17], v[206:207]
	v_add_f64_e32 v[12:13], v[12:13], v[38:39]
	s_delay_alu instid0(VALU_DEP_2) | instskip(NEXT) | instid1(VALU_DEP_1)
	v_fmac_f64_e32 v[16:17], v[18:19], v[204:205]
	v_add_f64_e32 v[14:15], v[14:15], v[16:17]
	s_branch .LBB185_493
.LBB185_502:                            ;   in Loop: Header=BB185_3 Depth=1
	s_and_b32 vcc_lo, exec_lo, s61
	s_mov_b32 s1, -1
	s_cbranch_vccz .LBB185_504
; %bb.503:                              ;   in Loop: Header=BB185_3 Depth=1
	s_and_not1_b32 s0, s0, exec_lo
	s_and_b32 s18, s5, exec_lo
	s_mov_b32 s1, 0
	s_or_b32 s0, s0, s18
.LBB185_504:                            ;   in Loop: Header=BB185_3 Depth=1
	s_and_not1_b32 vcc_lo, exec_lo, s1
	s_cbranch_vccnz .LBB185_506
; %bb.505:                              ;   in Loop: Header=BB185_3 Depth=1
	v_readlane_b32 s1, v203, 9
	s_and_not1_b32 s0, s0, exec_lo
	s_and_b32 s1, s1, exec_lo
	s_delay_alu instid0(SALU_CYCLE_1)
	s_or_b32 s0, s0, s1
.LBB185_506:                            ;   in Loop: Header=BB185_3 Depth=1
	v_mov_b64_e32 v[2:3], v[34:35]
	s_and_saveexec_b32 s1, s0
	s_cbranch_execnz .LBB185_555
	s_branch .LBB185_556
.LBB185_507:                            ;   in Loop: Header=BB185_3 Depth=1
	v_readlane_b32 s18, v203, 10
	s_and_saveexec_b32 s1, s18
	s_delay_alu instid0(SALU_CYCLE_1)
	s_xor_b32 s1, exec_lo, s1
	s_cbranch_execz .LBB185_511
; %bb.508:                              ;   in Loop: Header=BB185_3 Depth=1
	v_readlane_b32 s18, v203, 24
	s_and_saveexec_b32 s25, s18
; %bb.509:                              ;   in Loop: Header=BB185_3 Depth=1
	v_dual_mov_b32 v0, v1 :: v_dual_mov_b32 v2, v1
	v_mov_b32_e32 v3, v1
	ds_store_b128 v137, v[0:3]
; %bb.510:                              ;   in Loop: Header=BB185_3 Depth=1
	s_or_b32 exec_lo, exec_lo, s25
.LBB185_511:                            ;   in Loop: Header=BB185_3 Depth=1
	s_and_not1_saveexec_b32 s1, s1
	s_cbranch_execz .LBB185_517
; %bb.512:                              ;   in Loop: Header=BB185_3 Depth=1
	v_lshl_add_u64 v[2:3], v[30:31], 4, v[42:43]
	s_mov_b32 s56, exec_lo
                                        ; implicit-def: $vgpr16_vgpr17
	flat_load_b128 v[12:15], v[2:3]
	s_wait_loadcnt_dscnt 0x0
	v_cmpx_ngt_f64_e64 |v[12:13]|, |v[14:15]|
	s_xor_b32 s56, exec_lo, s56
	s_cbranch_execz .LBB185_514
; %bb.513:                              ;   in Loop: Header=BB185_3 Depth=1
	v_div_scale_f64 v[2:3], null, v[14:15], v[14:15], v[12:13]
	v_div_scale_f64 v[204:205], vcc_lo, v[12:13], v[14:15], v[12:13]
	s_delay_alu instid0(VALU_DEP_2) | instskip(SKIP_1) | instid1(TRANS32_DEP_1)
	v_rcp_f64_e32 v[16:17], v[2:3]
	v_nop
	v_fma_f64 v[18:19], -v[2:3], v[16:17], 1.0
	s_delay_alu instid0(VALU_DEP_1) | instskip(NEXT) | instid1(VALU_DEP_1)
	v_fmac_f64_e32 v[16:17], v[16:17], v[18:19]
	v_fma_f64 v[18:19], -v[2:3], v[16:17], 1.0
	s_delay_alu instid0(VALU_DEP_1) | instskip(NEXT) | instid1(VALU_DEP_1)
	v_fmac_f64_e32 v[16:17], v[16:17], v[18:19]
	v_mul_f64_e32 v[18:19], v[204:205], v[16:17]
	s_delay_alu instid0(VALU_DEP_1) | instskip(NEXT) | instid1(VALU_DEP_1)
	v_fma_f64 v[2:3], -v[2:3], v[18:19], v[204:205]
	v_div_fmas_f64 v[2:3], v[2:3], v[16:17], v[18:19]
	s_delay_alu instid0(VALU_DEP_1) | instskip(NEXT) | instid1(VALU_DEP_1)
	v_div_fixup_f64 v[2:3], v[2:3], v[14:15], v[12:13]
	v_fmac_f64_e32 v[14:15], v[12:13], v[2:3]
	s_delay_alu instid0(VALU_DEP_1) | instskip(NEXT) | instid1(VALU_DEP_1)
	v_div_scale_f64 v[12:13], null, v[14:15], v[14:15], 1.0
	v_rcp_f64_e32 v[16:17], v[12:13]
	v_nop
	s_delay_alu instid0(TRANS32_DEP_1) | instskip(NEXT) | instid1(VALU_DEP_1)
	v_fma_f64 v[18:19], -v[12:13], v[16:17], 1.0
	v_fmac_f64_e32 v[16:17], v[16:17], v[18:19]
	s_delay_alu instid0(VALU_DEP_1) | instskip(NEXT) | instid1(VALU_DEP_1)
	v_fma_f64 v[18:19], -v[12:13], v[16:17], 1.0
	v_fmac_f64_e32 v[16:17], v[16:17], v[18:19]
	v_div_scale_f64 v[18:19], vcc_lo, 1.0, v[14:15], 1.0
	s_delay_alu instid0(VALU_DEP_1) | instskip(NEXT) | instid1(VALU_DEP_1)
	v_mul_f64_e32 v[204:205], v[18:19], v[16:17]
	v_fma_f64 v[12:13], -v[12:13], v[204:205], v[18:19]
	s_delay_alu instid0(VALU_DEP_1) | instskip(NEXT) | instid1(VALU_DEP_1)
	v_div_fmas_f64 v[12:13], v[12:13], v[16:17], v[204:205]
	v_div_fixup_f64 v[18:19], v[12:13], v[14:15], 1.0
                                        ; implicit-def: $vgpr12_vgpr13
	s_delay_alu instid0(VALU_DEP_1)
	v_mul_f64_e32 v[16:17], v[2:3], v[18:19]
	v_xor_b32_e32 v19, 0x80000000, v19
.LBB185_514:                            ;   in Loop: Header=BB185_3 Depth=1
	s_and_not1_saveexec_b32 s56, s56
	s_cbranch_execz .LBB185_516
; %bb.515:                              ;   in Loop: Header=BB185_3 Depth=1
	v_div_scale_f64 v[2:3], null, v[12:13], v[12:13], v[14:15]
	v_div_scale_f64 v[204:205], vcc_lo, v[14:15], v[12:13], v[14:15]
	s_delay_alu instid0(VALU_DEP_2) | instskip(SKIP_1) | instid1(TRANS32_DEP_1)
	v_rcp_f64_e32 v[16:17], v[2:3]
	v_nop
	v_fma_f64 v[18:19], -v[2:3], v[16:17], 1.0
	s_delay_alu instid0(VALU_DEP_1) | instskip(NEXT) | instid1(VALU_DEP_1)
	v_fmac_f64_e32 v[16:17], v[16:17], v[18:19]
	v_fma_f64 v[18:19], -v[2:3], v[16:17], 1.0
	s_delay_alu instid0(VALU_DEP_1) | instskip(NEXT) | instid1(VALU_DEP_1)
	v_fmac_f64_e32 v[16:17], v[16:17], v[18:19]
	v_mul_f64_e32 v[18:19], v[204:205], v[16:17]
	s_delay_alu instid0(VALU_DEP_1) | instskip(NEXT) | instid1(VALU_DEP_1)
	v_fma_f64 v[2:3], -v[2:3], v[18:19], v[204:205]
	v_div_fmas_f64 v[2:3], v[2:3], v[16:17], v[18:19]
	s_delay_alu instid0(VALU_DEP_1) | instskip(NEXT) | instid1(VALU_DEP_1)
	v_div_fixup_f64 v[2:3], v[2:3], v[12:13], v[14:15]
	v_fmac_f64_e32 v[12:13], v[14:15], v[2:3]
	s_delay_alu instid0(VALU_DEP_1) | instskip(NEXT) | instid1(VALU_DEP_1)
	v_div_scale_f64 v[14:15], null, v[12:13], v[12:13], 1.0
	v_rcp_f64_e32 v[16:17], v[14:15]
	v_nop
	s_delay_alu instid0(TRANS32_DEP_1) | instskip(NEXT) | instid1(VALU_DEP_1)
	v_fma_f64 v[18:19], -v[14:15], v[16:17], 1.0
	v_fmac_f64_e32 v[16:17], v[16:17], v[18:19]
	s_delay_alu instid0(VALU_DEP_1) | instskip(NEXT) | instid1(VALU_DEP_1)
	v_fma_f64 v[18:19], -v[14:15], v[16:17], 1.0
	v_fmac_f64_e32 v[16:17], v[16:17], v[18:19]
	v_div_scale_f64 v[18:19], vcc_lo, 1.0, v[12:13], 1.0
	s_delay_alu instid0(VALU_DEP_1) | instskip(NEXT) | instid1(VALU_DEP_1)
	v_mul_f64_e32 v[204:205], v[18:19], v[16:17]
	v_fma_f64 v[14:15], -v[14:15], v[204:205], v[18:19]
	s_delay_alu instid0(VALU_DEP_1) | instskip(NEXT) | instid1(VALU_DEP_1)
	v_div_fmas_f64 v[14:15], v[14:15], v[16:17], v[204:205]
	v_div_fixup_f64 v[16:17], v[14:15], v[12:13], 1.0
	s_delay_alu instid0(VALU_DEP_1)
	v_mul_f64_e64 v[18:19], v[2:3], -v[16:17]
.LBB185_516:                            ;   in Loop: Header=BB185_3 Depth=1
	s_or_b32 exec_lo, exec_lo, s56
	ds_store_b128 v137, v[16:19]
.LBB185_517:                            ;   in Loop: Header=BB185_3 Depth=1
	s_or_b32 exec_lo, exec_lo, s1
	s_and_not1_saveexec_b32 s0, s0
	s_cbranch_execz .LBB185_13
.LBB185_518:                            ;   in Loop: Header=BB185_3 Depth=1
	v_lshl_add_u64 v[2:3], v[30:31], 4, v[42:43]
	flat_load_b128 v[12:15], v[2:3]
	s_wait_loadcnt_dscnt 0x0
	v_xor_b32_e32 v13, 0x80000000, v13
	v_xor_b32_e32 v15, 0x80000000, v15
	ds_store_b128 v137, v[12:15]
	s_or_b32 exec_lo, exec_lo, s0
	s_and_saveexec_b32 s0, s17
	s_delay_alu instid0(SALU_CYCLE_1)
	s_xor_b32 s0, exec_lo, s0
	s_cbranch_execz .LBB185_14
.LBB185_519:                            ;   in Loop: Header=BB185_3 Depth=1
	s_and_saveexec_b32 s1, s19
	s_delay_alu instid0(SALU_CYCLE_1)
	s_xor_b32 s1, exec_lo, s1
	s_cbranch_execz .LBB185_523
; %bb.520:                              ;   in Loop: Header=BB185_3 Depth=1
	v_readlane_b32 s18, v203, 25
	s_and_saveexec_b32 s25, s18
; %bb.521:                              ;   in Loop: Header=BB185_3 Depth=1
	v_dual_mov_b32 v0, v1 :: v_dual_mov_b32 v2, v1
	v_mov_b32_e32 v3, v1
	ds_store_b128 v138, v[0:3]
; %bb.522:                              ;   in Loop: Header=BB185_3 Depth=1
	s_or_b32 exec_lo, exec_lo, s25
.LBB185_523:                            ;   in Loop: Header=BB185_3 Depth=1
	s_and_not1_saveexec_b32 s1, s1
	s_cbranch_execz .LBB185_529
; %bb.524:                              ;   in Loop: Header=BB185_3 Depth=1
	v_lshl_add_u64 v[2:3], v[32:33], 4, v[42:43]
	s_mov_b32 s56, exec_lo
                                        ; implicit-def: $vgpr16_vgpr17
	flat_load_b128 v[12:15], v[2:3]
	s_wait_loadcnt_dscnt 0x0
	v_cmpx_ngt_f64_e64 |v[12:13]|, |v[14:15]|
	s_xor_b32 s56, exec_lo, s56
	s_cbranch_execz .LBB185_526
; %bb.525:                              ;   in Loop: Header=BB185_3 Depth=1
	v_div_scale_f64 v[2:3], null, v[14:15], v[14:15], v[12:13]
	v_div_scale_f64 v[204:205], vcc_lo, v[12:13], v[14:15], v[12:13]
	s_delay_alu instid0(VALU_DEP_2) | instskip(SKIP_1) | instid1(TRANS32_DEP_1)
	v_rcp_f64_e32 v[16:17], v[2:3]
	v_nop
	v_fma_f64 v[18:19], -v[2:3], v[16:17], 1.0
	s_delay_alu instid0(VALU_DEP_1) | instskip(NEXT) | instid1(VALU_DEP_1)
	v_fmac_f64_e32 v[16:17], v[16:17], v[18:19]
	v_fma_f64 v[18:19], -v[2:3], v[16:17], 1.0
	s_delay_alu instid0(VALU_DEP_1) | instskip(NEXT) | instid1(VALU_DEP_1)
	v_fmac_f64_e32 v[16:17], v[16:17], v[18:19]
	v_mul_f64_e32 v[18:19], v[204:205], v[16:17]
	s_delay_alu instid0(VALU_DEP_1) | instskip(NEXT) | instid1(VALU_DEP_1)
	v_fma_f64 v[2:3], -v[2:3], v[18:19], v[204:205]
	v_div_fmas_f64 v[2:3], v[2:3], v[16:17], v[18:19]
	s_delay_alu instid0(VALU_DEP_1) | instskip(NEXT) | instid1(VALU_DEP_1)
	v_div_fixup_f64 v[2:3], v[2:3], v[14:15], v[12:13]
	v_fmac_f64_e32 v[14:15], v[12:13], v[2:3]
	s_delay_alu instid0(VALU_DEP_1) | instskip(NEXT) | instid1(VALU_DEP_1)
	v_div_scale_f64 v[12:13], null, v[14:15], v[14:15], 1.0
	v_rcp_f64_e32 v[16:17], v[12:13]
	v_nop
	s_delay_alu instid0(TRANS32_DEP_1) | instskip(NEXT) | instid1(VALU_DEP_1)
	v_fma_f64 v[18:19], -v[12:13], v[16:17], 1.0
	v_fmac_f64_e32 v[16:17], v[16:17], v[18:19]
	s_delay_alu instid0(VALU_DEP_1) | instskip(NEXT) | instid1(VALU_DEP_1)
	v_fma_f64 v[18:19], -v[12:13], v[16:17], 1.0
	v_fmac_f64_e32 v[16:17], v[16:17], v[18:19]
	v_div_scale_f64 v[18:19], vcc_lo, 1.0, v[14:15], 1.0
	s_delay_alu instid0(VALU_DEP_1) | instskip(NEXT) | instid1(VALU_DEP_1)
	v_mul_f64_e32 v[204:205], v[18:19], v[16:17]
	v_fma_f64 v[12:13], -v[12:13], v[204:205], v[18:19]
	s_delay_alu instid0(VALU_DEP_1) | instskip(NEXT) | instid1(VALU_DEP_1)
	v_div_fmas_f64 v[12:13], v[12:13], v[16:17], v[204:205]
	v_div_fixup_f64 v[18:19], v[12:13], v[14:15], 1.0
                                        ; implicit-def: $vgpr12_vgpr13
	s_delay_alu instid0(VALU_DEP_1)
	v_mul_f64_e32 v[16:17], v[2:3], v[18:19]
	v_xor_b32_e32 v19, 0x80000000, v19
.LBB185_526:                            ;   in Loop: Header=BB185_3 Depth=1
	s_and_not1_saveexec_b32 s56, s56
	s_cbranch_execz .LBB185_528
; %bb.527:                              ;   in Loop: Header=BB185_3 Depth=1
	v_div_scale_f64 v[2:3], null, v[12:13], v[12:13], v[14:15]
	v_div_scale_f64 v[204:205], vcc_lo, v[14:15], v[12:13], v[14:15]
	s_delay_alu instid0(VALU_DEP_2) | instskip(SKIP_1) | instid1(TRANS32_DEP_1)
	v_rcp_f64_e32 v[16:17], v[2:3]
	v_nop
	v_fma_f64 v[18:19], -v[2:3], v[16:17], 1.0
	s_delay_alu instid0(VALU_DEP_1) | instskip(NEXT) | instid1(VALU_DEP_1)
	v_fmac_f64_e32 v[16:17], v[16:17], v[18:19]
	v_fma_f64 v[18:19], -v[2:3], v[16:17], 1.0
	s_delay_alu instid0(VALU_DEP_1) | instskip(NEXT) | instid1(VALU_DEP_1)
	v_fmac_f64_e32 v[16:17], v[16:17], v[18:19]
	v_mul_f64_e32 v[18:19], v[204:205], v[16:17]
	s_delay_alu instid0(VALU_DEP_1) | instskip(NEXT) | instid1(VALU_DEP_1)
	v_fma_f64 v[2:3], -v[2:3], v[18:19], v[204:205]
	v_div_fmas_f64 v[2:3], v[2:3], v[16:17], v[18:19]
	s_delay_alu instid0(VALU_DEP_1) | instskip(NEXT) | instid1(VALU_DEP_1)
	v_div_fixup_f64 v[2:3], v[2:3], v[12:13], v[14:15]
	v_fmac_f64_e32 v[12:13], v[14:15], v[2:3]
	s_delay_alu instid0(VALU_DEP_1) | instskip(NEXT) | instid1(VALU_DEP_1)
	v_div_scale_f64 v[14:15], null, v[12:13], v[12:13], 1.0
	v_rcp_f64_e32 v[16:17], v[14:15]
	v_nop
	s_delay_alu instid0(TRANS32_DEP_1) | instskip(NEXT) | instid1(VALU_DEP_1)
	v_fma_f64 v[18:19], -v[14:15], v[16:17], 1.0
	v_fmac_f64_e32 v[16:17], v[16:17], v[18:19]
	s_delay_alu instid0(VALU_DEP_1) | instskip(NEXT) | instid1(VALU_DEP_1)
	v_fma_f64 v[18:19], -v[14:15], v[16:17], 1.0
	v_fmac_f64_e32 v[16:17], v[16:17], v[18:19]
	v_div_scale_f64 v[18:19], vcc_lo, 1.0, v[12:13], 1.0
	s_delay_alu instid0(VALU_DEP_1) | instskip(NEXT) | instid1(VALU_DEP_1)
	v_mul_f64_e32 v[204:205], v[18:19], v[16:17]
	v_fma_f64 v[14:15], -v[14:15], v[204:205], v[18:19]
	s_delay_alu instid0(VALU_DEP_1) | instskip(NEXT) | instid1(VALU_DEP_1)
	v_div_fmas_f64 v[14:15], v[14:15], v[16:17], v[204:205]
	v_div_fixup_f64 v[16:17], v[14:15], v[12:13], 1.0
	s_delay_alu instid0(VALU_DEP_1)
	v_mul_f64_e64 v[18:19], v[2:3], -v[16:17]
.LBB185_528:                            ;   in Loop: Header=BB185_3 Depth=1
	s_or_b32 exec_lo, exec_lo, s56
	ds_store_b128 v138, v[16:19]
.LBB185_529:                            ;   in Loop: Header=BB185_3 Depth=1
	s_or_b32 exec_lo, exec_lo, s1
	s_and_not1_saveexec_b32 s0, s0
	s_cbranch_execnz .LBB185_15
	s_branch .LBB185_16
.LBB185_530:                            ;   in Loop: Header=BB185_3 Depth=1
	v_readlane_b32 s18, v203, 11
	s_and_saveexec_b32 s1, s18
	s_delay_alu instid0(SALU_CYCLE_1)
	s_xor_b32 s1, exec_lo, s1
	s_cbranch_execz .LBB185_534
; %bb.531:                              ;   in Loop: Header=BB185_3 Depth=1
	v_readlane_b32 s18, v203, 24
	s_and_saveexec_b32 s25, s18
; %bb.532:                              ;   in Loop: Header=BB185_3 Depth=1
	v_dual_mov_b32 v0, v1 :: v_dual_mov_b32 v2, v1
	v_mov_b32_e32 v3, v1
	ds_store_b128 v129, v[0:3]
; %bb.533:                              ;   in Loop: Header=BB185_3 Depth=1
	s_or_b32 exec_lo, exec_lo, s25
.LBB185_534:                            ;   in Loop: Header=BB185_3 Depth=1
	s_and_not1_saveexec_b32 s1, s1
	s_cbranch_execz .LBB185_540
; %bb.535:                              ;   in Loop: Header=BB185_3 Depth=1
	v_lshl_add_u64 v[2:3], v[30:31], 4, v[42:43]
	s_mov_b32 s56, exec_lo
                                        ; implicit-def: $vgpr16_vgpr17
	flat_load_b128 v[12:15], v[2:3]
	s_wait_loadcnt_dscnt 0x0
	v_cmpx_ngt_f64_e64 |v[12:13]|, |v[14:15]|
	s_xor_b32 s56, exec_lo, s56
	s_cbranch_execz .LBB185_537
; %bb.536:                              ;   in Loop: Header=BB185_3 Depth=1
	v_div_scale_f64 v[2:3], null, v[14:15], v[14:15], v[12:13]
	v_div_scale_f64 v[204:205], vcc_lo, v[12:13], v[14:15], v[12:13]
	s_delay_alu instid0(VALU_DEP_2) | instskip(SKIP_1) | instid1(TRANS32_DEP_1)
	v_rcp_f64_e32 v[16:17], v[2:3]
	v_nop
	v_fma_f64 v[18:19], -v[2:3], v[16:17], 1.0
	s_delay_alu instid0(VALU_DEP_1) | instskip(NEXT) | instid1(VALU_DEP_1)
	v_fmac_f64_e32 v[16:17], v[16:17], v[18:19]
	v_fma_f64 v[18:19], -v[2:3], v[16:17], 1.0
	s_delay_alu instid0(VALU_DEP_1) | instskip(NEXT) | instid1(VALU_DEP_1)
	v_fmac_f64_e32 v[16:17], v[16:17], v[18:19]
	v_mul_f64_e32 v[18:19], v[204:205], v[16:17]
	s_delay_alu instid0(VALU_DEP_1) | instskip(NEXT) | instid1(VALU_DEP_1)
	v_fma_f64 v[2:3], -v[2:3], v[18:19], v[204:205]
	v_div_fmas_f64 v[2:3], v[2:3], v[16:17], v[18:19]
	s_delay_alu instid0(VALU_DEP_1) | instskip(NEXT) | instid1(VALU_DEP_1)
	v_div_fixup_f64 v[2:3], v[2:3], v[14:15], v[12:13]
	v_fmac_f64_e32 v[14:15], v[12:13], v[2:3]
	s_delay_alu instid0(VALU_DEP_1) | instskip(NEXT) | instid1(VALU_DEP_1)
	v_div_scale_f64 v[12:13], null, v[14:15], v[14:15], 1.0
	v_rcp_f64_e32 v[16:17], v[12:13]
	v_nop
	s_delay_alu instid0(TRANS32_DEP_1) | instskip(NEXT) | instid1(VALU_DEP_1)
	v_fma_f64 v[18:19], -v[12:13], v[16:17], 1.0
	v_fmac_f64_e32 v[16:17], v[16:17], v[18:19]
	s_delay_alu instid0(VALU_DEP_1) | instskip(NEXT) | instid1(VALU_DEP_1)
	v_fma_f64 v[18:19], -v[12:13], v[16:17], 1.0
	v_fmac_f64_e32 v[16:17], v[16:17], v[18:19]
	v_div_scale_f64 v[18:19], vcc_lo, 1.0, v[14:15], 1.0
	s_delay_alu instid0(VALU_DEP_1) | instskip(NEXT) | instid1(VALU_DEP_1)
	v_mul_f64_e32 v[204:205], v[18:19], v[16:17]
	v_fma_f64 v[12:13], -v[12:13], v[204:205], v[18:19]
	s_delay_alu instid0(VALU_DEP_1) | instskip(NEXT) | instid1(VALU_DEP_1)
	v_div_fmas_f64 v[12:13], v[12:13], v[16:17], v[204:205]
	v_div_fixup_f64 v[18:19], v[12:13], v[14:15], 1.0
                                        ; implicit-def: $vgpr12_vgpr13
	s_delay_alu instid0(VALU_DEP_1)
	v_mul_f64_e32 v[16:17], v[2:3], v[18:19]
	v_xor_b32_e32 v19, 0x80000000, v19
.LBB185_537:                            ;   in Loop: Header=BB185_3 Depth=1
	s_and_not1_saveexec_b32 s56, s56
	s_cbranch_execz .LBB185_539
; %bb.538:                              ;   in Loop: Header=BB185_3 Depth=1
	v_div_scale_f64 v[2:3], null, v[12:13], v[12:13], v[14:15]
	v_div_scale_f64 v[204:205], vcc_lo, v[14:15], v[12:13], v[14:15]
	s_delay_alu instid0(VALU_DEP_2) | instskip(SKIP_1) | instid1(TRANS32_DEP_1)
	v_rcp_f64_e32 v[16:17], v[2:3]
	v_nop
	v_fma_f64 v[18:19], -v[2:3], v[16:17], 1.0
	s_delay_alu instid0(VALU_DEP_1) | instskip(NEXT) | instid1(VALU_DEP_1)
	v_fmac_f64_e32 v[16:17], v[16:17], v[18:19]
	v_fma_f64 v[18:19], -v[2:3], v[16:17], 1.0
	s_delay_alu instid0(VALU_DEP_1) | instskip(NEXT) | instid1(VALU_DEP_1)
	v_fmac_f64_e32 v[16:17], v[16:17], v[18:19]
	v_mul_f64_e32 v[18:19], v[204:205], v[16:17]
	s_delay_alu instid0(VALU_DEP_1) | instskip(NEXT) | instid1(VALU_DEP_1)
	v_fma_f64 v[2:3], -v[2:3], v[18:19], v[204:205]
	v_div_fmas_f64 v[2:3], v[2:3], v[16:17], v[18:19]
	s_delay_alu instid0(VALU_DEP_1) | instskip(NEXT) | instid1(VALU_DEP_1)
	v_div_fixup_f64 v[2:3], v[2:3], v[12:13], v[14:15]
	v_fmac_f64_e32 v[12:13], v[14:15], v[2:3]
	s_delay_alu instid0(VALU_DEP_1) | instskip(NEXT) | instid1(VALU_DEP_1)
	v_div_scale_f64 v[14:15], null, v[12:13], v[12:13], 1.0
	v_rcp_f64_e32 v[16:17], v[14:15]
	v_nop
	s_delay_alu instid0(TRANS32_DEP_1) | instskip(NEXT) | instid1(VALU_DEP_1)
	v_fma_f64 v[18:19], -v[14:15], v[16:17], 1.0
	v_fmac_f64_e32 v[16:17], v[16:17], v[18:19]
	s_delay_alu instid0(VALU_DEP_1) | instskip(NEXT) | instid1(VALU_DEP_1)
	v_fma_f64 v[18:19], -v[14:15], v[16:17], 1.0
	v_fmac_f64_e32 v[16:17], v[16:17], v[18:19]
	v_div_scale_f64 v[18:19], vcc_lo, 1.0, v[12:13], 1.0
	s_delay_alu instid0(VALU_DEP_1) | instskip(NEXT) | instid1(VALU_DEP_1)
	v_mul_f64_e32 v[204:205], v[18:19], v[16:17]
	v_fma_f64 v[14:15], -v[14:15], v[204:205], v[18:19]
	s_delay_alu instid0(VALU_DEP_1) | instskip(NEXT) | instid1(VALU_DEP_1)
	v_div_fmas_f64 v[14:15], v[14:15], v[16:17], v[204:205]
	v_div_fixup_f64 v[16:17], v[14:15], v[12:13], 1.0
	s_delay_alu instid0(VALU_DEP_1)
	v_mul_f64_e64 v[18:19], v[2:3], -v[16:17]
.LBB185_539:                            ;   in Loop: Header=BB185_3 Depth=1
	s_or_b32 exec_lo, exec_lo, s56
	ds_store_b128 v129, v[16:19]
.LBB185_540:                            ;   in Loop: Header=BB185_3 Depth=1
	s_or_b32 exec_lo, exec_lo, s1
	s_and_not1_saveexec_b32 s0, s0
	s_cbranch_execz .LBB185_19
.LBB185_541:                            ;   in Loop: Header=BB185_3 Depth=1
	v_lshl_add_u64 v[2:3], v[30:31], 4, v[42:43]
	flat_load_b128 v[12:15], v[2:3]
	s_wait_loadcnt_dscnt 0x0
	v_xor_b32_e32 v13, 0x80000000, v13
	v_xor_b32_e32 v15, 0x80000000, v15
	ds_store_b128 v129, v[12:15]
	s_or_b32 exec_lo, exec_lo, s0
	s_and_saveexec_b32 s0, s21
	s_delay_alu instid0(SALU_CYCLE_1)
	s_xor_b32 s0, exec_lo, s0
	s_cbranch_execz .LBB185_20
.LBB185_542:                            ;   in Loop: Header=BB185_3 Depth=1
	v_readlane_b32 s18, v203, 12
	s_and_saveexec_b32 s1, s18
	s_delay_alu instid0(SALU_CYCLE_1)
	s_xor_b32 s1, exec_lo, s1
	s_cbranch_execz .LBB185_546
; %bb.543:                              ;   in Loop: Header=BB185_3 Depth=1
	v_readlane_b32 s18, v203, 25
	s_and_saveexec_b32 s25, s18
; %bb.544:                              ;   in Loop: Header=BB185_3 Depth=1
	v_dual_mov_b32 v0, v1 :: v_dual_mov_b32 v2, v1
	v_mov_b32_e32 v3, v1
	ds_store_b128 v138, v[0:3]
; %bb.545:                              ;   in Loop: Header=BB185_3 Depth=1
	s_or_b32 exec_lo, exec_lo, s25
                                        ; implicit-def: $vgpr42_vgpr43
.LBB185_546:                            ;   in Loop: Header=BB185_3 Depth=1
	s_and_not1_saveexec_b32 s1, s1
	s_cbranch_execz .LBB185_552
; %bb.547:                              ;   in Loop: Header=BB185_3 Depth=1
	v_lshl_add_u64 v[2:3], v[32:33], 4, v[42:43]
	s_mov_b32 s56, exec_lo
                                        ; implicit-def: $vgpr16_vgpr17
	flat_load_b128 v[12:15], v[2:3]
	s_wait_loadcnt_dscnt 0x0
	v_cmpx_ngt_f64_e64 |v[12:13]|, |v[14:15]|
	s_xor_b32 s56, exec_lo, s56
	s_cbranch_execz .LBB185_549
; %bb.548:                              ;   in Loop: Header=BB185_3 Depth=1
	v_div_scale_f64 v[2:3], null, v[14:15], v[14:15], v[12:13]
	v_div_scale_f64 v[42:43], vcc_lo, v[12:13], v[14:15], v[12:13]
	s_delay_alu instid0(VALU_DEP_2) | instskip(SKIP_1) | instid1(TRANS32_DEP_1)
	v_rcp_f64_e32 v[16:17], v[2:3]
	v_nop
	v_fma_f64 v[18:19], -v[2:3], v[16:17], 1.0
	s_delay_alu instid0(VALU_DEP_1) | instskip(NEXT) | instid1(VALU_DEP_1)
	v_fmac_f64_e32 v[16:17], v[16:17], v[18:19]
	v_fma_f64 v[18:19], -v[2:3], v[16:17], 1.0
	s_delay_alu instid0(VALU_DEP_1) | instskip(NEXT) | instid1(VALU_DEP_1)
	v_fmac_f64_e32 v[16:17], v[16:17], v[18:19]
	v_mul_f64_e32 v[18:19], v[42:43], v[16:17]
	s_delay_alu instid0(VALU_DEP_1) | instskip(NEXT) | instid1(VALU_DEP_1)
	v_fma_f64 v[2:3], -v[2:3], v[18:19], v[42:43]
	v_div_fmas_f64 v[2:3], v[2:3], v[16:17], v[18:19]
	s_delay_alu instid0(VALU_DEP_1) | instskip(NEXT) | instid1(VALU_DEP_1)
	v_div_fixup_f64 v[2:3], v[2:3], v[14:15], v[12:13]
	v_fmac_f64_e32 v[14:15], v[12:13], v[2:3]
	s_delay_alu instid0(VALU_DEP_1) | instskip(NEXT) | instid1(VALU_DEP_1)
	v_div_scale_f64 v[12:13], null, v[14:15], v[14:15], 1.0
	v_rcp_f64_e32 v[16:17], v[12:13]
	v_nop
	s_delay_alu instid0(TRANS32_DEP_1) | instskip(NEXT) | instid1(VALU_DEP_1)
	v_fma_f64 v[18:19], -v[12:13], v[16:17], 1.0
	v_fmac_f64_e32 v[16:17], v[16:17], v[18:19]
	s_delay_alu instid0(VALU_DEP_1) | instskip(NEXT) | instid1(VALU_DEP_1)
	v_fma_f64 v[18:19], -v[12:13], v[16:17], 1.0
	v_fmac_f64_e32 v[16:17], v[16:17], v[18:19]
	v_div_scale_f64 v[18:19], vcc_lo, 1.0, v[14:15], 1.0
	s_delay_alu instid0(VALU_DEP_1) | instskip(NEXT) | instid1(VALU_DEP_1)
	v_mul_f64_e32 v[42:43], v[18:19], v[16:17]
	v_fma_f64 v[12:13], -v[12:13], v[42:43], v[18:19]
	s_delay_alu instid0(VALU_DEP_1) | instskip(NEXT) | instid1(VALU_DEP_1)
	v_div_fmas_f64 v[12:13], v[12:13], v[16:17], v[42:43]
	v_div_fixup_f64 v[18:19], v[12:13], v[14:15], 1.0
                                        ; implicit-def: $vgpr12_vgpr13
	s_delay_alu instid0(VALU_DEP_1)
	v_mul_f64_e32 v[16:17], v[2:3], v[18:19]
	v_xor_b32_e32 v19, 0x80000000, v19
.LBB185_549:                            ;   in Loop: Header=BB185_3 Depth=1
	s_and_not1_saveexec_b32 s56, s56
	s_cbranch_execz .LBB185_551
; %bb.550:                              ;   in Loop: Header=BB185_3 Depth=1
	v_div_scale_f64 v[2:3], null, v[12:13], v[12:13], v[14:15]
	v_div_scale_f64 v[42:43], vcc_lo, v[14:15], v[12:13], v[14:15]
	s_delay_alu instid0(VALU_DEP_2) | instskip(SKIP_1) | instid1(TRANS32_DEP_1)
	v_rcp_f64_e32 v[16:17], v[2:3]
	v_nop
	v_fma_f64 v[18:19], -v[2:3], v[16:17], 1.0
	s_delay_alu instid0(VALU_DEP_1) | instskip(NEXT) | instid1(VALU_DEP_1)
	v_fmac_f64_e32 v[16:17], v[16:17], v[18:19]
	v_fma_f64 v[18:19], -v[2:3], v[16:17], 1.0
	s_delay_alu instid0(VALU_DEP_1) | instskip(NEXT) | instid1(VALU_DEP_1)
	v_fmac_f64_e32 v[16:17], v[16:17], v[18:19]
	v_mul_f64_e32 v[18:19], v[42:43], v[16:17]
	s_delay_alu instid0(VALU_DEP_1) | instskip(NEXT) | instid1(VALU_DEP_1)
	v_fma_f64 v[2:3], -v[2:3], v[18:19], v[42:43]
	v_div_fmas_f64 v[2:3], v[2:3], v[16:17], v[18:19]
	s_delay_alu instid0(VALU_DEP_1) | instskip(NEXT) | instid1(VALU_DEP_1)
	v_div_fixup_f64 v[2:3], v[2:3], v[12:13], v[14:15]
	v_fmac_f64_e32 v[12:13], v[14:15], v[2:3]
	s_delay_alu instid0(VALU_DEP_1) | instskip(NEXT) | instid1(VALU_DEP_1)
	v_div_scale_f64 v[14:15], null, v[12:13], v[12:13], 1.0
	v_rcp_f64_e32 v[16:17], v[14:15]
	v_nop
	s_delay_alu instid0(TRANS32_DEP_1) | instskip(NEXT) | instid1(VALU_DEP_1)
	v_fma_f64 v[18:19], -v[14:15], v[16:17], 1.0
	v_fmac_f64_e32 v[16:17], v[16:17], v[18:19]
	s_delay_alu instid0(VALU_DEP_1) | instskip(NEXT) | instid1(VALU_DEP_1)
	v_fma_f64 v[18:19], -v[14:15], v[16:17], 1.0
	v_fmac_f64_e32 v[16:17], v[16:17], v[18:19]
	v_div_scale_f64 v[18:19], vcc_lo, 1.0, v[12:13], 1.0
	s_delay_alu instid0(VALU_DEP_1) | instskip(NEXT) | instid1(VALU_DEP_1)
	v_mul_f64_e32 v[42:43], v[18:19], v[16:17]
	v_fma_f64 v[14:15], -v[14:15], v[42:43], v[18:19]
	s_delay_alu instid0(VALU_DEP_1) | instskip(NEXT) | instid1(VALU_DEP_1)
	v_div_fmas_f64 v[14:15], v[14:15], v[16:17], v[42:43]
	v_div_fixup_f64 v[16:17], v[14:15], v[12:13], 1.0
	s_delay_alu instid0(VALU_DEP_1)
	v_mul_f64_e64 v[18:19], v[2:3], -v[16:17]
.LBB185_551:                            ;   in Loop: Header=BB185_3 Depth=1
	s_or_b32 exec_lo, exec_lo, s56
	ds_store_b128 v138, v[16:19]
.LBB185_552:                            ;   in Loop: Header=BB185_3 Depth=1
	s_or_b32 exec_lo, exec_lo, s1
                                        ; implicit-def: $vgpr42_vgpr43
	s_and_not1_saveexec_b32 s0, s0
	s_cbranch_execnz .LBB185_21
	s_branch .LBB185_22
.LBB185_553:                            ;   in Loop: Header=BB185_3 Depth=1
	s_or_b32 exec_lo, exec_lo, s56
	s_delay_alu instid0(SALU_CYCLE_1)
	s_and_b32 vcc_lo, exec_lo, s1
	s_cbranch_vccnz .LBB185_492
.LBB185_554:                            ;   in Loop: Header=BB185_3 Depth=1
	s_delay_alu instid0(VALU_DEP_1) | instskip(NEXT) | instid1(VALU_DEP_3)
	v_mov_b64_e32 v[14:15], v[2:3]
	v_mov_b64_e32 v[12:13], v[38:39]
	;; [unrolled: 1-line block ×3, first 2 shown]
	s_and_saveexec_b32 s1, s0
	s_cbranch_execz .LBB185_556
.LBB185_555:                            ;   in Loop: Header=BB185_3 Depth=1
	s_delay_alu instid0(VALU_DEP_1)
	v_lshl_add_u64 v[2:3], v[2:3], 4, v[40:41]
	flat_store_b128 v[2:3], v[12:15]
.LBB185_556:                            ;   in Loop: Header=BB185_3 Depth=1
	s_wait_xcnt 0x0
	s_or_b32 exec_lo, exec_lo, s1
	global_wb scope:SCOPE_DEV
	s_wait_storecnt_dscnt 0x0
	global_inv scope:SCOPE_DEV
	s_wait_loadcnt 0x0
	s_barrier_signal -1
	s_barrier_wait -1
	s_and_saveexec_b32 s0, s35
	s_cbranch_execz .LBB185_2
; %bb.557:                              ;   in Loop: Header=BB185_3 Depth=1
	s_lshl_b64 s[56:57], s[38:39], 2
	s_delay_alu instid0(SALU_CYCLE_1)
	s_add_nc_u64 s[56:57], s[54:55], s[56:57]
	global_load_b32 v0, v1, s[56:57]
	s_wait_loadcnt 0x0
	v_add_nc_u32_e32 v0, 1, v0
	global_store_b32 v1, v0, s[56:57]
	s_branch .LBB185_2
.LBB185_558:                            ;   in Loop: Header=BB185_3 Depth=1
	ds_load_b128 v[16:19], v55 offset:16336
	ds_load_b128 v[204:207], v54 offset:15232
	s_wait_dscnt 0x0
	v_mul_f64_e32 v[2:3], v[18:19], v[206:207]
	s_delay_alu instid0(VALU_DEP_1) | instskip(SKIP_1) | instid1(VALU_DEP_2)
	v_fma_f64 v[2:3], v[16:17], v[204:205], -v[2:3]
	v_mul_f64_e32 v[16:17], v[16:17], v[206:207]
	v_add_f64_e32 v[12:13], v[12:13], v[2:3]
	s_delay_alu instid0(VALU_DEP_2) | instskip(NEXT) | instid1(VALU_DEP_1)
	v_fmac_f64_e32 v[16:17], v[18:19], v[204:205]
	v_add_f64_e32 v[14:15], v[14:15], v[16:17]
	s_or_b32 exec_lo, exec_lo, s1
	s_and_saveexec_b32 s1, s8
	s_cbranch_execz .LBB185_45
.LBB185_559:                            ;   in Loop: Header=BB185_3 Depth=1
	ds_load_b128 v[16:19], v55 offset:16352
	ds_load_b128 v[204:207], v54 offset:15744
	s_wait_dscnt 0x0
	v_mul_f64_e32 v[2:3], v[18:19], v[206:207]
	s_delay_alu instid0(VALU_DEP_1) | instskip(SKIP_1) | instid1(VALU_DEP_2)
	v_fma_f64 v[2:3], v[16:17], v[204:205], -v[2:3]
	v_mul_f64_e32 v[16:17], v[16:17], v[206:207]
	v_add_f64_e32 v[12:13], v[12:13], v[2:3]
	s_delay_alu instid0(VALU_DEP_2) | instskip(NEXT) | instid1(VALU_DEP_1)
	v_fmac_f64_e32 v[16:17], v[18:19], v[204:205]
	v_add_f64_e32 v[14:15], v[14:15], v[16:17]
	s_or_b32 exec_lo, exec_lo, s1
	s_and_saveexec_b32 s1, s3
	s_cbranch_execnz .LBB185_46
	s_branch .LBB185_47
.LBB185_560:                            ;   in Loop: Header=BB185_3 Depth=1
	ds_load_b128 v[16:19], v59 offset:16336
	ds_load_b128 v[204:207], v58 offset:15104
	s_wait_dscnt 0x0
	v_mul_f64_e32 v[2:3], v[18:19], v[206:207]
	s_delay_alu instid0(VALU_DEP_1) | instskip(SKIP_1) | instid1(VALU_DEP_2)
	v_fma_f64 v[2:3], v[16:17], v[204:205], -v[2:3]
	v_mul_f64_e32 v[16:17], v[16:17], v[206:207]
	v_add_f64_e32 v[12:13], v[12:13], v[2:3]
	s_delay_alu instid0(VALU_DEP_2) | instskip(NEXT) | instid1(VALU_DEP_1)
	v_fmac_f64_e32 v[16:17], v[18:19], v[204:205]
	v_add_f64_e32 v[14:15], v[14:15], v[16:17]
	s_or_b32 exec_lo, exec_lo, s1
	s_and_saveexec_b32 s1, s6
	s_cbranch_execz .LBB185_95
.LBB185_561:                            ;   in Loop: Header=BB185_3 Depth=1
	ds_load_b128 v[16:19], v59 offset:16352
	ds_load_b128 v[204:207], v58 offset:15616
	s_wait_dscnt 0x0
	v_mul_f64_e32 v[2:3], v[18:19], v[206:207]
	s_delay_alu instid0(VALU_DEP_1) | instskip(SKIP_1) | instid1(VALU_DEP_2)
	v_fma_f64 v[2:3], v[16:17], v[204:205], -v[2:3]
	v_mul_f64_e32 v[16:17], v[16:17], v[206:207]
	v_add_f64_e32 v[12:13], v[12:13], v[2:3]
	s_delay_alu instid0(VALU_DEP_2) | instskip(NEXT) | instid1(VALU_DEP_1)
	v_fmac_f64_e32 v[16:17], v[18:19], v[204:205]
	v_add_f64_e32 v[14:15], v[14:15], v[16:17]
	s_or_b32 exec_lo, exec_lo, s1
	s_and_saveexec_b32 s1, s8
	s_cbranch_execnz .LBB185_96
	s_branch .LBB185_97
.LBB185_562:                            ;   in Loop: Header=BB185_3 Depth=1
	ds_load_b128 v[16:19], v55 offset:12112
	ds_load_b128 v[204:207], v54 offset:11008
	s_wait_dscnt 0x0
	v_mul_f64_e32 v[2:3], v[18:19], v[206:207]
	s_delay_alu instid0(VALU_DEP_1) | instskip(SKIP_1) | instid1(VALU_DEP_2)
	v_fma_f64 v[2:3], v[16:17], v[204:205], -v[2:3]
	v_mul_f64_e32 v[16:17], v[16:17], v[206:207]
	v_add_f64_e32 v[12:13], v[12:13], v[2:3]
	s_delay_alu instid0(VALU_DEP_2) | instskip(NEXT) | instid1(VALU_DEP_1)
	v_fmac_f64_e32 v[16:17], v[18:19], v[204:205]
	v_add_f64_e32 v[14:15], v[14:15], v[16:17]
	s_or_b32 exec_lo, exec_lo, s1
	s_and_saveexec_b32 s1, s8
	s_cbranch_execz .LBB185_153
.LBB185_563:                            ;   in Loop: Header=BB185_3 Depth=1
	ds_load_b128 v[16:19], v55 offset:12128
	ds_load_b128 v[204:207], v54 offset:11520
	s_wait_dscnt 0x0
	v_mul_f64_e32 v[2:3], v[18:19], v[206:207]
	s_delay_alu instid0(VALU_DEP_1) | instskip(SKIP_1) | instid1(VALU_DEP_2)
	v_fma_f64 v[2:3], v[16:17], v[204:205], -v[2:3]
	v_mul_f64_e32 v[16:17], v[16:17], v[206:207]
	v_add_f64_e32 v[12:13], v[12:13], v[2:3]
	s_delay_alu instid0(VALU_DEP_2) | instskip(NEXT) | instid1(VALU_DEP_1)
	v_fmac_f64_e32 v[16:17], v[18:19], v[204:205]
	v_add_f64_e32 v[14:15], v[14:15], v[16:17]
	s_or_b32 exec_lo, exec_lo, s1
	s_and_saveexec_b32 s1, s3
	s_cbranch_execnz .LBB185_154
	s_branch .LBB185_155
.LBB185_564:                            ;   in Loop: Header=BB185_3 Depth=1
	ds_load_b128 v[16:19], v71 offset:16304
	ds_load_b128 v[204:207], v70 offset:13824
	s_wait_dscnt 0x0
	v_mul_f64_e32 v[2:3], v[18:19], v[206:207]
	s_delay_alu instid0(VALU_DEP_1) | instskip(SKIP_1) | instid1(VALU_DEP_2)
	v_fma_f64 v[2:3], v[16:17], v[204:205], -v[2:3]
	v_mul_f64_e32 v[16:17], v[16:17], v[206:207]
	v_add_f64_e32 v[12:13], v[12:13], v[2:3]
	s_delay_alu instid0(VALU_DEP_2) | instskip(NEXT) | instid1(VALU_DEP_1)
	v_fmac_f64_e32 v[16:17], v[18:19], v[204:205]
	v_add_f64_e32 v[14:15], v[14:15], v[16:17]
	s_or_b32 exec_lo, exec_lo, s1
	s_and_saveexec_b32 s1, s9
	s_cbranch_execz .LBB185_215
.LBB185_565:                            ;   in Loop: Header=BB185_3 Depth=1
	ds_load_b128 v[16:19], v71 offset:16320
	ds_load_b128 v[204:207], v70 offset:14336
	s_wait_dscnt 0x0
	v_mul_f64_e32 v[2:3], v[18:19], v[206:207]
	s_delay_alu instid0(VALU_DEP_1) | instskip(SKIP_1) | instid1(VALU_DEP_2)
	v_fma_f64 v[2:3], v[16:17], v[204:205], -v[2:3]
	v_mul_f64_e32 v[16:17], v[16:17], v[206:207]
	v_add_f64_e32 v[12:13], v[12:13], v[2:3]
	s_delay_alu instid0(VALU_DEP_2) | instskip(NEXT) | instid1(VALU_DEP_1)
	v_fmac_f64_e32 v[16:17], v[18:19], v[204:205]
	v_add_f64_e32 v[14:15], v[14:15], v[16:17]
	s_or_b32 exec_lo, exec_lo, s1
	s_and_saveexec_b32 s1, s11
	s_cbranch_execz .LBB185_216
.LBB185_566:                            ;   in Loop: Header=BB185_3 Depth=1
	ds_load_b128 v[16:19], v71 offset:16336
	ds_load_b128 v[204:207], v70 offset:14848
	s_wait_dscnt 0x0
	v_mul_f64_e32 v[2:3], v[18:19], v[206:207]
	s_delay_alu instid0(VALU_DEP_1) | instskip(SKIP_1) | instid1(VALU_DEP_2)
	v_fma_f64 v[2:3], v[16:17], v[204:205], -v[2:3]
	v_mul_f64_e32 v[16:17], v[16:17], v[206:207]
	v_add_f64_e32 v[12:13], v[12:13], v[2:3]
	s_delay_alu instid0(VALU_DEP_2) | instskip(NEXT) | instid1(VALU_DEP_1)
	v_fmac_f64_e32 v[16:17], v[18:19], v[204:205]
	v_add_f64_e32 v[14:15], v[14:15], v[16:17]
	s_or_b32 exec_lo, exec_lo, s1
	s_and_saveexec_b32 s1, s13
	s_cbranch_execz .LBB185_217
.LBB185_567:                            ;   in Loop: Header=BB185_3 Depth=1
	ds_load_b128 v[16:19], v71 offset:16352
	ds_load_b128 v[204:207], v70 offset:15360
	s_wait_dscnt 0x0
	v_mul_f64_e32 v[2:3], v[18:19], v[206:207]
	s_delay_alu instid0(VALU_DEP_1) | instskip(SKIP_1) | instid1(VALU_DEP_2)
	v_fma_f64 v[2:3], v[16:17], v[204:205], -v[2:3]
	v_mul_f64_e32 v[16:17], v[16:17], v[206:207]
	v_add_f64_e32 v[12:13], v[12:13], v[2:3]
	s_delay_alu instid0(VALU_DEP_2) | instskip(NEXT) | instid1(VALU_DEP_1)
	v_fmac_f64_e32 v[16:17], v[18:19], v[204:205]
	v_add_f64_e32 v[14:15], v[14:15], v[16:17]
	s_or_b32 exec_lo, exec_lo, s1
	s_and_saveexec_b32 s1, s6
	s_cbranch_execnz .LBB185_218
	s_branch .LBB185_219
.LBB185_568:                            ;   in Loop: Header=BB185_3 Depth=1
	ds_load_b128 v[16:19], v55 offset:7888
	ds_load_b128 v[204:207], v54 offset:6784
	s_wait_dscnt 0x0
	v_mul_f64_e32 v[2:3], v[18:19], v[206:207]
	s_delay_alu instid0(VALU_DEP_1) | instskip(SKIP_1) | instid1(VALU_DEP_2)
	v_fma_f64 v[2:3], v[16:17], v[204:205], -v[2:3]
	v_mul_f64_e32 v[16:17], v[16:17], v[206:207]
	v_add_f64_e32 v[12:13], v[12:13], v[2:3]
	s_delay_alu instid0(VALU_DEP_2) | instskip(NEXT) | instid1(VALU_DEP_1)
	v_fmac_f64_e32 v[16:17], v[18:19], v[204:205]
	v_add_f64_e32 v[14:15], v[14:15], v[16:17]
	s_or_b32 exec_lo, exec_lo, s1
	s_and_saveexec_b32 s1, s8
	s_cbranch_execz .LBB185_307
.LBB185_569:                            ;   in Loop: Header=BB185_3 Depth=1
	ds_load_b128 v[16:19], v55 offset:7904
	ds_load_b128 v[204:207], v54 offset:7296
	s_wait_dscnt 0x0
	v_mul_f64_e32 v[2:3], v[18:19], v[206:207]
	s_delay_alu instid0(VALU_DEP_1) | instskip(SKIP_1) | instid1(VALU_DEP_2)
	v_fma_f64 v[2:3], v[16:17], v[204:205], -v[2:3]
	v_mul_f64_e32 v[16:17], v[16:17], v[206:207]
	v_add_f64_e32 v[12:13], v[12:13], v[2:3]
	s_delay_alu instid0(VALU_DEP_2) | instskip(NEXT) | instid1(VALU_DEP_1)
	v_fmac_f64_e32 v[16:17], v[18:19], v[204:205]
	v_add_f64_e32 v[14:15], v[14:15], v[16:17]
	s_or_b32 exec_lo, exec_lo, s1
	s_and_saveexec_b32 s1, s3
	s_cbranch_execnz .LBB185_308
	s_branch .LBB185_309
.LBB185_570:                            ;   in Loop: Header=BB185_3 Depth=1
	ds_load_b128 v[16:19], v59 offset:7888
	ds_load_b128 v[204:207], v58 offset:6656
	s_wait_dscnt 0x0
	v_mul_f64_e32 v[2:3], v[18:19], v[206:207]
	s_delay_alu instid0(VALU_DEP_1) | instskip(SKIP_1) | instid1(VALU_DEP_2)
	v_fma_f64 v[2:3], v[16:17], v[204:205], -v[2:3]
	v_mul_f64_e32 v[16:17], v[16:17], v[206:207]
	v_add_f64_e32 v[12:13], v[12:13], v[2:3]
	s_delay_alu instid0(VALU_DEP_2) | instskip(NEXT) | instid1(VALU_DEP_1)
	v_fmac_f64_e32 v[16:17], v[18:19], v[204:205]
	v_add_f64_e32 v[14:15], v[14:15], v[16:17]
	s_or_b32 exec_lo, exec_lo, s1
	s_and_saveexec_b32 s1, s6
	s_cbranch_execz .LBB185_357
.LBB185_571:                            ;   in Loop: Header=BB185_3 Depth=1
	ds_load_b128 v[16:19], v59 offset:7904
	ds_load_b128 v[204:207], v58 offset:7168
	s_wait_dscnt 0x0
	v_mul_f64_e32 v[2:3], v[18:19], v[206:207]
	s_delay_alu instid0(VALU_DEP_1) | instskip(SKIP_1) | instid1(VALU_DEP_2)
	v_fma_f64 v[2:3], v[16:17], v[204:205], -v[2:3]
	v_mul_f64_e32 v[16:17], v[16:17], v[206:207]
	v_add_f64_e32 v[12:13], v[12:13], v[2:3]
	s_delay_alu instid0(VALU_DEP_2) | instskip(NEXT) | instid1(VALU_DEP_1)
	v_fmac_f64_e32 v[16:17], v[18:19], v[204:205]
	v_add_f64_e32 v[14:15], v[14:15], v[16:17]
	s_or_b32 exec_lo, exec_lo, s1
	s_and_saveexec_b32 s1, s8
	s_cbranch_execnz .LBB185_358
	s_branch .LBB185_359
.LBB185_572:                            ;   in Loop: Header=BB185_3 Depth=1
	ds_load_b128 v[16:19], v55 offset:3664
	ds_load_b128 v[204:207], v54 offset:2560
	s_wait_dscnt 0x0
	v_mul_f64_e32 v[2:3], v[18:19], v[206:207]
	s_delay_alu instid0(VALU_DEP_1) | instskip(SKIP_1) | instid1(VALU_DEP_2)
	v_fma_f64 v[2:3], v[16:17], v[204:205], -v[2:3]
	v_mul_f64_e32 v[16:17], v[16:17], v[206:207]
	v_add_f64_e32 v[12:13], v[12:13], v[2:3]
	s_delay_alu instid0(VALU_DEP_2) | instskip(NEXT) | instid1(VALU_DEP_1)
	v_fmac_f64_e32 v[16:17], v[18:19], v[204:205]
	v_add_f64_e32 v[14:15], v[14:15], v[16:17]
	s_or_b32 exec_lo, exec_lo, s1
	s_and_saveexec_b32 s1, s8
	s_cbranch_execz .LBB185_415
.LBB185_573:                            ;   in Loop: Header=BB185_3 Depth=1
	ds_load_b128 v[16:19], v55 offset:3680
	ds_load_b128 v[204:207], v54 offset:3072
	s_wait_dscnt 0x0
	v_mul_f64_e32 v[2:3], v[18:19], v[206:207]
	s_delay_alu instid0(VALU_DEP_1) | instskip(SKIP_1) | instid1(VALU_DEP_2)
	v_fma_f64 v[2:3], v[16:17], v[204:205], -v[2:3]
	v_mul_f64_e32 v[16:17], v[16:17], v[206:207]
	v_add_f64_e32 v[12:13], v[12:13], v[2:3]
	s_delay_alu instid0(VALU_DEP_2) | instskip(NEXT) | instid1(VALU_DEP_1)
	v_fmac_f64_e32 v[16:17], v[18:19], v[204:205]
	v_add_f64_e32 v[14:15], v[14:15], v[16:17]
	s_or_b32 exec_lo, exec_lo, s1
	s_and_saveexec_b32 s1, s3
	s_cbranch_execnz .LBB185_416
	s_branch .LBB185_417
.LBB185_574:
	s_endpgm
	.section	.rodata,"a",@progbits
	.p2align	6, 0x0
	.amdhsa_kernel _ZL19rocblas_trsv_deviceILi32ELi16ELb0ELb1ELb0ELb0E19rocblas_complex_numIdES1_PKPKS1_PKPS1_EviT7_lllT6_T8_lllPii
		.amdhsa_group_segment_fixed_size 25104
		.amdhsa_private_segment_fixed_size 0
		.amdhsa_kernarg_size 360
		.amdhsa_user_sgpr_count 2
		.amdhsa_user_sgpr_dispatch_ptr 0
		.amdhsa_user_sgpr_queue_ptr 0
		.amdhsa_user_sgpr_kernarg_segment_ptr 1
		.amdhsa_user_sgpr_dispatch_id 0
		.amdhsa_user_sgpr_kernarg_preload_length 0
		.amdhsa_user_sgpr_kernarg_preload_offset 0
		.amdhsa_user_sgpr_private_segment_size 0
		.amdhsa_wavefront_size32 1
		.amdhsa_uses_dynamic_stack 0
		.amdhsa_enable_private_segment 0
		.amdhsa_system_sgpr_workgroup_id_x 1
		.amdhsa_system_sgpr_workgroup_id_y 0
		.amdhsa_system_sgpr_workgroup_id_z 1
		.amdhsa_system_sgpr_workgroup_info 0
		.amdhsa_system_vgpr_workitem_id 1
		.amdhsa_next_free_vgpr 212
		.amdhsa_next_free_sgpr 105
		.amdhsa_named_barrier_count 0
		.amdhsa_reserve_vcc 1
		.amdhsa_float_round_mode_32 0
		.amdhsa_float_round_mode_16_64 0
		.amdhsa_float_denorm_mode_32 3
		.amdhsa_float_denorm_mode_16_64 3
		.amdhsa_fp16_overflow 0
		.amdhsa_memory_ordered 1
		.amdhsa_forward_progress 1
		.amdhsa_inst_pref_size 228
		.amdhsa_round_robin_scheduling 0
		.amdhsa_exception_fp_ieee_invalid_op 0
		.amdhsa_exception_fp_denorm_src 0
		.amdhsa_exception_fp_ieee_div_zero 0
		.amdhsa_exception_fp_ieee_overflow 0
		.amdhsa_exception_fp_ieee_underflow 0
		.amdhsa_exception_fp_ieee_inexact 0
		.amdhsa_exception_int_div_zero 0
	.end_amdhsa_kernel
	.section	.text._ZL19rocblas_trsv_deviceILi32ELi16ELb0ELb1ELb0ELb0E19rocblas_complex_numIdES1_PKPKS1_PKPS1_EviT7_lllT6_T8_lllPii,"axG",@progbits,_ZL19rocblas_trsv_deviceILi32ELi16ELb0ELb1ELb0ELb0E19rocblas_complex_numIdES1_PKPKS1_PKPS1_EviT7_lllT6_T8_lllPii,comdat
.Lfunc_end185:
	.size	_ZL19rocblas_trsv_deviceILi32ELi16ELb0ELb1ELb0ELb0E19rocblas_complex_numIdES1_PKPKS1_PKPS1_EviT7_lllT6_T8_lllPii, .Lfunc_end185-_ZL19rocblas_trsv_deviceILi32ELi16ELb0ELb1ELb0ELb0E19rocblas_complex_numIdES1_PKPKS1_PKPS1_EviT7_lllT6_T8_lllPii
                                        ; -- End function
	.set _ZL19rocblas_trsv_deviceILi32ELi16ELb0ELb1ELb0ELb0E19rocblas_complex_numIdES1_PKPKS1_PKPS1_EviT7_lllT6_T8_lllPii.num_vgpr, 212
	.set _ZL19rocblas_trsv_deviceILi32ELi16ELb0ELb1ELb0ELb0E19rocblas_complex_numIdES1_PKPKS1_PKPS1_EviT7_lllT6_T8_lllPii.num_agpr, 0
	.set _ZL19rocblas_trsv_deviceILi32ELi16ELb0ELb1ELb0ELb0E19rocblas_complex_numIdES1_PKPKS1_PKPS1_EviT7_lllT6_T8_lllPii.numbered_sgpr, 105
	.set _ZL19rocblas_trsv_deviceILi32ELi16ELb0ELb1ELb0ELb0E19rocblas_complex_numIdES1_PKPKS1_PKPS1_EviT7_lllT6_T8_lllPii.num_named_barrier, 0
	.set _ZL19rocblas_trsv_deviceILi32ELi16ELb0ELb1ELb0ELb0E19rocblas_complex_numIdES1_PKPKS1_PKPS1_EviT7_lllT6_T8_lllPii.private_seg_size, 0
	.set _ZL19rocblas_trsv_deviceILi32ELi16ELb0ELb1ELb0ELb0E19rocblas_complex_numIdES1_PKPKS1_PKPS1_EviT7_lllT6_T8_lllPii.uses_vcc, 1
	.set _ZL19rocblas_trsv_deviceILi32ELi16ELb0ELb1ELb0ELb0E19rocblas_complex_numIdES1_PKPKS1_PKPS1_EviT7_lllT6_T8_lllPii.uses_flat_scratch, 0
	.set _ZL19rocblas_trsv_deviceILi32ELi16ELb0ELb1ELb0ELb0E19rocblas_complex_numIdES1_PKPKS1_PKPS1_EviT7_lllT6_T8_lllPii.has_dyn_sized_stack, 0
	.set _ZL19rocblas_trsv_deviceILi32ELi16ELb0ELb1ELb0ELb0E19rocblas_complex_numIdES1_PKPKS1_PKPS1_EviT7_lllT6_T8_lllPii.has_recursion, 0
	.set _ZL19rocblas_trsv_deviceILi32ELi16ELb0ELb1ELb0ELb0E19rocblas_complex_numIdES1_PKPKS1_PKPS1_EviT7_lllT6_T8_lllPii.has_indirect_call, 0
	.section	.AMDGPU.csdata,"",@progbits
; Kernel info:
; codeLenInByte = 29092
; TotalNumSgprs: 107
; NumVgprs: 212
; ScratchSize: 0
; MemoryBound: 1
; FloatMode: 240
; IeeeMode: 1
; LDSByteSize: 25104 bytes/workgroup (compile time only)
; SGPRBlocks: 0
; VGPRBlocks: 13
; NumSGPRsForWavesPerEU: 107
; NumVGPRsForWavesPerEU: 212
; NamedBarCnt: 0
; Occupancy: 4
; WaveLimiterHint : 1
; COMPUTE_PGM_RSRC2:SCRATCH_EN: 0
; COMPUTE_PGM_RSRC2:USER_SGPR: 2
; COMPUTE_PGM_RSRC2:TRAP_HANDLER: 0
; COMPUTE_PGM_RSRC2:TGID_X_EN: 1
; COMPUTE_PGM_RSRC2:TGID_Y_EN: 0
; COMPUTE_PGM_RSRC2:TGID_Z_EN: 1
; COMPUTE_PGM_RSRC2:TIDIG_COMP_CNT: 1
	.section	.text._ZL19rocblas_trsv_deviceILi32ELi16ELb0ELb1ELb1ELb0E19rocblas_complex_numIdES1_PKPKS1_PKPS1_EviT7_lllT6_T8_lllPii,"axG",@progbits,_ZL19rocblas_trsv_deviceILi32ELi16ELb0ELb1ELb1ELb0E19rocblas_complex_numIdES1_PKPKS1_PKPS1_EviT7_lllT6_T8_lllPii,comdat
	.globl	_ZL19rocblas_trsv_deviceILi32ELi16ELb0ELb1ELb1ELb0E19rocblas_complex_numIdES1_PKPKS1_PKPS1_EviT7_lllT6_T8_lllPii ; -- Begin function _ZL19rocblas_trsv_deviceILi32ELi16ELb0ELb1ELb1ELb0E19rocblas_complex_numIdES1_PKPKS1_PKPS1_EviT7_lllT6_T8_lllPii
	.p2align	8
	.type	_ZL19rocblas_trsv_deviceILi32ELi16ELb0ELb1ELb1ELb0E19rocblas_complex_numIdES1_PKPKS1_PKPS1_EviT7_lllT6_T8_lllPii,@function
_ZL19rocblas_trsv_deviceILi32ELi16ELb0ELb1ELb1ELb0E19rocblas_complex_numIdES1_PKPKS1_PKPS1_EviT7_lllT6_T8_lllPii: ; @_ZL19rocblas_trsv_deviceILi32ELi16ELb0ELb1ELb1ELb0E19rocblas_complex_numIdES1_PKPKS1_PKPS1_EviT7_lllT6_T8_lllPii
; %bb.0:
	s_load_b32 s37, s[0:1], 0x60
	s_bfe_u32 s2, ttmp6, 0x40014
	s_lshr_b32 s3, ttmp7, 16
	s_add_co_i32 s2, s2, 1
	s_bfe_u32 s5, ttmp6, 0x40008
	s_mul_i32 s4, s3, s2
	s_getreg_b32 s2, hwreg(HW_REG_IB_STS2, 6, 4)
	s_add_co_i32 s5, s5, s4
	s_cmp_eq_u32 s2, 0
	s_mov_b32 s39, 0
	s_cselect_b32 s38, s3, s5
	s_wait_kmcnt 0x0
	s_cmp_ge_u32 s38, s37
	s_cbranch_scc1 .LBB186_574
; %bb.1:
	s_clause 0x2
	s_load_b32 s3, s[0:1], 0x74
	s_load_b32 s58, s[0:1], 0x0
	s_load_b64 s[22:23], s[0:1], 0x18
	s_bfe_u32 s5, ttmp6, 0x4000c
	s_and_b32 s4, ttmp6, 15
	s_add_co_i32 s5, s5, 1
	v_and_b32_e32 v20, 0x3ff, v0
	s_mul_i32 s5, ttmp9, s5
	v_mov_b32_e32 v1, 0
	s_add_co_i32 s4, s4, s5
	s_cmp_eq_u32 s2, 0
	v_bfe_u32 v44, v0, 10, 10
	s_cselect_b32 s59, ttmp9, s4
	v_dual_mov_b32 v23, v1 :: v_dual_lshlrev_b32 v6, 5, v20
	v_mov_b32_e32 v21, v1
	s_delay_alu instid0(VALU_DEP_3)
	v_lshl_add_u32 v10, v44, 5, v20
	v_and_b32_e32 v13, 1, v0
	v_sub_co_u32 v45, s7, s59, 1
	s_wait_kmcnt 0x0
	s_and_b32 s2, s3, 0xffff
	s_add_co_i32 s3, s58, -1
	s_ashr_i32 s4, s58, 31
	s_ashr_i32 s5, s3, 31
	s_lshr_b32 s4, s4, 27
	s_lshr_b32 s5, s5, 27
	s_add_co_i32 s4, s58, s4
	s_add_co_i32 s3, s3, s5
	s_and_not1_b32 s4, s4, 31
	s_ashr_i32 s3, s3, 5
	s_sub_co_i32 s21, s58, s4
	s_cmp_eq_u32 s3, s59
	s_add_nc_u64 s[4:5], s[22:23], 1
	s_cselect_b32 s3, -1, 0
	s_cmp_lg_u32 s21, 0
	v_lshrrev_b32_e32 v12, 1, v10
	s_cselect_b32 s6, -1, 0
	s_lshl_b32 s24, s59, 5
	s_and_b32 s31, s6, s3
	v_mad_nc_u64_u32 v[2:3], s4, s24, v[20:21]
	s_xor_b32 s60, s7, -1
	s_xor_b32 s61, s31, -1
	s_cmp_lt_i32 s59, 5
	v_dual_lshlrev_b32 v14, 9, v12 :: v_dual_lshlrev_b32 v46, 4, v13
	s_cselect_b32 vcc_lo, -1, 0
	s_ashr_i32 s25, s24, 31
	v_cmp_eq_u32_e64 s6, 0, v13
	s_mul_i32 s3, s4, s25
	s_mul_i32 s4, s5, s24
	v_dual_sub_nc_u32 v47, 0, v14 :: v_dual_lshlrev_b32 v48, 4, v20
	v_add3_u32 v3, s3, s4, v3
	v_cmp_gt_u32_e64 s3, 4, v10
	v_dual_sub_nc_u32 v49, v46, v14 :: v_dual_bitop2_b32 v14, 3, v0 bitop3:0x40
	v_cmp_eq_u32_e64 s5, 1, v13
	v_lshrrev_b32_e32 v13, 2, v10
	s_and_b32 s64, s6, s3
	v_cmp_gt_u32_e64 s6, 16, v10
	v_cmp_eq_u32_e64 s9, 3, v14
	v_cmp_ne_u32_e64 s10, 3, v14
	v_dual_lshlrev_b32 v15, 9, v13 :: v_dual_lshlrev_b32 v54, 4, v14
	s_and_b32 s63, s5, s3
	s_and_b32 s66, s9, s6
	v_cmp_gt_u32_e64 s9, 2, v14
	v_cmp_eq_u32_e64 s5, 0, v44
	v_sub_nc_u32_e32 v55, 0, v15
	v_lshl_add_u32 v53, v13, 4, 0x4000
	v_cmp_eq_u32_e64 s11, 2, v14
	v_cmp_eq_u32_e64 s12, 1, v14
	s_and_b32 s67, s10, s6
	v_cmp_eq_u32_e64 s10, 0, v14
	s_and_b32 s69, s9, s6
	v_dual_lshrrev_b32 v13, 3, v10 :: v_dual_sub_nc_u32 v56, v54, v15
	v_cmp_gt_u32_e64 s9, 4, v20
	v_and_b32_e32 v14, 7, v0
	v_dual_add_nc_u32 v7, 16, v44 :: v_dual_add_nc_u32 v8, s24, v44
	s_delay_alu instid0(VALU_DEP_4)
	v_lshlrev_b32_e32 v15, 9, v13
	s_and_b32 s72, s5, s9
	v_cmp_gt_u32_e64 s9, 64, v10
	v_cmp_eq_u32_e64 s15, 7, v14
	v_dual_add_nc_u32 v4, s24, v20 :: v_dual_add_nc_u32 v9, v44, v6
	v_cmp_ne_u32_e64 s16, 7, v14
	v_subrev_nc_u32_e32 v24, 32, v8
	s_and_b32 s73, s15, s9
	v_cmp_eq_u32_e64 s15, 5, v14
	v_dual_ashrrev_i32 v5, 31, v4 :: v_dual_add_nc_u32 v6, v7, v6
	v_lshl_add_u32 v11, v7, 5, v20
	v_dual_lshlrev_b32 v58, 4, v14 :: v_dual_sub_nc_u32 v59, 0, v15
	s_and_b32 s74, s16, s9
	v_cmp_gt_u32_e64 s16, 5, v14
	s_and_b32 s77, s15, s9
	v_cmp_eq_u32_e64 s15, 4, v14
	s_and_b32 s71, s10, s6
	v_cmp_gt_u32_e64 s10, 56, v10
	v_dual_ashrrev_i32 v25, 31, v24 :: v_dual_cndmask_b32 v9, v10, v9, vcc_lo
	s_or_b32 vcc_lo, vcc_lo, s31
	v_lshl_add_u32 v57, v13, 4, 0x4000
	v_dual_cndmask_b32 v6, v11, v6 :: v_dual_lshrrev_b32 v11, 10, v0
	v_cmp_eq_u32_e64 s17, 6, v14
	s_and_b32 s78, s16, s9
	v_cmp_gt_u32_e64 s16, 3, v14
	s_and_b32 s79, s15, s9
	v_cmp_eq_u32_e64 s15, 2, v14
	v_dual_sub_nc_u32 v60, v58, v15 :: v_dual_lshlrev_b32 v13, 5, v10
                                        ; implicit-def: $vgpr203 : SGPR spill to VGPR lane
	v_bitop3_b32 v11, v0, v11, 0x3ff bitop3:0xa8
	v_writelane_b32 v203, s10, 0
	v_cmp_gt_u32_e64 s10, 40, v10
	s_and_b32 s75, s17, s9
	v_cmp_gt_u32_e64 s17, 4, v14
	s_and_b32 s82, s16, s9
	;; [unrolled: 2-line block ×3, first 2 shown]
	v_cmp_gt_u32_e64 s15, 8, v20
	v_and_b32_e32 v13, 0xfffffe00, v13
	v_and_b32_e32 v0, 15, v0
	v_writelane_b32 v203, s10, 1
	v_cmp_gt_u32_e64 s10, 24, v10
	v_cmp_gt_u32_e64 s18, 6, v14
	s_and_b32 s80, s17, s9
	v_cmp_eq_u32_e64 s17, 1, v14
	s_and_b32 s84, s16, s9
	s_and_b32 s87, s5, s15
	v_cmp_gt_u32_e64 s15, 0x100, v10
	v_sub_nc_u32_e32 v71, 0, v13
	v_cmp_eq_u32_e64 s16, 15, v0
	v_writelane_b32 v203, s10, 2
	s_and_b32 s76, s18, s9
	v_cmp_eq_u32_e64 s18, 3, v14
	s_and_b32 s85, s17, s9
	v_cmp_ne_u32_e64 s17, 15, v0
	s_and_b32 s10, s16, s15
	v_cmp_eq_u32_e64 s16, 14, v0
	v_writelane_b32 v203, s10, 3
	s_and_b32 s81, s18, s9
	v_cmp_eq_u32_e64 s18, 0, v14
	s_and_b32 s10, s17, s15
	v_cmp_eq_u32_e64 s19, 13, v0
	v_writelane_b32 v203, s10, 4
	s_and_b32 s10, s16, s15
	s_and_b32 s86, s18, s9
	v_cmp_gt_u32_e64 s18, 14, v0
	v_cmp_gt_u32_e64 s17, 13, v0
	v_writelane_b32 v203, s10, 5
	v_cmp_eq_u32_e64 s16, 12, v0
	v_lshl_add_u32 v21, v12, 4, 0x4000
	s_and_b32 s10, s18, s15
	v_cmp_eq_u32_e64 s18, 11, v0
	v_writelane_b32 v203, s10, 6
	s_and_b32 s10, s19, s15
	s_and_b32 s94, s16, s15
	v_cmp_eq_u32_e64 s16, 10, v0
	v_cmp_gt_u32_e64 s19, 11, v0
	v_writelane_b32 v203, s10, 7
	s_and_b32 s10, s17, s15
	v_cmp_gt_u32_e64 s17, 12, v0
	s_and_b32 s98, s16, s15
	v_cmp_eq_u32_e64 s16, 9, v0
	s_and_b32 s96, s18, s15
	s_and_b32 s97, s19, s15
	;; [unrolled: 1-line block ×3, first 2 shown]
	v_cmp_gt_u32_e64 s17, 10, v0
	v_cmp_gt_u32_e64 s18, 9, v0
	v_cmp_eq_u32_e64 s19, 8, v0
	s_and_b32 s100, s16, s15
	v_cmp_eq_u32_e64 s16, 7, v0
	s_and_b32 s99, s17, s15
	v_cmp_gt_u32_e64 s17, 8, v0
	s_and_b32 s101, s18, s15
	s_and_b32 s102, s19, s15
	v_cmp_eq_u32_e64 s18, 6, v0
	v_cmp_gt_u32_e64 s19, 6, v0
	s_and_b32 s103, s17, s15
	v_cmp_gt_u32_e64 s17, 7, v0
	s_and_b32 s104, s16, s15
	v_cmp_eq_u32_e64 s16, 5, v0
	v_mad_u32_u24 v12, 0x1f0, v20, v48
	v_dual_lshlrev_b32 v70, 4, v0 :: v_dual_bitop2_b32 v14, -16, v10 bitop3:0x40
	s_and_b32 vcc_hi, s17, s15
	v_cmp_gt_u32_e64 s17, 5, v0
	s_and_b32 s26, s18, s15
	s_and_b32 s27, s19, s15
	;; [unrolled: 1-line block ×3, first 2 shown]
	v_cmp_eq_u32_e64 s16, 4, v0
	v_cmp_gt_u32_e64 s18, 4, v0
	v_cmp_eq_u32_e64 s19, 3, v0
	s_and_b32 s29, s17, s15
	v_cmp_gt_u32_e64 s17, 3, v0
	v_mad_i32_i24 v52, 0xfffffe10, v20, v12
	v_writelane_b32 v203, s10, 8
	s_and_b32 s30, s16, s15
	s_and_b32 s33, s18, s15
	s_and_b32 s34, s19, s15
	v_cmp_eq_u32_e64 s16, 2, v0
	s_and_b32 s10, s17, s15
	v_cmp_gt_u32_e64 s17, 2, v0
	v_cmp_eq_u32_e64 s18, 1, v0
	v_cmp_eq_u32_e64 s19, 0, v0
	v_dual_sub_nc_u32 v72, v70, v13 :: v_dual_add_nc_u32 v0, -16, v8
	s_clause 0x1
	s_load_b64 s[52:53], s[0:1], 0x48
	s_load_b64 s[54:55], s[0:1], 0x58
	s_and_b32 s88, s18, s15
	v_cmp_le_i32_e64 s20, s21, v20
	s_and_b32 s70, s12, s6
	v_cmp_gt_i32_e64 s18, s58, v0
	v_mad_u32_u24 v0, 0x1f0, v20, v52
	s_and_b32 s12, s16, s15
	v_cmp_gt_u32_e64 s16, 16, v20
	v_cmp_gt_u32_e64 s7, 2, v20
	s_and_b32 s91, s20, s31
	v_mad_i32_i24 v103, 0xfffffe10, v20, v0
	v_add_nc_u32_e32 v99, 0x3980, v0
	v_add_nc_u32_e32 v100, 0x39b0, v0
	;; [unrolled: 1-line block ×4, first 2 shown]
	v_mad_u32_u24 v8, 0x1f0, v20, v103
	v_add_nc_u32_e32 v104, 0x2d40, v0
	v_add_nc_u32_e32 v105, 0x2d50, v0
	;; [unrolled: 1-line block ×4, first 2 shown]
	v_mad_i32_i24 v114, 0xfffffe10, v20, v8
	v_add_nc_u32_e32 v108, 0x18a0, v0
	v_add_nc_u32_e32 v109, 0x1890, v0
	;; [unrolled: 1-line block ×4, first 2 shown]
	v_mad_u32_u24 v0, 0x1f0, v20, v114
	s_xor_b32 s62, vcc_lo, -1
	v_cmp_gt_i32_e32 vcc_lo, s21, v20
	s_and_b32 s90, s5, s16
	s_xor_b32 s16, s91, -1
	v_mad_u32_u24 v22, v44, s2, v20
	v_cmp_gt_i32_e64 s2, s58, v4
	s_and_b32 s65, s5, s7
	s_and_b32 s68, s11, s6
	;; [unrolled: 1-line block ×5, first 2 shown]
	v_mul_u64_e32 v[26:27], s[22:23], v[4:5]
	s_wait_kmcnt 0x0
	v_mul_u64_e32 v[28:29], s[52:53], v[4:5]
	v_mad_i32_i24 v5, 0xfffffe10, v20, v0
	v_lshlrev_b32_e32 v4, 4, v44
	s_cmp_gt_i32 s59, 0
	v_mad_nc_u64_u32 v[30:31], s22, v44, v[2:3]
	s_cselect_b32 s93, -1, 0
	v_mad_nc_u64_u32 v[32:33], s22, v7, v[2:3]
	s_and_b32 s22, s5, vcc_lo
	v_add_nc_u32_e32 v125, 0x2500, v0
	v_add_nc_u32_e32 v126, 0x2510, v0
	;; [unrolled: 1-line block ×6, first 2 shown]
	v_dual_add_nc_u32 v133, 32, v5 :: v_dual_add_nc_u32 v129, v0, v4
	v_add_nc_u32_e32 v0, s24, v22
	v_add_nc_u32_e32 v130, 0x6000, v4
	v_add_nc_u32_e32 v134, 0x220, v5
	v_lshl_add_u32 v135, v44, 9, v5
	v_add_nc_u64_e32 v[4:5], s[24:25], v[22:23]
	v_writelane_b32 v203, s22, 9
	s_and_b32 s24, s18, s2
	v_cmp_ne_u32_e64 s18, v20, v44
	v_cmp_gt_i32_e64 s19, s58, v24
	v_mul_u64_e32 v[36:37], s[52:53], v[0:1]
	s_load_b128 s[48:51], s[0:1], 0x8
	v_mul_u64_e32 v[34:35], s[52:53], v[4:5]
	v_writelane_b32 v203, s18, 10
	s_and_b32 s22, s19, s2
	v_cmp_ne_u32_e64 s19, v20, v7
	s_or_b32 s18, s20, s18
	s_load_b256 s[40:47], s[0:1], 0x28
	v_writelane_b32 v203, s18, 11
	v_mad_u32 v31, s23, v44, v31
	s_or_b32 s18, s20, s19
	v_mad_u32 v33, s23, v7, v33
	v_add_nc_u32_e32 v112, 0x3580, v8
	v_writelane_b32 v203, s18, 12
	v_cmp_gt_u32_e64 s18, 0xf0, v10
	v_add_nc_u32_e32 v113, 0x3590, v8
	v_add_nc_u32_e32 v115, 0x2900, v8
	v_add_nc_u32_e32 v116, 0x2930, v8
	v_add_nc_u32_e32 v117, 0x2920, v8
	v_writelane_b32 v203, s18, 13
	v_cmp_gt_u32_e64 s18, 0xe0, v10
	v_add_nc_u32_e32 v118, 0x2910, v8
	v_add_nc_u32_e32 v119, 0x1480, v8
	v_add_nc_u32_e32 v120, 0x1490, v8
	;; [unrolled: 6-line block ×3, first 2 shown]
	v_mul_u32_u24_e32 v136, 0x210, v20
	v_writelane_b32 v203, s18, 15
	v_cmp_gt_u32_e64 s18, 0xc0, v10
	v_dual_lshlrev_b32 v8, 9, v20 :: v_dual_lshlrev_b32 v137, 4, v9
	v_dual_add_nc_u32 v195, 64, v103 :: v_dual_bitop2_b32 v2, v7, v20 bitop3:0x54
	s_delay_alu instid0(VALU_DEP_3)
	v_writelane_b32 v203, s18, 16
	v_cmp_gt_u32_e64 s18, 0xb0, v10
	v_cmp_le_i32_e32 vcc_lo, s21, v44
	v_cmp_le_i32_e64 s21, s21, v7
	v_cmp_ge_u32_e64 s16, v20, v44
	v_cmp_ge_u32_e64 s17, v20, v7
	v_writelane_b32 v203, s18, 17
	v_cmp_gt_u32_e64 s18, 0xa0, v10
	v_cmp_gt_u32_e64 s4, 2, v10
	v_add_nc_u32_e32 v50, 0x3dc0, v12
	v_add_nc_u32_e32 v51, 0x3dd0, v12
	v_cmp_gt_u32_e64 s7, 12, v10
	v_writelane_b32 v203, s18, 18
	v_cmp_gt_u32_e64 s18, 0x90, v10
	v_cmp_gt_u32_e64 s8, 8, v10
	;; [unrolled: 1-line block ×4, first 2 shown]
	v_add_nc_u32_e32 v61, 0x3100, v12
	v_writelane_b32 v203, s18, 19
	v_cmp_gt_u32_e64 s18, 0x80, v10
	v_add_nc_u32_e32 v62, 0x3110, v12
	v_add_nc_u32_e32 v63, 0x3120, v12
	v_add_nc_u32_e32 v64, 0x3130, v12
	v_add_nc_u32_e32 v65, 0x3140, v12
	v_writelane_b32 v203, s18, 20
	v_cmp_gt_u32_e64 s18, 0x70, v10
	v_add_nc_u32_e32 v66, 0x3150, v12
	v_add_nc_u32_e32 v67, 0x3160, v12
	v_add_nc_u32_e32 v68, 0x3170, v12
	;; [unrolled: 6-line block ×5, first 2 shown]
	v_add_nc_u32_e32 v84, 0x20b0, v12
	v_add_nc_u32_e32 v85, 0x20c0, v12
	;; [unrolled: 1-line block ×15, first 2 shown]
	v_dual_sub_nc_u32 v23, v136, v8 :: v_dual_lshlrev_b32 v138, 4, v6
	v_add_nc_u32_e32 v139, 0x39e0, v52
	v_add_nc_u32_e32 v140, 0x3be0, v52
	;; [unrolled: 1-line block ×59, first 2 shown]
	v_lshl_add_u32 v199, v22, 4, 0x6000
	v_lshl_add_u32 v200, v10, 4, 0x4000
	v_add_nc_u32_e32 v201, 0x4000, v48
	v_add_nc_u32_e32 v202, v130, v48
	v_cmp_eq_u32_e64 s31, 0, v11
	v_writelane_b32 v203, s18, 24
	v_cmp_gt_u32_e64 s18, 32, v2
	v_cmp_eq_u32_e64 s35, 0, v22
	v_cmp_gt_u32_e64 s36, 32, v22
	s_or_b32 s23, vcc_lo, s20
	s_or_b32 s21, s21, s20
	s_or_b32 s23, s23, s16
	;; [unrolled: 1-line block ×3, first 2 shown]
	s_wait_kmcnt 0x0
	s_lshl_b64 s[50:51], s[50:51], 4
	s_lshl_b64 s[46:47], s[46:47], 4
                                        ; implicit-def: $vgpr4_vgpr5
                                        ; implicit-def: $vgpr8_vgpr9
	v_writelane_b32 v203, s18, 25
	s_branch .LBB186_3
.LBB186_2:                              ;   in Loop: Header=BB186_3 Depth=1
	s_wait_xcnt 0x0
	s_or_b32 exec_lo, exec_lo, s0
	s_add_co_i32 s38, s38, 0x10000
	global_wb scope:SCOPE_DEV
	s_wait_storecnt 0x0
	global_inv scope:SCOPE_DEV
	s_cmp_lt_u32 s38, s37
	s_cbranch_scc0 .LBB186_574
.LBB186_3:                              ; =>This Loop Header: Depth=1
                                        ;     Child Loop BB186_461 Depth 2
                                        ;       Child Loop BB186_463 Depth 3
                                        ;     Child Loop BB186_494 Depth 2
	v_mov_b32_e32 v0, s38
	s_and_not1_b32 vcc_lo, exec_lo, s60
	s_clause 0x1
	global_load_b64 v[2:3], v0, s[48:49] scale_offset
	global_load_b64 v[40:41], v0, s[44:45] scale_offset
	s_wait_loadcnt 0x1
	v_add_nc_u64_e32 v[42:43], s[50:51], v[2:3]
	s_delay_alu instid0(VALU_DEP_1)
	v_lshl_add_u64 v[38:39], v[26:27], 4, v[42:43]
	s_cbranch_vccz .LBB186_6
; %bb.4:                                ;   in Loop: Header=BB186_3 Depth=1
	s_and_not1_b32 vcc_lo, exec_lo, s61
	s_mov_b32 s0, -1
	s_cbranch_vccz .LBB186_11
.LBB186_5:                              ;   in Loop: Header=BB186_3 Depth=1
	s_and_b32 vcc_lo, exec_lo, s0
	s_cbranch_vccnz .LBB186_17
	s_branch .LBB186_23
.LBB186_6:                              ;   in Loop: Header=BB186_3 Depth=1
	v_mov_b64_e32 v[10:11], 0
	v_mov_b64_e32 v[4:5], 0
	;; [unrolled: 1-line block ×3, first 2 shown]
	v_lshl_add_u64 v[2:3], v[24:25], 4, v[38:39]
	s_wait_loadcnt 0x0
	s_barrier_signal -1
	s_barrier_wait -1
	s_wait_xcnt 0x0
	s_and_saveexec_b32 s0, s22
	s_cbranch_execz .LBB186_8
; %bb.7:                                ;   in Loop: Header=BB186_3 Depth=1
	flat_load_b128 v[4:7], v[2:3]
.LBB186_8:                              ;   in Loop: Header=BB186_3 Depth=1
	s_wait_xcnt 0x0
	s_or_b32 exec_lo, exec_lo, s0
	v_mov_b64_e32 v[8:9], 0
	s_wait_loadcnt_dscnt 0x0
	s_barrier_signal -1
	s_barrier_wait -1
	s_and_saveexec_b32 s0, s24
	s_cbranch_execz .LBB186_10
; %bb.9:                                ;   in Loop: Header=BB186_3 Depth=1
	flat_load_b128 v[8:11], v[2:3] offset:256
.LBB186_10:                             ;   in Loop: Header=BB186_3 Depth=1
	s_wait_xcnt 0x0
	s_or_b32 exec_lo, exec_lo, s0
	s_delay_alu instid0(SALU_CYCLE_1)
	s_and_not1_b32 vcc_lo, exec_lo, s61
	s_mov_b32 s0, -1
	s_cbranch_vccnz .LBB186_5
.LBB186_11:                             ;   in Loop: Header=BB186_3 Depth=1
	s_wait_xcnt 0x0
	s_and_saveexec_b32 s0, s16
	s_delay_alu instid0(SALU_CYCLE_1)
	s_xor_b32 s0, exec_lo, s0
	s_cbranch_execnz .LBB186_507
; %bb.12:                               ;   in Loop: Header=BB186_3 Depth=1
	s_and_not1_saveexec_b32 s0, s0
	s_cbranch_execnz .LBB186_518
.LBB186_13:                             ;   in Loop: Header=BB186_3 Depth=1
	s_or_b32 exec_lo, exec_lo, s0
	s_and_saveexec_b32 s0, s17
	s_delay_alu instid0(SALU_CYCLE_1)
	s_xor_b32 s0, exec_lo, s0
	s_cbranch_execnz .LBB186_519
.LBB186_14:                             ;   in Loop: Header=BB186_3 Depth=1
	s_and_not1_saveexec_b32 s0, s0
	s_cbranch_execz .LBB186_16
.LBB186_15:                             ;   in Loop: Header=BB186_3 Depth=1
	v_lshl_add_u64 v[2:3], v[32:33], 4, v[42:43]
	flat_load_b128 v[12:15], v[2:3]
	s_wait_loadcnt_dscnt 0x0
	v_xor_b32_e32 v13, 0x80000000, v13
	ds_store_b128 v138, v[12:15]
.LBB186_16:                             ;   in Loop: Header=BB186_3 Depth=1
	s_or_b32 exec_lo, exec_lo, s0
	s_branch .LBB186_23
.LBB186_17:                             ;   in Loop: Header=BB186_3 Depth=1
	s_wait_xcnt 0x0
	s_and_saveexec_b32 s0, s23
	s_delay_alu instid0(SALU_CYCLE_1)
	s_xor_b32 s0, exec_lo, s0
	s_cbranch_execnz .LBB186_530
; %bb.18:                               ;   in Loop: Header=BB186_3 Depth=1
	s_and_not1_saveexec_b32 s0, s0
	s_cbranch_execnz .LBB186_541
.LBB186_19:                             ;   in Loop: Header=BB186_3 Depth=1
	s_or_b32 exec_lo, exec_lo, s0
	s_and_saveexec_b32 s0, s21
	s_delay_alu instid0(SALU_CYCLE_1)
	s_xor_b32 s0, exec_lo, s0
	s_cbranch_execnz .LBB186_542
.LBB186_20:                             ;   in Loop: Header=BB186_3 Depth=1
	s_and_not1_saveexec_b32 s0, s0
	s_cbranch_execz .LBB186_22
.LBB186_21:                             ;   in Loop: Header=BB186_3 Depth=1
	v_lshl_add_u64 v[2:3], v[32:33], 4, v[42:43]
	flat_load_b128 v[12:15], v[2:3]
	s_wait_loadcnt_dscnt 0x0
	v_xor_b32_e32 v13, 0x80000000, v13
	ds_store_b128 v138, v[12:15]
.LBB186_22:                             ;   in Loop: Header=BB186_3 Depth=1
	s_or_b32 exec_lo, exec_lo, s0
.LBB186_23:                             ;   in Loop: Header=BB186_3 Depth=1
	s_delay_alu instid0(SALU_CYCLE_1)
	s_and_not1_b32 vcc_lo, exec_lo, s62
	s_wait_loadcnt_dscnt 0x0
	s_barrier_signal -1
	s_barrier_wait -1
	s_cbranch_vccnz .LBB186_455
; %bb.24:                               ;   in Loop: Header=BB186_3 Depth=1
	s_wait_xcnt 0x0
	s_and_saveexec_b32 s0, s31
	s_cbranch_execz .LBB186_26
; %bb.25:                               ;   in Loop: Header=BB186_3 Depth=1
	ds_load_b128 v[12:15], v1 offset:16368
	ds_load_b128 v[16:19], v1 offset:15840
	s_wait_dscnt 0x0
	v_mul_f64_e32 v[2:3], v[14:15], v[18:19]
	v_mul_f64_e32 v[42:43], v[12:13], v[18:19]
	s_delay_alu instid0(VALU_DEP_2) | instskip(NEXT) | instid1(VALU_DEP_2)
	v_fma_f64 v[2:3], v[12:13], v[16:17], -v[2:3]
	v_fmac_f64_e32 v[42:43], v[14:15], v[16:17]
	ds_load_b128 v[12:15], v1 offset:16352
	s_wait_dscnt 0x0
	v_mul_f64_e32 v[18:19], v[2:3], v[14:15]
	v_mul_f64_e32 v[16:17], v[42:43], v[14:15]
	s_delay_alu instid0(VALU_DEP_2) | instskip(NEXT) | instid1(VALU_DEP_2)
	v_fmac_f64_e32 v[18:19], v[12:13], v[42:43]
	v_fma_f64 v[16:17], v[12:13], v[2:3], -v[16:17]
	ds_store_b128 v1, v[16:19] offset:16352
	ds_store_b128 v1, v[16:19] offset:15856
.LBB186_26:                             ;   in Loop: Header=BB186_3 Depth=1
	s_or_b32 exec_lo, exec_lo, s0
	v_mov_b64_e32 v[12:13], 0
	v_mov_b64_e32 v[14:15], 0
	s_wait_dscnt 0x0
	s_barrier_signal -1
	s_barrier_wait -1
	global_wb scope:SCOPE_DEV
	s_wait_storecnt 0x0
	global_inv scope:SCOPE_DEV
	s_and_saveexec_b32 s0, s3
	s_cbranch_execz .LBB186_30
; %bb.27:                               ;   in Loop: Header=BB186_3 Depth=1
	ds_load_b128 v[12:15], v47 offset:16352
	ds_load_b128 v[16:19], v46 offset:15808
	s_wait_dscnt 0x0
	v_mul_f64_e32 v[2:3], v[14:15], v[18:19]
	v_mul_f64_e32 v[18:19], v[12:13], v[18:19]
	s_delay_alu instid0(VALU_DEP_2) | instskip(NEXT) | instid1(VALU_DEP_2)
	v_fma_f64 v[2:3], v[12:13], v[16:17], -v[2:3]
	v_fmac_f64_e32 v[18:19], v[14:15], v[16:17]
	s_delay_alu instid0(VALU_DEP_2) | instskip(NEXT) | instid1(VALU_DEP_2)
	v_add_f64_e32 v[12:13], 0, v[2:3]
	v_add_f64_e32 v[14:15], 0, v[18:19]
	s_and_saveexec_b32 s1, s4
	s_cbranch_execz .LBB186_29
; %bb.28:                               ;   in Loop: Header=BB186_3 Depth=1
	ds_load_b128 v[16:19], v1 offset:16368
	ds_load_b128 v[204:207], v48 offset:16320
	s_wait_dscnt 0x0
	v_mul_f64_e32 v[2:3], v[18:19], v[206:207]
	s_delay_alu instid0(VALU_DEP_1) | instskip(SKIP_1) | instid1(VALU_DEP_2)
	v_fma_f64 v[2:3], v[16:17], v[204:205], -v[2:3]
	v_mul_f64_e32 v[16:17], v[16:17], v[206:207]
	v_add_f64_e32 v[12:13], v[12:13], v[2:3]
	s_delay_alu instid0(VALU_DEP_2) | instskip(NEXT) | instid1(VALU_DEP_1)
	v_fmac_f64_e32 v[16:17], v[18:19], v[204:205]
	v_add_f64_e32 v[14:15], v[14:15], v[16:17]
.LBB186_29:                             ;   in Loop: Header=BB186_3 Depth=1
	s_or_b32 exec_lo, exec_lo, s1
.LBB186_30:                             ;   in Loop: Header=BB186_3 Depth=1
	s_delay_alu instid0(SALU_CYCLE_1)
	s_or_b32 exec_lo, exec_lo, s0
	s_and_saveexec_b32 s0, s63
	s_cbranch_execz .LBB186_32
; %bb.31:                               ;   in Loop: Header=BB186_3 Depth=1
	ds_load_b128 v[16:19], v1 offset:15312
	s_wait_dscnt 0x0
	v_mul_f64_e32 v[2:3], v[14:15], v[18:19]
	v_mul_f64_e32 v[18:19], v[12:13], v[18:19]
	s_delay_alu instid0(VALU_DEP_1) | instskip(NEXT) | instid1(VALU_DEP_1)
	v_fmac_f64_e32 v[18:19], v[14:15], v[16:17]
	v_dual_fma_f64 v[2:3], v[12:13], v[16:17], -v[2:3] :: v_dual_mov_b32 v14, v18
	s_delay_alu instid0(VALU_DEP_1) | instskip(NEXT) | instid1(VALU_DEP_3)
	v_xor_b32_e32 v13, 0x80000000, v3
	v_xor_b32_e32 v15, 0x80000000, v19
	s_delay_alu instid0(VALU_DEP_3)
	v_mov_b32_e32 v12, v2
	ds_store_b128 v21, v[12:15]
	v_mov_b64_e32 v[12:13], v[2:3]
	v_mov_b64_e32 v[14:15], v[18:19]
.LBB186_32:                             ;   in Loop: Header=BB186_3 Depth=1
	s_or_b32 exec_lo, exec_lo, s0
	s_wait_loadcnt_dscnt 0x0
	s_barrier_signal -1
	s_barrier_wait -1
	s_and_saveexec_b32 s0, s64
	s_cbranch_execz .LBB186_34
; %bb.33:                               ;   in Loop: Header=BB186_3 Depth=1
	ds_load_b128 v[16:19], v21
	ds_load_b128 v[204:207], v1 offset:15296
	s_wait_dscnt 0x0
	v_mul_f64_e32 v[2:3], v[18:19], v[206:207]
	s_delay_alu instid0(VALU_DEP_1) | instskip(SKIP_1) | instid1(VALU_DEP_2)
	v_fma_f64 v[2:3], v[16:17], v[204:205], -v[2:3]
	v_mul_f64_e32 v[16:17], v[16:17], v[206:207]
	v_add_f64_e64 v[12:13], v[12:13], -v[2:3]
	s_delay_alu instid0(VALU_DEP_2) | instskip(NEXT) | instid1(VALU_DEP_1)
	v_fmac_f64_e32 v[16:17], v[18:19], v[204:205]
	v_add_f64_e64 v[14:15], v[14:15], -v[16:17]
.LBB186_34:                             ;   in Loop: Header=BB186_3 Depth=1
	s_or_b32 exec_lo, exec_lo, s0
	s_barrier_signal -1
	s_barrier_wait -1
	s_and_saveexec_b32 s0, s64
	s_cbranch_execz .LBB186_36
; %bb.35:                               ;   in Loop: Header=BB186_3 Depth=1
	ds_load_b128 v[16:19], v1 offset:14784
	s_wait_dscnt 0x0
	v_mul_f64_e32 v[2:3], v[14:15], v[18:19]
	v_mul_f64_e32 v[18:19], v[12:13], v[18:19]
	s_delay_alu instid0(VALU_DEP_1) | instskip(NEXT) | instid1(VALU_DEP_1)
	v_fmac_f64_e32 v[18:19], v[14:15], v[16:17]
	v_dual_fma_f64 v[2:3], v[12:13], v[16:17], -v[2:3] :: v_dual_mov_b32 v14, v18
	s_delay_alu instid0(VALU_DEP_1) | instskip(NEXT) | instid1(VALU_DEP_3)
	v_xor_b32_e32 v13, 0x80000000, v3
	v_xor_b32_e32 v15, 0x80000000, v19
	s_delay_alu instid0(VALU_DEP_3)
	v_mov_b32_e32 v12, v2
	ds_store_b128 v21, v[12:15]
	v_mov_b64_e32 v[12:13], v[2:3]
	v_mov_b64_e32 v[14:15], v[18:19]
.LBB186_36:                             ;   in Loop: Header=BB186_3 Depth=1
	s_or_b32 exec_lo, exec_lo, s0
	s_wait_dscnt 0x0
	s_barrier_signal -1
	s_barrier_wait -1
	s_barrier_signal -1
	s_barrier_wait -1
	s_and_saveexec_b32 s0, s3
; %bb.37:                               ;   in Loop: Header=BB186_3 Depth=1
	ds_store_b128 v49, v[12:15] offset:16320
; %bb.38:                               ;   in Loop: Header=BB186_3 Depth=1
	s_or_b32 exec_lo, exec_lo, s0
	s_wait_dscnt 0x0
	s_barrier_signal -1
	s_barrier_wait -1
	s_barrier_signal -1
	s_barrier_wait -1
	s_and_saveexec_b32 s0, s65
	s_cbranch_execz .LBB186_40
; %bb.39:                               ;   in Loop: Header=BB186_3 Depth=1
	ds_load_b128 v[12:15], v50
	s_wait_dscnt 0x0
	ds_store_b128 v139, v[12:15]
	ds_load_b128 v[12:15], v51
	s_wait_dscnt 0x0
	ds_store_b128 v140, v[12:15]
.LBB186_40:                             ;   in Loop: Header=BB186_3 Depth=1
	s_or_b32 exec_lo, exec_lo, s0
	s_wait_dscnt 0x0
	s_barrier_signal -1
	s_barrier_wait -1
	s_and_saveexec_b32 s0, s31
	s_cbranch_execz .LBB186_42
; %bb.41:                               ;   in Loop: Header=BB186_3 Depth=1
	ds_load_b128 v[12:15], v1 offset:15312
	ds_load_b128 v[16:19], v1 offset:14784
	s_wait_dscnt 0x0
	v_mul_f64_e32 v[2:3], v[14:15], v[18:19]
	v_mul_f64_e32 v[42:43], v[12:13], v[18:19]
	s_delay_alu instid0(VALU_DEP_2) | instskip(NEXT) | instid1(VALU_DEP_2)
	v_fma_f64 v[2:3], v[12:13], v[16:17], -v[2:3]
	v_fmac_f64_e32 v[42:43], v[14:15], v[16:17]
	ds_load_b128 v[12:15], v1 offset:15296
	s_wait_dscnt 0x0
	v_mul_f64_e32 v[18:19], v[2:3], v[14:15]
	v_mul_f64_e32 v[16:17], v[42:43], v[14:15]
	s_delay_alu instid0(VALU_DEP_2) | instskip(NEXT) | instid1(VALU_DEP_2)
	v_fmac_f64_e32 v[18:19], v[12:13], v[42:43]
	v_fma_f64 v[16:17], v[12:13], v[2:3], -v[16:17]
	ds_store_b128 v1, v[16:19] offset:15296
	ds_store_b128 v1, v[16:19] offset:14800
.LBB186_42:                             ;   in Loop: Header=BB186_3 Depth=1
	s_or_b32 exec_lo, exec_lo, s0
	v_mov_b64_e32 v[14:15], 0
	v_mov_b64_e32 v[12:13], 0
	s_wait_dscnt 0x0
	s_barrier_signal -1
	s_barrier_wait -1
	global_wb scope:SCOPE_DEV
	s_wait_storecnt 0x0
	global_inv scope:SCOPE_DEV
	s_and_saveexec_b32 s0, s6
	s_cbranch_execz .LBB186_48
; %bb.43:                               ;   in Loop: Header=BB186_3 Depth=1
	ds_load_b128 v[12:15], v55 offset:16320
	ds_load_b128 v[16:19], v54 offset:14720
	s_wait_dscnt 0x0
	v_mul_f64_e32 v[2:3], v[14:15], v[18:19]
	v_mul_f64_e32 v[18:19], v[12:13], v[18:19]
	s_delay_alu instid0(VALU_DEP_2) | instskip(NEXT) | instid1(VALU_DEP_2)
	v_fma_f64 v[2:3], v[12:13], v[16:17], -v[2:3]
	v_fmac_f64_e32 v[18:19], v[14:15], v[16:17]
	s_delay_alu instid0(VALU_DEP_2) | instskip(NEXT) | instid1(VALU_DEP_2)
	v_add_f64_e32 v[12:13], 0, v[2:3]
	v_add_f64_e32 v[14:15], 0, v[18:19]
	s_and_saveexec_b32 s1, s7
	s_cbranch_execnz .LBB186_558
; %bb.44:                               ;   in Loop: Header=BB186_3 Depth=1
	s_or_b32 exec_lo, exec_lo, s1
	s_and_saveexec_b32 s1, s8
	s_cbranch_execnz .LBB186_559
.LBB186_45:                             ;   in Loop: Header=BB186_3 Depth=1
	s_or_b32 exec_lo, exec_lo, s1
	s_and_saveexec_b32 s1, s3
	s_cbranch_execz .LBB186_47
.LBB186_46:                             ;   in Loop: Header=BB186_3 Depth=1
	ds_load_b128 v[16:19], v1 offset:16368
	ds_load_b128 v[204:207], v52 offset:16256
	s_wait_dscnt 0x0
	v_mul_f64_e32 v[2:3], v[18:19], v[206:207]
	s_delay_alu instid0(VALU_DEP_1) | instskip(SKIP_1) | instid1(VALU_DEP_2)
	v_fma_f64 v[2:3], v[16:17], v[204:205], -v[2:3]
	v_mul_f64_e32 v[16:17], v[16:17], v[206:207]
	v_add_f64_e32 v[12:13], v[12:13], v[2:3]
	s_delay_alu instid0(VALU_DEP_2) | instskip(NEXT) | instid1(VALU_DEP_1)
	v_fmac_f64_e32 v[16:17], v[18:19], v[204:205]
	v_add_f64_e32 v[14:15], v[14:15], v[16:17]
.LBB186_47:                             ;   in Loop: Header=BB186_3 Depth=1
	s_or_b32 exec_lo, exec_lo, s1
.LBB186_48:                             ;   in Loop: Header=BB186_3 Depth=1
	s_delay_alu instid0(SALU_CYCLE_1)
	s_or_b32 exec_lo, exec_lo, s0
	s_and_saveexec_b32 s0, s66
	s_cbranch_execz .LBB186_50
; %bb.49:                               ;   in Loop: Header=BB186_3 Depth=1
	ds_load_b128 v[16:19], v1 offset:14256
	s_wait_dscnt 0x0
	v_mul_f64_e32 v[2:3], v[14:15], v[18:19]
	v_mul_f64_e32 v[18:19], v[12:13], v[18:19]
	s_delay_alu instid0(VALU_DEP_1) | instskip(NEXT) | instid1(VALU_DEP_1)
	v_fmac_f64_e32 v[18:19], v[14:15], v[16:17]
	v_dual_fma_f64 v[2:3], v[12:13], v[16:17], -v[2:3] :: v_dual_mov_b32 v14, v18
	s_delay_alu instid0(VALU_DEP_1) | instskip(NEXT) | instid1(VALU_DEP_3)
	v_xor_b32_e32 v13, 0x80000000, v3
	v_xor_b32_e32 v15, 0x80000000, v19
	s_delay_alu instid0(VALU_DEP_3)
	v_mov_b32_e32 v12, v2
	ds_store_b128 v53, v[12:15]
	v_mov_b64_e32 v[12:13], v[2:3]
	v_mov_b64_e32 v[14:15], v[18:19]
.LBB186_50:                             ;   in Loop: Header=BB186_3 Depth=1
	s_or_b32 exec_lo, exec_lo, s0
	s_wait_loadcnt_dscnt 0x0
	s_barrier_signal -1
	s_barrier_wait -1
	s_and_saveexec_b32 s0, s67
	s_cbranch_execz .LBB186_52
; %bb.51:                               ;   in Loop: Header=BB186_3 Depth=1
	ds_load_b128 v[16:19], v53
	ds_load_b128 v[204:207], v54 offset:14208
	s_wait_dscnt 0x0
	v_mul_f64_e32 v[2:3], v[18:19], v[206:207]
	s_delay_alu instid0(VALU_DEP_1) | instskip(SKIP_1) | instid1(VALU_DEP_2)
	v_fma_f64 v[2:3], v[16:17], v[204:205], -v[2:3]
	v_mul_f64_e32 v[16:17], v[16:17], v[206:207]
	v_add_f64_e64 v[12:13], v[12:13], -v[2:3]
	s_delay_alu instid0(VALU_DEP_2) | instskip(NEXT) | instid1(VALU_DEP_1)
	v_fmac_f64_e32 v[16:17], v[18:19], v[204:205]
	v_add_f64_e64 v[14:15], v[14:15], -v[16:17]
.LBB186_52:                             ;   in Loop: Header=BB186_3 Depth=1
	s_or_b32 exec_lo, exec_lo, s0
	s_barrier_signal -1
	s_barrier_wait -1
	s_and_saveexec_b32 s0, s68
	s_cbranch_execz .LBB186_54
; %bb.53:                               ;   in Loop: Header=BB186_3 Depth=1
	ds_load_b128 v[16:19], v1 offset:13728
	s_wait_dscnt 0x0
	v_mul_f64_e32 v[2:3], v[14:15], v[18:19]
	v_mul_f64_e32 v[18:19], v[12:13], v[18:19]
	s_delay_alu instid0(VALU_DEP_1) | instskip(NEXT) | instid1(VALU_DEP_1)
	v_fmac_f64_e32 v[18:19], v[14:15], v[16:17]
	v_dual_fma_f64 v[2:3], v[12:13], v[16:17], -v[2:3] :: v_dual_mov_b32 v14, v18
	s_delay_alu instid0(VALU_DEP_1) | instskip(NEXT) | instid1(VALU_DEP_3)
	v_xor_b32_e32 v13, 0x80000000, v3
	v_xor_b32_e32 v15, 0x80000000, v19
	s_delay_alu instid0(VALU_DEP_3)
	v_mov_b32_e32 v12, v2
	ds_store_b128 v53, v[12:15]
	v_mov_b64_e32 v[12:13], v[2:3]
	v_mov_b64_e32 v[14:15], v[18:19]
.LBB186_54:                             ;   in Loop: Header=BB186_3 Depth=1
	s_or_b32 exec_lo, exec_lo, s0
	s_wait_dscnt 0x0
	s_barrier_signal -1
	s_barrier_wait -1
	s_and_saveexec_b32 s0, s69
	s_cbranch_execz .LBB186_56
; %bb.55:                               ;   in Loop: Header=BB186_3 Depth=1
	ds_load_b128 v[16:19], v53
	ds_load_b128 v[204:207], v54 offset:13696
	s_wait_dscnt 0x0
	v_mul_f64_e32 v[2:3], v[18:19], v[206:207]
	s_delay_alu instid0(VALU_DEP_1) | instskip(SKIP_1) | instid1(VALU_DEP_2)
	v_fma_f64 v[2:3], v[16:17], v[204:205], -v[2:3]
	v_mul_f64_e32 v[16:17], v[16:17], v[206:207]
	v_add_f64_e64 v[12:13], v[12:13], -v[2:3]
	s_delay_alu instid0(VALU_DEP_2) | instskip(NEXT) | instid1(VALU_DEP_1)
	v_fmac_f64_e32 v[16:17], v[18:19], v[204:205]
	v_add_f64_e64 v[14:15], v[14:15], -v[16:17]
.LBB186_56:                             ;   in Loop: Header=BB186_3 Depth=1
	s_or_b32 exec_lo, exec_lo, s0
	s_barrier_signal -1
	s_barrier_wait -1
	s_and_saveexec_b32 s0, s70
	s_cbranch_execz .LBB186_58
; %bb.57:                               ;   in Loop: Header=BB186_3 Depth=1
	ds_load_b128 v[16:19], v1 offset:13200
	s_wait_dscnt 0x0
	v_mul_f64_e32 v[2:3], v[14:15], v[18:19]
	v_mul_f64_e32 v[18:19], v[12:13], v[18:19]
	s_delay_alu instid0(VALU_DEP_1) | instskip(NEXT) | instid1(VALU_DEP_1)
	v_fmac_f64_e32 v[18:19], v[14:15], v[16:17]
	v_dual_fma_f64 v[2:3], v[12:13], v[16:17], -v[2:3] :: v_dual_mov_b32 v14, v18
	s_delay_alu instid0(VALU_DEP_1) | instskip(NEXT) | instid1(VALU_DEP_3)
	v_xor_b32_e32 v13, 0x80000000, v3
	v_xor_b32_e32 v15, 0x80000000, v19
	s_delay_alu instid0(VALU_DEP_3)
	v_mov_b32_e32 v12, v2
	ds_store_b128 v53, v[12:15]
	v_mov_b64_e32 v[12:13], v[2:3]
	v_mov_b64_e32 v[14:15], v[18:19]
.LBB186_58:                             ;   in Loop: Header=BB186_3 Depth=1
	s_or_b32 exec_lo, exec_lo, s0
	s_wait_dscnt 0x0
	;; [unrolled: 41-line block ×3, first 2 shown]
	s_barrier_signal -1
	s_barrier_wait -1
	s_barrier_signal -1
	s_barrier_wait -1
	s_and_saveexec_b32 s0, s6
; %bb.63:                               ;   in Loop: Header=BB186_3 Depth=1
	ds_store_b128 v56, v[12:15] offset:16256
; %bb.64:                               ;   in Loop: Header=BB186_3 Depth=1
	s_or_b32 exec_lo, exec_lo, s0
	s_wait_dscnt 0x0
	s_barrier_signal -1
	s_barrier_wait -1
	s_barrier_signal -1
	s_barrier_wait -1
	s_and_saveexec_b32 s0, s72
	s_cbranch_execz .LBB186_66
; %bb.65:                               ;   in Loop: Header=BB186_3 Depth=1
	ds_load_b128 v[12:15], v99
	s_wait_dscnt 0x0
	ds_store_b128 v141, v[12:15]
	ds_load_b128 v[12:15], v102
	s_wait_dscnt 0x0
	ds_store_b128 v144, v[12:15]
	;; [unrolled: 3-line block ×4, first 2 shown]
.LBB186_66:                             ;   in Loop: Header=BB186_3 Depth=1
	s_or_b32 exec_lo, exec_lo, s0
	s_wait_dscnt 0x0
	s_barrier_signal -1
	s_barrier_wait -1
	s_and_saveexec_b32 s0, s31
	s_cbranch_execz .LBB186_68
; %bb.67:                               ;   in Loop: Header=BB186_3 Depth=1
	ds_load_b128 v[12:15], v1 offset:14256
	ds_load_b128 v[16:19], v1 offset:13728
	s_wait_dscnt 0x0
	v_mul_f64_e32 v[2:3], v[14:15], v[18:19]
	v_mul_f64_e32 v[42:43], v[12:13], v[18:19]
	s_delay_alu instid0(VALU_DEP_2) | instskip(NEXT) | instid1(VALU_DEP_2)
	v_fma_f64 v[2:3], v[12:13], v[16:17], -v[2:3]
	v_fmac_f64_e32 v[42:43], v[14:15], v[16:17]
	ds_load_b128 v[12:15], v1 offset:14240
	s_wait_dscnt 0x0
	v_mul_f64_e32 v[18:19], v[2:3], v[14:15]
	v_mul_f64_e32 v[16:17], v[42:43], v[14:15]
	s_delay_alu instid0(VALU_DEP_2) | instskip(NEXT) | instid1(VALU_DEP_2)
	v_fmac_f64_e32 v[18:19], v[12:13], v[42:43]
	v_fma_f64 v[16:17], v[12:13], v[2:3], -v[16:17]
	ds_store_b128 v1, v[16:19] offset:14240
	ds_store_b128 v1, v[16:19] offset:13744
.LBB186_68:                             ;   in Loop: Header=BB186_3 Depth=1
	s_or_b32 exec_lo, exec_lo, s0
	v_mov_b64_e32 v[12:13], 0
	v_mov_b64_e32 v[14:15], 0
	s_wait_dscnt 0x0
	s_barrier_signal -1
	s_barrier_wait -1
	global_wb scope:SCOPE_DEV
	s_wait_storecnt 0x0
	global_inv scope:SCOPE_DEV
	s_and_saveexec_b32 s0, s3
	s_cbranch_execz .LBB186_72
; %bb.69:                               ;   in Loop: Header=BB186_3 Depth=1
	ds_load_b128 v[12:15], v47 offset:14240
	ds_load_b128 v[16:19], v46 offset:13696
	s_wait_dscnt 0x0
	v_mul_f64_e32 v[2:3], v[14:15], v[18:19]
	v_mul_f64_e32 v[18:19], v[12:13], v[18:19]
	s_delay_alu instid0(VALU_DEP_2) | instskip(NEXT) | instid1(VALU_DEP_2)
	v_fma_f64 v[2:3], v[12:13], v[16:17], -v[2:3]
	v_fmac_f64_e32 v[18:19], v[14:15], v[16:17]
	s_delay_alu instid0(VALU_DEP_2) | instskip(NEXT) | instid1(VALU_DEP_2)
	v_add_f64_e32 v[12:13], 0, v[2:3]
	v_add_f64_e32 v[14:15], 0, v[18:19]
	s_and_saveexec_b32 s1, s4
	s_cbranch_execz .LBB186_71
; %bb.70:                               ;   in Loop: Header=BB186_3 Depth=1
	ds_load_b128 v[16:19], v1 offset:14256
	ds_load_b128 v[204:207], v103 offset:14208
	s_wait_dscnt 0x0
	v_mul_f64_e32 v[2:3], v[18:19], v[206:207]
	s_delay_alu instid0(VALU_DEP_1) | instskip(SKIP_1) | instid1(VALU_DEP_2)
	v_fma_f64 v[2:3], v[16:17], v[204:205], -v[2:3]
	v_mul_f64_e32 v[16:17], v[16:17], v[206:207]
	v_add_f64_e32 v[12:13], v[12:13], v[2:3]
	s_delay_alu instid0(VALU_DEP_2) | instskip(NEXT) | instid1(VALU_DEP_1)
	v_fmac_f64_e32 v[16:17], v[18:19], v[204:205]
	v_add_f64_e32 v[14:15], v[14:15], v[16:17]
.LBB186_71:                             ;   in Loop: Header=BB186_3 Depth=1
	s_or_b32 exec_lo, exec_lo, s1
.LBB186_72:                             ;   in Loop: Header=BB186_3 Depth=1
	s_delay_alu instid0(SALU_CYCLE_1)
	s_or_b32 exec_lo, exec_lo, s0
	s_and_saveexec_b32 s0, s63
	s_cbranch_execz .LBB186_74
; %bb.73:                               ;   in Loop: Header=BB186_3 Depth=1
	ds_load_b128 v[16:19], v1 offset:13200
	s_wait_dscnt 0x0
	v_mul_f64_e32 v[2:3], v[14:15], v[18:19]
	v_mul_f64_e32 v[18:19], v[12:13], v[18:19]
	s_delay_alu instid0(VALU_DEP_1) | instskip(NEXT) | instid1(VALU_DEP_1)
	v_fmac_f64_e32 v[18:19], v[14:15], v[16:17]
	v_dual_fma_f64 v[2:3], v[12:13], v[16:17], -v[2:3] :: v_dual_mov_b32 v14, v18
	s_delay_alu instid0(VALU_DEP_1) | instskip(NEXT) | instid1(VALU_DEP_3)
	v_xor_b32_e32 v13, 0x80000000, v3
	v_xor_b32_e32 v15, 0x80000000, v19
	s_delay_alu instid0(VALU_DEP_3)
	v_mov_b32_e32 v12, v2
	ds_store_b128 v21, v[12:15]
	v_mov_b64_e32 v[12:13], v[2:3]
	v_mov_b64_e32 v[14:15], v[18:19]
.LBB186_74:                             ;   in Loop: Header=BB186_3 Depth=1
	s_or_b32 exec_lo, exec_lo, s0
	s_wait_loadcnt_dscnt 0x0
	s_barrier_signal -1
	s_barrier_wait -1
	s_and_saveexec_b32 s0, s64
	s_cbranch_execz .LBB186_76
; %bb.75:                               ;   in Loop: Header=BB186_3 Depth=1
	ds_load_b128 v[16:19], v21
	ds_load_b128 v[204:207], v1 offset:13184
	s_wait_dscnt 0x0
	v_mul_f64_e32 v[2:3], v[18:19], v[206:207]
	s_delay_alu instid0(VALU_DEP_1) | instskip(SKIP_1) | instid1(VALU_DEP_2)
	v_fma_f64 v[2:3], v[16:17], v[204:205], -v[2:3]
	v_mul_f64_e32 v[16:17], v[16:17], v[206:207]
	v_add_f64_e64 v[12:13], v[12:13], -v[2:3]
	s_delay_alu instid0(VALU_DEP_2) | instskip(NEXT) | instid1(VALU_DEP_1)
	v_fmac_f64_e32 v[16:17], v[18:19], v[204:205]
	v_add_f64_e64 v[14:15], v[14:15], -v[16:17]
.LBB186_76:                             ;   in Loop: Header=BB186_3 Depth=1
	s_or_b32 exec_lo, exec_lo, s0
	s_barrier_signal -1
	s_barrier_wait -1
	s_and_saveexec_b32 s0, s64
	s_cbranch_execz .LBB186_78
; %bb.77:                               ;   in Loop: Header=BB186_3 Depth=1
	ds_load_b128 v[16:19], v1 offset:12672
	s_wait_dscnt 0x0
	v_mul_f64_e32 v[2:3], v[14:15], v[18:19]
	v_mul_f64_e32 v[18:19], v[12:13], v[18:19]
	s_delay_alu instid0(VALU_DEP_1) | instskip(NEXT) | instid1(VALU_DEP_1)
	v_fmac_f64_e32 v[18:19], v[14:15], v[16:17]
	v_dual_fma_f64 v[2:3], v[12:13], v[16:17], -v[2:3] :: v_dual_mov_b32 v14, v18
	s_delay_alu instid0(VALU_DEP_1) | instskip(NEXT) | instid1(VALU_DEP_3)
	v_xor_b32_e32 v13, 0x80000000, v3
	v_xor_b32_e32 v15, 0x80000000, v19
	s_delay_alu instid0(VALU_DEP_3)
	v_mov_b32_e32 v12, v2
	ds_store_b128 v21, v[12:15]
	v_mov_b64_e32 v[12:13], v[2:3]
	v_mov_b64_e32 v[14:15], v[18:19]
.LBB186_78:                             ;   in Loop: Header=BB186_3 Depth=1
	s_or_b32 exec_lo, exec_lo, s0
	s_wait_dscnt 0x0
	s_barrier_signal -1
	s_barrier_wait -1
	s_barrier_signal -1
	s_barrier_wait -1
	s_and_saveexec_b32 s0, s3
; %bb.79:                               ;   in Loop: Header=BB186_3 Depth=1
	ds_store_b128 v49, v[12:15] offset:14208
; %bb.80:                               ;   in Loop: Header=BB186_3 Depth=1
	s_or_b32 exec_lo, exec_lo, s0
	s_wait_dscnt 0x0
	s_barrier_signal -1
	s_barrier_wait -1
	s_barrier_signal -1
	s_barrier_wait -1
	s_and_saveexec_b32 s0, s65
	s_cbranch_execz .LBB186_82
; %bb.81:                               ;   in Loop: Header=BB186_3 Depth=1
	ds_load_b128 v[12:15], v112
	s_wait_dscnt 0x0
	ds_store_b128 v145, v[12:15]
	ds_load_b128 v[12:15], v113
	s_wait_dscnt 0x0
	ds_store_b128 v146, v[12:15]
.LBB186_82:                             ;   in Loop: Header=BB186_3 Depth=1
	s_or_b32 exec_lo, exec_lo, s0
	s_wait_dscnt 0x0
	s_barrier_signal -1
	s_barrier_wait -1
	s_and_saveexec_b32 s0, s31
	s_cbranch_execz .LBB186_84
; %bb.83:                               ;   in Loop: Header=BB186_3 Depth=1
	ds_load_b128 v[12:15], v1 offset:13200
	ds_load_b128 v[16:19], v1 offset:12672
	s_wait_dscnt 0x0
	v_mul_f64_e32 v[2:3], v[14:15], v[18:19]
	v_mul_f64_e32 v[42:43], v[12:13], v[18:19]
	s_delay_alu instid0(VALU_DEP_2) | instskip(NEXT) | instid1(VALU_DEP_2)
	v_fma_f64 v[2:3], v[12:13], v[16:17], -v[2:3]
	v_fmac_f64_e32 v[42:43], v[14:15], v[16:17]
	ds_load_b128 v[12:15], v1 offset:13184
	s_wait_dscnt 0x0
	v_mul_f64_e32 v[18:19], v[2:3], v[14:15]
	v_mul_f64_e32 v[16:17], v[42:43], v[14:15]
	s_delay_alu instid0(VALU_DEP_2) | instskip(NEXT) | instid1(VALU_DEP_2)
	v_fmac_f64_e32 v[18:19], v[12:13], v[42:43]
	v_fma_f64 v[16:17], v[12:13], v[2:3], -v[16:17]
	ds_store_b128 v1, v[16:19] offset:13184
	ds_store_b128 v1, v[16:19] offset:12688
.LBB186_84:                             ;   in Loop: Header=BB186_3 Depth=1
	s_or_b32 exec_lo, exec_lo, s0
	v_mov_b64_e32 v[14:15], 0
	v_mov_b64_e32 v[12:13], 0
	s_wait_dscnt 0x0
	s_barrier_signal -1
	s_barrier_wait -1
	global_wb scope:SCOPE_DEV
	s_wait_storecnt 0x0
	global_inv scope:SCOPE_DEV
	s_and_saveexec_b32 s0, s9
	s_cbranch_execz .LBB186_98
; %bb.85:                               ;   in Loop: Header=BB186_3 Depth=1
	ds_load_b128 v[12:15], v59 offset:16256
	ds_load_b128 v[16:19], v58 offset:12544
	v_readlane_b32 s18, v203, 0
	s_wait_dscnt 0x0
	v_mul_f64_e32 v[2:3], v[14:15], v[18:19]
	v_mul_f64_e32 v[18:19], v[12:13], v[18:19]
	s_delay_alu instid0(VALU_DEP_2) | instskip(NEXT) | instid1(VALU_DEP_2)
	v_fma_f64 v[2:3], v[12:13], v[16:17], -v[2:3]
	v_fmac_f64_e32 v[18:19], v[14:15], v[16:17]
	s_delay_alu instid0(VALU_DEP_2) | instskip(NEXT) | instid1(VALU_DEP_2)
	v_add_f64_e32 v[12:13], 0, v[2:3]
	v_add_f64_e32 v[14:15], 0, v[18:19]
	s_and_saveexec_b32 s1, s18
	s_cbranch_execz .LBB186_87
; %bb.86:                               ;   in Loop: Header=BB186_3 Depth=1
	ds_load_b128 v[16:19], v59 offset:16272
	ds_load_b128 v[204:207], v58 offset:13056
	s_wait_dscnt 0x0
	v_mul_f64_e32 v[2:3], v[18:19], v[206:207]
	s_delay_alu instid0(VALU_DEP_1) | instskip(SKIP_1) | instid1(VALU_DEP_2)
	v_fma_f64 v[2:3], v[16:17], v[204:205], -v[2:3]
	v_mul_f64_e32 v[16:17], v[16:17], v[206:207]
	v_add_f64_e32 v[12:13], v[12:13], v[2:3]
	s_delay_alu instid0(VALU_DEP_2) | instskip(NEXT) | instid1(VALU_DEP_1)
	v_fmac_f64_e32 v[16:17], v[18:19], v[204:205]
	v_add_f64_e32 v[14:15], v[14:15], v[16:17]
.LBB186_87:                             ;   in Loop: Header=BB186_3 Depth=1
	s_or_b32 exec_lo, exec_lo, s1
	s_and_saveexec_b32 s1, s11
	s_cbranch_execz .LBB186_89
; %bb.88:                               ;   in Loop: Header=BB186_3 Depth=1
	ds_load_b128 v[16:19], v59 offset:16288
	ds_load_b128 v[204:207], v58 offset:13568
	s_wait_dscnt 0x0
	v_mul_f64_e32 v[2:3], v[18:19], v[206:207]
	s_delay_alu instid0(VALU_DEP_1) | instskip(SKIP_1) | instid1(VALU_DEP_2)
	v_fma_f64 v[2:3], v[16:17], v[204:205], -v[2:3]
	v_mul_f64_e32 v[16:17], v[16:17], v[206:207]
	v_add_f64_e32 v[12:13], v[12:13], v[2:3]
	s_delay_alu instid0(VALU_DEP_2) | instskip(NEXT) | instid1(VALU_DEP_1)
	v_fmac_f64_e32 v[16:17], v[18:19], v[204:205]
	v_add_f64_e32 v[14:15], v[14:15], v[16:17]
.LBB186_89:                             ;   in Loop: Header=BB186_3 Depth=1
	s_or_b32 exec_lo, exec_lo, s1
	v_readlane_b32 s18, v203, 1
	s_and_saveexec_b32 s1, s18
	s_cbranch_execz .LBB186_91
; %bb.90:                               ;   in Loop: Header=BB186_3 Depth=1
	ds_load_b128 v[16:19], v59 offset:16304
	ds_load_b128 v[204:207], v58 offset:14080
	s_wait_dscnt 0x0
	v_mul_f64_e32 v[2:3], v[18:19], v[206:207]
	s_delay_alu instid0(VALU_DEP_1) | instskip(SKIP_1) | instid1(VALU_DEP_2)
	v_fma_f64 v[2:3], v[16:17], v[204:205], -v[2:3]
	v_mul_f64_e32 v[16:17], v[16:17], v[206:207]
	v_add_f64_e32 v[12:13], v[12:13], v[2:3]
	s_delay_alu instid0(VALU_DEP_2) | instskip(NEXT) | instid1(VALU_DEP_1)
	v_fmac_f64_e32 v[16:17], v[18:19], v[204:205]
	v_add_f64_e32 v[14:15], v[14:15], v[16:17]
.LBB186_91:                             ;   in Loop: Header=BB186_3 Depth=1
	s_or_b32 exec_lo, exec_lo, s1
	s_and_saveexec_b32 s1, s13
	s_cbranch_execz .LBB186_93
; %bb.92:                               ;   in Loop: Header=BB186_3 Depth=1
	ds_load_b128 v[16:19], v59 offset:16320
	ds_load_b128 v[204:207], v58 offset:14592
	s_wait_dscnt 0x0
	v_mul_f64_e32 v[2:3], v[18:19], v[206:207]
	s_delay_alu instid0(VALU_DEP_1) | instskip(SKIP_1) | instid1(VALU_DEP_2)
	v_fma_f64 v[2:3], v[16:17], v[204:205], -v[2:3]
	v_mul_f64_e32 v[16:17], v[16:17], v[206:207]
	v_add_f64_e32 v[12:13], v[12:13], v[2:3]
	s_delay_alu instid0(VALU_DEP_2) | instskip(NEXT) | instid1(VALU_DEP_1)
	v_fmac_f64_e32 v[16:17], v[18:19], v[204:205]
	v_add_f64_e32 v[14:15], v[14:15], v[16:17]
.LBB186_93:                             ;   in Loop: Header=BB186_3 Depth=1
	s_or_b32 exec_lo, exec_lo, s1
	v_readlane_b32 s18, v203, 2
	s_and_saveexec_b32 s1, s18
	s_cbranch_execnz .LBB186_560
; %bb.94:                               ;   in Loop: Header=BB186_3 Depth=1
	s_or_b32 exec_lo, exec_lo, s1
	s_and_saveexec_b32 s1, s6
	s_cbranch_execnz .LBB186_561
.LBB186_95:                             ;   in Loop: Header=BB186_3 Depth=1
	s_or_b32 exec_lo, exec_lo, s1
	s_and_saveexec_b32 s1, s8
	s_cbranch_execz .LBB186_97
.LBB186_96:                             ;   in Loop: Header=BB186_3 Depth=1
	ds_load_b128 v[16:19], v1 offset:16368
	ds_load_b128 v[204:207], v48 offset:16128
	s_wait_dscnt 0x0
	v_mul_f64_e32 v[2:3], v[18:19], v[206:207]
	s_delay_alu instid0(VALU_DEP_1) | instskip(SKIP_1) | instid1(VALU_DEP_2)
	v_fma_f64 v[2:3], v[16:17], v[204:205], -v[2:3]
	v_mul_f64_e32 v[16:17], v[16:17], v[206:207]
	v_add_f64_e32 v[12:13], v[12:13], v[2:3]
	s_delay_alu instid0(VALU_DEP_2) | instskip(NEXT) | instid1(VALU_DEP_1)
	v_fmac_f64_e32 v[16:17], v[18:19], v[204:205]
	v_add_f64_e32 v[14:15], v[14:15], v[16:17]
.LBB186_97:                             ;   in Loop: Header=BB186_3 Depth=1
	s_or_b32 exec_lo, exec_lo, s1
.LBB186_98:                             ;   in Loop: Header=BB186_3 Depth=1
	s_delay_alu instid0(SALU_CYCLE_1)
	s_or_b32 exec_lo, exec_lo, s0
	s_and_saveexec_b32 s0, s73
	s_cbranch_execz .LBB186_100
; %bb.99:                               ;   in Loop: Header=BB186_3 Depth=1
	ds_load_b128 v[16:19], v1 offset:12144
	s_wait_dscnt 0x0
	v_mul_f64_e32 v[2:3], v[14:15], v[18:19]
	v_mul_f64_e32 v[18:19], v[12:13], v[18:19]
	s_delay_alu instid0(VALU_DEP_1) | instskip(NEXT) | instid1(VALU_DEP_1)
	v_fmac_f64_e32 v[18:19], v[14:15], v[16:17]
	v_dual_fma_f64 v[2:3], v[12:13], v[16:17], -v[2:3] :: v_dual_mov_b32 v14, v18
	s_delay_alu instid0(VALU_DEP_1) | instskip(NEXT) | instid1(VALU_DEP_3)
	v_xor_b32_e32 v13, 0x80000000, v3
	v_xor_b32_e32 v15, 0x80000000, v19
	s_delay_alu instid0(VALU_DEP_3)
	v_mov_b32_e32 v12, v2
	ds_store_b128 v57, v[12:15]
	v_mov_b64_e32 v[12:13], v[2:3]
	v_mov_b64_e32 v[14:15], v[18:19]
.LBB186_100:                            ;   in Loop: Header=BB186_3 Depth=1
	s_or_b32 exec_lo, exec_lo, s0
	s_wait_loadcnt_dscnt 0x0
	s_barrier_signal -1
	s_barrier_wait -1
	s_and_saveexec_b32 s0, s74
	s_cbranch_execz .LBB186_102
; %bb.101:                              ;   in Loop: Header=BB186_3 Depth=1
	ds_load_b128 v[16:19], v57
	ds_load_b128 v[204:207], v58 offset:12032
	s_wait_dscnt 0x0
	v_mul_f64_e32 v[2:3], v[18:19], v[206:207]
	s_delay_alu instid0(VALU_DEP_1) | instskip(SKIP_1) | instid1(VALU_DEP_2)
	v_fma_f64 v[2:3], v[16:17], v[204:205], -v[2:3]
	v_mul_f64_e32 v[16:17], v[16:17], v[206:207]
	v_add_f64_e64 v[12:13], v[12:13], -v[2:3]
	s_delay_alu instid0(VALU_DEP_2) | instskip(NEXT) | instid1(VALU_DEP_1)
	v_fmac_f64_e32 v[16:17], v[18:19], v[204:205]
	v_add_f64_e64 v[14:15], v[14:15], -v[16:17]
.LBB186_102:                            ;   in Loop: Header=BB186_3 Depth=1
	s_or_b32 exec_lo, exec_lo, s0
	s_barrier_signal -1
	s_barrier_wait -1
	s_and_saveexec_b32 s0, s75
	s_cbranch_execz .LBB186_104
; %bb.103:                              ;   in Loop: Header=BB186_3 Depth=1
	ds_load_b128 v[16:19], v1 offset:11616
	s_wait_dscnt 0x0
	v_mul_f64_e32 v[2:3], v[14:15], v[18:19]
	v_mul_f64_e32 v[18:19], v[12:13], v[18:19]
	s_delay_alu instid0(VALU_DEP_1) | instskip(NEXT) | instid1(VALU_DEP_1)
	v_fmac_f64_e32 v[18:19], v[14:15], v[16:17]
	v_dual_fma_f64 v[2:3], v[12:13], v[16:17], -v[2:3] :: v_dual_mov_b32 v14, v18
	s_delay_alu instid0(VALU_DEP_1) | instskip(NEXT) | instid1(VALU_DEP_3)
	v_xor_b32_e32 v13, 0x80000000, v3
	v_xor_b32_e32 v15, 0x80000000, v19
	s_delay_alu instid0(VALU_DEP_3)
	v_mov_b32_e32 v12, v2
	ds_store_b128 v57, v[12:15]
	v_mov_b64_e32 v[12:13], v[2:3]
	v_mov_b64_e32 v[14:15], v[18:19]
.LBB186_104:                            ;   in Loop: Header=BB186_3 Depth=1
	s_or_b32 exec_lo, exec_lo, s0
	s_wait_dscnt 0x0
	s_barrier_signal -1
	s_barrier_wait -1
	s_and_saveexec_b32 s0, s76
	s_cbranch_execz .LBB186_106
; %bb.105:                              ;   in Loop: Header=BB186_3 Depth=1
	ds_load_b128 v[16:19], v57
	ds_load_b128 v[204:207], v58 offset:11520
	s_wait_dscnt 0x0
	v_mul_f64_e32 v[2:3], v[18:19], v[206:207]
	s_delay_alu instid0(VALU_DEP_1) | instskip(SKIP_1) | instid1(VALU_DEP_2)
	v_fma_f64 v[2:3], v[16:17], v[204:205], -v[2:3]
	v_mul_f64_e32 v[16:17], v[16:17], v[206:207]
	v_add_f64_e64 v[12:13], v[12:13], -v[2:3]
	s_delay_alu instid0(VALU_DEP_2) | instskip(NEXT) | instid1(VALU_DEP_1)
	v_fmac_f64_e32 v[16:17], v[18:19], v[204:205]
	v_add_f64_e64 v[14:15], v[14:15], -v[16:17]
.LBB186_106:                            ;   in Loop: Header=BB186_3 Depth=1
	s_or_b32 exec_lo, exec_lo, s0
	s_barrier_signal -1
	s_barrier_wait -1
	s_and_saveexec_b32 s0, s77
	s_cbranch_execz .LBB186_108
; %bb.107:                              ;   in Loop: Header=BB186_3 Depth=1
	ds_load_b128 v[16:19], v1 offset:11088
	s_wait_dscnt 0x0
	v_mul_f64_e32 v[2:3], v[14:15], v[18:19]
	v_mul_f64_e32 v[18:19], v[12:13], v[18:19]
	s_delay_alu instid0(VALU_DEP_1) | instskip(NEXT) | instid1(VALU_DEP_1)
	v_fmac_f64_e32 v[18:19], v[14:15], v[16:17]
	v_dual_fma_f64 v[2:3], v[12:13], v[16:17], -v[2:3] :: v_dual_mov_b32 v14, v18
	s_delay_alu instid0(VALU_DEP_1) | instskip(NEXT) | instid1(VALU_DEP_3)
	v_xor_b32_e32 v13, 0x80000000, v3
	v_xor_b32_e32 v15, 0x80000000, v19
	s_delay_alu instid0(VALU_DEP_3)
	v_mov_b32_e32 v12, v2
	ds_store_b128 v57, v[12:15]
	v_mov_b64_e32 v[12:13], v[2:3]
	v_mov_b64_e32 v[14:15], v[18:19]
.LBB186_108:                            ;   in Loop: Header=BB186_3 Depth=1
	s_or_b32 exec_lo, exec_lo, s0
	s_wait_dscnt 0x0
	s_barrier_signal -1
	s_barrier_wait -1
	s_and_saveexec_b32 s0, s78
	s_cbranch_execz .LBB186_110
; %bb.109:                              ;   in Loop: Header=BB186_3 Depth=1
	ds_load_b128 v[16:19], v57
	ds_load_b128 v[204:207], v58 offset:11008
	s_wait_dscnt 0x0
	v_mul_f64_e32 v[2:3], v[18:19], v[206:207]
	s_delay_alu instid0(VALU_DEP_1) | instskip(SKIP_1) | instid1(VALU_DEP_2)
	v_fma_f64 v[2:3], v[16:17], v[204:205], -v[2:3]
	v_mul_f64_e32 v[16:17], v[16:17], v[206:207]
	v_add_f64_e64 v[12:13], v[12:13], -v[2:3]
	s_delay_alu instid0(VALU_DEP_2) | instskip(NEXT) | instid1(VALU_DEP_1)
	v_fmac_f64_e32 v[16:17], v[18:19], v[204:205]
	v_add_f64_e64 v[14:15], v[14:15], -v[16:17]
.LBB186_110:                            ;   in Loop: Header=BB186_3 Depth=1
	s_or_b32 exec_lo, exec_lo, s0
	s_barrier_signal -1
	s_barrier_wait -1
	s_and_saveexec_b32 s0, s79
	s_cbranch_execz .LBB186_112
; %bb.111:                              ;   in Loop: Header=BB186_3 Depth=1
	ds_load_b128 v[16:19], v1 offset:10560
	s_wait_dscnt 0x0
	v_mul_f64_e32 v[2:3], v[14:15], v[18:19]
	v_mul_f64_e32 v[18:19], v[12:13], v[18:19]
	s_delay_alu instid0(VALU_DEP_1) | instskip(NEXT) | instid1(VALU_DEP_1)
	v_fmac_f64_e32 v[18:19], v[14:15], v[16:17]
	v_dual_fma_f64 v[2:3], v[12:13], v[16:17], -v[2:3] :: v_dual_mov_b32 v14, v18
	s_delay_alu instid0(VALU_DEP_1) | instskip(NEXT) | instid1(VALU_DEP_3)
	v_xor_b32_e32 v13, 0x80000000, v3
	v_xor_b32_e32 v15, 0x80000000, v19
	s_delay_alu instid0(VALU_DEP_3)
	v_mov_b32_e32 v12, v2
	ds_store_b128 v57, v[12:15]
	v_mov_b64_e32 v[12:13], v[2:3]
	v_mov_b64_e32 v[14:15], v[18:19]
.LBB186_112:                            ;   in Loop: Header=BB186_3 Depth=1
	s_or_b32 exec_lo, exec_lo, s0
	s_wait_dscnt 0x0
	s_barrier_signal -1
	s_barrier_wait -1
	s_and_saveexec_b32 s0, s80
	s_cbranch_execz .LBB186_114
; %bb.113:                              ;   in Loop: Header=BB186_3 Depth=1
	ds_load_b128 v[16:19], v57
	ds_load_b128 v[204:207], v58 offset:10496
	s_wait_dscnt 0x0
	v_mul_f64_e32 v[2:3], v[18:19], v[206:207]
	s_delay_alu instid0(VALU_DEP_1) | instskip(SKIP_1) | instid1(VALU_DEP_2)
	v_fma_f64 v[2:3], v[16:17], v[204:205], -v[2:3]
	v_mul_f64_e32 v[16:17], v[16:17], v[206:207]
	v_add_f64_e64 v[12:13], v[12:13], -v[2:3]
	s_delay_alu instid0(VALU_DEP_2) | instskip(NEXT) | instid1(VALU_DEP_1)
	v_fmac_f64_e32 v[16:17], v[18:19], v[204:205]
	v_add_f64_e64 v[14:15], v[14:15], -v[16:17]
.LBB186_114:                            ;   in Loop: Header=BB186_3 Depth=1
	s_or_b32 exec_lo, exec_lo, s0
	s_barrier_signal -1
	s_barrier_wait -1
	s_and_saveexec_b32 s0, s81
	s_cbranch_execz .LBB186_116
; %bb.115:                              ;   in Loop: Header=BB186_3 Depth=1
	ds_load_b128 v[16:19], v1 offset:10032
	s_wait_dscnt 0x0
	v_mul_f64_e32 v[2:3], v[14:15], v[18:19]
	v_mul_f64_e32 v[18:19], v[12:13], v[18:19]
	s_delay_alu instid0(VALU_DEP_1) | instskip(NEXT) | instid1(VALU_DEP_1)
	v_fmac_f64_e32 v[18:19], v[14:15], v[16:17]
	v_dual_fma_f64 v[2:3], v[12:13], v[16:17], -v[2:3] :: v_dual_mov_b32 v14, v18
	s_delay_alu instid0(VALU_DEP_1) | instskip(NEXT) | instid1(VALU_DEP_3)
	v_xor_b32_e32 v13, 0x80000000, v3
	v_xor_b32_e32 v15, 0x80000000, v19
	s_delay_alu instid0(VALU_DEP_3)
	v_mov_b32_e32 v12, v2
	ds_store_b128 v57, v[12:15]
	v_mov_b64_e32 v[12:13], v[2:3]
	v_mov_b64_e32 v[14:15], v[18:19]
.LBB186_116:                            ;   in Loop: Header=BB186_3 Depth=1
	s_or_b32 exec_lo, exec_lo, s0
	s_wait_dscnt 0x0
	s_barrier_signal -1
	s_barrier_wait -1
	s_and_saveexec_b32 s0, s82
	s_cbranch_execz .LBB186_118
; %bb.117:                              ;   in Loop: Header=BB186_3 Depth=1
	ds_load_b128 v[16:19], v57
	ds_load_b128 v[204:207], v58 offset:9984
	s_wait_dscnt 0x0
	v_mul_f64_e32 v[2:3], v[18:19], v[206:207]
	s_delay_alu instid0(VALU_DEP_1) | instskip(SKIP_1) | instid1(VALU_DEP_2)
	v_fma_f64 v[2:3], v[16:17], v[204:205], -v[2:3]
	v_mul_f64_e32 v[16:17], v[16:17], v[206:207]
	v_add_f64_e64 v[12:13], v[12:13], -v[2:3]
	s_delay_alu instid0(VALU_DEP_2) | instskip(NEXT) | instid1(VALU_DEP_1)
	v_fmac_f64_e32 v[16:17], v[18:19], v[204:205]
	v_add_f64_e64 v[14:15], v[14:15], -v[16:17]
.LBB186_118:                            ;   in Loop: Header=BB186_3 Depth=1
	s_or_b32 exec_lo, exec_lo, s0
	s_barrier_signal -1
	s_barrier_wait -1
	s_and_saveexec_b32 s0, s83
	s_cbranch_execz .LBB186_120
; %bb.119:                              ;   in Loop: Header=BB186_3 Depth=1
	ds_load_b128 v[16:19], v1 offset:9504
	s_wait_dscnt 0x0
	v_mul_f64_e32 v[2:3], v[14:15], v[18:19]
	v_mul_f64_e32 v[18:19], v[12:13], v[18:19]
	s_delay_alu instid0(VALU_DEP_1) | instskip(NEXT) | instid1(VALU_DEP_1)
	v_fmac_f64_e32 v[18:19], v[14:15], v[16:17]
	v_dual_fma_f64 v[2:3], v[12:13], v[16:17], -v[2:3] :: v_dual_mov_b32 v14, v18
	s_delay_alu instid0(VALU_DEP_1) | instskip(NEXT) | instid1(VALU_DEP_3)
	v_xor_b32_e32 v13, 0x80000000, v3
	v_xor_b32_e32 v15, 0x80000000, v19
	s_delay_alu instid0(VALU_DEP_3)
	v_mov_b32_e32 v12, v2
	ds_store_b128 v57, v[12:15]
	v_mov_b64_e32 v[12:13], v[2:3]
	v_mov_b64_e32 v[14:15], v[18:19]
.LBB186_120:                            ;   in Loop: Header=BB186_3 Depth=1
	s_or_b32 exec_lo, exec_lo, s0
	s_wait_dscnt 0x0
	s_barrier_signal -1
	s_barrier_wait -1
	s_and_saveexec_b32 s0, s84
	s_cbranch_execz .LBB186_122
; %bb.121:                              ;   in Loop: Header=BB186_3 Depth=1
	ds_load_b128 v[16:19], v57
	ds_load_b128 v[204:207], v58 offset:9472
	s_wait_dscnt 0x0
	v_mul_f64_e32 v[2:3], v[18:19], v[206:207]
	s_delay_alu instid0(VALU_DEP_1) | instskip(SKIP_1) | instid1(VALU_DEP_2)
	v_fma_f64 v[2:3], v[16:17], v[204:205], -v[2:3]
	v_mul_f64_e32 v[16:17], v[16:17], v[206:207]
	v_add_f64_e64 v[12:13], v[12:13], -v[2:3]
	s_delay_alu instid0(VALU_DEP_2) | instskip(NEXT) | instid1(VALU_DEP_1)
	v_fmac_f64_e32 v[16:17], v[18:19], v[204:205]
	v_add_f64_e64 v[14:15], v[14:15], -v[16:17]
.LBB186_122:                            ;   in Loop: Header=BB186_3 Depth=1
	s_or_b32 exec_lo, exec_lo, s0
	s_barrier_signal -1
	s_barrier_wait -1
	s_and_saveexec_b32 s0, s85
	s_cbranch_execz .LBB186_124
; %bb.123:                              ;   in Loop: Header=BB186_3 Depth=1
	ds_load_b128 v[16:19], v1 offset:8976
	s_wait_dscnt 0x0
	v_mul_f64_e32 v[2:3], v[14:15], v[18:19]
	v_mul_f64_e32 v[18:19], v[12:13], v[18:19]
	s_delay_alu instid0(VALU_DEP_1) | instskip(NEXT) | instid1(VALU_DEP_1)
	v_fmac_f64_e32 v[18:19], v[14:15], v[16:17]
	v_dual_fma_f64 v[2:3], v[12:13], v[16:17], -v[2:3] :: v_dual_mov_b32 v14, v18
	s_delay_alu instid0(VALU_DEP_1) | instskip(NEXT) | instid1(VALU_DEP_3)
	v_xor_b32_e32 v13, 0x80000000, v3
	v_xor_b32_e32 v15, 0x80000000, v19
	s_delay_alu instid0(VALU_DEP_3)
	v_mov_b32_e32 v12, v2
	ds_store_b128 v57, v[12:15]
	v_mov_b64_e32 v[12:13], v[2:3]
	v_mov_b64_e32 v[14:15], v[18:19]
.LBB186_124:                            ;   in Loop: Header=BB186_3 Depth=1
	s_or_b32 exec_lo, exec_lo, s0
	s_wait_dscnt 0x0
	s_barrier_signal -1
	s_barrier_wait -1
	s_and_saveexec_b32 s0, s86
	s_cbranch_execz .LBB186_126
; %bb.125:                              ;   in Loop: Header=BB186_3 Depth=1
	ds_load_b128 v[16:19], v57
	ds_load_b128 v[204:207], v1 offset:8960
	s_wait_dscnt 0x0
	v_mul_f64_e32 v[2:3], v[18:19], v[206:207]
	s_delay_alu instid0(VALU_DEP_1) | instskip(SKIP_1) | instid1(VALU_DEP_2)
	v_fma_f64 v[2:3], v[16:17], v[204:205], -v[2:3]
	v_mul_f64_e32 v[16:17], v[16:17], v[206:207]
	v_add_f64_e64 v[12:13], v[12:13], -v[2:3]
	s_delay_alu instid0(VALU_DEP_2) | instskip(NEXT) | instid1(VALU_DEP_1)
	v_fmac_f64_e32 v[16:17], v[18:19], v[204:205]
	v_add_f64_e64 v[14:15], v[14:15], -v[16:17]
.LBB186_126:                            ;   in Loop: Header=BB186_3 Depth=1
	s_or_b32 exec_lo, exec_lo, s0
	s_barrier_signal -1
	s_barrier_wait -1
	s_and_saveexec_b32 s0, s86
	s_cbranch_execz .LBB186_128
; %bb.127:                              ;   in Loop: Header=BB186_3 Depth=1
	ds_load_b128 v[16:19], v1 offset:8448
	s_wait_dscnt 0x0
	v_mul_f64_e32 v[2:3], v[14:15], v[18:19]
	v_mul_f64_e32 v[18:19], v[12:13], v[18:19]
	s_delay_alu instid0(VALU_DEP_1) | instskip(NEXT) | instid1(VALU_DEP_1)
	v_fmac_f64_e32 v[18:19], v[14:15], v[16:17]
	v_dual_fma_f64 v[2:3], v[12:13], v[16:17], -v[2:3] :: v_dual_mov_b32 v14, v18
	s_delay_alu instid0(VALU_DEP_1) | instskip(NEXT) | instid1(VALU_DEP_3)
	v_xor_b32_e32 v13, 0x80000000, v3
	v_xor_b32_e32 v15, 0x80000000, v19
	s_delay_alu instid0(VALU_DEP_3)
	v_mov_b32_e32 v12, v2
	ds_store_b128 v57, v[12:15]
	v_mov_b64_e32 v[12:13], v[2:3]
	v_mov_b64_e32 v[14:15], v[18:19]
.LBB186_128:                            ;   in Loop: Header=BB186_3 Depth=1
	s_or_b32 exec_lo, exec_lo, s0
	s_wait_dscnt 0x0
	s_barrier_signal -1
	s_barrier_wait -1
	s_barrier_signal -1
	s_barrier_wait -1
	s_and_saveexec_b32 s0, s9
; %bb.129:                              ;   in Loop: Header=BB186_3 Depth=1
	ds_store_b128 v60, v[12:15] offset:16128
; %bb.130:                              ;   in Loop: Header=BB186_3 Depth=1
	s_or_b32 exec_lo, exec_lo, s0
	s_wait_dscnt 0x0
	s_barrier_signal -1
	s_barrier_wait -1
	s_barrier_signal -1
	s_barrier_wait -1
	s_and_saveexec_b32 s0, s87
	s_cbranch_execz .LBB186_132
; %bb.131:                              ;   in Loop: Header=BB186_3 Depth=1
	ds_load_b128 v[12:15], v61
	s_wait_dscnt 0x0
	ds_store_b128 v147, v[12:15]
	ds_load_b128 v[12:15], v62
	s_wait_dscnt 0x0
	ds_store_b128 v148, v[12:15]
	;; [unrolled: 3-line block ×8, first 2 shown]
.LBB186_132:                            ;   in Loop: Header=BB186_3 Depth=1
	s_or_b32 exec_lo, exec_lo, s0
	s_wait_dscnt 0x0
	s_barrier_signal -1
	s_barrier_wait -1
	s_and_saveexec_b32 s0, s31
	s_cbranch_execz .LBB186_134
; %bb.133:                              ;   in Loop: Header=BB186_3 Depth=1
	ds_load_b128 v[12:15], v1 offset:12144
	ds_load_b128 v[16:19], v1 offset:11616
	s_wait_dscnt 0x0
	v_mul_f64_e32 v[2:3], v[14:15], v[18:19]
	v_mul_f64_e32 v[42:43], v[12:13], v[18:19]
	s_delay_alu instid0(VALU_DEP_2) | instskip(NEXT) | instid1(VALU_DEP_2)
	v_fma_f64 v[2:3], v[12:13], v[16:17], -v[2:3]
	v_fmac_f64_e32 v[42:43], v[14:15], v[16:17]
	ds_load_b128 v[12:15], v1 offset:12128
	s_wait_dscnt 0x0
	v_mul_f64_e32 v[18:19], v[2:3], v[14:15]
	v_mul_f64_e32 v[16:17], v[42:43], v[14:15]
	s_delay_alu instid0(VALU_DEP_2) | instskip(NEXT) | instid1(VALU_DEP_2)
	v_fmac_f64_e32 v[18:19], v[12:13], v[42:43]
	v_fma_f64 v[16:17], v[12:13], v[2:3], -v[16:17]
	ds_store_b128 v1, v[16:19] offset:12128
	ds_store_b128 v1, v[16:19] offset:11632
.LBB186_134:                            ;   in Loop: Header=BB186_3 Depth=1
	s_or_b32 exec_lo, exec_lo, s0
	v_mov_b64_e32 v[12:13], 0
	v_mov_b64_e32 v[14:15], 0
	s_wait_dscnt 0x0
	s_barrier_signal -1
	s_barrier_wait -1
	global_wb scope:SCOPE_DEV
	s_wait_storecnt 0x0
	global_inv scope:SCOPE_DEV
	s_and_saveexec_b32 s0, s3
	s_cbranch_execz .LBB186_138
; %bb.135:                              ;   in Loop: Header=BB186_3 Depth=1
	ds_load_b128 v[12:15], v47 offset:12128
	ds_load_b128 v[16:19], v46 offset:11584
	s_wait_dscnt 0x0
	v_mul_f64_e32 v[2:3], v[14:15], v[18:19]
	v_mul_f64_e32 v[18:19], v[12:13], v[18:19]
	s_delay_alu instid0(VALU_DEP_2) | instskip(NEXT) | instid1(VALU_DEP_2)
	v_fma_f64 v[2:3], v[12:13], v[16:17], -v[2:3]
	v_fmac_f64_e32 v[18:19], v[14:15], v[16:17]
	s_delay_alu instid0(VALU_DEP_2) | instskip(NEXT) | instid1(VALU_DEP_2)
	v_add_f64_e32 v[12:13], 0, v[2:3]
	v_add_f64_e32 v[14:15], 0, v[18:19]
	s_and_saveexec_b32 s1, s4
	s_cbranch_execz .LBB186_137
; %bb.136:                              ;   in Loop: Header=BB186_3 Depth=1
	ds_load_b128 v[16:19], v1 offset:12144
	ds_load_b128 v[204:207], v52 offset:12096
	s_wait_dscnt 0x0
	v_mul_f64_e32 v[2:3], v[18:19], v[206:207]
	s_delay_alu instid0(VALU_DEP_1) | instskip(SKIP_1) | instid1(VALU_DEP_2)
	v_fma_f64 v[2:3], v[16:17], v[204:205], -v[2:3]
	v_mul_f64_e32 v[16:17], v[16:17], v[206:207]
	v_add_f64_e32 v[12:13], v[12:13], v[2:3]
	s_delay_alu instid0(VALU_DEP_2) | instskip(NEXT) | instid1(VALU_DEP_1)
	v_fmac_f64_e32 v[16:17], v[18:19], v[204:205]
	v_add_f64_e32 v[14:15], v[14:15], v[16:17]
.LBB186_137:                            ;   in Loop: Header=BB186_3 Depth=1
	s_or_b32 exec_lo, exec_lo, s1
.LBB186_138:                            ;   in Loop: Header=BB186_3 Depth=1
	s_delay_alu instid0(SALU_CYCLE_1)
	s_or_b32 exec_lo, exec_lo, s0
	s_and_saveexec_b32 s0, s63
	s_cbranch_execz .LBB186_140
; %bb.139:                              ;   in Loop: Header=BB186_3 Depth=1
	ds_load_b128 v[16:19], v1 offset:11088
	s_wait_dscnt 0x0
	v_mul_f64_e32 v[2:3], v[14:15], v[18:19]
	v_mul_f64_e32 v[18:19], v[12:13], v[18:19]
	s_delay_alu instid0(VALU_DEP_1) | instskip(NEXT) | instid1(VALU_DEP_1)
	v_fmac_f64_e32 v[18:19], v[14:15], v[16:17]
	v_dual_fma_f64 v[2:3], v[12:13], v[16:17], -v[2:3] :: v_dual_mov_b32 v14, v18
	s_delay_alu instid0(VALU_DEP_1) | instskip(NEXT) | instid1(VALU_DEP_3)
	v_xor_b32_e32 v13, 0x80000000, v3
	v_xor_b32_e32 v15, 0x80000000, v19
	s_delay_alu instid0(VALU_DEP_3)
	v_mov_b32_e32 v12, v2
	ds_store_b128 v21, v[12:15]
	v_mov_b64_e32 v[12:13], v[2:3]
	v_mov_b64_e32 v[14:15], v[18:19]
.LBB186_140:                            ;   in Loop: Header=BB186_3 Depth=1
	s_or_b32 exec_lo, exec_lo, s0
	s_wait_loadcnt_dscnt 0x0
	s_barrier_signal -1
	s_barrier_wait -1
	s_and_saveexec_b32 s0, s64
	s_cbranch_execz .LBB186_142
; %bb.141:                              ;   in Loop: Header=BB186_3 Depth=1
	ds_load_b128 v[16:19], v21
	ds_load_b128 v[204:207], v1 offset:11072
	s_wait_dscnt 0x0
	v_mul_f64_e32 v[2:3], v[18:19], v[206:207]
	s_delay_alu instid0(VALU_DEP_1) | instskip(SKIP_1) | instid1(VALU_DEP_2)
	v_fma_f64 v[2:3], v[16:17], v[204:205], -v[2:3]
	v_mul_f64_e32 v[16:17], v[16:17], v[206:207]
	v_add_f64_e64 v[12:13], v[12:13], -v[2:3]
	s_delay_alu instid0(VALU_DEP_2) | instskip(NEXT) | instid1(VALU_DEP_1)
	v_fmac_f64_e32 v[16:17], v[18:19], v[204:205]
	v_add_f64_e64 v[14:15], v[14:15], -v[16:17]
.LBB186_142:                            ;   in Loop: Header=BB186_3 Depth=1
	s_or_b32 exec_lo, exec_lo, s0
	s_barrier_signal -1
	s_barrier_wait -1
	s_and_saveexec_b32 s0, s64
	s_cbranch_execz .LBB186_144
; %bb.143:                              ;   in Loop: Header=BB186_3 Depth=1
	ds_load_b128 v[16:19], v1 offset:10560
	s_wait_dscnt 0x0
	v_mul_f64_e32 v[2:3], v[14:15], v[18:19]
	v_mul_f64_e32 v[18:19], v[12:13], v[18:19]
	s_delay_alu instid0(VALU_DEP_1) | instskip(NEXT) | instid1(VALU_DEP_1)
	v_fmac_f64_e32 v[18:19], v[14:15], v[16:17]
	v_dual_fma_f64 v[2:3], v[12:13], v[16:17], -v[2:3] :: v_dual_mov_b32 v14, v18
	s_delay_alu instid0(VALU_DEP_1) | instskip(NEXT) | instid1(VALU_DEP_3)
	v_xor_b32_e32 v13, 0x80000000, v3
	v_xor_b32_e32 v15, 0x80000000, v19
	s_delay_alu instid0(VALU_DEP_3)
	v_mov_b32_e32 v12, v2
	ds_store_b128 v21, v[12:15]
	v_mov_b64_e32 v[12:13], v[2:3]
	v_mov_b64_e32 v[14:15], v[18:19]
.LBB186_144:                            ;   in Loop: Header=BB186_3 Depth=1
	s_or_b32 exec_lo, exec_lo, s0
	s_wait_dscnt 0x0
	s_barrier_signal -1
	s_barrier_wait -1
	s_barrier_signal -1
	s_barrier_wait -1
	s_and_saveexec_b32 s0, s3
; %bb.145:                              ;   in Loop: Header=BB186_3 Depth=1
	ds_store_b128 v49, v[12:15] offset:12096
; %bb.146:                              ;   in Loop: Header=BB186_3 Depth=1
	s_or_b32 exec_lo, exec_lo, s0
	s_wait_dscnt 0x0
	s_barrier_signal -1
	s_barrier_wait -1
	s_barrier_signal -1
	s_barrier_wait -1
	s_and_saveexec_b32 s0, s65
	s_cbranch_execz .LBB186_148
; %bb.147:                              ;   in Loop: Header=BB186_3 Depth=1
	ds_load_b128 v[12:15], v104
	s_wait_dscnt 0x0
	ds_store_b128 v155, v[12:15]
	ds_load_b128 v[12:15], v105
	s_wait_dscnt 0x0
	ds_store_b128 v156, v[12:15]
.LBB186_148:                            ;   in Loop: Header=BB186_3 Depth=1
	s_or_b32 exec_lo, exec_lo, s0
	s_wait_dscnt 0x0
	s_barrier_signal -1
	s_barrier_wait -1
	s_and_saveexec_b32 s0, s31
	s_cbranch_execz .LBB186_150
; %bb.149:                              ;   in Loop: Header=BB186_3 Depth=1
	ds_load_b128 v[12:15], v1 offset:11088
	ds_load_b128 v[16:19], v1 offset:10560
	s_wait_dscnt 0x0
	v_mul_f64_e32 v[2:3], v[14:15], v[18:19]
	v_mul_f64_e32 v[42:43], v[12:13], v[18:19]
	s_delay_alu instid0(VALU_DEP_2) | instskip(NEXT) | instid1(VALU_DEP_2)
	v_fma_f64 v[2:3], v[12:13], v[16:17], -v[2:3]
	v_fmac_f64_e32 v[42:43], v[14:15], v[16:17]
	ds_load_b128 v[12:15], v1 offset:11072
	s_wait_dscnt 0x0
	v_mul_f64_e32 v[18:19], v[2:3], v[14:15]
	v_mul_f64_e32 v[16:17], v[42:43], v[14:15]
	s_delay_alu instid0(VALU_DEP_2) | instskip(NEXT) | instid1(VALU_DEP_2)
	v_fmac_f64_e32 v[18:19], v[12:13], v[42:43]
	v_fma_f64 v[16:17], v[12:13], v[2:3], -v[16:17]
	ds_store_b128 v1, v[16:19] offset:11072
	ds_store_b128 v1, v[16:19] offset:10576
.LBB186_150:                            ;   in Loop: Header=BB186_3 Depth=1
	s_or_b32 exec_lo, exec_lo, s0
	v_mov_b64_e32 v[14:15], 0
	v_mov_b64_e32 v[12:13], 0
	s_wait_dscnt 0x0
	s_barrier_signal -1
	s_barrier_wait -1
	global_wb scope:SCOPE_DEV
	s_wait_storecnt 0x0
	global_inv scope:SCOPE_DEV
	s_and_saveexec_b32 s0, s6
	s_cbranch_execz .LBB186_156
; %bb.151:                              ;   in Loop: Header=BB186_3 Depth=1
	ds_load_b128 v[12:15], v55 offset:12096
	ds_load_b128 v[16:19], v54 offset:10496
	s_wait_dscnt 0x0
	v_mul_f64_e32 v[2:3], v[14:15], v[18:19]
	v_mul_f64_e32 v[18:19], v[12:13], v[18:19]
	s_delay_alu instid0(VALU_DEP_2) | instskip(NEXT) | instid1(VALU_DEP_2)
	v_fma_f64 v[2:3], v[12:13], v[16:17], -v[2:3]
	v_fmac_f64_e32 v[18:19], v[14:15], v[16:17]
	s_delay_alu instid0(VALU_DEP_2) | instskip(NEXT) | instid1(VALU_DEP_2)
	v_add_f64_e32 v[12:13], 0, v[2:3]
	v_add_f64_e32 v[14:15], 0, v[18:19]
	s_and_saveexec_b32 s1, s7
	s_cbranch_execnz .LBB186_562
; %bb.152:                              ;   in Loop: Header=BB186_3 Depth=1
	s_or_b32 exec_lo, exec_lo, s1
	s_and_saveexec_b32 s1, s8
	s_cbranch_execnz .LBB186_563
.LBB186_153:                            ;   in Loop: Header=BB186_3 Depth=1
	s_or_b32 exec_lo, exec_lo, s1
	s_and_saveexec_b32 s1, s3
	s_cbranch_execz .LBB186_155
.LBB186_154:                            ;   in Loop: Header=BB186_3 Depth=1
	ds_load_b128 v[16:19], v1 offset:12144
	ds_load_b128 v[204:207], v103 offset:12032
	s_wait_dscnt 0x0
	v_mul_f64_e32 v[2:3], v[18:19], v[206:207]
	s_delay_alu instid0(VALU_DEP_1) | instskip(SKIP_1) | instid1(VALU_DEP_2)
	v_fma_f64 v[2:3], v[16:17], v[204:205], -v[2:3]
	v_mul_f64_e32 v[16:17], v[16:17], v[206:207]
	v_add_f64_e32 v[12:13], v[12:13], v[2:3]
	s_delay_alu instid0(VALU_DEP_2) | instskip(NEXT) | instid1(VALU_DEP_1)
	v_fmac_f64_e32 v[16:17], v[18:19], v[204:205]
	v_add_f64_e32 v[14:15], v[14:15], v[16:17]
.LBB186_155:                            ;   in Loop: Header=BB186_3 Depth=1
	s_or_b32 exec_lo, exec_lo, s1
.LBB186_156:                            ;   in Loop: Header=BB186_3 Depth=1
	s_delay_alu instid0(SALU_CYCLE_1)
	s_or_b32 exec_lo, exec_lo, s0
	s_and_saveexec_b32 s0, s66
	s_cbranch_execz .LBB186_158
; %bb.157:                              ;   in Loop: Header=BB186_3 Depth=1
	ds_load_b128 v[16:19], v1 offset:10032
	s_wait_dscnt 0x0
	v_mul_f64_e32 v[2:3], v[14:15], v[18:19]
	v_mul_f64_e32 v[18:19], v[12:13], v[18:19]
	s_delay_alu instid0(VALU_DEP_1) | instskip(NEXT) | instid1(VALU_DEP_1)
	v_fmac_f64_e32 v[18:19], v[14:15], v[16:17]
	v_dual_fma_f64 v[2:3], v[12:13], v[16:17], -v[2:3] :: v_dual_mov_b32 v14, v18
	s_delay_alu instid0(VALU_DEP_1) | instskip(NEXT) | instid1(VALU_DEP_3)
	v_xor_b32_e32 v13, 0x80000000, v3
	v_xor_b32_e32 v15, 0x80000000, v19
	s_delay_alu instid0(VALU_DEP_3)
	v_mov_b32_e32 v12, v2
	ds_store_b128 v53, v[12:15]
	v_mov_b64_e32 v[12:13], v[2:3]
	v_mov_b64_e32 v[14:15], v[18:19]
.LBB186_158:                            ;   in Loop: Header=BB186_3 Depth=1
	s_or_b32 exec_lo, exec_lo, s0
	s_wait_loadcnt_dscnt 0x0
	s_barrier_signal -1
	s_barrier_wait -1
	s_and_saveexec_b32 s0, s67
	s_cbranch_execz .LBB186_160
; %bb.159:                              ;   in Loop: Header=BB186_3 Depth=1
	ds_load_b128 v[16:19], v53
	ds_load_b128 v[204:207], v54 offset:9984
	s_wait_dscnt 0x0
	v_mul_f64_e32 v[2:3], v[18:19], v[206:207]
	s_delay_alu instid0(VALU_DEP_1) | instskip(SKIP_1) | instid1(VALU_DEP_2)
	v_fma_f64 v[2:3], v[16:17], v[204:205], -v[2:3]
	v_mul_f64_e32 v[16:17], v[16:17], v[206:207]
	v_add_f64_e64 v[12:13], v[12:13], -v[2:3]
	s_delay_alu instid0(VALU_DEP_2) | instskip(NEXT) | instid1(VALU_DEP_1)
	v_fmac_f64_e32 v[16:17], v[18:19], v[204:205]
	v_add_f64_e64 v[14:15], v[14:15], -v[16:17]
.LBB186_160:                            ;   in Loop: Header=BB186_3 Depth=1
	s_or_b32 exec_lo, exec_lo, s0
	s_barrier_signal -1
	s_barrier_wait -1
	s_and_saveexec_b32 s0, s68
	s_cbranch_execz .LBB186_162
; %bb.161:                              ;   in Loop: Header=BB186_3 Depth=1
	ds_load_b128 v[16:19], v1 offset:9504
	s_wait_dscnt 0x0
	v_mul_f64_e32 v[2:3], v[14:15], v[18:19]
	v_mul_f64_e32 v[18:19], v[12:13], v[18:19]
	s_delay_alu instid0(VALU_DEP_1) | instskip(NEXT) | instid1(VALU_DEP_1)
	v_fmac_f64_e32 v[18:19], v[14:15], v[16:17]
	v_dual_fma_f64 v[2:3], v[12:13], v[16:17], -v[2:3] :: v_dual_mov_b32 v14, v18
	s_delay_alu instid0(VALU_DEP_1) | instskip(NEXT) | instid1(VALU_DEP_3)
	v_xor_b32_e32 v13, 0x80000000, v3
	v_xor_b32_e32 v15, 0x80000000, v19
	s_delay_alu instid0(VALU_DEP_3)
	v_mov_b32_e32 v12, v2
	ds_store_b128 v53, v[12:15]
	v_mov_b64_e32 v[12:13], v[2:3]
	v_mov_b64_e32 v[14:15], v[18:19]
.LBB186_162:                            ;   in Loop: Header=BB186_3 Depth=1
	s_or_b32 exec_lo, exec_lo, s0
	s_wait_dscnt 0x0
	s_barrier_signal -1
	s_barrier_wait -1
	s_and_saveexec_b32 s0, s69
	s_cbranch_execz .LBB186_164
; %bb.163:                              ;   in Loop: Header=BB186_3 Depth=1
	ds_load_b128 v[16:19], v53
	ds_load_b128 v[204:207], v54 offset:9472
	s_wait_dscnt 0x0
	v_mul_f64_e32 v[2:3], v[18:19], v[206:207]
	s_delay_alu instid0(VALU_DEP_1) | instskip(SKIP_1) | instid1(VALU_DEP_2)
	v_fma_f64 v[2:3], v[16:17], v[204:205], -v[2:3]
	v_mul_f64_e32 v[16:17], v[16:17], v[206:207]
	v_add_f64_e64 v[12:13], v[12:13], -v[2:3]
	s_delay_alu instid0(VALU_DEP_2) | instskip(NEXT) | instid1(VALU_DEP_1)
	v_fmac_f64_e32 v[16:17], v[18:19], v[204:205]
	v_add_f64_e64 v[14:15], v[14:15], -v[16:17]
.LBB186_164:                            ;   in Loop: Header=BB186_3 Depth=1
	s_or_b32 exec_lo, exec_lo, s0
	s_barrier_signal -1
	s_barrier_wait -1
	s_and_saveexec_b32 s0, s70
	s_cbranch_execz .LBB186_166
; %bb.165:                              ;   in Loop: Header=BB186_3 Depth=1
	ds_load_b128 v[16:19], v1 offset:8976
	s_wait_dscnt 0x0
	v_mul_f64_e32 v[2:3], v[14:15], v[18:19]
	v_mul_f64_e32 v[18:19], v[12:13], v[18:19]
	s_delay_alu instid0(VALU_DEP_1) | instskip(NEXT) | instid1(VALU_DEP_1)
	v_fmac_f64_e32 v[18:19], v[14:15], v[16:17]
	v_dual_fma_f64 v[2:3], v[12:13], v[16:17], -v[2:3] :: v_dual_mov_b32 v14, v18
	s_delay_alu instid0(VALU_DEP_1) | instskip(NEXT) | instid1(VALU_DEP_3)
	v_xor_b32_e32 v13, 0x80000000, v3
	v_xor_b32_e32 v15, 0x80000000, v19
	s_delay_alu instid0(VALU_DEP_3)
	v_mov_b32_e32 v12, v2
	ds_store_b128 v53, v[12:15]
	v_mov_b64_e32 v[12:13], v[2:3]
	v_mov_b64_e32 v[14:15], v[18:19]
.LBB186_166:                            ;   in Loop: Header=BB186_3 Depth=1
	s_or_b32 exec_lo, exec_lo, s0
	s_wait_dscnt 0x0
	;; [unrolled: 41-line block ×3, first 2 shown]
	s_barrier_signal -1
	s_barrier_wait -1
	s_barrier_signal -1
	s_barrier_wait -1
	s_and_saveexec_b32 s0, s6
; %bb.171:                              ;   in Loop: Header=BB186_3 Depth=1
	ds_store_b128 v56, v[12:15] offset:12032
; %bb.172:                              ;   in Loop: Header=BB186_3 Depth=1
	s_or_b32 exec_lo, exec_lo, s0
	s_wait_dscnt 0x0
	s_barrier_signal -1
	s_barrier_wait -1
	s_barrier_signal -1
	s_barrier_wait -1
	s_and_saveexec_b32 s0, s72
	s_cbranch_execz .LBB186_174
; %bb.173:                              ;   in Loop: Header=BB186_3 Depth=1
	ds_load_b128 v[12:15], v115
	s_wait_dscnt 0x0
	ds_store_b128 v157, v[12:15]
	ds_load_b128 v[12:15], v118
	s_wait_dscnt 0x0
	ds_store_b128 v160, v[12:15]
	;; [unrolled: 3-line block ×4, first 2 shown]
.LBB186_174:                            ;   in Loop: Header=BB186_3 Depth=1
	s_or_b32 exec_lo, exec_lo, s0
	s_wait_dscnt 0x0
	s_barrier_signal -1
	s_barrier_wait -1
	s_and_saveexec_b32 s0, s31
	s_cbranch_execz .LBB186_176
; %bb.175:                              ;   in Loop: Header=BB186_3 Depth=1
	ds_load_b128 v[12:15], v1 offset:10032
	ds_load_b128 v[16:19], v1 offset:9504
	s_wait_dscnt 0x0
	v_mul_f64_e32 v[2:3], v[14:15], v[18:19]
	v_mul_f64_e32 v[42:43], v[12:13], v[18:19]
	s_delay_alu instid0(VALU_DEP_2) | instskip(NEXT) | instid1(VALU_DEP_2)
	v_fma_f64 v[2:3], v[12:13], v[16:17], -v[2:3]
	v_fmac_f64_e32 v[42:43], v[14:15], v[16:17]
	ds_load_b128 v[12:15], v1 offset:10016
	s_wait_dscnt 0x0
	v_mul_f64_e32 v[18:19], v[2:3], v[14:15]
	v_mul_f64_e32 v[16:17], v[42:43], v[14:15]
	s_delay_alu instid0(VALU_DEP_2) | instskip(NEXT) | instid1(VALU_DEP_2)
	v_fmac_f64_e32 v[18:19], v[12:13], v[42:43]
	v_fma_f64 v[16:17], v[12:13], v[2:3], -v[16:17]
	ds_store_b128 v1, v[16:19] offset:10016
	ds_store_b128 v1, v[16:19] offset:9520
.LBB186_176:                            ;   in Loop: Header=BB186_3 Depth=1
	s_or_b32 exec_lo, exec_lo, s0
	v_mov_b64_e32 v[12:13], 0
	v_mov_b64_e32 v[14:15], 0
	s_wait_dscnt 0x0
	s_barrier_signal -1
	s_barrier_wait -1
	global_wb scope:SCOPE_DEV
	s_wait_storecnt 0x0
	global_inv scope:SCOPE_DEV
	s_and_saveexec_b32 s0, s3
	s_cbranch_execz .LBB186_180
; %bb.177:                              ;   in Loop: Header=BB186_3 Depth=1
	ds_load_b128 v[12:15], v47 offset:10016
	ds_load_b128 v[16:19], v46 offset:9472
	s_wait_dscnt 0x0
	v_mul_f64_e32 v[2:3], v[14:15], v[18:19]
	v_mul_f64_e32 v[18:19], v[12:13], v[18:19]
	s_delay_alu instid0(VALU_DEP_2) | instskip(NEXT) | instid1(VALU_DEP_2)
	v_fma_f64 v[2:3], v[12:13], v[16:17], -v[2:3]
	v_fmac_f64_e32 v[18:19], v[14:15], v[16:17]
	s_delay_alu instid0(VALU_DEP_2) | instskip(NEXT) | instid1(VALU_DEP_2)
	v_add_f64_e32 v[12:13], 0, v[2:3]
	v_add_f64_e32 v[14:15], 0, v[18:19]
	s_and_saveexec_b32 s1, s4
	s_cbranch_execz .LBB186_179
; %bb.178:                              ;   in Loop: Header=BB186_3 Depth=1
	ds_load_b128 v[16:19], v1 offset:10032
	ds_load_b128 v[204:207], v114 offset:9984
	s_wait_dscnt 0x0
	v_mul_f64_e32 v[2:3], v[18:19], v[206:207]
	s_delay_alu instid0(VALU_DEP_1) | instskip(SKIP_1) | instid1(VALU_DEP_2)
	v_fma_f64 v[2:3], v[16:17], v[204:205], -v[2:3]
	v_mul_f64_e32 v[16:17], v[16:17], v[206:207]
	v_add_f64_e32 v[12:13], v[12:13], v[2:3]
	s_delay_alu instid0(VALU_DEP_2) | instskip(NEXT) | instid1(VALU_DEP_1)
	v_fmac_f64_e32 v[16:17], v[18:19], v[204:205]
	v_add_f64_e32 v[14:15], v[14:15], v[16:17]
.LBB186_179:                            ;   in Loop: Header=BB186_3 Depth=1
	s_or_b32 exec_lo, exec_lo, s1
.LBB186_180:                            ;   in Loop: Header=BB186_3 Depth=1
	s_delay_alu instid0(SALU_CYCLE_1)
	s_or_b32 exec_lo, exec_lo, s0
	s_and_saveexec_b32 s0, s63
	s_cbranch_execz .LBB186_182
; %bb.181:                              ;   in Loop: Header=BB186_3 Depth=1
	ds_load_b128 v[16:19], v1 offset:8976
	s_wait_dscnt 0x0
	v_mul_f64_e32 v[2:3], v[14:15], v[18:19]
	v_mul_f64_e32 v[18:19], v[12:13], v[18:19]
	s_delay_alu instid0(VALU_DEP_1) | instskip(NEXT) | instid1(VALU_DEP_1)
	v_fmac_f64_e32 v[18:19], v[14:15], v[16:17]
	v_dual_fma_f64 v[2:3], v[12:13], v[16:17], -v[2:3] :: v_dual_mov_b32 v14, v18
	s_delay_alu instid0(VALU_DEP_1) | instskip(NEXT) | instid1(VALU_DEP_3)
	v_xor_b32_e32 v13, 0x80000000, v3
	v_xor_b32_e32 v15, 0x80000000, v19
	s_delay_alu instid0(VALU_DEP_3)
	v_mov_b32_e32 v12, v2
	ds_store_b128 v21, v[12:15]
	v_mov_b64_e32 v[12:13], v[2:3]
	v_mov_b64_e32 v[14:15], v[18:19]
.LBB186_182:                            ;   in Loop: Header=BB186_3 Depth=1
	s_or_b32 exec_lo, exec_lo, s0
	s_wait_loadcnt_dscnt 0x0
	s_barrier_signal -1
	s_barrier_wait -1
	s_and_saveexec_b32 s0, s64
	s_cbranch_execz .LBB186_184
; %bb.183:                              ;   in Loop: Header=BB186_3 Depth=1
	ds_load_b128 v[16:19], v21
	ds_load_b128 v[204:207], v1 offset:8960
	s_wait_dscnt 0x0
	v_mul_f64_e32 v[2:3], v[18:19], v[206:207]
	s_delay_alu instid0(VALU_DEP_1) | instskip(SKIP_1) | instid1(VALU_DEP_2)
	v_fma_f64 v[2:3], v[16:17], v[204:205], -v[2:3]
	v_mul_f64_e32 v[16:17], v[16:17], v[206:207]
	v_add_f64_e64 v[12:13], v[12:13], -v[2:3]
	s_delay_alu instid0(VALU_DEP_2) | instskip(NEXT) | instid1(VALU_DEP_1)
	v_fmac_f64_e32 v[16:17], v[18:19], v[204:205]
	v_add_f64_e64 v[14:15], v[14:15], -v[16:17]
.LBB186_184:                            ;   in Loop: Header=BB186_3 Depth=1
	s_or_b32 exec_lo, exec_lo, s0
	s_barrier_signal -1
	s_barrier_wait -1
	s_and_saveexec_b32 s0, s64
	s_cbranch_execz .LBB186_186
; %bb.185:                              ;   in Loop: Header=BB186_3 Depth=1
	ds_load_b128 v[16:19], v1 offset:8448
	s_wait_dscnt 0x0
	v_mul_f64_e32 v[2:3], v[14:15], v[18:19]
	v_mul_f64_e32 v[18:19], v[12:13], v[18:19]
	s_delay_alu instid0(VALU_DEP_1) | instskip(NEXT) | instid1(VALU_DEP_1)
	v_fmac_f64_e32 v[18:19], v[14:15], v[16:17]
	v_dual_fma_f64 v[2:3], v[12:13], v[16:17], -v[2:3] :: v_dual_mov_b32 v14, v18
	s_delay_alu instid0(VALU_DEP_1) | instskip(NEXT) | instid1(VALU_DEP_3)
	v_xor_b32_e32 v13, 0x80000000, v3
	v_xor_b32_e32 v15, 0x80000000, v19
	s_delay_alu instid0(VALU_DEP_3)
	v_mov_b32_e32 v12, v2
	ds_store_b128 v21, v[12:15]
	v_mov_b64_e32 v[12:13], v[2:3]
	v_mov_b64_e32 v[14:15], v[18:19]
.LBB186_186:                            ;   in Loop: Header=BB186_3 Depth=1
	s_or_b32 exec_lo, exec_lo, s0
	s_wait_dscnt 0x0
	s_barrier_signal -1
	s_barrier_wait -1
	s_barrier_signal -1
	s_barrier_wait -1
	s_and_saveexec_b32 s0, s3
; %bb.187:                              ;   in Loop: Header=BB186_3 Depth=1
	ds_store_b128 v49, v[12:15] offset:9984
; %bb.188:                              ;   in Loop: Header=BB186_3 Depth=1
	s_or_b32 exec_lo, exec_lo, s0
	s_wait_dscnt 0x0
	s_barrier_signal -1
	s_barrier_wait -1
	s_barrier_signal -1
	s_barrier_wait -1
	s_and_saveexec_b32 s0, s65
	s_cbranch_execz .LBB186_190
; %bb.189:                              ;   in Loop: Header=BB186_3 Depth=1
	ds_load_b128 v[12:15], v125
	s_wait_dscnt 0x0
	ds_store_b128 v131, v[12:15]
	ds_load_b128 v[12:15], v126
	s_wait_dscnt 0x0
	ds_store_b128 v132, v[12:15]
.LBB186_190:                            ;   in Loop: Header=BB186_3 Depth=1
	s_or_b32 exec_lo, exec_lo, s0
	s_wait_dscnt 0x0
	s_barrier_signal -1
	s_barrier_wait -1
	s_and_saveexec_b32 s0, s31
	s_cbranch_execz .LBB186_192
; %bb.191:                              ;   in Loop: Header=BB186_3 Depth=1
	ds_load_b128 v[12:15], v1 offset:8976
	ds_load_b128 v[16:19], v1 offset:8448
	s_wait_dscnt 0x0
	v_mul_f64_e32 v[2:3], v[14:15], v[18:19]
	v_mul_f64_e32 v[42:43], v[12:13], v[18:19]
	s_delay_alu instid0(VALU_DEP_2) | instskip(NEXT) | instid1(VALU_DEP_2)
	v_fma_f64 v[2:3], v[12:13], v[16:17], -v[2:3]
	v_fmac_f64_e32 v[42:43], v[14:15], v[16:17]
	ds_load_b128 v[12:15], v1 offset:8960
	s_wait_dscnt 0x0
	v_mul_f64_e32 v[18:19], v[2:3], v[14:15]
	v_mul_f64_e32 v[16:17], v[42:43], v[14:15]
	s_delay_alu instid0(VALU_DEP_2) | instskip(NEXT) | instid1(VALU_DEP_2)
	v_fmac_f64_e32 v[18:19], v[12:13], v[42:43]
	v_fma_f64 v[16:17], v[12:13], v[2:3], -v[16:17]
	ds_store_b128 v1, v[16:19] offset:8960
	ds_store_b128 v1, v[16:19] offset:8464
.LBB186_192:                            ;   in Loop: Header=BB186_3 Depth=1
	s_or_b32 exec_lo, exec_lo, s0
	v_mov_b64_e32 v[14:15], 0
	v_mov_b64_e32 v[12:13], 0
	s_wait_dscnt 0x0
	s_barrier_signal -1
	s_barrier_wait -1
	global_wb scope:SCOPE_DEV
	s_wait_storecnt 0x0
	global_inv scope:SCOPE_DEV
	s_and_saveexec_b32 s0, s15
	s_cbranch_execz .LBB186_220
; %bb.193:                              ;   in Loop: Header=BB186_3 Depth=1
	ds_load_b128 v[12:15], v71 offset:16128
	ds_load_b128 v[16:19], v70 offset:8192
	v_readlane_b32 s18, v203, 13
	s_wait_dscnt 0x0
	v_mul_f64_e32 v[2:3], v[14:15], v[18:19]
	v_mul_f64_e32 v[18:19], v[12:13], v[18:19]
	s_delay_alu instid0(VALU_DEP_2) | instskip(NEXT) | instid1(VALU_DEP_2)
	v_fma_f64 v[2:3], v[12:13], v[16:17], -v[2:3]
	v_fmac_f64_e32 v[18:19], v[14:15], v[16:17]
	s_delay_alu instid0(VALU_DEP_2) | instskip(NEXT) | instid1(VALU_DEP_2)
	v_add_f64_e32 v[12:13], 0, v[2:3]
	v_add_f64_e32 v[14:15], 0, v[18:19]
	s_and_saveexec_b32 s1, s18
	s_cbranch_execz .LBB186_195
; %bb.194:                              ;   in Loop: Header=BB186_3 Depth=1
	ds_load_b128 v[16:19], v71 offset:16144
	ds_load_b128 v[204:207], v70 offset:8704
	s_wait_dscnt 0x0
	v_mul_f64_e32 v[2:3], v[18:19], v[206:207]
	s_delay_alu instid0(VALU_DEP_1) | instskip(SKIP_1) | instid1(VALU_DEP_2)
	v_fma_f64 v[2:3], v[16:17], v[204:205], -v[2:3]
	v_mul_f64_e32 v[16:17], v[16:17], v[206:207]
	v_add_f64_e32 v[12:13], v[12:13], v[2:3]
	s_delay_alu instid0(VALU_DEP_2) | instskip(NEXT) | instid1(VALU_DEP_1)
	v_fmac_f64_e32 v[16:17], v[18:19], v[204:205]
	v_add_f64_e32 v[14:15], v[14:15], v[16:17]
.LBB186_195:                            ;   in Loop: Header=BB186_3 Depth=1
	s_or_b32 exec_lo, exec_lo, s1
	v_readlane_b32 s18, v203, 14
	s_and_saveexec_b32 s1, s18
	s_cbranch_execz .LBB186_197
; %bb.196:                              ;   in Loop: Header=BB186_3 Depth=1
	ds_load_b128 v[16:19], v71 offset:16160
	ds_load_b128 v[204:207], v70 offset:9216
	s_wait_dscnt 0x0
	v_mul_f64_e32 v[2:3], v[18:19], v[206:207]
	s_delay_alu instid0(VALU_DEP_1) | instskip(SKIP_1) | instid1(VALU_DEP_2)
	v_fma_f64 v[2:3], v[16:17], v[204:205], -v[2:3]
	v_mul_f64_e32 v[16:17], v[16:17], v[206:207]
	v_add_f64_e32 v[12:13], v[12:13], v[2:3]
	s_delay_alu instid0(VALU_DEP_2) | instskip(NEXT) | instid1(VALU_DEP_1)
	v_fmac_f64_e32 v[16:17], v[18:19], v[204:205]
	v_add_f64_e32 v[14:15], v[14:15], v[16:17]
.LBB186_197:                            ;   in Loop: Header=BB186_3 Depth=1
	s_or_b32 exec_lo, exec_lo, s1
	v_readlane_b32 s18, v203, 15
	s_and_saveexec_b32 s1, s18
	s_cbranch_execz .LBB186_199
; %bb.198:                              ;   in Loop: Header=BB186_3 Depth=1
	ds_load_b128 v[16:19], v71 offset:16176
	ds_load_b128 v[204:207], v70 offset:9728
	s_wait_dscnt 0x0
	v_mul_f64_e32 v[2:3], v[18:19], v[206:207]
	s_delay_alu instid0(VALU_DEP_1) | instskip(SKIP_1) | instid1(VALU_DEP_2)
	v_fma_f64 v[2:3], v[16:17], v[204:205], -v[2:3]
	v_mul_f64_e32 v[16:17], v[16:17], v[206:207]
	v_add_f64_e32 v[12:13], v[12:13], v[2:3]
	s_delay_alu instid0(VALU_DEP_2) | instskip(NEXT) | instid1(VALU_DEP_1)
	v_fmac_f64_e32 v[16:17], v[18:19], v[204:205]
	v_add_f64_e32 v[14:15], v[14:15], v[16:17]
.LBB186_199:                            ;   in Loop: Header=BB186_3 Depth=1
	s_or_b32 exec_lo, exec_lo, s1
	v_readlane_b32 s18, v203, 16
	s_and_saveexec_b32 s1, s18
	s_cbranch_execz .LBB186_201
; %bb.200:                              ;   in Loop: Header=BB186_3 Depth=1
	ds_load_b128 v[16:19], v71 offset:16192
	ds_load_b128 v[204:207], v70 offset:10240
	s_wait_dscnt 0x0
	v_mul_f64_e32 v[2:3], v[18:19], v[206:207]
	s_delay_alu instid0(VALU_DEP_1) | instskip(SKIP_1) | instid1(VALU_DEP_2)
	v_fma_f64 v[2:3], v[16:17], v[204:205], -v[2:3]
	v_mul_f64_e32 v[16:17], v[16:17], v[206:207]
	v_add_f64_e32 v[12:13], v[12:13], v[2:3]
	s_delay_alu instid0(VALU_DEP_2) | instskip(NEXT) | instid1(VALU_DEP_1)
	v_fmac_f64_e32 v[16:17], v[18:19], v[204:205]
	v_add_f64_e32 v[14:15], v[14:15], v[16:17]
.LBB186_201:                            ;   in Loop: Header=BB186_3 Depth=1
	s_or_b32 exec_lo, exec_lo, s1
	v_readlane_b32 s18, v203, 17
	s_and_saveexec_b32 s1, s18
	s_cbranch_execz .LBB186_203
; %bb.202:                              ;   in Loop: Header=BB186_3 Depth=1
	ds_load_b128 v[16:19], v71 offset:16208
	ds_load_b128 v[204:207], v70 offset:10752
	s_wait_dscnt 0x0
	v_mul_f64_e32 v[2:3], v[18:19], v[206:207]
	s_delay_alu instid0(VALU_DEP_1) | instskip(SKIP_1) | instid1(VALU_DEP_2)
	v_fma_f64 v[2:3], v[16:17], v[204:205], -v[2:3]
	v_mul_f64_e32 v[16:17], v[16:17], v[206:207]
	v_add_f64_e32 v[12:13], v[12:13], v[2:3]
	s_delay_alu instid0(VALU_DEP_2) | instskip(NEXT) | instid1(VALU_DEP_1)
	v_fmac_f64_e32 v[16:17], v[18:19], v[204:205]
	v_add_f64_e32 v[14:15], v[14:15], v[16:17]
.LBB186_203:                            ;   in Loop: Header=BB186_3 Depth=1
	s_or_b32 exec_lo, exec_lo, s1
	v_readlane_b32 s18, v203, 18
	s_and_saveexec_b32 s1, s18
	s_cbranch_execz .LBB186_205
; %bb.204:                              ;   in Loop: Header=BB186_3 Depth=1
	ds_load_b128 v[16:19], v71 offset:16224
	ds_load_b128 v[204:207], v70 offset:11264
	s_wait_dscnt 0x0
	v_mul_f64_e32 v[2:3], v[18:19], v[206:207]
	s_delay_alu instid0(VALU_DEP_1) | instskip(SKIP_1) | instid1(VALU_DEP_2)
	v_fma_f64 v[2:3], v[16:17], v[204:205], -v[2:3]
	v_mul_f64_e32 v[16:17], v[16:17], v[206:207]
	v_add_f64_e32 v[12:13], v[12:13], v[2:3]
	s_delay_alu instid0(VALU_DEP_2) | instskip(NEXT) | instid1(VALU_DEP_1)
	v_fmac_f64_e32 v[16:17], v[18:19], v[204:205]
	v_add_f64_e32 v[14:15], v[14:15], v[16:17]
.LBB186_205:                            ;   in Loop: Header=BB186_3 Depth=1
	s_or_b32 exec_lo, exec_lo, s1
	v_readlane_b32 s18, v203, 19
	s_and_saveexec_b32 s1, s18
	s_cbranch_execz .LBB186_207
; %bb.206:                              ;   in Loop: Header=BB186_3 Depth=1
	ds_load_b128 v[16:19], v71 offset:16240
	ds_load_b128 v[204:207], v70 offset:11776
	s_wait_dscnt 0x0
	v_mul_f64_e32 v[2:3], v[18:19], v[206:207]
	s_delay_alu instid0(VALU_DEP_1) | instskip(SKIP_1) | instid1(VALU_DEP_2)
	v_fma_f64 v[2:3], v[16:17], v[204:205], -v[2:3]
	v_mul_f64_e32 v[16:17], v[16:17], v[206:207]
	v_add_f64_e32 v[12:13], v[12:13], v[2:3]
	s_delay_alu instid0(VALU_DEP_2) | instskip(NEXT) | instid1(VALU_DEP_1)
	v_fmac_f64_e32 v[16:17], v[18:19], v[204:205]
	v_add_f64_e32 v[14:15], v[14:15], v[16:17]
.LBB186_207:                            ;   in Loop: Header=BB186_3 Depth=1
	s_or_b32 exec_lo, exec_lo, s1
	v_readlane_b32 s18, v203, 20
	s_and_saveexec_b32 s1, s18
	s_cbranch_execz .LBB186_209
; %bb.208:                              ;   in Loop: Header=BB186_3 Depth=1
	ds_load_b128 v[16:19], v71 offset:16256
	ds_load_b128 v[204:207], v70 offset:12288
	s_wait_dscnt 0x0
	v_mul_f64_e32 v[2:3], v[18:19], v[206:207]
	s_delay_alu instid0(VALU_DEP_1) | instskip(SKIP_1) | instid1(VALU_DEP_2)
	v_fma_f64 v[2:3], v[16:17], v[204:205], -v[2:3]
	v_mul_f64_e32 v[16:17], v[16:17], v[206:207]
	v_add_f64_e32 v[12:13], v[12:13], v[2:3]
	s_delay_alu instid0(VALU_DEP_2) | instskip(NEXT) | instid1(VALU_DEP_1)
	v_fmac_f64_e32 v[16:17], v[18:19], v[204:205]
	v_add_f64_e32 v[14:15], v[14:15], v[16:17]
.LBB186_209:                            ;   in Loop: Header=BB186_3 Depth=1
	s_or_b32 exec_lo, exec_lo, s1
	v_readlane_b32 s18, v203, 21
	s_and_saveexec_b32 s1, s18
	s_cbranch_execz .LBB186_211
; %bb.210:                              ;   in Loop: Header=BB186_3 Depth=1
	ds_load_b128 v[16:19], v71 offset:16272
	ds_load_b128 v[204:207], v70 offset:12800
	s_wait_dscnt 0x0
	v_mul_f64_e32 v[2:3], v[18:19], v[206:207]
	s_delay_alu instid0(VALU_DEP_1) | instskip(SKIP_1) | instid1(VALU_DEP_2)
	v_fma_f64 v[2:3], v[16:17], v[204:205], -v[2:3]
	v_mul_f64_e32 v[16:17], v[16:17], v[206:207]
	v_add_f64_e32 v[12:13], v[12:13], v[2:3]
	s_delay_alu instid0(VALU_DEP_2) | instskip(NEXT) | instid1(VALU_DEP_1)
	v_fmac_f64_e32 v[16:17], v[18:19], v[204:205]
	v_add_f64_e32 v[14:15], v[14:15], v[16:17]
.LBB186_211:                            ;   in Loop: Header=BB186_3 Depth=1
	s_or_b32 exec_lo, exec_lo, s1
	v_readlane_b32 s18, v203, 22
	s_and_saveexec_b32 s1, s18
	s_cbranch_execz .LBB186_213
; %bb.212:                              ;   in Loop: Header=BB186_3 Depth=1
	ds_load_b128 v[16:19], v71 offset:16288
	ds_load_b128 v[204:207], v70 offset:13312
	s_wait_dscnt 0x0
	v_mul_f64_e32 v[2:3], v[18:19], v[206:207]
	s_delay_alu instid0(VALU_DEP_1) | instskip(SKIP_1) | instid1(VALU_DEP_2)
	v_fma_f64 v[2:3], v[16:17], v[204:205], -v[2:3]
	v_mul_f64_e32 v[16:17], v[16:17], v[206:207]
	v_add_f64_e32 v[12:13], v[12:13], v[2:3]
	s_delay_alu instid0(VALU_DEP_2) | instskip(NEXT) | instid1(VALU_DEP_1)
	v_fmac_f64_e32 v[16:17], v[18:19], v[204:205]
	v_add_f64_e32 v[14:15], v[14:15], v[16:17]
.LBB186_213:                            ;   in Loop: Header=BB186_3 Depth=1
	s_or_b32 exec_lo, exec_lo, s1
	v_readlane_b32 s18, v203, 23
	s_and_saveexec_b32 s1, s18
	s_cbranch_execnz .LBB186_564
; %bb.214:                              ;   in Loop: Header=BB186_3 Depth=1
	s_or_b32 exec_lo, exec_lo, s1
	s_and_saveexec_b32 s1, s9
	s_cbranch_execnz .LBB186_565
.LBB186_215:                            ;   in Loop: Header=BB186_3 Depth=1
	s_or_b32 exec_lo, exec_lo, s1
	s_and_saveexec_b32 s1, s11
	s_cbranch_execnz .LBB186_566
.LBB186_216:                            ;   in Loop: Header=BB186_3 Depth=1
	s_or_b32 exec_lo, exec_lo, s1
	s_and_saveexec_b32 s1, s13
	s_cbranch_execnz .LBB186_567
.LBB186_217:                            ;   in Loop: Header=BB186_3 Depth=1
	s_or_b32 exec_lo, exec_lo, s1
	s_and_saveexec_b32 s1, s6
	s_cbranch_execz .LBB186_219
.LBB186_218:                            ;   in Loop: Header=BB186_3 Depth=1
	ds_load_b128 v[16:19], v1 offset:16368
	ds_load_b128 v[204:207], v48 offset:15872
	s_wait_dscnt 0x0
	v_mul_f64_e32 v[2:3], v[18:19], v[206:207]
	s_delay_alu instid0(VALU_DEP_1) | instskip(SKIP_1) | instid1(VALU_DEP_2)
	v_fma_f64 v[2:3], v[16:17], v[204:205], -v[2:3]
	v_mul_f64_e32 v[16:17], v[16:17], v[206:207]
	v_add_f64_e32 v[12:13], v[12:13], v[2:3]
	s_delay_alu instid0(VALU_DEP_2) | instskip(NEXT) | instid1(VALU_DEP_1)
	v_fmac_f64_e32 v[16:17], v[18:19], v[204:205]
	v_add_f64_e32 v[14:15], v[14:15], v[16:17]
.LBB186_219:                            ;   in Loop: Header=BB186_3 Depth=1
	s_or_b32 exec_lo, exec_lo, s1
.LBB186_220:                            ;   in Loop: Header=BB186_3 Depth=1
	s_delay_alu instid0(SALU_CYCLE_1) | instskip(NEXT) | instid1(SALU_CYCLE_1)
	s_or_b32 exec_lo, exec_lo, s0
	s_mov_b32 s0, exec_lo
	v_readlane_b32 s1, v203, 3
	s_and_b32 s1, s0, s1
	s_delay_alu instid0(SALU_CYCLE_1)
	s_mov_b32 exec_lo, s1
	s_cbranch_execz .LBB186_222
; %bb.221:                              ;   in Loop: Header=BB186_3 Depth=1
	ds_load_b128 v[16:19], v1 offset:7920
	s_wait_dscnt 0x0
	v_mul_f64_e32 v[2:3], v[14:15], v[18:19]
	v_mul_f64_e32 v[18:19], v[12:13], v[18:19]
	s_delay_alu instid0(VALU_DEP_1) | instskip(NEXT) | instid1(VALU_DEP_1)
	v_fmac_f64_e32 v[18:19], v[14:15], v[16:17]
	v_dual_fma_f64 v[2:3], v[12:13], v[16:17], -v[2:3] :: v_dual_mov_b32 v14, v18
	s_delay_alu instid0(VALU_DEP_1) | instskip(NEXT) | instid1(VALU_DEP_3)
	v_xor_b32_e32 v13, 0x80000000, v3
	v_xor_b32_e32 v15, 0x80000000, v19
	s_delay_alu instid0(VALU_DEP_3)
	v_mov_b32_e32 v12, v2
	ds_store_b128 v69, v[12:15]
	v_mov_b64_e32 v[12:13], v[2:3]
	v_mov_b64_e32 v[14:15], v[18:19]
.LBB186_222:                            ;   in Loop: Header=BB186_3 Depth=1
	s_or_b32 exec_lo, exec_lo, s0
	s_wait_loadcnt_dscnt 0x0
	s_barrier_signal -1
	s_barrier_wait -1
	s_mov_b32 s0, exec_lo
	v_readlane_b32 s1, v203, 4
	s_and_b32 s1, s0, s1
	s_delay_alu instid0(SALU_CYCLE_1)
	s_mov_b32 exec_lo, s1
	s_cbranch_execz .LBB186_224
; %bb.223:                              ;   in Loop: Header=BB186_3 Depth=1
	ds_load_b128 v[16:19], v69
	ds_load_b128 v[204:207], v70 offset:7680
	s_wait_dscnt 0x0
	v_mul_f64_e32 v[2:3], v[18:19], v[206:207]
	s_delay_alu instid0(VALU_DEP_1) | instskip(SKIP_1) | instid1(VALU_DEP_2)
	v_fma_f64 v[2:3], v[16:17], v[204:205], -v[2:3]
	v_mul_f64_e32 v[16:17], v[16:17], v[206:207]
	v_add_f64_e64 v[12:13], v[12:13], -v[2:3]
	s_delay_alu instid0(VALU_DEP_2) | instskip(NEXT) | instid1(VALU_DEP_1)
	v_fmac_f64_e32 v[16:17], v[18:19], v[204:205]
	v_add_f64_e64 v[14:15], v[14:15], -v[16:17]
.LBB186_224:                            ;   in Loop: Header=BB186_3 Depth=1
	s_or_b32 exec_lo, exec_lo, s0
	s_barrier_signal -1
	s_barrier_wait -1
	s_mov_b32 s0, exec_lo
	v_readlane_b32 s1, v203, 5
	s_and_b32 s1, s0, s1
	s_delay_alu instid0(SALU_CYCLE_1)
	s_mov_b32 exec_lo, s1
	s_cbranch_execz .LBB186_226
; %bb.225:                              ;   in Loop: Header=BB186_3 Depth=1
	ds_load_b128 v[16:19], v1 offset:7392
	s_wait_dscnt 0x0
	v_mul_f64_e32 v[2:3], v[14:15], v[18:19]
	v_mul_f64_e32 v[18:19], v[12:13], v[18:19]
	s_delay_alu instid0(VALU_DEP_1) | instskip(NEXT) | instid1(VALU_DEP_1)
	v_fmac_f64_e32 v[18:19], v[14:15], v[16:17]
	v_dual_fma_f64 v[2:3], v[12:13], v[16:17], -v[2:3] :: v_dual_mov_b32 v14, v18
	s_delay_alu instid0(VALU_DEP_1) | instskip(NEXT) | instid1(VALU_DEP_3)
	v_xor_b32_e32 v13, 0x80000000, v3
	v_xor_b32_e32 v15, 0x80000000, v19
	s_delay_alu instid0(VALU_DEP_3)
	v_mov_b32_e32 v12, v2
	ds_store_b128 v69, v[12:15]
	v_mov_b64_e32 v[12:13], v[2:3]
	v_mov_b64_e32 v[14:15], v[18:19]
.LBB186_226:                            ;   in Loop: Header=BB186_3 Depth=1
	s_or_b32 exec_lo, exec_lo, s0
	s_wait_dscnt 0x0
	s_barrier_signal -1
	s_barrier_wait -1
	s_mov_b32 s0, exec_lo
	v_readlane_b32 s1, v203, 6
	s_and_b32 s1, s0, s1
	s_delay_alu instid0(SALU_CYCLE_1)
	s_mov_b32 exec_lo, s1
	s_cbranch_execz .LBB186_228
; %bb.227:                              ;   in Loop: Header=BB186_3 Depth=1
	ds_load_b128 v[16:19], v69
	ds_load_b128 v[204:207], v70 offset:7168
	s_wait_dscnt 0x0
	v_mul_f64_e32 v[2:3], v[18:19], v[206:207]
	s_delay_alu instid0(VALU_DEP_1) | instskip(SKIP_1) | instid1(VALU_DEP_2)
	v_fma_f64 v[2:3], v[16:17], v[204:205], -v[2:3]
	v_mul_f64_e32 v[16:17], v[16:17], v[206:207]
	v_add_f64_e64 v[12:13], v[12:13], -v[2:3]
	s_delay_alu instid0(VALU_DEP_2) | instskip(NEXT) | instid1(VALU_DEP_1)
	v_fmac_f64_e32 v[16:17], v[18:19], v[204:205]
	v_add_f64_e64 v[14:15], v[14:15], -v[16:17]
.LBB186_228:                            ;   in Loop: Header=BB186_3 Depth=1
	s_or_b32 exec_lo, exec_lo, s0
	s_barrier_signal -1
	s_barrier_wait -1
	s_mov_b32 s0, exec_lo
	v_readlane_b32 s1, v203, 7
	s_and_b32 s1, s0, s1
	s_delay_alu instid0(SALU_CYCLE_1)
	s_mov_b32 exec_lo, s1
	s_cbranch_execz .LBB186_230
; %bb.229:                              ;   in Loop: Header=BB186_3 Depth=1
	ds_load_b128 v[16:19], v1 offset:6864
	s_wait_dscnt 0x0
	v_mul_f64_e32 v[2:3], v[14:15], v[18:19]
	v_mul_f64_e32 v[18:19], v[12:13], v[18:19]
	s_delay_alu instid0(VALU_DEP_1) | instskip(NEXT) | instid1(VALU_DEP_1)
	v_fmac_f64_e32 v[18:19], v[14:15], v[16:17]
	v_dual_fma_f64 v[2:3], v[12:13], v[16:17], -v[2:3] :: v_dual_mov_b32 v14, v18
	s_delay_alu instid0(VALU_DEP_1) | instskip(NEXT) | instid1(VALU_DEP_3)
	v_xor_b32_e32 v13, 0x80000000, v3
	v_xor_b32_e32 v15, 0x80000000, v19
	s_delay_alu instid0(VALU_DEP_3)
	v_mov_b32_e32 v12, v2
	ds_store_b128 v69, v[12:15]
	v_mov_b64_e32 v[12:13], v[2:3]
	v_mov_b64_e32 v[14:15], v[18:19]
.LBB186_230:                            ;   in Loop: Header=BB186_3 Depth=1
	s_or_b32 exec_lo, exec_lo, s0
	s_wait_dscnt 0x0
	s_barrier_signal -1
	s_barrier_wait -1
	s_mov_b32 s0, exec_lo
	v_readlane_b32 s1, v203, 8
	s_and_b32 s1, s0, s1
	s_delay_alu instid0(SALU_CYCLE_1)
	s_mov_b32 exec_lo, s1
	s_cbranch_execz .LBB186_232
; %bb.231:                              ;   in Loop: Header=BB186_3 Depth=1
	ds_load_b128 v[16:19], v69
	ds_load_b128 v[204:207], v70 offset:6656
	s_wait_dscnt 0x0
	v_mul_f64_e32 v[2:3], v[18:19], v[206:207]
	s_delay_alu instid0(VALU_DEP_1) | instskip(SKIP_1) | instid1(VALU_DEP_2)
	v_fma_f64 v[2:3], v[16:17], v[204:205], -v[2:3]
	v_mul_f64_e32 v[16:17], v[16:17], v[206:207]
	v_add_f64_e64 v[12:13], v[12:13], -v[2:3]
	s_delay_alu instid0(VALU_DEP_2) | instskip(NEXT) | instid1(VALU_DEP_1)
	v_fmac_f64_e32 v[16:17], v[18:19], v[204:205]
	v_add_f64_e64 v[14:15], v[14:15], -v[16:17]
.LBB186_232:                            ;   in Loop: Header=BB186_3 Depth=1
	s_or_b32 exec_lo, exec_lo, s0
	s_barrier_signal -1
	s_barrier_wait -1
	s_and_saveexec_b32 s0, s94
	s_cbranch_execz .LBB186_234
; %bb.233:                              ;   in Loop: Header=BB186_3 Depth=1
	ds_load_b128 v[16:19], v1 offset:6336
	s_wait_dscnt 0x0
	v_mul_f64_e32 v[2:3], v[14:15], v[18:19]
	v_mul_f64_e32 v[18:19], v[12:13], v[18:19]
	s_delay_alu instid0(VALU_DEP_1) | instskip(NEXT) | instid1(VALU_DEP_1)
	v_fmac_f64_e32 v[18:19], v[14:15], v[16:17]
	v_dual_fma_f64 v[2:3], v[12:13], v[16:17], -v[2:3] :: v_dual_mov_b32 v14, v18
	s_delay_alu instid0(VALU_DEP_1) | instskip(NEXT) | instid1(VALU_DEP_3)
	v_xor_b32_e32 v13, 0x80000000, v3
	v_xor_b32_e32 v15, 0x80000000, v19
	s_delay_alu instid0(VALU_DEP_3)
	v_mov_b32_e32 v12, v2
	ds_store_b128 v69, v[12:15]
	v_mov_b64_e32 v[12:13], v[2:3]
	v_mov_b64_e32 v[14:15], v[18:19]
.LBB186_234:                            ;   in Loop: Header=BB186_3 Depth=1
	s_or_b32 exec_lo, exec_lo, s0
	s_wait_dscnt 0x0
	s_barrier_signal -1
	s_barrier_wait -1
	s_and_saveexec_b32 s0, s95
	s_cbranch_execz .LBB186_236
; %bb.235:                              ;   in Loop: Header=BB186_3 Depth=1
	ds_load_b128 v[16:19], v69
	ds_load_b128 v[204:207], v70 offset:6144
	s_wait_dscnt 0x0
	v_mul_f64_e32 v[2:3], v[18:19], v[206:207]
	s_delay_alu instid0(VALU_DEP_1) | instskip(SKIP_1) | instid1(VALU_DEP_2)
	v_fma_f64 v[2:3], v[16:17], v[204:205], -v[2:3]
	v_mul_f64_e32 v[16:17], v[16:17], v[206:207]
	v_add_f64_e64 v[12:13], v[12:13], -v[2:3]
	s_delay_alu instid0(VALU_DEP_2) | instskip(NEXT) | instid1(VALU_DEP_1)
	v_fmac_f64_e32 v[16:17], v[18:19], v[204:205]
	v_add_f64_e64 v[14:15], v[14:15], -v[16:17]
.LBB186_236:                            ;   in Loop: Header=BB186_3 Depth=1
	s_or_b32 exec_lo, exec_lo, s0
	s_barrier_signal -1
	s_barrier_wait -1
	s_and_saveexec_b32 s0, s96
	s_cbranch_execz .LBB186_238
; %bb.237:                              ;   in Loop: Header=BB186_3 Depth=1
	ds_load_b128 v[16:19], v1 offset:5808
	s_wait_dscnt 0x0
	v_mul_f64_e32 v[2:3], v[14:15], v[18:19]
	v_mul_f64_e32 v[18:19], v[12:13], v[18:19]
	s_delay_alu instid0(VALU_DEP_1) | instskip(NEXT) | instid1(VALU_DEP_1)
	v_fmac_f64_e32 v[18:19], v[14:15], v[16:17]
	v_dual_fma_f64 v[2:3], v[12:13], v[16:17], -v[2:3] :: v_dual_mov_b32 v14, v18
	s_delay_alu instid0(VALU_DEP_1) | instskip(NEXT) | instid1(VALU_DEP_3)
	v_xor_b32_e32 v13, 0x80000000, v3
	v_xor_b32_e32 v15, 0x80000000, v19
	s_delay_alu instid0(VALU_DEP_3)
	v_mov_b32_e32 v12, v2
	ds_store_b128 v69, v[12:15]
	v_mov_b64_e32 v[12:13], v[2:3]
	v_mov_b64_e32 v[14:15], v[18:19]
.LBB186_238:                            ;   in Loop: Header=BB186_3 Depth=1
	s_or_b32 exec_lo, exec_lo, s0
	s_wait_dscnt 0x0
	s_barrier_signal -1
	s_barrier_wait -1
	s_and_saveexec_b32 s0, s97
	;; [unrolled: 41-line block ×5, first 2 shown]
	s_cbranch_execz .LBB186_252
; %bb.251:                              ;   in Loop: Header=BB186_3 Depth=1
	ds_load_b128 v[16:19], v69
	ds_load_b128 v[204:207], v70 offset:4096
	s_wait_dscnt 0x0
	v_mul_f64_e32 v[2:3], v[18:19], v[206:207]
	s_delay_alu instid0(VALU_DEP_1) | instskip(SKIP_1) | instid1(VALU_DEP_2)
	v_fma_f64 v[2:3], v[16:17], v[204:205], -v[2:3]
	v_mul_f64_e32 v[16:17], v[16:17], v[206:207]
	v_add_f64_e64 v[12:13], v[12:13], -v[2:3]
	s_delay_alu instid0(VALU_DEP_2) | instskip(NEXT) | instid1(VALU_DEP_1)
	v_fmac_f64_e32 v[16:17], v[18:19], v[204:205]
	v_add_f64_e64 v[14:15], v[14:15], -v[16:17]
.LBB186_252:                            ;   in Loop: Header=BB186_3 Depth=1
	s_or_b32 exec_lo, exec_lo, s0
	s_barrier_signal -1
	s_barrier_wait -1
	s_and_saveexec_b32 s0, s104
	s_cbranch_execz .LBB186_254
; %bb.253:                              ;   in Loop: Header=BB186_3 Depth=1
	ds_load_b128 v[16:19], v1 offset:3696
	s_wait_dscnt 0x0
	v_mul_f64_e32 v[2:3], v[14:15], v[18:19]
	v_mul_f64_e32 v[18:19], v[12:13], v[18:19]
	s_delay_alu instid0(VALU_DEP_1) | instskip(NEXT) | instid1(VALU_DEP_1)
	v_fmac_f64_e32 v[18:19], v[14:15], v[16:17]
	v_dual_fma_f64 v[2:3], v[12:13], v[16:17], -v[2:3] :: v_dual_mov_b32 v14, v18
	s_delay_alu instid0(VALU_DEP_1) | instskip(NEXT) | instid1(VALU_DEP_3)
	v_xor_b32_e32 v13, 0x80000000, v3
	v_xor_b32_e32 v15, 0x80000000, v19
	s_delay_alu instid0(VALU_DEP_3)
	v_mov_b32_e32 v12, v2
	ds_store_b128 v69, v[12:15]
	v_mov_b64_e32 v[12:13], v[2:3]
	v_mov_b64_e32 v[14:15], v[18:19]
.LBB186_254:                            ;   in Loop: Header=BB186_3 Depth=1
	s_or_b32 exec_lo, exec_lo, s0
	s_wait_dscnt 0x0
	s_barrier_signal -1
	s_barrier_wait -1
	s_and_saveexec_b32 s0, vcc_hi
	s_cbranch_execz .LBB186_256
; %bb.255:                              ;   in Loop: Header=BB186_3 Depth=1
	ds_load_b128 v[16:19], v69
	ds_load_b128 v[204:207], v70 offset:3584
	s_wait_dscnt 0x0
	v_mul_f64_e32 v[2:3], v[18:19], v[206:207]
	s_delay_alu instid0(VALU_DEP_1) | instskip(SKIP_1) | instid1(VALU_DEP_2)
	v_fma_f64 v[2:3], v[16:17], v[204:205], -v[2:3]
	v_mul_f64_e32 v[16:17], v[16:17], v[206:207]
	v_add_f64_e64 v[12:13], v[12:13], -v[2:3]
	s_delay_alu instid0(VALU_DEP_2) | instskip(NEXT) | instid1(VALU_DEP_1)
	v_fmac_f64_e32 v[16:17], v[18:19], v[204:205]
	v_add_f64_e64 v[14:15], v[14:15], -v[16:17]
.LBB186_256:                            ;   in Loop: Header=BB186_3 Depth=1
	s_or_b32 exec_lo, exec_lo, s0
	s_barrier_signal -1
	s_barrier_wait -1
	s_and_saveexec_b32 s0, s26
	s_cbranch_execz .LBB186_258
; %bb.257:                              ;   in Loop: Header=BB186_3 Depth=1
	ds_load_b128 v[16:19], v1 offset:3168
	s_wait_dscnt 0x0
	v_mul_f64_e32 v[2:3], v[14:15], v[18:19]
	v_mul_f64_e32 v[18:19], v[12:13], v[18:19]
	s_delay_alu instid0(VALU_DEP_1) | instskip(NEXT) | instid1(VALU_DEP_1)
	v_fmac_f64_e32 v[18:19], v[14:15], v[16:17]
	v_dual_fma_f64 v[2:3], v[12:13], v[16:17], -v[2:3] :: v_dual_mov_b32 v14, v18
	s_delay_alu instid0(VALU_DEP_1) | instskip(NEXT) | instid1(VALU_DEP_3)
	v_xor_b32_e32 v13, 0x80000000, v3
	v_xor_b32_e32 v15, 0x80000000, v19
	s_delay_alu instid0(VALU_DEP_3)
	v_mov_b32_e32 v12, v2
	ds_store_b128 v69, v[12:15]
	v_mov_b64_e32 v[12:13], v[2:3]
	v_mov_b64_e32 v[14:15], v[18:19]
.LBB186_258:                            ;   in Loop: Header=BB186_3 Depth=1
	s_or_b32 exec_lo, exec_lo, s0
	s_wait_dscnt 0x0
	s_barrier_signal -1
	s_barrier_wait -1
	s_and_saveexec_b32 s0, s27
	s_cbranch_execz .LBB186_260
; %bb.259:                              ;   in Loop: Header=BB186_3 Depth=1
	ds_load_b128 v[16:19], v69
	ds_load_b128 v[204:207], v70 offset:3072
	s_wait_dscnt 0x0
	v_mul_f64_e32 v[2:3], v[18:19], v[206:207]
	s_delay_alu instid0(VALU_DEP_1) | instskip(SKIP_1) | instid1(VALU_DEP_2)
	v_fma_f64 v[2:3], v[16:17], v[204:205], -v[2:3]
	v_mul_f64_e32 v[16:17], v[16:17], v[206:207]
	v_add_f64_e64 v[12:13], v[12:13], -v[2:3]
	s_delay_alu instid0(VALU_DEP_2) | instskip(NEXT) | instid1(VALU_DEP_1)
	v_fmac_f64_e32 v[16:17], v[18:19], v[204:205]
	v_add_f64_e64 v[14:15], v[14:15], -v[16:17]
.LBB186_260:                            ;   in Loop: Header=BB186_3 Depth=1
	s_or_b32 exec_lo, exec_lo, s0
	s_barrier_signal -1
	s_barrier_wait -1
	s_and_saveexec_b32 s0, s28
	s_cbranch_execz .LBB186_262
; %bb.261:                              ;   in Loop: Header=BB186_3 Depth=1
	ds_load_b128 v[16:19], v1 offset:2640
	s_wait_dscnt 0x0
	v_mul_f64_e32 v[2:3], v[14:15], v[18:19]
	v_mul_f64_e32 v[18:19], v[12:13], v[18:19]
	s_delay_alu instid0(VALU_DEP_1) | instskip(NEXT) | instid1(VALU_DEP_1)
	v_fmac_f64_e32 v[18:19], v[14:15], v[16:17]
	v_dual_fma_f64 v[2:3], v[12:13], v[16:17], -v[2:3] :: v_dual_mov_b32 v14, v18
	s_delay_alu instid0(VALU_DEP_1) | instskip(NEXT) | instid1(VALU_DEP_3)
	v_xor_b32_e32 v13, 0x80000000, v3
	v_xor_b32_e32 v15, 0x80000000, v19
	s_delay_alu instid0(VALU_DEP_3)
	v_mov_b32_e32 v12, v2
	ds_store_b128 v69, v[12:15]
	v_mov_b64_e32 v[12:13], v[2:3]
	v_mov_b64_e32 v[14:15], v[18:19]
.LBB186_262:                            ;   in Loop: Header=BB186_3 Depth=1
	s_or_b32 exec_lo, exec_lo, s0
	s_wait_dscnt 0x0
	s_barrier_signal -1
	s_barrier_wait -1
	s_and_saveexec_b32 s0, s29
	;; [unrolled: 41-line block ×6, first 2 shown]
	s_cbranch_execz .LBB186_280
; %bb.279:                              ;   in Loop: Header=BB186_3 Depth=1
	ds_load_b128 v[16:19], v69
	ds_load_b128 v[204:207], v1 offset:512
	s_wait_dscnt 0x0
	v_mul_f64_e32 v[2:3], v[18:19], v[206:207]
	s_delay_alu instid0(VALU_DEP_1) | instskip(SKIP_1) | instid1(VALU_DEP_2)
	v_fma_f64 v[2:3], v[16:17], v[204:205], -v[2:3]
	v_mul_f64_e32 v[16:17], v[16:17], v[206:207]
	v_add_f64_e64 v[12:13], v[12:13], -v[2:3]
	s_delay_alu instid0(VALU_DEP_2) | instskip(NEXT) | instid1(VALU_DEP_1)
	v_fmac_f64_e32 v[16:17], v[18:19], v[204:205]
	v_add_f64_e64 v[14:15], v[14:15], -v[16:17]
.LBB186_280:                            ;   in Loop: Header=BB186_3 Depth=1
	s_or_b32 exec_lo, exec_lo, s0
	s_barrier_signal -1
	s_barrier_wait -1
	s_and_saveexec_b32 s0, s89
	s_cbranch_execz .LBB186_282
; %bb.281:                              ;   in Loop: Header=BB186_3 Depth=1
	ds_load_b128 v[16:19], v1
	s_wait_dscnt 0x0
	v_mul_f64_e32 v[2:3], v[14:15], v[18:19]
	v_mul_f64_e32 v[18:19], v[12:13], v[18:19]
	s_delay_alu instid0(VALU_DEP_1) | instskip(NEXT) | instid1(VALU_DEP_1)
	v_fmac_f64_e32 v[18:19], v[14:15], v[16:17]
	v_dual_fma_f64 v[2:3], v[12:13], v[16:17], -v[2:3] :: v_dual_mov_b32 v14, v18
	s_delay_alu instid0(VALU_DEP_1) | instskip(NEXT) | instid1(VALU_DEP_3)
	v_xor_b32_e32 v13, 0x80000000, v3
	v_xor_b32_e32 v15, 0x80000000, v19
	s_delay_alu instid0(VALU_DEP_3)
	v_mov_b32_e32 v12, v2
	ds_store_b128 v69, v[12:15]
	v_mov_b64_e32 v[12:13], v[2:3]
	v_mov_b64_e32 v[14:15], v[18:19]
.LBB186_282:                            ;   in Loop: Header=BB186_3 Depth=1
	s_or_b32 exec_lo, exec_lo, s0
	s_wait_dscnt 0x0
	s_barrier_signal -1
	s_barrier_wait -1
	s_barrier_signal -1
	s_barrier_wait -1
	s_and_saveexec_b32 s0, s15
; %bb.283:                              ;   in Loop: Header=BB186_3 Depth=1
	ds_store_b128 v72, v[12:15] offset:15872
; %bb.284:                              ;   in Loop: Header=BB186_3 Depth=1
	s_or_b32 exec_lo, exec_lo, s0
	s_wait_dscnt 0x0
	s_barrier_signal -1
	s_barrier_wait -1
	s_barrier_signal -1
	s_barrier_wait -1
	s_and_saveexec_b32 s0, s90
	s_cbranch_execz .LBB186_286
; %bb.285:                              ;   in Loop: Header=BB186_3 Depth=1
	ds_load_b128 v[12:15], v73
	s_wait_dscnt 0x0
	ds_store_b128 v161, v[12:15]
	ds_load_b128 v[12:15], v74
	s_wait_dscnt 0x0
	ds_store_b128 v162, v[12:15]
	;; [unrolled: 3-line block ×16, first 2 shown]
.LBB186_286:                            ;   in Loop: Header=BB186_3 Depth=1
	s_or_b32 exec_lo, exec_lo, s0
	s_wait_dscnt 0x0
	s_barrier_signal -1
	s_barrier_wait -1
	s_and_saveexec_b32 s0, s31
	s_cbranch_execz .LBB186_288
; %bb.287:                              ;   in Loop: Header=BB186_3 Depth=1
	ds_load_b128 v[12:15], v1 offset:7920
	ds_load_b128 v[16:19], v1 offset:7392
	s_wait_dscnt 0x0
	v_mul_f64_e32 v[2:3], v[14:15], v[18:19]
	v_mul_f64_e32 v[42:43], v[12:13], v[18:19]
	s_delay_alu instid0(VALU_DEP_2) | instskip(NEXT) | instid1(VALU_DEP_2)
	v_fma_f64 v[2:3], v[12:13], v[16:17], -v[2:3]
	v_fmac_f64_e32 v[42:43], v[14:15], v[16:17]
	ds_load_b128 v[12:15], v1 offset:7904
	s_wait_dscnt 0x0
	v_mul_f64_e32 v[18:19], v[2:3], v[14:15]
	v_mul_f64_e32 v[16:17], v[42:43], v[14:15]
	s_delay_alu instid0(VALU_DEP_2) | instskip(NEXT) | instid1(VALU_DEP_2)
	v_fmac_f64_e32 v[18:19], v[12:13], v[42:43]
	v_fma_f64 v[16:17], v[12:13], v[2:3], -v[16:17]
	ds_store_b128 v1, v[16:19] offset:7904
	ds_store_b128 v1, v[16:19] offset:7408
.LBB186_288:                            ;   in Loop: Header=BB186_3 Depth=1
	s_or_b32 exec_lo, exec_lo, s0
	v_mov_b64_e32 v[12:13], 0
	v_mov_b64_e32 v[14:15], 0
	s_wait_dscnt 0x0
	s_barrier_signal -1
	s_barrier_wait -1
	global_wb scope:SCOPE_DEV
	s_wait_storecnt 0x0
	global_inv scope:SCOPE_DEV
	s_and_saveexec_b32 s0, s3
	s_cbranch_execz .LBB186_292
; %bb.289:                              ;   in Loop: Header=BB186_3 Depth=1
	ds_load_b128 v[12:15], v47 offset:7904
	ds_load_b128 v[16:19], v46 offset:7360
	s_wait_dscnt 0x0
	v_mul_f64_e32 v[2:3], v[14:15], v[18:19]
	v_mul_f64_e32 v[18:19], v[12:13], v[18:19]
	s_delay_alu instid0(VALU_DEP_2) | instskip(NEXT) | instid1(VALU_DEP_2)
	v_fma_f64 v[2:3], v[12:13], v[16:17], -v[2:3]
	v_fmac_f64_e32 v[18:19], v[14:15], v[16:17]
	s_delay_alu instid0(VALU_DEP_2) | instskip(NEXT) | instid1(VALU_DEP_2)
	v_add_f64_e32 v[12:13], 0, v[2:3]
	v_add_f64_e32 v[14:15], 0, v[18:19]
	s_and_saveexec_b32 s1, s4
	s_cbranch_execz .LBB186_291
; %bb.290:                              ;   in Loop: Header=BB186_3 Depth=1
	ds_load_b128 v[16:19], v1 offset:7920
	ds_load_b128 v[204:207], v48 offset:7872
	s_wait_dscnt 0x0
	v_mul_f64_e32 v[2:3], v[18:19], v[206:207]
	s_delay_alu instid0(VALU_DEP_1) | instskip(SKIP_1) | instid1(VALU_DEP_2)
	v_fma_f64 v[2:3], v[16:17], v[204:205], -v[2:3]
	v_mul_f64_e32 v[16:17], v[16:17], v[206:207]
	v_add_f64_e32 v[12:13], v[12:13], v[2:3]
	s_delay_alu instid0(VALU_DEP_2) | instskip(NEXT) | instid1(VALU_DEP_1)
	v_fmac_f64_e32 v[16:17], v[18:19], v[204:205]
	v_add_f64_e32 v[14:15], v[14:15], v[16:17]
.LBB186_291:                            ;   in Loop: Header=BB186_3 Depth=1
	s_or_b32 exec_lo, exec_lo, s1
.LBB186_292:                            ;   in Loop: Header=BB186_3 Depth=1
	s_delay_alu instid0(SALU_CYCLE_1)
	s_or_b32 exec_lo, exec_lo, s0
	s_and_saveexec_b32 s0, s63
	s_cbranch_execz .LBB186_294
; %bb.293:                              ;   in Loop: Header=BB186_3 Depth=1
	ds_load_b128 v[16:19], v1 offset:6864
	s_wait_dscnt 0x0
	v_mul_f64_e32 v[2:3], v[14:15], v[18:19]
	v_mul_f64_e32 v[18:19], v[12:13], v[18:19]
	s_delay_alu instid0(VALU_DEP_1) | instskip(NEXT) | instid1(VALU_DEP_1)
	v_fmac_f64_e32 v[18:19], v[14:15], v[16:17]
	v_dual_fma_f64 v[2:3], v[12:13], v[16:17], -v[2:3] :: v_dual_mov_b32 v14, v18
	s_delay_alu instid0(VALU_DEP_1) | instskip(NEXT) | instid1(VALU_DEP_3)
	v_xor_b32_e32 v13, 0x80000000, v3
	v_xor_b32_e32 v15, 0x80000000, v19
	s_delay_alu instid0(VALU_DEP_3)
	v_mov_b32_e32 v12, v2
	ds_store_b128 v21, v[12:15]
	v_mov_b64_e32 v[12:13], v[2:3]
	v_mov_b64_e32 v[14:15], v[18:19]
.LBB186_294:                            ;   in Loop: Header=BB186_3 Depth=1
	s_or_b32 exec_lo, exec_lo, s0
	s_wait_loadcnt_dscnt 0x0
	s_barrier_signal -1
	s_barrier_wait -1
	s_and_saveexec_b32 s0, s64
	s_cbranch_execz .LBB186_296
; %bb.295:                              ;   in Loop: Header=BB186_3 Depth=1
	ds_load_b128 v[16:19], v21
	ds_load_b128 v[204:207], v1 offset:6848
	s_wait_dscnt 0x0
	v_mul_f64_e32 v[2:3], v[18:19], v[206:207]
	s_delay_alu instid0(VALU_DEP_1) | instskip(SKIP_1) | instid1(VALU_DEP_2)
	v_fma_f64 v[2:3], v[16:17], v[204:205], -v[2:3]
	v_mul_f64_e32 v[16:17], v[16:17], v[206:207]
	v_add_f64_e64 v[12:13], v[12:13], -v[2:3]
	s_delay_alu instid0(VALU_DEP_2) | instskip(NEXT) | instid1(VALU_DEP_1)
	v_fmac_f64_e32 v[16:17], v[18:19], v[204:205]
	v_add_f64_e64 v[14:15], v[14:15], -v[16:17]
.LBB186_296:                            ;   in Loop: Header=BB186_3 Depth=1
	s_or_b32 exec_lo, exec_lo, s0
	s_barrier_signal -1
	s_barrier_wait -1
	s_and_saveexec_b32 s0, s64
	s_cbranch_execz .LBB186_298
; %bb.297:                              ;   in Loop: Header=BB186_3 Depth=1
	ds_load_b128 v[16:19], v1 offset:6336
	s_wait_dscnt 0x0
	v_mul_f64_e32 v[2:3], v[14:15], v[18:19]
	v_mul_f64_e32 v[18:19], v[12:13], v[18:19]
	s_delay_alu instid0(VALU_DEP_1) | instskip(NEXT) | instid1(VALU_DEP_1)
	v_fmac_f64_e32 v[18:19], v[14:15], v[16:17]
	v_dual_fma_f64 v[2:3], v[12:13], v[16:17], -v[2:3] :: v_dual_mov_b32 v14, v18
	s_delay_alu instid0(VALU_DEP_1) | instskip(NEXT) | instid1(VALU_DEP_3)
	v_xor_b32_e32 v13, 0x80000000, v3
	v_xor_b32_e32 v15, 0x80000000, v19
	s_delay_alu instid0(VALU_DEP_3)
	v_mov_b32_e32 v12, v2
	ds_store_b128 v21, v[12:15]
	v_mov_b64_e32 v[12:13], v[2:3]
	v_mov_b64_e32 v[14:15], v[18:19]
.LBB186_298:                            ;   in Loop: Header=BB186_3 Depth=1
	s_or_b32 exec_lo, exec_lo, s0
	s_wait_dscnt 0x0
	s_barrier_signal -1
	s_barrier_wait -1
	s_barrier_signal -1
	s_barrier_wait -1
	s_and_saveexec_b32 s0, s3
; %bb.299:                              ;   in Loop: Header=BB186_3 Depth=1
	ds_store_b128 v49, v[12:15] offset:7872
; %bb.300:                              ;   in Loop: Header=BB186_3 Depth=1
	s_or_b32 exec_lo, exec_lo, s0
	s_wait_dscnt 0x0
	s_barrier_signal -1
	s_barrier_wait -1
	s_barrier_signal -1
	s_barrier_wait -1
	s_and_saveexec_b32 s0, s65
	s_cbranch_execz .LBB186_302
; %bb.301:                              ;   in Loop: Header=BB186_3 Depth=1
	ds_load_b128 v[12:15], v89
	s_wait_dscnt 0x0
	ds_store_b128 v177, v[12:15]
	ds_load_b128 v[12:15], v90
	s_wait_dscnt 0x0
	ds_store_b128 v178, v[12:15]
.LBB186_302:                            ;   in Loop: Header=BB186_3 Depth=1
	s_or_b32 exec_lo, exec_lo, s0
	s_wait_dscnt 0x0
	s_barrier_signal -1
	s_barrier_wait -1
	s_and_saveexec_b32 s0, s31
	s_cbranch_execz .LBB186_304
; %bb.303:                              ;   in Loop: Header=BB186_3 Depth=1
	ds_load_b128 v[12:15], v1 offset:6864
	ds_load_b128 v[16:19], v1 offset:6336
	s_wait_dscnt 0x0
	v_mul_f64_e32 v[2:3], v[14:15], v[18:19]
	v_mul_f64_e32 v[42:43], v[12:13], v[18:19]
	s_delay_alu instid0(VALU_DEP_2) | instskip(NEXT) | instid1(VALU_DEP_2)
	v_fma_f64 v[2:3], v[12:13], v[16:17], -v[2:3]
	v_fmac_f64_e32 v[42:43], v[14:15], v[16:17]
	ds_load_b128 v[12:15], v1 offset:6848
	s_wait_dscnt 0x0
	v_mul_f64_e32 v[18:19], v[2:3], v[14:15]
	v_mul_f64_e32 v[16:17], v[42:43], v[14:15]
	s_delay_alu instid0(VALU_DEP_2) | instskip(NEXT) | instid1(VALU_DEP_2)
	v_fmac_f64_e32 v[18:19], v[12:13], v[42:43]
	v_fma_f64 v[16:17], v[12:13], v[2:3], -v[16:17]
	ds_store_b128 v1, v[16:19] offset:6848
	ds_store_b128 v1, v[16:19] offset:6352
.LBB186_304:                            ;   in Loop: Header=BB186_3 Depth=1
	s_or_b32 exec_lo, exec_lo, s0
	v_mov_b64_e32 v[14:15], 0
	v_mov_b64_e32 v[12:13], 0
	s_wait_dscnt 0x0
	s_barrier_signal -1
	s_barrier_wait -1
	global_wb scope:SCOPE_DEV
	s_wait_storecnt 0x0
	global_inv scope:SCOPE_DEV
	s_and_saveexec_b32 s0, s6
	s_cbranch_execz .LBB186_310
; %bb.305:                              ;   in Loop: Header=BB186_3 Depth=1
	ds_load_b128 v[12:15], v55 offset:7872
	ds_load_b128 v[16:19], v54 offset:6272
	s_wait_dscnt 0x0
	v_mul_f64_e32 v[2:3], v[14:15], v[18:19]
	v_mul_f64_e32 v[18:19], v[12:13], v[18:19]
	s_delay_alu instid0(VALU_DEP_2) | instskip(NEXT) | instid1(VALU_DEP_2)
	v_fma_f64 v[2:3], v[12:13], v[16:17], -v[2:3]
	v_fmac_f64_e32 v[18:19], v[14:15], v[16:17]
	s_delay_alu instid0(VALU_DEP_2) | instskip(NEXT) | instid1(VALU_DEP_2)
	v_add_f64_e32 v[12:13], 0, v[2:3]
	v_add_f64_e32 v[14:15], 0, v[18:19]
	s_and_saveexec_b32 s1, s7
	s_cbranch_execnz .LBB186_568
; %bb.306:                              ;   in Loop: Header=BB186_3 Depth=1
	s_or_b32 exec_lo, exec_lo, s1
	s_and_saveexec_b32 s1, s8
	s_cbranch_execnz .LBB186_569
.LBB186_307:                            ;   in Loop: Header=BB186_3 Depth=1
	s_or_b32 exec_lo, exec_lo, s1
	s_and_saveexec_b32 s1, s3
	s_cbranch_execz .LBB186_309
.LBB186_308:                            ;   in Loop: Header=BB186_3 Depth=1
	ds_load_b128 v[16:19], v1 offset:7920
	ds_load_b128 v[204:207], v52 offset:7808
	s_wait_dscnt 0x0
	v_mul_f64_e32 v[2:3], v[18:19], v[206:207]
	s_delay_alu instid0(VALU_DEP_1) | instskip(SKIP_1) | instid1(VALU_DEP_2)
	v_fma_f64 v[2:3], v[16:17], v[204:205], -v[2:3]
	v_mul_f64_e32 v[16:17], v[16:17], v[206:207]
	v_add_f64_e32 v[12:13], v[12:13], v[2:3]
	s_delay_alu instid0(VALU_DEP_2) | instskip(NEXT) | instid1(VALU_DEP_1)
	v_fmac_f64_e32 v[16:17], v[18:19], v[204:205]
	v_add_f64_e32 v[14:15], v[14:15], v[16:17]
.LBB186_309:                            ;   in Loop: Header=BB186_3 Depth=1
	s_or_b32 exec_lo, exec_lo, s1
.LBB186_310:                            ;   in Loop: Header=BB186_3 Depth=1
	s_delay_alu instid0(SALU_CYCLE_1)
	s_or_b32 exec_lo, exec_lo, s0
	s_and_saveexec_b32 s0, s66
	s_cbranch_execz .LBB186_312
; %bb.311:                              ;   in Loop: Header=BB186_3 Depth=1
	ds_load_b128 v[16:19], v1 offset:5808
	s_wait_dscnt 0x0
	v_mul_f64_e32 v[2:3], v[14:15], v[18:19]
	v_mul_f64_e32 v[18:19], v[12:13], v[18:19]
	s_delay_alu instid0(VALU_DEP_1) | instskip(NEXT) | instid1(VALU_DEP_1)
	v_fmac_f64_e32 v[18:19], v[14:15], v[16:17]
	v_dual_fma_f64 v[2:3], v[12:13], v[16:17], -v[2:3] :: v_dual_mov_b32 v14, v18
	s_delay_alu instid0(VALU_DEP_1) | instskip(NEXT) | instid1(VALU_DEP_3)
	v_xor_b32_e32 v13, 0x80000000, v3
	v_xor_b32_e32 v15, 0x80000000, v19
	s_delay_alu instid0(VALU_DEP_3)
	v_mov_b32_e32 v12, v2
	ds_store_b128 v53, v[12:15]
	v_mov_b64_e32 v[12:13], v[2:3]
	v_mov_b64_e32 v[14:15], v[18:19]
.LBB186_312:                            ;   in Loop: Header=BB186_3 Depth=1
	s_or_b32 exec_lo, exec_lo, s0
	s_wait_loadcnt_dscnt 0x0
	s_barrier_signal -1
	s_barrier_wait -1
	s_and_saveexec_b32 s0, s67
	s_cbranch_execz .LBB186_314
; %bb.313:                              ;   in Loop: Header=BB186_3 Depth=1
	ds_load_b128 v[16:19], v53
	ds_load_b128 v[204:207], v54 offset:5760
	s_wait_dscnt 0x0
	v_mul_f64_e32 v[2:3], v[18:19], v[206:207]
	s_delay_alu instid0(VALU_DEP_1) | instskip(SKIP_1) | instid1(VALU_DEP_2)
	v_fma_f64 v[2:3], v[16:17], v[204:205], -v[2:3]
	v_mul_f64_e32 v[16:17], v[16:17], v[206:207]
	v_add_f64_e64 v[12:13], v[12:13], -v[2:3]
	s_delay_alu instid0(VALU_DEP_2) | instskip(NEXT) | instid1(VALU_DEP_1)
	v_fmac_f64_e32 v[16:17], v[18:19], v[204:205]
	v_add_f64_e64 v[14:15], v[14:15], -v[16:17]
.LBB186_314:                            ;   in Loop: Header=BB186_3 Depth=1
	s_or_b32 exec_lo, exec_lo, s0
	s_barrier_signal -1
	s_barrier_wait -1
	s_and_saveexec_b32 s0, s68
	s_cbranch_execz .LBB186_316
; %bb.315:                              ;   in Loop: Header=BB186_3 Depth=1
	ds_load_b128 v[16:19], v1 offset:5280
	s_wait_dscnt 0x0
	v_mul_f64_e32 v[2:3], v[14:15], v[18:19]
	v_mul_f64_e32 v[18:19], v[12:13], v[18:19]
	s_delay_alu instid0(VALU_DEP_1) | instskip(NEXT) | instid1(VALU_DEP_1)
	v_fmac_f64_e32 v[18:19], v[14:15], v[16:17]
	v_dual_fma_f64 v[2:3], v[12:13], v[16:17], -v[2:3] :: v_dual_mov_b32 v14, v18
	s_delay_alu instid0(VALU_DEP_1) | instskip(NEXT) | instid1(VALU_DEP_3)
	v_xor_b32_e32 v13, 0x80000000, v3
	v_xor_b32_e32 v15, 0x80000000, v19
	s_delay_alu instid0(VALU_DEP_3)
	v_mov_b32_e32 v12, v2
	ds_store_b128 v53, v[12:15]
	v_mov_b64_e32 v[12:13], v[2:3]
	v_mov_b64_e32 v[14:15], v[18:19]
.LBB186_316:                            ;   in Loop: Header=BB186_3 Depth=1
	s_or_b32 exec_lo, exec_lo, s0
	s_wait_dscnt 0x0
	s_barrier_signal -1
	s_barrier_wait -1
	s_and_saveexec_b32 s0, s69
	s_cbranch_execz .LBB186_318
; %bb.317:                              ;   in Loop: Header=BB186_3 Depth=1
	ds_load_b128 v[16:19], v53
	ds_load_b128 v[204:207], v54 offset:5248
	s_wait_dscnt 0x0
	v_mul_f64_e32 v[2:3], v[18:19], v[206:207]
	s_delay_alu instid0(VALU_DEP_1) | instskip(SKIP_1) | instid1(VALU_DEP_2)
	v_fma_f64 v[2:3], v[16:17], v[204:205], -v[2:3]
	v_mul_f64_e32 v[16:17], v[16:17], v[206:207]
	v_add_f64_e64 v[12:13], v[12:13], -v[2:3]
	s_delay_alu instid0(VALU_DEP_2) | instskip(NEXT) | instid1(VALU_DEP_1)
	v_fmac_f64_e32 v[16:17], v[18:19], v[204:205]
	v_add_f64_e64 v[14:15], v[14:15], -v[16:17]
.LBB186_318:                            ;   in Loop: Header=BB186_3 Depth=1
	s_or_b32 exec_lo, exec_lo, s0
	s_barrier_signal -1
	s_barrier_wait -1
	s_and_saveexec_b32 s0, s70
	s_cbranch_execz .LBB186_320
; %bb.319:                              ;   in Loop: Header=BB186_3 Depth=1
	ds_load_b128 v[16:19], v1 offset:4752
	s_wait_dscnt 0x0
	v_mul_f64_e32 v[2:3], v[14:15], v[18:19]
	v_mul_f64_e32 v[18:19], v[12:13], v[18:19]
	s_delay_alu instid0(VALU_DEP_1) | instskip(NEXT) | instid1(VALU_DEP_1)
	v_fmac_f64_e32 v[18:19], v[14:15], v[16:17]
	v_dual_fma_f64 v[2:3], v[12:13], v[16:17], -v[2:3] :: v_dual_mov_b32 v14, v18
	s_delay_alu instid0(VALU_DEP_1) | instskip(NEXT) | instid1(VALU_DEP_3)
	v_xor_b32_e32 v13, 0x80000000, v3
	v_xor_b32_e32 v15, 0x80000000, v19
	s_delay_alu instid0(VALU_DEP_3)
	v_mov_b32_e32 v12, v2
	ds_store_b128 v53, v[12:15]
	v_mov_b64_e32 v[12:13], v[2:3]
	v_mov_b64_e32 v[14:15], v[18:19]
.LBB186_320:                            ;   in Loop: Header=BB186_3 Depth=1
	s_or_b32 exec_lo, exec_lo, s0
	s_wait_dscnt 0x0
	;; [unrolled: 41-line block ×3, first 2 shown]
	s_barrier_signal -1
	s_barrier_wait -1
	s_barrier_signal -1
	s_barrier_wait -1
	s_and_saveexec_b32 s0, s6
; %bb.325:                              ;   in Loop: Header=BB186_3 Depth=1
	ds_store_b128 v56, v[12:15] offset:7808
; %bb.326:                              ;   in Loop: Header=BB186_3 Depth=1
	s_or_b32 exec_lo, exec_lo, s0
	s_wait_dscnt 0x0
	s_barrier_signal -1
	s_barrier_wait -1
	s_barrier_signal -1
	s_barrier_wait -1
	s_and_saveexec_b32 s0, s72
	s_cbranch_execz .LBB186_328
; %bb.327:                              ;   in Loop: Header=BB186_3 Depth=1
	ds_load_b128 v[12:15], v106
	s_wait_dscnt 0x0
	ds_store_b128 v179, v[12:15]
	ds_load_b128 v[12:15], v109
	s_wait_dscnt 0x0
	ds_store_b128 v182, v[12:15]
	;; [unrolled: 3-line block ×4, first 2 shown]
.LBB186_328:                            ;   in Loop: Header=BB186_3 Depth=1
	s_or_b32 exec_lo, exec_lo, s0
	s_wait_dscnt 0x0
	s_barrier_signal -1
	s_barrier_wait -1
	s_and_saveexec_b32 s0, s31
	s_cbranch_execz .LBB186_330
; %bb.329:                              ;   in Loop: Header=BB186_3 Depth=1
	ds_load_b128 v[12:15], v1 offset:5808
	ds_load_b128 v[16:19], v1 offset:5280
	s_wait_dscnt 0x0
	v_mul_f64_e32 v[2:3], v[14:15], v[18:19]
	v_mul_f64_e32 v[42:43], v[12:13], v[18:19]
	s_delay_alu instid0(VALU_DEP_2) | instskip(NEXT) | instid1(VALU_DEP_2)
	v_fma_f64 v[2:3], v[12:13], v[16:17], -v[2:3]
	v_fmac_f64_e32 v[42:43], v[14:15], v[16:17]
	ds_load_b128 v[12:15], v1 offset:5792
	s_wait_dscnt 0x0
	v_mul_f64_e32 v[18:19], v[2:3], v[14:15]
	v_mul_f64_e32 v[16:17], v[42:43], v[14:15]
	s_delay_alu instid0(VALU_DEP_2) | instskip(NEXT) | instid1(VALU_DEP_2)
	v_fmac_f64_e32 v[18:19], v[12:13], v[42:43]
	v_fma_f64 v[16:17], v[12:13], v[2:3], -v[16:17]
	ds_store_b128 v1, v[16:19] offset:5792
	ds_store_b128 v1, v[16:19] offset:5296
.LBB186_330:                            ;   in Loop: Header=BB186_3 Depth=1
	s_or_b32 exec_lo, exec_lo, s0
	v_mov_b64_e32 v[12:13], 0
	v_mov_b64_e32 v[14:15], 0
	s_wait_dscnt 0x0
	s_barrier_signal -1
	s_barrier_wait -1
	global_wb scope:SCOPE_DEV
	s_wait_storecnt 0x0
	global_inv scope:SCOPE_DEV
	s_and_saveexec_b32 s0, s3
	s_cbranch_execz .LBB186_334
; %bb.331:                              ;   in Loop: Header=BB186_3 Depth=1
	ds_load_b128 v[12:15], v47 offset:5792
	ds_load_b128 v[16:19], v46 offset:5248
	s_wait_dscnt 0x0
	v_mul_f64_e32 v[2:3], v[14:15], v[18:19]
	v_mul_f64_e32 v[18:19], v[12:13], v[18:19]
	s_delay_alu instid0(VALU_DEP_2) | instskip(NEXT) | instid1(VALU_DEP_2)
	v_fma_f64 v[2:3], v[12:13], v[16:17], -v[2:3]
	v_fmac_f64_e32 v[18:19], v[14:15], v[16:17]
	s_delay_alu instid0(VALU_DEP_2) | instskip(NEXT) | instid1(VALU_DEP_2)
	v_add_f64_e32 v[12:13], 0, v[2:3]
	v_add_f64_e32 v[14:15], 0, v[18:19]
	s_and_saveexec_b32 s1, s4
	s_cbranch_execz .LBB186_333
; %bb.332:                              ;   in Loop: Header=BB186_3 Depth=1
	ds_load_b128 v[16:19], v1 offset:5808
	ds_load_b128 v[204:207], v103 offset:5760
	s_wait_dscnt 0x0
	v_mul_f64_e32 v[2:3], v[18:19], v[206:207]
	s_delay_alu instid0(VALU_DEP_1) | instskip(SKIP_1) | instid1(VALU_DEP_2)
	v_fma_f64 v[2:3], v[16:17], v[204:205], -v[2:3]
	v_mul_f64_e32 v[16:17], v[16:17], v[206:207]
	v_add_f64_e32 v[12:13], v[12:13], v[2:3]
	s_delay_alu instid0(VALU_DEP_2) | instskip(NEXT) | instid1(VALU_DEP_1)
	v_fmac_f64_e32 v[16:17], v[18:19], v[204:205]
	v_add_f64_e32 v[14:15], v[14:15], v[16:17]
.LBB186_333:                            ;   in Loop: Header=BB186_3 Depth=1
	s_or_b32 exec_lo, exec_lo, s1
.LBB186_334:                            ;   in Loop: Header=BB186_3 Depth=1
	s_delay_alu instid0(SALU_CYCLE_1)
	s_or_b32 exec_lo, exec_lo, s0
	s_and_saveexec_b32 s0, s63
	s_cbranch_execz .LBB186_336
; %bb.335:                              ;   in Loop: Header=BB186_3 Depth=1
	ds_load_b128 v[16:19], v1 offset:4752
	s_wait_dscnt 0x0
	v_mul_f64_e32 v[2:3], v[14:15], v[18:19]
	v_mul_f64_e32 v[18:19], v[12:13], v[18:19]
	s_delay_alu instid0(VALU_DEP_1) | instskip(NEXT) | instid1(VALU_DEP_1)
	v_fmac_f64_e32 v[18:19], v[14:15], v[16:17]
	v_dual_fma_f64 v[2:3], v[12:13], v[16:17], -v[2:3] :: v_dual_mov_b32 v14, v18
	s_delay_alu instid0(VALU_DEP_1) | instskip(NEXT) | instid1(VALU_DEP_3)
	v_xor_b32_e32 v13, 0x80000000, v3
	v_xor_b32_e32 v15, 0x80000000, v19
	s_delay_alu instid0(VALU_DEP_3)
	v_mov_b32_e32 v12, v2
	ds_store_b128 v21, v[12:15]
	v_mov_b64_e32 v[12:13], v[2:3]
	v_mov_b64_e32 v[14:15], v[18:19]
.LBB186_336:                            ;   in Loop: Header=BB186_3 Depth=1
	s_or_b32 exec_lo, exec_lo, s0
	s_wait_loadcnt_dscnt 0x0
	s_barrier_signal -1
	s_barrier_wait -1
	s_and_saveexec_b32 s0, s64
	s_cbranch_execz .LBB186_338
; %bb.337:                              ;   in Loop: Header=BB186_3 Depth=1
	ds_load_b128 v[16:19], v21
	ds_load_b128 v[204:207], v1 offset:4736
	s_wait_dscnt 0x0
	v_mul_f64_e32 v[2:3], v[18:19], v[206:207]
	s_delay_alu instid0(VALU_DEP_1) | instskip(SKIP_1) | instid1(VALU_DEP_2)
	v_fma_f64 v[2:3], v[16:17], v[204:205], -v[2:3]
	v_mul_f64_e32 v[16:17], v[16:17], v[206:207]
	v_add_f64_e64 v[12:13], v[12:13], -v[2:3]
	s_delay_alu instid0(VALU_DEP_2) | instskip(NEXT) | instid1(VALU_DEP_1)
	v_fmac_f64_e32 v[16:17], v[18:19], v[204:205]
	v_add_f64_e64 v[14:15], v[14:15], -v[16:17]
.LBB186_338:                            ;   in Loop: Header=BB186_3 Depth=1
	s_or_b32 exec_lo, exec_lo, s0
	s_barrier_signal -1
	s_barrier_wait -1
	s_and_saveexec_b32 s0, s64
	s_cbranch_execz .LBB186_340
; %bb.339:                              ;   in Loop: Header=BB186_3 Depth=1
	ds_load_b128 v[16:19], v1 offset:4224
	s_wait_dscnt 0x0
	v_mul_f64_e32 v[2:3], v[14:15], v[18:19]
	v_mul_f64_e32 v[18:19], v[12:13], v[18:19]
	s_delay_alu instid0(VALU_DEP_1) | instskip(NEXT) | instid1(VALU_DEP_1)
	v_fmac_f64_e32 v[18:19], v[14:15], v[16:17]
	v_dual_fma_f64 v[2:3], v[12:13], v[16:17], -v[2:3] :: v_dual_mov_b32 v14, v18
	s_delay_alu instid0(VALU_DEP_1) | instskip(NEXT) | instid1(VALU_DEP_3)
	v_xor_b32_e32 v13, 0x80000000, v3
	v_xor_b32_e32 v15, 0x80000000, v19
	s_delay_alu instid0(VALU_DEP_3)
	v_mov_b32_e32 v12, v2
	ds_store_b128 v21, v[12:15]
	v_mov_b64_e32 v[12:13], v[2:3]
	v_mov_b64_e32 v[14:15], v[18:19]
.LBB186_340:                            ;   in Loop: Header=BB186_3 Depth=1
	s_or_b32 exec_lo, exec_lo, s0
	s_wait_dscnt 0x0
	s_barrier_signal -1
	s_barrier_wait -1
	s_barrier_signal -1
	s_barrier_wait -1
	s_and_saveexec_b32 s0, s3
; %bb.341:                              ;   in Loop: Header=BB186_3 Depth=1
	ds_store_b128 v49, v[12:15] offset:5760
; %bb.342:                              ;   in Loop: Header=BB186_3 Depth=1
	s_or_b32 exec_lo, exec_lo, s0
	s_wait_dscnt 0x0
	s_barrier_signal -1
	s_barrier_wait -1
	s_barrier_signal -1
	s_barrier_wait -1
	s_and_saveexec_b32 s0, s65
	s_cbranch_execz .LBB186_344
; %bb.343:                              ;   in Loop: Header=BB186_3 Depth=1
	ds_load_b128 v[12:15], v119
	s_wait_dscnt 0x0
	ds_store_b128 v183, v[12:15]
	ds_load_b128 v[12:15], v120
	s_wait_dscnt 0x0
	ds_store_b128 v184, v[12:15]
.LBB186_344:                            ;   in Loop: Header=BB186_3 Depth=1
	s_or_b32 exec_lo, exec_lo, s0
	s_wait_dscnt 0x0
	s_barrier_signal -1
	s_barrier_wait -1
	s_and_saveexec_b32 s0, s31
	s_cbranch_execz .LBB186_346
; %bb.345:                              ;   in Loop: Header=BB186_3 Depth=1
	ds_load_b128 v[12:15], v1 offset:4752
	ds_load_b128 v[16:19], v1 offset:4224
	s_wait_dscnt 0x0
	v_mul_f64_e32 v[2:3], v[14:15], v[18:19]
	v_mul_f64_e32 v[42:43], v[12:13], v[18:19]
	s_delay_alu instid0(VALU_DEP_2) | instskip(NEXT) | instid1(VALU_DEP_2)
	v_fma_f64 v[2:3], v[12:13], v[16:17], -v[2:3]
	v_fmac_f64_e32 v[42:43], v[14:15], v[16:17]
	ds_load_b128 v[12:15], v1 offset:4736
	s_wait_dscnt 0x0
	v_mul_f64_e32 v[18:19], v[2:3], v[14:15]
	v_mul_f64_e32 v[16:17], v[42:43], v[14:15]
	s_delay_alu instid0(VALU_DEP_2) | instskip(NEXT) | instid1(VALU_DEP_2)
	v_fmac_f64_e32 v[18:19], v[12:13], v[42:43]
	v_fma_f64 v[16:17], v[12:13], v[2:3], -v[16:17]
	ds_store_b128 v1, v[16:19] offset:4736
	ds_store_b128 v1, v[16:19] offset:4240
.LBB186_346:                            ;   in Loop: Header=BB186_3 Depth=1
	s_or_b32 exec_lo, exec_lo, s0
	v_mov_b64_e32 v[14:15], 0
	v_mov_b64_e32 v[12:13], 0
	s_wait_dscnt 0x0
	s_barrier_signal -1
	s_barrier_wait -1
	global_wb scope:SCOPE_DEV
	s_wait_storecnt 0x0
	global_inv scope:SCOPE_DEV
	s_and_saveexec_b32 s0, s9
	s_cbranch_execz .LBB186_360
; %bb.347:                              ;   in Loop: Header=BB186_3 Depth=1
	ds_load_b128 v[12:15], v59 offset:7808
	ds_load_b128 v[16:19], v58 offset:4096
	v_readlane_b32 s18, v203, 0
	s_wait_dscnt 0x0
	v_mul_f64_e32 v[2:3], v[14:15], v[18:19]
	v_mul_f64_e32 v[18:19], v[12:13], v[18:19]
	s_delay_alu instid0(VALU_DEP_2) | instskip(NEXT) | instid1(VALU_DEP_2)
	v_fma_f64 v[2:3], v[12:13], v[16:17], -v[2:3]
	v_fmac_f64_e32 v[18:19], v[14:15], v[16:17]
	s_delay_alu instid0(VALU_DEP_2) | instskip(NEXT) | instid1(VALU_DEP_2)
	v_add_f64_e32 v[12:13], 0, v[2:3]
	v_add_f64_e32 v[14:15], 0, v[18:19]
	s_and_saveexec_b32 s1, s18
	s_cbranch_execz .LBB186_349
; %bb.348:                              ;   in Loop: Header=BB186_3 Depth=1
	ds_load_b128 v[16:19], v59 offset:7824
	ds_load_b128 v[204:207], v58 offset:4608
	s_wait_dscnt 0x0
	v_mul_f64_e32 v[2:3], v[18:19], v[206:207]
	s_delay_alu instid0(VALU_DEP_1) | instskip(SKIP_1) | instid1(VALU_DEP_2)
	v_fma_f64 v[2:3], v[16:17], v[204:205], -v[2:3]
	v_mul_f64_e32 v[16:17], v[16:17], v[206:207]
	v_add_f64_e32 v[12:13], v[12:13], v[2:3]
	s_delay_alu instid0(VALU_DEP_2) | instskip(NEXT) | instid1(VALU_DEP_1)
	v_fmac_f64_e32 v[16:17], v[18:19], v[204:205]
	v_add_f64_e32 v[14:15], v[14:15], v[16:17]
.LBB186_349:                            ;   in Loop: Header=BB186_3 Depth=1
	s_or_b32 exec_lo, exec_lo, s1
	s_and_saveexec_b32 s1, s11
	s_cbranch_execz .LBB186_351
; %bb.350:                              ;   in Loop: Header=BB186_3 Depth=1
	ds_load_b128 v[16:19], v59 offset:7840
	ds_load_b128 v[204:207], v58 offset:5120
	s_wait_dscnt 0x0
	v_mul_f64_e32 v[2:3], v[18:19], v[206:207]
	s_delay_alu instid0(VALU_DEP_1) | instskip(SKIP_1) | instid1(VALU_DEP_2)
	v_fma_f64 v[2:3], v[16:17], v[204:205], -v[2:3]
	v_mul_f64_e32 v[16:17], v[16:17], v[206:207]
	v_add_f64_e32 v[12:13], v[12:13], v[2:3]
	s_delay_alu instid0(VALU_DEP_2) | instskip(NEXT) | instid1(VALU_DEP_1)
	v_fmac_f64_e32 v[16:17], v[18:19], v[204:205]
	v_add_f64_e32 v[14:15], v[14:15], v[16:17]
.LBB186_351:                            ;   in Loop: Header=BB186_3 Depth=1
	s_or_b32 exec_lo, exec_lo, s1
	v_readlane_b32 s18, v203, 1
	s_and_saveexec_b32 s1, s18
	s_cbranch_execz .LBB186_353
; %bb.352:                              ;   in Loop: Header=BB186_3 Depth=1
	ds_load_b128 v[16:19], v59 offset:7856
	ds_load_b128 v[204:207], v58 offset:5632
	s_wait_dscnt 0x0
	v_mul_f64_e32 v[2:3], v[18:19], v[206:207]
	s_delay_alu instid0(VALU_DEP_1) | instskip(SKIP_1) | instid1(VALU_DEP_2)
	v_fma_f64 v[2:3], v[16:17], v[204:205], -v[2:3]
	v_mul_f64_e32 v[16:17], v[16:17], v[206:207]
	v_add_f64_e32 v[12:13], v[12:13], v[2:3]
	s_delay_alu instid0(VALU_DEP_2) | instskip(NEXT) | instid1(VALU_DEP_1)
	v_fmac_f64_e32 v[16:17], v[18:19], v[204:205]
	v_add_f64_e32 v[14:15], v[14:15], v[16:17]
.LBB186_353:                            ;   in Loop: Header=BB186_3 Depth=1
	s_or_b32 exec_lo, exec_lo, s1
	s_and_saveexec_b32 s1, s13
	s_cbranch_execz .LBB186_355
; %bb.354:                              ;   in Loop: Header=BB186_3 Depth=1
	ds_load_b128 v[16:19], v59 offset:7872
	ds_load_b128 v[204:207], v58 offset:6144
	s_wait_dscnt 0x0
	v_mul_f64_e32 v[2:3], v[18:19], v[206:207]
	s_delay_alu instid0(VALU_DEP_1) | instskip(SKIP_1) | instid1(VALU_DEP_2)
	v_fma_f64 v[2:3], v[16:17], v[204:205], -v[2:3]
	v_mul_f64_e32 v[16:17], v[16:17], v[206:207]
	v_add_f64_e32 v[12:13], v[12:13], v[2:3]
	s_delay_alu instid0(VALU_DEP_2) | instskip(NEXT) | instid1(VALU_DEP_1)
	v_fmac_f64_e32 v[16:17], v[18:19], v[204:205]
	v_add_f64_e32 v[14:15], v[14:15], v[16:17]
.LBB186_355:                            ;   in Loop: Header=BB186_3 Depth=1
	s_or_b32 exec_lo, exec_lo, s1
	v_readlane_b32 s18, v203, 2
	s_and_saveexec_b32 s1, s18
	s_cbranch_execnz .LBB186_570
; %bb.356:                              ;   in Loop: Header=BB186_3 Depth=1
	s_or_b32 exec_lo, exec_lo, s1
	s_and_saveexec_b32 s1, s6
	s_cbranch_execnz .LBB186_571
.LBB186_357:                            ;   in Loop: Header=BB186_3 Depth=1
	s_or_b32 exec_lo, exec_lo, s1
	s_and_saveexec_b32 s1, s8
	s_cbranch_execz .LBB186_359
.LBB186_358:                            ;   in Loop: Header=BB186_3 Depth=1
	ds_load_b128 v[16:19], v1 offset:7920
	ds_load_b128 v[204:207], v48 offset:7680
	s_wait_dscnt 0x0
	v_mul_f64_e32 v[2:3], v[18:19], v[206:207]
	s_delay_alu instid0(VALU_DEP_1) | instskip(SKIP_1) | instid1(VALU_DEP_2)
	v_fma_f64 v[2:3], v[16:17], v[204:205], -v[2:3]
	v_mul_f64_e32 v[16:17], v[16:17], v[206:207]
	v_add_f64_e32 v[12:13], v[12:13], v[2:3]
	s_delay_alu instid0(VALU_DEP_2) | instskip(NEXT) | instid1(VALU_DEP_1)
	v_fmac_f64_e32 v[16:17], v[18:19], v[204:205]
	v_add_f64_e32 v[14:15], v[14:15], v[16:17]
.LBB186_359:                            ;   in Loop: Header=BB186_3 Depth=1
	s_or_b32 exec_lo, exec_lo, s1
.LBB186_360:                            ;   in Loop: Header=BB186_3 Depth=1
	s_delay_alu instid0(SALU_CYCLE_1)
	s_or_b32 exec_lo, exec_lo, s0
	s_and_saveexec_b32 s0, s73
	s_cbranch_execz .LBB186_362
; %bb.361:                              ;   in Loop: Header=BB186_3 Depth=1
	ds_load_b128 v[16:19], v1 offset:3696
	s_wait_dscnt 0x0
	v_mul_f64_e32 v[2:3], v[14:15], v[18:19]
	v_mul_f64_e32 v[18:19], v[12:13], v[18:19]
	s_delay_alu instid0(VALU_DEP_1) | instskip(NEXT) | instid1(VALU_DEP_1)
	v_fmac_f64_e32 v[18:19], v[14:15], v[16:17]
	v_dual_fma_f64 v[2:3], v[12:13], v[16:17], -v[2:3] :: v_dual_mov_b32 v14, v18
	s_delay_alu instid0(VALU_DEP_1) | instskip(NEXT) | instid1(VALU_DEP_3)
	v_xor_b32_e32 v13, 0x80000000, v3
	v_xor_b32_e32 v15, 0x80000000, v19
	s_delay_alu instid0(VALU_DEP_3)
	v_mov_b32_e32 v12, v2
	ds_store_b128 v57, v[12:15]
	v_mov_b64_e32 v[12:13], v[2:3]
	v_mov_b64_e32 v[14:15], v[18:19]
.LBB186_362:                            ;   in Loop: Header=BB186_3 Depth=1
	s_or_b32 exec_lo, exec_lo, s0
	s_wait_loadcnt_dscnt 0x0
	s_barrier_signal -1
	s_barrier_wait -1
	s_and_saveexec_b32 s0, s74
	s_cbranch_execz .LBB186_364
; %bb.363:                              ;   in Loop: Header=BB186_3 Depth=1
	ds_load_b128 v[16:19], v57
	ds_load_b128 v[204:207], v58 offset:3584
	s_wait_dscnt 0x0
	v_mul_f64_e32 v[2:3], v[18:19], v[206:207]
	s_delay_alu instid0(VALU_DEP_1) | instskip(SKIP_1) | instid1(VALU_DEP_2)
	v_fma_f64 v[2:3], v[16:17], v[204:205], -v[2:3]
	v_mul_f64_e32 v[16:17], v[16:17], v[206:207]
	v_add_f64_e64 v[12:13], v[12:13], -v[2:3]
	s_delay_alu instid0(VALU_DEP_2) | instskip(NEXT) | instid1(VALU_DEP_1)
	v_fmac_f64_e32 v[16:17], v[18:19], v[204:205]
	v_add_f64_e64 v[14:15], v[14:15], -v[16:17]
.LBB186_364:                            ;   in Loop: Header=BB186_3 Depth=1
	s_or_b32 exec_lo, exec_lo, s0
	s_barrier_signal -1
	s_barrier_wait -1
	s_and_saveexec_b32 s0, s75
	s_cbranch_execz .LBB186_366
; %bb.365:                              ;   in Loop: Header=BB186_3 Depth=1
	ds_load_b128 v[16:19], v1 offset:3168
	s_wait_dscnt 0x0
	v_mul_f64_e32 v[2:3], v[14:15], v[18:19]
	v_mul_f64_e32 v[18:19], v[12:13], v[18:19]
	s_delay_alu instid0(VALU_DEP_1) | instskip(NEXT) | instid1(VALU_DEP_1)
	v_fmac_f64_e32 v[18:19], v[14:15], v[16:17]
	v_dual_fma_f64 v[2:3], v[12:13], v[16:17], -v[2:3] :: v_dual_mov_b32 v14, v18
	s_delay_alu instid0(VALU_DEP_1) | instskip(NEXT) | instid1(VALU_DEP_3)
	v_xor_b32_e32 v13, 0x80000000, v3
	v_xor_b32_e32 v15, 0x80000000, v19
	s_delay_alu instid0(VALU_DEP_3)
	v_mov_b32_e32 v12, v2
	ds_store_b128 v57, v[12:15]
	v_mov_b64_e32 v[12:13], v[2:3]
	v_mov_b64_e32 v[14:15], v[18:19]
.LBB186_366:                            ;   in Loop: Header=BB186_3 Depth=1
	s_or_b32 exec_lo, exec_lo, s0
	s_wait_dscnt 0x0
	s_barrier_signal -1
	s_barrier_wait -1
	s_and_saveexec_b32 s0, s76
	s_cbranch_execz .LBB186_368
; %bb.367:                              ;   in Loop: Header=BB186_3 Depth=1
	ds_load_b128 v[16:19], v57
	ds_load_b128 v[204:207], v58 offset:3072
	s_wait_dscnt 0x0
	v_mul_f64_e32 v[2:3], v[18:19], v[206:207]
	s_delay_alu instid0(VALU_DEP_1) | instskip(SKIP_1) | instid1(VALU_DEP_2)
	v_fma_f64 v[2:3], v[16:17], v[204:205], -v[2:3]
	v_mul_f64_e32 v[16:17], v[16:17], v[206:207]
	v_add_f64_e64 v[12:13], v[12:13], -v[2:3]
	s_delay_alu instid0(VALU_DEP_2) | instskip(NEXT) | instid1(VALU_DEP_1)
	v_fmac_f64_e32 v[16:17], v[18:19], v[204:205]
	v_add_f64_e64 v[14:15], v[14:15], -v[16:17]
.LBB186_368:                            ;   in Loop: Header=BB186_3 Depth=1
	s_or_b32 exec_lo, exec_lo, s0
	s_barrier_signal -1
	s_barrier_wait -1
	s_and_saveexec_b32 s0, s77
	s_cbranch_execz .LBB186_370
; %bb.369:                              ;   in Loop: Header=BB186_3 Depth=1
	ds_load_b128 v[16:19], v1 offset:2640
	s_wait_dscnt 0x0
	v_mul_f64_e32 v[2:3], v[14:15], v[18:19]
	v_mul_f64_e32 v[18:19], v[12:13], v[18:19]
	s_delay_alu instid0(VALU_DEP_1) | instskip(NEXT) | instid1(VALU_DEP_1)
	v_fmac_f64_e32 v[18:19], v[14:15], v[16:17]
	v_dual_fma_f64 v[2:3], v[12:13], v[16:17], -v[2:3] :: v_dual_mov_b32 v14, v18
	s_delay_alu instid0(VALU_DEP_1) | instskip(NEXT) | instid1(VALU_DEP_3)
	v_xor_b32_e32 v13, 0x80000000, v3
	v_xor_b32_e32 v15, 0x80000000, v19
	s_delay_alu instid0(VALU_DEP_3)
	v_mov_b32_e32 v12, v2
	ds_store_b128 v57, v[12:15]
	v_mov_b64_e32 v[12:13], v[2:3]
	v_mov_b64_e32 v[14:15], v[18:19]
.LBB186_370:                            ;   in Loop: Header=BB186_3 Depth=1
	s_or_b32 exec_lo, exec_lo, s0
	s_wait_dscnt 0x0
	;; [unrolled: 41-line block ×6, first 2 shown]
	s_barrier_signal -1
	s_barrier_wait -1
	s_and_saveexec_b32 s0, s86
	s_cbranch_execz .LBB186_388
; %bb.387:                              ;   in Loop: Header=BB186_3 Depth=1
	ds_load_b128 v[16:19], v57
	ds_load_b128 v[204:207], v1 offset:512
	s_wait_dscnt 0x0
	v_mul_f64_e32 v[2:3], v[18:19], v[206:207]
	s_delay_alu instid0(VALU_DEP_1) | instskip(SKIP_1) | instid1(VALU_DEP_2)
	v_fma_f64 v[2:3], v[16:17], v[204:205], -v[2:3]
	v_mul_f64_e32 v[16:17], v[16:17], v[206:207]
	v_add_f64_e64 v[12:13], v[12:13], -v[2:3]
	s_delay_alu instid0(VALU_DEP_2) | instskip(NEXT) | instid1(VALU_DEP_1)
	v_fmac_f64_e32 v[16:17], v[18:19], v[204:205]
	v_add_f64_e64 v[14:15], v[14:15], -v[16:17]
.LBB186_388:                            ;   in Loop: Header=BB186_3 Depth=1
	s_or_b32 exec_lo, exec_lo, s0
	s_barrier_signal -1
	s_barrier_wait -1
	s_and_saveexec_b32 s0, s86
	s_cbranch_execz .LBB186_390
; %bb.389:                              ;   in Loop: Header=BB186_3 Depth=1
	ds_load_b128 v[16:19], v1
	s_wait_dscnt 0x0
	v_mul_f64_e32 v[2:3], v[14:15], v[18:19]
	v_mul_f64_e32 v[18:19], v[12:13], v[18:19]
	s_delay_alu instid0(VALU_DEP_1) | instskip(NEXT) | instid1(VALU_DEP_1)
	v_fmac_f64_e32 v[18:19], v[14:15], v[16:17]
	v_dual_fma_f64 v[2:3], v[12:13], v[16:17], -v[2:3] :: v_dual_mov_b32 v14, v18
	s_delay_alu instid0(VALU_DEP_1) | instskip(NEXT) | instid1(VALU_DEP_3)
	v_xor_b32_e32 v13, 0x80000000, v3
	v_xor_b32_e32 v15, 0x80000000, v19
	s_delay_alu instid0(VALU_DEP_3)
	v_mov_b32_e32 v12, v2
	ds_store_b128 v57, v[12:15]
	v_mov_b64_e32 v[12:13], v[2:3]
	v_mov_b64_e32 v[14:15], v[18:19]
.LBB186_390:                            ;   in Loop: Header=BB186_3 Depth=1
	s_or_b32 exec_lo, exec_lo, s0
	s_wait_dscnt 0x0
	s_barrier_signal -1
	s_barrier_wait -1
	s_barrier_signal -1
	s_barrier_wait -1
	s_and_saveexec_b32 s0, s9
; %bb.391:                              ;   in Loop: Header=BB186_3 Depth=1
	ds_store_b128 v60, v[12:15] offset:7680
; %bb.392:                              ;   in Loop: Header=BB186_3 Depth=1
	s_or_b32 exec_lo, exec_lo, s0
	s_wait_dscnt 0x0
	s_barrier_signal -1
	s_barrier_wait -1
	s_barrier_signal -1
	s_barrier_wait -1
	s_and_saveexec_b32 s0, s87
	s_cbranch_execz .LBB186_394
; %bb.393:                              ;   in Loop: Header=BB186_3 Depth=1
	ds_load_b128 v[12:15], v91
	s_wait_dscnt 0x0
	ds_store_b128 v185, v[12:15]
	ds_load_b128 v[12:15], v92
	s_wait_dscnt 0x0
	ds_store_b128 v186, v[12:15]
	;; [unrolled: 3-line block ×8, first 2 shown]
.LBB186_394:                            ;   in Loop: Header=BB186_3 Depth=1
	s_or_b32 exec_lo, exec_lo, s0
	s_wait_dscnt 0x0
	s_barrier_signal -1
	s_barrier_wait -1
	s_and_saveexec_b32 s0, s31
	s_cbranch_execz .LBB186_396
; %bb.395:                              ;   in Loop: Header=BB186_3 Depth=1
	ds_load_b128 v[12:15], v1 offset:3696
	ds_load_b128 v[16:19], v1 offset:3168
	s_wait_dscnt 0x0
	v_mul_f64_e32 v[2:3], v[14:15], v[18:19]
	v_mul_f64_e32 v[42:43], v[12:13], v[18:19]
	s_delay_alu instid0(VALU_DEP_2) | instskip(NEXT) | instid1(VALU_DEP_2)
	v_fma_f64 v[2:3], v[12:13], v[16:17], -v[2:3]
	v_fmac_f64_e32 v[42:43], v[14:15], v[16:17]
	ds_load_b128 v[12:15], v1 offset:3680
	s_wait_dscnt 0x0
	v_mul_f64_e32 v[18:19], v[2:3], v[14:15]
	v_mul_f64_e32 v[16:17], v[42:43], v[14:15]
	s_delay_alu instid0(VALU_DEP_2) | instskip(NEXT) | instid1(VALU_DEP_2)
	v_fmac_f64_e32 v[18:19], v[12:13], v[42:43]
	v_fma_f64 v[16:17], v[12:13], v[2:3], -v[16:17]
	ds_store_b128 v1, v[16:19] offset:3680
	ds_store_b128 v1, v[16:19] offset:3184
.LBB186_396:                            ;   in Loop: Header=BB186_3 Depth=1
	s_or_b32 exec_lo, exec_lo, s0
	v_mov_b64_e32 v[12:13], 0
	v_mov_b64_e32 v[14:15], 0
	s_wait_dscnt 0x0
	s_barrier_signal -1
	s_barrier_wait -1
	global_wb scope:SCOPE_DEV
	s_wait_storecnt 0x0
	global_inv scope:SCOPE_DEV
	s_and_saveexec_b32 s0, s3
	s_cbranch_execz .LBB186_400
; %bb.397:                              ;   in Loop: Header=BB186_3 Depth=1
	ds_load_b128 v[12:15], v47 offset:3680
	ds_load_b128 v[16:19], v46 offset:3136
	s_wait_dscnt 0x0
	v_mul_f64_e32 v[2:3], v[14:15], v[18:19]
	v_mul_f64_e32 v[18:19], v[12:13], v[18:19]
	s_delay_alu instid0(VALU_DEP_2) | instskip(NEXT) | instid1(VALU_DEP_2)
	v_fma_f64 v[2:3], v[12:13], v[16:17], -v[2:3]
	v_fmac_f64_e32 v[18:19], v[14:15], v[16:17]
	s_delay_alu instid0(VALU_DEP_2) | instskip(NEXT) | instid1(VALU_DEP_2)
	v_add_f64_e32 v[12:13], 0, v[2:3]
	v_add_f64_e32 v[14:15], 0, v[18:19]
	s_and_saveexec_b32 s1, s4
	s_cbranch_execz .LBB186_399
; %bb.398:                              ;   in Loop: Header=BB186_3 Depth=1
	ds_load_b128 v[16:19], v1 offset:3696
	ds_load_b128 v[204:207], v52 offset:3648
	s_wait_dscnt 0x0
	v_mul_f64_e32 v[2:3], v[18:19], v[206:207]
	s_delay_alu instid0(VALU_DEP_1) | instskip(SKIP_1) | instid1(VALU_DEP_2)
	v_fma_f64 v[2:3], v[16:17], v[204:205], -v[2:3]
	v_mul_f64_e32 v[16:17], v[16:17], v[206:207]
	v_add_f64_e32 v[12:13], v[12:13], v[2:3]
	s_delay_alu instid0(VALU_DEP_2) | instskip(NEXT) | instid1(VALU_DEP_1)
	v_fmac_f64_e32 v[16:17], v[18:19], v[204:205]
	v_add_f64_e32 v[14:15], v[14:15], v[16:17]
.LBB186_399:                            ;   in Loop: Header=BB186_3 Depth=1
	s_or_b32 exec_lo, exec_lo, s1
.LBB186_400:                            ;   in Loop: Header=BB186_3 Depth=1
	s_delay_alu instid0(SALU_CYCLE_1)
	s_or_b32 exec_lo, exec_lo, s0
	s_and_saveexec_b32 s0, s63
	s_cbranch_execz .LBB186_402
; %bb.401:                              ;   in Loop: Header=BB186_3 Depth=1
	ds_load_b128 v[16:19], v1 offset:2640
	s_wait_dscnt 0x0
	v_mul_f64_e32 v[2:3], v[14:15], v[18:19]
	v_mul_f64_e32 v[18:19], v[12:13], v[18:19]
	s_delay_alu instid0(VALU_DEP_1) | instskip(NEXT) | instid1(VALU_DEP_1)
	v_fmac_f64_e32 v[18:19], v[14:15], v[16:17]
	v_dual_fma_f64 v[2:3], v[12:13], v[16:17], -v[2:3] :: v_dual_mov_b32 v14, v18
	s_delay_alu instid0(VALU_DEP_1) | instskip(NEXT) | instid1(VALU_DEP_3)
	v_xor_b32_e32 v13, 0x80000000, v3
	v_xor_b32_e32 v15, 0x80000000, v19
	s_delay_alu instid0(VALU_DEP_3)
	v_mov_b32_e32 v12, v2
	ds_store_b128 v21, v[12:15]
	v_mov_b64_e32 v[12:13], v[2:3]
	v_mov_b64_e32 v[14:15], v[18:19]
.LBB186_402:                            ;   in Loop: Header=BB186_3 Depth=1
	s_or_b32 exec_lo, exec_lo, s0
	s_wait_loadcnt_dscnt 0x0
	s_barrier_signal -1
	s_barrier_wait -1
	s_and_saveexec_b32 s0, s64
	s_cbranch_execz .LBB186_404
; %bb.403:                              ;   in Loop: Header=BB186_3 Depth=1
	ds_load_b128 v[16:19], v21
	ds_load_b128 v[204:207], v1 offset:2624
	s_wait_dscnt 0x0
	v_mul_f64_e32 v[2:3], v[18:19], v[206:207]
	s_delay_alu instid0(VALU_DEP_1) | instskip(SKIP_1) | instid1(VALU_DEP_2)
	v_fma_f64 v[2:3], v[16:17], v[204:205], -v[2:3]
	v_mul_f64_e32 v[16:17], v[16:17], v[206:207]
	v_add_f64_e64 v[12:13], v[12:13], -v[2:3]
	s_delay_alu instid0(VALU_DEP_2) | instskip(NEXT) | instid1(VALU_DEP_1)
	v_fmac_f64_e32 v[16:17], v[18:19], v[204:205]
	v_add_f64_e64 v[14:15], v[14:15], -v[16:17]
.LBB186_404:                            ;   in Loop: Header=BB186_3 Depth=1
	s_or_b32 exec_lo, exec_lo, s0
	s_barrier_signal -1
	s_barrier_wait -1
	s_and_saveexec_b32 s0, s64
	s_cbranch_execz .LBB186_406
; %bb.405:                              ;   in Loop: Header=BB186_3 Depth=1
	ds_load_b128 v[16:19], v1 offset:2112
	s_wait_dscnt 0x0
	v_mul_f64_e32 v[2:3], v[14:15], v[18:19]
	v_mul_f64_e32 v[18:19], v[12:13], v[18:19]
	s_delay_alu instid0(VALU_DEP_1) | instskip(NEXT) | instid1(VALU_DEP_1)
	v_fmac_f64_e32 v[18:19], v[14:15], v[16:17]
	v_dual_fma_f64 v[2:3], v[12:13], v[16:17], -v[2:3] :: v_dual_mov_b32 v14, v18
	s_delay_alu instid0(VALU_DEP_1) | instskip(NEXT) | instid1(VALU_DEP_3)
	v_xor_b32_e32 v13, 0x80000000, v3
	v_xor_b32_e32 v15, 0x80000000, v19
	s_delay_alu instid0(VALU_DEP_3)
	v_mov_b32_e32 v12, v2
	ds_store_b128 v21, v[12:15]
	v_mov_b64_e32 v[12:13], v[2:3]
	v_mov_b64_e32 v[14:15], v[18:19]
.LBB186_406:                            ;   in Loop: Header=BB186_3 Depth=1
	s_or_b32 exec_lo, exec_lo, s0
	s_wait_dscnt 0x0
	s_barrier_signal -1
	s_barrier_wait -1
	s_barrier_signal -1
	s_barrier_wait -1
	s_and_saveexec_b32 s0, s3
; %bb.407:                              ;   in Loop: Header=BB186_3 Depth=1
	ds_store_b128 v49, v[12:15] offset:3648
; %bb.408:                              ;   in Loop: Header=BB186_3 Depth=1
	s_or_b32 exec_lo, exec_lo, s0
	s_wait_dscnt 0x0
	s_barrier_signal -1
	s_barrier_wait -1
	s_barrier_signal -1
	s_barrier_wait -1
	s_and_saveexec_b32 s0, s65
	s_cbranch_execz .LBB186_410
; %bb.409:                              ;   in Loop: Header=BB186_3 Depth=1
	ds_load_b128 v[12:15], v110
	s_wait_dscnt 0x0
	ds_store_b128 v193, v[12:15]
	ds_load_b128 v[12:15], v111
	s_wait_dscnt 0x0
	ds_store_b128 v194, v[12:15]
.LBB186_410:                            ;   in Loop: Header=BB186_3 Depth=1
	s_or_b32 exec_lo, exec_lo, s0
	s_wait_dscnt 0x0
	s_barrier_signal -1
	s_barrier_wait -1
	s_and_saveexec_b32 s0, s31
	s_cbranch_execz .LBB186_412
; %bb.411:                              ;   in Loop: Header=BB186_3 Depth=1
	ds_load_b128 v[12:15], v1 offset:2640
	ds_load_b128 v[16:19], v1 offset:2112
	s_wait_dscnt 0x0
	v_mul_f64_e32 v[2:3], v[14:15], v[18:19]
	v_mul_f64_e32 v[42:43], v[12:13], v[18:19]
	s_delay_alu instid0(VALU_DEP_2) | instskip(NEXT) | instid1(VALU_DEP_2)
	v_fma_f64 v[2:3], v[12:13], v[16:17], -v[2:3]
	v_fmac_f64_e32 v[42:43], v[14:15], v[16:17]
	ds_load_b128 v[12:15], v1 offset:2624
	s_wait_dscnt 0x0
	v_mul_f64_e32 v[18:19], v[2:3], v[14:15]
	v_mul_f64_e32 v[16:17], v[42:43], v[14:15]
	s_delay_alu instid0(VALU_DEP_2) | instskip(NEXT) | instid1(VALU_DEP_2)
	v_fmac_f64_e32 v[18:19], v[12:13], v[42:43]
	v_fma_f64 v[16:17], v[12:13], v[2:3], -v[16:17]
	ds_store_b128 v1, v[16:19] offset:2624
	ds_store_b128 v1, v[16:19] offset:2128
.LBB186_412:                            ;   in Loop: Header=BB186_3 Depth=1
	s_or_b32 exec_lo, exec_lo, s0
	v_mov_b64_e32 v[14:15], 0
	v_mov_b64_e32 v[12:13], 0
	s_wait_dscnt 0x0
	s_barrier_signal -1
	s_barrier_wait -1
	global_wb scope:SCOPE_DEV
	s_wait_storecnt 0x0
	global_inv scope:SCOPE_DEV
	s_and_saveexec_b32 s0, s6
	s_cbranch_execz .LBB186_418
; %bb.413:                              ;   in Loop: Header=BB186_3 Depth=1
	ds_load_b128 v[12:15], v55 offset:3648
	ds_load_b128 v[16:19], v54 offset:2048
	s_wait_dscnt 0x0
	v_mul_f64_e32 v[2:3], v[14:15], v[18:19]
	v_mul_f64_e32 v[18:19], v[12:13], v[18:19]
	s_delay_alu instid0(VALU_DEP_2) | instskip(NEXT) | instid1(VALU_DEP_2)
	v_fma_f64 v[2:3], v[12:13], v[16:17], -v[2:3]
	v_fmac_f64_e32 v[18:19], v[14:15], v[16:17]
	s_delay_alu instid0(VALU_DEP_2) | instskip(NEXT) | instid1(VALU_DEP_2)
	v_add_f64_e32 v[12:13], 0, v[2:3]
	v_add_f64_e32 v[14:15], 0, v[18:19]
	s_and_saveexec_b32 s1, s7
	s_cbranch_execnz .LBB186_572
; %bb.414:                              ;   in Loop: Header=BB186_3 Depth=1
	s_or_b32 exec_lo, exec_lo, s1
	s_and_saveexec_b32 s1, s8
	s_cbranch_execnz .LBB186_573
.LBB186_415:                            ;   in Loop: Header=BB186_3 Depth=1
	s_or_b32 exec_lo, exec_lo, s1
	s_and_saveexec_b32 s1, s3
	s_cbranch_execz .LBB186_417
.LBB186_416:                            ;   in Loop: Header=BB186_3 Depth=1
	ds_load_b128 v[16:19], v1 offset:3696
	ds_load_b128 v[204:207], v103 offset:3584
	s_wait_dscnt 0x0
	v_mul_f64_e32 v[2:3], v[18:19], v[206:207]
	s_delay_alu instid0(VALU_DEP_1) | instskip(SKIP_1) | instid1(VALU_DEP_2)
	v_fma_f64 v[2:3], v[16:17], v[204:205], -v[2:3]
	v_mul_f64_e32 v[16:17], v[16:17], v[206:207]
	v_add_f64_e32 v[12:13], v[12:13], v[2:3]
	s_delay_alu instid0(VALU_DEP_2) | instskip(NEXT) | instid1(VALU_DEP_1)
	v_fmac_f64_e32 v[16:17], v[18:19], v[204:205]
	v_add_f64_e32 v[14:15], v[14:15], v[16:17]
.LBB186_417:                            ;   in Loop: Header=BB186_3 Depth=1
	s_or_b32 exec_lo, exec_lo, s1
.LBB186_418:                            ;   in Loop: Header=BB186_3 Depth=1
	s_delay_alu instid0(SALU_CYCLE_1)
	s_or_b32 exec_lo, exec_lo, s0
	s_and_saveexec_b32 s0, s66
	s_cbranch_execz .LBB186_420
; %bb.419:                              ;   in Loop: Header=BB186_3 Depth=1
	ds_load_b128 v[16:19], v1 offset:1584
	s_wait_dscnt 0x0
	v_mul_f64_e32 v[2:3], v[14:15], v[18:19]
	v_mul_f64_e32 v[18:19], v[12:13], v[18:19]
	s_delay_alu instid0(VALU_DEP_1) | instskip(NEXT) | instid1(VALU_DEP_1)
	v_fmac_f64_e32 v[18:19], v[14:15], v[16:17]
	v_dual_fma_f64 v[2:3], v[12:13], v[16:17], -v[2:3] :: v_dual_mov_b32 v14, v18
	s_delay_alu instid0(VALU_DEP_1) | instskip(NEXT) | instid1(VALU_DEP_3)
	v_xor_b32_e32 v13, 0x80000000, v3
	v_xor_b32_e32 v15, 0x80000000, v19
	s_delay_alu instid0(VALU_DEP_3)
	v_mov_b32_e32 v12, v2
	ds_store_b128 v53, v[12:15]
	v_mov_b64_e32 v[12:13], v[2:3]
	v_mov_b64_e32 v[14:15], v[18:19]
.LBB186_420:                            ;   in Loop: Header=BB186_3 Depth=1
	s_or_b32 exec_lo, exec_lo, s0
	s_wait_loadcnt_dscnt 0x0
	s_barrier_signal -1
	s_barrier_wait -1
	s_and_saveexec_b32 s0, s67
	s_cbranch_execz .LBB186_422
; %bb.421:                              ;   in Loop: Header=BB186_3 Depth=1
	ds_load_b128 v[16:19], v53
	ds_load_b128 v[204:207], v54 offset:1536
	s_wait_dscnt 0x0
	v_mul_f64_e32 v[2:3], v[18:19], v[206:207]
	s_delay_alu instid0(VALU_DEP_1) | instskip(SKIP_1) | instid1(VALU_DEP_2)
	v_fma_f64 v[2:3], v[16:17], v[204:205], -v[2:3]
	v_mul_f64_e32 v[16:17], v[16:17], v[206:207]
	v_add_f64_e64 v[12:13], v[12:13], -v[2:3]
	s_delay_alu instid0(VALU_DEP_2) | instskip(NEXT) | instid1(VALU_DEP_1)
	v_fmac_f64_e32 v[16:17], v[18:19], v[204:205]
	v_add_f64_e64 v[14:15], v[14:15], -v[16:17]
.LBB186_422:                            ;   in Loop: Header=BB186_3 Depth=1
	s_or_b32 exec_lo, exec_lo, s0
	s_barrier_signal -1
	s_barrier_wait -1
	s_and_saveexec_b32 s0, s68
	s_cbranch_execz .LBB186_424
; %bb.423:                              ;   in Loop: Header=BB186_3 Depth=1
	ds_load_b128 v[16:19], v1 offset:1056
	s_wait_dscnt 0x0
	v_mul_f64_e32 v[2:3], v[14:15], v[18:19]
	v_mul_f64_e32 v[18:19], v[12:13], v[18:19]
	s_delay_alu instid0(VALU_DEP_1) | instskip(NEXT) | instid1(VALU_DEP_1)
	v_fmac_f64_e32 v[18:19], v[14:15], v[16:17]
	v_dual_fma_f64 v[2:3], v[12:13], v[16:17], -v[2:3] :: v_dual_mov_b32 v14, v18
	s_delay_alu instid0(VALU_DEP_1) | instskip(NEXT) | instid1(VALU_DEP_3)
	v_xor_b32_e32 v13, 0x80000000, v3
	v_xor_b32_e32 v15, 0x80000000, v19
	s_delay_alu instid0(VALU_DEP_3)
	v_mov_b32_e32 v12, v2
	ds_store_b128 v53, v[12:15]
	v_mov_b64_e32 v[12:13], v[2:3]
	v_mov_b64_e32 v[14:15], v[18:19]
.LBB186_424:                            ;   in Loop: Header=BB186_3 Depth=1
	s_or_b32 exec_lo, exec_lo, s0
	s_wait_dscnt 0x0
	s_barrier_signal -1
	s_barrier_wait -1
	s_and_saveexec_b32 s0, s69
	s_cbranch_execz .LBB186_426
; %bb.425:                              ;   in Loop: Header=BB186_3 Depth=1
	ds_load_b128 v[16:19], v53
	ds_load_b128 v[204:207], v54 offset:1024
	s_wait_dscnt 0x0
	v_mul_f64_e32 v[2:3], v[18:19], v[206:207]
	s_delay_alu instid0(VALU_DEP_1) | instskip(SKIP_1) | instid1(VALU_DEP_2)
	v_fma_f64 v[2:3], v[16:17], v[204:205], -v[2:3]
	v_mul_f64_e32 v[16:17], v[16:17], v[206:207]
	v_add_f64_e64 v[12:13], v[12:13], -v[2:3]
	s_delay_alu instid0(VALU_DEP_2) | instskip(NEXT) | instid1(VALU_DEP_1)
	v_fmac_f64_e32 v[16:17], v[18:19], v[204:205]
	v_add_f64_e64 v[14:15], v[14:15], -v[16:17]
.LBB186_426:                            ;   in Loop: Header=BB186_3 Depth=1
	s_or_b32 exec_lo, exec_lo, s0
	s_barrier_signal -1
	s_barrier_wait -1
	s_and_saveexec_b32 s0, s70
	s_cbranch_execz .LBB186_428
; %bb.427:                              ;   in Loop: Header=BB186_3 Depth=1
	ds_load_b128 v[16:19], v1 offset:528
	s_wait_dscnt 0x0
	v_mul_f64_e32 v[2:3], v[14:15], v[18:19]
	v_mul_f64_e32 v[18:19], v[12:13], v[18:19]
	s_delay_alu instid0(VALU_DEP_1) | instskip(NEXT) | instid1(VALU_DEP_1)
	v_fmac_f64_e32 v[18:19], v[14:15], v[16:17]
	v_dual_fma_f64 v[2:3], v[12:13], v[16:17], -v[2:3] :: v_dual_mov_b32 v14, v18
	s_delay_alu instid0(VALU_DEP_1) | instskip(NEXT) | instid1(VALU_DEP_3)
	v_xor_b32_e32 v13, 0x80000000, v3
	v_xor_b32_e32 v15, 0x80000000, v19
	s_delay_alu instid0(VALU_DEP_3)
	v_mov_b32_e32 v12, v2
	ds_store_b128 v53, v[12:15]
	v_mov_b64_e32 v[12:13], v[2:3]
	v_mov_b64_e32 v[14:15], v[18:19]
.LBB186_428:                            ;   in Loop: Header=BB186_3 Depth=1
	s_or_b32 exec_lo, exec_lo, s0
	s_wait_dscnt 0x0
	s_barrier_signal -1
	s_barrier_wait -1
	s_and_saveexec_b32 s0, s71
	s_cbranch_execz .LBB186_430
; %bb.429:                              ;   in Loop: Header=BB186_3 Depth=1
	ds_load_b128 v[16:19], v53
	ds_load_b128 v[204:207], v1 offset:512
	s_wait_dscnt 0x0
	v_mul_f64_e32 v[2:3], v[18:19], v[206:207]
	s_delay_alu instid0(VALU_DEP_1) | instskip(SKIP_1) | instid1(VALU_DEP_2)
	v_fma_f64 v[2:3], v[16:17], v[204:205], -v[2:3]
	v_mul_f64_e32 v[16:17], v[16:17], v[206:207]
	v_add_f64_e64 v[12:13], v[12:13], -v[2:3]
	s_delay_alu instid0(VALU_DEP_2) | instskip(NEXT) | instid1(VALU_DEP_1)
	v_fmac_f64_e32 v[16:17], v[18:19], v[204:205]
	v_add_f64_e64 v[14:15], v[14:15], -v[16:17]
.LBB186_430:                            ;   in Loop: Header=BB186_3 Depth=1
	s_or_b32 exec_lo, exec_lo, s0
	s_barrier_signal -1
	s_barrier_wait -1
	s_and_saveexec_b32 s0, s71
	s_cbranch_execz .LBB186_432
; %bb.431:                              ;   in Loop: Header=BB186_3 Depth=1
	ds_load_b128 v[16:19], v1
	s_wait_dscnt 0x0
	v_mul_f64_e32 v[2:3], v[14:15], v[18:19]
	v_mul_f64_e32 v[18:19], v[12:13], v[18:19]
	s_delay_alu instid0(VALU_DEP_1) | instskip(NEXT) | instid1(VALU_DEP_1)
	v_fmac_f64_e32 v[18:19], v[14:15], v[16:17]
	v_dual_fma_f64 v[2:3], v[12:13], v[16:17], -v[2:3] :: v_dual_mov_b32 v14, v18
	s_delay_alu instid0(VALU_DEP_1) | instskip(NEXT) | instid1(VALU_DEP_3)
	v_xor_b32_e32 v13, 0x80000000, v3
	v_xor_b32_e32 v15, 0x80000000, v19
	s_delay_alu instid0(VALU_DEP_3)
	v_mov_b32_e32 v12, v2
	ds_store_b128 v53, v[12:15]
	v_mov_b64_e32 v[12:13], v[2:3]
	v_mov_b64_e32 v[14:15], v[18:19]
.LBB186_432:                            ;   in Loop: Header=BB186_3 Depth=1
	s_or_b32 exec_lo, exec_lo, s0
	s_wait_dscnt 0x0
	s_barrier_signal -1
	s_barrier_wait -1
	s_barrier_signal -1
	s_barrier_wait -1
	s_and_saveexec_b32 s0, s6
; %bb.433:                              ;   in Loop: Header=BB186_3 Depth=1
	ds_store_b128 v56, v[12:15] offset:3584
; %bb.434:                              ;   in Loop: Header=BB186_3 Depth=1
	s_or_b32 exec_lo, exec_lo, s0
	s_wait_dscnt 0x0
	s_barrier_signal -1
	s_barrier_wait -1
	s_barrier_signal -1
	s_barrier_wait -1
	s_and_saveexec_b32 s0, s72
	s_cbranch_execz .LBB186_436
; %bb.435:                              ;   in Loop: Header=BB186_3 Depth=1
	ds_load_b128 v[12:15], v121
	s_wait_dscnt 0x0
	ds_store_b128 v195, v[12:15]
	ds_load_b128 v[12:15], v124
	s_wait_dscnt 0x0
	ds_store_b128 v198, v[12:15]
	;; [unrolled: 3-line block ×4, first 2 shown]
.LBB186_436:                            ;   in Loop: Header=BB186_3 Depth=1
	s_or_b32 exec_lo, exec_lo, s0
	s_wait_dscnt 0x0
	s_barrier_signal -1
	s_barrier_wait -1
	s_and_saveexec_b32 s0, s31
	s_cbranch_execz .LBB186_438
; %bb.437:                              ;   in Loop: Header=BB186_3 Depth=1
	ds_load_b128 v[12:15], v1 offset:1584
	ds_load_b128 v[16:19], v1 offset:1056
	s_wait_dscnt 0x0
	v_mul_f64_e32 v[2:3], v[14:15], v[18:19]
	v_mul_f64_e32 v[42:43], v[12:13], v[18:19]
	s_delay_alu instid0(VALU_DEP_2) | instskip(NEXT) | instid1(VALU_DEP_2)
	v_fma_f64 v[2:3], v[12:13], v[16:17], -v[2:3]
	v_fmac_f64_e32 v[42:43], v[14:15], v[16:17]
	ds_load_b128 v[12:15], v1 offset:1568
	s_wait_dscnt 0x0
	v_mul_f64_e32 v[18:19], v[2:3], v[14:15]
	v_mul_f64_e32 v[16:17], v[42:43], v[14:15]
	s_delay_alu instid0(VALU_DEP_2) | instskip(NEXT) | instid1(VALU_DEP_2)
	v_fmac_f64_e32 v[18:19], v[12:13], v[42:43]
	v_fma_f64 v[16:17], v[12:13], v[2:3], -v[16:17]
	ds_store_b128 v1, v[16:19] offset:1568
	ds_store_b128 v1, v[16:19] offset:1072
.LBB186_438:                            ;   in Loop: Header=BB186_3 Depth=1
	s_or_b32 exec_lo, exec_lo, s0
	v_mov_b64_e32 v[12:13], 0
	v_mov_b64_e32 v[14:15], 0
	s_wait_dscnt 0x0
	s_barrier_signal -1
	s_barrier_wait -1
	global_wb scope:SCOPE_DEV
	s_wait_storecnt 0x0
	global_inv scope:SCOPE_DEV
	s_and_saveexec_b32 s0, s3
	s_cbranch_execz .LBB186_442
; %bb.439:                              ;   in Loop: Header=BB186_3 Depth=1
	ds_load_b128 v[12:15], v47 offset:1568
	ds_load_b128 v[16:19], v46 offset:1024
	s_wait_dscnt 0x0
	v_mul_f64_e32 v[2:3], v[14:15], v[18:19]
	v_mul_f64_e32 v[18:19], v[12:13], v[18:19]
	s_delay_alu instid0(VALU_DEP_2) | instskip(NEXT) | instid1(VALU_DEP_2)
	v_fma_f64 v[2:3], v[12:13], v[16:17], -v[2:3]
	v_fmac_f64_e32 v[18:19], v[14:15], v[16:17]
	s_delay_alu instid0(VALU_DEP_2) | instskip(NEXT) | instid1(VALU_DEP_2)
	v_add_f64_e32 v[12:13], 0, v[2:3]
	v_add_f64_e32 v[14:15], 0, v[18:19]
	s_and_saveexec_b32 s1, s4
	s_cbranch_execz .LBB186_441
; %bb.440:                              ;   in Loop: Header=BB186_3 Depth=1
	ds_load_b128 v[16:19], v1 offset:1584
	ds_load_b128 v[204:207], v114 offset:1536
	s_wait_dscnt 0x0
	v_mul_f64_e32 v[2:3], v[18:19], v[206:207]
	s_delay_alu instid0(VALU_DEP_1) | instskip(SKIP_1) | instid1(VALU_DEP_2)
	v_fma_f64 v[2:3], v[16:17], v[204:205], -v[2:3]
	v_mul_f64_e32 v[16:17], v[16:17], v[206:207]
	v_add_f64_e32 v[12:13], v[12:13], v[2:3]
	s_delay_alu instid0(VALU_DEP_2) | instskip(NEXT) | instid1(VALU_DEP_1)
	v_fmac_f64_e32 v[16:17], v[18:19], v[204:205]
	v_add_f64_e32 v[14:15], v[14:15], v[16:17]
.LBB186_441:                            ;   in Loop: Header=BB186_3 Depth=1
	s_or_b32 exec_lo, exec_lo, s1
.LBB186_442:                            ;   in Loop: Header=BB186_3 Depth=1
	s_delay_alu instid0(SALU_CYCLE_1)
	s_or_b32 exec_lo, exec_lo, s0
	s_and_saveexec_b32 s0, s63
	s_cbranch_execz .LBB186_444
; %bb.443:                              ;   in Loop: Header=BB186_3 Depth=1
	ds_load_b128 v[16:19], v1 offset:528
	s_wait_dscnt 0x0
	v_mul_f64_e32 v[2:3], v[14:15], v[18:19]
	v_mul_f64_e32 v[18:19], v[12:13], v[18:19]
	s_delay_alu instid0(VALU_DEP_1) | instskip(NEXT) | instid1(VALU_DEP_1)
	v_fmac_f64_e32 v[18:19], v[14:15], v[16:17]
	v_dual_fma_f64 v[2:3], v[12:13], v[16:17], -v[2:3] :: v_dual_mov_b32 v14, v18
	s_delay_alu instid0(VALU_DEP_1) | instskip(NEXT) | instid1(VALU_DEP_3)
	v_xor_b32_e32 v13, 0x80000000, v3
	v_xor_b32_e32 v15, 0x80000000, v19
	s_delay_alu instid0(VALU_DEP_3)
	v_mov_b32_e32 v12, v2
	ds_store_b128 v21, v[12:15]
	v_mov_b64_e32 v[12:13], v[2:3]
	v_mov_b64_e32 v[14:15], v[18:19]
.LBB186_444:                            ;   in Loop: Header=BB186_3 Depth=1
	s_or_b32 exec_lo, exec_lo, s0
	s_wait_loadcnt_dscnt 0x0
	s_barrier_signal -1
	s_barrier_wait -1
	s_and_saveexec_b32 s0, s64
	s_cbranch_execz .LBB186_446
; %bb.445:                              ;   in Loop: Header=BB186_3 Depth=1
	ds_load_b128 v[16:19], v21
	ds_load_b128 v[204:207], v1 offset:512
	s_wait_dscnt 0x0
	v_mul_f64_e32 v[2:3], v[18:19], v[206:207]
	s_delay_alu instid0(VALU_DEP_1) | instskip(SKIP_1) | instid1(VALU_DEP_2)
	v_fma_f64 v[2:3], v[16:17], v[204:205], -v[2:3]
	v_mul_f64_e32 v[16:17], v[16:17], v[206:207]
	v_add_f64_e64 v[12:13], v[12:13], -v[2:3]
	s_delay_alu instid0(VALU_DEP_2) | instskip(NEXT) | instid1(VALU_DEP_1)
	v_fmac_f64_e32 v[16:17], v[18:19], v[204:205]
	v_add_f64_e64 v[14:15], v[14:15], -v[16:17]
.LBB186_446:                            ;   in Loop: Header=BB186_3 Depth=1
	s_or_b32 exec_lo, exec_lo, s0
	s_barrier_signal -1
	s_barrier_wait -1
	s_and_saveexec_b32 s0, s64
	s_cbranch_execz .LBB186_448
; %bb.447:                              ;   in Loop: Header=BB186_3 Depth=1
	ds_load_b128 v[16:19], v1
	s_wait_dscnt 0x0
	v_mul_f64_e32 v[2:3], v[14:15], v[18:19]
	v_mul_f64_e32 v[18:19], v[12:13], v[18:19]
	s_delay_alu instid0(VALU_DEP_1) | instskip(NEXT) | instid1(VALU_DEP_1)
	v_fmac_f64_e32 v[18:19], v[14:15], v[16:17]
	v_dual_fma_f64 v[2:3], v[12:13], v[16:17], -v[2:3] :: v_dual_mov_b32 v14, v18
	s_delay_alu instid0(VALU_DEP_1) | instskip(NEXT) | instid1(VALU_DEP_3)
	v_xor_b32_e32 v13, 0x80000000, v3
	v_xor_b32_e32 v15, 0x80000000, v19
	s_delay_alu instid0(VALU_DEP_3)
	v_mov_b32_e32 v12, v2
	ds_store_b128 v21, v[12:15]
	v_mov_b64_e32 v[12:13], v[2:3]
	v_mov_b64_e32 v[14:15], v[18:19]
.LBB186_448:                            ;   in Loop: Header=BB186_3 Depth=1
	s_or_b32 exec_lo, exec_lo, s0
	s_wait_dscnt 0x0
	s_barrier_signal -1
	s_barrier_wait -1
	s_barrier_signal -1
	s_barrier_wait -1
	s_and_saveexec_b32 s0, s3
; %bb.449:                              ;   in Loop: Header=BB186_3 Depth=1
	ds_store_b128 v49, v[12:15] offset:1536
; %bb.450:                              ;   in Loop: Header=BB186_3 Depth=1
	s_or_b32 exec_lo, exec_lo, s0
	s_wait_dscnt 0x0
	s_barrier_signal -1
	s_barrier_wait -1
	s_barrier_signal -1
	s_barrier_wait -1
	s_and_saveexec_b32 s0, s65
	s_cbranch_execz .LBB186_452
; %bb.451:                              ;   in Loop: Header=BB186_3 Depth=1
	ds_load_b128 v[12:15], v127
	s_wait_dscnt 0x0
	ds_store_b128 v133, v[12:15]
	ds_load_b128 v[12:15], v128
	s_wait_dscnt 0x0
	ds_store_b128 v134, v[12:15]
.LBB186_452:                            ;   in Loop: Header=BB186_3 Depth=1
	s_or_b32 exec_lo, exec_lo, s0
	s_wait_dscnt 0x0
	s_barrier_signal -1
	s_barrier_wait -1
	s_and_saveexec_b32 s0, s31
	s_cbranch_execz .LBB186_454
; %bb.453:                              ;   in Loop: Header=BB186_3 Depth=1
	ds_load_b128 v[12:15], v1 offset:528
	ds_load_b128 v[16:19], v1
	s_wait_dscnt 0x0
	v_mul_f64_e32 v[2:3], v[14:15], v[18:19]
	v_mul_f64_e32 v[42:43], v[12:13], v[18:19]
	s_delay_alu instid0(VALU_DEP_2) | instskip(NEXT) | instid1(VALU_DEP_2)
	v_fma_f64 v[2:3], v[12:13], v[16:17], -v[2:3]
	v_fmac_f64_e32 v[42:43], v[14:15], v[16:17]
	ds_load_b128 v[12:15], v1 offset:512
	s_wait_dscnt 0x0
	v_mul_f64_e32 v[18:19], v[2:3], v[14:15]
	v_mul_f64_e32 v[16:17], v[42:43], v[14:15]
	s_delay_alu instid0(VALU_DEP_2) | instskip(NEXT) | instid1(VALU_DEP_2)
	v_fmac_f64_e32 v[18:19], v[12:13], v[42:43]
	v_fma_f64 v[16:17], v[12:13], v[2:3], -v[16:17]
	ds_store_b128 v1, v[16:19] offset:512
	ds_store_b128 v1, v[16:19] offset:16
.LBB186_454:                            ;   in Loop: Header=BB186_3 Depth=1
	s_or_b32 exec_lo, exec_lo, s0
.LBB186_455:                            ;   in Loop: Header=BB186_3 Depth=1
	v_add_nc_u64_e32 v[40:41], s[46:47], v[40:41]
	v_mov_b64_e32 v[12:13], 0
	v_mov_b64_e32 v[14:15], 0
	s_wait_dscnt 0x0
	s_barrier_signal -1
	s_barrier_wait -1
	s_wait_xcnt 0x0
	s_and_saveexec_b32 s0, s92
	s_cbranch_execz .LBB186_457
; %bb.456:                              ;   in Loop: Header=BB186_3 Depth=1
	v_lshl_add_u64 v[2:3], v[28:29], 4, v[40:41]
	flat_load_b128 v[14:17], v[2:3]
	s_wait_loadcnt_dscnt 0x0
	v_mul_f64_e32 v[2:3], s[40:41], v[14:15]
	s_delay_alu instid0(VALU_DEP_1) | instskip(SKIP_1) | instid1(VALU_DEP_1)
	v_fma_f64 v[12:13], s[42:43], v[16:17], -v[2:3]
	v_mul_f64_e32 v[2:3], s[40:41], v[16:17]
	v_fma_f64 v[14:15], v[14:15], -s[42:43], -v[2:3]
.LBB186_457:                            ;   in Loop: Header=BB186_3 Depth=1
	s_or_b32 exec_lo, exec_lo, s0
	s_delay_alu instid0(SALU_CYCLE_1)
	s_and_not1_b32 vcc_lo, exec_lo, s93
	s_cbranch_vccnz .LBB186_480
; %bb.458:                              ;   in Loop: Header=BB186_3 Depth=1
	v_mov_b32_e32 v42, -1
	s_lshl_b64 s[0:1], s[38:39], 2
	s_delay_alu instid0(SALU_CYCLE_1)
	s_add_nc_u64 s[56:57], s[54:55], s[0:1]
	s_mov_b32 s1, 0
	s_branch .LBB186_461
.LBB186_459:                            ;   in Loop: Header=BB186_461 Depth=2
	ds_load_b128 v[204:207], v130 offset:256
	s_wait_loadcnt_dscnt 0x0
	v_mul_f64_e32 v[2:3], v[18:19], v[206:207]
	v_mul_f64_e32 v[18:19], v[18:19], v[204:205]
	s_delay_alu instid0(VALU_DEP_2) | instskip(NEXT) | instid1(VALU_DEP_2)
	v_fmac_f64_e32 v[2:3], v[16:17], v[204:205]
	v_fma_f64 v[16:17], v[16:17], v[206:207], -v[18:19]
	s_delay_alu instid0(VALU_DEP_2) | instskip(NEXT) | instid1(VALU_DEP_2)
	v_add_f64_e32 v[12:13], v[12:13], v[2:3]
	v_add_f64_e32 v[14:15], v[14:15], v[16:17]
.LBB186_460:                            ;   in Loop: Header=BB186_461 Depth=2
	s_or_b32 exec_lo, exec_lo, s0
	s_add_co_i32 s1, s1, 1
	s_delay_alu instid0(SALU_CYCLE_1)
	s_cmp_eq_u32 s1, s59
	s_cbranch_scc1 .LBB186_480
.LBB186_461:                            ;   Parent Loop BB186_3 Depth=1
                                        ; =>  This Loop Header: Depth=2
                                        ;       Child Loop BB186_463 Depth 3
	v_cmp_gt_i32_e32 vcc_lo, s1, v42
	s_and_b32 s25, s35, vcc_lo
	s_delay_alu instid0(SALU_CYCLE_1)
	s_and_saveexec_b32 s0, s25
	s_cbranch_execz .LBB186_464
; %bb.462:                              ;   in Loop: Header=BB186_461 Depth=2
	global_load_b32 v42, v1, s[56:57]
	s_wait_loadcnt 0x0
	v_cmp_le_i32_e32 vcc_lo, s1, v42
	s_cbranch_vccnz .LBB186_464
.LBB186_463:                            ;   Parent Loop BB186_3 Depth=1
                                        ;     Parent Loop BB186_461 Depth=2
                                        ; =>    This Inner Loop Header: Depth=3
	global_wb scope:SCOPE_DEV
	s_wait_storecnt 0x0
	global_inv scope:SCOPE_DEV
	global_load_b32 v42, v1, s[56:57]
	s_wait_loadcnt 0x0
	v_cmp_gt_i32_e32 vcc_lo, s1, v42
	s_cbranch_vccnz .LBB186_463
.LBB186_464:                            ;   in Loop: Header=BB186_461 Depth=2
	s_or_b32 exec_lo, exec_lo, s0
	s_lshl_b32 s0, s1, 5
	global_wb scope:SCOPE_DEV
	s_wait_storecnt 0x0
	global_inv scope:SCOPE_DEV
	s_wait_loadcnt 0x0
	s_barrier_signal -1
	s_barrier_wait -1
	s_and_saveexec_b32 s25, s36
	s_cbranch_execz .LBB186_469
; %bb.465:                              ;   in Loop: Header=BB186_461 Depth=2
	v_or_b32_e32 v0, s0, v22
	s_delay_alu instid0(VALU_DEP_1) | instskip(SKIP_1) | instid1(SALU_CYCLE_1)
	v_cmp_le_i32_e32 vcc_lo, s58, v0
	s_and_saveexec_b32 s20, vcc_lo
	s_xor_b32 vcc_lo, exec_lo, s20
; %bb.466:                              ;   in Loop: Header=BB186_461 Depth=2
	v_dual_mov_b32 v0, v1 :: v_dual_mov_b32 v2, v1
	v_mov_b32_e32 v3, v1
	ds_store_b128 v199, v[0:3]
; %bb.467:                              ;   in Loop: Header=BB186_461 Depth=2
	s_and_not1_saveexec_b32 s18, vcc_lo
	s_cbranch_execz .LBB186_469
; %bb.468:                              ;   in Loop: Header=BB186_461 Depth=2
	v_mul_u64_e32 v[2:3], s[52:53], v[0:1]
	s_delay_alu instid0(VALU_DEP_1)
	v_lshl_add_u64 v[2:3], v[2:3], 4, v[40:41]
	flat_load_b128 v[16:19], v[2:3]
	s_wait_loadcnt_dscnt 0x0
	ds_store_2addr_b64 v199, v[16:17], v[18:19] offset1:1
.LBB186_469:                            ;   in Loop: Header=BB186_461 Depth=2
	s_or_b32 exec_lo, exec_lo, s25
	v_add_nc_u32_e32 v0, s0, v44
	v_cmp_ne_u32_e32 vcc_lo, s1, v45
	s_wait_dscnt 0x0
	s_barrier_signal -1
	s_barrier_wait -1
	v_cmp_gt_i32_e64 s0, s58, v0
	v_lshl_add_u64 v[2:3], v[0:1], 4, v[38:39]
	v_cndmask_b32_e64 v43, 0, 1, vcc_lo
	s_and_b32 s18, s0, s2
	s_delay_alu instid0(SALU_CYCLE_1)
	s_and_saveexec_b32 s0, s18
	s_cbranch_execz .LBB186_475
; %bb.470:                              ;   in Loop: Header=BB186_461 Depth=2
	v_mov_b64_e32 v[16:17], v[4:5]
	s_and_not1_b32 vcc_lo, exec_lo, vcc_lo
	s_cbranch_vccnz .LBB186_472
; %bb.471:                              ;   in Loop: Header=BB186_461 Depth=2
	flat_load_b64 v[16:17], v[2:3]
.LBB186_472:                            ;   in Loop: Header=BB186_461 Depth=2
	v_cmp_ne_u32_e32 vcc_lo, 1, v43
	v_mov_b64_e32 v[18:19], v[6:7]
	s_cbranch_vccnz .LBB186_474
; %bb.473:                              ;   in Loop: Header=BB186_461 Depth=2
	flat_load_b64 v[18:19], v[2:3] offset:8
.LBB186_474:                            ;   in Loop: Header=BB186_461 Depth=2
	ds_load_b128 v[204:207], v130
	s_wait_loadcnt_dscnt 0x0
	v_mul_f64_e32 v[208:209], v[18:19], v[206:207]
	v_mul_f64_e32 v[18:19], v[18:19], v[204:205]
	s_delay_alu instid0(VALU_DEP_2) | instskip(NEXT) | instid1(VALU_DEP_2)
	v_fmac_f64_e32 v[208:209], v[16:17], v[204:205]
	v_fma_f64 v[16:17], v[16:17], v[206:207], -v[18:19]
	s_delay_alu instid0(VALU_DEP_2) | instskip(NEXT) | instid1(VALU_DEP_2)
	v_add_f64_e32 v[12:13], v[12:13], v[208:209]
	v_add_f64_e32 v[14:15], v[14:15], v[16:17]
.LBB186_475:                            ;   in Loop: Header=BB186_461 Depth=2
	s_or_b32 exec_lo, exec_lo, s0
	v_add_nc_u32_e32 v0, 16, v0
	s_delay_alu instid0(VALU_DEP_1) | instskip(SKIP_1) | instid1(SALU_CYCLE_1)
	v_cmp_gt_i32_e32 vcc_lo, s58, v0
	s_and_b32 s18, vcc_lo, s2
	s_and_saveexec_b32 s0, s18
	s_cbranch_execz .LBB186_460
; %bb.476:                              ;   in Loop: Header=BB186_461 Depth=2
	v_cmp_ne_u32_e32 vcc_lo, 1, v43
	v_mov_b64_e32 v[16:17], v[8:9]
	s_cbranch_vccnz .LBB186_478
; %bb.477:                              ;   in Loop: Header=BB186_461 Depth=2
	flat_load_b64 v[16:17], v[2:3] offset:256
.LBB186_478:                            ;   in Loop: Header=BB186_461 Depth=2
	v_cmp_ne_u32_e32 vcc_lo, 1, v43
	v_mov_b64_e32 v[18:19], v[10:11]
	s_cbranch_vccnz .LBB186_459
; %bb.479:                              ;   in Loop: Header=BB186_461 Depth=2
	flat_load_b64 v[18:19], v[2:3] offset:264
	s_branch .LBB186_459
.LBB186_480:                            ;   in Loop: Header=BB186_3 Depth=1
	ds_store_b128 v200, v[12:15]
	s_wait_dscnt 0x0
	s_barrier_signal -1
	s_barrier_wait -1
	s_and_saveexec_b32 s0, s5
	s_cbranch_execz .LBB186_482
; %bb.481:                              ;   in Loop: Header=BB186_3 Depth=1
	ds_load_b128 v[16:19], v201 offset:512
	s_wait_dscnt 0x0
	v_add_f64_e32 v[2:3], v[12:13], v[16:17]
	v_add_f64_e32 v[16:17], v[14:15], v[18:19]
	ds_load_b128 v[12:15], v201 offset:1024
	s_wait_dscnt 0x0
	v_add_f64_e32 v[2:3], v[2:3], v[12:13]
	v_add_f64_e32 v[16:17], v[16:17], v[14:15]
	;; [unrolled: 4-line block ×15, first 2 shown]
	s_delay_alu instid0(VALU_DEP_2) | instskip(NEXT) | instid1(VALU_DEP_2)
	v_xor_b32_e32 v0, 0x80000000, v3
	v_xor_b32_e32 v3, 0x80000000, v15
	s_delay_alu instid0(VALU_DEP_4) | instskip(NEXT) | instid1(VALU_DEP_4)
	v_cndmask_b32_e64 v12, v2, 0, s91
	v_cndmask_b32_e64 v14, v14, 0, s91
	s_delay_alu instid0(VALU_DEP_4) | instskip(NEXT) | instid1(VALU_DEP_4)
	v_cndmask_b32_e64 v13, v0, 0, s91
	v_cndmask_b32_e64 v15, v3, 0, s91
.LBB186_482:                            ;   in Loop: Header=BB186_3 Depth=1
	s_or_b32 exec_lo, exec_lo, s0
	s_delay_alu instid0(SALU_CYCLE_1)
	s_and_not1_b32 vcc_lo, exec_lo, s62
	s_cbranch_vccnz .LBB186_491
; %bb.483:                              ;   in Loop: Header=BB186_3 Depth=1
	s_and_saveexec_b32 s0, s5
; %bb.484:                              ;   in Loop: Header=BB186_3 Depth=1
	ds_store_b128 v202, v[12:15]
; %bb.485:                              ;   in Loop: Header=BB186_3 Depth=1
	s_or_b32 exec_lo, exec_lo, s0
	v_mov_b64_e32 v[16:17], 0
	v_mov_b64_e32 v[18:19], 0
	s_wait_dscnt 0x0
	s_barrier_signal -1
	s_barrier_wait -1
	s_and_saveexec_b32 s0, s16
	s_cbranch_execz .LBB186_487
; %bb.486:                              ;   in Loop: Header=BB186_3 Depth=1
	ds_load_b128 v[16:19], v130
	ds_load_b128 v[204:207], v135
	s_wait_dscnt 0x0
	v_mul_f64_e32 v[2:3], v[18:19], v[206:207]
	v_mul_f64_e32 v[38:39], v[16:17], v[206:207]
	s_delay_alu instid0(VALU_DEP_2) | instskip(NEXT) | instid1(VALU_DEP_2)
	v_fma_f64 v[2:3], v[16:17], v[204:205], -v[2:3]
	v_fmac_f64_e32 v[38:39], v[18:19], v[204:205]
	s_delay_alu instid0(VALU_DEP_2) | instskip(NEXT) | instid1(VALU_DEP_2)
	v_add_f64_e32 v[16:17], 0, v[2:3]
	v_add_f64_e32 v[18:19], 0, v[38:39]
.LBB186_487:                            ;   in Loop: Header=BB186_3 Depth=1
	s_or_b32 exec_lo, exec_lo, s0
	s_and_saveexec_b32 s0, s17
	s_cbranch_execz .LBB186_489
; %bb.488:                              ;   in Loop: Header=BB186_3 Depth=1
	ds_load_b128 v[204:207], v130 offset:256
	ds_load_b128 v[208:211], v135 offset:8192
	s_wait_dscnt 0x0
	v_mul_f64_e32 v[2:3], v[206:207], v[210:211]
	v_mul_f64_e32 v[38:39], v[204:205], v[210:211]
	s_delay_alu instid0(VALU_DEP_2) | instskip(NEXT) | instid1(VALU_DEP_2)
	v_fma_f64 v[2:3], v[204:205], v[208:209], -v[2:3]
	v_fmac_f64_e32 v[38:39], v[206:207], v[208:209]
	s_delay_alu instid0(VALU_DEP_2) | instskip(NEXT) | instid1(VALU_DEP_2)
	v_add_f64_e32 v[16:17], v[16:17], v[2:3]
	v_add_f64_e32 v[18:19], v[18:19], v[38:39]
.LBB186_489:                            ;   in Loop: Header=BB186_3 Depth=1
	s_or_b32 exec_lo, exec_lo, s0
	s_mov_b32 s1, 0
	s_mov_b32 s0, 0
	ds_store_b128 v200, v[16:19]
	s_wait_dscnt 0x0
	s_barrier_signal -1
	s_barrier_wait -1
                                        ; implicit-def: $vgpr2_vgpr3
                                        ; implicit-def: $vgpr38_vgpr39
	s_and_saveexec_b32 s56, s5
	s_cbranch_execz .LBB186_553
; %bb.490:                              ;   in Loop: Header=BB186_3 Depth=1
	ds_load_b128 v[204:207], v201 offset:512
	s_mov_b32 s0, exec_lo
	s_wait_dscnt 0x0
	v_add_f64_e32 v[2:3], v[16:17], v[204:205]
	v_add_f64_e32 v[38:39], v[18:19], v[206:207]
	ds_load_b128 v[16:19], v201 offset:1024
	s_wait_dscnt 0x0
	v_add_f64_e32 v[2:3], v[2:3], v[16:17]
	v_add_f64_e32 v[38:39], v[38:39], v[18:19]
	ds_load_b128 v[16:19], v201 offset:1536
	;; [unrolled: 4-line block ×14, first 2 shown]
	s_wait_dscnt 0x0
	v_add_f64_e32 v[38:39], v[2:3], v[16:17]
	v_add_f64_e32 v[2:3], v[42:43], v[18:19]
	s_or_b32 exec_lo, exec_lo, s56
	s_delay_alu instid0(SALU_CYCLE_1)
	s_and_b32 vcc_lo, exec_lo, s1
	s_cbranch_vccnz .LBB186_492
	s_branch .LBB186_554
.LBB186_491:                            ;   in Loop: Header=BB186_3 Depth=1
	s_mov_b32 s0, 0
                                        ; implicit-def: $vgpr2_vgpr3
                                        ; implicit-def: $vgpr38_vgpr39
	s_cbranch_execz .LBB186_554
.LBB186_492:                            ;   in Loop: Header=BB186_3 Depth=1
	v_dual_mov_b32 v0, v20 :: v_dual_mov_b32 v2, v23
	s_mov_b32 s1, 0
	s_branch .LBB186_494
.LBB186_493:                            ;   in Loop: Header=BB186_494 Depth=2
	s_or_b32 exec_lo, exec_lo, s25
	v_add_nc_u32_e32 v2, 0x400, v2
	v_add_nc_u32_e32 v0, -2, v0
	s_add_co_i32 s1, s1, 2
	s_delay_alu instid0(SALU_CYCLE_1)
	s_cmp_lg_u32 s1, 32
	s_barrier_signal -1
	s_barrier_wait -1
	s_cbranch_scc0 .LBB186_502
.LBB186_494:                            ;   Parent Loop BB186_3 Depth=1
                                        ; =>  This Inner Loop Header: Depth=2
	s_delay_alu instid0(VALU_DEP_1) | instskip(SKIP_1) | instid1(SALU_CYCLE_1)
	v_cmp_eq_u32_e32 vcc_lo, 0, v0
	s_and_b32 s18, s5, vcc_lo
	s_and_saveexec_b32 s25, s18
	s_cbranch_execz .LBB186_496
; %bb.495:                              ;   in Loop: Header=BB186_494 Depth=2
	ds_load_b128 v[16:19], v136
	s_wait_dscnt 0x0
	v_mul_f64_e32 v[38:39], v[14:15], v[18:19]
	v_mul_f64_e32 v[206:207], v[12:13], v[18:19]
	s_delay_alu instid0(VALU_DEP_2) | instskip(NEXT) | instid1(VALU_DEP_2)
	v_fma_f64 v[204:205], v[12:13], v[16:17], -v[38:39]
	v_fmac_f64_e32 v[206:207], v[14:15], v[16:17]
	s_delay_alu instid0(VALU_DEP_2) | instskip(NEXT) | instid1(VALU_DEP_2)
	v_mov_b64_e32 v[12:13], v[204:205]
	v_mov_b64_e32 v[14:15], v[206:207]
	ds_store_b128 v1, v[204:207] offset:25088
.LBB186_496:                            ;   in Loop: Header=BB186_494 Depth=2
	s_or_b32 exec_lo, exec_lo, s25
	v_cmp_lt_u32_e32 vcc_lo, s1, v20
	s_wait_dscnt 0x0
	s_barrier_signal -1
	s_barrier_wait -1
	s_and_b32 s18, s5, vcc_lo
	s_delay_alu instid0(SALU_CYCLE_1)
	s_and_saveexec_b32 s25, s18
	s_cbranch_execz .LBB186_498
; %bb.497:                              ;   in Loop: Header=BB186_494 Depth=2
	ds_load_b128 v[16:19], v1 offset:25088
	ds_load_b128 v[204:207], v2
	s_wait_dscnt 0x0
	v_mul_f64_e32 v[38:39], v[18:19], v[206:207]
	s_delay_alu instid0(VALU_DEP_1) | instskip(SKIP_1) | instid1(VALU_DEP_2)
	v_fma_f64 v[38:39], v[16:17], v[204:205], -v[38:39]
	v_mul_f64_e32 v[16:17], v[16:17], v[206:207]
	v_add_f64_e32 v[12:13], v[12:13], v[38:39]
	s_delay_alu instid0(VALU_DEP_2) | instskip(NEXT) | instid1(VALU_DEP_1)
	v_fmac_f64_e32 v[16:17], v[18:19], v[204:205]
	v_add_f64_e32 v[14:15], v[14:15], v[16:17]
.LBB186_498:                            ;   in Loop: Header=BB186_494 Depth=2
	s_or_b32 exec_lo, exec_lo, s25
	s_or_b32 s56, s1, 1
	s_delay_alu instid0(SALU_CYCLE_1) | instskip(SKIP_3) | instid1(SALU_CYCLE_1)
	v_cmp_eq_u32_e32 vcc_lo, s56, v20
	s_barrier_signal -1
	s_barrier_wait -1
	s_and_b32 s18, s5, vcc_lo
	s_and_saveexec_b32 s25, s18
	s_cbranch_execz .LBB186_500
; %bb.499:                              ;   in Loop: Header=BB186_494 Depth=2
	ds_load_b128 v[16:19], v136
	s_wait_dscnt 0x0
	v_mul_f64_e32 v[38:39], v[14:15], v[18:19]
	v_mul_f64_e32 v[206:207], v[12:13], v[18:19]
	s_delay_alu instid0(VALU_DEP_2) | instskip(NEXT) | instid1(VALU_DEP_2)
	v_fma_f64 v[204:205], v[12:13], v[16:17], -v[38:39]
	v_fmac_f64_e32 v[206:207], v[14:15], v[16:17]
	s_delay_alu instid0(VALU_DEP_2) | instskip(NEXT) | instid1(VALU_DEP_2)
	v_mov_b64_e32 v[12:13], v[204:205]
	v_mov_b64_e32 v[14:15], v[206:207]
	ds_store_b128 v1, v[204:207] offset:25088
.LBB186_500:                            ;   in Loop: Header=BB186_494 Depth=2
	s_or_b32 exec_lo, exec_lo, s25
	v_cmp_lt_u32_e32 vcc_lo, s56, v20
	s_wait_dscnt 0x0
	s_barrier_signal -1
	s_barrier_wait -1
	s_and_b32 s18, s5, vcc_lo
	s_delay_alu instid0(SALU_CYCLE_1)
	s_and_saveexec_b32 s25, s18
	s_cbranch_execz .LBB186_493
; %bb.501:                              ;   in Loop: Header=BB186_494 Depth=2
	ds_load_b128 v[16:19], v1 offset:25088
	ds_load_b128 v[204:207], v2 offset:512
	s_wait_dscnt 0x0
	v_mul_f64_e32 v[38:39], v[18:19], v[206:207]
	s_delay_alu instid0(VALU_DEP_1) | instskip(SKIP_1) | instid1(VALU_DEP_2)
	v_fma_f64 v[38:39], v[16:17], v[204:205], -v[38:39]
	v_mul_f64_e32 v[16:17], v[16:17], v[206:207]
	v_add_f64_e32 v[12:13], v[12:13], v[38:39]
	s_delay_alu instid0(VALU_DEP_2) | instskip(NEXT) | instid1(VALU_DEP_1)
	v_fmac_f64_e32 v[16:17], v[18:19], v[204:205]
	v_add_f64_e32 v[14:15], v[14:15], v[16:17]
	s_branch .LBB186_493
.LBB186_502:                            ;   in Loop: Header=BB186_3 Depth=1
	s_and_b32 vcc_lo, exec_lo, s61
	s_mov_b32 s1, -1
	s_cbranch_vccz .LBB186_504
; %bb.503:                              ;   in Loop: Header=BB186_3 Depth=1
	s_and_not1_b32 s0, s0, exec_lo
	s_and_b32 s18, s5, exec_lo
	s_mov_b32 s1, 0
	s_or_b32 s0, s0, s18
.LBB186_504:                            ;   in Loop: Header=BB186_3 Depth=1
	s_and_not1_b32 vcc_lo, exec_lo, s1
	s_cbranch_vccnz .LBB186_506
; %bb.505:                              ;   in Loop: Header=BB186_3 Depth=1
	v_readlane_b32 s1, v203, 9
	s_and_not1_b32 s0, s0, exec_lo
	s_and_b32 s1, s1, exec_lo
	s_delay_alu instid0(SALU_CYCLE_1)
	s_or_b32 s0, s0, s1
.LBB186_506:                            ;   in Loop: Header=BB186_3 Depth=1
	v_mov_b64_e32 v[2:3], v[34:35]
	s_and_saveexec_b32 s1, s0
	s_cbranch_execnz .LBB186_555
	s_branch .LBB186_556
.LBB186_507:                            ;   in Loop: Header=BB186_3 Depth=1
	v_readlane_b32 s18, v203, 10
	s_and_saveexec_b32 s1, s18
	s_delay_alu instid0(SALU_CYCLE_1)
	s_xor_b32 s1, exec_lo, s1
	s_cbranch_execz .LBB186_511
; %bb.508:                              ;   in Loop: Header=BB186_3 Depth=1
	v_readlane_b32 s18, v203, 24
	s_and_saveexec_b32 s25, s18
; %bb.509:                              ;   in Loop: Header=BB186_3 Depth=1
	v_dual_mov_b32 v0, v1 :: v_dual_mov_b32 v2, v1
	v_mov_b32_e32 v3, v1
	ds_store_b128 v137, v[0:3]
; %bb.510:                              ;   in Loop: Header=BB186_3 Depth=1
	s_or_b32 exec_lo, exec_lo, s25
.LBB186_511:                            ;   in Loop: Header=BB186_3 Depth=1
	s_and_not1_saveexec_b32 s1, s1
	s_cbranch_execz .LBB186_517
; %bb.512:                              ;   in Loop: Header=BB186_3 Depth=1
	v_lshl_add_u64 v[2:3], v[30:31], 4, v[42:43]
	s_mov_b32 s56, exec_lo
                                        ; implicit-def: $vgpr16_vgpr17
	flat_load_b128 v[12:15], v[2:3]
	s_wait_loadcnt_dscnt 0x0
	v_cmpx_ngt_f64_e64 |v[12:13]|, |v[14:15]|
	s_xor_b32 s56, exec_lo, s56
	s_cbranch_execz .LBB186_514
; %bb.513:                              ;   in Loop: Header=BB186_3 Depth=1
	v_div_scale_f64 v[2:3], null, -v[14:15], -v[14:15], v[12:13]
	v_div_scale_f64 v[204:205], vcc_lo, v[12:13], -v[14:15], v[12:13]
	s_delay_alu instid0(VALU_DEP_2) | instskip(SKIP_1) | instid1(TRANS32_DEP_1)
	v_rcp_f64_e32 v[16:17], v[2:3]
	v_nop
	v_fma_f64 v[18:19], -v[2:3], v[16:17], 1.0
	s_delay_alu instid0(VALU_DEP_1) | instskip(NEXT) | instid1(VALU_DEP_1)
	v_fmac_f64_e32 v[16:17], v[16:17], v[18:19]
	v_fma_f64 v[18:19], -v[2:3], v[16:17], 1.0
	s_delay_alu instid0(VALU_DEP_1) | instskip(NEXT) | instid1(VALU_DEP_1)
	v_fmac_f64_e32 v[16:17], v[16:17], v[18:19]
	v_mul_f64_e32 v[18:19], v[204:205], v[16:17]
	s_delay_alu instid0(VALU_DEP_1) | instskip(NEXT) | instid1(VALU_DEP_1)
	v_fma_f64 v[2:3], -v[2:3], v[18:19], v[204:205]
	v_div_fmas_f64 v[2:3], v[2:3], v[16:17], v[18:19]
	s_delay_alu instid0(VALU_DEP_1) | instskip(NEXT) | instid1(VALU_DEP_1)
	v_div_fixup_f64 v[2:3], v[2:3], -v[14:15], v[12:13]
	v_fma_f64 v[12:13], v[12:13], v[2:3], -v[14:15]
	s_delay_alu instid0(VALU_DEP_1) | instskip(NEXT) | instid1(VALU_DEP_1)
	v_div_scale_f64 v[14:15], null, v[12:13], v[12:13], 1.0
	v_rcp_f64_e32 v[16:17], v[14:15]
	v_nop
	s_delay_alu instid0(TRANS32_DEP_1) | instskip(NEXT) | instid1(VALU_DEP_1)
	v_fma_f64 v[18:19], -v[14:15], v[16:17], 1.0
	v_fmac_f64_e32 v[16:17], v[16:17], v[18:19]
	s_delay_alu instid0(VALU_DEP_1) | instskip(NEXT) | instid1(VALU_DEP_1)
	v_fma_f64 v[18:19], -v[14:15], v[16:17], 1.0
	v_fmac_f64_e32 v[16:17], v[16:17], v[18:19]
	v_div_scale_f64 v[18:19], vcc_lo, 1.0, v[12:13], 1.0
	s_delay_alu instid0(VALU_DEP_1) | instskip(NEXT) | instid1(VALU_DEP_1)
	v_mul_f64_e32 v[204:205], v[18:19], v[16:17]
	v_fma_f64 v[14:15], -v[14:15], v[204:205], v[18:19]
	s_delay_alu instid0(VALU_DEP_1) | instskip(NEXT) | instid1(VALU_DEP_1)
	v_div_fmas_f64 v[14:15], v[14:15], v[16:17], v[204:205]
	v_div_fixup_f64 v[18:19], v[14:15], v[12:13], 1.0
                                        ; implicit-def: $vgpr12_vgpr13
	s_delay_alu instid0(VALU_DEP_1)
	v_mul_f64_e32 v[16:17], v[2:3], v[18:19]
	v_xor_b32_e32 v19, 0x80000000, v19
.LBB186_514:                            ;   in Loop: Header=BB186_3 Depth=1
	s_and_not1_saveexec_b32 s56, s56
	s_cbranch_execz .LBB186_516
; %bb.515:                              ;   in Loop: Header=BB186_3 Depth=1
	v_div_scale_f64 v[2:3], null, v[12:13], v[12:13], -v[14:15]
	v_div_scale_f64 v[204:205], vcc_lo, -v[14:15], v[12:13], -v[14:15]
	s_delay_alu instid0(VALU_DEP_2) | instskip(SKIP_1) | instid1(TRANS32_DEP_1)
	v_rcp_f64_e32 v[16:17], v[2:3]
	v_nop
	v_fma_f64 v[18:19], -v[2:3], v[16:17], 1.0
	s_delay_alu instid0(VALU_DEP_1) | instskip(NEXT) | instid1(VALU_DEP_1)
	v_fmac_f64_e32 v[16:17], v[16:17], v[18:19]
	v_fma_f64 v[18:19], -v[2:3], v[16:17], 1.0
	s_delay_alu instid0(VALU_DEP_1) | instskip(NEXT) | instid1(VALU_DEP_1)
	v_fmac_f64_e32 v[16:17], v[16:17], v[18:19]
	v_mul_f64_e32 v[18:19], v[204:205], v[16:17]
	s_delay_alu instid0(VALU_DEP_1) | instskip(NEXT) | instid1(VALU_DEP_1)
	v_fma_f64 v[2:3], -v[2:3], v[18:19], v[204:205]
	v_div_fmas_f64 v[2:3], v[2:3], v[16:17], v[18:19]
	s_delay_alu instid0(VALU_DEP_1) | instskip(NEXT) | instid1(VALU_DEP_1)
	v_div_fixup_f64 v[2:3], v[2:3], v[12:13], -v[14:15]
	v_fma_f64 v[12:13], -v[14:15], v[2:3], v[12:13]
	s_delay_alu instid0(VALU_DEP_1) | instskip(NEXT) | instid1(VALU_DEP_1)
	v_div_scale_f64 v[14:15], null, v[12:13], v[12:13], 1.0
	v_rcp_f64_e32 v[16:17], v[14:15]
	v_nop
	s_delay_alu instid0(TRANS32_DEP_1) | instskip(NEXT) | instid1(VALU_DEP_1)
	v_fma_f64 v[18:19], -v[14:15], v[16:17], 1.0
	v_fmac_f64_e32 v[16:17], v[16:17], v[18:19]
	s_delay_alu instid0(VALU_DEP_1) | instskip(NEXT) | instid1(VALU_DEP_1)
	v_fma_f64 v[18:19], -v[14:15], v[16:17], 1.0
	v_fmac_f64_e32 v[16:17], v[16:17], v[18:19]
	v_div_scale_f64 v[18:19], vcc_lo, 1.0, v[12:13], 1.0
	s_delay_alu instid0(VALU_DEP_1) | instskip(NEXT) | instid1(VALU_DEP_1)
	v_mul_f64_e32 v[204:205], v[18:19], v[16:17]
	v_fma_f64 v[14:15], -v[14:15], v[204:205], v[18:19]
	s_delay_alu instid0(VALU_DEP_1) | instskip(NEXT) | instid1(VALU_DEP_1)
	v_div_fmas_f64 v[14:15], v[14:15], v[16:17], v[204:205]
	v_div_fixup_f64 v[16:17], v[14:15], v[12:13], 1.0
	s_delay_alu instid0(VALU_DEP_1)
	v_mul_f64_e64 v[18:19], v[2:3], -v[16:17]
.LBB186_516:                            ;   in Loop: Header=BB186_3 Depth=1
	s_or_b32 exec_lo, exec_lo, s56
	ds_store_b128 v137, v[16:19]
.LBB186_517:                            ;   in Loop: Header=BB186_3 Depth=1
	s_or_b32 exec_lo, exec_lo, s1
	s_and_not1_saveexec_b32 s0, s0
	s_cbranch_execz .LBB186_13
.LBB186_518:                            ;   in Loop: Header=BB186_3 Depth=1
	v_lshl_add_u64 v[2:3], v[30:31], 4, v[42:43]
	flat_load_b128 v[12:15], v[2:3]
	s_wait_loadcnt_dscnt 0x0
	v_xor_b32_e32 v13, 0x80000000, v13
	ds_store_b128 v137, v[12:15]
	s_or_b32 exec_lo, exec_lo, s0
	s_and_saveexec_b32 s0, s17
	s_delay_alu instid0(SALU_CYCLE_1)
	s_xor_b32 s0, exec_lo, s0
	s_cbranch_execz .LBB186_14
.LBB186_519:                            ;   in Loop: Header=BB186_3 Depth=1
	s_and_saveexec_b32 s1, s19
	s_delay_alu instid0(SALU_CYCLE_1)
	s_xor_b32 s1, exec_lo, s1
	s_cbranch_execz .LBB186_523
; %bb.520:                              ;   in Loop: Header=BB186_3 Depth=1
	v_readlane_b32 s18, v203, 25
	s_and_saveexec_b32 s25, s18
; %bb.521:                              ;   in Loop: Header=BB186_3 Depth=1
	v_dual_mov_b32 v0, v1 :: v_dual_mov_b32 v2, v1
	v_mov_b32_e32 v3, v1
	ds_store_b128 v138, v[0:3]
; %bb.522:                              ;   in Loop: Header=BB186_3 Depth=1
	s_or_b32 exec_lo, exec_lo, s25
.LBB186_523:                            ;   in Loop: Header=BB186_3 Depth=1
	s_and_not1_saveexec_b32 s1, s1
	s_cbranch_execz .LBB186_529
; %bb.524:                              ;   in Loop: Header=BB186_3 Depth=1
	v_lshl_add_u64 v[2:3], v[32:33], 4, v[42:43]
	s_mov_b32 s56, exec_lo
                                        ; implicit-def: $vgpr16_vgpr17
	flat_load_b128 v[12:15], v[2:3]
	s_wait_loadcnt_dscnt 0x0
	v_cmpx_ngt_f64_e64 |v[12:13]|, |v[14:15]|
	s_xor_b32 s56, exec_lo, s56
	s_cbranch_execz .LBB186_526
; %bb.525:                              ;   in Loop: Header=BB186_3 Depth=1
	v_div_scale_f64 v[2:3], null, -v[14:15], -v[14:15], v[12:13]
	v_div_scale_f64 v[204:205], vcc_lo, v[12:13], -v[14:15], v[12:13]
	s_delay_alu instid0(VALU_DEP_2) | instskip(SKIP_1) | instid1(TRANS32_DEP_1)
	v_rcp_f64_e32 v[16:17], v[2:3]
	v_nop
	v_fma_f64 v[18:19], -v[2:3], v[16:17], 1.0
	s_delay_alu instid0(VALU_DEP_1) | instskip(NEXT) | instid1(VALU_DEP_1)
	v_fmac_f64_e32 v[16:17], v[16:17], v[18:19]
	v_fma_f64 v[18:19], -v[2:3], v[16:17], 1.0
	s_delay_alu instid0(VALU_DEP_1) | instskip(NEXT) | instid1(VALU_DEP_1)
	v_fmac_f64_e32 v[16:17], v[16:17], v[18:19]
	v_mul_f64_e32 v[18:19], v[204:205], v[16:17]
	s_delay_alu instid0(VALU_DEP_1) | instskip(NEXT) | instid1(VALU_DEP_1)
	v_fma_f64 v[2:3], -v[2:3], v[18:19], v[204:205]
	v_div_fmas_f64 v[2:3], v[2:3], v[16:17], v[18:19]
	s_delay_alu instid0(VALU_DEP_1) | instskip(NEXT) | instid1(VALU_DEP_1)
	v_div_fixup_f64 v[2:3], v[2:3], -v[14:15], v[12:13]
	v_fma_f64 v[12:13], v[12:13], v[2:3], -v[14:15]
	s_delay_alu instid0(VALU_DEP_1) | instskip(NEXT) | instid1(VALU_DEP_1)
	v_div_scale_f64 v[14:15], null, v[12:13], v[12:13], 1.0
	v_rcp_f64_e32 v[16:17], v[14:15]
	v_nop
	s_delay_alu instid0(TRANS32_DEP_1) | instskip(NEXT) | instid1(VALU_DEP_1)
	v_fma_f64 v[18:19], -v[14:15], v[16:17], 1.0
	v_fmac_f64_e32 v[16:17], v[16:17], v[18:19]
	s_delay_alu instid0(VALU_DEP_1) | instskip(NEXT) | instid1(VALU_DEP_1)
	v_fma_f64 v[18:19], -v[14:15], v[16:17], 1.0
	v_fmac_f64_e32 v[16:17], v[16:17], v[18:19]
	v_div_scale_f64 v[18:19], vcc_lo, 1.0, v[12:13], 1.0
	s_delay_alu instid0(VALU_DEP_1) | instskip(NEXT) | instid1(VALU_DEP_1)
	v_mul_f64_e32 v[204:205], v[18:19], v[16:17]
	v_fma_f64 v[14:15], -v[14:15], v[204:205], v[18:19]
	s_delay_alu instid0(VALU_DEP_1) | instskip(NEXT) | instid1(VALU_DEP_1)
	v_div_fmas_f64 v[14:15], v[14:15], v[16:17], v[204:205]
	v_div_fixup_f64 v[18:19], v[14:15], v[12:13], 1.0
                                        ; implicit-def: $vgpr12_vgpr13
	s_delay_alu instid0(VALU_DEP_1)
	v_mul_f64_e32 v[16:17], v[2:3], v[18:19]
	v_xor_b32_e32 v19, 0x80000000, v19
.LBB186_526:                            ;   in Loop: Header=BB186_3 Depth=1
	s_and_not1_saveexec_b32 s56, s56
	s_cbranch_execz .LBB186_528
; %bb.527:                              ;   in Loop: Header=BB186_3 Depth=1
	v_div_scale_f64 v[2:3], null, v[12:13], v[12:13], -v[14:15]
	v_div_scale_f64 v[204:205], vcc_lo, -v[14:15], v[12:13], -v[14:15]
	s_delay_alu instid0(VALU_DEP_2) | instskip(SKIP_1) | instid1(TRANS32_DEP_1)
	v_rcp_f64_e32 v[16:17], v[2:3]
	v_nop
	v_fma_f64 v[18:19], -v[2:3], v[16:17], 1.0
	s_delay_alu instid0(VALU_DEP_1) | instskip(NEXT) | instid1(VALU_DEP_1)
	v_fmac_f64_e32 v[16:17], v[16:17], v[18:19]
	v_fma_f64 v[18:19], -v[2:3], v[16:17], 1.0
	s_delay_alu instid0(VALU_DEP_1) | instskip(NEXT) | instid1(VALU_DEP_1)
	v_fmac_f64_e32 v[16:17], v[16:17], v[18:19]
	v_mul_f64_e32 v[18:19], v[204:205], v[16:17]
	s_delay_alu instid0(VALU_DEP_1) | instskip(NEXT) | instid1(VALU_DEP_1)
	v_fma_f64 v[2:3], -v[2:3], v[18:19], v[204:205]
	v_div_fmas_f64 v[2:3], v[2:3], v[16:17], v[18:19]
	s_delay_alu instid0(VALU_DEP_1) | instskip(NEXT) | instid1(VALU_DEP_1)
	v_div_fixup_f64 v[2:3], v[2:3], v[12:13], -v[14:15]
	v_fma_f64 v[12:13], -v[14:15], v[2:3], v[12:13]
	s_delay_alu instid0(VALU_DEP_1) | instskip(NEXT) | instid1(VALU_DEP_1)
	v_div_scale_f64 v[14:15], null, v[12:13], v[12:13], 1.0
	v_rcp_f64_e32 v[16:17], v[14:15]
	v_nop
	s_delay_alu instid0(TRANS32_DEP_1) | instskip(NEXT) | instid1(VALU_DEP_1)
	v_fma_f64 v[18:19], -v[14:15], v[16:17], 1.0
	v_fmac_f64_e32 v[16:17], v[16:17], v[18:19]
	s_delay_alu instid0(VALU_DEP_1) | instskip(NEXT) | instid1(VALU_DEP_1)
	v_fma_f64 v[18:19], -v[14:15], v[16:17], 1.0
	v_fmac_f64_e32 v[16:17], v[16:17], v[18:19]
	v_div_scale_f64 v[18:19], vcc_lo, 1.0, v[12:13], 1.0
	s_delay_alu instid0(VALU_DEP_1) | instskip(NEXT) | instid1(VALU_DEP_1)
	v_mul_f64_e32 v[204:205], v[18:19], v[16:17]
	v_fma_f64 v[14:15], -v[14:15], v[204:205], v[18:19]
	s_delay_alu instid0(VALU_DEP_1) | instskip(NEXT) | instid1(VALU_DEP_1)
	v_div_fmas_f64 v[14:15], v[14:15], v[16:17], v[204:205]
	v_div_fixup_f64 v[16:17], v[14:15], v[12:13], 1.0
	s_delay_alu instid0(VALU_DEP_1)
	v_mul_f64_e64 v[18:19], v[2:3], -v[16:17]
.LBB186_528:                            ;   in Loop: Header=BB186_3 Depth=1
	s_or_b32 exec_lo, exec_lo, s56
	ds_store_b128 v138, v[16:19]
.LBB186_529:                            ;   in Loop: Header=BB186_3 Depth=1
	s_or_b32 exec_lo, exec_lo, s1
	s_and_not1_saveexec_b32 s0, s0
	s_cbranch_execnz .LBB186_15
	s_branch .LBB186_16
.LBB186_530:                            ;   in Loop: Header=BB186_3 Depth=1
	v_readlane_b32 s18, v203, 11
	s_and_saveexec_b32 s1, s18
	s_delay_alu instid0(SALU_CYCLE_1)
	s_xor_b32 s1, exec_lo, s1
	s_cbranch_execz .LBB186_534
; %bb.531:                              ;   in Loop: Header=BB186_3 Depth=1
	v_readlane_b32 s18, v203, 24
	s_and_saveexec_b32 s25, s18
; %bb.532:                              ;   in Loop: Header=BB186_3 Depth=1
	v_dual_mov_b32 v0, v1 :: v_dual_mov_b32 v2, v1
	v_mov_b32_e32 v3, v1
	ds_store_b128 v129, v[0:3]
; %bb.533:                              ;   in Loop: Header=BB186_3 Depth=1
	s_or_b32 exec_lo, exec_lo, s25
.LBB186_534:                            ;   in Loop: Header=BB186_3 Depth=1
	s_and_not1_saveexec_b32 s1, s1
	s_cbranch_execz .LBB186_540
; %bb.535:                              ;   in Loop: Header=BB186_3 Depth=1
	v_lshl_add_u64 v[2:3], v[30:31], 4, v[42:43]
	s_mov_b32 s56, exec_lo
                                        ; implicit-def: $vgpr16_vgpr17
	flat_load_b128 v[12:15], v[2:3]
	s_wait_loadcnt_dscnt 0x0
	v_cmpx_ngt_f64_e64 |v[12:13]|, |v[14:15]|
	s_xor_b32 s56, exec_lo, s56
	s_cbranch_execz .LBB186_537
; %bb.536:                              ;   in Loop: Header=BB186_3 Depth=1
	v_div_scale_f64 v[2:3], null, -v[14:15], -v[14:15], v[12:13]
	v_div_scale_f64 v[204:205], vcc_lo, v[12:13], -v[14:15], v[12:13]
	s_delay_alu instid0(VALU_DEP_2) | instskip(SKIP_1) | instid1(TRANS32_DEP_1)
	v_rcp_f64_e32 v[16:17], v[2:3]
	v_nop
	v_fma_f64 v[18:19], -v[2:3], v[16:17], 1.0
	s_delay_alu instid0(VALU_DEP_1) | instskip(NEXT) | instid1(VALU_DEP_1)
	v_fmac_f64_e32 v[16:17], v[16:17], v[18:19]
	v_fma_f64 v[18:19], -v[2:3], v[16:17], 1.0
	s_delay_alu instid0(VALU_DEP_1) | instskip(NEXT) | instid1(VALU_DEP_1)
	v_fmac_f64_e32 v[16:17], v[16:17], v[18:19]
	v_mul_f64_e32 v[18:19], v[204:205], v[16:17]
	s_delay_alu instid0(VALU_DEP_1) | instskip(NEXT) | instid1(VALU_DEP_1)
	v_fma_f64 v[2:3], -v[2:3], v[18:19], v[204:205]
	v_div_fmas_f64 v[2:3], v[2:3], v[16:17], v[18:19]
	s_delay_alu instid0(VALU_DEP_1) | instskip(NEXT) | instid1(VALU_DEP_1)
	v_div_fixup_f64 v[2:3], v[2:3], -v[14:15], v[12:13]
	v_fma_f64 v[12:13], v[12:13], v[2:3], -v[14:15]
	s_delay_alu instid0(VALU_DEP_1) | instskip(NEXT) | instid1(VALU_DEP_1)
	v_div_scale_f64 v[14:15], null, v[12:13], v[12:13], 1.0
	v_rcp_f64_e32 v[16:17], v[14:15]
	v_nop
	s_delay_alu instid0(TRANS32_DEP_1) | instskip(NEXT) | instid1(VALU_DEP_1)
	v_fma_f64 v[18:19], -v[14:15], v[16:17], 1.0
	v_fmac_f64_e32 v[16:17], v[16:17], v[18:19]
	s_delay_alu instid0(VALU_DEP_1) | instskip(NEXT) | instid1(VALU_DEP_1)
	v_fma_f64 v[18:19], -v[14:15], v[16:17], 1.0
	v_fmac_f64_e32 v[16:17], v[16:17], v[18:19]
	v_div_scale_f64 v[18:19], vcc_lo, 1.0, v[12:13], 1.0
	s_delay_alu instid0(VALU_DEP_1) | instskip(NEXT) | instid1(VALU_DEP_1)
	v_mul_f64_e32 v[204:205], v[18:19], v[16:17]
	v_fma_f64 v[14:15], -v[14:15], v[204:205], v[18:19]
	s_delay_alu instid0(VALU_DEP_1) | instskip(NEXT) | instid1(VALU_DEP_1)
	v_div_fmas_f64 v[14:15], v[14:15], v[16:17], v[204:205]
	v_div_fixup_f64 v[18:19], v[14:15], v[12:13], 1.0
                                        ; implicit-def: $vgpr12_vgpr13
	s_delay_alu instid0(VALU_DEP_1)
	v_mul_f64_e32 v[16:17], v[2:3], v[18:19]
	v_xor_b32_e32 v19, 0x80000000, v19
.LBB186_537:                            ;   in Loop: Header=BB186_3 Depth=1
	s_and_not1_saveexec_b32 s56, s56
	s_cbranch_execz .LBB186_539
; %bb.538:                              ;   in Loop: Header=BB186_3 Depth=1
	v_div_scale_f64 v[2:3], null, v[12:13], v[12:13], -v[14:15]
	v_div_scale_f64 v[204:205], vcc_lo, -v[14:15], v[12:13], -v[14:15]
	s_delay_alu instid0(VALU_DEP_2) | instskip(SKIP_1) | instid1(TRANS32_DEP_1)
	v_rcp_f64_e32 v[16:17], v[2:3]
	v_nop
	v_fma_f64 v[18:19], -v[2:3], v[16:17], 1.0
	s_delay_alu instid0(VALU_DEP_1) | instskip(NEXT) | instid1(VALU_DEP_1)
	v_fmac_f64_e32 v[16:17], v[16:17], v[18:19]
	v_fma_f64 v[18:19], -v[2:3], v[16:17], 1.0
	s_delay_alu instid0(VALU_DEP_1) | instskip(NEXT) | instid1(VALU_DEP_1)
	v_fmac_f64_e32 v[16:17], v[16:17], v[18:19]
	v_mul_f64_e32 v[18:19], v[204:205], v[16:17]
	s_delay_alu instid0(VALU_DEP_1) | instskip(NEXT) | instid1(VALU_DEP_1)
	v_fma_f64 v[2:3], -v[2:3], v[18:19], v[204:205]
	v_div_fmas_f64 v[2:3], v[2:3], v[16:17], v[18:19]
	s_delay_alu instid0(VALU_DEP_1) | instskip(NEXT) | instid1(VALU_DEP_1)
	v_div_fixup_f64 v[2:3], v[2:3], v[12:13], -v[14:15]
	v_fma_f64 v[12:13], -v[14:15], v[2:3], v[12:13]
	s_delay_alu instid0(VALU_DEP_1) | instskip(NEXT) | instid1(VALU_DEP_1)
	v_div_scale_f64 v[14:15], null, v[12:13], v[12:13], 1.0
	v_rcp_f64_e32 v[16:17], v[14:15]
	v_nop
	s_delay_alu instid0(TRANS32_DEP_1) | instskip(NEXT) | instid1(VALU_DEP_1)
	v_fma_f64 v[18:19], -v[14:15], v[16:17], 1.0
	v_fmac_f64_e32 v[16:17], v[16:17], v[18:19]
	s_delay_alu instid0(VALU_DEP_1) | instskip(NEXT) | instid1(VALU_DEP_1)
	v_fma_f64 v[18:19], -v[14:15], v[16:17], 1.0
	v_fmac_f64_e32 v[16:17], v[16:17], v[18:19]
	v_div_scale_f64 v[18:19], vcc_lo, 1.0, v[12:13], 1.0
	s_delay_alu instid0(VALU_DEP_1) | instskip(NEXT) | instid1(VALU_DEP_1)
	v_mul_f64_e32 v[204:205], v[18:19], v[16:17]
	v_fma_f64 v[14:15], -v[14:15], v[204:205], v[18:19]
	s_delay_alu instid0(VALU_DEP_1) | instskip(NEXT) | instid1(VALU_DEP_1)
	v_div_fmas_f64 v[14:15], v[14:15], v[16:17], v[204:205]
	v_div_fixup_f64 v[16:17], v[14:15], v[12:13], 1.0
	s_delay_alu instid0(VALU_DEP_1)
	v_mul_f64_e64 v[18:19], v[2:3], -v[16:17]
.LBB186_539:                            ;   in Loop: Header=BB186_3 Depth=1
	s_or_b32 exec_lo, exec_lo, s56
	ds_store_b128 v129, v[16:19]
.LBB186_540:                            ;   in Loop: Header=BB186_3 Depth=1
	s_or_b32 exec_lo, exec_lo, s1
	s_and_not1_saveexec_b32 s0, s0
	s_cbranch_execz .LBB186_19
.LBB186_541:                            ;   in Loop: Header=BB186_3 Depth=1
	v_lshl_add_u64 v[2:3], v[30:31], 4, v[42:43]
	flat_load_b128 v[12:15], v[2:3]
	s_wait_loadcnt_dscnt 0x0
	v_xor_b32_e32 v13, 0x80000000, v13
	ds_store_b128 v129, v[12:15]
	s_or_b32 exec_lo, exec_lo, s0
	s_and_saveexec_b32 s0, s21
	s_delay_alu instid0(SALU_CYCLE_1)
	s_xor_b32 s0, exec_lo, s0
	s_cbranch_execz .LBB186_20
.LBB186_542:                            ;   in Loop: Header=BB186_3 Depth=1
	v_readlane_b32 s18, v203, 12
	s_and_saveexec_b32 s1, s18
	s_delay_alu instid0(SALU_CYCLE_1)
	s_xor_b32 s1, exec_lo, s1
	s_cbranch_execz .LBB186_546
; %bb.543:                              ;   in Loop: Header=BB186_3 Depth=1
	v_readlane_b32 s18, v203, 25
	s_and_saveexec_b32 s25, s18
; %bb.544:                              ;   in Loop: Header=BB186_3 Depth=1
	v_dual_mov_b32 v0, v1 :: v_dual_mov_b32 v2, v1
	v_mov_b32_e32 v3, v1
	ds_store_b128 v138, v[0:3]
; %bb.545:                              ;   in Loop: Header=BB186_3 Depth=1
	s_or_b32 exec_lo, exec_lo, s25
                                        ; implicit-def: $vgpr42_vgpr43
.LBB186_546:                            ;   in Loop: Header=BB186_3 Depth=1
	s_and_not1_saveexec_b32 s1, s1
	s_cbranch_execz .LBB186_552
; %bb.547:                              ;   in Loop: Header=BB186_3 Depth=1
	v_lshl_add_u64 v[2:3], v[32:33], 4, v[42:43]
	s_mov_b32 s56, exec_lo
                                        ; implicit-def: $vgpr16_vgpr17
	flat_load_b128 v[12:15], v[2:3]
	s_wait_loadcnt_dscnt 0x0
	v_cmpx_ngt_f64_e64 |v[12:13]|, |v[14:15]|
	s_xor_b32 s56, exec_lo, s56
	s_cbranch_execz .LBB186_549
; %bb.548:                              ;   in Loop: Header=BB186_3 Depth=1
	v_div_scale_f64 v[2:3], null, -v[14:15], -v[14:15], v[12:13]
	v_div_scale_f64 v[42:43], vcc_lo, v[12:13], -v[14:15], v[12:13]
	s_delay_alu instid0(VALU_DEP_2) | instskip(SKIP_1) | instid1(TRANS32_DEP_1)
	v_rcp_f64_e32 v[16:17], v[2:3]
	v_nop
	v_fma_f64 v[18:19], -v[2:3], v[16:17], 1.0
	s_delay_alu instid0(VALU_DEP_1) | instskip(NEXT) | instid1(VALU_DEP_1)
	v_fmac_f64_e32 v[16:17], v[16:17], v[18:19]
	v_fma_f64 v[18:19], -v[2:3], v[16:17], 1.0
	s_delay_alu instid0(VALU_DEP_1) | instskip(NEXT) | instid1(VALU_DEP_1)
	v_fmac_f64_e32 v[16:17], v[16:17], v[18:19]
	v_mul_f64_e32 v[18:19], v[42:43], v[16:17]
	s_delay_alu instid0(VALU_DEP_1) | instskip(NEXT) | instid1(VALU_DEP_1)
	v_fma_f64 v[2:3], -v[2:3], v[18:19], v[42:43]
	v_div_fmas_f64 v[2:3], v[2:3], v[16:17], v[18:19]
	s_delay_alu instid0(VALU_DEP_1) | instskip(NEXT) | instid1(VALU_DEP_1)
	v_div_fixup_f64 v[2:3], v[2:3], -v[14:15], v[12:13]
	v_fma_f64 v[12:13], v[12:13], v[2:3], -v[14:15]
	s_delay_alu instid0(VALU_DEP_1) | instskip(NEXT) | instid1(VALU_DEP_1)
	v_div_scale_f64 v[14:15], null, v[12:13], v[12:13], 1.0
	v_rcp_f64_e32 v[16:17], v[14:15]
	v_nop
	s_delay_alu instid0(TRANS32_DEP_1) | instskip(NEXT) | instid1(VALU_DEP_1)
	v_fma_f64 v[18:19], -v[14:15], v[16:17], 1.0
	v_fmac_f64_e32 v[16:17], v[16:17], v[18:19]
	s_delay_alu instid0(VALU_DEP_1) | instskip(NEXT) | instid1(VALU_DEP_1)
	v_fma_f64 v[18:19], -v[14:15], v[16:17], 1.0
	v_fmac_f64_e32 v[16:17], v[16:17], v[18:19]
	v_div_scale_f64 v[18:19], vcc_lo, 1.0, v[12:13], 1.0
	s_delay_alu instid0(VALU_DEP_1) | instskip(NEXT) | instid1(VALU_DEP_1)
	v_mul_f64_e32 v[42:43], v[18:19], v[16:17]
	v_fma_f64 v[14:15], -v[14:15], v[42:43], v[18:19]
	s_delay_alu instid0(VALU_DEP_1) | instskip(NEXT) | instid1(VALU_DEP_1)
	v_div_fmas_f64 v[14:15], v[14:15], v[16:17], v[42:43]
	v_div_fixup_f64 v[18:19], v[14:15], v[12:13], 1.0
                                        ; implicit-def: $vgpr12_vgpr13
	s_delay_alu instid0(VALU_DEP_1)
	v_mul_f64_e32 v[16:17], v[2:3], v[18:19]
	v_xor_b32_e32 v19, 0x80000000, v19
.LBB186_549:                            ;   in Loop: Header=BB186_3 Depth=1
	s_and_not1_saveexec_b32 s56, s56
	s_cbranch_execz .LBB186_551
; %bb.550:                              ;   in Loop: Header=BB186_3 Depth=1
	v_div_scale_f64 v[2:3], null, v[12:13], v[12:13], -v[14:15]
	v_div_scale_f64 v[42:43], vcc_lo, -v[14:15], v[12:13], -v[14:15]
	s_delay_alu instid0(VALU_DEP_2) | instskip(SKIP_1) | instid1(TRANS32_DEP_1)
	v_rcp_f64_e32 v[16:17], v[2:3]
	v_nop
	v_fma_f64 v[18:19], -v[2:3], v[16:17], 1.0
	s_delay_alu instid0(VALU_DEP_1) | instskip(NEXT) | instid1(VALU_DEP_1)
	v_fmac_f64_e32 v[16:17], v[16:17], v[18:19]
	v_fma_f64 v[18:19], -v[2:3], v[16:17], 1.0
	s_delay_alu instid0(VALU_DEP_1) | instskip(NEXT) | instid1(VALU_DEP_1)
	v_fmac_f64_e32 v[16:17], v[16:17], v[18:19]
	v_mul_f64_e32 v[18:19], v[42:43], v[16:17]
	s_delay_alu instid0(VALU_DEP_1) | instskip(NEXT) | instid1(VALU_DEP_1)
	v_fma_f64 v[2:3], -v[2:3], v[18:19], v[42:43]
	v_div_fmas_f64 v[2:3], v[2:3], v[16:17], v[18:19]
	s_delay_alu instid0(VALU_DEP_1) | instskip(NEXT) | instid1(VALU_DEP_1)
	v_div_fixup_f64 v[2:3], v[2:3], v[12:13], -v[14:15]
	v_fma_f64 v[12:13], -v[14:15], v[2:3], v[12:13]
	s_delay_alu instid0(VALU_DEP_1) | instskip(NEXT) | instid1(VALU_DEP_1)
	v_div_scale_f64 v[14:15], null, v[12:13], v[12:13], 1.0
	v_rcp_f64_e32 v[16:17], v[14:15]
	v_nop
	s_delay_alu instid0(TRANS32_DEP_1) | instskip(NEXT) | instid1(VALU_DEP_1)
	v_fma_f64 v[18:19], -v[14:15], v[16:17], 1.0
	v_fmac_f64_e32 v[16:17], v[16:17], v[18:19]
	s_delay_alu instid0(VALU_DEP_1) | instskip(NEXT) | instid1(VALU_DEP_1)
	v_fma_f64 v[18:19], -v[14:15], v[16:17], 1.0
	v_fmac_f64_e32 v[16:17], v[16:17], v[18:19]
	v_div_scale_f64 v[18:19], vcc_lo, 1.0, v[12:13], 1.0
	s_delay_alu instid0(VALU_DEP_1) | instskip(NEXT) | instid1(VALU_DEP_1)
	v_mul_f64_e32 v[42:43], v[18:19], v[16:17]
	v_fma_f64 v[14:15], -v[14:15], v[42:43], v[18:19]
	s_delay_alu instid0(VALU_DEP_1) | instskip(NEXT) | instid1(VALU_DEP_1)
	v_div_fmas_f64 v[14:15], v[14:15], v[16:17], v[42:43]
	v_div_fixup_f64 v[16:17], v[14:15], v[12:13], 1.0
	s_delay_alu instid0(VALU_DEP_1)
	v_mul_f64_e64 v[18:19], v[2:3], -v[16:17]
.LBB186_551:                            ;   in Loop: Header=BB186_3 Depth=1
	s_or_b32 exec_lo, exec_lo, s56
	ds_store_b128 v138, v[16:19]
.LBB186_552:                            ;   in Loop: Header=BB186_3 Depth=1
	s_or_b32 exec_lo, exec_lo, s1
                                        ; implicit-def: $vgpr42_vgpr43
	s_and_not1_saveexec_b32 s0, s0
	s_cbranch_execnz .LBB186_21
	s_branch .LBB186_22
.LBB186_553:                            ;   in Loop: Header=BB186_3 Depth=1
	s_or_b32 exec_lo, exec_lo, s56
	s_delay_alu instid0(SALU_CYCLE_1)
	s_and_b32 vcc_lo, exec_lo, s1
	s_cbranch_vccnz .LBB186_492
.LBB186_554:                            ;   in Loop: Header=BB186_3 Depth=1
	s_delay_alu instid0(VALU_DEP_1) | instskip(NEXT) | instid1(VALU_DEP_3)
	v_mov_b64_e32 v[14:15], v[2:3]
	v_mov_b64_e32 v[12:13], v[38:39]
	;; [unrolled: 1-line block ×3, first 2 shown]
	s_and_saveexec_b32 s1, s0
	s_cbranch_execz .LBB186_556
.LBB186_555:                            ;   in Loop: Header=BB186_3 Depth=1
	s_delay_alu instid0(VALU_DEP_1)
	v_lshl_add_u64 v[2:3], v[2:3], 4, v[40:41]
	flat_store_b128 v[2:3], v[12:15]
.LBB186_556:                            ;   in Loop: Header=BB186_3 Depth=1
	s_wait_xcnt 0x0
	s_or_b32 exec_lo, exec_lo, s1
	global_wb scope:SCOPE_DEV
	s_wait_storecnt_dscnt 0x0
	global_inv scope:SCOPE_DEV
	s_wait_loadcnt 0x0
	s_barrier_signal -1
	s_barrier_wait -1
	s_and_saveexec_b32 s0, s35
	s_cbranch_execz .LBB186_2
; %bb.557:                              ;   in Loop: Header=BB186_3 Depth=1
	s_lshl_b64 s[56:57], s[38:39], 2
	s_delay_alu instid0(SALU_CYCLE_1)
	s_add_nc_u64 s[56:57], s[54:55], s[56:57]
	global_load_b32 v0, v1, s[56:57]
	s_wait_loadcnt 0x0
	v_add_nc_u32_e32 v0, 1, v0
	global_store_b32 v1, v0, s[56:57]
	s_branch .LBB186_2
.LBB186_558:                            ;   in Loop: Header=BB186_3 Depth=1
	ds_load_b128 v[16:19], v55 offset:16336
	ds_load_b128 v[204:207], v54 offset:15232
	s_wait_dscnt 0x0
	v_mul_f64_e32 v[2:3], v[18:19], v[206:207]
	s_delay_alu instid0(VALU_DEP_1) | instskip(SKIP_1) | instid1(VALU_DEP_2)
	v_fma_f64 v[2:3], v[16:17], v[204:205], -v[2:3]
	v_mul_f64_e32 v[16:17], v[16:17], v[206:207]
	v_add_f64_e32 v[12:13], v[12:13], v[2:3]
	s_delay_alu instid0(VALU_DEP_2) | instskip(NEXT) | instid1(VALU_DEP_1)
	v_fmac_f64_e32 v[16:17], v[18:19], v[204:205]
	v_add_f64_e32 v[14:15], v[14:15], v[16:17]
	s_or_b32 exec_lo, exec_lo, s1
	s_and_saveexec_b32 s1, s8
	s_cbranch_execz .LBB186_45
.LBB186_559:                            ;   in Loop: Header=BB186_3 Depth=1
	ds_load_b128 v[16:19], v55 offset:16352
	ds_load_b128 v[204:207], v54 offset:15744
	s_wait_dscnt 0x0
	v_mul_f64_e32 v[2:3], v[18:19], v[206:207]
	s_delay_alu instid0(VALU_DEP_1) | instskip(SKIP_1) | instid1(VALU_DEP_2)
	v_fma_f64 v[2:3], v[16:17], v[204:205], -v[2:3]
	v_mul_f64_e32 v[16:17], v[16:17], v[206:207]
	v_add_f64_e32 v[12:13], v[12:13], v[2:3]
	s_delay_alu instid0(VALU_DEP_2) | instskip(NEXT) | instid1(VALU_DEP_1)
	v_fmac_f64_e32 v[16:17], v[18:19], v[204:205]
	v_add_f64_e32 v[14:15], v[14:15], v[16:17]
	s_or_b32 exec_lo, exec_lo, s1
	s_and_saveexec_b32 s1, s3
	s_cbranch_execnz .LBB186_46
	s_branch .LBB186_47
.LBB186_560:                            ;   in Loop: Header=BB186_3 Depth=1
	ds_load_b128 v[16:19], v59 offset:16336
	ds_load_b128 v[204:207], v58 offset:15104
	s_wait_dscnt 0x0
	v_mul_f64_e32 v[2:3], v[18:19], v[206:207]
	s_delay_alu instid0(VALU_DEP_1) | instskip(SKIP_1) | instid1(VALU_DEP_2)
	v_fma_f64 v[2:3], v[16:17], v[204:205], -v[2:3]
	v_mul_f64_e32 v[16:17], v[16:17], v[206:207]
	v_add_f64_e32 v[12:13], v[12:13], v[2:3]
	s_delay_alu instid0(VALU_DEP_2) | instskip(NEXT) | instid1(VALU_DEP_1)
	v_fmac_f64_e32 v[16:17], v[18:19], v[204:205]
	v_add_f64_e32 v[14:15], v[14:15], v[16:17]
	s_or_b32 exec_lo, exec_lo, s1
	s_and_saveexec_b32 s1, s6
	s_cbranch_execz .LBB186_95
.LBB186_561:                            ;   in Loop: Header=BB186_3 Depth=1
	ds_load_b128 v[16:19], v59 offset:16352
	ds_load_b128 v[204:207], v58 offset:15616
	s_wait_dscnt 0x0
	v_mul_f64_e32 v[2:3], v[18:19], v[206:207]
	s_delay_alu instid0(VALU_DEP_1) | instskip(SKIP_1) | instid1(VALU_DEP_2)
	v_fma_f64 v[2:3], v[16:17], v[204:205], -v[2:3]
	v_mul_f64_e32 v[16:17], v[16:17], v[206:207]
	v_add_f64_e32 v[12:13], v[12:13], v[2:3]
	s_delay_alu instid0(VALU_DEP_2) | instskip(NEXT) | instid1(VALU_DEP_1)
	v_fmac_f64_e32 v[16:17], v[18:19], v[204:205]
	v_add_f64_e32 v[14:15], v[14:15], v[16:17]
	s_or_b32 exec_lo, exec_lo, s1
	s_and_saveexec_b32 s1, s8
	s_cbranch_execnz .LBB186_96
	s_branch .LBB186_97
.LBB186_562:                            ;   in Loop: Header=BB186_3 Depth=1
	ds_load_b128 v[16:19], v55 offset:12112
	ds_load_b128 v[204:207], v54 offset:11008
	s_wait_dscnt 0x0
	v_mul_f64_e32 v[2:3], v[18:19], v[206:207]
	s_delay_alu instid0(VALU_DEP_1) | instskip(SKIP_1) | instid1(VALU_DEP_2)
	v_fma_f64 v[2:3], v[16:17], v[204:205], -v[2:3]
	v_mul_f64_e32 v[16:17], v[16:17], v[206:207]
	v_add_f64_e32 v[12:13], v[12:13], v[2:3]
	s_delay_alu instid0(VALU_DEP_2) | instskip(NEXT) | instid1(VALU_DEP_1)
	v_fmac_f64_e32 v[16:17], v[18:19], v[204:205]
	v_add_f64_e32 v[14:15], v[14:15], v[16:17]
	s_or_b32 exec_lo, exec_lo, s1
	s_and_saveexec_b32 s1, s8
	s_cbranch_execz .LBB186_153
.LBB186_563:                            ;   in Loop: Header=BB186_3 Depth=1
	ds_load_b128 v[16:19], v55 offset:12128
	ds_load_b128 v[204:207], v54 offset:11520
	s_wait_dscnt 0x0
	v_mul_f64_e32 v[2:3], v[18:19], v[206:207]
	s_delay_alu instid0(VALU_DEP_1) | instskip(SKIP_1) | instid1(VALU_DEP_2)
	v_fma_f64 v[2:3], v[16:17], v[204:205], -v[2:3]
	v_mul_f64_e32 v[16:17], v[16:17], v[206:207]
	v_add_f64_e32 v[12:13], v[12:13], v[2:3]
	s_delay_alu instid0(VALU_DEP_2) | instskip(NEXT) | instid1(VALU_DEP_1)
	v_fmac_f64_e32 v[16:17], v[18:19], v[204:205]
	v_add_f64_e32 v[14:15], v[14:15], v[16:17]
	s_or_b32 exec_lo, exec_lo, s1
	s_and_saveexec_b32 s1, s3
	s_cbranch_execnz .LBB186_154
	s_branch .LBB186_155
.LBB186_564:                            ;   in Loop: Header=BB186_3 Depth=1
	ds_load_b128 v[16:19], v71 offset:16304
	ds_load_b128 v[204:207], v70 offset:13824
	s_wait_dscnt 0x0
	v_mul_f64_e32 v[2:3], v[18:19], v[206:207]
	s_delay_alu instid0(VALU_DEP_1) | instskip(SKIP_1) | instid1(VALU_DEP_2)
	v_fma_f64 v[2:3], v[16:17], v[204:205], -v[2:3]
	v_mul_f64_e32 v[16:17], v[16:17], v[206:207]
	v_add_f64_e32 v[12:13], v[12:13], v[2:3]
	s_delay_alu instid0(VALU_DEP_2) | instskip(NEXT) | instid1(VALU_DEP_1)
	v_fmac_f64_e32 v[16:17], v[18:19], v[204:205]
	v_add_f64_e32 v[14:15], v[14:15], v[16:17]
	s_or_b32 exec_lo, exec_lo, s1
	s_and_saveexec_b32 s1, s9
	s_cbranch_execz .LBB186_215
.LBB186_565:                            ;   in Loop: Header=BB186_3 Depth=1
	ds_load_b128 v[16:19], v71 offset:16320
	ds_load_b128 v[204:207], v70 offset:14336
	s_wait_dscnt 0x0
	v_mul_f64_e32 v[2:3], v[18:19], v[206:207]
	s_delay_alu instid0(VALU_DEP_1) | instskip(SKIP_1) | instid1(VALU_DEP_2)
	v_fma_f64 v[2:3], v[16:17], v[204:205], -v[2:3]
	v_mul_f64_e32 v[16:17], v[16:17], v[206:207]
	v_add_f64_e32 v[12:13], v[12:13], v[2:3]
	s_delay_alu instid0(VALU_DEP_2) | instskip(NEXT) | instid1(VALU_DEP_1)
	v_fmac_f64_e32 v[16:17], v[18:19], v[204:205]
	v_add_f64_e32 v[14:15], v[14:15], v[16:17]
	s_or_b32 exec_lo, exec_lo, s1
	s_and_saveexec_b32 s1, s11
	s_cbranch_execz .LBB186_216
.LBB186_566:                            ;   in Loop: Header=BB186_3 Depth=1
	ds_load_b128 v[16:19], v71 offset:16336
	ds_load_b128 v[204:207], v70 offset:14848
	s_wait_dscnt 0x0
	v_mul_f64_e32 v[2:3], v[18:19], v[206:207]
	s_delay_alu instid0(VALU_DEP_1) | instskip(SKIP_1) | instid1(VALU_DEP_2)
	v_fma_f64 v[2:3], v[16:17], v[204:205], -v[2:3]
	v_mul_f64_e32 v[16:17], v[16:17], v[206:207]
	v_add_f64_e32 v[12:13], v[12:13], v[2:3]
	s_delay_alu instid0(VALU_DEP_2) | instskip(NEXT) | instid1(VALU_DEP_1)
	v_fmac_f64_e32 v[16:17], v[18:19], v[204:205]
	v_add_f64_e32 v[14:15], v[14:15], v[16:17]
	s_or_b32 exec_lo, exec_lo, s1
	s_and_saveexec_b32 s1, s13
	s_cbranch_execz .LBB186_217
.LBB186_567:                            ;   in Loop: Header=BB186_3 Depth=1
	ds_load_b128 v[16:19], v71 offset:16352
	ds_load_b128 v[204:207], v70 offset:15360
	s_wait_dscnt 0x0
	v_mul_f64_e32 v[2:3], v[18:19], v[206:207]
	s_delay_alu instid0(VALU_DEP_1) | instskip(SKIP_1) | instid1(VALU_DEP_2)
	v_fma_f64 v[2:3], v[16:17], v[204:205], -v[2:3]
	v_mul_f64_e32 v[16:17], v[16:17], v[206:207]
	v_add_f64_e32 v[12:13], v[12:13], v[2:3]
	s_delay_alu instid0(VALU_DEP_2) | instskip(NEXT) | instid1(VALU_DEP_1)
	v_fmac_f64_e32 v[16:17], v[18:19], v[204:205]
	v_add_f64_e32 v[14:15], v[14:15], v[16:17]
	s_or_b32 exec_lo, exec_lo, s1
	s_and_saveexec_b32 s1, s6
	s_cbranch_execnz .LBB186_218
	s_branch .LBB186_219
.LBB186_568:                            ;   in Loop: Header=BB186_3 Depth=1
	ds_load_b128 v[16:19], v55 offset:7888
	ds_load_b128 v[204:207], v54 offset:6784
	s_wait_dscnt 0x0
	v_mul_f64_e32 v[2:3], v[18:19], v[206:207]
	s_delay_alu instid0(VALU_DEP_1) | instskip(SKIP_1) | instid1(VALU_DEP_2)
	v_fma_f64 v[2:3], v[16:17], v[204:205], -v[2:3]
	v_mul_f64_e32 v[16:17], v[16:17], v[206:207]
	v_add_f64_e32 v[12:13], v[12:13], v[2:3]
	s_delay_alu instid0(VALU_DEP_2) | instskip(NEXT) | instid1(VALU_DEP_1)
	v_fmac_f64_e32 v[16:17], v[18:19], v[204:205]
	v_add_f64_e32 v[14:15], v[14:15], v[16:17]
	s_or_b32 exec_lo, exec_lo, s1
	s_and_saveexec_b32 s1, s8
	s_cbranch_execz .LBB186_307
.LBB186_569:                            ;   in Loop: Header=BB186_3 Depth=1
	ds_load_b128 v[16:19], v55 offset:7904
	ds_load_b128 v[204:207], v54 offset:7296
	s_wait_dscnt 0x0
	v_mul_f64_e32 v[2:3], v[18:19], v[206:207]
	s_delay_alu instid0(VALU_DEP_1) | instskip(SKIP_1) | instid1(VALU_DEP_2)
	v_fma_f64 v[2:3], v[16:17], v[204:205], -v[2:3]
	v_mul_f64_e32 v[16:17], v[16:17], v[206:207]
	v_add_f64_e32 v[12:13], v[12:13], v[2:3]
	s_delay_alu instid0(VALU_DEP_2) | instskip(NEXT) | instid1(VALU_DEP_1)
	v_fmac_f64_e32 v[16:17], v[18:19], v[204:205]
	v_add_f64_e32 v[14:15], v[14:15], v[16:17]
	s_or_b32 exec_lo, exec_lo, s1
	s_and_saveexec_b32 s1, s3
	s_cbranch_execnz .LBB186_308
	s_branch .LBB186_309
.LBB186_570:                            ;   in Loop: Header=BB186_3 Depth=1
	ds_load_b128 v[16:19], v59 offset:7888
	ds_load_b128 v[204:207], v58 offset:6656
	s_wait_dscnt 0x0
	v_mul_f64_e32 v[2:3], v[18:19], v[206:207]
	s_delay_alu instid0(VALU_DEP_1) | instskip(SKIP_1) | instid1(VALU_DEP_2)
	v_fma_f64 v[2:3], v[16:17], v[204:205], -v[2:3]
	v_mul_f64_e32 v[16:17], v[16:17], v[206:207]
	v_add_f64_e32 v[12:13], v[12:13], v[2:3]
	s_delay_alu instid0(VALU_DEP_2) | instskip(NEXT) | instid1(VALU_DEP_1)
	v_fmac_f64_e32 v[16:17], v[18:19], v[204:205]
	v_add_f64_e32 v[14:15], v[14:15], v[16:17]
	s_or_b32 exec_lo, exec_lo, s1
	s_and_saveexec_b32 s1, s6
	s_cbranch_execz .LBB186_357
.LBB186_571:                            ;   in Loop: Header=BB186_3 Depth=1
	ds_load_b128 v[16:19], v59 offset:7904
	ds_load_b128 v[204:207], v58 offset:7168
	s_wait_dscnt 0x0
	v_mul_f64_e32 v[2:3], v[18:19], v[206:207]
	s_delay_alu instid0(VALU_DEP_1) | instskip(SKIP_1) | instid1(VALU_DEP_2)
	v_fma_f64 v[2:3], v[16:17], v[204:205], -v[2:3]
	v_mul_f64_e32 v[16:17], v[16:17], v[206:207]
	v_add_f64_e32 v[12:13], v[12:13], v[2:3]
	s_delay_alu instid0(VALU_DEP_2) | instskip(NEXT) | instid1(VALU_DEP_1)
	v_fmac_f64_e32 v[16:17], v[18:19], v[204:205]
	v_add_f64_e32 v[14:15], v[14:15], v[16:17]
	s_or_b32 exec_lo, exec_lo, s1
	s_and_saveexec_b32 s1, s8
	s_cbranch_execnz .LBB186_358
	s_branch .LBB186_359
.LBB186_572:                            ;   in Loop: Header=BB186_3 Depth=1
	ds_load_b128 v[16:19], v55 offset:3664
	ds_load_b128 v[204:207], v54 offset:2560
	s_wait_dscnt 0x0
	v_mul_f64_e32 v[2:3], v[18:19], v[206:207]
	s_delay_alu instid0(VALU_DEP_1) | instskip(SKIP_1) | instid1(VALU_DEP_2)
	v_fma_f64 v[2:3], v[16:17], v[204:205], -v[2:3]
	v_mul_f64_e32 v[16:17], v[16:17], v[206:207]
	v_add_f64_e32 v[12:13], v[12:13], v[2:3]
	s_delay_alu instid0(VALU_DEP_2) | instskip(NEXT) | instid1(VALU_DEP_1)
	v_fmac_f64_e32 v[16:17], v[18:19], v[204:205]
	v_add_f64_e32 v[14:15], v[14:15], v[16:17]
	s_or_b32 exec_lo, exec_lo, s1
	s_and_saveexec_b32 s1, s8
	s_cbranch_execz .LBB186_415
.LBB186_573:                            ;   in Loop: Header=BB186_3 Depth=1
	ds_load_b128 v[16:19], v55 offset:3680
	ds_load_b128 v[204:207], v54 offset:3072
	s_wait_dscnt 0x0
	v_mul_f64_e32 v[2:3], v[18:19], v[206:207]
	s_delay_alu instid0(VALU_DEP_1) | instskip(SKIP_1) | instid1(VALU_DEP_2)
	v_fma_f64 v[2:3], v[16:17], v[204:205], -v[2:3]
	v_mul_f64_e32 v[16:17], v[16:17], v[206:207]
	v_add_f64_e32 v[12:13], v[12:13], v[2:3]
	s_delay_alu instid0(VALU_DEP_2) | instskip(NEXT) | instid1(VALU_DEP_1)
	v_fmac_f64_e32 v[16:17], v[18:19], v[204:205]
	v_add_f64_e32 v[14:15], v[14:15], v[16:17]
	s_or_b32 exec_lo, exec_lo, s1
	s_and_saveexec_b32 s1, s3
	s_cbranch_execnz .LBB186_416
	s_branch .LBB186_417
.LBB186_574:
	s_endpgm
	.section	.rodata,"a",@progbits
	.p2align	6, 0x0
	.amdhsa_kernel _ZL19rocblas_trsv_deviceILi32ELi16ELb0ELb1ELb1ELb0E19rocblas_complex_numIdES1_PKPKS1_PKPS1_EviT7_lllT6_T8_lllPii
		.amdhsa_group_segment_fixed_size 25104
		.amdhsa_private_segment_fixed_size 0
		.amdhsa_kernarg_size 360
		.amdhsa_user_sgpr_count 2
		.amdhsa_user_sgpr_dispatch_ptr 0
		.amdhsa_user_sgpr_queue_ptr 0
		.amdhsa_user_sgpr_kernarg_segment_ptr 1
		.amdhsa_user_sgpr_dispatch_id 0
		.amdhsa_user_sgpr_kernarg_preload_length 0
		.amdhsa_user_sgpr_kernarg_preload_offset 0
		.amdhsa_user_sgpr_private_segment_size 0
		.amdhsa_wavefront_size32 1
		.amdhsa_uses_dynamic_stack 0
		.amdhsa_enable_private_segment 0
		.amdhsa_system_sgpr_workgroup_id_x 1
		.amdhsa_system_sgpr_workgroup_id_y 0
		.amdhsa_system_sgpr_workgroup_id_z 1
		.amdhsa_system_sgpr_workgroup_info 0
		.amdhsa_system_vgpr_workitem_id 1
		.amdhsa_next_free_vgpr 212
		.amdhsa_next_free_sgpr 105
		.amdhsa_named_barrier_count 0
		.amdhsa_reserve_vcc 1
		.amdhsa_float_round_mode_32 0
		.amdhsa_float_round_mode_16_64 0
		.amdhsa_float_denorm_mode_32 3
		.amdhsa_float_denorm_mode_16_64 3
		.amdhsa_fp16_overflow 0
		.amdhsa_memory_ordered 1
		.amdhsa_forward_progress 1
		.amdhsa_inst_pref_size 228
		.amdhsa_round_robin_scheduling 0
		.amdhsa_exception_fp_ieee_invalid_op 0
		.amdhsa_exception_fp_denorm_src 0
		.amdhsa_exception_fp_ieee_div_zero 0
		.amdhsa_exception_fp_ieee_overflow 0
		.amdhsa_exception_fp_ieee_underflow 0
		.amdhsa_exception_fp_ieee_inexact 0
		.amdhsa_exception_int_div_zero 0
	.end_amdhsa_kernel
	.section	.text._ZL19rocblas_trsv_deviceILi32ELi16ELb0ELb1ELb1ELb0E19rocblas_complex_numIdES1_PKPKS1_PKPS1_EviT7_lllT6_T8_lllPii,"axG",@progbits,_ZL19rocblas_trsv_deviceILi32ELi16ELb0ELb1ELb1ELb0E19rocblas_complex_numIdES1_PKPKS1_PKPS1_EviT7_lllT6_T8_lllPii,comdat
.Lfunc_end186:
	.size	_ZL19rocblas_trsv_deviceILi32ELi16ELb0ELb1ELb1ELb0E19rocblas_complex_numIdES1_PKPKS1_PKPS1_EviT7_lllT6_T8_lllPii, .Lfunc_end186-_ZL19rocblas_trsv_deviceILi32ELi16ELb0ELb1ELb1ELb0E19rocblas_complex_numIdES1_PKPKS1_PKPS1_EviT7_lllT6_T8_lllPii
                                        ; -- End function
	.set _ZL19rocblas_trsv_deviceILi32ELi16ELb0ELb1ELb1ELb0E19rocblas_complex_numIdES1_PKPKS1_PKPS1_EviT7_lllT6_T8_lllPii.num_vgpr, 212
	.set _ZL19rocblas_trsv_deviceILi32ELi16ELb0ELb1ELb1ELb0E19rocblas_complex_numIdES1_PKPKS1_PKPS1_EviT7_lllT6_T8_lllPii.num_agpr, 0
	.set _ZL19rocblas_trsv_deviceILi32ELi16ELb0ELb1ELb1ELb0E19rocblas_complex_numIdES1_PKPKS1_PKPS1_EviT7_lllT6_T8_lllPii.numbered_sgpr, 105
	.set _ZL19rocblas_trsv_deviceILi32ELi16ELb0ELb1ELb1ELb0E19rocblas_complex_numIdES1_PKPKS1_PKPS1_EviT7_lllT6_T8_lllPii.num_named_barrier, 0
	.set _ZL19rocblas_trsv_deviceILi32ELi16ELb0ELb1ELb1ELb0E19rocblas_complex_numIdES1_PKPKS1_PKPS1_EviT7_lllT6_T8_lllPii.private_seg_size, 0
	.set _ZL19rocblas_trsv_deviceILi32ELi16ELb0ELb1ELb1ELb0E19rocblas_complex_numIdES1_PKPKS1_PKPS1_EviT7_lllT6_T8_lllPii.uses_vcc, 1
	.set _ZL19rocblas_trsv_deviceILi32ELi16ELb0ELb1ELb1ELb0E19rocblas_complex_numIdES1_PKPKS1_PKPS1_EviT7_lllT6_T8_lllPii.uses_flat_scratch, 0
	.set _ZL19rocblas_trsv_deviceILi32ELi16ELb0ELb1ELb1ELb0E19rocblas_complex_numIdES1_PKPKS1_PKPS1_EviT7_lllT6_T8_lllPii.has_dyn_sized_stack, 0
	.set _ZL19rocblas_trsv_deviceILi32ELi16ELb0ELb1ELb1ELb0E19rocblas_complex_numIdES1_PKPKS1_PKPS1_EviT7_lllT6_T8_lllPii.has_recursion, 0
	.set _ZL19rocblas_trsv_deviceILi32ELi16ELb0ELb1ELb1ELb0E19rocblas_complex_numIdES1_PKPKS1_PKPS1_EviT7_lllT6_T8_lllPii.has_indirect_call, 0
	.section	.AMDGPU.csdata,"",@progbits
; Kernel info:
; codeLenInByte = 29092
; TotalNumSgprs: 107
; NumVgprs: 212
; ScratchSize: 0
; MemoryBound: 1
; FloatMode: 240
; IeeeMode: 1
; LDSByteSize: 25104 bytes/workgroup (compile time only)
; SGPRBlocks: 0
; VGPRBlocks: 13
; NumSGPRsForWavesPerEU: 107
; NumVGPRsForWavesPerEU: 212
; NamedBarCnt: 0
; Occupancy: 4
; WaveLimiterHint : 1
; COMPUTE_PGM_RSRC2:SCRATCH_EN: 0
; COMPUTE_PGM_RSRC2:USER_SGPR: 2
; COMPUTE_PGM_RSRC2:TRAP_HANDLER: 0
; COMPUTE_PGM_RSRC2:TGID_X_EN: 1
; COMPUTE_PGM_RSRC2:TGID_Y_EN: 0
; COMPUTE_PGM_RSRC2:TGID_Z_EN: 1
; COMPUTE_PGM_RSRC2:TIDIG_COMP_CNT: 1
	.section	.text._ZL19rocblas_trsv_deviceILi32ELi16ELb1ELb0ELb0ELb1E19rocblas_complex_numIdES1_PKPKS1_PKPS1_EviT7_lllT6_T8_lllPii,"axG",@progbits,_ZL19rocblas_trsv_deviceILi32ELi16ELb1ELb0ELb0ELb1E19rocblas_complex_numIdES1_PKPKS1_PKPS1_EviT7_lllT6_T8_lllPii,comdat
	.globl	_ZL19rocblas_trsv_deviceILi32ELi16ELb1ELb0ELb0ELb1E19rocblas_complex_numIdES1_PKPKS1_PKPS1_EviT7_lllT6_T8_lllPii ; -- Begin function _ZL19rocblas_trsv_deviceILi32ELi16ELb1ELb0ELb0ELb1E19rocblas_complex_numIdES1_PKPKS1_PKPS1_EviT7_lllT6_T8_lllPii
	.p2align	8
	.type	_ZL19rocblas_trsv_deviceILi32ELi16ELb1ELb0ELb0ELb1E19rocblas_complex_numIdES1_PKPKS1_PKPS1_EviT7_lllT6_T8_lllPii,@function
_ZL19rocblas_trsv_deviceILi32ELi16ELb1ELb0ELb0ELb1E19rocblas_complex_numIdES1_PKPKS1_PKPS1_EviT7_lllT6_T8_lllPii: ; @_ZL19rocblas_trsv_deviceILi32ELi16ELb1ELb0ELb0ELb1E19rocblas_complex_numIdES1_PKPKS1_PKPS1_EviT7_lllT6_T8_lllPii
; %bb.0:
	s_load_b32 s37, s[0:1], 0x60
	s_bfe_u32 s2, ttmp6, 0x40014
	s_lshr_b32 s3, ttmp7, 16
	s_add_co_i32 s2, s2, 1
	s_bfe_u32 s5, ttmp6, 0x40008
	s_mul_i32 s4, s3, s2
	s_getreg_b32 s2, hwreg(HW_REG_IB_STS2, 6, 4)
	s_add_co_i32 s5, s5, s4
	s_cmp_eq_u32 s2, 0
	s_mov_b32 s39, 0
	s_cselect_b32 s38, s3, s5
	s_wait_kmcnt 0x0
	s_cmp_ge_u32 s38, s37
	s_cbranch_scc1 .LBB187_512
; %bb.1:
	s_clause 0x2
	s_load_b32 s3, s[0:1], 0x74
	s_load_b32 s66, s[0:1], 0x0
	s_load_b64 s[56:57], s[0:1], 0x18
	s_bfe_u32 s5, ttmp6, 0x4000c
	s_and_b32 s4, ttmp6, 15
	s_add_co_i32 s5, s5, 1
	v_bfe_u32 v20, v0, 10, 10
	s_mul_i32 s5, ttmp9, s5
	v_and_b32_e32 v22, 0x3ff, v0
	s_add_co_i32 s4, s4, s5
	s_cmp_eq_u32 s2, 0
	v_dual_mov_b32 v1, 0 :: v_dual_lshlrev_b32 v4, 5, v20
	s_cselect_b32 s67, ttmp9, s4
                                        ; implicit-def: $vgpr80 : SGPR spill to VGPR lane
	v_lshl_add_u32 v66, v20, 4, 0x6000
	v_sub_co_u32 v23, s6, s67, 1
	s_delay_alu instid0(VALU_DEP_3)
	v_add_nc_u16 v2, v4, v22
	v_add_nc_u32_e32 v10, v4, v22
	s_clause 0x1
	s_load_b64 s[58:59], s[0:1], 0x48
	s_load_b64 s[60:61], s[0:1], 0x58
	s_wait_kmcnt 0x0
	s_and_b32 s4, s3, 0xffff
	s_add_co_i32 s2, s66, -1
	s_ashr_i32 s3, s66, 31
	s_ashr_i32 s5, s2, 31
	s_lshr_b32 s3, s3, 27
	s_lshr_b32 s5, s5, 27
	s_add_co_i32 s3, s66, s3
	s_add_co_i32 s2, s2, s5
	s_and_not1_b32 s3, s3, 31
	s_ashr_i32 s2, s2, 5
	s_sub_co_i32 s25, s66, s3
	s_cmp_eq_u32 s2, s67
	v_lshrrev_b16 v5, 1, v2
	s_cselect_b32 s5, -1, 0
	s_cmp_lg_u32 s25, 0
	s_add_nc_u64 s[2:3], s[56:57], 1
	s_cselect_b32 s7, -1, 0
	s_lshl_b32 s28, s67, 5
	s_delay_alu instid0(SALU_CYCLE_1)
	v_dual_mov_b32 v25, v1 :: v_dual_add_nc_u32 v7, s28, v20
	v_add_nc_u32_e32 v26, s28, v22
	s_and_b32 s30, s7, s5
	s_xor_b32 s68, s6, -1
	s_ashr_i32 s29, s28, 31
	v_subrev_nc_u32_e32 v2, 32, v7
	s_xor_b32 s69, s30, -1
	v_and_b32_e32 v4, 0xffff, v5
	v_lshrrev_b32_e32 v6, 10, v0
	s_cmp_gt_i32 s67, 4
	v_ashrrev_i32_e32 v3, 31, v2
	s_mul_u64 s[26:27], s[2:3], s[28:29]
	s_cselect_b32 s3, -1, 0
	v_lshl_add_u32 v46, v4, 4, 0x4000
	s_and_b32 s70, s3, s69
	v_mul_u64_e32 v[28:29], s[56:57], v[2:3]
	v_dual_ashrrev_i32 v27, 31, v26 :: v_dual_bitop2_b32 v3, 1, v0 bitop3:0x40
	v_mul_u32_u24_e32 v48, 0x210, v4
	v_bitop3_b32 v11, v0, v6, 0x3ff bitop3:0xa8
	v_mad_u32_u24 v24, v20, s4, v22
	s_delay_alu instid0(VALU_DEP_4)
	v_lshlrev_b32_e32 v5, 4, v3
	v_cmp_eq_u32_e64 s5, 1, v3
	v_cmp_gt_i32_e32 vcc_lo, s25, v22
	v_mul_u64_e32 v[30:31], s[58:59], v[26:27]
	s_load_b128 s[48:51], s[0:1], 0x8
	v_lshl_or_b32 v47, v4, 9, v5
	v_and_b32_e32 v4, 3, v0
	v_cmp_gt_u32_e64 s3, 4, v10
	s_xor_b32 s6, s5, -1
	v_lshrrev_b32_e32 v3, 2, v10
	s_load_b256 s[40:47], s[0:1], 0x28
	v_cmp_ne_u32_e64 s9, 0, v4
	s_and_b32 s72, s5, s3
	v_cmp_gt_u32_e64 s5, 16, v10
	v_dual_lshlrev_b32 v50, 4, v4 :: v_dual_lshlrev_b32 v49, 4, v22
	v_lshlrev_b32_e32 v5, 4, v3
	v_mul_u32_u24_e32 v51, 0x210, v3
	s_and_b32 s74, s9, s5
	v_cmp_eq_u32_e64 s9, 2, v4
	v_cmp_eq_u32_e64 s8, 0, v4
	;; [unrolled: 1-line block ×3, first 2 shown]
	v_lshl_or_b32 v53, v3, 9, v50
	v_sub_nc_u32_e32 v3, v51, v5
	s_and_b32 s77, s9, s5
	v_cmp_gt_u32_e64 s9, 56, v10
	s_and_b32 s73, s8, s5
	s_and_b32 s75, s10, s5
	v_cmp_lt_u32_e64 s8, 1, v4
	v_cmp_eq_u32_e64 s10, 3, v4
	v_writelane_b32 v80, s9, 0
	v_cmp_gt_u32_e64 s9, 40, v10
	v_and_b32_e32 v4, 7, v0
	s_and_b32 s76, s8, s5
	v_cmp_gt_u32_e64 s8, 64, v10
	v_dual_add_nc_u32 v70, v66, v49 :: v_dual_bitop2_b32 v0, 15, v0 bitop3:0x40
	v_writelane_b32 v80, s9, 1
	v_cmp_gt_u32_e64 s9, 24, v10
	v_cmp_eq_u32_e64 s14, 0, v4
	s_delay_alu instid0(VALU_DEP_4)
	v_cmp_eq_u32_e64 s21, 0, v0
	v_cmp_ne_u32_e64 s22, 0, v0
	v_cmp_eq_u32_e64 s23, 1, v0
	v_writelane_b32 v80, s9, 2
	v_cmp_gt_u32_e64 s9, 0xf0, v10
	s_and_b32 s79, s14, s8
	v_cmp_eq_u32_e64 s14, 1, v4
	v_cmp_eq_u32_e64 s24, 3, v0
	v_cmp_ne_u32_e64 s15, 0, v4
	v_writelane_b32 v80, s9, 3
	v_cmp_gt_u32_e64 s9, 0xe0, v10
	s_and_b32 s81, s14, s8
	v_cmp_lt_u32_e64 s14, 3, v4
	s_and_b32 s80, s15, s8
	v_cmp_lt_u32_e64 s15, 1, v4
	v_writelane_b32 v80, s9, 4
	v_cmp_gt_u32_e64 s9, 0xd0, v10
	s_and_b32 s86, s14, s8
	v_cmp_eq_u32_e64 s14, 6, v4
	s_and_b32 s82, s15, s8
	v_cmp_eq_u32_e64 s15, 4, v4
	v_writelane_b32 v80, s9, 5
	v_cmp_gt_u32_e64 s9, 0xc0, v10
	s_and_b32 s91, s14, s8
	v_cmp_gt_u32_e64 s14, 0x100, v10
	v_cmp_lt_u32_e64 s17, 2, v4
	s_and_b32 s87, s15, s8
	v_writelane_b32 v80, s9, 6
	v_cmp_gt_u32_e64 s9, 0xb0, v10
	v_cmp_eq_u32_e64 s15, 7, v4
	s_and_b32 s84, s17, s8
	v_cmp_eq_u32_e64 s17, 5, v4
	v_cmp_eq_u32_e64 s16, 2, v4
	v_writelane_b32 v80, s9, 7
	v_cmp_gt_u32_e64 s9, 0xa0, v10
	v_cmp_eq_u32_e64 s18, 3, v4
	s_and_b32 s92, s15, s8
	s_and_b32 s89, s17, s8
	;; [unrolled: 1-line block ×3, first 2 shown]
	v_writelane_b32 v80, s9, 8
	s_and_b32 s9, s21, s14
	v_cmp_lt_u32_e64 s21, 1, v0
	v_cmp_lt_u32_e64 s16, 4, v4
	v_add_nc_u32_e32 v54, v3, v50
	v_writelane_b32 v80, s9, 9
	s_and_b32 s9, s22, s14
	v_cmp_eq_u32_e64 s22, 2, v0
	v_dual_lshrrev_b32 v3, 3, v10 :: v_dual_lshlrev_b32 v56, 4, v4
	v_writelane_b32 v80, s9, 10
	s_and_b32 s9, s23, s14
	v_cmp_lt_u32_e64 s23, 2, v0
	s_and_b32 s85, s18, s8
	v_cmp_lt_u32_e64 s18, 5, v4
	v_writelane_b32 v80, s9, 11
	s_and_b32 s9, s21, s14
	v_cmp_lt_u32_e64 s21, 3, v0
	s_and_b32 s88, s16, s8
	v_dual_mov_b32 v21, v1 :: v_dual_add_nc_u32 v52, 0x4000, v5
	v_writelane_b32 v80, s9, 12
	s_and_b32 s9, s22, s14
	v_cmp_eq_u32_e64 s22, 4, v0
	v_lshlrev_b32_e32 v5, 4, v3
	v_mul_u32_u24_e32 v55, 0x210, v3
	v_writelane_b32 v80, s9, 13
	s_and_b32 s9, s23, s14
	v_cmp_lt_u32_e64 s23, 4, v0
	s_and_b32 s90, s18, s8
	v_sub_nc_u32_e32 v6, v55, v5
	v_writelane_b32 v80, s9, 14
	s_and_b32 s9, s24, s14
	v_cmp_lt_u32_e64 s24, 5, v0
	v_lshl_or_b32 v58, v3, 9, v56
	v_lshlrev_b32_e32 v3, 5, v10
	v_writelane_b32 v80, s9, 15
	s_and_b32 s9, s21, s14
	v_cmp_eq_u32_e64 s21, 5, v0
	v_add_nc_u32_e32 v57, 0x4000, v5
	v_add_nc_u64_e32 v[4:5], s[28:29], v[24:25]
	v_writelane_b32 v80, s9, 16
	s_and_b32 s9, s22, s14
	v_cmp_eq_u32_e64 s22, 6, v0
	v_and_b32_e32 v61, 0xffe00, v3
	v_dual_lshlrev_b32 v62, 4, v0 :: v_dual_add_nc_u32 v3, -16, v7
	v_writelane_b32 v80, s9, 17
	s_and_b32 s9, s23, s14
	s_and_b32 vcc_hi, s22, s14
	v_cmp_lt_u32_e64 s22, 7, v0
	v_cmp_eq_u32_e64 s23, 7, v0
	v_writelane_b32 v80, s9, 18
	s_and_b32 s9, s21, s14
	v_cmp_lt_u32_e64 s21, 6, v0
	s_and_b32 s17, s22, s14
	v_cmp_eq_u32_e64 s22, 9, v0
	v_writelane_b32 v80, s9, 19
	s_and_b32 s9, s24, s14
	s_and_b32 s15, s21, s14
	v_cmp_lt_u32_e64 s21, 8, v0
	v_cmp_eq_u32_e64 s24, 8, v0
	s_and_b32 s20, s22, s14
	v_cmp_eq_u32_e64 s22, 11, v0
	s_and_b32 s16, s23, s14
	s_and_b32 s19, s21, s14
	v_cmp_eq_u32_e64 s21, 10, v0
	v_cmp_lt_u32_e64 s23, 9, v0
	s_and_b32 s18, s24, s14
	v_cmp_lt_u32_e64 s24, 10, v0
	s_and_b32 s93, s22, s14
	s_and_b32 s11, s21, s14
	v_cmp_lt_u32_e64 s21, 11, v0
	v_cmp_lt_u32_e64 s22, 12, v0
	v_writelane_b32 v80, s9, 20
	s_and_b32 s9, s23, s14
	v_cmp_eq_u32_e64 s23, 12, v0
	s_and_b32 s13, s24, s14
	v_cmp_eq_u32_e64 s24, 13, v0
	s_and_b32 s94, s21, s14
	v_cmp_lt_u32_e64 s21, 13, v0
	s_and_b32 s96, s22, s14
	v_cmp_le_i32_e64 s22, s25, v22
	s_and_b32 s95, s23, s14
	v_cmp_eq_u32_e64 s23, 14, v0
	v_dual_add_nc_u32 v59, v6, v56 :: v_dual_bitop2_b32 v64, v61, v62 bitop3:0x54
	s_and_b32 s97, s24, s14
	s_and_b32 s98, s21, s14
	v_cmp_eq_u32_e64 s24, 15, v0
	v_cmp_eq_u32_e64 s21, 0, v20
	v_dual_mov_b32 v7, v1 :: v_dual_add_nc_u32 v6, 16, v20
	v_dual_add_nc_u32 v0, s28, v24 :: v_dual_lshlrev_b32 v38, 4, v22
	s_and_b32 s99, s22, s30
	s_and_b32 s100, s23, s14
	s_xor_b32 s23, s99, -1
	s_delay_alu instid0(VALU_DEP_1)
	v_mul_u64_e32 v[32:33], s[58:59], v[0:1]
	s_and_b32 s102, s21, s23
	v_cmp_le_i32_e64 s23, s25, v20
	v_mul_u64_e32 v[34:35], s[58:59], v[4:5]
	v_mul_u64_e32 v[36:37], s[56:57], v[20:21]
	;; [unrolled: 1-line block ×3, first 2 shown]
	s_and_b32 s71, s6, s3
	s_and_b32 s78, s10, s5
	;; [unrolled: 1-line block ×3, first 2 shown]
	s_cmp_gt_i32 s67, 0
	v_cmp_le_i32_e64 s24, s25, v6
	s_cselect_b32 s103, -1, 0
	s_or_b32 s28, s23, s22
	s_and_b32 s23, s21, vcc_lo
	s_lshl_b64 s[62:63], s[26:27], 4
	v_writelane_b32 v80, s23, 21
	v_cmp_gt_u32_e64 s26, 0x90, v10
	v_cmp_gt_i32_e64 s2, s66, v26
	v_cmp_gt_i32_e64 s25, s66, v2
	s_or_b32 s29, s24, s22
	v_cmp_gt_i32_e64 s22, s66, v3
	v_writelane_b32 v80, s26, 22
	v_cmp_gt_u32_e64 s26, 0x80, v10
	v_and_b32_e32 v60, 0x7ff0, v10
	v_cmp_le_u32_e64 s23, v22, v6
	v_dual_mov_b32 v39, v1 :: v_dual_bitop2_b32 v0, v6, v22 bitop3:0x54
	s_delay_alu instid0(VALU_DEP_4)
	v_writelane_b32 v80, s26, 23
	v_cmp_gt_u32_e64 s26, 0x70, v10
	s_and_b32 s24, s2, s25
	s_and_b32 s25, s2, s22
	v_cmp_le_u32_e64 s22, v22, v20
	v_cmp_gt_u32_e64 s4, 2, v10
	v_writelane_b32 v80, s26, 24
	v_cmp_gt_u32_e64 s26, 0x60, v10
	v_cmp_gt_u32_e64 s6, 12, v10
	;; [unrolled: 1-line block ×5, first 2 shown]
	v_add_nc_u32_e32 v63, 0x4000, v60
	v_lshl_add_u32 v65, v24, 4, 0x6000
	v_lshl_add_u32 v67, v10, 4, 0x4000
	v_or_b32_e32 v68, 0x4000, v49
	v_lshl_add_u32 v69, v20, 9, v49
	v_lshl_add_u32 v21, v6, 9, v49
	s_or_b32 s104, s29, s23
	v_writelane_b32 v80, s26, 25
	v_cmp_gt_u32_e64 s26, 0x50, v10
	v_cmp_eq_u32_e64 s29, 0, v11
	v_cmp_eq_u32_e64 s30, 0, v24
	v_cmp_gt_u32_e64 s31, 32, v24
	v_cmp_ge_u32_e64 s33, v22, v20
	v_cmp_ge_u32_e64 s34, v22, v6
	v_cmp_gt_u32_e64 s35, 32, v11
	v_cmp_gt_u32_e64 s36, 32, v0
	s_or_b32 s28, s28, s22
	s_lshl_b64 s[64:65], s[56:57], 8
	s_wait_kmcnt 0x0
	s_lshl_b64 s[50:51], s[50:51], 4
	s_lshl_b64 s[46:47], s[46:47], 4
	s_mov_b32 s53, 0x3ff00000
                                        ; implicit-def: $vgpr4_vgpr5
                                        ; implicit-def: $vgpr8_vgpr9
	v_writelane_b32 v80, s26, 26
	s_branch .LBB187_3
.LBB187_2:                              ;   in Loop: Header=BB187_3 Depth=1
	s_wait_xcnt 0x0
	s_or_b32 exec_lo, exec_lo, s0
	s_add_co_i32 s38, s38, 0x10000
	global_wb scope:SCOPE_DEV
	s_wait_storecnt 0x0
	global_inv scope:SCOPE_DEV
	s_cmp_lt_u32 s38, s37
	s_cbranch_scc0 .LBB187_512
.LBB187_3:                              ; =>This Loop Header: Depth=1
                                        ;     Child Loop BB187_435 Depth 2
                                        ;       Child Loop BB187_437 Depth 3
                                        ;     Child Loop BB187_468 Depth 2
	v_mov_b32_e32 v0, s38
	s_and_not1_b32 vcc_lo, exec_lo, s68
	s_clause 0x1
	global_load_b64 v[2:3], v0, s[48:49] scale_offset
	global_load_b64 v[18:19], v0, s[44:45] scale_offset
	s_wait_loadcnt 0x1
	v_add_nc_u64_e32 v[16:17], s[50:51], v[2:3]
	s_cbranch_vccnz .LBB187_9
; %bb.4:                                ;   in Loop: Header=BB187_3 Depth=1
	s_delay_alu instid0(VALU_DEP_1)
	v_lshl_add_u64 v[2:3], v[28:29], 4, v[16:17]
	v_mov_b64_e32 v[10:11], 0
	v_mov_b64_e32 v[4:5], 0
	;; [unrolled: 1-line block ×3, first 2 shown]
	s_wait_loadcnt 0x0
	v_lshl_add_u64 v[2:3], v[26:27], 4, v[2:3]
	s_barrier_signal -1
	s_barrier_wait -1
	s_wait_xcnt 0x0
	s_and_saveexec_b32 s0, s24
	s_cbranch_execz .LBB187_6
; %bb.5:                                ;   in Loop: Header=BB187_3 Depth=1
	flat_load_b128 v[4:7], v[2:3]
.LBB187_6:                              ;   in Loop: Header=BB187_3 Depth=1
	s_wait_xcnt 0x0
	s_or_b32 exec_lo, exec_lo, s0
	v_mov_b64_e32 v[8:9], 0
	s_wait_loadcnt_dscnt 0x0
	s_barrier_signal -1
	s_barrier_wait -1
	s_and_saveexec_b32 s0, s25
	s_cbranch_execz .LBB187_8
; %bb.7:                                ;   in Loop: Header=BB187_3 Depth=1
	v_add_nc_u64_e32 v[2:3], s[64:65], v[2:3]
	flat_load_b128 v[8:11], v[2:3]
.LBB187_8:                              ;   in Loop: Header=BB187_3 Depth=1
	s_wait_xcnt 0x0
	s_or_b32 exec_lo, exec_lo, s0
.LBB187_9:                              ;   in Loop: Header=BB187_3 Depth=1
	s_delay_alu instid0(VALU_DEP_1) | instskip(SKIP_2) | instid1(VALU_DEP_1)
	v_add_nc_u64_e32 v[2:3], s[62:63], v[16:17]
	s_and_not1_b32 vcc_lo, exec_lo, s69
	s_mov_b32 s0, -1
	v_add_nc_u64_e32 v[42:43], v[2:3], v[38:39]
	s_cbranch_vccnz .LBB187_18
; %bb.10:                               ;   in Loop: Header=BB187_3 Depth=1
	s_mov_b32 s0, 0
	s_wait_xcnt 0x0
	s_and_saveexec_b32 s1, s22
	s_delay_alu instid0(SALU_CYCLE_1)
	s_xor_b32 s1, exec_lo, s1
; %bb.11:                               ;   in Loop: Header=BB187_3 Depth=1
	s_and_b32 s0, s35, exec_lo
; %bb.12:                               ;   in Loop: Header=BB187_3 Depth=1
	s_or_saveexec_b32 s1, s1
	v_mov_b64_e32 v[14:15], 0
	v_mov_b64_e32 v[12:13], 0
	s_xor_b32 exec_lo, exec_lo, s1
	s_cbranch_execnz .LBB187_481
; %bb.13:                               ;   in Loop: Header=BB187_3 Depth=1
	s_or_b32 exec_lo, exec_lo, s1
	s_and_saveexec_b32 s1, s0
	s_cbranch_execnz .LBB187_482
.LBB187_14:                             ;   in Loop: Header=BB187_3 Depth=1
	s_or_b32 exec_lo, exec_lo, s1
	s_and_saveexec_b32 s0, s23
	s_delay_alu instid0(SALU_CYCLE_1)
	s_xor_b32 s0, exec_lo, s0
	s_cbranch_execnz .LBB187_483
.LBB187_15:                             ;   in Loop: Header=BB187_3 Depth=1
	s_and_not1_saveexec_b32 s0, s0
	s_cbranch_execz .LBB187_17
.LBB187_16:                             ;   in Loop: Header=BB187_3 Depth=1
	v_lshl_add_u64 v[2:3], v[40:41], 4, v[42:43]
	flat_load_b128 v[12:15], v[2:3]
	s_wait_loadcnt_dscnt 0x0
	v_xor_b32_e32 v13, 0x80000000, v13
	v_xor_b32_e32 v15, 0x80000000, v15
	ds_store_b128 v21, v[12:15]
.LBB187_17:                             ;   in Loop: Header=BB187_3 Depth=1
	s_or_b32 exec_lo, exec_lo, s0
	s_mov_b32 s0, 0
.LBB187_18:                             ;   in Loop: Header=BB187_3 Depth=1
	s_delay_alu instid0(SALU_CYCLE_1)
	s_and_b32 vcc_lo, exec_lo, s0
	s_cbranch_vccz .LBB187_27
; %bb.19:                               ;   in Loop: Header=BB187_3 Depth=1
	s_mov_b32 s0, 0
	s_wait_xcnt 0x0
	s_and_saveexec_b32 s1, s28
	s_delay_alu instid0(SALU_CYCLE_1)
	s_xor_b32 s1, exec_lo, s1
; %bb.20:                               ;   in Loop: Header=BB187_3 Depth=1
	s_and_b32 s0, s35, exec_lo
; %bb.21:                               ;   in Loop: Header=BB187_3 Depth=1
	s_or_saveexec_b32 s1, s1
	v_mov_b64_e32 v[14:15], 0
	v_mov_b64_e32 v[12:13], 0
	s_xor_b32 exec_lo, exec_lo, s1
	s_cbranch_execnz .LBB187_486
; %bb.22:                               ;   in Loop: Header=BB187_3 Depth=1
	s_or_b32 exec_lo, exec_lo, s1
	s_and_saveexec_b32 s1, s0
	s_cbranch_execnz .LBB187_487
.LBB187_23:                             ;   in Loop: Header=BB187_3 Depth=1
	s_or_b32 exec_lo, exec_lo, s1
	s_and_saveexec_b32 s0, s104
	s_delay_alu instid0(SALU_CYCLE_1)
	s_xor_b32 s0, exec_lo, s0
	s_cbranch_execnz .LBB187_488
.LBB187_24:                             ;   in Loop: Header=BB187_3 Depth=1
	s_and_not1_saveexec_b32 s0, s0
	s_cbranch_execz .LBB187_26
.LBB187_25:                             ;   in Loop: Header=BB187_3 Depth=1
	v_lshl_add_u64 v[2:3], v[40:41], 4, v[42:43]
	flat_load_b128 v[12:15], v[2:3]
	s_wait_loadcnt_dscnt 0x0
	v_xor_b32_e32 v13, 0x80000000, v13
	v_xor_b32_e32 v15, 0x80000000, v15
	ds_store_b128 v21, v[12:15]
.LBB187_26:                             ;   in Loop: Header=BB187_3 Depth=1
	s_or_b32 exec_lo, exec_lo, s0
.LBB187_27:                             ;   in Loop: Header=BB187_3 Depth=1
	s_delay_alu instid0(SALU_CYCLE_1)
	s_and_not1_b32 vcc_lo, exec_lo, s70
	s_wait_loadcnt_dscnt 0x0
	s_barrier_signal -1
	s_barrier_wait -1
	s_cbranch_vccnz .LBB187_429
; %bb.28:                               ;   in Loop: Header=BB187_3 Depth=1
	s_wait_xcnt 0x0
	s_and_saveexec_b32 s0, s29
	s_cbranch_execz .LBB187_30
; %bb.29:                               ;   in Loop: Header=BB187_3 Depth=1
	s_mov_b32 s52, s39
	s_mov_b32 s54, s39
	;; [unrolled: 1-line block ×3, first 2 shown]
	v_mov_b64_e32 v[12:13], s[52:53]
	v_mov_b64_e32 v[14:15], s[54:55]
	ds_store_b128 v1, v[12:15]
	ds_store_b128 v1, v[12:15] offset:528
.LBB187_30:                             ;   in Loop: Header=BB187_3 Depth=1
	s_or_b32 exec_lo, exec_lo, s0
	v_mov_b64_e32 v[14:15], 0
	v_mov_b64_e32 v[12:13], 0
	s_wait_dscnt 0x0
	s_barrier_signal -1
	s_barrier_wait -1
	s_and_saveexec_b32 s0, s3
	s_cbranch_execz .LBB187_34
; %bb.31:                               ;   in Loop: Header=BB187_3 Depth=1
	ds_load_b128 v[12:15], v48
	ds_load_b128 v[42:45], v47 offset:32
	s_wait_dscnt 0x0
	v_mul_f64_e32 v[2:3], v[14:15], v[44:45]
	v_mul_f64_e32 v[44:45], v[12:13], v[44:45]
	s_delay_alu instid0(VALU_DEP_2) | instskip(NEXT) | instid1(VALU_DEP_2)
	v_fma_f64 v[2:3], v[12:13], v[42:43], -v[2:3]
	v_fmac_f64_e32 v[44:45], v[14:15], v[42:43]
	s_delay_alu instid0(VALU_DEP_2) | instskip(NEXT) | instid1(VALU_DEP_2)
	v_add_f64_e32 v[12:13], 0, v[2:3]
	v_add_f64_e32 v[14:15], 0, v[44:45]
	s_and_saveexec_b32 s1, s4
	s_cbranch_execz .LBB187_33
; %bb.32:                               ;   in Loop: Header=BB187_3 Depth=1
	ds_load_b128 v[42:45], v1 offset:16
	ds_load_b128 v[72:75], v49 offset:544
	s_wait_dscnt 0x0
	v_mul_f64_e32 v[2:3], v[44:45], v[74:75]
	v_mul_f64_e32 v[74:75], v[42:43], v[74:75]
	s_delay_alu instid0(VALU_DEP_2) | instskip(NEXT) | instid1(VALU_DEP_2)
	v_fma_f64 v[2:3], v[42:43], v[72:73], -v[2:3]
	v_fmac_f64_e32 v[74:75], v[44:45], v[72:73]
	s_delay_alu instid0(VALU_DEP_2) | instskip(NEXT) | instid1(VALU_DEP_2)
	v_add_f64_e32 v[12:13], v[12:13], v[2:3]
	v_add_f64_e32 v[14:15], v[14:15], v[74:75]
.LBB187_33:                             ;   in Loop: Header=BB187_3 Depth=1
	s_or_b32 exec_lo, exec_lo, s1
	s_delay_alu instid0(VALU_DEP_2) | instskip(NEXT) | instid1(VALU_DEP_2)
	v_xor_b32_e32 v13, 0x80000000, v13
	v_xor_b32_e32 v15, 0x80000000, v15
.LBB187_34:                             ;   in Loop: Header=BB187_3 Depth=1
	s_or_b32 exec_lo, exec_lo, s0
	s_and_saveexec_b32 s0, s71
; %bb.35:                               ;   in Loop: Header=BB187_3 Depth=1
	ds_store_b128 v46, v[12:15]
; %bb.36:                               ;   in Loop: Header=BB187_3 Depth=1
	s_or_b32 exec_lo, exec_lo, s0
	s_wait_dscnt 0x0
	s_barrier_signal -1
	s_barrier_wait -1
	s_and_saveexec_b32 s0, s72
	s_cbranch_execz .LBB187_38
; %bb.37:                               ;   in Loop: Header=BB187_3 Depth=1
	ds_load_b128 v[42:45], v46
	ds_load_b128 v[72:75], v1 offset:1072
	s_wait_dscnt 0x0
	v_mul_f64_e32 v[2:3], v[44:45], v[74:75]
	v_mul_f64_e32 v[74:75], v[42:43], v[74:75]
	s_delay_alu instid0(VALU_DEP_2) | instskip(NEXT) | instid1(VALU_DEP_2)
	v_fma_f64 v[2:3], v[42:43], v[72:73], -v[2:3]
	v_fmac_f64_e32 v[74:75], v[44:45], v[72:73]
	s_delay_alu instid0(VALU_DEP_2) | instskip(NEXT) | instid1(VALU_DEP_2)
	v_add_f64_e32 v[12:13], v[12:13], v[2:3]
	v_add_f64_e32 v[14:15], v[14:15], v[74:75]
.LBB187_38:                             ;   in Loop: Header=BB187_3 Depth=1
	s_or_b32 exec_lo, exec_lo, s0
	s_barrier_signal -1
	s_barrier_wait -1
	s_and_saveexec_b32 s0, s72
; %bb.39:                               ;   in Loop: Header=BB187_3 Depth=1
	ds_store_b128 v46, v[12:15]
; %bb.40:                               ;   in Loop: Header=BB187_3 Depth=1
	s_or_b32 exec_lo, exec_lo, s0
	s_wait_dscnt 0x0
	s_barrier_signal -1
	s_barrier_wait -1
	s_barrier_signal -1
	s_barrier_wait -1
	s_and_saveexec_b32 s0, s3
; %bb.41:                               ;   in Loop: Header=BB187_3 Depth=1
	v_xor_b32_e32 v13, 0x80000000, v13
	v_xor_b32_e32 v15, 0x80000000, v15
	ds_store_b128 v47, v[12:15] offset:32
; %bb.42:                               ;   in Loop: Header=BB187_3 Depth=1
	s_or_b32 exec_lo, exec_lo, s0
	s_wait_dscnt 0x0
	s_barrier_signal -1
	s_barrier_wait -1
	s_barrier_signal -1
	s_barrier_wait -1
	s_and_saveexec_b32 s0, s29
	s_cbranch_execz .LBB187_44
; %bb.43:                               ;   in Loop: Header=BB187_3 Depth=1
	s_mov_b32 s52, s39
	s_mov_b32 s54, s39
	;; [unrolled: 1-line block ×3, first 2 shown]
	v_mov_b64_e32 v[12:13], s[52:53]
	v_mov_b64_e32 v[14:15], s[54:55]
	ds_store_b128 v1, v[12:15] offset:1056
	ds_store_b128 v1, v[12:15] offset:1584
.LBB187_44:                             ;   in Loop: Header=BB187_3 Depth=1
	s_or_b32 exec_lo, exec_lo, s0
	v_mov_b64_e32 v[14:15], 0
	v_mov_b64_e32 v[12:13], 0
	s_wait_dscnt 0x0
	s_barrier_signal -1
	s_barrier_wait -1
	s_and_saveexec_b32 s0, s5
	s_cbranch_execz .LBB187_50
; %bb.45:                               ;   in Loop: Header=BB187_3 Depth=1
	ds_load_b128 v[12:15], v51
	ds_load_b128 v[42:45], v53 offset:64
	s_wait_dscnt 0x0
	v_mul_f64_e32 v[2:3], v[14:15], v[44:45]
	v_mul_f64_e32 v[44:45], v[12:13], v[44:45]
	s_delay_alu instid0(VALU_DEP_2) | instskip(NEXT) | instid1(VALU_DEP_2)
	v_fma_f64 v[2:3], v[12:13], v[42:43], -v[2:3]
	v_fmac_f64_e32 v[44:45], v[14:15], v[42:43]
	s_delay_alu instid0(VALU_DEP_2) | instskip(NEXT) | instid1(VALU_DEP_2)
	v_add_f64_e32 v[12:13], 0, v[2:3]
	v_add_f64_e32 v[14:15], 0, v[44:45]
	s_and_saveexec_b32 s1, s6
	s_cbranch_execnz .LBB187_496
; %bb.46:                               ;   in Loop: Header=BB187_3 Depth=1
	s_or_b32 exec_lo, exec_lo, s1
	s_and_saveexec_b32 s1, s7
	s_cbranch_execnz .LBB187_497
.LBB187_47:                             ;   in Loop: Header=BB187_3 Depth=1
	s_or_b32 exec_lo, exec_lo, s1
	s_and_saveexec_b32 s1, s3
	s_cbranch_execz .LBB187_49
.LBB187_48:                             ;   in Loop: Header=BB187_3 Depth=1
	ds_load_b128 v[42:45], v1 offset:48
	ds_load_b128 v[72:75], v49 offset:1600
	s_wait_dscnt 0x0
	v_mul_f64_e32 v[2:3], v[44:45], v[74:75]
	v_mul_f64_e32 v[74:75], v[42:43], v[74:75]
	s_delay_alu instid0(VALU_DEP_2) | instskip(NEXT) | instid1(VALU_DEP_2)
	v_fma_f64 v[2:3], v[42:43], v[72:73], -v[2:3]
	v_fmac_f64_e32 v[74:75], v[44:45], v[72:73]
	s_delay_alu instid0(VALU_DEP_2) | instskip(NEXT) | instid1(VALU_DEP_2)
	v_add_f64_e32 v[12:13], v[12:13], v[2:3]
	v_add_f64_e32 v[14:15], v[14:15], v[74:75]
.LBB187_49:                             ;   in Loop: Header=BB187_3 Depth=1
	s_or_b32 exec_lo, exec_lo, s1
	s_delay_alu instid0(VALU_DEP_2) | instskip(NEXT) | instid1(VALU_DEP_2)
	v_xor_b32_e32 v13, 0x80000000, v13
	v_xor_b32_e32 v15, 0x80000000, v15
.LBB187_50:                             ;   in Loop: Header=BB187_3 Depth=1
	s_or_b32 exec_lo, exec_lo, s0
	s_and_saveexec_b32 s0, s73
; %bb.51:                               ;   in Loop: Header=BB187_3 Depth=1
	ds_store_b128 v52, v[12:15]
; %bb.52:                               ;   in Loop: Header=BB187_3 Depth=1
	s_or_b32 exec_lo, exec_lo, s0
	s_wait_dscnt 0x0
	s_barrier_signal -1
	s_barrier_wait -1
	s_and_saveexec_b32 s0, s74
	s_cbranch_execz .LBB187_54
; %bb.53:                               ;   in Loop: Header=BB187_3 Depth=1
	ds_load_b128 v[42:45], v52
	ds_load_b128 v[72:75], v50 offset:2112
	s_wait_dscnt 0x0
	v_mul_f64_e32 v[2:3], v[44:45], v[74:75]
	v_mul_f64_e32 v[74:75], v[42:43], v[74:75]
	s_delay_alu instid0(VALU_DEP_2) | instskip(NEXT) | instid1(VALU_DEP_2)
	v_fma_f64 v[2:3], v[42:43], v[72:73], -v[2:3]
	v_fmac_f64_e32 v[74:75], v[44:45], v[72:73]
	s_delay_alu instid0(VALU_DEP_2) | instskip(NEXT) | instid1(VALU_DEP_2)
	v_add_f64_e32 v[12:13], v[12:13], v[2:3]
	v_add_f64_e32 v[14:15], v[14:15], v[74:75]
.LBB187_54:                             ;   in Loop: Header=BB187_3 Depth=1
	s_or_b32 exec_lo, exec_lo, s0
	s_barrier_signal -1
	s_barrier_wait -1
	s_and_saveexec_b32 s0, s75
; %bb.55:                               ;   in Loop: Header=BB187_3 Depth=1
	ds_store_b128 v52, v[12:15]
; %bb.56:                               ;   in Loop: Header=BB187_3 Depth=1
	s_or_b32 exec_lo, exec_lo, s0
	s_wait_dscnt 0x0
	s_barrier_signal -1
	s_barrier_wait -1
	s_and_saveexec_b32 s0, s76
	s_cbranch_execz .LBB187_58
; %bb.57:                               ;   in Loop: Header=BB187_3 Depth=1
	ds_load_b128 v[42:45], v52
	ds_load_b128 v[72:75], v50 offset:2624
	s_wait_dscnt 0x0
	v_mul_f64_e32 v[2:3], v[44:45], v[74:75]
	v_mul_f64_e32 v[74:75], v[42:43], v[74:75]
	s_delay_alu instid0(VALU_DEP_2) | instskip(NEXT) | instid1(VALU_DEP_2)
	v_fma_f64 v[2:3], v[42:43], v[72:73], -v[2:3]
	v_fmac_f64_e32 v[74:75], v[44:45], v[72:73]
	s_delay_alu instid0(VALU_DEP_2) | instskip(NEXT) | instid1(VALU_DEP_2)
	v_add_f64_e32 v[12:13], v[12:13], v[2:3]
	v_add_f64_e32 v[14:15], v[14:15], v[74:75]
.LBB187_58:                             ;   in Loop: Header=BB187_3 Depth=1
	s_or_b32 exec_lo, exec_lo, s0
	s_barrier_signal -1
	s_barrier_wait -1
	s_and_saveexec_b32 s0, s77
; %bb.59:                               ;   in Loop: Header=BB187_3 Depth=1
	ds_store_b128 v52, v[12:15]
; %bb.60:                               ;   in Loop: Header=BB187_3 Depth=1
	s_or_b32 exec_lo, exec_lo, s0
	s_wait_dscnt 0x0
	s_barrier_signal -1
	s_barrier_wait -1
	s_and_saveexec_b32 s0, s78
	s_cbranch_execz .LBB187_62
; %bb.61:                               ;   in Loop: Header=BB187_3 Depth=1
	ds_load_b128 v[42:45], v52
	ds_load_b128 v[72:75], v1 offset:3184
	s_wait_dscnt 0x0
	v_mul_f64_e32 v[2:3], v[44:45], v[74:75]
	v_mul_f64_e32 v[74:75], v[42:43], v[74:75]
	s_delay_alu instid0(VALU_DEP_2) | instskip(NEXT) | instid1(VALU_DEP_2)
	v_fma_f64 v[2:3], v[42:43], v[72:73], -v[2:3]
	v_fmac_f64_e32 v[74:75], v[44:45], v[72:73]
	s_delay_alu instid0(VALU_DEP_2) | instskip(NEXT) | instid1(VALU_DEP_2)
	v_add_f64_e32 v[12:13], v[12:13], v[2:3]
	v_add_f64_e32 v[14:15], v[14:15], v[74:75]
.LBB187_62:                             ;   in Loop: Header=BB187_3 Depth=1
	s_or_b32 exec_lo, exec_lo, s0
	s_barrier_signal -1
	s_barrier_wait -1
	s_and_saveexec_b32 s0, s78
; %bb.63:                               ;   in Loop: Header=BB187_3 Depth=1
	ds_store_b128 v52, v[12:15]
; %bb.64:                               ;   in Loop: Header=BB187_3 Depth=1
	s_or_b32 exec_lo, exec_lo, s0
	s_wait_dscnt 0x0
	s_barrier_signal -1
	s_barrier_wait -1
	s_barrier_signal -1
	s_barrier_wait -1
	s_and_saveexec_b32 s0, s5
; %bb.65:                               ;   in Loop: Header=BB187_3 Depth=1
	v_xor_b32_e32 v15, 0x80000000, v15
	v_xor_b32_e32 v13, 0x80000000, v13
	ds_store_b128 v53, v[12:15] offset:64
; %bb.66:                               ;   in Loop: Header=BB187_3 Depth=1
	s_or_b32 exec_lo, exec_lo, s0
	s_wait_dscnt 0x0
	s_barrier_signal -1
	s_barrier_wait -1
	s_barrier_signal -1
	s_barrier_wait -1
	s_and_saveexec_b32 s0, s29
	s_cbranch_execz .LBB187_68
; %bb.67:                               ;   in Loop: Header=BB187_3 Depth=1
	s_mov_b32 s52, s39
	s_mov_b32 s54, s39
	;; [unrolled: 1-line block ×3, first 2 shown]
	v_mov_b64_e32 v[12:13], s[52:53]
	v_mov_b64_e32 v[14:15], s[54:55]
	ds_store_b128 v1, v[12:15] offset:2112
	ds_store_b128 v1, v[12:15] offset:2640
.LBB187_68:                             ;   in Loop: Header=BB187_3 Depth=1
	s_or_b32 exec_lo, exec_lo, s0
	v_mov_b64_e32 v[14:15], 0
	v_mov_b64_e32 v[12:13], 0
	s_wait_dscnt 0x0
	s_barrier_signal -1
	s_barrier_wait -1
	s_and_saveexec_b32 s0, s3
	s_cbranch_execz .LBB187_72
; %bb.69:                               ;   in Loop: Header=BB187_3 Depth=1
	ds_load_b128 v[12:15], v48 offset:2112
	ds_load_b128 v[42:45], v47 offset:2144
	s_wait_dscnt 0x0
	v_mul_f64_e32 v[2:3], v[14:15], v[44:45]
	v_mul_f64_e32 v[44:45], v[12:13], v[44:45]
	s_delay_alu instid0(VALU_DEP_2) | instskip(NEXT) | instid1(VALU_DEP_2)
	v_fma_f64 v[2:3], v[12:13], v[42:43], -v[2:3]
	v_fmac_f64_e32 v[44:45], v[14:15], v[42:43]
	s_delay_alu instid0(VALU_DEP_2) | instskip(NEXT) | instid1(VALU_DEP_2)
	v_add_f64_e32 v[12:13], 0, v[2:3]
	v_add_f64_e32 v[14:15], 0, v[44:45]
	s_and_saveexec_b32 s1, s4
	s_cbranch_execz .LBB187_71
; %bb.70:                               ;   in Loop: Header=BB187_3 Depth=1
	ds_load_b128 v[42:45], v1 offset:2128
	ds_load_b128 v[72:75], v49 offset:2656
	s_wait_dscnt 0x0
	v_mul_f64_e32 v[2:3], v[44:45], v[74:75]
	v_mul_f64_e32 v[74:75], v[42:43], v[74:75]
	s_delay_alu instid0(VALU_DEP_2) | instskip(NEXT) | instid1(VALU_DEP_2)
	v_fma_f64 v[2:3], v[42:43], v[72:73], -v[2:3]
	v_fmac_f64_e32 v[74:75], v[44:45], v[72:73]
	s_delay_alu instid0(VALU_DEP_2) | instskip(NEXT) | instid1(VALU_DEP_2)
	v_add_f64_e32 v[12:13], v[12:13], v[2:3]
	v_add_f64_e32 v[14:15], v[14:15], v[74:75]
.LBB187_71:                             ;   in Loop: Header=BB187_3 Depth=1
	s_or_b32 exec_lo, exec_lo, s1
	s_delay_alu instid0(VALU_DEP_2) | instskip(NEXT) | instid1(VALU_DEP_2)
	v_xor_b32_e32 v13, 0x80000000, v13
	v_xor_b32_e32 v15, 0x80000000, v15
.LBB187_72:                             ;   in Loop: Header=BB187_3 Depth=1
	s_or_b32 exec_lo, exec_lo, s0
	s_and_saveexec_b32 s0, s71
; %bb.73:                               ;   in Loop: Header=BB187_3 Depth=1
	ds_store_b128 v46, v[12:15]
; %bb.74:                               ;   in Loop: Header=BB187_3 Depth=1
	s_or_b32 exec_lo, exec_lo, s0
	s_wait_dscnt 0x0
	s_barrier_signal -1
	s_barrier_wait -1
	s_and_saveexec_b32 s0, s72
	s_cbranch_execz .LBB187_76
; %bb.75:                               ;   in Loop: Header=BB187_3 Depth=1
	ds_load_b128 v[42:45], v46
	ds_load_b128 v[72:75], v1 offset:3184
	s_wait_dscnt 0x0
	v_mul_f64_e32 v[2:3], v[44:45], v[74:75]
	v_mul_f64_e32 v[74:75], v[42:43], v[74:75]
	s_delay_alu instid0(VALU_DEP_2) | instskip(NEXT) | instid1(VALU_DEP_2)
	v_fma_f64 v[2:3], v[42:43], v[72:73], -v[2:3]
	v_fmac_f64_e32 v[74:75], v[44:45], v[72:73]
	s_delay_alu instid0(VALU_DEP_2) | instskip(NEXT) | instid1(VALU_DEP_2)
	v_add_f64_e32 v[12:13], v[12:13], v[2:3]
	v_add_f64_e32 v[14:15], v[14:15], v[74:75]
.LBB187_76:                             ;   in Loop: Header=BB187_3 Depth=1
	s_or_b32 exec_lo, exec_lo, s0
	s_barrier_signal -1
	s_barrier_wait -1
	s_and_saveexec_b32 s0, s72
; %bb.77:                               ;   in Loop: Header=BB187_3 Depth=1
	ds_store_b128 v46, v[12:15]
; %bb.78:                               ;   in Loop: Header=BB187_3 Depth=1
	s_or_b32 exec_lo, exec_lo, s0
	s_wait_dscnt 0x0
	s_barrier_signal -1
	s_barrier_wait -1
	s_barrier_signal -1
	s_barrier_wait -1
	s_and_saveexec_b32 s0, s3
; %bb.79:                               ;   in Loop: Header=BB187_3 Depth=1
	v_xor_b32_e32 v13, 0x80000000, v13
	v_xor_b32_e32 v15, 0x80000000, v15
	ds_store_b128 v47, v[12:15] offset:2144
; %bb.80:                               ;   in Loop: Header=BB187_3 Depth=1
	s_or_b32 exec_lo, exec_lo, s0
	s_wait_dscnt 0x0
	s_barrier_signal -1
	s_barrier_wait -1
	s_barrier_signal -1
	s_barrier_wait -1
	s_and_saveexec_b32 s0, s29
	s_cbranch_execz .LBB187_82
; %bb.81:                               ;   in Loop: Header=BB187_3 Depth=1
	s_mov_b32 s52, s39
	s_mov_b32 s54, s39
	;; [unrolled: 1-line block ×3, first 2 shown]
	v_mov_b64_e32 v[12:13], s[52:53]
	v_mov_b64_e32 v[14:15], s[54:55]
	ds_store_b128 v1, v[12:15] offset:3168
	ds_store_b128 v1, v[12:15] offset:3696
.LBB187_82:                             ;   in Loop: Header=BB187_3 Depth=1
	s_or_b32 exec_lo, exec_lo, s0
	v_mov_b64_e32 v[14:15], 0
	v_mov_b64_e32 v[12:13], 0
	s_wait_dscnt 0x0
	s_barrier_signal -1
	s_barrier_wait -1
	s_and_saveexec_b32 s0, s8
	s_cbranch_execz .LBB187_96
; %bb.83:                               ;   in Loop: Header=BB187_3 Depth=1
	ds_load_b128 v[12:15], v55
	ds_load_b128 v[42:45], v58 offset:128
	v_readlane_b32 s26, v80, 0
	s_wait_dscnt 0x0
	v_mul_f64_e32 v[2:3], v[14:15], v[44:45]
	v_mul_f64_e32 v[44:45], v[12:13], v[44:45]
	s_delay_alu instid0(VALU_DEP_2) | instskip(NEXT) | instid1(VALU_DEP_2)
	v_fma_f64 v[2:3], v[12:13], v[42:43], -v[2:3]
	v_fmac_f64_e32 v[44:45], v[14:15], v[42:43]
	s_delay_alu instid0(VALU_DEP_2) | instskip(NEXT) | instid1(VALU_DEP_2)
	v_add_f64_e32 v[12:13], 0, v[2:3]
	v_add_f64_e32 v[14:15], 0, v[44:45]
	s_and_saveexec_b32 s1, s26
	s_cbranch_execz .LBB187_85
; %bb.84:                               ;   in Loop: Header=BB187_3 Depth=1
	ds_load_b128 v[42:45], v55 offset:16
	ds_load_b128 v[72:75], v59 offset:640
	s_wait_dscnt 0x0
	v_mul_f64_e32 v[2:3], v[44:45], v[74:75]
	v_mul_f64_e32 v[74:75], v[42:43], v[74:75]
	s_delay_alu instid0(VALU_DEP_2) | instskip(NEXT) | instid1(VALU_DEP_2)
	v_fma_f64 v[2:3], v[42:43], v[72:73], -v[2:3]
	v_fmac_f64_e32 v[74:75], v[44:45], v[72:73]
	s_delay_alu instid0(VALU_DEP_2) | instskip(NEXT) | instid1(VALU_DEP_2)
	v_add_f64_e32 v[12:13], v[12:13], v[2:3]
	v_add_f64_e32 v[14:15], v[14:15], v[74:75]
.LBB187_85:                             ;   in Loop: Header=BB187_3 Depth=1
	s_or_b32 exec_lo, exec_lo, s1
	s_and_saveexec_b32 s1, s10
	s_cbranch_execz .LBB187_87
; %bb.86:                               ;   in Loop: Header=BB187_3 Depth=1
	ds_load_b128 v[42:45], v55 offset:32
	ds_load_b128 v[72:75], v59 offset:1152
	s_wait_dscnt 0x0
	v_mul_f64_e32 v[2:3], v[44:45], v[74:75]
	v_mul_f64_e32 v[74:75], v[42:43], v[74:75]
	s_delay_alu instid0(VALU_DEP_2) | instskip(NEXT) | instid1(VALU_DEP_2)
	v_fma_f64 v[2:3], v[42:43], v[72:73], -v[2:3]
	v_fmac_f64_e32 v[74:75], v[44:45], v[72:73]
	s_delay_alu instid0(VALU_DEP_2) | instskip(NEXT) | instid1(VALU_DEP_2)
	v_add_f64_e32 v[12:13], v[12:13], v[2:3]
	v_add_f64_e32 v[14:15], v[14:15], v[74:75]
.LBB187_87:                             ;   in Loop: Header=BB187_3 Depth=1
	s_or_b32 exec_lo, exec_lo, s1
	v_readlane_b32 s26, v80, 1
	s_and_saveexec_b32 s1, s26
	s_cbranch_execz .LBB187_89
; %bb.88:                               ;   in Loop: Header=BB187_3 Depth=1
	ds_load_b128 v[42:45], v55 offset:48
	ds_load_b128 v[72:75], v59 offset:1664
	s_wait_dscnt 0x0
	v_mul_f64_e32 v[2:3], v[44:45], v[74:75]
	v_mul_f64_e32 v[74:75], v[42:43], v[74:75]
	s_delay_alu instid0(VALU_DEP_2) | instskip(NEXT) | instid1(VALU_DEP_2)
	v_fma_f64 v[2:3], v[42:43], v[72:73], -v[2:3]
	v_fmac_f64_e32 v[74:75], v[44:45], v[72:73]
	s_delay_alu instid0(VALU_DEP_2) | instskip(NEXT) | instid1(VALU_DEP_2)
	v_add_f64_e32 v[12:13], v[12:13], v[2:3]
	v_add_f64_e32 v[14:15], v[14:15], v[74:75]
.LBB187_89:                             ;   in Loop: Header=BB187_3 Depth=1
	s_or_b32 exec_lo, exec_lo, s1
	s_and_saveexec_b32 s1, s12
	s_cbranch_execz .LBB187_91
; %bb.90:                               ;   in Loop: Header=BB187_3 Depth=1
	ds_load_b128 v[42:45], v55 offset:64
	ds_load_b128 v[72:75], v58 offset:2176
	s_wait_dscnt 0x0
	v_mul_f64_e32 v[2:3], v[44:45], v[74:75]
	v_mul_f64_e32 v[74:75], v[42:43], v[74:75]
	s_delay_alu instid0(VALU_DEP_2) | instskip(NEXT) | instid1(VALU_DEP_2)
	v_fma_f64 v[2:3], v[42:43], v[72:73], -v[2:3]
	v_fmac_f64_e32 v[74:75], v[44:45], v[72:73]
	s_delay_alu instid0(VALU_DEP_2) | instskip(NEXT) | instid1(VALU_DEP_2)
	v_add_f64_e32 v[12:13], v[12:13], v[2:3]
	v_add_f64_e32 v[14:15], v[14:15], v[74:75]
.LBB187_91:                             ;   in Loop: Header=BB187_3 Depth=1
	s_or_b32 exec_lo, exec_lo, s1
	v_readlane_b32 s26, v80, 2
	s_and_saveexec_b32 s1, s26
	s_cbranch_execnz .LBB187_498
; %bb.92:                               ;   in Loop: Header=BB187_3 Depth=1
	s_or_b32 exec_lo, exec_lo, s1
	s_and_saveexec_b32 s1, s5
	s_cbranch_execnz .LBB187_499
.LBB187_93:                             ;   in Loop: Header=BB187_3 Depth=1
	s_or_b32 exec_lo, exec_lo, s1
	s_and_saveexec_b32 s1, s7
	s_cbranch_execz .LBB187_95
.LBB187_94:                             ;   in Loop: Header=BB187_3 Depth=1
	ds_load_b128 v[42:45], v1 offset:112
	ds_load_b128 v[72:75], v49 offset:3712
	s_wait_dscnt 0x0
	v_mul_f64_e32 v[2:3], v[44:45], v[74:75]
	v_mul_f64_e32 v[74:75], v[42:43], v[74:75]
	s_delay_alu instid0(VALU_DEP_2) | instskip(NEXT) | instid1(VALU_DEP_2)
	v_fma_f64 v[2:3], v[42:43], v[72:73], -v[2:3]
	v_fmac_f64_e32 v[74:75], v[44:45], v[72:73]
	s_delay_alu instid0(VALU_DEP_2) | instskip(NEXT) | instid1(VALU_DEP_2)
	v_add_f64_e32 v[12:13], v[12:13], v[2:3]
	v_add_f64_e32 v[14:15], v[14:15], v[74:75]
.LBB187_95:                             ;   in Loop: Header=BB187_3 Depth=1
	s_or_b32 exec_lo, exec_lo, s1
	s_delay_alu instid0(VALU_DEP_2) | instskip(NEXT) | instid1(VALU_DEP_2)
	v_xor_b32_e32 v13, 0x80000000, v13
	v_xor_b32_e32 v15, 0x80000000, v15
.LBB187_96:                             ;   in Loop: Header=BB187_3 Depth=1
	s_or_b32 exec_lo, exec_lo, s0
	s_and_saveexec_b32 s0, s79
; %bb.97:                               ;   in Loop: Header=BB187_3 Depth=1
	ds_store_b128 v57, v[12:15]
; %bb.98:                               ;   in Loop: Header=BB187_3 Depth=1
	s_or_b32 exec_lo, exec_lo, s0
	s_wait_dscnt 0x0
	s_barrier_signal -1
	s_barrier_wait -1
	s_and_saveexec_b32 s0, s80
	s_cbranch_execz .LBB187_100
; %bb.99:                               ;   in Loop: Header=BB187_3 Depth=1
	ds_load_b128 v[42:45], v57
	ds_load_b128 v[72:75], v56 offset:4224
	s_wait_dscnt 0x0
	v_mul_f64_e32 v[2:3], v[44:45], v[74:75]
	v_mul_f64_e32 v[74:75], v[42:43], v[74:75]
	s_delay_alu instid0(VALU_DEP_2) | instskip(NEXT) | instid1(VALU_DEP_2)
	v_fma_f64 v[2:3], v[42:43], v[72:73], -v[2:3]
	v_fmac_f64_e32 v[74:75], v[44:45], v[72:73]
	s_delay_alu instid0(VALU_DEP_2) | instskip(NEXT) | instid1(VALU_DEP_2)
	v_add_f64_e32 v[12:13], v[12:13], v[2:3]
	v_add_f64_e32 v[14:15], v[14:15], v[74:75]
.LBB187_100:                            ;   in Loop: Header=BB187_3 Depth=1
	s_or_b32 exec_lo, exec_lo, s0
	s_barrier_signal -1
	s_barrier_wait -1
	s_and_saveexec_b32 s0, s81
; %bb.101:                              ;   in Loop: Header=BB187_3 Depth=1
	ds_store_b128 v57, v[12:15]
; %bb.102:                              ;   in Loop: Header=BB187_3 Depth=1
	s_or_b32 exec_lo, exec_lo, s0
	s_wait_dscnt 0x0
	s_barrier_signal -1
	s_barrier_wait -1
	s_and_saveexec_b32 s0, s82
	s_cbranch_execz .LBB187_104
; %bb.103:                              ;   in Loop: Header=BB187_3 Depth=1
	ds_load_b128 v[42:45], v57
	ds_load_b128 v[72:75], v56 offset:4736
	s_wait_dscnt 0x0
	v_mul_f64_e32 v[2:3], v[44:45], v[74:75]
	v_mul_f64_e32 v[74:75], v[42:43], v[74:75]
	s_delay_alu instid0(VALU_DEP_2) | instskip(NEXT) | instid1(VALU_DEP_2)
	v_fma_f64 v[2:3], v[42:43], v[72:73], -v[2:3]
	v_fmac_f64_e32 v[74:75], v[44:45], v[72:73]
	s_delay_alu instid0(VALU_DEP_2) | instskip(NEXT) | instid1(VALU_DEP_2)
	v_add_f64_e32 v[12:13], v[12:13], v[2:3]
	v_add_f64_e32 v[14:15], v[14:15], v[74:75]
.LBB187_104:                            ;   in Loop: Header=BB187_3 Depth=1
	s_or_b32 exec_lo, exec_lo, s0
	s_barrier_signal -1
	s_barrier_wait -1
	s_and_saveexec_b32 s0, s83
; %bb.105:                              ;   in Loop: Header=BB187_3 Depth=1
	ds_store_b128 v57, v[12:15]
; %bb.106:                              ;   in Loop: Header=BB187_3 Depth=1
	s_or_b32 exec_lo, exec_lo, s0
	s_wait_dscnt 0x0
	s_barrier_signal -1
	s_barrier_wait -1
	s_and_saveexec_b32 s0, s84
	s_cbranch_execz .LBB187_108
; %bb.107:                              ;   in Loop: Header=BB187_3 Depth=1
	ds_load_b128 v[42:45], v57
	ds_load_b128 v[72:75], v56 offset:5248
	s_wait_dscnt 0x0
	v_mul_f64_e32 v[2:3], v[44:45], v[74:75]
	v_mul_f64_e32 v[74:75], v[42:43], v[74:75]
	s_delay_alu instid0(VALU_DEP_2) | instskip(NEXT) | instid1(VALU_DEP_2)
	v_fma_f64 v[2:3], v[42:43], v[72:73], -v[2:3]
	v_fmac_f64_e32 v[74:75], v[44:45], v[72:73]
	s_delay_alu instid0(VALU_DEP_2) | instskip(NEXT) | instid1(VALU_DEP_2)
	v_add_f64_e32 v[12:13], v[12:13], v[2:3]
	v_add_f64_e32 v[14:15], v[14:15], v[74:75]
.LBB187_108:                            ;   in Loop: Header=BB187_3 Depth=1
	;; [unrolled: 26-line block ×6, first 2 shown]
	s_or_b32 exec_lo, exec_lo, s0
	s_barrier_signal -1
	s_barrier_wait -1
	s_and_saveexec_b32 s0, s92
; %bb.125:                              ;   in Loop: Header=BB187_3 Depth=1
	ds_store_b128 v57, v[12:15]
; %bb.126:                              ;   in Loop: Header=BB187_3 Depth=1
	s_or_b32 exec_lo, exec_lo, s0
	s_wait_dscnt 0x0
	s_barrier_signal -1
	s_barrier_wait -1
	s_barrier_signal -1
	s_barrier_wait -1
	s_and_saveexec_b32 s0, s8
; %bb.127:                              ;   in Loop: Header=BB187_3 Depth=1
	v_xor_b32_e32 v13, 0x80000000, v13
	v_xor_b32_e32 v15, 0x80000000, v15
	ds_store_b128 v58, v[12:15] offset:128
; %bb.128:                              ;   in Loop: Header=BB187_3 Depth=1
	s_or_b32 exec_lo, exec_lo, s0
	s_wait_dscnt 0x0
	s_barrier_signal -1
	s_barrier_wait -1
	s_barrier_signal -1
	s_barrier_wait -1
	s_and_saveexec_b32 s0, s29
	s_cbranch_execz .LBB187_130
; %bb.129:                              ;   in Loop: Header=BB187_3 Depth=1
	s_mov_b32 s52, s39
	s_mov_b32 s54, s39
	;; [unrolled: 1-line block ×3, first 2 shown]
	v_mov_b64_e32 v[12:13], s[52:53]
	v_mov_b64_e32 v[14:15], s[54:55]
	ds_store_b128 v1, v[12:15] offset:4224
	ds_store_b128 v1, v[12:15] offset:4752
.LBB187_130:                            ;   in Loop: Header=BB187_3 Depth=1
	s_or_b32 exec_lo, exec_lo, s0
	v_mov_b64_e32 v[14:15], 0
	v_mov_b64_e32 v[12:13], 0
	s_wait_dscnt 0x0
	s_barrier_signal -1
	s_barrier_wait -1
	s_and_saveexec_b32 s0, s3
	s_cbranch_execz .LBB187_134
; %bb.131:                              ;   in Loop: Header=BB187_3 Depth=1
	ds_load_b128 v[12:15], v48 offset:4224
	ds_load_b128 v[42:45], v47 offset:4256
	s_wait_dscnt 0x0
	v_mul_f64_e32 v[2:3], v[14:15], v[44:45]
	v_mul_f64_e32 v[44:45], v[12:13], v[44:45]
	s_delay_alu instid0(VALU_DEP_2) | instskip(NEXT) | instid1(VALU_DEP_2)
	v_fma_f64 v[2:3], v[12:13], v[42:43], -v[2:3]
	v_fmac_f64_e32 v[44:45], v[14:15], v[42:43]
	s_delay_alu instid0(VALU_DEP_2) | instskip(NEXT) | instid1(VALU_DEP_2)
	v_add_f64_e32 v[12:13], 0, v[2:3]
	v_add_f64_e32 v[14:15], 0, v[44:45]
	s_and_saveexec_b32 s1, s4
	s_cbranch_execz .LBB187_133
; %bb.132:                              ;   in Loop: Header=BB187_3 Depth=1
	ds_load_b128 v[42:45], v1 offset:4240
	ds_load_b128 v[72:75], v49 offset:4768
	s_wait_dscnt 0x0
	v_mul_f64_e32 v[2:3], v[44:45], v[74:75]
	v_mul_f64_e32 v[74:75], v[42:43], v[74:75]
	s_delay_alu instid0(VALU_DEP_2) | instskip(NEXT) | instid1(VALU_DEP_2)
	v_fma_f64 v[2:3], v[42:43], v[72:73], -v[2:3]
	v_fmac_f64_e32 v[74:75], v[44:45], v[72:73]
	s_delay_alu instid0(VALU_DEP_2) | instskip(NEXT) | instid1(VALU_DEP_2)
	v_add_f64_e32 v[12:13], v[12:13], v[2:3]
	v_add_f64_e32 v[14:15], v[14:15], v[74:75]
.LBB187_133:                            ;   in Loop: Header=BB187_3 Depth=1
	s_or_b32 exec_lo, exec_lo, s1
	s_delay_alu instid0(VALU_DEP_2) | instskip(NEXT) | instid1(VALU_DEP_2)
	v_xor_b32_e32 v13, 0x80000000, v13
	v_xor_b32_e32 v15, 0x80000000, v15
.LBB187_134:                            ;   in Loop: Header=BB187_3 Depth=1
	s_or_b32 exec_lo, exec_lo, s0
	s_and_saveexec_b32 s0, s71
; %bb.135:                              ;   in Loop: Header=BB187_3 Depth=1
	ds_store_b128 v46, v[12:15]
; %bb.136:                              ;   in Loop: Header=BB187_3 Depth=1
	s_or_b32 exec_lo, exec_lo, s0
	s_wait_dscnt 0x0
	s_barrier_signal -1
	s_barrier_wait -1
	s_and_saveexec_b32 s0, s72
	s_cbranch_execz .LBB187_138
; %bb.137:                              ;   in Loop: Header=BB187_3 Depth=1
	ds_load_b128 v[42:45], v46
	ds_load_b128 v[72:75], v1 offset:5296
	s_wait_dscnt 0x0
	v_mul_f64_e32 v[2:3], v[44:45], v[74:75]
	v_mul_f64_e32 v[74:75], v[42:43], v[74:75]
	s_delay_alu instid0(VALU_DEP_2) | instskip(NEXT) | instid1(VALU_DEP_2)
	v_fma_f64 v[2:3], v[42:43], v[72:73], -v[2:3]
	v_fmac_f64_e32 v[74:75], v[44:45], v[72:73]
	s_delay_alu instid0(VALU_DEP_2) | instskip(NEXT) | instid1(VALU_DEP_2)
	v_add_f64_e32 v[12:13], v[12:13], v[2:3]
	v_add_f64_e32 v[14:15], v[14:15], v[74:75]
.LBB187_138:                            ;   in Loop: Header=BB187_3 Depth=1
	s_or_b32 exec_lo, exec_lo, s0
	s_barrier_signal -1
	s_barrier_wait -1
	s_and_saveexec_b32 s0, s72
; %bb.139:                              ;   in Loop: Header=BB187_3 Depth=1
	ds_store_b128 v46, v[12:15]
; %bb.140:                              ;   in Loop: Header=BB187_3 Depth=1
	s_or_b32 exec_lo, exec_lo, s0
	s_wait_dscnt 0x0
	s_barrier_signal -1
	s_barrier_wait -1
	s_barrier_signal -1
	s_barrier_wait -1
	s_and_saveexec_b32 s0, s3
; %bb.141:                              ;   in Loop: Header=BB187_3 Depth=1
	v_xor_b32_e32 v13, 0x80000000, v13
	v_xor_b32_e32 v15, 0x80000000, v15
	ds_store_b128 v47, v[12:15] offset:4256
; %bb.142:                              ;   in Loop: Header=BB187_3 Depth=1
	s_or_b32 exec_lo, exec_lo, s0
	s_wait_dscnt 0x0
	s_barrier_signal -1
	s_barrier_wait -1
	s_barrier_signal -1
	s_barrier_wait -1
	s_and_saveexec_b32 s0, s29
	s_cbranch_execz .LBB187_144
; %bb.143:                              ;   in Loop: Header=BB187_3 Depth=1
	s_mov_b32 s52, s39
	s_mov_b32 s54, s39
	;; [unrolled: 1-line block ×3, first 2 shown]
	v_mov_b64_e32 v[12:13], s[52:53]
	v_mov_b64_e32 v[14:15], s[54:55]
	ds_store_b128 v1, v[12:15] offset:5280
	ds_store_b128 v1, v[12:15] offset:5808
.LBB187_144:                            ;   in Loop: Header=BB187_3 Depth=1
	s_or_b32 exec_lo, exec_lo, s0
	v_mov_b64_e32 v[14:15], 0
	v_mov_b64_e32 v[12:13], 0
	s_wait_dscnt 0x0
	s_barrier_signal -1
	s_barrier_wait -1
	s_and_saveexec_b32 s0, s5
	s_cbranch_execz .LBB187_150
; %bb.145:                              ;   in Loop: Header=BB187_3 Depth=1
	ds_load_b128 v[12:15], v51 offset:4224
	ds_load_b128 v[42:45], v53 offset:4288
	s_wait_dscnt 0x0
	v_mul_f64_e32 v[2:3], v[14:15], v[44:45]
	v_mul_f64_e32 v[44:45], v[12:13], v[44:45]
	s_delay_alu instid0(VALU_DEP_2) | instskip(NEXT) | instid1(VALU_DEP_2)
	v_fma_f64 v[2:3], v[12:13], v[42:43], -v[2:3]
	v_fmac_f64_e32 v[44:45], v[14:15], v[42:43]
	s_delay_alu instid0(VALU_DEP_2) | instskip(NEXT) | instid1(VALU_DEP_2)
	v_add_f64_e32 v[12:13], 0, v[2:3]
	v_add_f64_e32 v[14:15], 0, v[44:45]
	s_and_saveexec_b32 s1, s6
	s_cbranch_execnz .LBB187_500
; %bb.146:                              ;   in Loop: Header=BB187_3 Depth=1
	s_or_b32 exec_lo, exec_lo, s1
	s_and_saveexec_b32 s1, s7
	s_cbranch_execnz .LBB187_501
.LBB187_147:                            ;   in Loop: Header=BB187_3 Depth=1
	s_or_b32 exec_lo, exec_lo, s1
	s_and_saveexec_b32 s1, s3
	s_cbranch_execz .LBB187_149
.LBB187_148:                            ;   in Loop: Header=BB187_3 Depth=1
	ds_load_b128 v[42:45], v1 offset:4272
	ds_load_b128 v[72:75], v49 offset:5824
	s_wait_dscnt 0x0
	v_mul_f64_e32 v[2:3], v[44:45], v[74:75]
	v_mul_f64_e32 v[74:75], v[42:43], v[74:75]
	s_delay_alu instid0(VALU_DEP_2) | instskip(NEXT) | instid1(VALU_DEP_2)
	v_fma_f64 v[2:3], v[42:43], v[72:73], -v[2:3]
	v_fmac_f64_e32 v[74:75], v[44:45], v[72:73]
	s_delay_alu instid0(VALU_DEP_2) | instskip(NEXT) | instid1(VALU_DEP_2)
	v_add_f64_e32 v[12:13], v[12:13], v[2:3]
	v_add_f64_e32 v[14:15], v[14:15], v[74:75]
.LBB187_149:                            ;   in Loop: Header=BB187_3 Depth=1
	s_or_b32 exec_lo, exec_lo, s1
	s_delay_alu instid0(VALU_DEP_2) | instskip(NEXT) | instid1(VALU_DEP_2)
	v_xor_b32_e32 v13, 0x80000000, v13
	v_xor_b32_e32 v15, 0x80000000, v15
.LBB187_150:                            ;   in Loop: Header=BB187_3 Depth=1
	s_or_b32 exec_lo, exec_lo, s0
	s_and_saveexec_b32 s0, s73
; %bb.151:                              ;   in Loop: Header=BB187_3 Depth=1
	ds_store_b128 v52, v[12:15]
; %bb.152:                              ;   in Loop: Header=BB187_3 Depth=1
	s_or_b32 exec_lo, exec_lo, s0
	s_wait_dscnt 0x0
	s_barrier_signal -1
	s_barrier_wait -1
	s_and_saveexec_b32 s0, s74
	s_cbranch_execz .LBB187_154
; %bb.153:                              ;   in Loop: Header=BB187_3 Depth=1
	ds_load_b128 v[42:45], v52
	ds_load_b128 v[72:75], v50 offset:6336
	s_wait_dscnt 0x0
	v_mul_f64_e32 v[2:3], v[44:45], v[74:75]
	v_mul_f64_e32 v[74:75], v[42:43], v[74:75]
	s_delay_alu instid0(VALU_DEP_2) | instskip(NEXT) | instid1(VALU_DEP_2)
	v_fma_f64 v[2:3], v[42:43], v[72:73], -v[2:3]
	v_fmac_f64_e32 v[74:75], v[44:45], v[72:73]
	s_delay_alu instid0(VALU_DEP_2) | instskip(NEXT) | instid1(VALU_DEP_2)
	v_add_f64_e32 v[12:13], v[12:13], v[2:3]
	v_add_f64_e32 v[14:15], v[14:15], v[74:75]
.LBB187_154:                            ;   in Loop: Header=BB187_3 Depth=1
	s_or_b32 exec_lo, exec_lo, s0
	s_barrier_signal -1
	s_barrier_wait -1
	s_and_saveexec_b32 s0, s75
; %bb.155:                              ;   in Loop: Header=BB187_3 Depth=1
	ds_store_b128 v52, v[12:15]
; %bb.156:                              ;   in Loop: Header=BB187_3 Depth=1
	s_or_b32 exec_lo, exec_lo, s0
	s_wait_dscnt 0x0
	s_barrier_signal -1
	s_barrier_wait -1
	s_and_saveexec_b32 s0, s76
	s_cbranch_execz .LBB187_158
; %bb.157:                              ;   in Loop: Header=BB187_3 Depth=1
	ds_load_b128 v[42:45], v52
	ds_load_b128 v[72:75], v50 offset:6848
	s_wait_dscnt 0x0
	v_mul_f64_e32 v[2:3], v[44:45], v[74:75]
	v_mul_f64_e32 v[74:75], v[42:43], v[74:75]
	s_delay_alu instid0(VALU_DEP_2) | instskip(NEXT) | instid1(VALU_DEP_2)
	v_fma_f64 v[2:3], v[42:43], v[72:73], -v[2:3]
	v_fmac_f64_e32 v[74:75], v[44:45], v[72:73]
	s_delay_alu instid0(VALU_DEP_2) | instskip(NEXT) | instid1(VALU_DEP_2)
	v_add_f64_e32 v[12:13], v[12:13], v[2:3]
	v_add_f64_e32 v[14:15], v[14:15], v[74:75]
.LBB187_158:                            ;   in Loop: Header=BB187_3 Depth=1
	s_or_b32 exec_lo, exec_lo, s0
	s_barrier_signal -1
	s_barrier_wait -1
	;; [unrolled: 26-line block ×3, first 2 shown]
	s_and_saveexec_b32 s0, s78
; %bb.163:                              ;   in Loop: Header=BB187_3 Depth=1
	ds_store_b128 v52, v[12:15]
; %bb.164:                              ;   in Loop: Header=BB187_3 Depth=1
	s_or_b32 exec_lo, exec_lo, s0
	s_wait_dscnt 0x0
	s_barrier_signal -1
	s_barrier_wait -1
	s_barrier_signal -1
	s_barrier_wait -1
	s_and_saveexec_b32 s0, s5
; %bb.165:                              ;   in Loop: Header=BB187_3 Depth=1
	v_xor_b32_e32 v15, 0x80000000, v15
	v_xor_b32_e32 v13, 0x80000000, v13
	ds_store_b128 v53, v[12:15] offset:4288
; %bb.166:                              ;   in Loop: Header=BB187_3 Depth=1
	s_or_b32 exec_lo, exec_lo, s0
	s_wait_dscnt 0x0
	s_barrier_signal -1
	s_barrier_wait -1
	s_barrier_signal -1
	s_barrier_wait -1
	s_and_saveexec_b32 s0, s29
	s_cbranch_execz .LBB187_168
; %bb.167:                              ;   in Loop: Header=BB187_3 Depth=1
	s_mov_b32 s52, s39
	s_mov_b32 s54, s39
	;; [unrolled: 1-line block ×3, first 2 shown]
	v_mov_b64_e32 v[12:13], s[52:53]
	v_mov_b64_e32 v[14:15], s[54:55]
	ds_store_b128 v1, v[12:15] offset:6336
	ds_store_b128 v1, v[12:15] offset:6864
.LBB187_168:                            ;   in Loop: Header=BB187_3 Depth=1
	s_or_b32 exec_lo, exec_lo, s0
	v_mov_b64_e32 v[14:15], 0
	v_mov_b64_e32 v[12:13], 0
	s_wait_dscnt 0x0
	s_barrier_signal -1
	s_barrier_wait -1
	s_and_saveexec_b32 s0, s3
	s_cbranch_execz .LBB187_172
; %bb.169:                              ;   in Loop: Header=BB187_3 Depth=1
	ds_load_b128 v[12:15], v48 offset:6336
	ds_load_b128 v[42:45], v47 offset:6368
	s_wait_dscnt 0x0
	v_mul_f64_e32 v[2:3], v[14:15], v[44:45]
	v_mul_f64_e32 v[44:45], v[12:13], v[44:45]
	s_delay_alu instid0(VALU_DEP_2) | instskip(NEXT) | instid1(VALU_DEP_2)
	v_fma_f64 v[2:3], v[12:13], v[42:43], -v[2:3]
	v_fmac_f64_e32 v[44:45], v[14:15], v[42:43]
	s_delay_alu instid0(VALU_DEP_2) | instskip(NEXT) | instid1(VALU_DEP_2)
	v_add_f64_e32 v[12:13], 0, v[2:3]
	v_add_f64_e32 v[14:15], 0, v[44:45]
	s_and_saveexec_b32 s1, s4
	s_cbranch_execz .LBB187_171
; %bb.170:                              ;   in Loop: Header=BB187_3 Depth=1
	ds_load_b128 v[42:45], v1 offset:6352
	ds_load_b128 v[72:75], v49 offset:6880
	s_wait_dscnt 0x0
	v_mul_f64_e32 v[2:3], v[44:45], v[74:75]
	v_mul_f64_e32 v[74:75], v[42:43], v[74:75]
	s_delay_alu instid0(VALU_DEP_2) | instskip(NEXT) | instid1(VALU_DEP_2)
	v_fma_f64 v[2:3], v[42:43], v[72:73], -v[2:3]
	v_fmac_f64_e32 v[74:75], v[44:45], v[72:73]
	s_delay_alu instid0(VALU_DEP_2) | instskip(NEXT) | instid1(VALU_DEP_2)
	v_add_f64_e32 v[12:13], v[12:13], v[2:3]
	v_add_f64_e32 v[14:15], v[14:15], v[74:75]
.LBB187_171:                            ;   in Loop: Header=BB187_3 Depth=1
	s_or_b32 exec_lo, exec_lo, s1
	s_delay_alu instid0(VALU_DEP_2) | instskip(NEXT) | instid1(VALU_DEP_2)
	v_xor_b32_e32 v13, 0x80000000, v13
	v_xor_b32_e32 v15, 0x80000000, v15
.LBB187_172:                            ;   in Loop: Header=BB187_3 Depth=1
	s_or_b32 exec_lo, exec_lo, s0
	s_and_saveexec_b32 s0, s71
; %bb.173:                              ;   in Loop: Header=BB187_3 Depth=1
	ds_store_b128 v46, v[12:15]
; %bb.174:                              ;   in Loop: Header=BB187_3 Depth=1
	s_or_b32 exec_lo, exec_lo, s0
	s_wait_dscnt 0x0
	s_barrier_signal -1
	s_barrier_wait -1
	s_and_saveexec_b32 s0, s72
	s_cbranch_execz .LBB187_176
; %bb.175:                              ;   in Loop: Header=BB187_3 Depth=1
	ds_load_b128 v[42:45], v46
	ds_load_b128 v[72:75], v1 offset:7408
	s_wait_dscnt 0x0
	v_mul_f64_e32 v[2:3], v[44:45], v[74:75]
	v_mul_f64_e32 v[74:75], v[42:43], v[74:75]
	s_delay_alu instid0(VALU_DEP_2) | instskip(NEXT) | instid1(VALU_DEP_2)
	v_fma_f64 v[2:3], v[42:43], v[72:73], -v[2:3]
	v_fmac_f64_e32 v[74:75], v[44:45], v[72:73]
	s_delay_alu instid0(VALU_DEP_2) | instskip(NEXT) | instid1(VALU_DEP_2)
	v_add_f64_e32 v[12:13], v[12:13], v[2:3]
	v_add_f64_e32 v[14:15], v[14:15], v[74:75]
.LBB187_176:                            ;   in Loop: Header=BB187_3 Depth=1
	s_or_b32 exec_lo, exec_lo, s0
	s_barrier_signal -1
	s_barrier_wait -1
	s_and_saveexec_b32 s0, s72
; %bb.177:                              ;   in Loop: Header=BB187_3 Depth=1
	ds_store_b128 v46, v[12:15]
; %bb.178:                              ;   in Loop: Header=BB187_3 Depth=1
	s_or_b32 exec_lo, exec_lo, s0
	s_wait_dscnt 0x0
	s_barrier_signal -1
	s_barrier_wait -1
	s_barrier_signal -1
	s_barrier_wait -1
	s_and_saveexec_b32 s0, s3
; %bb.179:                              ;   in Loop: Header=BB187_3 Depth=1
	v_xor_b32_e32 v13, 0x80000000, v13
	v_xor_b32_e32 v15, 0x80000000, v15
	ds_store_b128 v47, v[12:15] offset:6368
; %bb.180:                              ;   in Loop: Header=BB187_3 Depth=1
	s_or_b32 exec_lo, exec_lo, s0
	s_wait_dscnt 0x0
	s_barrier_signal -1
	s_barrier_wait -1
	s_barrier_signal -1
	s_barrier_wait -1
	s_and_saveexec_b32 s0, s29
	s_cbranch_execz .LBB187_182
; %bb.181:                              ;   in Loop: Header=BB187_3 Depth=1
	s_mov_b32 s52, s39
	s_mov_b32 s54, s39
	;; [unrolled: 1-line block ×3, first 2 shown]
	v_mov_b64_e32 v[12:13], s[52:53]
	v_mov_b64_e32 v[14:15], s[54:55]
	ds_store_b128 v1, v[12:15] offset:7392
	ds_store_b128 v1, v[12:15] offset:7920
.LBB187_182:                            ;   in Loop: Header=BB187_3 Depth=1
	s_or_b32 exec_lo, exec_lo, s0
	v_mov_b64_e32 v[14:15], 0
	v_mov_b64_e32 v[12:13], 0
	s_wait_dscnt 0x0
	s_barrier_signal -1
	s_barrier_wait -1
	s_and_saveexec_b32 s0, s14
	s_cbranch_execz .LBB187_210
; %bb.183:                              ;   in Loop: Header=BB187_3 Depth=1
	v_add_nc_u32_e32 v0, v61, v60
	v_readlane_b32 s26, v80, 3
	ds_load_b128 v[12:15], v64 offset:256
	ds_load_b128 v[42:45], v0
	s_wait_dscnt 0x0
	v_mul_f64_e32 v[2:3], v[44:45], v[14:15]
	v_mul_f64_e32 v[14:15], v[42:43], v[14:15]
	s_delay_alu instid0(VALU_DEP_2) | instskip(NEXT) | instid1(VALU_DEP_2)
	v_fma_f64 v[2:3], v[42:43], v[12:13], -v[2:3]
	v_fmac_f64_e32 v[14:15], v[44:45], v[12:13]
	s_delay_alu instid0(VALU_DEP_2) | instskip(NEXT) | instid1(VALU_DEP_2)
	v_add_f64_e32 v[12:13], 0, v[2:3]
	v_add_f64_e32 v[14:15], 0, v[14:15]
	s_and_saveexec_b32 s1, s26
	s_cbranch_execz .LBB187_185
; %bb.184:                              ;   in Loop: Header=BB187_3 Depth=1
	ds_load_b128 v[42:45], v0 offset:16
	ds_load_b128 v[72:75], v64 offset:768
	s_wait_dscnt 0x0
	v_mul_f64_e32 v[2:3], v[44:45], v[74:75]
	v_mul_f64_e32 v[74:75], v[42:43], v[74:75]
	s_delay_alu instid0(VALU_DEP_2) | instskip(NEXT) | instid1(VALU_DEP_2)
	v_fma_f64 v[2:3], v[42:43], v[72:73], -v[2:3]
	v_fmac_f64_e32 v[74:75], v[44:45], v[72:73]
	s_delay_alu instid0(VALU_DEP_2) | instskip(NEXT) | instid1(VALU_DEP_2)
	v_add_f64_e32 v[12:13], v[12:13], v[2:3]
	v_add_f64_e32 v[14:15], v[14:15], v[74:75]
.LBB187_185:                            ;   in Loop: Header=BB187_3 Depth=1
	s_or_b32 exec_lo, exec_lo, s1
	v_readlane_b32 s26, v80, 4
	s_and_saveexec_b32 s1, s26
	s_cbranch_execz .LBB187_187
; %bb.186:                              ;   in Loop: Header=BB187_3 Depth=1
	ds_load_b128 v[42:45], v0 offset:32
	ds_load_b128 v[72:75], v64 offset:1280
	s_wait_dscnt 0x0
	v_mul_f64_e32 v[2:3], v[44:45], v[74:75]
	v_mul_f64_e32 v[74:75], v[42:43], v[74:75]
	s_delay_alu instid0(VALU_DEP_2) | instskip(NEXT) | instid1(VALU_DEP_2)
	v_fma_f64 v[2:3], v[42:43], v[72:73], -v[2:3]
	v_fmac_f64_e32 v[74:75], v[44:45], v[72:73]
	s_delay_alu instid0(VALU_DEP_2) | instskip(NEXT) | instid1(VALU_DEP_2)
	v_add_f64_e32 v[12:13], v[12:13], v[2:3]
	v_add_f64_e32 v[14:15], v[14:15], v[74:75]
.LBB187_187:                            ;   in Loop: Header=BB187_3 Depth=1
	s_or_b32 exec_lo, exec_lo, s1
	v_readlane_b32 s26, v80, 5
	;; [unrolled: 17-line block ×10, first 2 shown]
	s_and_saveexec_b32 s1, s26
	s_cbranch_execnz .LBB187_502
; %bb.204:                              ;   in Loop: Header=BB187_3 Depth=1
	s_or_b32 exec_lo, exec_lo, s1
	s_and_saveexec_b32 s1, s8
	s_cbranch_execnz .LBB187_503
.LBB187_205:                            ;   in Loop: Header=BB187_3 Depth=1
	s_or_b32 exec_lo, exec_lo, s1
	s_and_saveexec_b32 s1, s10
	s_cbranch_execnz .LBB187_504
.LBB187_206:                            ;   in Loop: Header=BB187_3 Depth=1
	s_or_b32 exec_lo, exec_lo, s1
	s_and_saveexec_b32 s1, s12
	s_cbranch_execnz .LBB187_505
.LBB187_207:                            ;   in Loop: Header=BB187_3 Depth=1
	s_or_b32 exec_lo, exec_lo, s1
	s_and_saveexec_b32 s1, s5
	s_cbranch_execz .LBB187_209
.LBB187_208:                            ;   in Loop: Header=BB187_3 Depth=1
	ds_load_b128 v[42:45], v1 offset:240
	ds_load_b128 v[72:75], v49 offset:7936
	s_wait_dscnt 0x0
	v_mul_f64_e32 v[2:3], v[44:45], v[74:75]
	v_mul_f64_e32 v[74:75], v[42:43], v[74:75]
	s_delay_alu instid0(VALU_DEP_2) | instskip(NEXT) | instid1(VALU_DEP_2)
	v_fma_f64 v[2:3], v[42:43], v[72:73], -v[2:3]
	v_fmac_f64_e32 v[74:75], v[44:45], v[72:73]
	s_delay_alu instid0(VALU_DEP_2) | instskip(NEXT) | instid1(VALU_DEP_2)
	v_add_f64_e32 v[12:13], v[12:13], v[2:3]
	v_add_f64_e32 v[14:15], v[14:15], v[74:75]
.LBB187_209:                            ;   in Loop: Header=BB187_3 Depth=1
	s_or_b32 exec_lo, exec_lo, s1
	s_delay_alu instid0(VALU_DEP_2) | instskip(NEXT) | instid1(VALU_DEP_2)
	v_xor_b32_e32 v13, 0x80000000, v13
	v_xor_b32_e32 v15, 0x80000000, v15
.LBB187_210:                            ;   in Loop: Header=BB187_3 Depth=1
	s_or_b32 exec_lo, exec_lo, s0
	s_delay_alu instid0(SALU_CYCLE_1) | instskip(SKIP_2) | instid1(SALU_CYCLE_1)
	s_mov_b32 s0, exec_lo
	v_readlane_b32 s1, v80, 9
	s_and_b32 s1, s0, s1
	s_mov_b32 exec_lo, s1
; %bb.211:                              ;   in Loop: Header=BB187_3 Depth=1
	ds_store_b128 v63, v[12:15]
; %bb.212:                              ;   in Loop: Header=BB187_3 Depth=1
	s_or_b32 exec_lo, exec_lo, s0
	s_wait_dscnt 0x0
	s_barrier_signal -1
	s_barrier_wait -1
	s_mov_b32 s0, exec_lo
	v_readlane_b32 s1, v80, 10
	s_and_b32 s1, s0, s1
	s_delay_alu instid0(SALU_CYCLE_1)
	s_mov_b32 exec_lo, s1
	s_cbranch_execz .LBB187_214
; %bb.213:                              ;   in Loop: Header=BB187_3 Depth=1
	ds_load_b128 v[42:45], v63
	ds_load_b128 v[72:75], v62 offset:8448
	s_wait_dscnt 0x0
	v_mul_f64_e32 v[2:3], v[44:45], v[74:75]
	v_mul_f64_e32 v[74:75], v[42:43], v[74:75]
	s_delay_alu instid0(VALU_DEP_2) | instskip(NEXT) | instid1(VALU_DEP_2)
	v_fma_f64 v[2:3], v[42:43], v[72:73], -v[2:3]
	v_fmac_f64_e32 v[74:75], v[44:45], v[72:73]
	s_delay_alu instid0(VALU_DEP_2) | instskip(NEXT) | instid1(VALU_DEP_2)
	v_add_f64_e32 v[12:13], v[12:13], v[2:3]
	v_add_f64_e32 v[14:15], v[14:15], v[74:75]
.LBB187_214:                            ;   in Loop: Header=BB187_3 Depth=1
	s_or_b32 exec_lo, exec_lo, s0
	s_barrier_signal -1
	s_barrier_wait -1
	s_mov_b32 s0, exec_lo
	v_readlane_b32 s1, v80, 11
	s_and_b32 s1, s0, s1
	s_delay_alu instid0(SALU_CYCLE_1)
	s_mov_b32 exec_lo, s1
; %bb.215:                              ;   in Loop: Header=BB187_3 Depth=1
	ds_store_b128 v63, v[12:15]
; %bb.216:                              ;   in Loop: Header=BB187_3 Depth=1
	s_or_b32 exec_lo, exec_lo, s0
	s_wait_dscnt 0x0
	s_barrier_signal -1
	s_barrier_wait -1
	s_mov_b32 s0, exec_lo
	v_readlane_b32 s1, v80, 12
	s_and_b32 s1, s0, s1
	s_delay_alu instid0(SALU_CYCLE_1)
	s_mov_b32 exec_lo, s1
	s_cbranch_execz .LBB187_218
; %bb.217:                              ;   in Loop: Header=BB187_3 Depth=1
	ds_load_b128 v[42:45], v63
	ds_load_b128 v[72:75], v62 offset:8960
	s_wait_dscnt 0x0
	v_mul_f64_e32 v[2:3], v[44:45], v[74:75]
	v_mul_f64_e32 v[74:75], v[42:43], v[74:75]
	s_delay_alu instid0(VALU_DEP_2) | instskip(NEXT) | instid1(VALU_DEP_2)
	v_fma_f64 v[2:3], v[42:43], v[72:73], -v[2:3]
	v_fmac_f64_e32 v[74:75], v[44:45], v[72:73]
	s_delay_alu instid0(VALU_DEP_2) | instskip(NEXT) | instid1(VALU_DEP_2)
	v_add_f64_e32 v[12:13], v[12:13], v[2:3]
	v_add_f64_e32 v[14:15], v[14:15], v[74:75]
.LBB187_218:                            ;   in Loop: Header=BB187_3 Depth=1
	s_or_b32 exec_lo, exec_lo, s0
	s_barrier_signal -1
	s_barrier_wait -1
	s_mov_b32 s0, exec_lo
	v_readlane_b32 s1, v80, 13
	s_and_b32 s1, s0, s1
	s_delay_alu instid0(SALU_CYCLE_1)
	;; [unrolled: 34-line block ×5, first 2 shown]
	s_mov_b32 exec_lo, s1
; %bb.231:                              ;   in Loop: Header=BB187_3 Depth=1
	ds_store_b128 v63, v[12:15]
; %bb.232:                              ;   in Loop: Header=BB187_3 Depth=1
	s_or_b32 exec_lo, exec_lo, s0
	s_wait_dscnt 0x0
	s_barrier_signal -1
	s_barrier_wait -1
	s_mov_b32 s0, exec_lo
	v_readlane_b32 s1, v80, 20
	s_and_b32 s1, s0, s1
	s_delay_alu instid0(SALU_CYCLE_1)
	s_mov_b32 exec_lo, s1
	s_cbranch_execz .LBB187_234
; %bb.233:                              ;   in Loop: Header=BB187_3 Depth=1
	ds_load_b128 v[42:45], v63
	ds_load_b128 v[72:75], v62 offset:11008
	s_wait_dscnt 0x0
	v_mul_f64_e32 v[2:3], v[44:45], v[74:75]
	v_mul_f64_e32 v[74:75], v[42:43], v[74:75]
	s_delay_alu instid0(VALU_DEP_2) | instskip(NEXT) | instid1(VALU_DEP_2)
	v_fma_f64 v[2:3], v[42:43], v[72:73], -v[2:3]
	v_fmac_f64_e32 v[74:75], v[44:45], v[72:73]
	s_delay_alu instid0(VALU_DEP_2) | instskip(NEXT) | instid1(VALU_DEP_2)
	v_add_f64_e32 v[12:13], v[12:13], v[2:3]
	v_add_f64_e32 v[14:15], v[14:15], v[74:75]
.LBB187_234:                            ;   in Loop: Header=BB187_3 Depth=1
	s_or_b32 exec_lo, exec_lo, s0
	s_barrier_signal -1
	s_barrier_wait -1
	s_and_saveexec_b32 s0, vcc_hi
; %bb.235:                              ;   in Loop: Header=BB187_3 Depth=1
	ds_store_b128 v63, v[12:15]
; %bb.236:                              ;   in Loop: Header=BB187_3 Depth=1
	s_or_b32 exec_lo, exec_lo, s0
	s_wait_dscnt 0x0
	s_barrier_signal -1
	s_barrier_wait -1
	s_and_saveexec_b32 s0, s15
	s_cbranch_execz .LBB187_238
; %bb.237:                              ;   in Loop: Header=BB187_3 Depth=1
	ds_load_b128 v[42:45], v63
	ds_load_b128 v[72:75], v62 offset:11520
	s_wait_dscnt 0x0
	v_mul_f64_e32 v[2:3], v[44:45], v[74:75]
	v_mul_f64_e32 v[74:75], v[42:43], v[74:75]
	s_delay_alu instid0(VALU_DEP_2) | instskip(NEXT) | instid1(VALU_DEP_2)
	v_fma_f64 v[2:3], v[42:43], v[72:73], -v[2:3]
	v_fmac_f64_e32 v[74:75], v[44:45], v[72:73]
	s_delay_alu instid0(VALU_DEP_2) | instskip(NEXT) | instid1(VALU_DEP_2)
	v_add_f64_e32 v[12:13], v[12:13], v[2:3]
	v_add_f64_e32 v[14:15], v[14:15], v[74:75]
.LBB187_238:                            ;   in Loop: Header=BB187_3 Depth=1
	s_or_b32 exec_lo, exec_lo, s0
	s_barrier_signal -1
	s_barrier_wait -1
	s_and_saveexec_b32 s0, s16
; %bb.239:                              ;   in Loop: Header=BB187_3 Depth=1
	ds_store_b128 v63, v[12:15]
; %bb.240:                              ;   in Loop: Header=BB187_3 Depth=1
	s_or_b32 exec_lo, exec_lo, s0
	s_wait_dscnt 0x0
	s_barrier_signal -1
	s_barrier_wait -1
	s_and_saveexec_b32 s0, s17
	s_cbranch_execz .LBB187_242
; %bb.241:                              ;   in Loop: Header=BB187_3 Depth=1
	ds_load_b128 v[42:45], v63
	ds_load_b128 v[72:75], v62 offset:12032
	s_wait_dscnt 0x0
	v_mul_f64_e32 v[2:3], v[44:45], v[74:75]
	v_mul_f64_e32 v[74:75], v[42:43], v[74:75]
	s_delay_alu instid0(VALU_DEP_2) | instskip(NEXT) | instid1(VALU_DEP_2)
	v_fma_f64 v[2:3], v[42:43], v[72:73], -v[2:3]
	v_fmac_f64_e32 v[74:75], v[44:45], v[72:73]
	s_delay_alu instid0(VALU_DEP_2) | instskip(NEXT) | instid1(VALU_DEP_2)
	v_add_f64_e32 v[12:13], v[12:13], v[2:3]
	v_add_f64_e32 v[14:15], v[14:15], v[74:75]
.LBB187_242:                            ;   in Loop: Header=BB187_3 Depth=1
	s_or_b32 exec_lo, exec_lo, s0
	s_barrier_signal -1
	s_barrier_wait -1
	s_and_saveexec_b32 s0, s18
	;; [unrolled: 26-line block ×9, first 2 shown]
; %bb.271:                              ;   in Loop: Header=BB187_3 Depth=1
	ds_store_b128 v63, v[12:15]
; %bb.272:                              ;   in Loop: Header=BB187_3 Depth=1
	s_or_b32 exec_lo, exec_lo, s0
	s_wait_dscnt 0x0
	s_barrier_signal -1
	s_barrier_wait -1
	s_barrier_signal -1
	s_barrier_wait -1
	s_and_saveexec_b32 s0, s14
; %bb.273:                              ;   in Loop: Header=BB187_3 Depth=1
	v_xor_b32_e32 v15, 0x80000000, v15
	v_xor_b32_e32 v13, 0x80000000, v13
	ds_store_b128 v64, v[12:15] offset:256
; %bb.274:                              ;   in Loop: Header=BB187_3 Depth=1
	s_or_b32 exec_lo, exec_lo, s0
	s_wait_dscnt 0x0
	s_barrier_signal -1
	s_barrier_wait -1
	s_barrier_signal -1
	s_barrier_wait -1
	s_and_saveexec_b32 s0, s29
	s_cbranch_execz .LBB187_276
; %bb.275:                              ;   in Loop: Header=BB187_3 Depth=1
	s_mov_b32 s52, s39
	s_mov_b32 s54, s39
	s_mov_b32 s55, s39
	v_mov_b64_e32 v[12:13], s[52:53]
	v_mov_b64_e32 v[14:15], s[54:55]
	ds_store_b128 v1, v[12:15] offset:8448
	ds_store_b128 v1, v[12:15] offset:8976
.LBB187_276:                            ;   in Loop: Header=BB187_3 Depth=1
	s_or_b32 exec_lo, exec_lo, s0
	v_mov_b64_e32 v[14:15], 0
	v_mov_b64_e32 v[12:13], 0
	s_wait_dscnt 0x0
	s_barrier_signal -1
	s_barrier_wait -1
	s_and_saveexec_b32 s0, s3
	s_cbranch_execz .LBB187_280
; %bb.277:                              ;   in Loop: Header=BB187_3 Depth=1
	ds_load_b128 v[12:15], v48 offset:8448
	ds_load_b128 v[42:45], v47 offset:8480
	s_wait_dscnt 0x0
	v_mul_f64_e32 v[2:3], v[14:15], v[44:45]
	v_mul_f64_e32 v[44:45], v[12:13], v[44:45]
	s_delay_alu instid0(VALU_DEP_2) | instskip(NEXT) | instid1(VALU_DEP_2)
	v_fma_f64 v[2:3], v[12:13], v[42:43], -v[2:3]
	v_fmac_f64_e32 v[44:45], v[14:15], v[42:43]
	s_delay_alu instid0(VALU_DEP_2) | instskip(NEXT) | instid1(VALU_DEP_2)
	v_add_f64_e32 v[12:13], 0, v[2:3]
	v_add_f64_e32 v[14:15], 0, v[44:45]
	s_and_saveexec_b32 s1, s4
	s_cbranch_execz .LBB187_279
; %bb.278:                              ;   in Loop: Header=BB187_3 Depth=1
	ds_load_b128 v[42:45], v1 offset:8464
	ds_load_b128 v[72:75], v49 offset:8992
	s_wait_dscnt 0x0
	v_mul_f64_e32 v[2:3], v[44:45], v[74:75]
	v_mul_f64_e32 v[74:75], v[42:43], v[74:75]
	s_delay_alu instid0(VALU_DEP_2) | instskip(NEXT) | instid1(VALU_DEP_2)
	v_fma_f64 v[2:3], v[42:43], v[72:73], -v[2:3]
	v_fmac_f64_e32 v[74:75], v[44:45], v[72:73]
	s_delay_alu instid0(VALU_DEP_2) | instskip(NEXT) | instid1(VALU_DEP_2)
	v_add_f64_e32 v[12:13], v[12:13], v[2:3]
	v_add_f64_e32 v[14:15], v[14:15], v[74:75]
.LBB187_279:                            ;   in Loop: Header=BB187_3 Depth=1
	s_or_b32 exec_lo, exec_lo, s1
	s_delay_alu instid0(VALU_DEP_2) | instskip(NEXT) | instid1(VALU_DEP_2)
	v_xor_b32_e32 v13, 0x80000000, v13
	v_xor_b32_e32 v15, 0x80000000, v15
.LBB187_280:                            ;   in Loop: Header=BB187_3 Depth=1
	s_or_b32 exec_lo, exec_lo, s0
	s_and_saveexec_b32 s0, s71
; %bb.281:                              ;   in Loop: Header=BB187_3 Depth=1
	ds_store_b128 v46, v[12:15]
; %bb.282:                              ;   in Loop: Header=BB187_3 Depth=1
	s_or_b32 exec_lo, exec_lo, s0
	s_wait_dscnt 0x0
	s_barrier_signal -1
	s_barrier_wait -1
	s_and_saveexec_b32 s0, s72
	s_cbranch_execz .LBB187_284
; %bb.283:                              ;   in Loop: Header=BB187_3 Depth=1
	ds_load_b128 v[42:45], v46
	ds_load_b128 v[72:75], v1 offset:9520
	s_wait_dscnt 0x0
	v_mul_f64_e32 v[2:3], v[44:45], v[74:75]
	v_mul_f64_e32 v[74:75], v[42:43], v[74:75]
	s_delay_alu instid0(VALU_DEP_2) | instskip(NEXT) | instid1(VALU_DEP_2)
	v_fma_f64 v[2:3], v[42:43], v[72:73], -v[2:3]
	v_fmac_f64_e32 v[74:75], v[44:45], v[72:73]
	s_delay_alu instid0(VALU_DEP_2) | instskip(NEXT) | instid1(VALU_DEP_2)
	v_add_f64_e32 v[12:13], v[12:13], v[2:3]
	v_add_f64_e32 v[14:15], v[14:15], v[74:75]
.LBB187_284:                            ;   in Loop: Header=BB187_3 Depth=1
	s_or_b32 exec_lo, exec_lo, s0
	s_barrier_signal -1
	s_barrier_wait -1
	s_and_saveexec_b32 s0, s72
; %bb.285:                              ;   in Loop: Header=BB187_3 Depth=1
	ds_store_b128 v46, v[12:15]
; %bb.286:                              ;   in Loop: Header=BB187_3 Depth=1
	s_or_b32 exec_lo, exec_lo, s0
	s_wait_dscnt 0x0
	s_barrier_signal -1
	s_barrier_wait -1
	s_barrier_signal -1
	s_barrier_wait -1
	s_and_saveexec_b32 s0, s3
; %bb.287:                              ;   in Loop: Header=BB187_3 Depth=1
	v_xor_b32_e32 v13, 0x80000000, v13
	v_xor_b32_e32 v15, 0x80000000, v15
	ds_store_b128 v47, v[12:15] offset:8480
; %bb.288:                              ;   in Loop: Header=BB187_3 Depth=1
	s_or_b32 exec_lo, exec_lo, s0
	s_wait_dscnt 0x0
	s_barrier_signal -1
	s_barrier_wait -1
	s_barrier_signal -1
	s_barrier_wait -1
	s_and_saveexec_b32 s0, s29
	s_cbranch_execz .LBB187_290
; %bb.289:                              ;   in Loop: Header=BB187_3 Depth=1
	s_mov_b32 s52, s39
	s_mov_b32 s54, s39
	;; [unrolled: 1-line block ×3, first 2 shown]
	v_mov_b64_e32 v[12:13], s[52:53]
	v_mov_b64_e32 v[14:15], s[54:55]
	ds_store_b128 v1, v[12:15] offset:9504
	ds_store_b128 v1, v[12:15] offset:10032
.LBB187_290:                            ;   in Loop: Header=BB187_3 Depth=1
	s_or_b32 exec_lo, exec_lo, s0
	v_mov_b64_e32 v[14:15], 0
	v_mov_b64_e32 v[12:13], 0
	s_wait_dscnt 0x0
	s_barrier_signal -1
	s_barrier_wait -1
	s_and_saveexec_b32 s0, s5
	s_cbranch_execz .LBB187_296
; %bb.291:                              ;   in Loop: Header=BB187_3 Depth=1
	ds_load_b128 v[12:15], v51 offset:8448
	ds_load_b128 v[42:45], v53 offset:8512
	s_wait_dscnt 0x0
	v_mul_f64_e32 v[2:3], v[14:15], v[44:45]
	v_mul_f64_e32 v[44:45], v[12:13], v[44:45]
	s_delay_alu instid0(VALU_DEP_2) | instskip(NEXT) | instid1(VALU_DEP_2)
	v_fma_f64 v[2:3], v[12:13], v[42:43], -v[2:3]
	v_fmac_f64_e32 v[44:45], v[14:15], v[42:43]
	s_delay_alu instid0(VALU_DEP_2) | instskip(NEXT) | instid1(VALU_DEP_2)
	v_add_f64_e32 v[12:13], 0, v[2:3]
	v_add_f64_e32 v[14:15], 0, v[44:45]
	s_and_saveexec_b32 s1, s6
	s_cbranch_execnz .LBB187_506
; %bb.292:                              ;   in Loop: Header=BB187_3 Depth=1
	s_or_b32 exec_lo, exec_lo, s1
	s_and_saveexec_b32 s1, s7
	s_cbranch_execnz .LBB187_507
.LBB187_293:                            ;   in Loop: Header=BB187_3 Depth=1
	s_or_b32 exec_lo, exec_lo, s1
	s_and_saveexec_b32 s1, s3
	s_cbranch_execz .LBB187_295
.LBB187_294:                            ;   in Loop: Header=BB187_3 Depth=1
	ds_load_b128 v[42:45], v1 offset:8496
	ds_load_b128 v[72:75], v49 offset:10048
	s_wait_dscnt 0x0
	v_mul_f64_e32 v[2:3], v[44:45], v[74:75]
	v_mul_f64_e32 v[74:75], v[42:43], v[74:75]
	s_delay_alu instid0(VALU_DEP_2) | instskip(NEXT) | instid1(VALU_DEP_2)
	v_fma_f64 v[2:3], v[42:43], v[72:73], -v[2:3]
	v_fmac_f64_e32 v[74:75], v[44:45], v[72:73]
	s_delay_alu instid0(VALU_DEP_2) | instskip(NEXT) | instid1(VALU_DEP_2)
	v_add_f64_e32 v[12:13], v[12:13], v[2:3]
	v_add_f64_e32 v[14:15], v[14:15], v[74:75]
.LBB187_295:                            ;   in Loop: Header=BB187_3 Depth=1
	s_or_b32 exec_lo, exec_lo, s1
	s_delay_alu instid0(VALU_DEP_2) | instskip(NEXT) | instid1(VALU_DEP_2)
	v_xor_b32_e32 v13, 0x80000000, v13
	v_xor_b32_e32 v15, 0x80000000, v15
.LBB187_296:                            ;   in Loop: Header=BB187_3 Depth=1
	s_or_b32 exec_lo, exec_lo, s0
	s_and_saveexec_b32 s0, s73
; %bb.297:                              ;   in Loop: Header=BB187_3 Depth=1
	ds_store_b128 v52, v[12:15]
; %bb.298:                              ;   in Loop: Header=BB187_3 Depth=1
	s_or_b32 exec_lo, exec_lo, s0
	s_wait_dscnt 0x0
	s_barrier_signal -1
	s_barrier_wait -1
	s_and_saveexec_b32 s0, s74
	s_cbranch_execz .LBB187_300
; %bb.299:                              ;   in Loop: Header=BB187_3 Depth=1
	ds_load_b128 v[42:45], v52
	ds_load_b128 v[72:75], v50 offset:10560
	s_wait_dscnt 0x0
	v_mul_f64_e32 v[2:3], v[44:45], v[74:75]
	v_mul_f64_e32 v[74:75], v[42:43], v[74:75]
	s_delay_alu instid0(VALU_DEP_2) | instskip(NEXT) | instid1(VALU_DEP_2)
	v_fma_f64 v[2:3], v[42:43], v[72:73], -v[2:3]
	v_fmac_f64_e32 v[74:75], v[44:45], v[72:73]
	s_delay_alu instid0(VALU_DEP_2) | instskip(NEXT) | instid1(VALU_DEP_2)
	v_add_f64_e32 v[12:13], v[12:13], v[2:3]
	v_add_f64_e32 v[14:15], v[14:15], v[74:75]
.LBB187_300:                            ;   in Loop: Header=BB187_3 Depth=1
	s_or_b32 exec_lo, exec_lo, s0
	s_barrier_signal -1
	s_barrier_wait -1
	s_and_saveexec_b32 s0, s75
; %bb.301:                              ;   in Loop: Header=BB187_3 Depth=1
	ds_store_b128 v52, v[12:15]
; %bb.302:                              ;   in Loop: Header=BB187_3 Depth=1
	s_or_b32 exec_lo, exec_lo, s0
	s_wait_dscnt 0x0
	s_barrier_signal -1
	s_barrier_wait -1
	s_and_saveexec_b32 s0, s76
	s_cbranch_execz .LBB187_304
; %bb.303:                              ;   in Loop: Header=BB187_3 Depth=1
	ds_load_b128 v[42:45], v52
	ds_load_b128 v[72:75], v50 offset:11072
	s_wait_dscnt 0x0
	v_mul_f64_e32 v[2:3], v[44:45], v[74:75]
	v_mul_f64_e32 v[74:75], v[42:43], v[74:75]
	s_delay_alu instid0(VALU_DEP_2) | instskip(NEXT) | instid1(VALU_DEP_2)
	v_fma_f64 v[2:3], v[42:43], v[72:73], -v[2:3]
	v_fmac_f64_e32 v[74:75], v[44:45], v[72:73]
	s_delay_alu instid0(VALU_DEP_2) | instskip(NEXT) | instid1(VALU_DEP_2)
	v_add_f64_e32 v[12:13], v[12:13], v[2:3]
	v_add_f64_e32 v[14:15], v[14:15], v[74:75]
.LBB187_304:                            ;   in Loop: Header=BB187_3 Depth=1
	s_or_b32 exec_lo, exec_lo, s0
	s_barrier_signal -1
	s_barrier_wait -1
	;; [unrolled: 26-line block ×3, first 2 shown]
	s_and_saveexec_b32 s0, s78
; %bb.309:                              ;   in Loop: Header=BB187_3 Depth=1
	ds_store_b128 v52, v[12:15]
; %bb.310:                              ;   in Loop: Header=BB187_3 Depth=1
	s_or_b32 exec_lo, exec_lo, s0
	s_wait_dscnt 0x0
	s_barrier_signal -1
	s_barrier_wait -1
	s_barrier_signal -1
	s_barrier_wait -1
	s_and_saveexec_b32 s0, s5
; %bb.311:                              ;   in Loop: Header=BB187_3 Depth=1
	v_xor_b32_e32 v15, 0x80000000, v15
	v_xor_b32_e32 v13, 0x80000000, v13
	ds_store_b128 v53, v[12:15] offset:8512
; %bb.312:                              ;   in Loop: Header=BB187_3 Depth=1
	s_or_b32 exec_lo, exec_lo, s0
	s_wait_dscnt 0x0
	s_barrier_signal -1
	s_barrier_wait -1
	s_barrier_signal -1
	s_barrier_wait -1
	s_and_saveexec_b32 s0, s29
	s_cbranch_execz .LBB187_314
; %bb.313:                              ;   in Loop: Header=BB187_3 Depth=1
	s_mov_b32 s52, s39
	s_mov_b32 s54, s39
	;; [unrolled: 1-line block ×3, first 2 shown]
	v_mov_b64_e32 v[12:13], s[52:53]
	v_mov_b64_e32 v[14:15], s[54:55]
	ds_store_b128 v1, v[12:15] offset:10560
	ds_store_b128 v1, v[12:15] offset:11088
.LBB187_314:                            ;   in Loop: Header=BB187_3 Depth=1
	s_or_b32 exec_lo, exec_lo, s0
	v_mov_b64_e32 v[14:15], 0
	v_mov_b64_e32 v[12:13], 0
	s_wait_dscnt 0x0
	s_barrier_signal -1
	s_barrier_wait -1
	s_and_saveexec_b32 s0, s3
	s_cbranch_execz .LBB187_318
; %bb.315:                              ;   in Loop: Header=BB187_3 Depth=1
	ds_load_b128 v[12:15], v48 offset:10560
	ds_load_b128 v[42:45], v47 offset:10592
	s_wait_dscnt 0x0
	v_mul_f64_e32 v[2:3], v[14:15], v[44:45]
	v_mul_f64_e32 v[44:45], v[12:13], v[44:45]
	s_delay_alu instid0(VALU_DEP_2) | instskip(NEXT) | instid1(VALU_DEP_2)
	v_fma_f64 v[2:3], v[12:13], v[42:43], -v[2:3]
	v_fmac_f64_e32 v[44:45], v[14:15], v[42:43]
	s_delay_alu instid0(VALU_DEP_2) | instskip(NEXT) | instid1(VALU_DEP_2)
	v_add_f64_e32 v[12:13], 0, v[2:3]
	v_add_f64_e32 v[14:15], 0, v[44:45]
	s_and_saveexec_b32 s1, s4
	s_cbranch_execz .LBB187_317
; %bb.316:                              ;   in Loop: Header=BB187_3 Depth=1
	ds_load_b128 v[42:45], v1 offset:10576
	ds_load_b128 v[72:75], v49 offset:11104
	s_wait_dscnt 0x0
	v_mul_f64_e32 v[2:3], v[44:45], v[74:75]
	v_mul_f64_e32 v[74:75], v[42:43], v[74:75]
	s_delay_alu instid0(VALU_DEP_2) | instskip(NEXT) | instid1(VALU_DEP_2)
	v_fma_f64 v[2:3], v[42:43], v[72:73], -v[2:3]
	v_fmac_f64_e32 v[74:75], v[44:45], v[72:73]
	s_delay_alu instid0(VALU_DEP_2) | instskip(NEXT) | instid1(VALU_DEP_2)
	v_add_f64_e32 v[12:13], v[12:13], v[2:3]
	v_add_f64_e32 v[14:15], v[14:15], v[74:75]
.LBB187_317:                            ;   in Loop: Header=BB187_3 Depth=1
	s_or_b32 exec_lo, exec_lo, s1
	s_delay_alu instid0(VALU_DEP_2) | instskip(NEXT) | instid1(VALU_DEP_2)
	v_xor_b32_e32 v13, 0x80000000, v13
	v_xor_b32_e32 v15, 0x80000000, v15
.LBB187_318:                            ;   in Loop: Header=BB187_3 Depth=1
	s_or_b32 exec_lo, exec_lo, s0
	s_and_saveexec_b32 s0, s71
; %bb.319:                              ;   in Loop: Header=BB187_3 Depth=1
	ds_store_b128 v46, v[12:15]
; %bb.320:                              ;   in Loop: Header=BB187_3 Depth=1
	s_or_b32 exec_lo, exec_lo, s0
	s_wait_dscnt 0x0
	s_barrier_signal -1
	s_barrier_wait -1
	s_and_saveexec_b32 s0, s72
	s_cbranch_execz .LBB187_322
; %bb.321:                              ;   in Loop: Header=BB187_3 Depth=1
	ds_load_b128 v[42:45], v46
	ds_load_b128 v[72:75], v1 offset:11632
	s_wait_dscnt 0x0
	v_mul_f64_e32 v[2:3], v[44:45], v[74:75]
	v_mul_f64_e32 v[74:75], v[42:43], v[74:75]
	s_delay_alu instid0(VALU_DEP_2) | instskip(NEXT) | instid1(VALU_DEP_2)
	v_fma_f64 v[2:3], v[42:43], v[72:73], -v[2:3]
	v_fmac_f64_e32 v[74:75], v[44:45], v[72:73]
	s_delay_alu instid0(VALU_DEP_2) | instskip(NEXT) | instid1(VALU_DEP_2)
	v_add_f64_e32 v[12:13], v[12:13], v[2:3]
	v_add_f64_e32 v[14:15], v[14:15], v[74:75]
.LBB187_322:                            ;   in Loop: Header=BB187_3 Depth=1
	s_or_b32 exec_lo, exec_lo, s0
	s_barrier_signal -1
	s_barrier_wait -1
	s_and_saveexec_b32 s0, s72
; %bb.323:                              ;   in Loop: Header=BB187_3 Depth=1
	ds_store_b128 v46, v[12:15]
; %bb.324:                              ;   in Loop: Header=BB187_3 Depth=1
	s_or_b32 exec_lo, exec_lo, s0
	s_wait_dscnt 0x0
	s_barrier_signal -1
	s_barrier_wait -1
	s_barrier_signal -1
	s_barrier_wait -1
	s_and_saveexec_b32 s0, s3
; %bb.325:                              ;   in Loop: Header=BB187_3 Depth=1
	v_xor_b32_e32 v13, 0x80000000, v13
	v_xor_b32_e32 v15, 0x80000000, v15
	ds_store_b128 v47, v[12:15] offset:10592
; %bb.326:                              ;   in Loop: Header=BB187_3 Depth=1
	s_or_b32 exec_lo, exec_lo, s0
	s_wait_dscnt 0x0
	s_barrier_signal -1
	s_barrier_wait -1
	s_barrier_signal -1
	s_barrier_wait -1
	s_and_saveexec_b32 s0, s29
	s_cbranch_execz .LBB187_328
; %bb.327:                              ;   in Loop: Header=BB187_3 Depth=1
	s_mov_b32 s52, s39
	s_mov_b32 s54, s39
	;; [unrolled: 1-line block ×3, first 2 shown]
	v_mov_b64_e32 v[12:13], s[52:53]
	v_mov_b64_e32 v[14:15], s[54:55]
	ds_store_b128 v1, v[12:15] offset:11616
	ds_store_b128 v1, v[12:15] offset:12144
.LBB187_328:                            ;   in Loop: Header=BB187_3 Depth=1
	s_or_b32 exec_lo, exec_lo, s0
	v_mov_b64_e32 v[14:15], 0
	v_mov_b64_e32 v[12:13], 0
	s_wait_dscnt 0x0
	s_barrier_signal -1
	s_barrier_wait -1
	s_and_saveexec_b32 s0, s8
	s_cbranch_execz .LBB187_342
; %bb.329:                              ;   in Loop: Header=BB187_3 Depth=1
	ds_load_b128 v[12:15], v55 offset:8448
	ds_load_b128 v[42:45], v58 offset:8576
	v_readlane_b32 s26, v80, 0
	s_wait_dscnt 0x0
	v_mul_f64_e32 v[2:3], v[14:15], v[44:45]
	v_mul_f64_e32 v[44:45], v[12:13], v[44:45]
	s_delay_alu instid0(VALU_DEP_2) | instskip(NEXT) | instid1(VALU_DEP_2)
	v_fma_f64 v[2:3], v[12:13], v[42:43], -v[2:3]
	v_fmac_f64_e32 v[44:45], v[14:15], v[42:43]
	s_delay_alu instid0(VALU_DEP_2) | instskip(NEXT) | instid1(VALU_DEP_2)
	v_add_f64_e32 v[12:13], 0, v[2:3]
	v_add_f64_e32 v[14:15], 0, v[44:45]
	s_and_saveexec_b32 s1, s26
	s_cbranch_execz .LBB187_331
; %bb.330:                              ;   in Loop: Header=BB187_3 Depth=1
	ds_load_b128 v[42:45], v55 offset:8464
	ds_load_b128 v[72:75], v59 offset:9088
	s_wait_dscnt 0x0
	v_mul_f64_e32 v[2:3], v[44:45], v[74:75]
	v_mul_f64_e32 v[74:75], v[42:43], v[74:75]
	s_delay_alu instid0(VALU_DEP_2) | instskip(NEXT) | instid1(VALU_DEP_2)
	v_fma_f64 v[2:3], v[42:43], v[72:73], -v[2:3]
	v_fmac_f64_e32 v[74:75], v[44:45], v[72:73]
	s_delay_alu instid0(VALU_DEP_2) | instskip(NEXT) | instid1(VALU_DEP_2)
	v_add_f64_e32 v[12:13], v[12:13], v[2:3]
	v_add_f64_e32 v[14:15], v[14:15], v[74:75]
.LBB187_331:                            ;   in Loop: Header=BB187_3 Depth=1
	s_or_b32 exec_lo, exec_lo, s1
	s_and_saveexec_b32 s1, s10
	s_cbranch_execz .LBB187_333
; %bb.332:                              ;   in Loop: Header=BB187_3 Depth=1
	ds_load_b128 v[42:45], v55 offset:8480
	ds_load_b128 v[72:75], v59 offset:9600
	s_wait_dscnt 0x0
	v_mul_f64_e32 v[2:3], v[44:45], v[74:75]
	v_mul_f64_e32 v[74:75], v[42:43], v[74:75]
	s_delay_alu instid0(VALU_DEP_2) | instskip(NEXT) | instid1(VALU_DEP_2)
	v_fma_f64 v[2:3], v[42:43], v[72:73], -v[2:3]
	v_fmac_f64_e32 v[74:75], v[44:45], v[72:73]
	s_delay_alu instid0(VALU_DEP_2) | instskip(NEXT) | instid1(VALU_DEP_2)
	v_add_f64_e32 v[12:13], v[12:13], v[2:3]
	v_add_f64_e32 v[14:15], v[14:15], v[74:75]
.LBB187_333:                            ;   in Loop: Header=BB187_3 Depth=1
	s_or_b32 exec_lo, exec_lo, s1
	v_readlane_b32 s26, v80, 1
	s_and_saveexec_b32 s1, s26
	s_cbranch_execz .LBB187_335
; %bb.334:                              ;   in Loop: Header=BB187_3 Depth=1
	ds_load_b128 v[42:45], v55 offset:8496
	ds_load_b128 v[72:75], v59 offset:10112
	s_wait_dscnt 0x0
	v_mul_f64_e32 v[2:3], v[44:45], v[74:75]
	v_mul_f64_e32 v[74:75], v[42:43], v[74:75]
	s_delay_alu instid0(VALU_DEP_2) | instskip(NEXT) | instid1(VALU_DEP_2)
	v_fma_f64 v[2:3], v[42:43], v[72:73], -v[2:3]
	v_fmac_f64_e32 v[74:75], v[44:45], v[72:73]
	s_delay_alu instid0(VALU_DEP_2) | instskip(NEXT) | instid1(VALU_DEP_2)
	v_add_f64_e32 v[12:13], v[12:13], v[2:3]
	v_add_f64_e32 v[14:15], v[14:15], v[74:75]
.LBB187_335:                            ;   in Loop: Header=BB187_3 Depth=1
	s_or_b32 exec_lo, exec_lo, s1
	s_and_saveexec_b32 s1, s12
	s_cbranch_execz .LBB187_337
; %bb.336:                              ;   in Loop: Header=BB187_3 Depth=1
	ds_load_b128 v[42:45], v55 offset:8512
	ds_load_b128 v[72:75], v58 offset:10624
	s_wait_dscnt 0x0
	v_mul_f64_e32 v[2:3], v[44:45], v[74:75]
	v_mul_f64_e32 v[74:75], v[42:43], v[74:75]
	s_delay_alu instid0(VALU_DEP_2) | instskip(NEXT) | instid1(VALU_DEP_2)
	v_fma_f64 v[2:3], v[42:43], v[72:73], -v[2:3]
	v_fmac_f64_e32 v[74:75], v[44:45], v[72:73]
	s_delay_alu instid0(VALU_DEP_2) | instskip(NEXT) | instid1(VALU_DEP_2)
	v_add_f64_e32 v[12:13], v[12:13], v[2:3]
	v_add_f64_e32 v[14:15], v[14:15], v[74:75]
.LBB187_337:                            ;   in Loop: Header=BB187_3 Depth=1
	s_or_b32 exec_lo, exec_lo, s1
	v_readlane_b32 s26, v80, 2
	s_and_saveexec_b32 s1, s26
	s_cbranch_execnz .LBB187_508
; %bb.338:                              ;   in Loop: Header=BB187_3 Depth=1
	s_or_b32 exec_lo, exec_lo, s1
	s_and_saveexec_b32 s1, s5
	s_cbranch_execnz .LBB187_509
.LBB187_339:                            ;   in Loop: Header=BB187_3 Depth=1
	s_or_b32 exec_lo, exec_lo, s1
	s_and_saveexec_b32 s1, s7
	s_cbranch_execz .LBB187_341
.LBB187_340:                            ;   in Loop: Header=BB187_3 Depth=1
	ds_load_b128 v[42:45], v1 offset:8560
	ds_load_b128 v[72:75], v49 offset:12160
	s_wait_dscnt 0x0
	v_mul_f64_e32 v[2:3], v[44:45], v[74:75]
	v_mul_f64_e32 v[74:75], v[42:43], v[74:75]
	s_delay_alu instid0(VALU_DEP_2) | instskip(NEXT) | instid1(VALU_DEP_2)
	v_fma_f64 v[2:3], v[42:43], v[72:73], -v[2:3]
	v_fmac_f64_e32 v[74:75], v[44:45], v[72:73]
	s_delay_alu instid0(VALU_DEP_2) | instskip(NEXT) | instid1(VALU_DEP_2)
	v_add_f64_e32 v[12:13], v[12:13], v[2:3]
	v_add_f64_e32 v[14:15], v[14:15], v[74:75]
.LBB187_341:                            ;   in Loop: Header=BB187_3 Depth=1
	s_or_b32 exec_lo, exec_lo, s1
	s_delay_alu instid0(VALU_DEP_2) | instskip(NEXT) | instid1(VALU_DEP_2)
	v_xor_b32_e32 v13, 0x80000000, v13
	v_xor_b32_e32 v15, 0x80000000, v15
.LBB187_342:                            ;   in Loop: Header=BB187_3 Depth=1
	s_or_b32 exec_lo, exec_lo, s0
	s_and_saveexec_b32 s0, s79
; %bb.343:                              ;   in Loop: Header=BB187_3 Depth=1
	ds_store_b128 v57, v[12:15]
; %bb.344:                              ;   in Loop: Header=BB187_3 Depth=1
	s_or_b32 exec_lo, exec_lo, s0
	s_wait_dscnt 0x0
	s_barrier_signal -1
	s_barrier_wait -1
	s_and_saveexec_b32 s0, s80
	s_cbranch_execz .LBB187_346
; %bb.345:                              ;   in Loop: Header=BB187_3 Depth=1
	ds_load_b128 v[42:45], v57
	ds_load_b128 v[72:75], v56 offset:12672
	s_wait_dscnt 0x0
	v_mul_f64_e32 v[2:3], v[44:45], v[74:75]
	v_mul_f64_e32 v[74:75], v[42:43], v[74:75]
	s_delay_alu instid0(VALU_DEP_2) | instskip(NEXT) | instid1(VALU_DEP_2)
	v_fma_f64 v[2:3], v[42:43], v[72:73], -v[2:3]
	v_fmac_f64_e32 v[74:75], v[44:45], v[72:73]
	s_delay_alu instid0(VALU_DEP_2) | instskip(NEXT) | instid1(VALU_DEP_2)
	v_add_f64_e32 v[12:13], v[12:13], v[2:3]
	v_add_f64_e32 v[14:15], v[14:15], v[74:75]
.LBB187_346:                            ;   in Loop: Header=BB187_3 Depth=1
	s_or_b32 exec_lo, exec_lo, s0
	s_barrier_signal -1
	s_barrier_wait -1
	s_and_saveexec_b32 s0, s81
; %bb.347:                              ;   in Loop: Header=BB187_3 Depth=1
	ds_store_b128 v57, v[12:15]
; %bb.348:                              ;   in Loop: Header=BB187_3 Depth=1
	s_or_b32 exec_lo, exec_lo, s0
	s_wait_dscnt 0x0
	s_barrier_signal -1
	s_barrier_wait -1
	s_and_saveexec_b32 s0, s82
	s_cbranch_execz .LBB187_350
; %bb.349:                              ;   in Loop: Header=BB187_3 Depth=1
	ds_load_b128 v[42:45], v57
	ds_load_b128 v[72:75], v56 offset:13184
	s_wait_dscnt 0x0
	v_mul_f64_e32 v[2:3], v[44:45], v[74:75]
	v_mul_f64_e32 v[74:75], v[42:43], v[74:75]
	s_delay_alu instid0(VALU_DEP_2) | instskip(NEXT) | instid1(VALU_DEP_2)
	v_fma_f64 v[2:3], v[42:43], v[72:73], -v[2:3]
	v_fmac_f64_e32 v[74:75], v[44:45], v[72:73]
	s_delay_alu instid0(VALU_DEP_2) | instskip(NEXT) | instid1(VALU_DEP_2)
	v_add_f64_e32 v[12:13], v[12:13], v[2:3]
	v_add_f64_e32 v[14:15], v[14:15], v[74:75]
.LBB187_350:                            ;   in Loop: Header=BB187_3 Depth=1
	s_or_b32 exec_lo, exec_lo, s0
	s_barrier_signal -1
	s_barrier_wait -1
	s_and_saveexec_b32 s0, s83
; %bb.351:                              ;   in Loop: Header=BB187_3 Depth=1
	ds_store_b128 v57, v[12:15]
; %bb.352:                              ;   in Loop: Header=BB187_3 Depth=1
	s_or_b32 exec_lo, exec_lo, s0
	s_wait_dscnt 0x0
	s_barrier_signal -1
	s_barrier_wait -1
	s_and_saveexec_b32 s0, s84
	s_cbranch_execz .LBB187_354
; %bb.353:                              ;   in Loop: Header=BB187_3 Depth=1
	ds_load_b128 v[42:45], v57
	ds_load_b128 v[72:75], v56 offset:13696
	s_wait_dscnt 0x0
	v_mul_f64_e32 v[2:3], v[44:45], v[74:75]
	v_mul_f64_e32 v[74:75], v[42:43], v[74:75]
	s_delay_alu instid0(VALU_DEP_2) | instskip(NEXT) | instid1(VALU_DEP_2)
	v_fma_f64 v[2:3], v[42:43], v[72:73], -v[2:3]
	v_fmac_f64_e32 v[74:75], v[44:45], v[72:73]
	s_delay_alu instid0(VALU_DEP_2) | instskip(NEXT) | instid1(VALU_DEP_2)
	v_add_f64_e32 v[12:13], v[12:13], v[2:3]
	v_add_f64_e32 v[14:15], v[14:15], v[74:75]
.LBB187_354:                            ;   in Loop: Header=BB187_3 Depth=1
	s_or_b32 exec_lo, exec_lo, s0
	s_barrier_signal -1
	s_barrier_wait -1
	s_and_saveexec_b32 s0, s85
; %bb.355:                              ;   in Loop: Header=BB187_3 Depth=1
	ds_store_b128 v57, v[12:15]
; %bb.356:                              ;   in Loop: Header=BB187_3 Depth=1
	s_or_b32 exec_lo, exec_lo, s0
	s_wait_dscnt 0x0
	s_barrier_signal -1
	s_barrier_wait -1
	s_and_saveexec_b32 s0, s86
	s_cbranch_execz .LBB187_358
; %bb.357:                              ;   in Loop: Header=BB187_3 Depth=1
	ds_load_b128 v[42:45], v57
	ds_load_b128 v[72:75], v56 offset:14208
	s_wait_dscnt 0x0
	v_mul_f64_e32 v[2:3], v[44:45], v[74:75]
	v_mul_f64_e32 v[74:75], v[42:43], v[74:75]
	s_delay_alu instid0(VALU_DEP_2) | instskip(NEXT) | instid1(VALU_DEP_2)
	v_fma_f64 v[2:3], v[42:43], v[72:73], -v[2:3]
	v_fmac_f64_e32 v[74:75], v[44:45], v[72:73]
	s_delay_alu instid0(VALU_DEP_2) | instskip(NEXT) | instid1(VALU_DEP_2)
	v_add_f64_e32 v[12:13], v[12:13], v[2:3]
	v_add_f64_e32 v[14:15], v[14:15], v[74:75]
.LBB187_358:                            ;   in Loop: Header=BB187_3 Depth=1
	s_or_b32 exec_lo, exec_lo, s0
	s_barrier_signal -1
	s_barrier_wait -1
	s_and_saveexec_b32 s0, s87
; %bb.359:                              ;   in Loop: Header=BB187_3 Depth=1
	ds_store_b128 v57, v[12:15]
; %bb.360:                              ;   in Loop: Header=BB187_3 Depth=1
	s_or_b32 exec_lo, exec_lo, s0
	s_wait_dscnt 0x0
	s_barrier_signal -1
	s_barrier_wait -1
	s_and_saveexec_b32 s0, s88
	s_cbranch_execz .LBB187_362
; %bb.361:                              ;   in Loop: Header=BB187_3 Depth=1
	ds_load_b128 v[42:45], v57
	ds_load_b128 v[72:75], v56 offset:14720
	s_wait_dscnt 0x0
	v_mul_f64_e32 v[2:3], v[44:45], v[74:75]
	v_mul_f64_e32 v[74:75], v[42:43], v[74:75]
	s_delay_alu instid0(VALU_DEP_2) | instskip(NEXT) | instid1(VALU_DEP_2)
	v_fma_f64 v[2:3], v[42:43], v[72:73], -v[2:3]
	v_fmac_f64_e32 v[74:75], v[44:45], v[72:73]
	s_delay_alu instid0(VALU_DEP_2) | instskip(NEXT) | instid1(VALU_DEP_2)
	v_add_f64_e32 v[12:13], v[12:13], v[2:3]
	v_add_f64_e32 v[14:15], v[14:15], v[74:75]
.LBB187_362:                            ;   in Loop: Header=BB187_3 Depth=1
	s_or_b32 exec_lo, exec_lo, s0
	s_barrier_signal -1
	s_barrier_wait -1
	s_and_saveexec_b32 s0, s89
; %bb.363:                              ;   in Loop: Header=BB187_3 Depth=1
	ds_store_b128 v57, v[12:15]
; %bb.364:                              ;   in Loop: Header=BB187_3 Depth=1
	s_or_b32 exec_lo, exec_lo, s0
	s_wait_dscnt 0x0
	s_barrier_signal -1
	s_barrier_wait -1
	s_and_saveexec_b32 s0, s90
	s_cbranch_execz .LBB187_366
; %bb.365:                              ;   in Loop: Header=BB187_3 Depth=1
	ds_load_b128 v[42:45], v57
	ds_load_b128 v[72:75], v56 offset:15232
	s_wait_dscnt 0x0
	v_mul_f64_e32 v[2:3], v[44:45], v[74:75]
	v_mul_f64_e32 v[74:75], v[42:43], v[74:75]
	s_delay_alu instid0(VALU_DEP_2) | instskip(NEXT) | instid1(VALU_DEP_2)
	v_fma_f64 v[2:3], v[42:43], v[72:73], -v[2:3]
	v_fmac_f64_e32 v[74:75], v[44:45], v[72:73]
	s_delay_alu instid0(VALU_DEP_2) | instskip(NEXT) | instid1(VALU_DEP_2)
	v_add_f64_e32 v[12:13], v[12:13], v[2:3]
	v_add_f64_e32 v[14:15], v[14:15], v[74:75]
.LBB187_366:                            ;   in Loop: Header=BB187_3 Depth=1
	s_or_b32 exec_lo, exec_lo, s0
	s_barrier_signal -1
	s_barrier_wait -1
	s_and_saveexec_b32 s0, s91
; %bb.367:                              ;   in Loop: Header=BB187_3 Depth=1
	ds_store_b128 v57, v[12:15]
; %bb.368:                              ;   in Loop: Header=BB187_3 Depth=1
	s_or_b32 exec_lo, exec_lo, s0
	s_wait_dscnt 0x0
	s_barrier_signal -1
	s_barrier_wait -1
	s_and_saveexec_b32 s0, s92
	s_cbranch_execz .LBB187_370
; %bb.369:                              ;   in Loop: Header=BB187_3 Depth=1
	ds_load_b128 v[42:45], v57
	ds_load_b128 v[72:75], v1 offset:15856
	s_wait_dscnt 0x0
	v_mul_f64_e32 v[2:3], v[44:45], v[74:75]
	v_mul_f64_e32 v[74:75], v[42:43], v[74:75]
	s_delay_alu instid0(VALU_DEP_2) | instskip(NEXT) | instid1(VALU_DEP_2)
	v_fma_f64 v[2:3], v[42:43], v[72:73], -v[2:3]
	v_fmac_f64_e32 v[74:75], v[44:45], v[72:73]
	s_delay_alu instid0(VALU_DEP_2) | instskip(NEXT) | instid1(VALU_DEP_2)
	v_add_f64_e32 v[12:13], v[12:13], v[2:3]
	v_add_f64_e32 v[14:15], v[14:15], v[74:75]
.LBB187_370:                            ;   in Loop: Header=BB187_3 Depth=1
	s_or_b32 exec_lo, exec_lo, s0
	s_barrier_signal -1
	s_barrier_wait -1
	s_and_saveexec_b32 s0, s92
; %bb.371:                              ;   in Loop: Header=BB187_3 Depth=1
	ds_store_b128 v57, v[12:15]
; %bb.372:                              ;   in Loop: Header=BB187_3 Depth=1
	s_or_b32 exec_lo, exec_lo, s0
	s_wait_dscnt 0x0
	s_barrier_signal -1
	s_barrier_wait -1
	s_barrier_signal -1
	s_barrier_wait -1
	s_and_saveexec_b32 s0, s8
; %bb.373:                              ;   in Loop: Header=BB187_3 Depth=1
	v_xor_b32_e32 v13, 0x80000000, v13
	v_xor_b32_e32 v15, 0x80000000, v15
	ds_store_b128 v58, v[12:15] offset:8576
; %bb.374:                              ;   in Loop: Header=BB187_3 Depth=1
	s_or_b32 exec_lo, exec_lo, s0
	s_wait_dscnt 0x0
	s_barrier_signal -1
	s_barrier_wait -1
	s_barrier_signal -1
	s_barrier_wait -1
	s_and_saveexec_b32 s0, s29
	s_cbranch_execz .LBB187_376
; %bb.375:                              ;   in Loop: Header=BB187_3 Depth=1
	s_mov_b32 s52, s39
	s_mov_b32 s54, s39
	;; [unrolled: 1-line block ×3, first 2 shown]
	v_mov_b64_e32 v[12:13], s[52:53]
	v_mov_b64_e32 v[14:15], s[54:55]
	ds_store_b128 v1, v[12:15] offset:12672
	ds_store_b128 v1, v[12:15] offset:13200
.LBB187_376:                            ;   in Loop: Header=BB187_3 Depth=1
	s_or_b32 exec_lo, exec_lo, s0
	v_mov_b64_e32 v[14:15], 0
	v_mov_b64_e32 v[12:13], 0
	s_wait_dscnt 0x0
	s_barrier_signal -1
	s_barrier_wait -1
	s_and_saveexec_b32 s0, s3
	s_cbranch_execz .LBB187_380
; %bb.377:                              ;   in Loop: Header=BB187_3 Depth=1
	ds_load_b128 v[12:15], v48 offset:12672
	ds_load_b128 v[42:45], v47 offset:12704
	s_wait_dscnt 0x0
	v_mul_f64_e32 v[2:3], v[14:15], v[44:45]
	v_mul_f64_e32 v[44:45], v[12:13], v[44:45]
	s_delay_alu instid0(VALU_DEP_2) | instskip(NEXT) | instid1(VALU_DEP_2)
	v_fma_f64 v[2:3], v[12:13], v[42:43], -v[2:3]
	v_fmac_f64_e32 v[44:45], v[14:15], v[42:43]
	s_delay_alu instid0(VALU_DEP_2) | instskip(NEXT) | instid1(VALU_DEP_2)
	v_add_f64_e32 v[12:13], 0, v[2:3]
	v_add_f64_e32 v[14:15], 0, v[44:45]
	s_and_saveexec_b32 s1, s4
	s_cbranch_execz .LBB187_379
; %bb.378:                              ;   in Loop: Header=BB187_3 Depth=1
	ds_load_b128 v[42:45], v1 offset:12688
	ds_load_b128 v[72:75], v49 offset:13216
	s_wait_dscnt 0x0
	v_mul_f64_e32 v[2:3], v[44:45], v[74:75]
	v_mul_f64_e32 v[74:75], v[42:43], v[74:75]
	s_delay_alu instid0(VALU_DEP_2) | instskip(NEXT) | instid1(VALU_DEP_2)
	v_fma_f64 v[2:3], v[42:43], v[72:73], -v[2:3]
	v_fmac_f64_e32 v[74:75], v[44:45], v[72:73]
	s_delay_alu instid0(VALU_DEP_2) | instskip(NEXT) | instid1(VALU_DEP_2)
	v_add_f64_e32 v[12:13], v[12:13], v[2:3]
	v_add_f64_e32 v[14:15], v[14:15], v[74:75]
.LBB187_379:                            ;   in Loop: Header=BB187_3 Depth=1
	s_or_b32 exec_lo, exec_lo, s1
	s_delay_alu instid0(VALU_DEP_2) | instskip(NEXT) | instid1(VALU_DEP_2)
	v_xor_b32_e32 v13, 0x80000000, v13
	v_xor_b32_e32 v15, 0x80000000, v15
.LBB187_380:                            ;   in Loop: Header=BB187_3 Depth=1
	s_or_b32 exec_lo, exec_lo, s0
	s_and_saveexec_b32 s0, s71
; %bb.381:                              ;   in Loop: Header=BB187_3 Depth=1
	ds_store_b128 v46, v[12:15]
; %bb.382:                              ;   in Loop: Header=BB187_3 Depth=1
	s_or_b32 exec_lo, exec_lo, s0
	s_wait_dscnt 0x0
	s_barrier_signal -1
	s_barrier_wait -1
	s_and_saveexec_b32 s0, s72
	s_cbranch_execz .LBB187_384
; %bb.383:                              ;   in Loop: Header=BB187_3 Depth=1
	ds_load_b128 v[42:45], v46
	ds_load_b128 v[72:75], v1 offset:13744
	s_wait_dscnt 0x0
	v_mul_f64_e32 v[2:3], v[44:45], v[74:75]
	v_mul_f64_e32 v[74:75], v[42:43], v[74:75]
	s_delay_alu instid0(VALU_DEP_2) | instskip(NEXT) | instid1(VALU_DEP_2)
	v_fma_f64 v[2:3], v[42:43], v[72:73], -v[2:3]
	v_fmac_f64_e32 v[74:75], v[44:45], v[72:73]
	s_delay_alu instid0(VALU_DEP_2) | instskip(NEXT) | instid1(VALU_DEP_2)
	v_add_f64_e32 v[12:13], v[12:13], v[2:3]
	v_add_f64_e32 v[14:15], v[14:15], v[74:75]
.LBB187_384:                            ;   in Loop: Header=BB187_3 Depth=1
	s_or_b32 exec_lo, exec_lo, s0
	s_barrier_signal -1
	s_barrier_wait -1
	s_and_saveexec_b32 s0, s72
; %bb.385:                              ;   in Loop: Header=BB187_3 Depth=1
	ds_store_b128 v46, v[12:15]
; %bb.386:                              ;   in Loop: Header=BB187_3 Depth=1
	s_or_b32 exec_lo, exec_lo, s0
	s_wait_dscnt 0x0
	s_barrier_signal -1
	s_barrier_wait -1
	s_barrier_signal -1
	s_barrier_wait -1
	s_and_saveexec_b32 s0, s3
; %bb.387:                              ;   in Loop: Header=BB187_3 Depth=1
	v_xor_b32_e32 v13, 0x80000000, v13
	v_xor_b32_e32 v15, 0x80000000, v15
	ds_store_b128 v47, v[12:15] offset:12704
; %bb.388:                              ;   in Loop: Header=BB187_3 Depth=1
	s_or_b32 exec_lo, exec_lo, s0
	s_wait_dscnt 0x0
	s_barrier_signal -1
	s_barrier_wait -1
	s_barrier_signal -1
	s_barrier_wait -1
	s_and_saveexec_b32 s0, s29
	s_cbranch_execz .LBB187_390
; %bb.389:                              ;   in Loop: Header=BB187_3 Depth=1
	s_mov_b32 s52, s39
	s_mov_b32 s54, s39
	s_mov_b32 s55, s39
	v_mov_b64_e32 v[12:13], s[52:53]
	v_mov_b64_e32 v[14:15], s[54:55]
	ds_store_b128 v1, v[12:15] offset:13728
	ds_store_b128 v1, v[12:15] offset:14256
.LBB187_390:                            ;   in Loop: Header=BB187_3 Depth=1
	s_or_b32 exec_lo, exec_lo, s0
	v_mov_b64_e32 v[14:15], 0
	v_mov_b64_e32 v[12:13], 0
	s_wait_dscnt 0x0
	s_barrier_signal -1
	s_barrier_wait -1
	s_and_saveexec_b32 s0, s5
	s_cbranch_execz .LBB187_396
; %bb.391:                              ;   in Loop: Header=BB187_3 Depth=1
	ds_load_b128 v[12:15], v51 offset:12672
	ds_load_b128 v[42:45], v53 offset:12736
	s_wait_dscnt 0x0
	v_mul_f64_e32 v[2:3], v[14:15], v[44:45]
	v_mul_f64_e32 v[44:45], v[12:13], v[44:45]
	s_delay_alu instid0(VALU_DEP_2) | instskip(NEXT) | instid1(VALU_DEP_2)
	v_fma_f64 v[2:3], v[12:13], v[42:43], -v[2:3]
	v_fmac_f64_e32 v[44:45], v[14:15], v[42:43]
	s_delay_alu instid0(VALU_DEP_2) | instskip(NEXT) | instid1(VALU_DEP_2)
	v_add_f64_e32 v[12:13], 0, v[2:3]
	v_add_f64_e32 v[14:15], 0, v[44:45]
	s_and_saveexec_b32 s1, s6
	s_cbranch_execnz .LBB187_510
; %bb.392:                              ;   in Loop: Header=BB187_3 Depth=1
	s_or_b32 exec_lo, exec_lo, s1
	s_and_saveexec_b32 s1, s7
	s_cbranch_execnz .LBB187_511
.LBB187_393:                            ;   in Loop: Header=BB187_3 Depth=1
	s_or_b32 exec_lo, exec_lo, s1
	s_and_saveexec_b32 s1, s3
	s_cbranch_execz .LBB187_395
.LBB187_394:                            ;   in Loop: Header=BB187_3 Depth=1
	ds_load_b128 v[42:45], v1 offset:12720
	ds_load_b128 v[72:75], v49 offset:14272
	s_wait_dscnt 0x0
	v_mul_f64_e32 v[2:3], v[44:45], v[74:75]
	v_mul_f64_e32 v[74:75], v[42:43], v[74:75]
	s_delay_alu instid0(VALU_DEP_2) | instskip(NEXT) | instid1(VALU_DEP_2)
	v_fma_f64 v[2:3], v[42:43], v[72:73], -v[2:3]
	v_fmac_f64_e32 v[74:75], v[44:45], v[72:73]
	s_delay_alu instid0(VALU_DEP_2) | instskip(NEXT) | instid1(VALU_DEP_2)
	v_add_f64_e32 v[12:13], v[12:13], v[2:3]
	v_add_f64_e32 v[14:15], v[14:15], v[74:75]
.LBB187_395:                            ;   in Loop: Header=BB187_3 Depth=1
	s_or_b32 exec_lo, exec_lo, s1
	s_delay_alu instid0(VALU_DEP_2) | instskip(NEXT) | instid1(VALU_DEP_2)
	v_xor_b32_e32 v13, 0x80000000, v13
	v_xor_b32_e32 v15, 0x80000000, v15
.LBB187_396:                            ;   in Loop: Header=BB187_3 Depth=1
	s_or_b32 exec_lo, exec_lo, s0
	s_and_saveexec_b32 s0, s73
; %bb.397:                              ;   in Loop: Header=BB187_3 Depth=1
	ds_store_b128 v52, v[12:15]
; %bb.398:                              ;   in Loop: Header=BB187_3 Depth=1
	s_or_b32 exec_lo, exec_lo, s0
	s_wait_dscnt 0x0
	s_barrier_signal -1
	s_barrier_wait -1
	s_and_saveexec_b32 s0, s74
	s_cbranch_execz .LBB187_400
; %bb.399:                              ;   in Loop: Header=BB187_3 Depth=1
	ds_load_b128 v[42:45], v52
	ds_load_b128 v[72:75], v50 offset:14784
	s_wait_dscnt 0x0
	v_mul_f64_e32 v[2:3], v[44:45], v[74:75]
	v_mul_f64_e32 v[74:75], v[42:43], v[74:75]
	s_delay_alu instid0(VALU_DEP_2) | instskip(NEXT) | instid1(VALU_DEP_2)
	v_fma_f64 v[2:3], v[42:43], v[72:73], -v[2:3]
	v_fmac_f64_e32 v[74:75], v[44:45], v[72:73]
	s_delay_alu instid0(VALU_DEP_2) | instskip(NEXT) | instid1(VALU_DEP_2)
	v_add_f64_e32 v[12:13], v[12:13], v[2:3]
	v_add_f64_e32 v[14:15], v[14:15], v[74:75]
.LBB187_400:                            ;   in Loop: Header=BB187_3 Depth=1
	s_or_b32 exec_lo, exec_lo, s0
	s_barrier_signal -1
	s_barrier_wait -1
	s_and_saveexec_b32 s0, s75
; %bb.401:                              ;   in Loop: Header=BB187_3 Depth=1
	ds_store_b128 v52, v[12:15]
; %bb.402:                              ;   in Loop: Header=BB187_3 Depth=1
	s_or_b32 exec_lo, exec_lo, s0
	s_wait_dscnt 0x0
	s_barrier_signal -1
	s_barrier_wait -1
	s_and_saveexec_b32 s0, s76
	s_cbranch_execz .LBB187_404
; %bb.403:                              ;   in Loop: Header=BB187_3 Depth=1
	ds_load_b128 v[42:45], v52
	ds_load_b128 v[72:75], v50 offset:15296
	s_wait_dscnt 0x0
	v_mul_f64_e32 v[2:3], v[44:45], v[74:75]
	v_mul_f64_e32 v[74:75], v[42:43], v[74:75]
	s_delay_alu instid0(VALU_DEP_2) | instskip(NEXT) | instid1(VALU_DEP_2)
	v_fma_f64 v[2:3], v[42:43], v[72:73], -v[2:3]
	v_fmac_f64_e32 v[74:75], v[44:45], v[72:73]
	s_delay_alu instid0(VALU_DEP_2) | instskip(NEXT) | instid1(VALU_DEP_2)
	v_add_f64_e32 v[12:13], v[12:13], v[2:3]
	v_add_f64_e32 v[14:15], v[14:15], v[74:75]
.LBB187_404:                            ;   in Loop: Header=BB187_3 Depth=1
	s_or_b32 exec_lo, exec_lo, s0
	s_barrier_signal -1
	s_barrier_wait -1
	;; [unrolled: 26-line block ×3, first 2 shown]
	s_and_saveexec_b32 s0, s78
; %bb.409:                              ;   in Loop: Header=BB187_3 Depth=1
	ds_store_b128 v52, v[12:15]
; %bb.410:                              ;   in Loop: Header=BB187_3 Depth=1
	s_or_b32 exec_lo, exec_lo, s0
	s_wait_dscnt 0x0
	s_barrier_signal -1
	s_barrier_wait -1
	s_barrier_signal -1
	s_barrier_wait -1
	s_and_saveexec_b32 s0, s5
; %bb.411:                              ;   in Loop: Header=BB187_3 Depth=1
	v_xor_b32_e32 v15, 0x80000000, v15
	v_xor_b32_e32 v13, 0x80000000, v13
	ds_store_b128 v53, v[12:15] offset:12736
; %bb.412:                              ;   in Loop: Header=BB187_3 Depth=1
	s_or_b32 exec_lo, exec_lo, s0
	s_wait_dscnt 0x0
	s_barrier_signal -1
	s_barrier_wait -1
	s_barrier_signal -1
	s_barrier_wait -1
	s_and_saveexec_b32 s0, s29
	s_cbranch_execz .LBB187_414
; %bb.413:                              ;   in Loop: Header=BB187_3 Depth=1
	s_mov_b32 s52, s39
	s_mov_b32 s54, s39
	;; [unrolled: 1-line block ×3, first 2 shown]
	v_mov_b64_e32 v[12:13], s[52:53]
	v_mov_b64_e32 v[14:15], s[54:55]
	ds_store_b128 v1, v[12:15] offset:14784
	ds_store_b128 v1, v[12:15] offset:15312
.LBB187_414:                            ;   in Loop: Header=BB187_3 Depth=1
	s_or_b32 exec_lo, exec_lo, s0
	v_mov_b64_e32 v[14:15], 0
	v_mov_b64_e32 v[12:13], 0
	s_wait_dscnt 0x0
	s_barrier_signal -1
	s_barrier_wait -1
	s_and_saveexec_b32 s0, s3
	s_cbranch_execz .LBB187_418
; %bb.415:                              ;   in Loop: Header=BB187_3 Depth=1
	ds_load_b128 v[12:15], v48 offset:14784
	ds_load_b128 v[42:45], v47 offset:14816
	s_wait_dscnt 0x0
	v_mul_f64_e32 v[2:3], v[14:15], v[44:45]
	v_mul_f64_e32 v[44:45], v[12:13], v[44:45]
	s_delay_alu instid0(VALU_DEP_2) | instskip(NEXT) | instid1(VALU_DEP_2)
	v_fma_f64 v[2:3], v[12:13], v[42:43], -v[2:3]
	v_fmac_f64_e32 v[44:45], v[14:15], v[42:43]
	s_delay_alu instid0(VALU_DEP_2) | instskip(NEXT) | instid1(VALU_DEP_2)
	v_add_f64_e32 v[12:13], 0, v[2:3]
	v_add_f64_e32 v[14:15], 0, v[44:45]
	s_and_saveexec_b32 s1, s4
	s_cbranch_execz .LBB187_417
; %bb.416:                              ;   in Loop: Header=BB187_3 Depth=1
	ds_load_b128 v[42:45], v1 offset:14800
	ds_load_b128 v[72:75], v49 offset:15328
	s_wait_dscnt 0x0
	v_mul_f64_e32 v[2:3], v[44:45], v[74:75]
	v_mul_f64_e32 v[74:75], v[42:43], v[74:75]
	s_delay_alu instid0(VALU_DEP_2) | instskip(NEXT) | instid1(VALU_DEP_2)
	v_fma_f64 v[2:3], v[42:43], v[72:73], -v[2:3]
	v_fmac_f64_e32 v[74:75], v[44:45], v[72:73]
	s_delay_alu instid0(VALU_DEP_2) | instskip(NEXT) | instid1(VALU_DEP_2)
	v_add_f64_e32 v[12:13], v[12:13], v[2:3]
	v_add_f64_e32 v[14:15], v[14:15], v[74:75]
.LBB187_417:                            ;   in Loop: Header=BB187_3 Depth=1
	s_or_b32 exec_lo, exec_lo, s1
	s_delay_alu instid0(VALU_DEP_2) | instskip(NEXT) | instid1(VALU_DEP_2)
	v_xor_b32_e32 v13, 0x80000000, v13
	v_xor_b32_e32 v15, 0x80000000, v15
.LBB187_418:                            ;   in Loop: Header=BB187_3 Depth=1
	s_or_b32 exec_lo, exec_lo, s0
	s_and_saveexec_b32 s0, s71
; %bb.419:                              ;   in Loop: Header=BB187_3 Depth=1
	ds_store_b128 v46, v[12:15]
; %bb.420:                              ;   in Loop: Header=BB187_3 Depth=1
	s_or_b32 exec_lo, exec_lo, s0
	s_wait_dscnt 0x0
	s_barrier_signal -1
	s_barrier_wait -1
	s_and_saveexec_b32 s0, s72
	s_cbranch_execz .LBB187_422
; %bb.421:                              ;   in Loop: Header=BB187_3 Depth=1
	ds_load_b128 v[42:45], v46
	ds_load_b128 v[72:75], v1 offset:15856
	s_wait_dscnt 0x0
	v_mul_f64_e32 v[2:3], v[44:45], v[74:75]
	v_mul_f64_e32 v[74:75], v[42:43], v[74:75]
	s_delay_alu instid0(VALU_DEP_2) | instskip(NEXT) | instid1(VALU_DEP_2)
	v_fma_f64 v[2:3], v[42:43], v[72:73], -v[2:3]
	v_fmac_f64_e32 v[74:75], v[44:45], v[72:73]
	s_delay_alu instid0(VALU_DEP_2) | instskip(NEXT) | instid1(VALU_DEP_2)
	v_add_f64_e32 v[12:13], v[12:13], v[2:3]
	v_add_f64_e32 v[14:15], v[14:15], v[74:75]
.LBB187_422:                            ;   in Loop: Header=BB187_3 Depth=1
	s_or_b32 exec_lo, exec_lo, s0
	s_barrier_signal -1
	s_barrier_wait -1
	s_and_saveexec_b32 s0, s72
; %bb.423:                              ;   in Loop: Header=BB187_3 Depth=1
	ds_store_b128 v46, v[12:15]
; %bb.424:                              ;   in Loop: Header=BB187_3 Depth=1
	s_or_b32 exec_lo, exec_lo, s0
	s_wait_dscnt 0x0
	s_barrier_signal -1
	s_barrier_wait -1
	s_barrier_signal -1
	s_barrier_wait -1
	s_and_saveexec_b32 s0, s3
; %bb.425:                              ;   in Loop: Header=BB187_3 Depth=1
	v_xor_b32_e32 v13, 0x80000000, v13
	v_xor_b32_e32 v15, 0x80000000, v15
	ds_store_b128 v47, v[12:15] offset:14816
; %bb.426:                              ;   in Loop: Header=BB187_3 Depth=1
	s_or_b32 exec_lo, exec_lo, s0
	s_wait_dscnt 0x0
	s_barrier_signal -1
	s_barrier_wait -1
	s_barrier_signal -1
	s_barrier_wait -1
	s_and_saveexec_b32 s0, s29
	s_cbranch_execz .LBB187_428
; %bb.427:                              ;   in Loop: Header=BB187_3 Depth=1
	s_mov_b32 s52, s39
	s_mov_b32 s54, s39
	;; [unrolled: 1-line block ×3, first 2 shown]
	v_mov_b64_e32 v[12:13], s[52:53]
	v_mov_b64_e32 v[14:15], s[54:55]
	ds_store_b128 v1, v[12:15] offset:15840
	ds_store_b128 v1, v[12:15] offset:16368
.LBB187_428:                            ;   in Loop: Header=BB187_3 Depth=1
	s_or_b32 exec_lo, exec_lo, s0
.LBB187_429:                            ;   in Loop: Header=BB187_3 Depth=1
	v_mov_b64_e32 v[12:13], 0
	v_add_nc_u64_e32 v[42:43], s[46:47], v[18:19]
	s_wait_dscnt 0x0
	s_barrier_signal -1
	s_barrier_wait -1
	s_delay_alu instid0(VALU_DEP_2)
	v_mov_b64_e32 v[14:15], v[12:13]
	s_wait_xcnt 0x0
	s_and_saveexec_b32 s0, s102
	s_cbranch_execz .LBB187_431
; %bb.430:                              ;   in Loop: Header=BB187_3 Depth=1
	v_lshl_add_u64 v[2:3], v[30:31], 4, v[42:43]
	flat_load_b128 v[72:75], v[2:3]
	s_wait_loadcnt_dscnt 0x0
	v_mul_f64_e32 v[2:3], s[40:41], v[72:73]
	v_mul_f64_e32 v[14:15], s[40:41], v[74:75]
	s_delay_alu instid0(VALU_DEP_2) | instskip(NEXT) | instid1(VALU_DEP_2)
	v_fma_f64 v[12:13], s[42:43], v[74:75], -v[2:3]
	v_fma_f64 v[14:15], v[72:73], -s[42:43], -v[14:15]
.LBB187_431:                            ;   in Loop: Header=BB187_3 Depth=1
	s_or_b32 exec_lo, exec_lo, s0
	s_delay_alu instid0(SALU_CYCLE_1)
	s_and_not1_b32 vcc_lo, exec_lo, s103
	s_cbranch_vccnz .LBB187_454
; %bb.432:                              ;   in Loop: Header=BB187_3 Depth=1
	v_lshl_add_u64 v[16:17], v[26:27], 4, v[16:17]
	v_mov_b32_e32 v25, -1
	s_lshl_b64 s[0:1], s[38:39], 2
	s_delay_alu instid0(SALU_CYCLE_1)
	s_add_nc_u64 s[54:55], s[60:61], s[0:1]
	s_mov_b32 s1, 0
	s_branch .LBB187_435
.LBB187_433:                            ;   in Loop: Header=BB187_435 Depth=2
	ds_load_b128 v[72:75], v66 offset:256
	s_wait_loadcnt_dscnt 0x0
	v_mul_f64_e32 v[18:19], v[44:45], v[74:75]
	v_mul_f64_e32 v[74:75], v[2:3], v[74:75]
	s_delay_alu instid0(VALU_DEP_2) | instskip(NEXT) | instid1(VALU_DEP_2)
	v_fma_f64 v[2:3], v[2:3], v[72:73], -v[18:19]
	v_fmac_f64_e32 v[74:75], v[44:45], v[72:73]
	s_delay_alu instid0(VALU_DEP_2) | instskip(NEXT) | instid1(VALU_DEP_2)
	v_add_f64_e32 v[12:13], v[12:13], v[2:3]
	v_add_f64_e32 v[14:15], v[14:15], v[74:75]
.LBB187_434:                            ;   in Loop: Header=BB187_435 Depth=2
	s_or_b32 exec_lo, exec_lo, s0
	s_add_co_i32 s1, s1, 1
	s_delay_alu instid0(SALU_CYCLE_1)
	s_cmp_eq_u32 s1, s67
	s_cbranch_scc1 .LBB187_454
.LBB187_435:                            ;   Parent Loop BB187_3 Depth=1
                                        ; =>  This Loop Header: Depth=2
                                        ;       Child Loop BB187_437 Depth 3
	v_cmp_gt_i32_e32 vcc_lo, s1, v25
	s_and_b32 s52, s30, vcc_lo
	s_delay_alu instid0(SALU_CYCLE_1)
	s_and_saveexec_b32 s0, s52
	s_cbranch_execz .LBB187_438
; %bb.436:                              ;   in Loop: Header=BB187_435 Depth=2
	global_load_b32 v25, v1, s[54:55]
	s_wait_loadcnt 0x0
	v_cmp_le_i32_e32 vcc_lo, s1, v25
	s_cbranch_vccnz .LBB187_438
.LBB187_437:                            ;   Parent Loop BB187_3 Depth=1
                                        ;     Parent Loop BB187_435 Depth=2
                                        ; =>    This Inner Loop Header: Depth=3
	global_wb scope:SCOPE_DEV
	s_wait_storecnt 0x0
	global_inv scope:SCOPE_DEV
	global_load_b32 v25, v1, s[54:55]
	s_wait_loadcnt 0x0
	v_cmp_gt_i32_e32 vcc_lo, s1, v25
	s_cbranch_vccnz .LBB187_437
.LBB187_438:                            ;   in Loop: Header=BB187_435 Depth=2
	s_or_b32 exec_lo, exec_lo, s0
	s_lshl_b32 s0, s1, 5
	global_wb scope:SCOPE_DEV
	s_wait_storecnt 0x0
	global_inv scope:SCOPE_DEV
	s_wait_loadcnt 0x0
	s_barrier_signal -1
	s_barrier_wait -1
	s_and_saveexec_b32 s52, s31
	s_cbranch_execz .LBB187_443
; %bb.439:                              ;   in Loop: Header=BB187_435 Depth=2
	v_or_b32_e32 v0, s0, v24
	s_delay_alu instid0(VALU_DEP_1) | instskip(SKIP_1) | instid1(SALU_CYCLE_1)
	v_cmp_le_i32_e32 vcc_lo, s66, v0
	s_and_saveexec_b32 s27, vcc_lo
	s_xor_b32 vcc_lo, exec_lo, s27
; %bb.440:                              ;   in Loop: Header=BB187_435 Depth=2
	v_dual_mov_b32 v0, v1 :: v_dual_mov_b32 v2, v1
	v_mov_b32_e32 v3, v1
	ds_store_b128 v65, v[0:3]
; %bb.441:                              ;   in Loop: Header=BB187_435 Depth=2
	s_and_not1_saveexec_b32 s26, vcc_lo
	s_cbranch_execz .LBB187_443
; %bb.442:                              ;   in Loop: Header=BB187_435 Depth=2
	v_mul_u64_e32 v[2:3], s[58:59], v[0:1]
	s_delay_alu instid0(VALU_DEP_1)
	v_lshl_add_u64 v[2:3], v[2:3], 4, v[42:43]
	flat_load_b128 v[72:75], v[2:3]
	s_wait_loadcnt_dscnt 0x0
	ds_store_2addr_b64 v65, v[72:73], v[74:75] offset1:1
.LBB187_443:                            ;   in Loop: Header=BB187_435 Depth=2
	s_or_b32 exec_lo, exec_lo, s52
	v_add_nc_u32_e32 v0, s0, v20
	v_cmp_ne_u32_e32 vcc_lo, s1, v23
	s_wait_dscnt 0x0
	s_barrier_signal -1
	s_barrier_wait -1
	v_mul_u64_e32 v[2:3], s[56:57], v[0:1]
	v_cmp_gt_i32_e64 s0, s66, v0
	v_cndmask_b32_e64 v71, 0, 1, vcc_lo
	s_and_b32 s26, s2, s0
	v_lshl_add_u64 v[2:3], v[2:3], 4, v[16:17]
	s_and_saveexec_b32 s0, s26
	s_cbranch_execz .LBB187_449
; %bb.444:                              ;   in Loop: Header=BB187_435 Depth=2
	v_mov_b64_e32 v[18:19], v[4:5]
	s_and_not1_b32 vcc_lo, exec_lo, vcc_lo
	s_cbranch_vccnz .LBB187_446
; %bb.445:                              ;   in Loop: Header=BB187_435 Depth=2
	flat_load_b64 v[18:19], v[2:3]
.LBB187_446:                            ;   in Loop: Header=BB187_435 Depth=2
	v_cmp_ne_u32_e32 vcc_lo, 1, v71
	v_mov_b64_e32 v[44:45], v[6:7]
	s_cbranch_vccnz .LBB187_448
; %bb.447:                              ;   in Loop: Header=BB187_435 Depth=2
	flat_load_b64 v[44:45], v[2:3] offset:8
.LBB187_448:                            ;   in Loop: Header=BB187_435 Depth=2
	ds_load_b128 v[72:75], v66
	s_wait_loadcnt_dscnt 0x0
	v_mul_f64_e32 v[76:77], v[44:45], v[74:75]
	v_mul_f64_e32 v[74:75], v[18:19], v[74:75]
	s_delay_alu instid0(VALU_DEP_2) | instskip(NEXT) | instid1(VALU_DEP_2)
	v_fma_f64 v[18:19], v[18:19], v[72:73], -v[76:77]
	v_fmac_f64_e32 v[74:75], v[44:45], v[72:73]
	s_delay_alu instid0(VALU_DEP_2) | instskip(NEXT) | instid1(VALU_DEP_2)
	v_add_f64_e32 v[12:13], v[12:13], v[18:19]
	v_add_f64_e32 v[14:15], v[14:15], v[74:75]
.LBB187_449:                            ;   in Loop: Header=BB187_435 Depth=2
	s_or_b32 exec_lo, exec_lo, s0
	v_add_nc_u32_e32 v0, 16, v0
	s_delay_alu instid0(VALU_DEP_1) | instskip(SKIP_1) | instid1(SALU_CYCLE_1)
	v_cmp_gt_i32_e32 vcc_lo, s66, v0
	s_and_b32 s26, s2, vcc_lo
	s_and_saveexec_b32 s0, s26
	s_cbranch_execz .LBB187_434
; %bb.450:                              ;   in Loop: Header=BB187_435 Depth=2
	v_cmp_ne_u32_e32 vcc_lo, 1, v71
	v_add_nc_u64_e32 v[18:19], s[64:65], v[2:3]
	v_mov_b64_e32 v[2:3], v[8:9]
	s_cbranch_vccnz .LBB187_452
; %bb.451:                              ;   in Loop: Header=BB187_435 Depth=2
	flat_load_b64 v[2:3], v[18:19]
.LBB187_452:                            ;   in Loop: Header=BB187_435 Depth=2
	v_cmp_ne_u32_e32 vcc_lo, 1, v71
	v_mov_b64_e32 v[44:45], v[10:11]
	s_cbranch_vccnz .LBB187_433
; %bb.453:                              ;   in Loop: Header=BB187_435 Depth=2
	flat_load_b64 v[44:45], v[18:19] offset:8
	s_branch .LBB187_433
.LBB187_454:                            ;   in Loop: Header=BB187_3 Depth=1
	ds_store_b128 v67, v[12:15]
	s_wait_dscnt 0x0
	s_barrier_signal -1
	s_barrier_wait -1
	s_and_saveexec_b32 s0, s21
	s_cbranch_execz .LBB187_456
; %bb.455:                              ;   in Loop: Header=BB187_3 Depth=1
	ds_load_b128 v[16:19], v68 offset:512
	ds_load_b128 v[72:75], v68 offset:1024
	s_wait_dscnt 0x1
	v_add_f64_e32 v[2:3], v[12:13], v[16:17]
	v_add_f64_e32 v[12:13], v[14:15], v[18:19]
	s_wait_dscnt 0x0
	s_delay_alu instid0(VALU_DEP_2) | instskip(NEXT) | instid1(VALU_DEP_2)
	v_add_f64_e32 v[2:3], v[2:3], v[72:73]
	v_add_f64_e32 v[44:45], v[12:13], v[74:75]
	ds_load_b128 v[12:15], v68 offset:1536
	ds_load_b128 v[16:19], v68 offset:2048
	s_wait_dscnt 0x1
	v_add_f64_e32 v[2:3], v[2:3], v[12:13]
	v_add_f64_e32 v[12:13], v[44:45], v[14:15]
	s_wait_dscnt 0x0
	s_delay_alu instid0(VALU_DEP_2) | instskip(NEXT) | instid1(VALU_DEP_2)
	v_add_f64_e32 v[2:3], v[2:3], v[16:17]
	v_add_f64_e32 v[44:45], v[12:13], v[18:19]
	;; [unrolled: 9-line block ×7, first 2 shown]
	ds_load_b128 v[12:15], v68 offset:7680
	s_wait_dscnt 0x0
	v_add_f64_e32 v[2:3], v[2:3], v[12:13]
	v_add_f64_e32 v[14:15], v[16:17], v[14:15]
	s_delay_alu instid0(VALU_DEP_2) | instskip(NEXT) | instid1(VALU_DEP_2)
	v_xor_b32_e32 v0, 0x80000000, v3
	v_xor_b32_e32 v3, 0x80000000, v15
	s_delay_alu instid0(VALU_DEP_4) | instskip(NEXT) | instid1(VALU_DEP_4)
	v_cndmask_b32_e64 v12, v2, 0, s99
	v_cndmask_b32_e64 v14, v14, 0, s99
	s_delay_alu instid0(VALU_DEP_4) | instskip(NEXT) | instid1(VALU_DEP_4)
	v_cndmask_b32_e64 v13, v0, 0, s99
	v_cndmask_b32_e64 v15, v3, 0, s99
.LBB187_456:                            ;   in Loop: Header=BB187_3 Depth=1
	s_or_b32 exec_lo, exec_lo, s0
	s_delay_alu instid0(SALU_CYCLE_1)
	s_and_not1_b32 vcc_lo, exec_lo, s70
	s_cbranch_vccnz .LBB187_465
; %bb.457:                              ;   in Loop: Header=BB187_3 Depth=1
	s_and_saveexec_b32 s0, s21
; %bb.458:                              ;   in Loop: Header=BB187_3 Depth=1
	ds_store_b128 v70, v[12:15]
; %bb.459:                              ;   in Loop: Header=BB187_3 Depth=1
	s_or_b32 exec_lo, exec_lo, s0
	v_mov_b64_e32 v[16:17], 0
	v_mov_b64_e32 v[18:19], 0
	s_wait_dscnt 0x0
	s_barrier_signal -1
	s_barrier_wait -1
	s_and_saveexec_b32 s0, s33
	s_cbranch_execz .LBB187_461
; %bb.460:                              ;   in Loop: Header=BB187_3 Depth=1
	ds_load_b128 v[16:19], v66
	ds_load_b128 v[72:75], v69
	s_wait_dscnt 0x0
	v_mul_f64_e32 v[2:3], v[18:19], v[74:75]
	v_mul_f64_e32 v[44:45], v[16:17], v[74:75]
	s_delay_alu instid0(VALU_DEP_2) | instskip(NEXT) | instid1(VALU_DEP_2)
	v_fma_f64 v[2:3], v[16:17], v[72:73], -v[2:3]
	v_fmac_f64_e32 v[44:45], v[18:19], v[72:73]
	s_delay_alu instid0(VALU_DEP_2) | instskip(NEXT) | instid1(VALU_DEP_2)
	v_add_f64_e32 v[16:17], 0, v[2:3]
	v_add_f64_e32 v[18:19], 0, v[44:45]
.LBB187_461:                            ;   in Loop: Header=BB187_3 Depth=1
	s_or_b32 exec_lo, exec_lo, s0
	s_and_saveexec_b32 s0, s34
	s_cbranch_execz .LBB187_463
; %bb.462:                              ;   in Loop: Header=BB187_3 Depth=1
	ds_load_b128 v[72:75], v66 offset:256
	ds_load_b128 v[76:79], v69 offset:8192
	s_wait_dscnt 0x0
	v_mul_f64_e32 v[2:3], v[74:75], v[78:79]
	v_mul_f64_e32 v[44:45], v[72:73], v[78:79]
	s_delay_alu instid0(VALU_DEP_2) | instskip(NEXT) | instid1(VALU_DEP_2)
	v_fma_f64 v[2:3], v[72:73], v[76:77], -v[2:3]
	v_fmac_f64_e32 v[44:45], v[74:75], v[76:77]
	s_delay_alu instid0(VALU_DEP_2) | instskip(NEXT) | instid1(VALU_DEP_2)
	v_add_f64_e32 v[16:17], v[16:17], v[2:3]
	v_add_f64_e32 v[18:19], v[18:19], v[44:45]
.LBB187_463:                            ;   in Loop: Header=BB187_3 Depth=1
	s_or_b32 exec_lo, exec_lo, s0
	s_mov_b32 s1, 0
	s_mov_b32 s0, 0
	ds_store_b128 v67, v[16:19]
	s_wait_dscnt 0x0
	s_barrier_signal -1
	s_barrier_wait -1
                                        ; implicit-def: $vgpr2_vgpr3
                                        ; implicit-def: $vgpr44_vgpr45
	s_and_saveexec_b32 s52, s21
	s_cbranch_execz .LBB187_491
; %bb.464:                              ;   in Loop: Header=BB187_3 Depth=1
	ds_load_b128 v[72:75], v68 offset:512
	ds_load_b128 v[76:79], v68 offset:1024
	s_mov_b32 s0, exec_lo
	s_wait_dscnt 0x1
	v_add_f64_e32 v[2:3], v[16:17], v[72:73]
	v_add_f64_e32 v[16:17], v[18:19], v[74:75]
	s_wait_dscnt 0x0
	s_delay_alu instid0(VALU_DEP_2) | instskip(NEXT) | instid1(VALU_DEP_2)
	v_add_f64_e32 v[2:3], v[2:3], v[76:77]
	v_add_f64_e32 v[44:45], v[16:17], v[78:79]
	ds_load_b128 v[16:19], v68 offset:1536
	ds_load_b128 v[72:75], v68 offset:2048
	s_wait_dscnt 0x1
	v_add_f64_e32 v[2:3], v[2:3], v[16:17]
	v_add_f64_e32 v[16:17], v[44:45], v[18:19]
	s_wait_dscnt 0x0
	s_delay_alu instid0(VALU_DEP_2) | instskip(NEXT) | instid1(VALU_DEP_2)
	v_add_f64_e32 v[2:3], v[2:3], v[72:73]
	v_add_f64_e32 v[44:45], v[16:17], v[74:75]
	ds_load_b128 v[16:19], v68 offset:2560
	ds_load_b128 v[72:75], v68 offset:3072
	;; [unrolled: 9-line block ×6, first 2 shown]
	s_wait_dscnt 0x1
	v_add_f64_e32 v[2:3], v[2:3], v[16:17]
	v_add_f64_e32 v[16:17], v[44:45], v[18:19]
	s_wait_dscnt 0x0
	s_delay_alu instid0(VALU_DEP_2) | instskip(NEXT) | instid1(VALU_DEP_2)
	v_add_f64_e32 v[2:3], v[2:3], v[72:73]
	v_add_f64_e32 v[72:73], v[16:17], v[74:75]
	ds_load_b128 v[16:19], v68 offset:7680
	s_wait_dscnt 0x0
	v_add_f64_e32 v[44:45], v[2:3], v[16:17]
	v_add_f64_e32 v[2:3], v[72:73], v[18:19]
	s_or_b32 exec_lo, exec_lo, s52
	s_delay_alu instid0(SALU_CYCLE_1)
	s_and_b32 vcc_lo, exec_lo, s1
	s_cbranch_vccnz .LBB187_466
	s_branch .LBB187_492
.LBB187_465:                            ;   in Loop: Header=BB187_3 Depth=1
	s_mov_b32 s0, 0
                                        ; implicit-def: $vgpr2_vgpr3
                                        ; implicit-def: $vgpr44_vgpr45
	s_cbranch_execz .LBB187_492
.LBB187_466:                            ;   in Loop: Header=BB187_3 Depth=1
	v_dual_mov_b32 v0, v22 :: v_dual_mov_b32 v2, v49
	s_mov_b32 s1, 0
	s_branch .LBB187_468
.LBB187_467:                            ;   in Loop: Header=BB187_468 Depth=2
	s_or_b32 exec_lo, exec_lo, s52
	v_add_nc_u32_e32 v2, 0x400, v2
	v_add_nc_u32_e32 v0, -2, v0
	s_add_co_i32 s1, s1, 2
	s_delay_alu instid0(SALU_CYCLE_1)
	s_cmp_lg_u32 s1, 32
	s_barrier_signal -1
	s_barrier_wait -1
	s_cbranch_scc0 .LBB187_476
.LBB187_468:                            ;   Parent Loop BB187_3 Depth=1
                                        ; =>  This Inner Loop Header: Depth=2
	s_delay_alu instid0(VALU_DEP_1) | instskip(SKIP_1) | instid1(SALU_CYCLE_1)
	v_cmp_eq_u32_e32 vcc_lo, 0, v0
	s_and_b32 s26, s21, vcc_lo
	s_and_saveexec_b32 s52, s26
; %bb.469:                              ;   in Loop: Header=BB187_468 Depth=2
	ds_store_b128 v1, v[12:15] offset:25088
; %bb.470:                              ;   in Loop: Header=BB187_468 Depth=2
	s_or_b32 exec_lo, exec_lo, s52
	v_cmp_lt_u32_e32 vcc_lo, s1, v22
	s_wait_dscnt 0x0
	s_barrier_signal -1
	s_barrier_wait -1
	s_and_b32 s26, s21, vcc_lo
	s_delay_alu instid0(SALU_CYCLE_1)
	s_and_saveexec_b32 s52, s26
	s_cbranch_execz .LBB187_472
; %bb.471:                              ;   in Loop: Header=BB187_468 Depth=2
	ds_load_b128 v[16:19], v1 offset:25088
	ds_load_b128 v[72:75], v2
	s_wait_dscnt 0x0
	v_mul_f64_e32 v[44:45], v[18:19], v[74:75]
	v_mul_f64_e32 v[74:75], v[16:17], v[74:75]
	s_delay_alu instid0(VALU_DEP_2) | instskip(NEXT) | instid1(VALU_DEP_2)
	v_fma_f64 v[16:17], v[16:17], v[72:73], -v[44:45]
	v_fmac_f64_e32 v[74:75], v[18:19], v[72:73]
	s_delay_alu instid0(VALU_DEP_2) | instskip(NEXT) | instid1(VALU_DEP_2)
	v_add_f64_e32 v[12:13], v[12:13], v[16:17]
	v_add_f64_e32 v[14:15], v[14:15], v[74:75]
.LBB187_472:                            ;   in Loop: Header=BB187_468 Depth=2
	s_or_b32 exec_lo, exec_lo, s52
	s_or_b32 s52, s1, 1
	s_delay_alu instid0(SALU_CYCLE_1) | instskip(SKIP_3) | instid1(SALU_CYCLE_1)
	v_cmp_eq_u32_e32 vcc_lo, s52, v22
	s_barrier_signal -1
	s_barrier_wait -1
	s_and_b32 s26, s21, vcc_lo
	s_and_saveexec_b32 s54, s26
; %bb.473:                              ;   in Loop: Header=BB187_468 Depth=2
	ds_store_b128 v1, v[12:15] offset:25088
; %bb.474:                              ;   in Loop: Header=BB187_468 Depth=2
	s_or_b32 exec_lo, exec_lo, s54
	v_cmp_lt_u32_e32 vcc_lo, s52, v22
	s_wait_dscnt 0x0
	s_barrier_signal -1
	s_barrier_wait -1
	s_and_b32 s26, s21, vcc_lo
	s_delay_alu instid0(SALU_CYCLE_1)
	s_and_saveexec_b32 s52, s26
	s_cbranch_execz .LBB187_467
; %bb.475:                              ;   in Loop: Header=BB187_468 Depth=2
	ds_load_b128 v[16:19], v1 offset:25088
	ds_load_b128 v[72:75], v2 offset:512
	s_wait_dscnt 0x0
	v_mul_f64_e32 v[44:45], v[18:19], v[74:75]
	v_mul_f64_e32 v[74:75], v[16:17], v[74:75]
	s_delay_alu instid0(VALU_DEP_2) | instskip(NEXT) | instid1(VALU_DEP_2)
	v_fma_f64 v[16:17], v[16:17], v[72:73], -v[44:45]
	v_fmac_f64_e32 v[74:75], v[18:19], v[72:73]
	s_delay_alu instid0(VALU_DEP_2) | instskip(NEXT) | instid1(VALU_DEP_2)
	v_add_f64_e32 v[12:13], v[12:13], v[16:17]
	v_add_f64_e32 v[14:15], v[14:15], v[74:75]
	s_branch .LBB187_467
.LBB187_476:                            ;   in Loop: Header=BB187_3 Depth=1
	s_and_b32 vcc_lo, exec_lo, s69
	s_mov_b32 s1, -1
	s_cbranch_vccz .LBB187_478
; %bb.477:                              ;   in Loop: Header=BB187_3 Depth=1
	s_and_not1_b32 s0, s0, exec_lo
	s_and_b32 s26, s21, exec_lo
	s_mov_b32 s1, 0
	s_or_b32 s0, s0, s26
.LBB187_478:                            ;   in Loop: Header=BB187_3 Depth=1
	s_and_not1_b32 vcc_lo, exec_lo, s1
	s_cbranch_vccnz .LBB187_480
; %bb.479:                              ;   in Loop: Header=BB187_3 Depth=1
	v_readlane_b32 s1, v80, 21
	s_and_not1_b32 s0, s0, exec_lo
	s_and_b32 s1, s1, exec_lo
	s_delay_alu instid0(SALU_CYCLE_1)
	s_or_b32 s0, s0, s1
.LBB187_480:                            ;   in Loop: Header=BB187_3 Depth=1
	v_mov_b64_e32 v[2:3], v[34:35]
	s_and_saveexec_b32 s1, s0
	s_cbranch_execnz .LBB187_493
	s_branch .LBB187_494
.LBB187_481:                            ;   in Loop: Header=BB187_3 Depth=1
	v_lshl_add_u64 v[2:3], v[36:37], 4, v[42:43]
	s_or_b32 s0, s0, exec_lo
	flat_load_b128 v[12:15], v[2:3]
	s_wait_loadcnt_dscnt 0x0
	v_xor_b32_e32 v13, 0x80000000, v13
	v_xor_b32_e32 v15, 0x80000000, v15
	s_or_b32 exec_lo, exec_lo, s1
	s_and_saveexec_b32 s1, s0
	s_cbranch_execz .LBB187_14
.LBB187_482:                            ;   in Loop: Header=BB187_3 Depth=1
	ds_store_b128 v69, v[12:15]
	s_or_b32 exec_lo, exec_lo, s1
	s_and_saveexec_b32 s0, s23
	s_delay_alu instid0(SALU_CYCLE_1)
	s_xor_b32 s0, exec_lo, s0
	s_cbranch_execz .LBB187_15
.LBB187_483:                            ;   in Loop: Header=BB187_3 Depth=1
	s_and_saveexec_b32 s1, s36
; %bb.484:                              ;   in Loop: Header=BB187_3 Depth=1
	v_dual_mov_b32 v0, v1 :: v_dual_mov_b32 v2, v1
	v_mov_b32_e32 v3, v1
	ds_store_b128 v21, v[0:3]
; %bb.485:                              ;   in Loop: Header=BB187_3 Depth=1
	s_or_b32 exec_lo, exec_lo, s1
	s_and_not1_saveexec_b32 s0, s0
	s_cbranch_execnz .LBB187_16
	s_branch .LBB187_17
.LBB187_486:                            ;   in Loop: Header=BB187_3 Depth=1
	v_lshl_add_u64 v[2:3], v[36:37], 4, v[42:43]
	s_or_b32 s0, s0, exec_lo
	flat_load_b128 v[12:15], v[2:3]
	s_wait_loadcnt_dscnt 0x0
	v_xor_b32_e32 v13, 0x80000000, v13
	v_xor_b32_e32 v15, 0x80000000, v15
	s_or_b32 exec_lo, exec_lo, s1
	s_and_saveexec_b32 s1, s0
	s_cbranch_execz .LBB187_23
.LBB187_487:                            ;   in Loop: Header=BB187_3 Depth=1
	ds_store_b128 v69, v[12:15]
	s_or_b32 exec_lo, exec_lo, s1
	s_and_saveexec_b32 s0, s104
	s_delay_alu instid0(SALU_CYCLE_1)
	s_xor_b32 s0, exec_lo, s0
	s_cbranch_execz .LBB187_24
.LBB187_488:                            ;   in Loop: Header=BB187_3 Depth=1
	s_and_saveexec_b32 s1, s36
; %bb.489:                              ;   in Loop: Header=BB187_3 Depth=1
	v_dual_mov_b32 v0, v1 :: v_dual_mov_b32 v2, v1
	v_mov_b32_e32 v3, v1
	ds_store_b128 v21, v[0:3]
; %bb.490:                              ;   in Loop: Header=BB187_3 Depth=1
	s_or_b32 exec_lo, exec_lo, s1
                                        ; implicit-def: $vgpr42_vgpr43
	s_and_not1_saveexec_b32 s0, s0
	s_cbranch_execnz .LBB187_25
	s_branch .LBB187_26
.LBB187_491:                            ;   in Loop: Header=BB187_3 Depth=1
	s_or_b32 exec_lo, exec_lo, s52
	s_delay_alu instid0(SALU_CYCLE_1)
	s_and_b32 vcc_lo, exec_lo, s1
	s_cbranch_vccnz .LBB187_466
.LBB187_492:                            ;   in Loop: Header=BB187_3 Depth=1
	s_delay_alu instid0(VALU_DEP_1) | instskip(NEXT) | instid1(VALU_DEP_3)
	v_mov_b64_e32 v[14:15], v[2:3]
	v_mov_b64_e32 v[12:13], v[44:45]
	;; [unrolled: 1-line block ×3, first 2 shown]
	s_and_saveexec_b32 s1, s0
	s_cbranch_execz .LBB187_494
.LBB187_493:                            ;   in Loop: Header=BB187_3 Depth=1
	s_delay_alu instid0(VALU_DEP_1)
	v_lshl_add_u64 v[2:3], v[2:3], 4, v[42:43]
	flat_store_b128 v[2:3], v[12:15]
.LBB187_494:                            ;   in Loop: Header=BB187_3 Depth=1
	s_wait_xcnt 0x0
	s_or_b32 exec_lo, exec_lo, s1
	global_wb scope:SCOPE_DEV
	s_wait_storecnt_dscnt 0x0
	global_inv scope:SCOPE_DEV
	s_wait_loadcnt 0x0
	s_barrier_signal -1
	s_barrier_wait -1
	s_and_saveexec_b32 s0, s30
	s_cbranch_execz .LBB187_2
; %bb.495:                              ;   in Loop: Header=BB187_3 Depth=1
	s_lshl_b64 s[54:55], s[38:39], 2
	s_delay_alu instid0(SALU_CYCLE_1)
	s_add_nc_u64 s[54:55], s[60:61], s[54:55]
	global_load_b32 v0, v1, s[54:55]
	s_wait_loadcnt 0x0
	v_add_nc_u32_e32 v0, 1, v0
	global_store_b32 v1, v0, s[54:55]
	s_branch .LBB187_2
.LBB187_496:                            ;   in Loop: Header=BB187_3 Depth=1
	ds_load_b128 v[42:45], v51 offset:16
	ds_load_b128 v[72:75], v54 offset:576
	s_wait_dscnt 0x0
	v_mul_f64_e32 v[2:3], v[44:45], v[74:75]
	v_mul_f64_e32 v[74:75], v[42:43], v[74:75]
	s_delay_alu instid0(VALU_DEP_2) | instskip(NEXT) | instid1(VALU_DEP_2)
	v_fma_f64 v[2:3], v[42:43], v[72:73], -v[2:3]
	v_fmac_f64_e32 v[74:75], v[44:45], v[72:73]
	s_delay_alu instid0(VALU_DEP_2) | instskip(NEXT) | instid1(VALU_DEP_2)
	v_add_f64_e32 v[12:13], v[12:13], v[2:3]
	v_add_f64_e32 v[14:15], v[14:15], v[74:75]
	s_or_b32 exec_lo, exec_lo, s1
	s_and_saveexec_b32 s1, s7
	s_cbranch_execz .LBB187_47
.LBB187_497:                            ;   in Loop: Header=BB187_3 Depth=1
	ds_load_b128 v[42:45], v51 offset:32
	ds_load_b128 v[72:75], v53 offset:1088
	s_wait_dscnt 0x0
	v_mul_f64_e32 v[2:3], v[44:45], v[74:75]
	v_mul_f64_e32 v[74:75], v[42:43], v[74:75]
	s_delay_alu instid0(VALU_DEP_2) | instskip(NEXT) | instid1(VALU_DEP_2)
	v_fma_f64 v[2:3], v[42:43], v[72:73], -v[2:3]
	v_fmac_f64_e32 v[74:75], v[44:45], v[72:73]
	s_delay_alu instid0(VALU_DEP_2) | instskip(NEXT) | instid1(VALU_DEP_2)
	v_add_f64_e32 v[12:13], v[12:13], v[2:3]
	v_add_f64_e32 v[14:15], v[14:15], v[74:75]
	s_or_b32 exec_lo, exec_lo, s1
	s_and_saveexec_b32 s1, s3
	s_cbranch_execnz .LBB187_48
	s_branch .LBB187_49
.LBB187_498:                            ;   in Loop: Header=BB187_3 Depth=1
	ds_load_b128 v[42:45], v55 offset:80
	ds_load_b128 v[72:75], v59 offset:2688
	s_wait_dscnt 0x0
	v_mul_f64_e32 v[2:3], v[44:45], v[74:75]
	v_mul_f64_e32 v[74:75], v[42:43], v[74:75]
	s_delay_alu instid0(VALU_DEP_2) | instskip(NEXT) | instid1(VALU_DEP_2)
	v_fma_f64 v[2:3], v[42:43], v[72:73], -v[2:3]
	v_fmac_f64_e32 v[74:75], v[44:45], v[72:73]
	s_delay_alu instid0(VALU_DEP_2) | instskip(NEXT) | instid1(VALU_DEP_2)
	v_add_f64_e32 v[12:13], v[12:13], v[2:3]
	v_add_f64_e32 v[14:15], v[14:15], v[74:75]
	s_or_b32 exec_lo, exec_lo, s1
	s_and_saveexec_b32 s1, s5
	s_cbranch_execz .LBB187_93
.LBB187_499:                            ;   in Loop: Header=BB187_3 Depth=1
	ds_load_b128 v[42:45], v55 offset:96
	ds_load_b128 v[72:75], v58 offset:3200
	s_wait_dscnt 0x0
	v_mul_f64_e32 v[2:3], v[44:45], v[74:75]
	v_mul_f64_e32 v[74:75], v[42:43], v[74:75]
	s_delay_alu instid0(VALU_DEP_2) | instskip(NEXT) | instid1(VALU_DEP_2)
	v_fma_f64 v[2:3], v[42:43], v[72:73], -v[2:3]
	v_fmac_f64_e32 v[74:75], v[44:45], v[72:73]
	s_delay_alu instid0(VALU_DEP_2) | instskip(NEXT) | instid1(VALU_DEP_2)
	v_add_f64_e32 v[12:13], v[12:13], v[2:3]
	v_add_f64_e32 v[14:15], v[14:15], v[74:75]
	s_or_b32 exec_lo, exec_lo, s1
	s_and_saveexec_b32 s1, s7
	s_cbranch_execnz .LBB187_94
	s_branch .LBB187_95
.LBB187_500:                            ;   in Loop: Header=BB187_3 Depth=1
	ds_load_b128 v[42:45], v51 offset:4240
	ds_load_b128 v[72:75], v54 offset:4800
	s_wait_dscnt 0x0
	v_mul_f64_e32 v[2:3], v[44:45], v[74:75]
	v_mul_f64_e32 v[74:75], v[42:43], v[74:75]
	s_delay_alu instid0(VALU_DEP_2) | instskip(NEXT) | instid1(VALU_DEP_2)
	v_fma_f64 v[2:3], v[42:43], v[72:73], -v[2:3]
	v_fmac_f64_e32 v[74:75], v[44:45], v[72:73]
	s_delay_alu instid0(VALU_DEP_2) | instskip(NEXT) | instid1(VALU_DEP_2)
	v_add_f64_e32 v[12:13], v[12:13], v[2:3]
	v_add_f64_e32 v[14:15], v[14:15], v[74:75]
	s_or_b32 exec_lo, exec_lo, s1
	s_and_saveexec_b32 s1, s7
	s_cbranch_execz .LBB187_147
.LBB187_501:                            ;   in Loop: Header=BB187_3 Depth=1
	ds_load_b128 v[42:45], v51 offset:4256
	ds_load_b128 v[72:75], v53 offset:5312
	s_wait_dscnt 0x0
	v_mul_f64_e32 v[2:3], v[44:45], v[74:75]
	v_mul_f64_e32 v[74:75], v[42:43], v[74:75]
	s_delay_alu instid0(VALU_DEP_2) | instskip(NEXT) | instid1(VALU_DEP_2)
	v_fma_f64 v[2:3], v[42:43], v[72:73], -v[2:3]
	v_fmac_f64_e32 v[74:75], v[44:45], v[72:73]
	s_delay_alu instid0(VALU_DEP_2) | instskip(NEXT) | instid1(VALU_DEP_2)
	v_add_f64_e32 v[12:13], v[12:13], v[2:3]
	v_add_f64_e32 v[14:15], v[14:15], v[74:75]
	s_or_b32 exec_lo, exec_lo, s1
	s_and_saveexec_b32 s1, s3
	s_cbranch_execnz .LBB187_148
	s_branch .LBB187_149
.LBB187_502:                            ;   in Loop: Header=BB187_3 Depth=1
	ds_load_b128 v[42:45], v0 offset:176
	ds_load_b128 v[72:75], v64 offset:5888
	s_wait_dscnt 0x0
	v_mul_f64_e32 v[2:3], v[44:45], v[74:75]
	v_mul_f64_e32 v[74:75], v[42:43], v[74:75]
	s_delay_alu instid0(VALU_DEP_2) | instskip(NEXT) | instid1(VALU_DEP_2)
	v_fma_f64 v[2:3], v[42:43], v[72:73], -v[2:3]
	v_fmac_f64_e32 v[74:75], v[44:45], v[72:73]
	s_delay_alu instid0(VALU_DEP_2) | instskip(NEXT) | instid1(VALU_DEP_2)
	v_add_f64_e32 v[12:13], v[12:13], v[2:3]
	v_add_f64_e32 v[14:15], v[14:15], v[74:75]
	s_or_b32 exec_lo, exec_lo, s1
	s_and_saveexec_b32 s1, s8
	s_cbranch_execz .LBB187_205
.LBB187_503:                            ;   in Loop: Header=BB187_3 Depth=1
	ds_load_b128 v[42:45], v0 offset:192
	ds_load_b128 v[72:75], v64 offset:6400
	s_wait_dscnt 0x0
	v_mul_f64_e32 v[2:3], v[44:45], v[74:75]
	v_mul_f64_e32 v[74:75], v[42:43], v[74:75]
	s_delay_alu instid0(VALU_DEP_2) | instskip(NEXT) | instid1(VALU_DEP_2)
	v_fma_f64 v[2:3], v[42:43], v[72:73], -v[2:3]
	v_fmac_f64_e32 v[74:75], v[44:45], v[72:73]
	s_delay_alu instid0(VALU_DEP_2) | instskip(NEXT) | instid1(VALU_DEP_2)
	v_add_f64_e32 v[12:13], v[12:13], v[2:3]
	v_add_f64_e32 v[14:15], v[14:15], v[74:75]
	s_or_b32 exec_lo, exec_lo, s1
	s_and_saveexec_b32 s1, s10
	s_cbranch_execz .LBB187_206
.LBB187_504:                            ;   in Loop: Header=BB187_3 Depth=1
	ds_load_b128 v[42:45], v0 offset:208
	ds_load_b128 v[72:75], v64 offset:6912
	s_wait_dscnt 0x0
	v_mul_f64_e32 v[2:3], v[44:45], v[74:75]
	v_mul_f64_e32 v[74:75], v[42:43], v[74:75]
	s_delay_alu instid0(VALU_DEP_2) | instskip(NEXT) | instid1(VALU_DEP_2)
	v_fma_f64 v[2:3], v[42:43], v[72:73], -v[2:3]
	v_fmac_f64_e32 v[74:75], v[44:45], v[72:73]
	s_delay_alu instid0(VALU_DEP_2) | instskip(NEXT) | instid1(VALU_DEP_2)
	v_add_f64_e32 v[12:13], v[12:13], v[2:3]
	v_add_f64_e32 v[14:15], v[14:15], v[74:75]
	s_or_b32 exec_lo, exec_lo, s1
	s_and_saveexec_b32 s1, s12
	s_cbranch_execz .LBB187_207
.LBB187_505:                            ;   in Loop: Header=BB187_3 Depth=1
	ds_load_b128 v[42:45], v0 offset:224
	ds_load_b128 v[72:75], v64 offset:7424
	s_wait_dscnt 0x0
	v_mul_f64_e32 v[2:3], v[44:45], v[74:75]
	v_mul_f64_e32 v[74:75], v[42:43], v[74:75]
	s_delay_alu instid0(VALU_DEP_2) | instskip(NEXT) | instid1(VALU_DEP_2)
	v_fma_f64 v[2:3], v[42:43], v[72:73], -v[2:3]
	v_fmac_f64_e32 v[74:75], v[44:45], v[72:73]
	s_delay_alu instid0(VALU_DEP_2) | instskip(NEXT) | instid1(VALU_DEP_2)
	v_add_f64_e32 v[12:13], v[12:13], v[2:3]
	v_add_f64_e32 v[14:15], v[14:15], v[74:75]
	s_or_b32 exec_lo, exec_lo, s1
	s_and_saveexec_b32 s1, s5
	s_cbranch_execnz .LBB187_208
	s_branch .LBB187_209
.LBB187_506:                            ;   in Loop: Header=BB187_3 Depth=1
	ds_load_b128 v[42:45], v51 offset:8464
	ds_load_b128 v[72:75], v54 offset:9024
	s_wait_dscnt 0x0
	v_mul_f64_e32 v[2:3], v[44:45], v[74:75]
	v_mul_f64_e32 v[74:75], v[42:43], v[74:75]
	s_delay_alu instid0(VALU_DEP_2) | instskip(NEXT) | instid1(VALU_DEP_2)
	v_fma_f64 v[2:3], v[42:43], v[72:73], -v[2:3]
	v_fmac_f64_e32 v[74:75], v[44:45], v[72:73]
	s_delay_alu instid0(VALU_DEP_2) | instskip(NEXT) | instid1(VALU_DEP_2)
	v_add_f64_e32 v[12:13], v[12:13], v[2:3]
	v_add_f64_e32 v[14:15], v[14:15], v[74:75]
	s_or_b32 exec_lo, exec_lo, s1
	s_and_saveexec_b32 s1, s7
	s_cbranch_execz .LBB187_293
.LBB187_507:                            ;   in Loop: Header=BB187_3 Depth=1
	ds_load_b128 v[42:45], v51 offset:8480
	ds_load_b128 v[72:75], v53 offset:9536
	s_wait_dscnt 0x0
	v_mul_f64_e32 v[2:3], v[44:45], v[74:75]
	v_mul_f64_e32 v[74:75], v[42:43], v[74:75]
	s_delay_alu instid0(VALU_DEP_2) | instskip(NEXT) | instid1(VALU_DEP_2)
	v_fma_f64 v[2:3], v[42:43], v[72:73], -v[2:3]
	v_fmac_f64_e32 v[74:75], v[44:45], v[72:73]
	s_delay_alu instid0(VALU_DEP_2) | instskip(NEXT) | instid1(VALU_DEP_2)
	v_add_f64_e32 v[12:13], v[12:13], v[2:3]
	v_add_f64_e32 v[14:15], v[14:15], v[74:75]
	s_or_b32 exec_lo, exec_lo, s1
	s_and_saveexec_b32 s1, s3
	s_cbranch_execnz .LBB187_294
	s_branch .LBB187_295
.LBB187_508:                            ;   in Loop: Header=BB187_3 Depth=1
	ds_load_b128 v[42:45], v55 offset:8528
	ds_load_b128 v[72:75], v59 offset:11136
	s_wait_dscnt 0x0
	v_mul_f64_e32 v[2:3], v[44:45], v[74:75]
	v_mul_f64_e32 v[74:75], v[42:43], v[74:75]
	s_delay_alu instid0(VALU_DEP_2) | instskip(NEXT) | instid1(VALU_DEP_2)
	v_fma_f64 v[2:3], v[42:43], v[72:73], -v[2:3]
	v_fmac_f64_e32 v[74:75], v[44:45], v[72:73]
	s_delay_alu instid0(VALU_DEP_2) | instskip(NEXT) | instid1(VALU_DEP_2)
	v_add_f64_e32 v[12:13], v[12:13], v[2:3]
	v_add_f64_e32 v[14:15], v[14:15], v[74:75]
	s_or_b32 exec_lo, exec_lo, s1
	s_and_saveexec_b32 s1, s5
	s_cbranch_execz .LBB187_339
.LBB187_509:                            ;   in Loop: Header=BB187_3 Depth=1
	ds_load_b128 v[42:45], v55 offset:8544
	ds_load_b128 v[72:75], v58 offset:11648
	s_wait_dscnt 0x0
	v_mul_f64_e32 v[2:3], v[44:45], v[74:75]
	v_mul_f64_e32 v[74:75], v[42:43], v[74:75]
	s_delay_alu instid0(VALU_DEP_2) | instskip(NEXT) | instid1(VALU_DEP_2)
	v_fma_f64 v[2:3], v[42:43], v[72:73], -v[2:3]
	v_fmac_f64_e32 v[74:75], v[44:45], v[72:73]
	s_delay_alu instid0(VALU_DEP_2) | instskip(NEXT) | instid1(VALU_DEP_2)
	v_add_f64_e32 v[12:13], v[12:13], v[2:3]
	v_add_f64_e32 v[14:15], v[14:15], v[74:75]
	s_or_b32 exec_lo, exec_lo, s1
	s_and_saveexec_b32 s1, s7
	s_cbranch_execnz .LBB187_340
	s_branch .LBB187_341
.LBB187_510:                            ;   in Loop: Header=BB187_3 Depth=1
	ds_load_b128 v[42:45], v51 offset:12688
	ds_load_b128 v[72:75], v54 offset:13248
	s_wait_dscnt 0x0
	v_mul_f64_e32 v[2:3], v[44:45], v[74:75]
	v_mul_f64_e32 v[74:75], v[42:43], v[74:75]
	s_delay_alu instid0(VALU_DEP_2) | instskip(NEXT) | instid1(VALU_DEP_2)
	v_fma_f64 v[2:3], v[42:43], v[72:73], -v[2:3]
	v_fmac_f64_e32 v[74:75], v[44:45], v[72:73]
	s_delay_alu instid0(VALU_DEP_2) | instskip(NEXT) | instid1(VALU_DEP_2)
	v_add_f64_e32 v[12:13], v[12:13], v[2:3]
	v_add_f64_e32 v[14:15], v[14:15], v[74:75]
	s_or_b32 exec_lo, exec_lo, s1
	s_and_saveexec_b32 s1, s7
	s_cbranch_execz .LBB187_393
.LBB187_511:                            ;   in Loop: Header=BB187_3 Depth=1
	ds_load_b128 v[42:45], v51 offset:12704
	ds_load_b128 v[72:75], v53 offset:13760
	s_wait_dscnt 0x0
	v_mul_f64_e32 v[2:3], v[44:45], v[74:75]
	v_mul_f64_e32 v[74:75], v[42:43], v[74:75]
	s_delay_alu instid0(VALU_DEP_2) | instskip(NEXT) | instid1(VALU_DEP_2)
	v_fma_f64 v[2:3], v[42:43], v[72:73], -v[2:3]
	v_fmac_f64_e32 v[74:75], v[44:45], v[72:73]
	s_delay_alu instid0(VALU_DEP_2) | instskip(NEXT) | instid1(VALU_DEP_2)
	v_add_f64_e32 v[12:13], v[12:13], v[2:3]
	v_add_f64_e32 v[14:15], v[14:15], v[74:75]
	s_or_b32 exec_lo, exec_lo, s1
	s_and_saveexec_b32 s1, s3
	s_cbranch_execnz .LBB187_394
	s_branch .LBB187_395
.LBB187_512:
	s_endpgm
	.section	.rodata,"a",@progbits
	.p2align	6, 0x0
	.amdhsa_kernel _ZL19rocblas_trsv_deviceILi32ELi16ELb1ELb0ELb0ELb1E19rocblas_complex_numIdES1_PKPKS1_PKPS1_EviT7_lllT6_T8_lllPii
		.amdhsa_group_segment_fixed_size 25104
		.amdhsa_private_segment_fixed_size 0
		.amdhsa_kernarg_size 360
		.amdhsa_user_sgpr_count 2
		.amdhsa_user_sgpr_dispatch_ptr 0
		.amdhsa_user_sgpr_queue_ptr 0
		.amdhsa_user_sgpr_kernarg_segment_ptr 1
		.amdhsa_user_sgpr_dispatch_id 0
		.amdhsa_user_sgpr_kernarg_preload_length 0
		.amdhsa_user_sgpr_kernarg_preload_offset 0
		.amdhsa_user_sgpr_private_segment_size 0
		.amdhsa_wavefront_size32 1
		.amdhsa_uses_dynamic_stack 0
		.amdhsa_enable_private_segment 0
		.amdhsa_system_sgpr_workgroup_id_x 1
		.amdhsa_system_sgpr_workgroup_id_y 0
		.amdhsa_system_sgpr_workgroup_id_z 1
		.amdhsa_system_sgpr_workgroup_info 0
		.amdhsa_system_vgpr_workitem_id 1
		.amdhsa_next_free_vgpr 81
		.amdhsa_next_free_sgpr 105
		.amdhsa_named_barrier_count 0
		.amdhsa_reserve_vcc 1
		.amdhsa_float_round_mode_32 0
		.amdhsa_float_round_mode_16_64 0
		.amdhsa_float_denorm_mode_32 3
		.amdhsa_float_denorm_mode_16_64 3
		.amdhsa_fp16_overflow 0
		.amdhsa_memory_ordered 1
		.amdhsa_forward_progress 1
		.amdhsa_inst_pref_size 140
		.amdhsa_round_robin_scheduling 0
		.amdhsa_exception_fp_ieee_invalid_op 0
		.amdhsa_exception_fp_denorm_src 0
		.amdhsa_exception_fp_ieee_div_zero 0
		.amdhsa_exception_fp_ieee_overflow 0
		.amdhsa_exception_fp_ieee_underflow 0
		.amdhsa_exception_fp_ieee_inexact 0
		.amdhsa_exception_int_div_zero 0
	.end_amdhsa_kernel
	.section	.text._ZL19rocblas_trsv_deviceILi32ELi16ELb1ELb0ELb0ELb1E19rocblas_complex_numIdES1_PKPKS1_PKPS1_EviT7_lllT6_T8_lllPii,"axG",@progbits,_ZL19rocblas_trsv_deviceILi32ELi16ELb1ELb0ELb0ELb1E19rocblas_complex_numIdES1_PKPKS1_PKPS1_EviT7_lllT6_T8_lllPii,comdat
.Lfunc_end187:
	.size	_ZL19rocblas_trsv_deviceILi32ELi16ELb1ELb0ELb0ELb1E19rocblas_complex_numIdES1_PKPKS1_PKPS1_EviT7_lllT6_T8_lllPii, .Lfunc_end187-_ZL19rocblas_trsv_deviceILi32ELi16ELb1ELb0ELb0ELb1E19rocblas_complex_numIdES1_PKPKS1_PKPS1_EviT7_lllT6_T8_lllPii
                                        ; -- End function
	.set _ZL19rocblas_trsv_deviceILi32ELi16ELb1ELb0ELb0ELb1E19rocblas_complex_numIdES1_PKPKS1_PKPS1_EviT7_lllT6_T8_lllPii.num_vgpr, 81
	.set _ZL19rocblas_trsv_deviceILi32ELi16ELb1ELb0ELb0ELb1E19rocblas_complex_numIdES1_PKPKS1_PKPS1_EviT7_lllT6_T8_lllPii.num_agpr, 0
	.set _ZL19rocblas_trsv_deviceILi32ELi16ELb1ELb0ELb0ELb1E19rocblas_complex_numIdES1_PKPKS1_PKPS1_EviT7_lllT6_T8_lllPii.numbered_sgpr, 105
	.set _ZL19rocblas_trsv_deviceILi32ELi16ELb1ELb0ELb0ELb1E19rocblas_complex_numIdES1_PKPKS1_PKPS1_EviT7_lllT6_T8_lllPii.num_named_barrier, 0
	.set _ZL19rocblas_trsv_deviceILi32ELi16ELb1ELb0ELb0ELb1E19rocblas_complex_numIdES1_PKPKS1_PKPS1_EviT7_lllT6_T8_lllPii.private_seg_size, 0
	.set _ZL19rocblas_trsv_deviceILi32ELi16ELb1ELb0ELb0ELb1E19rocblas_complex_numIdES1_PKPKS1_PKPS1_EviT7_lllT6_T8_lllPii.uses_vcc, 1
	.set _ZL19rocblas_trsv_deviceILi32ELi16ELb1ELb0ELb0ELb1E19rocblas_complex_numIdES1_PKPKS1_PKPS1_EviT7_lllT6_T8_lllPii.uses_flat_scratch, 0
	.set _ZL19rocblas_trsv_deviceILi32ELi16ELb1ELb0ELb0ELb1E19rocblas_complex_numIdES1_PKPKS1_PKPS1_EviT7_lllT6_T8_lllPii.has_dyn_sized_stack, 0
	.set _ZL19rocblas_trsv_deviceILi32ELi16ELb1ELb0ELb0ELb1E19rocblas_complex_numIdES1_PKPKS1_PKPS1_EviT7_lllT6_T8_lllPii.has_recursion, 0
	.set _ZL19rocblas_trsv_deviceILi32ELi16ELb1ELb0ELb0ELb1E19rocblas_complex_numIdES1_PKPKS1_PKPS1_EviT7_lllT6_T8_lllPii.has_indirect_call, 0
	.section	.AMDGPU.csdata,"",@progbits
; Kernel info:
; codeLenInByte = 17832
; TotalNumSgprs: 107
; NumVgprs: 81
; ScratchSize: 0
; MemoryBound: 1
; FloatMode: 240
; IeeeMode: 1
; LDSByteSize: 25104 bytes/workgroup (compile time only)
; SGPRBlocks: 0
; VGPRBlocks: 5
; NumSGPRsForWavesPerEU: 107
; NumVGPRsForWavesPerEU: 81
; NamedBarCnt: 0
; Occupancy: 10
; WaveLimiterHint : 1
; COMPUTE_PGM_RSRC2:SCRATCH_EN: 0
; COMPUTE_PGM_RSRC2:USER_SGPR: 2
; COMPUTE_PGM_RSRC2:TRAP_HANDLER: 0
; COMPUTE_PGM_RSRC2:TGID_X_EN: 1
; COMPUTE_PGM_RSRC2:TGID_Y_EN: 0
; COMPUTE_PGM_RSRC2:TGID_Z_EN: 1
; COMPUTE_PGM_RSRC2:TIDIG_COMP_CNT: 1
	.section	.text._ZL19rocblas_trsv_deviceILi32ELi16ELb1ELb1ELb0ELb1E19rocblas_complex_numIdES1_PKPKS1_PKPS1_EviT7_lllT6_T8_lllPii,"axG",@progbits,_ZL19rocblas_trsv_deviceILi32ELi16ELb1ELb1ELb0ELb1E19rocblas_complex_numIdES1_PKPKS1_PKPS1_EviT7_lllT6_T8_lllPii,comdat
	.globl	_ZL19rocblas_trsv_deviceILi32ELi16ELb1ELb1ELb0ELb1E19rocblas_complex_numIdES1_PKPKS1_PKPS1_EviT7_lllT6_T8_lllPii ; -- Begin function _ZL19rocblas_trsv_deviceILi32ELi16ELb1ELb1ELb0ELb1E19rocblas_complex_numIdES1_PKPKS1_PKPS1_EviT7_lllT6_T8_lllPii
	.p2align	8
	.type	_ZL19rocblas_trsv_deviceILi32ELi16ELb1ELb1ELb0ELb1E19rocblas_complex_numIdES1_PKPKS1_PKPS1_EviT7_lllT6_T8_lllPii,@function
_ZL19rocblas_trsv_deviceILi32ELi16ELb1ELb1ELb0ELb1E19rocblas_complex_numIdES1_PKPKS1_PKPS1_EviT7_lllT6_T8_lllPii: ; @_ZL19rocblas_trsv_deviceILi32ELi16ELb1ELb1ELb0ELb1E19rocblas_complex_numIdES1_PKPKS1_PKPS1_EviT7_lllT6_T8_lllPii
; %bb.0:
	s_load_b32 s35, s[0:1], 0x60
	s_bfe_u32 s2, ttmp6, 0x40014
	s_lshr_b32 s3, ttmp7, 16
	s_add_co_i32 s2, s2, 1
	s_bfe_u32 s5, ttmp6, 0x40008
	s_mul_i32 s4, s3, s2
	s_getreg_b32 s2, hwreg(HW_REG_IB_STS2, 6, 4)
	s_add_co_i32 s5, s5, s4
	s_cmp_eq_u32 s2, 0
	s_mov_b32 s53, 0
	s_cselect_b32 s52, s3, s5
	s_wait_kmcnt 0x0
	s_cmp_ge_u32 s52, s35
	s_cbranch_scc1 .LBB188_542
; %bb.1:
	s_clause 0x2
	s_load_b32 s3, s[0:1], 0x74
	s_load_b32 s63, s[0:1], 0x68
	s_load_b32 s54, s[0:1], 0x0
	s_bfe_u32 s5, ttmp6, 0x4000c
	s_and_b32 s4, ttmp6, 15
	s_add_co_i32 s5, s5, 1
	v_and_b32_e32 v22, 0x3ff, v0
	s_mul_i32 s5, ttmp9, s5
	v_mov_b32_e32 v2, 0
	s_add_co_i32 s4, s4, s5
	s_cmp_eq_u32 s2, 0
	v_bfe_u32 v24, v0, 10, 10
	s_cselect_b32 s62, ttmp9, s4
	v_dual_lshlrev_b32 v1, 5, v22 :: v_dual_mov_b32 v27, v2
	s_clause 0x1
	s_load_b64 s[20:21], s[0:1], 0x18
	s_load_b128 s[44:47], s[0:1], 0x8
	v_add_nc_u32_e32 v4, 16, v24
	v_lshl_add_u32 v3, v24, 5, v22
                                        ; implicit-def: $vgpr205 : SGPR spill to VGPR lane
	s_clause 0x1
	s_load_b64 s[56:57], s[0:1], 0x48
	s_load_b64 s[58:59], s[0:1], 0x58
	s_wait_kmcnt 0x0
	s_and_b32 s2, s3, 0xffff
	s_add_co_i32 s63, s63, -1
	s_add_co_i32 s3, s54, -1
	s_ashr_i32 s55, s54, 31
	s_ashr_i32 s4, s3, 31
	s_lshr_b32 s5, s55, 27
	s_lshr_b32 s4, s4, 27
	s_add_co_i32 s5, s54, s5
	s_add_co_i32 s3, s3, s4
	s_and_not1_b32 s5, s5, 31
	s_sub_co_i32 s24, s63, s62
	s_ashr_i32 s3, s3, 5
	s_sub_co_i32 s25, s54, s5
	s_cmp_eq_u32 s3, s24
	v_lshl_add_u32 v9, v4, 5, v22
	s_cselect_b32 s3, -1, 0
	s_cmp_lg_u32 s25, 0
	v_mad_u32_u24 v26, v24, s2, v22
	s_cselect_b32 s4, -1, 0
	v_cmp_gt_u32_e64 s7, 2, v22
	s_and_b32 s26, s4, s3
	v_cmp_gt_u32_e64 s3, 4, v3
	s_xor_b32 s64, s26, -1
	s_cmp_lg_u32 s62, 0
	s_add_nc_u64 s[4:5], s[20:21], 1
	s_cselect_b32 s65, -1, 0
	s_lshl_b32 s18, s24, 5
	s_delay_alu instid0(SALU_CYCLE_1)
	v_dual_add_nc_u32 v8, v24, v1 :: v_dual_add_nc_u32 v5, s18, v24
	s_cmp_lt_i32 s62, 5
	v_dual_add_nc_u32 v1, v4, v1 :: v_dual_add_nc_u32 v6, s18, v22
	s_cselect_b32 vcc_lo, -1, 0
	s_delay_alu instid0(VALU_DEP_2) | instid1(SALU_CYCLE_1)
	v_dual_add_nc_u32 v28, 32, v5 :: v_dual_cndmask_b32 v8, v3, v8, vcc_lo
	v_lshrrev_b32_e32 v11, 1, v3
	s_or_b32 vcc_lo, vcc_lo, s26
	s_delay_alu instid0(VALU_DEP_2) | instskip(SKIP_4) | instid1(VALU_DEP_4)
	v_dual_ashrrev_i32 v7, 31, v6 :: v_dual_ashrrev_i32 v29, 31, v28
	v_dual_cndmask_b32 v9, v9, v1, vcc_lo :: v_dual_bitop2_b32 v1, 1, v0 bitop3:0x40
	v_lshrrev_b32_e32 v10, 10, v0
	v_lshl_add_u32 v23, v11, 4, 0x4000
	v_mul_u32_u24_e32 v47, 0x210, v11
	v_dual_lshlrev_b32 v48, 4, v22 :: v_dual_lshlrev_b32 v12, 4, v1
	s_delay_alu instid0(VALU_DEP_4) | instskip(SKIP_2) | instid1(VALU_DEP_4)
	v_bitop3_b32 v13, v0, v10, 0x3ff bitop3:0xa8
	v_cmp_eq_u32_e64 s6, 1, v1
	v_lshrrev_b32_e32 v10, 2, v3
	v_mad_u32_u24 v1, 0x1f0, v22, v48
	v_lshl_or_b32 v46, v11, 9, v12
	v_and_b32_e32 v11, 3, v0
	s_xor_b32 s8, s6, -1
	s_and_b32 s68, s6, s3
	v_cmp_gt_u32_e64 s6, 16, v3
	v_dual_add_nc_u32 v49, 32, v1 :: v_dual_lshlrev_b32 v12, 4, v10
	v_cmp_eq_u32_e64 s9, 0, v11
	v_mul_u32_u24_e32 v50, 0x210, v10
	v_dual_add_nc_u32 v51, 48, v1 :: v_dual_lshlrev_b32 v52, 4, v11
	v_mad_i32_i24 v53, 0xfffffe10, v22, v1
	v_cmp_ne_u32_e64 s10, 0, v11
	s_and_b32 s70, s9, s6
	v_cmp_eq_u32_e64 s9, 1, v11
	s_ashr_i32 s19, s18, 31
	v_sub_nc_u32_e32 v14, v50, v12
	s_mul_u64 s[22:23], s[4:5], s[18:19]
	v_cmp_eq_u32_e64 s5, 0, v24
	v_add_nc_u32_e32 v54, 0x4000, v12
	v_lshl_or_b32 v55, v10, 9, v52
	v_cmp_lt_u32_e64 s11, 1, v11
	v_cmp_eq_u32_e64 s12, 2, v11
	s_and_b32 s71, s10, s6
	v_cmp_eq_u32_e64 s10, 3, v11
	s_and_b32 s72, s9, s6
	v_lshrrev_b32_e32 v10, 3, v3
	v_cmp_gt_u32_e64 s9, 4, v22
	v_mad_u32_u24 v11, 0x1f0, v22, v53
	v_and_b32_e32 v12, 7, v0
	s_delay_alu instid0(VALU_DEP_4)
	v_dual_add_nc_u32 v56, v14, v52 :: v_dual_lshlrev_b32 v14, 4, v10
	s_and_b32 s74, s12, s6
	v_mul_u32_u24_e32 v57, 0x210, v10
	s_and_b32 s76, s5, s9
	v_add_nc_u32_e32 v58, 64, v11
	v_cmp_gt_u32_e64 s9, 64, v3
	v_cmp_eq_u32_e64 s12, 0, v12
	v_cmp_ne_u32_e64 s13, 0, v12
	v_dual_lshlrev_b32 v59, 4, v12 :: v_dual_sub_nc_u32 v15, v57, v14
	v_cmp_eq_u32_e64 s14, 1, v12
	s_and_b32 s77, s12, s9
	s_and_b32 s78, s13, s9
	v_cmp_lt_u32_e64 s12, 2, v12
	v_cmp_eq_u32_e64 s13, 3, v12
	v_dual_add_nc_u32 v63, v15, v59 :: v_dual_bitop2_b32 v0, 15, v0 bitop3:0x40
	s_and_b32 s79, s14, s9
	v_cmp_lt_u32_e64 s14, 3, v12
	s_and_b32 s82, s12, s9
	s_and_b32 s83, s13, s9
	v_cmp_eq_u32_e64 s12, 5, v12
	v_cmp_lt_u32_e64 s13, 5, v12
	s_and_b32 s75, s10, s6
	v_cmp_gt_u32_e64 s10, 56, v3
	v_cmp_lt_u32_e64 s15, 1, v12
	s_and_b32 s84, s14, s9
	v_cmp_eq_u32_e64 s14, 6, v12
	s_and_b32 s87, s12, s9
	s_and_b32 s88, s13, s9
	v_cmp_gt_u32_e64 s12, 0x100, v3
	v_cmp_eq_u32_e64 s13, 0, v0
	v_writelane_b32 v205, s10, 0
	v_cmp_eq_u32_e64 s16, 2, v12
	s_and_b32 s80, s15, s9
	v_cmp_eq_u32_e64 s15, 4, v12
	s_and_b32 s89, s14, s9
	v_cmp_ne_u32_e64 s14, 0, v0
	s_and_b32 s10, s13, s12
	s_and_b32 s81, s16, s9
	v_writelane_b32 v205, s10, 1
	v_cmp_lt_u32_e64 s16, 4, v12
	s_and_b32 s85, s15, s9
	v_cmp_eq_u32_e64 s15, 7, v12
	v_cmp_eq_u32_e64 s13, 1, v0
	s_and_b32 s10, s14, s12
	s_and_b32 s86, s16, s9
	v_writelane_b32 v205, s10, 2
	v_cmp_gt_u32_e64 s16, 8, v22
	s_and_b32 s90, s15, s9
	v_cmp_lt_u32_e64 s15, 1, v0
	s_and_b32 s10, s13, s12
	v_cmp_lt_u32_e64 s17, 2, v0
	v_writelane_b32 v205, s10, 3
	s_and_b32 s91, s5, s16
	v_cmp_eq_u32_e64 s16, 2, v0
	s_and_b32 s10, s15, s12
	v_cmp_eq_u32_e64 s13, 3, v0
	v_writelane_b32 v205, s10, 4
	v_cmp_lt_u32_e64 s14, 3, v0
	s_and_b32 s10, s16, s12
	v_cmp_eq_u32_e64 s15, 4, v0
	v_cmp_lt_u32_e64 s16, 4, v0
	v_writelane_b32 v205, s10, 5
	s_and_b32 s10, s17, s12
	v_cmp_eq_u32_e64 s17, 5, v0
	v_lshl_or_b32 v62, v10, 9, v59
	v_dual_lshlrev_b32 v10, 5, v3 :: v_dual_lshlrev_b32 v73, 4, v0
	v_writelane_b32 v205, s10, 6
	s_and_b32 s10, s13, s12
	v_cmp_lt_u32_e64 s13, 5, v0
	v_mad_i32_i24 v86, 0xfffffe10, v22, v11
	v_add_nc_u32_e32 v64, 0x80, v1
	v_writelane_b32 v205, s10, 7
	s_and_b32 s10, s14, s12
	v_cmp_eq_u32_e64 s14, 6, v0
	v_add_nc_u32_e32 v65, 0x90, v1
	v_add_nc_u32_e32 v66, 0xa0, v1
	v_writelane_b32 v205, s10, 8
	s_and_b32 s10, s15, s12
	v_cmp_lt_u32_e64 s15, 6, v0
	v_add_nc_u32_e32 v67, 0xb0, v1
	v_add_nc_u32_e32 v68, 0xc0, v1
	v_writelane_b32 v205, s10, 9
	s_and_b32 s10, s16, s12
	v_cmp_eq_u32_e64 s16, 7, v0
	v_add_nc_u32_e32 v69, 0xd0, v1
	v_add_nc_u32_e32 v70, 0xe0, v1
	v_writelane_b32 v205, s10, 10
	s_and_b32 s10, s17, s12
	v_cmp_lt_u32_e64 s17, 7, v0
	v_add_nc_u32_e32 v71, 0xf0, v1
	;; [unrolled: 10-line block ×3, first 2 shown]
	v_add_nc_u32_e32 v78, 0x21a0, v1
	v_writelane_b32 v205, s10, 13
	s_and_b32 s10, s15, s12
	v_cmp_eq_u32_e64 s15, 9, v0
	s_and_b32 s27, s14, s12
	v_cmp_eq_u32_e64 s14, 11, v0
	v_writelane_b32 v205, s10, 14
	s_and_b32 s10, s16, s12
	v_cmp_lt_u32_e64 s16, 9, v0
	s_and_b32 s28, s15, s12
	v_cmp_lt_u32_e64 s15, 11, v0
	v_writelane_b32 v205, s10, 15
	s_and_b32 s10, s17, s12
	v_cmp_eq_u32_e64 s17, 10, v0
	s_and_b32 s94, s14, s12
	s_and_b32 s95, s15, s12
	v_writelane_b32 v205, s10, 16
	s_and_b32 s10, s13, s12
	v_cmp_lt_u32_e64 s13, 10, v0
	s_and_b32 s92, s17, s12
	v_cmp_lt_u32_e64 s17, 12, v0
	v_writelane_b32 v205, s10, 17
	s_and_b32 s10, s16, s12
	v_cmp_eq_u32_e64 s16, 12, v0
	s_and_b32 s93, s13, s12
	v_cmp_eq_u32_e64 s13, 13, v0
	v_cmp_lt_u32_e64 s14, 13, v0
	v_cmp_eq_u32_e64 s15, 14, v0
	s_and_b32 s96, s16, s12
	v_cmp_eq_u32_e64 s16, 15, v0
	v_dual_add_nc_u32 v0, 48, v5 :: v_dual_lshlrev_b32 v5, 9, v22
	s_and_b32 s100, s15, s12
	v_add_nc_u32_e32 v79, 0x21b0, v1
	v_add_nc_u32_e32 v80, 0x21c0, v1
	s_delay_alu instid0(VALU_DEP_3)
	v_cmp_gt_i32_e64 s15, s54, v0
	v_mad_u32_u24 v0, 0x1f0, v22, v86
	v_add_nc_u32_e32 v81, 0x21d0, v1
	v_add_nc_u32_e32 v82, 0x21e0, v1
	;; [unrolled: 1-line block ×3, first 2 shown]
	s_and_b32 s99, s14, s12
	v_mad_i32_i24 v97, 0xfffffe10, v22, v0
	v_add_nc_u32_e32 v95, 0x860, v0
	v_add_nc_u32_e32 v96, 0x870, v0
	;; [unrolled: 1-line block ×4, first 2 shown]
	v_mad_u32_u24 v1, 0x1f0, v22, v97
	v_add_nc_u32_e32 v100, 0x10e0, v0
	v_add_nc_u32_e32 v101, 0x10d0, v0
	v_add_nc_u32_e32 v102, 0x2960, v0
	v_add_nc_u32_e32 v103, 0x2970, v0
	v_add_nc_u32_e32 v104, 0x31c0, v0
	v_add_nc_u32_e32 v105, 0x31f0, v0
	v_add_nc_u32_e32 v106, 0x31e0, v0
	v_add_nc_u32_e32 v107, 0x31d0, v0
	v_mad_i32_i24 v0, 0xfffffe10, v22, v1
	v_cmp_le_i32_e64 s14, s25, v22
	v_cmp_gt_i32_e64 s2, s54, v6
	s_and_b32 s97, s17, s12
	v_cmp_gt_u32_e64 s17, 16, v22
	v_add_nc_u32_e32 v108, 0x18e0, v1
	v_add_nc_u32_e32 v109, 0x18f0, v1
	;; [unrolled: 1-line block ×8, first 2 shown]
	v_mul_u64_e32 v[0:1], s[20:21], v[6:7]
	v_mul_u64_e32 v[30:31], s[56:57], v[6:7]
	v_dual_lshlrev_b32 v6, 4, v24 :: v_dual_lshlrev_b32 v151, 4, v9
	s_and_b32 s103, s14, s26
	s_xor_b32 s66, vcc_lo, -1
	v_cmp_gt_i32_e32 vcc_lo, s25, v22
	s_and_b32 s98, s13, s12
	s_xor_b32 s13, s103, -1
	s_and_b32 s67, s8, s3
	s_and_b32 s69, s5, s7
	;; [unrolled: 1-line block ×3, first 2 shown]
	v_dual_mov_b32 v25, v2 :: v_dual_add_nc_u32 v60, 0x70, v11
	v_and_b32_e32 v72, 0xfffffe00, v10
	s_and_b32 s101, s16, s12
	s_and_b32 s102, s5, s17
	;; [unrolled: 1-line block ×3, first 2 shown]
	v_or_b32_e32 v116, 0x100, v5
	v_mad_i32_i24 v10, 0xfffffe10, v22, v5
	v_or_b32_e32 v117, 0x110, v5
	v_or_b32_e32 v118, 0x120, v5
	;; [unrolled: 1-line block ×15, first 2 shown]
	v_dual_add_nc_u32 v132, v5, v6 :: v_dual_lshlrev_b32 v150, 4, v8
	v_mov_b32_e32 v5, v2
	s_cmp_gt_i32 s62, 0
	v_add_nc_u32_e32 v133, 0x6000, v6
	s_cselect_b32 vcc_hi, -1, 0
	v_add_nc_u64_e32 v[6:7], s[18:19], v[26:27]
	s_and_b32 s19, s5, vcc_lo
	v_mul_u64_e32 v[34:35], s[20:21], v[4:5]
	v_writelane_b32 v205, s19, 18
	v_mul_u64_e32 v[36:37], s[20:21], v[24:25]
	v_cmp_gt_u32_e64 s20, 0xf0, v3
	s_load_b256 s[36:43], s[0:1], 0x28
	v_mul_u64_e32 v[32:33], s[56:57], v[6:7]
	v_cmp_le_i32_e64 s16, s25, v24
	v_cmp_le_i32_e64 s17, s25, v4
	v_writelane_b32 v205, s20, 19
	v_cmp_gt_u32_e64 s20, 0xe0, v3
	v_cmp_le_u32_e64 s13, v22, v24
	s_or_b32 s16, s16, s14
	s_or_b32 s17, s17, s14
	v_cmp_le_u32_e64 s14, v22, v4
	v_writelane_b32 v205, s20, 20
	v_cmp_gt_u32_e64 s20, 0xd0, v3
	v_dual_add_nc_u32 v202, v133, v48 :: v_dual_bitop2_b32 v8, v4, v22 bitop3:0x54
	v_dual_lshlrev_b32 v38, 4, v22 :: v_dual_bitop2_b32 v170, -16, v3 bitop3:0x40
	s_delay_alu instid0(VALU_DEP_3)
	v_writelane_b32 v205, s20, 21
	v_cmp_gt_u32_e64 s20, 0xc0, v3
	v_cmp_gt_i32_e64 s18, s54, v28
	v_cmp_gt_u32_e64 s4, 2, v3
	v_cmp_gt_u32_e64 s7, 12, v3
	v_cmp_gt_u32_e64 s8, 8, v3
	v_writelane_b32 v205, s20, 22
	v_cmp_gt_u32_e64 s20, 0xb0, v3
	v_add_nc_u32_e32 v61, 0x4000, v14
	v_cmp_gt_u32_e64 s11, 48, v3
	v_add_nc_u32_e32 v84, 0x60, v11
	v_add_nc_u32_e32 v85, 0x50, v11
	v_writelane_b32 v205, s20, 23
	v_cmp_gt_u32_e64 s20, 0xa0, v3
	v_add_nc_u32_e32 v87, 0x10a0, v11
	v_add_nc_u32_e32 v88, 0x10b0, v11
	v_add_nc_u32_e32 v89, 0x2140, v11
	v_add_nc_u32_e32 v90, 0x2170, v11
	v_writelane_b32 v205, s20, 24
	v_cmp_gt_u32_e64 s20, 0x90, v3
	v_add_nc_u32_e32 v91, 0x2160, v11
	v_add_nc_u32_e32 v92, 0x2150, v11
	;; [unrolled: 6-line block ×4, first 2 shown]
	v_add_nc_u32_e32 v140, 0x2c00, v10
	v_add_nc_u32_e32 v141, 0x2e00, v10
	;; [unrolled: 1-line block ×10, first 2 shown]
	v_lshl_add_u32 v27, v24, 9, v10
	s_and_b32 s19, s15, s2
	s_or_b32 s25, s16, s13
	s_or_b32 s26, s17, s14
	s_lshl_b64 s[60:61], s[22:23], 4
	v_add_nc_u32_e32 v152, 0x400, v53
	v_add_nc_u32_e32 v153, 0x600, v53
	;; [unrolled: 1-line block ×23, first 2 shown]
	v_or_b32_e32 v176, v72, v73
	v_add_nc_u32_e32 v177, 0x2500, v53
	v_add_nc_u32_e32 v178, 0x2700, v53
	;; [unrolled: 1-line block ×22, first 2 shown]
	v_lshl_add_u32 v199, v26, 4, 0x6000
	v_lshl_add_u32 v200, v3, 4, 0x4000
	v_add_nc_u32_e32 v201, 0x4000, v48
	v_add_nc_u32_e32 v203, 0x3c00, v48
	v_subrev_nc_u32_e32 v204, 31, v22
	v_cmp_gt_u32_e64 s15, 40, v3
	v_cmp_gt_u32_e64 s16, 32, v3
	;; [unrolled: 1-line block ×3, first 2 shown]
	v_writelane_b32 v205, s20, 27
	v_cmp_gt_u32_e64 s20, 0x60, v3
	v_cmp_gt_u32_e64 s22, 0x50, v3
	v_cmp_eq_u32_e64 s29, 0, v13
	v_cmp_gt_u32_e64 s30, 32, v13
	v_cmp_eq_u32_e64 s31, 0, v26
	v_cmp_gt_u32_e64 s33, 32, v8
	v_cmp_gt_u32_e64 s34, 32, v26
	s_add_co_i32 s24, s24, 1
	s_and_b32 s18, s18, s2
	s_lshl_b64 s[46:47], s[46:47], 4
	s_wait_kmcnt 0x0
	s_lshl_b64 s[0:1], s[42:43], 4
	s_mov_b32 s49, 0x3ff00000
                                        ; implicit-def: $vgpr6_vgpr7
                                        ; implicit-def: $vgpr10_vgpr11
	v_writelane_b32 v205, s20, 28
	s_branch .LBB188_3
.LBB188_2:                              ;   in Loop: Header=BB188_3 Depth=1
	s_wait_xcnt 0x0
	s_or_b32 exec_lo, exec_lo, s23
	s_add_co_i32 s52, s52, 0x10000
	global_wb scope:SCOPE_DEV
	s_wait_storecnt 0x0
	global_inv scope:SCOPE_DEV
	s_cmp_lt_u32 s52, s35
	s_cbranch_scc0 .LBB188_542
.LBB188_3:                              ; =>This Loop Header: Depth=1
                                        ;     Child Loop BB188_452 Depth 2
                                        ;       Child Loop BB188_454 Depth 3
                                        ;     Child Loop BB188_485 Depth 2
	v_mov_b32_e32 v3, s52
	s_and_not1_b32 vcc_lo, exec_lo, s65
	s_clause 0x1
	global_load_b64 v[4:5], v3, s[44:45] scale_offset
	global_load_b64 v[20:21], v3, s[40:41] scale_offset
	s_wait_loadcnt 0x1
	v_add_nc_u64_e32 v[4:5], s[46:47], v[4:5]
	s_delay_alu instid0(VALU_DEP_1)
	v_lshl_add_u64 v[18:19], v[0:1], 4, v[4:5]
	s_cbranch_vccnz .LBB188_9
; %bb.4:                                ;   in Loop: Header=BB188_3 Depth=1
	v_mov_b64_e32 v[12:13], 0
	v_mov_b64_e32 v[6:7], 0
	;; [unrolled: 1-line block ×3, first 2 shown]
	v_lshl_add_u64 v[14:15], v[28:29], 4, v[18:19]
	s_wait_loadcnt 0x0
	s_barrier_signal -1
	s_barrier_wait -1
	s_wait_xcnt 0x0
	s_and_saveexec_b32 s23, s18
	s_cbranch_execz .LBB188_6
; %bb.5:                                ;   in Loop: Header=BB188_3 Depth=1
	flat_load_b128 v[6:9], v[14:15]
.LBB188_6:                              ;   in Loop: Header=BB188_3 Depth=1
	s_wait_xcnt 0x0
	s_or_b32 exec_lo, exec_lo, s23
	v_mov_b64_e32 v[10:11], 0
	s_wait_loadcnt_dscnt 0x0
	s_barrier_signal -1
	s_barrier_wait -1
	s_and_saveexec_b32 s23, s19
	s_cbranch_execz .LBB188_8
; %bb.7:                                ;   in Loop: Header=BB188_3 Depth=1
	flat_load_b128 v[10:13], v[14:15] offset:256
.LBB188_8:                              ;   in Loop: Header=BB188_3 Depth=1
	s_wait_xcnt 0x0
	s_or_b32 exec_lo, exec_lo, s23
.LBB188_9:                              ;   in Loop: Header=BB188_3 Depth=1
	v_add_nc_u64_e32 v[4:5], s[60:61], v[4:5]
	v_mov_b32_e32 v39, v2
	s_and_not1_b32 vcc_lo, exec_lo, s64
	s_mov_b32 s23, -1
	s_delay_alu instid0(VALU_DEP_1)
	v_add_nc_u64_e32 v[14:15], v[4:5], v[38:39]
	s_cbranch_vccnz .LBB188_16
; %bb.10:                               ;   in Loop: Header=BB188_3 Depth=1
	s_wait_xcnt 0x0
	s_and_saveexec_b32 s23, s13
	s_delay_alu instid0(SALU_CYCLE_1)
	s_xor_b32 s23, exec_lo, s23
	s_cbranch_execnz .LBB188_499
; %bb.11:                               ;   in Loop: Header=BB188_3 Depth=1
	s_and_not1_saveexec_b32 s23, s23
	s_cbranch_execnz .LBB188_502
.LBB188_12:                             ;   in Loop: Header=BB188_3 Depth=1
	s_or_b32 exec_lo, exec_lo, s23
	s_and_saveexec_b32 s23, s14
	s_delay_alu instid0(SALU_CYCLE_1)
	s_xor_b32 s23, exec_lo, s23
	s_cbranch_execnz .LBB188_503
.LBB188_13:                             ;   in Loop: Header=BB188_3 Depth=1
	s_and_not1_saveexec_b32 s23, s23
	s_cbranch_execz .LBB188_15
.LBB188_14:                             ;   in Loop: Header=BB188_3 Depth=1
	v_lshl_add_u64 v[4:5], v[34:35], 4, v[14:15]
	flat_load_b128 v[40:43], v[4:5]
	s_wait_loadcnt_dscnt 0x0
	v_xor_b32_e32 v41, 0x80000000, v41
	v_xor_b32_e32 v43, 0x80000000, v43
	ds_store_b128 v151, v[40:43]
.LBB188_15:                             ;   in Loop: Header=BB188_3 Depth=1
	s_or_b32 exec_lo, exec_lo, s23
	s_mov_b32 s23, 0
.LBB188_16:                             ;   in Loop: Header=BB188_3 Depth=1
	s_delay_alu instid0(SALU_CYCLE_1)
	s_and_b32 vcc_lo, exec_lo, s23
	s_cbranch_vccz .LBB188_23
; %bb.17:                               ;   in Loop: Header=BB188_3 Depth=1
	s_wait_xcnt 0x0
	s_and_saveexec_b32 s23, s25
	s_delay_alu instid0(SALU_CYCLE_1)
	s_xor_b32 s23, exec_lo, s23
	s_cbranch_execnz .LBB188_506
; %bb.18:                               ;   in Loop: Header=BB188_3 Depth=1
	s_and_not1_saveexec_b32 s23, s23
	s_cbranch_execnz .LBB188_509
.LBB188_19:                             ;   in Loop: Header=BB188_3 Depth=1
	s_or_b32 exec_lo, exec_lo, s23
	s_and_saveexec_b32 s23, s26
	s_delay_alu instid0(SALU_CYCLE_1)
	s_xor_b32 s23, exec_lo, s23
	s_cbranch_execnz .LBB188_510
.LBB188_20:                             ;   in Loop: Header=BB188_3 Depth=1
	s_and_not1_saveexec_b32 s23, s23
	s_cbranch_execz .LBB188_22
.LBB188_21:                             ;   in Loop: Header=BB188_3 Depth=1
	v_lshl_add_u64 v[4:5], v[34:35], 4, v[14:15]
	flat_load_b128 v[14:17], v[4:5]
	s_wait_loadcnt_dscnt 0x0
	v_xor_b32_e32 v15, 0x80000000, v15
	v_xor_b32_e32 v17, 0x80000000, v17
	ds_store_b128 v151, v[14:17]
.LBB188_22:                             ;   in Loop: Header=BB188_3 Depth=1
	s_or_b32 exec_lo, exec_lo, s23
.LBB188_23:                             ;   in Loop: Header=BB188_3 Depth=1
	s_delay_alu instid0(SALU_CYCLE_1)
	s_and_not1_b32 vcc_lo, exec_lo, s66
	s_wait_loadcnt_dscnt 0x0
	s_barrier_signal -1
	s_barrier_wait -1
	s_cbranch_vccnz .LBB188_446
; %bb.24:                               ;   in Loop: Header=BB188_3 Depth=1
	s_wait_xcnt 0x0
	s_and_saveexec_b32 s42, s29
	s_cbranch_execz .LBB188_26
; %bb.25:                               ;   in Loop: Header=BB188_3 Depth=1
	s_mov_b32 s48, s53
	s_mov_b32 s50, s53
	;; [unrolled: 1-line block ×3, first 2 shown]
	v_mov_b64_e32 v[14:15], s[48:49]
	v_mov_b64_e32 v[16:17], s[50:51]
	ds_store_b128 v2, v[14:17]
	ds_store_b128 v2, v[14:17] offset:528
	ds_load_b128 v[14:17], v2 offset:16
	s_wait_dscnt 0x0
	ds_store_b128 v2, v[14:17] offset:512
.LBB188_26:                             ;   in Loop: Header=BB188_3 Depth=1
	s_or_b32 exec_lo, exec_lo, s42
	v_mov_b64_e32 v[16:17], 0
	v_mov_b64_e32 v[14:15], 0
	s_wait_dscnt 0x0
	s_barrier_signal -1
	s_barrier_wait -1
	s_and_saveexec_b32 s42, s3
	s_cbranch_execz .LBB188_30
; %bb.27:                               ;   in Loop: Header=BB188_3 Depth=1
	ds_load_b128 v[14:17], v47
	ds_load_b128 v[40:43], v46 offset:32
	s_wait_dscnt 0x0
	v_mul_f64_e32 v[4:5], v[16:17], v[42:43]
	v_mul_f64_e32 v[42:43], v[14:15], v[42:43]
	s_delay_alu instid0(VALU_DEP_2) | instskip(NEXT) | instid1(VALU_DEP_2)
	v_fma_f64 v[4:5], v[14:15], v[40:41], -v[4:5]
	v_fmac_f64_e32 v[42:43], v[16:17], v[40:41]
	s_delay_alu instid0(VALU_DEP_2) | instskip(NEXT) | instid1(VALU_DEP_2)
	v_add_f64_e32 v[14:15], 0, v[4:5]
	v_add_f64_e32 v[16:17], 0, v[42:43]
	s_and_saveexec_b32 s23, s4
	s_cbranch_execz .LBB188_29
; %bb.28:                               ;   in Loop: Header=BB188_3 Depth=1
	ds_load_b128 v[40:43], v2 offset:16
	ds_load_b128 v[206:209], v48 offset:544
	s_wait_dscnt 0x0
	v_mul_f64_e32 v[4:5], v[42:43], v[208:209]
	s_delay_alu instid0(VALU_DEP_1) | instskip(SKIP_1) | instid1(VALU_DEP_2)
	v_fma_f64 v[4:5], v[40:41], v[206:207], -v[4:5]
	v_mul_f64_e32 v[40:41], v[40:41], v[208:209]
	v_add_f64_e32 v[14:15], v[14:15], v[4:5]
	s_delay_alu instid0(VALU_DEP_2) | instskip(NEXT) | instid1(VALU_DEP_1)
	v_fmac_f64_e32 v[40:41], v[42:43], v[206:207]
	v_add_f64_e32 v[16:17], v[16:17], v[40:41]
.LBB188_29:                             ;   in Loop: Header=BB188_3 Depth=1
	s_or_b32 exec_lo, exec_lo, s23
	s_delay_alu instid0(VALU_DEP_2) | instskip(NEXT) | instid1(VALU_DEP_2)
	v_xor_b32_e32 v15, 0x80000000, v15
	v_xor_b32_e32 v17, 0x80000000, v17
.LBB188_30:                             ;   in Loop: Header=BB188_3 Depth=1
	s_or_b32 exec_lo, exec_lo, s42
	s_and_saveexec_b32 s23, s67
; %bb.31:                               ;   in Loop: Header=BB188_3 Depth=1
	ds_store_b128 v23, v[14:17]
; %bb.32:                               ;   in Loop: Header=BB188_3 Depth=1
	s_or_b32 exec_lo, exec_lo, s23
	s_wait_dscnt 0x0
	s_barrier_signal -1
	s_barrier_wait -1
	s_and_saveexec_b32 s23, s68
	s_cbranch_execz .LBB188_34
; %bb.33:                               ;   in Loop: Header=BB188_3 Depth=1
	ds_load_b128 v[40:43], v23
	ds_load_b128 v[206:209], v2 offset:1072
	s_wait_dscnt 0x0
	v_mul_f64_e32 v[4:5], v[42:43], v[208:209]
	s_delay_alu instid0(VALU_DEP_1) | instskip(SKIP_1) | instid1(VALU_DEP_2)
	v_fma_f64 v[4:5], v[40:41], v[206:207], -v[4:5]
	v_mul_f64_e32 v[40:41], v[40:41], v[208:209]
	v_add_f64_e32 v[14:15], v[14:15], v[4:5]
	s_delay_alu instid0(VALU_DEP_2) | instskip(NEXT) | instid1(VALU_DEP_1)
	v_fmac_f64_e32 v[40:41], v[42:43], v[206:207]
	v_add_f64_e32 v[16:17], v[16:17], v[40:41]
.LBB188_34:                             ;   in Loop: Header=BB188_3 Depth=1
	s_or_b32 exec_lo, exec_lo, s23
	s_barrier_signal -1
	s_barrier_wait -1
	s_and_saveexec_b32 s23, s68
; %bb.35:                               ;   in Loop: Header=BB188_3 Depth=1
	ds_store_b128 v23, v[14:17]
; %bb.36:                               ;   in Loop: Header=BB188_3 Depth=1
	s_or_b32 exec_lo, exec_lo, s23
	s_wait_dscnt 0x0
	s_barrier_signal -1
	s_barrier_wait -1
	s_barrier_signal -1
	s_barrier_wait -1
	s_and_saveexec_b32 s23, s3
; %bb.37:                               ;   in Loop: Header=BB188_3 Depth=1
	v_xor_b32_e32 v15, 0x80000000, v15
	v_xor_b32_e32 v17, 0x80000000, v17
	ds_store_b128 v46, v[14:17] offset:32
; %bb.38:                               ;   in Loop: Header=BB188_3 Depth=1
	s_or_b32 exec_lo, exec_lo, s23
	s_wait_dscnt 0x0
	s_barrier_signal -1
	s_barrier_wait -1
	s_barrier_signal -1
	s_barrier_wait -1
	s_and_saveexec_b32 s23, s69
	s_cbranch_execz .LBB188_40
; %bb.39:                               ;   in Loop: Header=BB188_3 Depth=1
	ds_load_b128 v[14:17], v49
	s_wait_dscnt 0x0
	ds_store_b128 v152, v[14:17]
	ds_load_b128 v[14:17], v51
	s_wait_dscnt 0x0
	ds_store_b128 v153, v[14:17]
.LBB188_40:                             ;   in Loop: Header=BB188_3 Depth=1
	s_or_b32 exec_lo, exec_lo, s23
	s_wait_dscnt 0x0
	s_barrier_signal -1
	s_barrier_wait -1
	s_and_saveexec_b32 s42, s29
	s_cbranch_execz .LBB188_42
; %bb.41:                               ;   in Loop: Header=BB188_3 Depth=1
	s_mov_b32 s48, s53
	s_mov_b32 s50, s53
	s_mov_b32 s51, s53
	v_mov_b64_e32 v[14:15], s[48:49]
	v_mov_b64_e32 v[16:17], s[50:51]
	ds_store_b128 v2, v[14:17] offset:1056
	ds_store_b128 v2, v[14:17] offset:1584
	ds_load_b128 v[14:17], v2 offset:1072
	s_wait_dscnt 0x0
	ds_store_b128 v2, v[14:17] offset:1568
.LBB188_42:                             ;   in Loop: Header=BB188_3 Depth=1
	s_or_b32 exec_lo, exec_lo, s42
	v_mov_b64_e32 v[16:17], 0
	v_mov_b64_e32 v[14:15], 0
	s_wait_dscnt 0x0
	s_barrier_signal -1
	s_barrier_wait -1
	s_and_saveexec_b32 s42, s6
	s_cbranch_execz .LBB188_48
; %bb.43:                               ;   in Loop: Header=BB188_3 Depth=1
	ds_load_b128 v[14:17], v50
	ds_load_b128 v[40:43], v55 offset:64
	s_wait_dscnt 0x0
	v_mul_f64_e32 v[4:5], v[16:17], v[42:43]
	v_mul_f64_e32 v[42:43], v[14:15], v[42:43]
	s_delay_alu instid0(VALU_DEP_2) | instskip(NEXT) | instid1(VALU_DEP_2)
	v_fma_f64 v[4:5], v[14:15], v[40:41], -v[4:5]
	v_fmac_f64_e32 v[42:43], v[16:17], v[40:41]
	s_delay_alu instid0(VALU_DEP_2) | instskip(NEXT) | instid1(VALU_DEP_2)
	v_add_f64_e32 v[14:15], 0, v[4:5]
	v_add_f64_e32 v[16:17], 0, v[42:43]
	s_and_saveexec_b32 s23, s7
	s_cbranch_execnz .LBB188_517
; %bb.44:                               ;   in Loop: Header=BB188_3 Depth=1
	s_or_b32 exec_lo, exec_lo, s23
	s_and_saveexec_b32 s23, s8
	s_cbranch_execnz .LBB188_518
.LBB188_45:                             ;   in Loop: Header=BB188_3 Depth=1
	s_or_b32 exec_lo, exec_lo, s23
	s_and_saveexec_b32 s23, s3
	s_cbranch_execz .LBB188_47
.LBB188_46:                             ;   in Loop: Header=BB188_3 Depth=1
	ds_load_b128 v[40:43], v2 offset:48
	ds_load_b128 v[206:209], v53 offset:1600
	s_wait_dscnt 0x0
	v_mul_f64_e32 v[4:5], v[42:43], v[208:209]
	s_delay_alu instid0(VALU_DEP_1) | instskip(SKIP_1) | instid1(VALU_DEP_2)
	v_fma_f64 v[4:5], v[40:41], v[206:207], -v[4:5]
	v_mul_f64_e32 v[40:41], v[40:41], v[208:209]
	v_add_f64_e32 v[14:15], v[14:15], v[4:5]
	s_delay_alu instid0(VALU_DEP_2) | instskip(NEXT) | instid1(VALU_DEP_1)
	v_fmac_f64_e32 v[40:41], v[42:43], v[206:207]
	v_add_f64_e32 v[16:17], v[16:17], v[40:41]
.LBB188_47:                             ;   in Loop: Header=BB188_3 Depth=1
	s_or_b32 exec_lo, exec_lo, s23
	s_delay_alu instid0(VALU_DEP_2) | instskip(NEXT) | instid1(VALU_DEP_2)
	v_xor_b32_e32 v15, 0x80000000, v15
	v_xor_b32_e32 v17, 0x80000000, v17
.LBB188_48:                             ;   in Loop: Header=BB188_3 Depth=1
	s_or_b32 exec_lo, exec_lo, s42
	s_and_saveexec_b32 s23, s70
; %bb.49:                               ;   in Loop: Header=BB188_3 Depth=1
	ds_store_b128 v54, v[14:17]
; %bb.50:                               ;   in Loop: Header=BB188_3 Depth=1
	s_or_b32 exec_lo, exec_lo, s23
	s_wait_dscnt 0x0
	s_barrier_signal -1
	s_barrier_wait -1
	s_and_saveexec_b32 s23, s71
	s_cbranch_execz .LBB188_52
; %bb.51:                               ;   in Loop: Header=BB188_3 Depth=1
	ds_load_b128 v[40:43], v54
	ds_load_b128 v[206:209], v52 offset:2112
	s_wait_dscnt 0x0
	v_mul_f64_e32 v[4:5], v[42:43], v[208:209]
	s_delay_alu instid0(VALU_DEP_1) | instskip(SKIP_1) | instid1(VALU_DEP_2)
	v_fma_f64 v[4:5], v[40:41], v[206:207], -v[4:5]
	v_mul_f64_e32 v[40:41], v[40:41], v[208:209]
	v_add_f64_e32 v[14:15], v[14:15], v[4:5]
	s_delay_alu instid0(VALU_DEP_2) | instskip(NEXT) | instid1(VALU_DEP_1)
	v_fmac_f64_e32 v[40:41], v[42:43], v[206:207]
	v_add_f64_e32 v[16:17], v[16:17], v[40:41]
.LBB188_52:                             ;   in Loop: Header=BB188_3 Depth=1
	s_or_b32 exec_lo, exec_lo, s23
	s_barrier_signal -1
	s_barrier_wait -1
	s_and_saveexec_b32 s23, s72
; %bb.53:                               ;   in Loop: Header=BB188_3 Depth=1
	ds_store_b128 v54, v[14:17]
; %bb.54:                               ;   in Loop: Header=BB188_3 Depth=1
	s_or_b32 exec_lo, exec_lo, s23
	s_wait_dscnt 0x0
	s_barrier_signal -1
	s_barrier_wait -1
	s_and_saveexec_b32 s23, s73
	s_cbranch_execz .LBB188_56
; %bb.55:                               ;   in Loop: Header=BB188_3 Depth=1
	ds_load_b128 v[40:43], v54
	ds_load_b128 v[206:209], v52 offset:2624
	s_wait_dscnt 0x0
	v_mul_f64_e32 v[4:5], v[42:43], v[208:209]
	s_delay_alu instid0(VALU_DEP_1) | instskip(SKIP_1) | instid1(VALU_DEP_2)
	v_fma_f64 v[4:5], v[40:41], v[206:207], -v[4:5]
	v_mul_f64_e32 v[40:41], v[40:41], v[208:209]
	v_add_f64_e32 v[14:15], v[14:15], v[4:5]
	s_delay_alu instid0(VALU_DEP_2) | instskip(NEXT) | instid1(VALU_DEP_1)
	v_fmac_f64_e32 v[40:41], v[42:43], v[206:207]
	v_add_f64_e32 v[16:17], v[16:17], v[40:41]
.LBB188_56:                             ;   in Loop: Header=BB188_3 Depth=1
	s_or_b32 exec_lo, exec_lo, s23
	s_barrier_signal -1
	s_barrier_wait -1
	;; [unrolled: 26-line block ×3, first 2 shown]
	s_and_saveexec_b32 s23, s75
; %bb.61:                               ;   in Loop: Header=BB188_3 Depth=1
	ds_store_b128 v54, v[14:17]
; %bb.62:                               ;   in Loop: Header=BB188_3 Depth=1
	s_or_b32 exec_lo, exec_lo, s23
	s_wait_dscnt 0x0
	s_barrier_signal -1
	s_barrier_wait -1
	s_barrier_signal -1
	s_barrier_wait -1
	s_and_saveexec_b32 s23, s6
; %bb.63:                               ;   in Loop: Header=BB188_3 Depth=1
	v_xor_b32_e32 v17, 0x80000000, v17
	v_xor_b32_e32 v15, 0x80000000, v15
	ds_store_b128 v55, v[14:17] offset:64
; %bb.64:                               ;   in Loop: Header=BB188_3 Depth=1
	s_or_b32 exec_lo, exec_lo, s23
	s_wait_dscnt 0x0
	s_barrier_signal -1
	s_barrier_wait -1
	s_barrier_signal -1
	s_barrier_wait -1
	s_and_saveexec_b32 s23, s76
	s_cbranch_execz .LBB188_66
; %bb.65:                               ;   in Loop: Header=BB188_3 Depth=1
	ds_load_b128 v[14:17], v58
	s_wait_dscnt 0x0
	ds_store_b128 v154, v[14:17]
	ds_load_b128 v[14:17], v85
	s_wait_dscnt 0x0
	ds_store_b128 v157, v[14:17]
	;; [unrolled: 3-line block ×4, first 2 shown]
.LBB188_66:                             ;   in Loop: Header=BB188_3 Depth=1
	s_or_b32 exec_lo, exec_lo, s23
	s_wait_dscnt 0x0
	s_barrier_signal -1
	s_barrier_wait -1
	s_and_saveexec_b32 s42, s29
	s_cbranch_execz .LBB188_68
; %bb.67:                               ;   in Loop: Header=BB188_3 Depth=1
	s_mov_b32 s48, s53
	s_mov_b32 s50, s53
	;; [unrolled: 1-line block ×3, first 2 shown]
	v_mov_b64_e32 v[14:15], s[48:49]
	v_mov_b64_e32 v[16:17], s[50:51]
	ds_store_b128 v2, v[14:17] offset:2112
	ds_store_b128 v2, v[14:17] offset:2640
	ds_load_b128 v[14:17], v2 offset:2128
	s_wait_dscnt 0x0
	ds_store_b128 v2, v[14:17] offset:2624
.LBB188_68:                             ;   in Loop: Header=BB188_3 Depth=1
	s_or_b32 exec_lo, exec_lo, s42
	v_mov_b64_e32 v[16:17], 0
	v_mov_b64_e32 v[14:15], 0
	s_wait_dscnt 0x0
	s_barrier_signal -1
	s_barrier_wait -1
	s_and_saveexec_b32 s42, s3
	s_cbranch_execz .LBB188_72
; %bb.69:                               ;   in Loop: Header=BB188_3 Depth=1
	ds_load_b128 v[14:17], v47 offset:2112
	ds_load_b128 v[40:43], v46 offset:2144
	s_wait_dscnt 0x0
	v_mul_f64_e32 v[4:5], v[16:17], v[42:43]
	v_mul_f64_e32 v[42:43], v[14:15], v[42:43]
	s_delay_alu instid0(VALU_DEP_2) | instskip(NEXT) | instid1(VALU_DEP_2)
	v_fma_f64 v[4:5], v[14:15], v[40:41], -v[4:5]
	v_fmac_f64_e32 v[42:43], v[16:17], v[40:41]
	s_delay_alu instid0(VALU_DEP_2) | instskip(NEXT) | instid1(VALU_DEP_2)
	v_add_f64_e32 v[14:15], 0, v[4:5]
	v_add_f64_e32 v[16:17], 0, v[42:43]
	s_and_saveexec_b32 s23, s4
	s_cbranch_execz .LBB188_71
; %bb.70:                               ;   in Loop: Header=BB188_3 Depth=1
	ds_load_b128 v[40:43], v2 offset:2128
	ds_load_b128 v[206:209], v86 offset:2656
	s_wait_dscnt 0x0
	v_mul_f64_e32 v[4:5], v[42:43], v[208:209]
	s_delay_alu instid0(VALU_DEP_1) | instskip(SKIP_1) | instid1(VALU_DEP_2)
	v_fma_f64 v[4:5], v[40:41], v[206:207], -v[4:5]
	v_mul_f64_e32 v[40:41], v[40:41], v[208:209]
	v_add_f64_e32 v[14:15], v[14:15], v[4:5]
	s_delay_alu instid0(VALU_DEP_2) | instskip(NEXT) | instid1(VALU_DEP_1)
	v_fmac_f64_e32 v[40:41], v[42:43], v[206:207]
	v_add_f64_e32 v[16:17], v[16:17], v[40:41]
.LBB188_71:                             ;   in Loop: Header=BB188_3 Depth=1
	s_or_b32 exec_lo, exec_lo, s23
	s_delay_alu instid0(VALU_DEP_2) | instskip(NEXT) | instid1(VALU_DEP_2)
	v_xor_b32_e32 v15, 0x80000000, v15
	v_xor_b32_e32 v17, 0x80000000, v17
.LBB188_72:                             ;   in Loop: Header=BB188_3 Depth=1
	s_or_b32 exec_lo, exec_lo, s42
	s_and_saveexec_b32 s23, s67
; %bb.73:                               ;   in Loop: Header=BB188_3 Depth=1
	ds_store_b128 v23, v[14:17]
; %bb.74:                               ;   in Loop: Header=BB188_3 Depth=1
	s_or_b32 exec_lo, exec_lo, s23
	s_wait_dscnt 0x0
	s_barrier_signal -1
	s_barrier_wait -1
	s_and_saveexec_b32 s23, s68
	s_cbranch_execz .LBB188_76
; %bb.75:                               ;   in Loop: Header=BB188_3 Depth=1
	ds_load_b128 v[40:43], v23
	ds_load_b128 v[206:209], v2 offset:3184
	s_wait_dscnt 0x0
	v_mul_f64_e32 v[4:5], v[42:43], v[208:209]
	s_delay_alu instid0(VALU_DEP_1) | instskip(SKIP_1) | instid1(VALU_DEP_2)
	v_fma_f64 v[4:5], v[40:41], v[206:207], -v[4:5]
	v_mul_f64_e32 v[40:41], v[40:41], v[208:209]
	v_add_f64_e32 v[14:15], v[14:15], v[4:5]
	s_delay_alu instid0(VALU_DEP_2) | instskip(NEXT) | instid1(VALU_DEP_1)
	v_fmac_f64_e32 v[40:41], v[42:43], v[206:207]
	v_add_f64_e32 v[16:17], v[16:17], v[40:41]
.LBB188_76:                             ;   in Loop: Header=BB188_3 Depth=1
	s_or_b32 exec_lo, exec_lo, s23
	s_barrier_signal -1
	s_barrier_wait -1
	s_and_saveexec_b32 s23, s68
; %bb.77:                               ;   in Loop: Header=BB188_3 Depth=1
	ds_store_b128 v23, v[14:17]
; %bb.78:                               ;   in Loop: Header=BB188_3 Depth=1
	s_or_b32 exec_lo, exec_lo, s23
	s_wait_dscnt 0x0
	s_barrier_signal -1
	s_barrier_wait -1
	s_barrier_signal -1
	s_barrier_wait -1
	s_and_saveexec_b32 s23, s3
; %bb.79:                               ;   in Loop: Header=BB188_3 Depth=1
	v_xor_b32_e32 v15, 0x80000000, v15
	v_xor_b32_e32 v17, 0x80000000, v17
	ds_store_b128 v46, v[14:17] offset:2144
; %bb.80:                               ;   in Loop: Header=BB188_3 Depth=1
	s_or_b32 exec_lo, exec_lo, s23
	s_wait_dscnt 0x0
	s_barrier_signal -1
	s_barrier_wait -1
	s_barrier_signal -1
	s_barrier_wait -1
	s_and_saveexec_b32 s23, s69
	s_cbranch_execz .LBB188_82
; %bb.81:                               ;   in Loop: Header=BB188_3 Depth=1
	ds_load_b128 v[14:17], v95
	s_wait_dscnt 0x0
	ds_store_b128 v158, v[14:17]
	ds_load_b128 v[14:17], v96
	s_wait_dscnt 0x0
	ds_store_b128 v159, v[14:17]
.LBB188_82:                             ;   in Loop: Header=BB188_3 Depth=1
	s_or_b32 exec_lo, exec_lo, s23
	s_wait_dscnt 0x0
	s_barrier_signal -1
	s_barrier_wait -1
	s_and_saveexec_b32 s42, s29
	s_cbranch_execz .LBB188_84
; %bb.83:                               ;   in Loop: Header=BB188_3 Depth=1
	s_mov_b32 s48, s53
	s_mov_b32 s50, s53
	;; [unrolled: 1-line block ×3, first 2 shown]
	v_mov_b64_e32 v[14:15], s[48:49]
	v_mov_b64_e32 v[16:17], s[50:51]
	ds_store_b128 v2, v[14:17] offset:3168
	ds_store_b128 v2, v[14:17] offset:3696
	ds_load_b128 v[14:17], v2 offset:3184
	s_wait_dscnt 0x0
	ds_store_b128 v2, v[14:17] offset:3680
.LBB188_84:                             ;   in Loop: Header=BB188_3 Depth=1
	s_or_b32 exec_lo, exec_lo, s42
	v_mov_b64_e32 v[16:17], 0
	v_mov_b64_e32 v[14:15], 0
	s_wait_dscnt 0x0
	s_barrier_signal -1
	s_barrier_wait -1
	s_and_saveexec_b32 s42, s9
	s_cbranch_execz .LBB188_94
; %bb.85:                               ;   in Loop: Header=BB188_3 Depth=1
	ds_load_b128 v[14:17], v57
	ds_load_b128 v[40:43], v62 offset:128
	v_readlane_b32 s20, v205, 0
	s_wait_dscnt 0x0
	v_mul_f64_e32 v[4:5], v[16:17], v[42:43]
	v_mul_f64_e32 v[42:43], v[14:15], v[42:43]
	s_delay_alu instid0(VALU_DEP_2) | instskip(NEXT) | instid1(VALU_DEP_2)
	v_fma_f64 v[4:5], v[14:15], v[40:41], -v[4:5]
	v_fmac_f64_e32 v[42:43], v[16:17], v[40:41]
	s_delay_alu instid0(VALU_DEP_2) | instskip(NEXT) | instid1(VALU_DEP_2)
	v_add_f64_e32 v[14:15], 0, v[4:5]
	v_add_f64_e32 v[16:17], 0, v[42:43]
	s_and_saveexec_b32 s23, s20
	s_cbranch_execnz .LBB188_519
; %bb.86:                               ;   in Loop: Header=BB188_3 Depth=1
	s_or_b32 exec_lo, exec_lo, s23
	s_and_saveexec_b32 s23, s11
	s_cbranch_execnz .LBB188_520
.LBB188_87:                             ;   in Loop: Header=BB188_3 Depth=1
	s_or_b32 exec_lo, exec_lo, s23
	s_and_saveexec_b32 s23, s15
	s_cbranch_execnz .LBB188_521
.LBB188_88:                             ;   in Loop: Header=BB188_3 Depth=1
	s_or_b32 exec_lo, exec_lo, s23
	s_and_saveexec_b32 s23, s16
	s_cbranch_execnz .LBB188_522
.LBB188_89:                             ;   in Loop: Header=BB188_3 Depth=1
	s_or_b32 exec_lo, exec_lo, s23
	s_and_saveexec_b32 s23, s17
	s_cbranch_execnz .LBB188_523
.LBB188_90:                             ;   in Loop: Header=BB188_3 Depth=1
	s_or_b32 exec_lo, exec_lo, s23
	s_and_saveexec_b32 s23, s6
	s_cbranch_execnz .LBB188_524
.LBB188_91:                             ;   in Loop: Header=BB188_3 Depth=1
	s_or_b32 exec_lo, exec_lo, s23
	s_and_saveexec_b32 s23, s8
	s_cbranch_execz .LBB188_93
.LBB188_92:                             ;   in Loop: Header=BB188_3 Depth=1
	ds_load_b128 v[40:43], v2 offset:112
	ds_load_b128 v[206:209], v48 offset:3712
	s_wait_dscnt 0x0
	v_mul_f64_e32 v[4:5], v[42:43], v[208:209]
	s_delay_alu instid0(VALU_DEP_1) | instskip(SKIP_1) | instid1(VALU_DEP_2)
	v_fma_f64 v[4:5], v[40:41], v[206:207], -v[4:5]
	v_mul_f64_e32 v[40:41], v[40:41], v[208:209]
	v_add_f64_e32 v[14:15], v[14:15], v[4:5]
	s_delay_alu instid0(VALU_DEP_2) | instskip(NEXT) | instid1(VALU_DEP_1)
	v_fmac_f64_e32 v[40:41], v[42:43], v[206:207]
	v_add_f64_e32 v[16:17], v[16:17], v[40:41]
.LBB188_93:                             ;   in Loop: Header=BB188_3 Depth=1
	s_or_b32 exec_lo, exec_lo, s23
	s_delay_alu instid0(VALU_DEP_2) | instskip(NEXT) | instid1(VALU_DEP_2)
	v_xor_b32_e32 v15, 0x80000000, v15
	v_xor_b32_e32 v17, 0x80000000, v17
.LBB188_94:                             ;   in Loop: Header=BB188_3 Depth=1
	s_or_b32 exec_lo, exec_lo, s42
	s_and_saveexec_b32 s23, s77
; %bb.95:                               ;   in Loop: Header=BB188_3 Depth=1
	ds_store_b128 v61, v[14:17]
; %bb.96:                               ;   in Loop: Header=BB188_3 Depth=1
	s_or_b32 exec_lo, exec_lo, s23
	s_wait_dscnt 0x0
	s_barrier_signal -1
	s_barrier_wait -1
	s_and_saveexec_b32 s23, s78
	s_cbranch_execz .LBB188_98
; %bb.97:                               ;   in Loop: Header=BB188_3 Depth=1
	ds_load_b128 v[40:43], v61
	ds_load_b128 v[206:209], v59 offset:4224
	s_wait_dscnt 0x0
	v_mul_f64_e32 v[4:5], v[42:43], v[208:209]
	s_delay_alu instid0(VALU_DEP_1) | instskip(SKIP_1) | instid1(VALU_DEP_2)
	v_fma_f64 v[4:5], v[40:41], v[206:207], -v[4:5]
	v_mul_f64_e32 v[40:41], v[40:41], v[208:209]
	v_add_f64_e32 v[14:15], v[14:15], v[4:5]
	s_delay_alu instid0(VALU_DEP_2) | instskip(NEXT) | instid1(VALU_DEP_1)
	v_fmac_f64_e32 v[40:41], v[42:43], v[206:207]
	v_add_f64_e32 v[16:17], v[16:17], v[40:41]
.LBB188_98:                             ;   in Loop: Header=BB188_3 Depth=1
	s_or_b32 exec_lo, exec_lo, s23
	s_barrier_signal -1
	s_barrier_wait -1
	s_and_saveexec_b32 s23, s79
; %bb.99:                               ;   in Loop: Header=BB188_3 Depth=1
	ds_store_b128 v61, v[14:17]
; %bb.100:                              ;   in Loop: Header=BB188_3 Depth=1
	s_or_b32 exec_lo, exec_lo, s23
	s_wait_dscnt 0x0
	s_barrier_signal -1
	s_barrier_wait -1
	s_and_saveexec_b32 s23, s80
	s_cbranch_execz .LBB188_102
; %bb.101:                              ;   in Loop: Header=BB188_3 Depth=1
	ds_load_b128 v[40:43], v61
	ds_load_b128 v[206:209], v59 offset:4736
	s_wait_dscnt 0x0
	v_mul_f64_e32 v[4:5], v[42:43], v[208:209]
	s_delay_alu instid0(VALU_DEP_1) | instskip(SKIP_1) | instid1(VALU_DEP_2)
	v_fma_f64 v[4:5], v[40:41], v[206:207], -v[4:5]
	v_mul_f64_e32 v[40:41], v[40:41], v[208:209]
	v_add_f64_e32 v[14:15], v[14:15], v[4:5]
	s_delay_alu instid0(VALU_DEP_2) | instskip(NEXT) | instid1(VALU_DEP_1)
	v_fmac_f64_e32 v[40:41], v[42:43], v[206:207]
	v_add_f64_e32 v[16:17], v[16:17], v[40:41]
.LBB188_102:                            ;   in Loop: Header=BB188_3 Depth=1
	s_or_b32 exec_lo, exec_lo, s23
	s_barrier_signal -1
	s_barrier_wait -1
	s_and_saveexec_b32 s23, s81
; %bb.103:                              ;   in Loop: Header=BB188_3 Depth=1
	ds_store_b128 v61, v[14:17]
; %bb.104:                              ;   in Loop: Header=BB188_3 Depth=1
	s_or_b32 exec_lo, exec_lo, s23
	s_wait_dscnt 0x0
	s_barrier_signal -1
	s_barrier_wait -1
	s_and_saveexec_b32 s23, s82
	s_cbranch_execz .LBB188_106
; %bb.105:                              ;   in Loop: Header=BB188_3 Depth=1
	ds_load_b128 v[40:43], v61
	ds_load_b128 v[206:209], v59 offset:5248
	s_wait_dscnt 0x0
	v_mul_f64_e32 v[4:5], v[42:43], v[208:209]
	s_delay_alu instid0(VALU_DEP_1) | instskip(SKIP_1) | instid1(VALU_DEP_2)
	v_fma_f64 v[4:5], v[40:41], v[206:207], -v[4:5]
	v_mul_f64_e32 v[40:41], v[40:41], v[208:209]
	v_add_f64_e32 v[14:15], v[14:15], v[4:5]
	s_delay_alu instid0(VALU_DEP_2) | instskip(NEXT) | instid1(VALU_DEP_1)
	v_fmac_f64_e32 v[40:41], v[42:43], v[206:207]
	v_add_f64_e32 v[16:17], v[16:17], v[40:41]
.LBB188_106:                            ;   in Loop: Header=BB188_3 Depth=1
	s_or_b32 exec_lo, exec_lo, s23
	s_barrier_signal -1
	s_barrier_wait -1
	s_and_saveexec_b32 s23, s83
; %bb.107:                              ;   in Loop: Header=BB188_3 Depth=1
	;; [unrolled: 26-line block ×6, first 2 shown]
	ds_store_b128 v61, v[14:17]
; %bb.124:                              ;   in Loop: Header=BB188_3 Depth=1
	s_or_b32 exec_lo, exec_lo, s23
	s_wait_dscnt 0x0
	s_barrier_signal -1
	s_barrier_wait -1
	s_barrier_signal -1
	s_barrier_wait -1
	s_and_saveexec_b32 s23, s9
; %bb.125:                              ;   in Loop: Header=BB188_3 Depth=1
	v_xor_b32_e32 v15, 0x80000000, v15
	v_xor_b32_e32 v17, 0x80000000, v17
	ds_store_b128 v62, v[14:17] offset:128
; %bb.126:                              ;   in Loop: Header=BB188_3 Depth=1
	s_or_b32 exec_lo, exec_lo, s23
	s_wait_dscnt 0x0
	s_barrier_signal -1
	s_barrier_wait -1
	s_barrier_signal -1
	s_barrier_wait -1
	s_and_saveexec_b32 s23, s91
	s_cbranch_execz .LBB188_128
; %bb.127:                              ;   in Loop: Header=BB188_3 Depth=1
	ds_load_b128 v[14:17], v64
	s_wait_dscnt 0x0
	ds_store_b128 v160, v[14:17]
	ds_load_b128 v[14:17], v65
	s_wait_dscnt 0x0
	ds_store_b128 v161, v[14:17]
	;; [unrolled: 3-line block ×8, first 2 shown]
.LBB188_128:                            ;   in Loop: Header=BB188_3 Depth=1
	s_or_b32 exec_lo, exec_lo, s23
	s_wait_dscnt 0x0
	s_barrier_signal -1
	s_barrier_wait -1
	s_and_saveexec_b32 s42, s29
	s_cbranch_execz .LBB188_130
; %bb.129:                              ;   in Loop: Header=BB188_3 Depth=1
	s_mov_b32 s48, s53
	s_mov_b32 s50, s53
	;; [unrolled: 1-line block ×3, first 2 shown]
	v_mov_b64_e32 v[14:15], s[48:49]
	v_mov_b64_e32 v[16:17], s[50:51]
	ds_store_b128 v2, v[14:17] offset:4224
	ds_store_b128 v2, v[14:17] offset:4752
	ds_load_b128 v[14:17], v2 offset:4240
	s_wait_dscnt 0x0
	ds_store_b128 v2, v[14:17] offset:4736
.LBB188_130:                            ;   in Loop: Header=BB188_3 Depth=1
	s_or_b32 exec_lo, exec_lo, s42
	v_mov_b64_e32 v[16:17], 0
	v_mov_b64_e32 v[14:15], 0
	s_wait_dscnt 0x0
	s_barrier_signal -1
	s_barrier_wait -1
	s_and_saveexec_b32 s42, s3
	s_cbranch_execz .LBB188_134
; %bb.131:                              ;   in Loop: Header=BB188_3 Depth=1
	ds_load_b128 v[14:17], v47 offset:4224
	ds_load_b128 v[40:43], v46 offset:4256
	s_wait_dscnt 0x0
	v_mul_f64_e32 v[4:5], v[16:17], v[42:43]
	v_mul_f64_e32 v[42:43], v[14:15], v[42:43]
	s_delay_alu instid0(VALU_DEP_2) | instskip(NEXT) | instid1(VALU_DEP_2)
	v_fma_f64 v[4:5], v[14:15], v[40:41], -v[4:5]
	v_fmac_f64_e32 v[42:43], v[16:17], v[40:41]
	s_delay_alu instid0(VALU_DEP_2) | instskip(NEXT) | instid1(VALU_DEP_2)
	v_add_f64_e32 v[14:15], 0, v[4:5]
	v_add_f64_e32 v[16:17], 0, v[42:43]
	s_and_saveexec_b32 s23, s4
	s_cbranch_execz .LBB188_133
; %bb.132:                              ;   in Loop: Header=BB188_3 Depth=1
	ds_load_b128 v[40:43], v2 offset:4240
	ds_load_b128 v[206:209], v53 offset:4768
	s_wait_dscnt 0x0
	v_mul_f64_e32 v[4:5], v[42:43], v[208:209]
	s_delay_alu instid0(VALU_DEP_1) | instskip(SKIP_1) | instid1(VALU_DEP_2)
	v_fma_f64 v[4:5], v[40:41], v[206:207], -v[4:5]
	v_mul_f64_e32 v[40:41], v[40:41], v[208:209]
	v_add_f64_e32 v[14:15], v[14:15], v[4:5]
	s_delay_alu instid0(VALU_DEP_2) | instskip(NEXT) | instid1(VALU_DEP_1)
	v_fmac_f64_e32 v[40:41], v[42:43], v[206:207]
	v_add_f64_e32 v[16:17], v[16:17], v[40:41]
.LBB188_133:                            ;   in Loop: Header=BB188_3 Depth=1
	s_or_b32 exec_lo, exec_lo, s23
	s_delay_alu instid0(VALU_DEP_2) | instskip(NEXT) | instid1(VALU_DEP_2)
	v_xor_b32_e32 v15, 0x80000000, v15
	v_xor_b32_e32 v17, 0x80000000, v17
.LBB188_134:                            ;   in Loop: Header=BB188_3 Depth=1
	s_or_b32 exec_lo, exec_lo, s42
	s_and_saveexec_b32 s23, s67
; %bb.135:                              ;   in Loop: Header=BB188_3 Depth=1
	ds_store_b128 v23, v[14:17]
; %bb.136:                              ;   in Loop: Header=BB188_3 Depth=1
	s_or_b32 exec_lo, exec_lo, s23
	s_wait_dscnt 0x0
	s_barrier_signal -1
	s_barrier_wait -1
	s_and_saveexec_b32 s23, s68
	s_cbranch_execz .LBB188_138
; %bb.137:                              ;   in Loop: Header=BB188_3 Depth=1
	ds_load_b128 v[40:43], v23
	ds_load_b128 v[206:209], v2 offset:5296
	s_wait_dscnt 0x0
	v_mul_f64_e32 v[4:5], v[42:43], v[208:209]
	s_delay_alu instid0(VALU_DEP_1) | instskip(SKIP_1) | instid1(VALU_DEP_2)
	v_fma_f64 v[4:5], v[40:41], v[206:207], -v[4:5]
	v_mul_f64_e32 v[40:41], v[40:41], v[208:209]
	v_add_f64_e32 v[14:15], v[14:15], v[4:5]
	s_delay_alu instid0(VALU_DEP_2) | instskip(NEXT) | instid1(VALU_DEP_1)
	v_fmac_f64_e32 v[40:41], v[42:43], v[206:207]
	v_add_f64_e32 v[16:17], v[16:17], v[40:41]
.LBB188_138:                            ;   in Loop: Header=BB188_3 Depth=1
	s_or_b32 exec_lo, exec_lo, s23
	s_barrier_signal -1
	s_barrier_wait -1
	s_and_saveexec_b32 s23, s68
; %bb.139:                              ;   in Loop: Header=BB188_3 Depth=1
	ds_store_b128 v23, v[14:17]
; %bb.140:                              ;   in Loop: Header=BB188_3 Depth=1
	s_or_b32 exec_lo, exec_lo, s23
	s_wait_dscnt 0x0
	s_barrier_signal -1
	s_barrier_wait -1
	s_barrier_signal -1
	s_barrier_wait -1
	s_and_saveexec_b32 s23, s3
; %bb.141:                              ;   in Loop: Header=BB188_3 Depth=1
	v_xor_b32_e32 v15, 0x80000000, v15
	v_xor_b32_e32 v17, 0x80000000, v17
	ds_store_b128 v46, v[14:17] offset:4256
; %bb.142:                              ;   in Loop: Header=BB188_3 Depth=1
	s_or_b32 exec_lo, exec_lo, s23
	s_wait_dscnt 0x0
	s_barrier_signal -1
	s_barrier_wait -1
	s_barrier_signal -1
	s_barrier_wait -1
	s_and_saveexec_b32 s23, s69
	s_cbranch_execz .LBB188_144
; %bb.143:                              ;   in Loop: Header=BB188_3 Depth=1
	ds_load_b128 v[14:17], v87
	s_wait_dscnt 0x0
	ds_store_b128 v168, v[14:17]
	ds_load_b128 v[14:17], v88
	s_wait_dscnt 0x0
	ds_store_b128 v169, v[14:17]
.LBB188_144:                            ;   in Loop: Header=BB188_3 Depth=1
	s_or_b32 exec_lo, exec_lo, s23
	s_wait_dscnt 0x0
	s_barrier_signal -1
	s_barrier_wait -1
	s_and_saveexec_b32 s42, s29
	s_cbranch_execz .LBB188_146
; %bb.145:                              ;   in Loop: Header=BB188_3 Depth=1
	s_mov_b32 s48, s53
	s_mov_b32 s50, s53
	;; [unrolled: 1-line block ×3, first 2 shown]
	v_mov_b64_e32 v[14:15], s[48:49]
	v_mov_b64_e32 v[16:17], s[50:51]
	ds_store_b128 v2, v[14:17] offset:5280
	ds_store_b128 v2, v[14:17] offset:5808
	ds_load_b128 v[14:17], v2 offset:5296
	s_wait_dscnt 0x0
	ds_store_b128 v2, v[14:17] offset:5792
.LBB188_146:                            ;   in Loop: Header=BB188_3 Depth=1
	s_or_b32 exec_lo, exec_lo, s42
	v_mov_b64_e32 v[16:17], 0
	v_mov_b64_e32 v[14:15], 0
	s_wait_dscnt 0x0
	s_barrier_signal -1
	s_barrier_wait -1
	s_and_saveexec_b32 s42, s6
	s_cbranch_execz .LBB188_152
; %bb.147:                              ;   in Loop: Header=BB188_3 Depth=1
	ds_load_b128 v[14:17], v50 offset:4224
	ds_load_b128 v[40:43], v55 offset:4288
	s_wait_dscnt 0x0
	v_mul_f64_e32 v[4:5], v[16:17], v[42:43]
	v_mul_f64_e32 v[42:43], v[14:15], v[42:43]
	s_delay_alu instid0(VALU_DEP_2) | instskip(NEXT) | instid1(VALU_DEP_2)
	v_fma_f64 v[4:5], v[14:15], v[40:41], -v[4:5]
	v_fmac_f64_e32 v[42:43], v[16:17], v[40:41]
	s_delay_alu instid0(VALU_DEP_2) | instskip(NEXT) | instid1(VALU_DEP_2)
	v_add_f64_e32 v[14:15], 0, v[4:5]
	v_add_f64_e32 v[16:17], 0, v[42:43]
	s_and_saveexec_b32 s23, s7
	s_cbranch_execnz .LBB188_525
; %bb.148:                              ;   in Loop: Header=BB188_3 Depth=1
	s_or_b32 exec_lo, exec_lo, s23
	s_and_saveexec_b32 s23, s8
	s_cbranch_execnz .LBB188_526
.LBB188_149:                            ;   in Loop: Header=BB188_3 Depth=1
	s_or_b32 exec_lo, exec_lo, s23
	s_and_saveexec_b32 s23, s3
	s_cbranch_execz .LBB188_151
.LBB188_150:                            ;   in Loop: Header=BB188_3 Depth=1
	ds_load_b128 v[40:43], v2 offset:4272
	ds_load_b128 v[206:209], v86 offset:5824
	s_wait_dscnt 0x0
	v_mul_f64_e32 v[4:5], v[42:43], v[208:209]
	s_delay_alu instid0(VALU_DEP_1) | instskip(SKIP_1) | instid1(VALU_DEP_2)
	v_fma_f64 v[4:5], v[40:41], v[206:207], -v[4:5]
	v_mul_f64_e32 v[40:41], v[40:41], v[208:209]
	v_add_f64_e32 v[14:15], v[14:15], v[4:5]
	s_delay_alu instid0(VALU_DEP_2) | instskip(NEXT) | instid1(VALU_DEP_1)
	v_fmac_f64_e32 v[40:41], v[42:43], v[206:207]
	v_add_f64_e32 v[16:17], v[16:17], v[40:41]
.LBB188_151:                            ;   in Loop: Header=BB188_3 Depth=1
	s_or_b32 exec_lo, exec_lo, s23
	s_delay_alu instid0(VALU_DEP_2) | instskip(NEXT) | instid1(VALU_DEP_2)
	v_xor_b32_e32 v15, 0x80000000, v15
	v_xor_b32_e32 v17, 0x80000000, v17
.LBB188_152:                            ;   in Loop: Header=BB188_3 Depth=1
	s_or_b32 exec_lo, exec_lo, s42
	s_and_saveexec_b32 s23, s70
; %bb.153:                              ;   in Loop: Header=BB188_3 Depth=1
	ds_store_b128 v54, v[14:17]
; %bb.154:                              ;   in Loop: Header=BB188_3 Depth=1
	s_or_b32 exec_lo, exec_lo, s23
	s_wait_dscnt 0x0
	s_barrier_signal -1
	s_barrier_wait -1
	s_and_saveexec_b32 s23, s71
	s_cbranch_execz .LBB188_156
; %bb.155:                              ;   in Loop: Header=BB188_3 Depth=1
	ds_load_b128 v[40:43], v54
	ds_load_b128 v[206:209], v52 offset:6336
	s_wait_dscnt 0x0
	v_mul_f64_e32 v[4:5], v[42:43], v[208:209]
	s_delay_alu instid0(VALU_DEP_1) | instskip(SKIP_1) | instid1(VALU_DEP_2)
	v_fma_f64 v[4:5], v[40:41], v[206:207], -v[4:5]
	v_mul_f64_e32 v[40:41], v[40:41], v[208:209]
	v_add_f64_e32 v[14:15], v[14:15], v[4:5]
	s_delay_alu instid0(VALU_DEP_2) | instskip(NEXT) | instid1(VALU_DEP_1)
	v_fmac_f64_e32 v[40:41], v[42:43], v[206:207]
	v_add_f64_e32 v[16:17], v[16:17], v[40:41]
.LBB188_156:                            ;   in Loop: Header=BB188_3 Depth=1
	s_or_b32 exec_lo, exec_lo, s23
	s_barrier_signal -1
	s_barrier_wait -1
	s_and_saveexec_b32 s23, s72
; %bb.157:                              ;   in Loop: Header=BB188_3 Depth=1
	ds_store_b128 v54, v[14:17]
; %bb.158:                              ;   in Loop: Header=BB188_3 Depth=1
	s_or_b32 exec_lo, exec_lo, s23
	s_wait_dscnt 0x0
	s_barrier_signal -1
	s_barrier_wait -1
	s_and_saveexec_b32 s23, s73
	s_cbranch_execz .LBB188_160
; %bb.159:                              ;   in Loop: Header=BB188_3 Depth=1
	ds_load_b128 v[40:43], v54
	ds_load_b128 v[206:209], v52 offset:6848
	s_wait_dscnt 0x0
	v_mul_f64_e32 v[4:5], v[42:43], v[208:209]
	s_delay_alu instid0(VALU_DEP_1) | instskip(SKIP_1) | instid1(VALU_DEP_2)
	v_fma_f64 v[4:5], v[40:41], v[206:207], -v[4:5]
	v_mul_f64_e32 v[40:41], v[40:41], v[208:209]
	v_add_f64_e32 v[14:15], v[14:15], v[4:5]
	s_delay_alu instid0(VALU_DEP_2) | instskip(NEXT) | instid1(VALU_DEP_1)
	v_fmac_f64_e32 v[40:41], v[42:43], v[206:207]
	v_add_f64_e32 v[16:17], v[16:17], v[40:41]
.LBB188_160:                            ;   in Loop: Header=BB188_3 Depth=1
	s_or_b32 exec_lo, exec_lo, s23
	s_barrier_signal -1
	s_barrier_wait -1
	;; [unrolled: 26-line block ×3, first 2 shown]
	s_and_saveexec_b32 s23, s75
; %bb.165:                              ;   in Loop: Header=BB188_3 Depth=1
	ds_store_b128 v54, v[14:17]
; %bb.166:                              ;   in Loop: Header=BB188_3 Depth=1
	s_or_b32 exec_lo, exec_lo, s23
	s_wait_dscnt 0x0
	s_barrier_signal -1
	s_barrier_wait -1
	s_barrier_signal -1
	s_barrier_wait -1
	s_and_saveexec_b32 s23, s6
; %bb.167:                              ;   in Loop: Header=BB188_3 Depth=1
	v_xor_b32_e32 v17, 0x80000000, v17
	v_xor_b32_e32 v15, 0x80000000, v15
	ds_store_b128 v55, v[14:17] offset:4288
; %bb.168:                              ;   in Loop: Header=BB188_3 Depth=1
	s_or_b32 exec_lo, exec_lo, s23
	s_wait_dscnt 0x0
	s_barrier_signal -1
	s_barrier_wait -1
	s_barrier_signal -1
	s_barrier_wait -1
	s_and_saveexec_b32 s23, s76
	s_cbranch_execz .LBB188_170
; %bb.169:                              ;   in Loop: Header=BB188_3 Depth=1
	ds_load_b128 v[14:17], v98
	s_wait_dscnt 0x0
	ds_store_b128 v171, v[14:17]
	ds_load_b128 v[14:17], v101
	s_wait_dscnt 0x0
	ds_store_b128 v174, v[14:17]
	;; [unrolled: 3-line block ×4, first 2 shown]
.LBB188_170:                            ;   in Loop: Header=BB188_3 Depth=1
	s_or_b32 exec_lo, exec_lo, s23
	s_wait_dscnt 0x0
	s_barrier_signal -1
	s_barrier_wait -1
	s_and_saveexec_b32 s42, s29
	s_cbranch_execz .LBB188_172
; %bb.171:                              ;   in Loop: Header=BB188_3 Depth=1
	s_mov_b32 s48, s53
	s_mov_b32 s50, s53
	;; [unrolled: 1-line block ×3, first 2 shown]
	v_mov_b64_e32 v[14:15], s[48:49]
	v_mov_b64_e32 v[16:17], s[50:51]
	ds_store_b128 v2, v[14:17] offset:6336
	ds_store_b128 v2, v[14:17] offset:6864
	ds_load_b128 v[14:17], v2 offset:6352
	s_wait_dscnt 0x0
	ds_store_b128 v2, v[14:17] offset:6848
.LBB188_172:                            ;   in Loop: Header=BB188_3 Depth=1
	s_or_b32 exec_lo, exec_lo, s42
	v_mov_b64_e32 v[16:17], 0
	v_mov_b64_e32 v[14:15], 0
	s_wait_dscnt 0x0
	s_barrier_signal -1
	s_barrier_wait -1
	s_and_saveexec_b32 s42, s3
	s_cbranch_execz .LBB188_176
; %bb.173:                              ;   in Loop: Header=BB188_3 Depth=1
	ds_load_b128 v[14:17], v47 offset:6336
	ds_load_b128 v[40:43], v46 offset:6368
	s_wait_dscnt 0x0
	v_mul_f64_e32 v[4:5], v[16:17], v[42:43]
	v_mul_f64_e32 v[42:43], v[14:15], v[42:43]
	s_delay_alu instid0(VALU_DEP_2) | instskip(NEXT) | instid1(VALU_DEP_2)
	v_fma_f64 v[4:5], v[14:15], v[40:41], -v[4:5]
	v_fmac_f64_e32 v[42:43], v[16:17], v[40:41]
	s_delay_alu instid0(VALU_DEP_2) | instskip(NEXT) | instid1(VALU_DEP_2)
	v_add_f64_e32 v[14:15], 0, v[4:5]
	v_add_f64_e32 v[16:17], 0, v[42:43]
	s_and_saveexec_b32 s23, s4
	s_cbranch_execz .LBB188_175
; %bb.174:                              ;   in Loop: Header=BB188_3 Depth=1
	ds_load_b128 v[40:43], v2 offset:6352
	ds_load_b128 v[206:209], v97 offset:6880
	s_wait_dscnt 0x0
	v_mul_f64_e32 v[4:5], v[42:43], v[208:209]
	s_delay_alu instid0(VALU_DEP_1) | instskip(SKIP_1) | instid1(VALU_DEP_2)
	v_fma_f64 v[4:5], v[40:41], v[206:207], -v[4:5]
	v_mul_f64_e32 v[40:41], v[40:41], v[208:209]
	v_add_f64_e32 v[14:15], v[14:15], v[4:5]
	s_delay_alu instid0(VALU_DEP_2) | instskip(NEXT) | instid1(VALU_DEP_1)
	v_fmac_f64_e32 v[40:41], v[42:43], v[206:207]
	v_add_f64_e32 v[16:17], v[16:17], v[40:41]
.LBB188_175:                            ;   in Loop: Header=BB188_3 Depth=1
	s_or_b32 exec_lo, exec_lo, s23
	s_delay_alu instid0(VALU_DEP_2) | instskip(NEXT) | instid1(VALU_DEP_2)
	v_xor_b32_e32 v15, 0x80000000, v15
	v_xor_b32_e32 v17, 0x80000000, v17
.LBB188_176:                            ;   in Loop: Header=BB188_3 Depth=1
	s_or_b32 exec_lo, exec_lo, s42
	s_and_saveexec_b32 s23, s67
; %bb.177:                              ;   in Loop: Header=BB188_3 Depth=1
	ds_store_b128 v23, v[14:17]
; %bb.178:                              ;   in Loop: Header=BB188_3 Depth=1
	s_or_b32 exec_lo, exec_lo, s23
	s_wait_dscnt 0x0
	s_barrier_signal -1
	s_barrier_wait -1
	s_and_saveexec_b32 s23, s68
	s_cbranch_execz .LBB188_180
; %bb.179:                              ;   in Loop: Header=BB188_3 Depth=1
	ds_load_b128 v[40:43], v23
	ds_load_b128 v[206:209], v2 offset:7408
	s_wait_dscnt 0x0
	v_mul_f64_e32 v[4:5], v[42:43], v[208:209]
	s_delay_alu instid0(VALU_DEP_1) | instskip(SKIP_1) | instid1(VALU_DEP_2)
	v_fma_f64 v[4:5], v[40:41], v[206:207], -v[4:5]
	v_mul_f64_e32 v[40:41], v[40:41], v[208:209]
	v_add_f64_e32 v[14:15], v[14:15], v[4:5]
	s_delay_alu instid0(VALU_DEP_2) | instskip(NEXT) | instid1(VALU_DEP_1)
	v_fmac_f64_e32 v[40:41], v[42:43], v[206:207]
	v_add_f64_e32 v[16:17], v[16:17], v[40:41]
.LBB188_180:                            ;   in Loop: Header=BB188_3 Depth=1
	s_or_b32 exec_lo, exec_lo, s23
	s_barrier_signal -1
	s_barrier_wait -1
	s_and_saveexec_b32 s23, s68
; %bb.181:                              ;   in Loop: Header=BB188_3 Depth=1
	ds_store_b128 v23, v[14:17]
; %bb.182:                              ;   in Loop: Header=BB188_3 Depth=1
	s_or_b32 exec_lo, exec_lo, s23
	s_wait_dscnt 0x0
	s_barrier_signal -1
	s_barrier_wait -1
	s_barrier_signal -1
	s_barrier_wait -1
	s_and_saveexec_b32 s23, s3
; %bb.183:                              ;   in Loop: Header=BB188_3 Depth=1
	v_xor_b32_e32 v15, 0x80000000, v15
	v_xor_b32_e32 v17, 0x80000000, v17
	ds_store_b128 v46, v[14:17] offset:6368
; %bb.184:                              ;   in Loop: Header=BB188_3 Depth=1
	s_or_b32 exec_lo, exec_lo, s23
	s_wait_dscnt 0x0
	s_barrier_signal -1
	s_barrier_wait -1
	s_barrier_signal -1
	s_barrier_wait -1
	s_and_saveexec_b32 s23, s69
	s_cbranch_execz .LBB188_186
; %bb.185:                              ;   in Loop: Header=BB188_3 Depth=1
	ds_load_b128 v[14:17], v108
	s_wait_dscnt 0x0
	ds_store_b128 v112, v[14:17]
	ds_load_b128 v[14:17], v109
	s_wait_dscnt 0x0
	ds_store_b128 v113, v[14:17]
.LBB188_186:                            ;   in Loop: Header=BB188_3 Depth=1
	s_or_b32 exec_lo, exec_lo, s23
	s_wait_dscnt 0x0
	s_barrier_signal -1
	s_barrier_wait -1
	s_and_saveexec_b32 s42, s29
	s_cbranch_execz .LBB188_188
; %bb.187:                              ;   in Loop: Header=BB188_3 Depth=1
	s_mov_b32 s48, s53
	s_mov_b32 s50, s53
	;; [unrolled: 1-line block ×3, first 2 shown]
	v_mov_b64_e32 v[14:15], s[48:49]
	v_mov_b64_e32 v[16:17], s[50:51]
	ds_store_b128 v2, v[14:17] offset:7392
	ds_store_b128 v2, v[14:17] offset:7920
	ds_load_b128 v[14:17], v2 offset:7408
	s_wait_dscnt 0x0
	ds_store_b128 v2, v[14:17] offset:7904
.LBB188_188:                            ;   in Loop: Header=BB188_3 Depth=1
	s_or_b32 exec_lo, exec_lo, s42
	v_mov_b64_e32 v[16:17], 0
	v_mov_b64_e32 v[14:15], 0
	s_wait_dscnt 0x0
	s_barrier_signal -1
	s_barrier_wait -1
	s_and_saveexec_b32 s42, s12
	s_cbranch_execz .LBB188_215
; %bb.189:                              ;   in Loop: Header=BB188_3 Depth=1
	v_add_nc_u32_e32 v3, v72, v170
	v_readlane_b32 s20, v205, 19
	ds_load_b128 v[14:17], v3
	ds_load_b128 v[40:43], v176 offset:256
	s_wait_dscnt 0x0
	v_mul_f64_e32 v[4:5], v[16:17], v[42:43]
	v_mul_f64_e32 v[42:43], v[14:15], v[42:43]
	s_delay_alu instid0(VALU_DEP_2) | instskip(NEXT) | instid1(VALU_DEP_2)
	v_fma_f64 v[4:5], v[14:15], v[40:41], -v[4:5]
	v_fmac_f64_e32 v[42:43], v[16:17], v[40:41]
	s_delay_alu instid0(VALU_DEP_2) | instskip(NEXT) | instid1(VALU_DEP_2)
	v_add_f64_e32 v[14:15], 0, v[4:5]
	v_add_f64_e32 v[16:17], 0, v[42:43]
	s_and_saveexec_b32 s23, s20
	s_cbranch_execz .LBB188_191
; %bb.190:                              ;   in Loop: Header=BB188_3 Depth=1
	ds_load_b128 v[40:43], v3 offset:16
	ds_load_b128 v[206:209], v176 offset:768
	s_wait_dscnt 0x0
	v_mul_f64_e32 v[4:5], v[42:43], v[208:209]
	s_delay_alu instid0(VALU_DEP_1) | instskip(SKIP_1) | instid1(VALU_DEP_2)
	v_fma_f64 v[4:5], v[40:41], v[206:207], -v[4:5]
	v_mul_f64_e32 v[40:41], v[40:41], v[208:209]
	v_add_f64_e32 v[14:15], v[14:15], v[4:5]
	s_delay_alu instid0(VALU_DEP_2) | instskip(NEXT) | instid1(VALU_DEP_1)
	v_fmac_f64_e32 v[40:41], v[42:43], v[206:207]
	v_add_f64_e32 v[16:17], v[16:17], v[40:41]
.LBB188_191:                            ;   in Loop: Header=BB188_3 Depth=1
	s_or_b32 exec_lo, exec_lo, s23
	v_readlane_b32 s20, v205, 20
	s_and_saveexec_b32 s23, s20
	s_cbranch_execz .LBB188_193
; %bb.192:                              ;   in Loop: Header=BB188_3 Depth=1
	ds_load_b128 v[40:43], v3 offset:32
	ds_load_b128 v[206:209], v176 offset:1280
	s_wait_dscnt 0x0
	v_mul_f64_e32 v[4:5], v[42:43], v[208:209]
	s_delay_alu instid0(VALU_DEP_1) | instskip(SKIP_1) | instid1(VALU_DEP_2)
	v_fma_f64 v[4:5], v[40:41], v[206:207], -v[4:5]
	v_mul_f64_e32 v[40:41], v[40:41], v[208:209]
	v_add_f64_e32 v[14:15], v[14:15], v[4:5]
	s_delay_alu instid0(VALU_DEP_2) | instskip(NEXT) | instid1(VALU_DEP_1)
	v_fmac_f64_e32 v[40:41], v[42:43], v[206:207]
	v_add_f64_e32 v[16:17], v[16:17], v[40:41]
.LBB188_193:                            ;   in Loop: Header=BB188_3 Depth=1
	s_or_b32 exec_lo, exec_lo, s23
	v_readlane_b32 s20, v205, 21
	;; [unrolled: 17-line block ×9, first 2 shown]
	s_and_saveexec_b32 s23, s20
	s_cbranch_execnz .LBB188_527
; %bb.208:                              ;   in Loop: Header=BB188_3 Depth=1
	s_or_b32 exec_lo, exec_lo, s23
	s_and_saveexec_b32 s23, s22
	s_cbranch_execnz .LBB188_528
.LBB188_209:                            ;   in Loop: Header=BB188_3 Depth=1
	s_or_b32 exec_lo, exec_lo, s23
	s_and_saveexec_b32 s23, s9
	s_cbranch_execnz .LBB188_529
.LBB188_210:                            ;   in Loop: Header=BB188_3 Depth=1
	s_or_b32 exec_lo, exec_lo, s23
	s_and_saveexec_b32 s23, s11
	s_cbranch_execnz .LBB188_530
.LBB188_211:                            ;   in Loop: Header=BB188_3 Depth=1
	s_or_b32 exec_lo, exec_lo, s23
	s_and_saveexec_b32 s23, s16
	s_cbranch_execnz .LBB188_531
.LBB188_212:                            ;   in Loop: Header=BB188_3 Depth=1
	s_or_b32 exec_lo, exec_lo, s23
	s_and_saveexec_b32 s23, s6
	s_cbranch_execz .LBB188_214
.LBB188_213:                            ;   in Loop: Header=BB188_3 Depth=1
	ds_load_b128 v[40:43], v2 offset:240
	ds_load_b128 v[206:209], v48 offset:7936
	s_wait_dscnt 0x0
	v_mul_f64_e32 v[4:5], v[42:43], v[208:209]
	s_delay_alu instid0(VALU_DEP_1) | instskip(SKIP_1) | instid1(VALU_DEP_2)
	v_fma_f64 v[4:5], v[40:41], v[206:207], -v[4:5]
	v_mul_f64_e32 v[40:41], v[40:41], v[208:209]
	v_add_f64_e32 v[14:15], v[14:15], v[4:5]
	s_delay_alu instid0(VALU_DEP_2) | instskip(NEXT) | instid1(VALU_DEP_1)
	v_fmac_f64_e32 v[40:41], v[42:43], v[206:207]
	v_add_f64_e32 v[16:17], v[16:17], v[40:41]
.LBB188_214:                            ;   in Loop: Header=BB188_3 Depth=1
	s_or_b32 exec_lo, exec_lo, s23
	s_delay_alu instid0(VALU_DEP_3) | instskip(NEXT) | instid1(VALU_DEP_2)
	v_xor_b32_e32 v15, 0x80000000, v15
	v_xor_b32_e32 v17, 0x80000000, v17
.LBB188_215:                            ;   in Loop: Header=BB188_3 Depth=1
	s_or_b32 exec_lo, exec_lo, s42
	v_readlane_b32 s20, v205, 1
	s_and_saveexec_b32 s23, s20
; %bb.216:                              ;   in Loop: Header=BB188_3 Depth=1
	ds_store_b128 v175, v[14:17]
; %bb.217:                              ;   in Loop: Header=BB188_3 Depth=1
	s_or_b32 exec_lo, exec_lo, s23
	v_readlane_b32 s20, v205, 2
	s_wait_dscnt 0x0
	s_barrier_signal -1
	s_barrier_wait -1
	s_and_saveexec_b32 s23, s20
	s_cbranch_execz .LBB188_219
; %bb.218:                              ;   in Loop: Header=BB188_3 Depth=1
	ds_load_b128 v[40:43], v175
	ds_load_b128 v[206:209], v73 offset:8448
	s_wait_dscnt 0x0
	v_mul_f64_e32 v[4:5], v[42:43], v[208:209]
	s_delay_alu instid0(VALU_DEP_1) | instskip(SKIP_1) | instid1(VALU_DEP_2)
	v_fma_f64 v[4:5], v[40:41], v[206:207], -v[4:5]
	v_mul_f64_e32 v[40:41], v[40:41], v[208:209]
	v_add_f64_e32 v[14:15], v[14:15], v[4:5]
	s_delay_alu instid0(VALU_DEP_2) | instskip(NEXT) | instid1(VALU_DEP_1)
	v_fmac_f64_e32 v[40:41], v[42:43], v[206:207]
	v_add_f64_e32 v[16:17], v[16:17], v[40:41]
.LBB188_219:                            ;   in Loop: Header=BB188_3 Depth=1
	s_or_b32 exec_lo, exec_lo, s23
	v_readlane_b32 s20, v205, 3
	s_barrier_signal -1
	s_barrier_wait -1
	s_and_saveexec_b32 s23, s20
; %bb.220:                              ;   in Loop: Header=BB188_3 Depth=1
	ds_store_b128 v175, v[14:17]
; %bb.221:                              ;   in Loop: Header=BB188_3 Depth=1
	s_or_b32 exec_lo, exec_lo, s23
	v_readlane_b32 s20, v205, 4
	s_wait_dscnt 0x0
	s_barrier_signal -1
	s_barrier_wait -1
	s_and_saveexec_b32 s23, s20
	s_cbranch_execz .LBB188_223
; %bb.222:                              ;   in Loop: Header=BB188_3 Depth=1
	ds_load_b128 v[40:43], v175
	ds_load_b128 v[206:209], v73 offset:8960
	s_wait_dscnt 0x0
	v_mul_f64_e32 v[4:5], v[42:43], v[208:209]
	s_delay_alu instid0(VALU_DEP_1) | instskip(SKIP_1) | instid1(VALU_DEP_2)
	v_fma_f64 v[4:5], v[40:41], v[206:207], -v[4:5]
	v_mul_f64_e32 v[40:41], v[40:41], v[208:209]
	v_add_f64_e32 v[14:15], v[14:15], v[4:5]
	s_delay_alu instid0(VALU_DEP_2) | instskip(NEXT) | instid1(VALU_DEP_1)
	v_fmac_f64_e32 v[40:41], v[42:43], v[206:207]
	v_add_f64_e32 v[16:17], v[16:17], v[40:41]
.LBB188_223:                            ;   in Loop: Header=BB188_3 Depth=1
	s_or_b32 exec_lo, exec_lo, s23
	v_readlane_b32 s20, v205, 5
	s_barrier_signal -1
	s_barrier_wait -1
	;; [unrolled: 28-line block ×8, first 2 shown]
	s_and_saveexec_b32 s23, s20
; %bb.248:                              ;   in Loop: Header=BB188_3 Depth=1
	ds_store_b128 v175, v[14:17]
; %bb.249:                              ;   in Loop: Header=BB188_3 Depth=1
	s_or_b32 exec_lo, exec_lo, s23
	s_wait_dscnt 0x0
	s_barrier_signal -1
	s_barrier_wait -1
	s_and_saveexec_b32 s23, s27
	s_cbranch_execz .LBB188_251
; %bb.250:                              ;   in Loop: Header=BB188_3 Depth=1
	ds_load_b128 v[40:43], v175
	ds_load_b128 v[206:209], v73 offset:12544
	s_wait_dscnt 0x0
	v_mul_f64_e32 v[4:5], v[42:43], v[208:209]
	s_delay_alu instid0(VALU_DEP_1) | instskip(SKIP_1) | instid1(VALU_DEP_2)
	v_fma_f64 v[4:5], v[40:41], v[206:207], -v[4:5]
	v_mul_f64_e32 v[40:41], v[40:41], v[208:209]
	v_add_f64_e32 v[14:15], v[14:15], v[4:5]
	s_delay_alu instid0(VALU_DEP_2) | instskip(NEXT) | instid1(VALU_DEP_1)
	v_fmac_f64_e32 v[40:41], v[42:43], v[206:207]
	v_add_f64_e32 v[16:17], v[16:17], v[40:41]
.LBB188_251:                            ;   in Loop: Header=BB188_3 Depth=1
	s_or_b32 exec_lo, exec_lo, s23
	s_barrier_signal -1
	s_barrier_wait -1
	s_and_saveexec_b32 s23, s28
; %bb.252:                              ;   in Loop: Header=BB188_3 Depth=1
	ds_store_b128 v175, v[14:17]
; %bb.253:                              ;   in Loop: Header=BB188_3 Depth=1
	s_or_b32 exec_lo, exec_lo, s23
	s_wait_dscnt 0x0
	s_barrier_signal -1
	s_barrier_wait -1
	s_and_saveexec_b32 s23, s10
	s_cbranch_execz .LBB188_255
; %bb.254:                              ;   in Loop: Header=BB188_3 Depth=1
	ds_load_b128 v[40:43], v175
	ds_load_b128 v[206:209], v73 offset:13056
	s_wait_dscnt 0x0
	v_mul_f64_e32 v[4:5], v[42:43], v[208:209]
	s_delay_alu instid0(VALU_DEP_1) | instskip(SKIP_1) | instid1(VALU_DEP_2)
	v_fma_f64 v[4:5], v[40:41], v[206:207], -v[4:5]
	v_mul_f64_e32 v[40:41], v[40:41], v[208:209]
	v_add_f64_e32 v[14:15], v[14:15], v[4:5]
	s_delay_alu instid0(VALU_DEP_2) | instskip(NEXT) | instid1(VALU_DEP_1)
	v_fmac_f64_e32 v[40:41], v[42:43], v[206:207]
	v_add_f64_e32 v[16:17], v[16:17], v[40:41]
.LBB188_255:                            ;   in Loop: Header=BB188_3 Depth=1
	s_or_b32 exec_lo, exec_lo, s23
	s_barrier_signal -1
	s_barrier_wait -1
	s_and_saveexec_b32 s23, s92
; %bb.256:                              ;   in Loop: Header=BB188_3 Depth=1
	ds_store_b128 v175, v[14:17]
; %bb.257:                              ;   in Loop: Header=BB188_3 Depth=1
	s_or_b32 exec_lo, exec_lo, s23
	s_wait_dscnt 0x0
	s_barrier_signal -1
	s_barrier_wait -1
	s_and_saveexec_b32 s23, s93
	s_cbranch_execz .LBB188_259
; %bb.258:                              ;   in Loop: Header=BB188_3 Depth=1
	ds_load_b128 v[40:43], v175
	ds_load_b128 v[206:209], v73 offset:13568
	s_wait_dscnt 0x0
	v_mul_f64_e32 v[4:5], v[42:43], v[208:209]
	s_delay_alu instid0(VALU_DEP_1) | instskip(SKIP_1) | instid1(VALU_DEP_2)
	v_fma_f64 v[4:5], v[40:41], v[206:207], -v[4:5]
	v_mul_f64_e32 v[40:41], v[40:41], v[208:209]
	v_add_f64_e32 v[14:15], v[14:15], v[4:5]
	s_delay_alu instid0(VALU_DEP_2) | instskip(NEXT) | instid1(VALU_DEP_1)
	v_fmac_f64_e32 v[40:41], v[42:43], v[206:207]
	v_add_f64_e32 v[16:17], v[16:17], v[40:41]
.LBB188_259:                            ;   in Loop: Header=BB188_3 Depth=1
	s_or_b32 exec_lo, exec_lo, s23
	s_barrier_signal -1
	s_barrier_wait -1
	s_and_saveexec_b32 s23, s94
; %bb.260:                              ;   in Loop: Header=BB188_3 Depth=1
	ds_store_b128 v175, v[14:17]
; %bb.261:                              ;   in Loop: Header=BB188_3 Depth=1
	s_or_b32 exec_lo, exec_lo, s23
	s_wait_dscnt 0x0
	s_barrier_signal -1
	s_barrier_wait -1
	s_and_saveexec_b32 s23, s95
	s_cbranch_execz .LBB188_263
; %bb.262:                              ;   in Loop: Header=BB188_3 Depth=1
	ds_load_b128 v[40:43], v175
	ds_load_b128 v[206:209], v73 offset:14080
	s_wait_dscnt 0x0
	v_mul_f64_e32 v[4:5], v[42:43], v[208:209]
	s_delay_alu instid0(VALU_DEP_1) | instskip(SKIP_1) | instid1(VALU_DEP_2)
	v_fma_f64 v[4:5], v[40:41], v[206:207], -v[4:5]
	v_mul_f64_e32 v[40:41], v[40:41], v[208:209]
	v_add_f64_e32 v[14:15], v[14:15], v[4:5]
	s_delay_alu instid0(VALU_DEP_2) | instskip(NEXT) | instid1(VALU_DEP_1)
	v_fmac_f64_e32 v[40:41], v[42:43], v[206:207]
	v_add_f64_e32 v[16:17], v[16:17], v[40:41]
.LBB188_263:                            ;   in Loop: Header=BB188_3 Depth=1
	s_or_b32 exec_lo, exec_lo, s23
	s_barrier_signal -1
	s_barrier_wait -1
	s_and_saveexec_b32 s23, s96
; %bb.264:                              ;   in Loop: Header=BB188_3 Depth=1
	ds_store_b128 v175, v[14:17]
; %bb.265:                              ;   in Loop: Header=BB188_3 Depth=1
	s_or_b32 exec_lo, exec_lo, s23
	s_wait_dscnt 0x0
	s_barrier_signal -1
	s_barrier_wait -1
	s_and_saveexec_b32 s23, s97
	s_cbranch_execz .LBB188_267
; %bb.266:                              ;   in Loop: Header=BB188_3 Depth=1
	ds_load_b128 v[40:43], v175
	ds_load_b128 v[206:209], v73 offset:14592
	s_wait_dscnt 0x0
	v_mul_f64_e32 v[4:5], v[42:43], v[208:209]
	s_delay_alu instid0(VALU_DEP_1) | instskip(SKIP_1) | instid1(VALU_DEP_2)
	v_fma_f64 v[4:5], v[40:41], v[206:207], -v[4:5]
	v_mul_f64_e32 v[40:41], v[40:41], v[208:209]
	v_add_f64_e32 v[14:15], v[14:15], v[4:5]
	s_delay_alu instid0(VALU_DEP_2) | instskip(NEXT) | instid1(VALU_DEP_1)
	v_fmac_f64_e32 v[40:41], v[42:43], v[206:207]
	v_add_f64_e32 v[16:17], v[16:17], v[40:41]
.LBB188_267:                            ;   in Loop: Header=BB188_3 Depth=1
	s_or_b32 exec_lo, exec_lo, s23
	s_barrier_signal -1
	s_barrier_wait -1
	s_and_saveexec_b32 s23, s98
; %bb.268:                              ;   in Loop: Header=BB188_3 Depth=1
	ds_store_b128 v175, v[14:17]
; %bb.269:                              ;   in Loop: Header=BB188_3 Depth=1
	s_or_b32 exec_lo, exec_lo, s23
	s_wait_dscnt 0x0
	s_barrier_signal -1
	s_barrier_wait -1
	s_and_saveexec_b32 s23, s99
	s_cbranch_execz .LBB188_271
; %bb.270:                              ;   in Loop: Header=BB188_3 Depth=1
	ds_load_b128 v[40:43], v175
	ds_load_b128 v[206:209], v73 offset:15104
	s_wait_dscnt 0x0
	v_mul_f64_e32 v[4:5], v[42:43], v[208:209]
	s_delay_alu instid0(VALU_DEP_1) | instskip(SKIP_1) | instid1(VALU_DEP_2)
	v_fma_f64 v[4:5], v[40:41], v[206:207], -v[4:5]
	v_mul_f64_e32 v[40:41], v[40:41], v[208:209]
	v_add_f64_e32 v[14:15], v[14:15], v[4:5]
	s_delay_alu instid0(VALU_DEP_2) | instskip(NEXT) | instid1(VALU_DEP_1)
	v_fmac_f64_e32 v[40:41], v[42:43], v[206:207]
	v_add_f64_e32 v[16:17], v[16:17], v[40:41]
.LBB188_271:                            ;   in Loop: Header=BB188_3 Depth=1
	s_or_b32 exec_lo, exec_lo, s23
	s_barrier_signal -1
	s_barrier_wait -1
	s_and_saveexec_b32 s23, s100
; %bb.272:                              ;   in Loop: Header=BB188_3 Depth=1
	ds_store_b128 v175, v[14:17]
; %bb.273:                              ;   in Loop: Header=BB188_3 Depth=1
	s_or_b32 exec_lo, exec_lo, s23
	s_wait_dscnt 0x0
	s_barrier_signal -1
	s_barrier_wait -1
	s_and_saveexec_b32 s23, s101
	s_cbranch_execz .LBB188_275
; %bb.274:                              ;   in Loop: Header=BB188_3 Depth=1
	ds_load_b128 v[40:43], v175
	ds_load_b128 v[206:209], v2 offset:15856
	s_wait_dscnt 0x0
	v_mul_f64_e32 v[4:5], v[42:43], v[208:209]
	s_delay_alu instid0(VALU_DEP_1) | instskip(SKIP_1) | instid1(VALU_DEP_2)
	v_fma_f64 v[4:5], v[40:41], v[206:207], -v[4:5]
	v_mul_f64_e32 v[40:41], v[40:41], v[208:209]
	v_add_f64_e32 v[14:15], v[14:15], v[4:5]
	s_delay_alu instid0(VALU_DEP_2) | instskip(NEXT) | instid1(VALU_DEP_1)
	v_fmac_f64_e32 v[40:41], v[42:43], v[206:207]
	v_add_f64_e32 v[16:17], v[16:17], v[40:41]
.LBB188_275:                            ;   in Loop: Header=BB188_3 Depth=1
	s_or_b32 exec_lo, exec_lo, s23
	s_barrier_signal -1
	s_barrier_wait -1
	s_and_saveexec_b32 s23, s101
; %bb.276:                              ;   in Loop: Header=BB188_3 Depth=1
	ds_store_b128 v175, v[14:17]
; %bb.277:                              ;   in Loop: Header=BB188_3 Depth=1
	s_or_b32 exec_lo, exec_lo, s23
	s_wait_dscnt 0x0
	s_barrier_signal -1
	s_barrier_wait -1
	s_barrier_signal -1
	s_barrier_wait -1
	s_and_saveexec_b32 s23, s12
; %bb.278:                              ;   in Loop: Header=BB188_3 Depth=1
	v_xor_b32_e32 v17, 0x80000000, v17
	v_xor_b32_e32 v15, 0x80000000, v15
	ds_store_b128 v176, v[14:17] offset:256
; %bb.279:                              ;   in Loop: Header=BB188_3 Depth=1
	s_or_b32 exec_lo, exec_lo, s23
	s_wait_dscnt 0x0
	s_barrier_signal -1
	s_barrier_wait -1
	s_barrier_signal -1
	s_barrier_wait -1
	s_and_saveexec_b32 s42, s102
	s_cbranch_execz .LBB188_281
; %bb.280:                              ;   in Loop: Header=BB188_3 Depth=1
	ds_load_b128 v[14:17], v116
	s_wait_dscnt 0x0
	ds_store_b128 v134, v[14:17]
	ds_load_b128 v[14:17], v117
	s_wait_dscnt 0x0
	ds_store_b128 v135, v[14:17]
	;; [unrolled: 3-line block ×16, first 2 shown]
.LBB188_281:                            ;   in Loop: Header=BB188_3 Depth=1
	s_or_b32 exec_lo, exec_lo, s42
	s_wait_dscnt 0x0
	s_barrier_signal -1
	s_barrier_wait -1
	s_and_saveexec_b32 s42, s29
	s_cbranch_execz .LBB188_283
; %bb.282:                              ;   in Loop: Header=BB188_3 Depth=1
	s_mov_b32 s48, s53
	s_mov_b32 s50, s53
	;; [unrolled: 1-line block ×3, first 2 shown]
	v_mov_b64_e32 v[14:15], s[48:49]
	v_mov_b64_e32 v[16:17], s[50:51]
	ds_store_b128 v2, v[14:17] offset:8448
	ds_store_b128 v2, v[14:17] offset:8976
	ds_load_b128 v[14:17], v2 offset:8464
	s_wait_dscnt 0x0
	ds_store_b128 v2, v[14:17] offset:8960
.LBB188_283:                            ;   in Loop: Header=BB188_3 Depth=1
	s_or_b32 exec_lo, exec_lo, s42
	v_mov_b64_e32 v[16:17], 0
	v_mov_b64_e32 v[14:15], 0
	s_wait_dscnt 0x0
	s_barrier_signal -1
	s_barrier_wait -1
	s_and_saveexec_b32 s42, s3
	s_cbranch_execz .LBB188_287
; %bb.284:                              ;   in Loop: Header=BB188_3 Depth=1
	ds_load_b128 v[14:17], v47 offset:8448
	ds_load_b128 v[40:43], v46 offset:8480
	s_wait_dscnt 0x0
	v_mul_f64_e32 v[4:5], v[16:17], v[42:43]
	v_mul_f64_e32 v[42:43], v[14:15], v[42:43]
	s_delay_alu instid0(VALU_DEP_2) | instskip(NEXT) | instid1(VALU_DEP_2)
	v_fma_f64 v[4:5], v[14:15], v[40:41], -v[4:5]
	v_fmac_f64_e32 v[42:43], v[16:17], v[40:41]
	s_delay_alu instid0(VALU_DEP_2) | instskip(NEXT) | instid1(VALU_DEP_2)
	v_add_f64_e32 v[14:15], 0, v[4:5]
	v_add_f64_e32 v[16:17], 0, v[42:43]
	s_and_saveexec_b32 s23, s4
	s_cbranch_execz .LBB188_286
; %bb.285:                              ;   in Loop: Header=BB188_3 Depth=1
	ds_load_b128 v[40:43], v2 offset:8464
	ds_load_b128 v[206:209], v48 offset:8992
	s_wait_dscnt 0x0
	v_mul_f64_e32 v[4:5], v[42:43], v[208:209]
	s_delay_alu instid0(VALU_DEP_1) | instskip(SKIP_1) | instid1(VALU_DEP_2)
	v_fma_f64 v[4:5], v[40:41], v[206:207], -v[4:5]
	v_mul_f64_e32 v[40:41], v[40:41], v[208:209]
	v_add_f64_e32 v[14:15], v[14:15], v[4:5]
	s_delay_alu instid0(VALU_DEP_2) | instskip(NEXT) | instid1(VALU_DEP_1)
	v_fmac_f64_e32 v[40:41], v[42:43], v[206:207]
	v_add_f64_e32 v[16:17], v[16:17], v[40:41]
.LBB188_286:                            ;   in Loop: Header=BB188_3 Depth=1
	s_or_b32 exec_lo, exec_lo, s23
	s_delay_alu instid0(VALU_DEP_2) | instskip(NEXT) | instid1(VALU_DEP_2)
	v_xor_b32_e32 v15, 0x80000000, v15
	v_xor_b32_e32 v17, 0x80000000, v17
.LBB188_287:                            ;   in Loop: Header=BB188_3 Depth=1
	s_or_b32 exec_lo, exec_lo, s42
	s_and_saveexec_b32 s23, s67
; %bb.288:                              ;   in Loop: Header=BB188_3 Depth=1
	ds_store_b128 v23, v[14:17]
; %bb.289:                              ;   in Loop: Header=BB188_3 Depth=1
	s_or_b32 exec_lo, exec_lo, s23
	s_wait_dscnt 0x0
	s_barrier_signal -1
	s_barrier_wait -1
	s_and_saveexec_b32 s23, s68
	s_cbranch_execz .LBB188_291
; %bb.290:                              ;   in Loop: Header=BB188_3 Depth=1
	ds_load_b128 v[40:43], v23
	ds_load_b128 v[206:209], v2 offset:9520
	s_wait_dscnt 0x0
	v_mul_f64_e32 v[4:5], v[42:43], v[208:209]
	s_delay_alu instid0(VALU_DEP_1) | instskip(SKIP_1) | instid1(VALU_DEP_2)
	v_fma_f64 v[4:5], v[40:41], v[206:207], -v[4:5]
	v_mul_f64_e32 v[40:41], v[40:41], v[208:209]
	v_add_f64_e32 v[14:15], v[14:15], v[4:5]
	s_delay_alu instid0(VALU_DEP_2) | instskip(NEXT) | instid1(VALU_DEP_1)
	v_fmac_f64_e32 v[40:41], v[42:43], v[206:207]
	v_add_f64_e32 v[16:17], v[16:17], v[40:41]
.LBB188_291:                            ;   in Loop: Header=BB188_3 Depth=1
	s_or_b32 exec_lo, exec_lo, s23
	s_barrier_signal -1
	s_barrier_wait -1
	s_and_saveexec_b32 s23, s68
; %bb.292:                              ;   in Loop: Header=BB188_3 Depth=1
	ds_store_b128 v23, v[14:17]
; %bb.293:                              ;   in Loop: Header=BB188_3 Depth=1
	s_or_b32 exec_lo, exec_lo, s23
	s_wait_dscnt 0x0
	s_barrier_signal -1
	s_barrier_wait -1
	s_barrier_signal -1
	s_barrier_wait -1
	s_and_saveexec_b32 s23, s3
; %bb.294:                              ;   in Loop: Header=BB188_3 Depth=1
	v_xor_b32_e32 v15, 0x80000000, v15
	v_xor_b32_e32 v17, 0x80000000, v17
	ds_store_b128 v46, v[14:17] offset:8480
; %bb.295:                              ;   in Loop: Header=BB188_3 Depth=1
	s_or_b32 exec_lo, exec_lo, s23
	s_wait_dscnt 0x0
	s_barrier_signal -1
	s_barrier_wait -1
	s_barrier_signal -1
	s_barrier_wait -1
	s_and_saveexec_b32 s23, s69
	s_cbranch_execz .LBB188_297
; %bb.296:                              ;   in Loop: Header=BB188_3 Depth=1
	ds_load_b128 v[14:17], v74
	s_wait_dscnt 0x0
	ds_store_b128 v177, v[14:17]
	ds_load_b128 v[14:17], v75
	s_wait_dscnt 0x0
	ds_store_b128 v178, v[14:17]
.LBB188_297:                            ;   in Loop: Header=BB188_3 Depth=1
	s_or_b32 exec_lo, exec_lo, s23
	s_wait_dscnt 0x0
	s_barrier_signal -1
	s_barrier_wait -1
	s_and_saveexec_b32 s42, s29
	s_cbranch_execz .LBB188_299
; %bb.298:                              ;   in Loop: Header=BB188_3 Depth=1
	s_mov_b32 s48, s53
	s_mov_b32 s50, s53
	s_mov_b32 s51, s53
	v_mov_b64_e32 v[14:15], s[48:49]
	v_mov_b64_e32 v[16:17], s[50:51]
	ds_store_b128 v2, v[14:17] offset:9504
	ds_store_b128 v2, v[14:17] offset:10032
	ds_load_b128 v[14:17], v2 offset:9520
	s_wait_dscnt 0x0
	ds_store_b128 v2, v[14:17] offset:10016
.LBB188_299:                            ;   in Loop: Header=BB188_3 Depth=1
	s_or_b32 exec_lo, exec_lo, s42
	v_mov_b64_e32 v[16:17], 0
	v_mov_b64_e32 v[14:15], 0
	s_wait_dscnt 0x0
	s_barrier_signal -1
	s_barrier_wait -1
	s_and_saveexec_b32 s42, s6
	s_cbranch_execz .LBB188_305
; %bb.300:                              ;   in Loop: Header=BB188_3 Depth=1
	ds_load_b128 v[14:17], v50 offset:8448
	ds_load_b128 v[40:43], v55 offset:8512
	s_wait_dscnt 0x0
	v_mul_f64_e32 v[4:5], v[16:17], v[42:43]
	v_mul_f64_e32 v[42:43], v[14:15], v[42:43]
	s_delay_alu instid0(VALU_DEP_2) | instskip(NEXT) | instid1(VALU_DEP_2)
	v_fma_f64 v[4:5], v[14:15], v[40:41], -v[4:5]
	v_fmac_f64_e32 v[42:43], v[16:17], v[40:41]
	s_delay_alu instid0(VALU_DEP_2) | instskip(NEXT) | instid1(VALU_DEP_2)
	v_add_f64_e32 v[14:15], 0, v[4:5]
	v_add_f64_e32 v[16:17], 0, v[42:43]
	s_and_saveexec_b32 s23, s7
	s_cbranch_execnz .LBB188_532
; %bb.301:                              ;   in Loop: Header=BB188_3 Depth=1
	s_or_b32 exec_lo, exec_lo, s23
	s_and_saveexec_b32 s23, s8
	s_cbranch_execnz .LBB188_533
.LBB188_302:                            ;   in Loop: Header=BB188_3 Depth=1
	s_or_b32 exec_lo, exec_lo, s23
	s_and_saveexec_b32 s23, s3
	s_cbranch_execz .LBB188_304
.LBB188_303:                            ;   in Loop: Header=BB188_3 Depth=1
	ds_load_b128 v[40:43], v2 offset:8496
	ds_load_b128 v[206:209], v53 offset:10048
	s_wait_dscnt 0x0
	v_mul_f64_e32 v[4:5], v[42:43], v[208:209]
	s_delay_alu instid0(VALU_DEP_1) | instskip(SKIP_1) | instid1(VALU_DEP_2)
	v_fma_f64 v[4:5], v[40:41], v[206:207], -v[4:5]
	v_mul_f64_e32 v[40:41], v[40:41], v[208:209]
	v_add_f64_e32 v[14:15], v[14:15], v[4:5]
	s_delay_alu instid0(VALU_DEP_2) | instskip(NEXT) | instid1(VALU_DEP_1)
	v_fmac_f64_e32 v[40:41], v[42:43], v[206:207]
	v_add_f64_e32 v[16:17], v[16:17], v[40:41]
.LBB188_304:                            ;   in Loop: Header=BB188_3 Depth=1
	s_or_b32 exec_lo, exec_lo, s23
	s_delay_alu instid0(VALU_DEP_2) | instskip(NEXT) | instid1(VALU_DEP_2)
	v_xor_b32_e32 v15, 0x80000000, v15
	v_xor_b32_e32 v17, 0x80000000, v17
.LBB188_305:                            ;   in Loop: Header=BB188_3 Depth=1
	s_or_b32 exec_lo, exec_lo, s42
	s_and_saveexec_b32 s23, s70
; %bb.306:                              ;   in Loop: Header=BB188_3 Depth=1
	ds_store_b128 v54, v[14:17]
; %bb.307:                              ;   in Loop: Header=BB188_3 Depth=1
	s_or_b32 exec_lo, exec_lo, s23
	s_wait_dscnt 0x0
	s_barrier_signal -1
	s_barrier_wait -1
	s_and_saveexec_b32 s23, s71
	s_cbranch_execz .LBB188_309
; %bb.308:                              ;   in Loop: Header=BB188_3 Depth=1
	ds_load_b128 v[40:43], v54
	ds_load_b128 v[206:209], v52 offset:10560
	s_wait_dscnt 0x0
	v_mul_f64_e32 v[4:5], v[42:43], v[208:209]
	s_delay_alu instid0(VALU_DEP_1) | instskip(SKIP_1) | instid1(VALU_DEP_2)
	v_fma_f64 v[4:5], v[40:41], v[206:207], -v[4:5]
	v_mul_f64_e32 v[40:41], v[40:41], v[208:209]
	v_add_f64_e32 v[14:15], v[14:15], v[4:5]
	s_delay_alu instid0(VALU_DEP_2) | instskip(NEXT) | instid1(VALU_DEP_1)
	v_fmac_f64_e32 v[40:41], v[42:43], v[206:207]
	v_add_f64_e32 v[16:17], v[16:17], v[40:41]
.LBB188_309:                            ;   in Loop: Header=BB188_3 Depth=1
	s_or_b32 exec_lo, exec_lo, s23
	s_barrier_signal -1
	s_barrier_wait -1
	s_and_saveexec_b32 s23, s72
; %bb.310:                              ;   in Loop: Header=BB188_3 Depth=1
	ds_store_b128 v54, v[14:17]
; %bb.311:                              ;   in Loop: Header=BB188_3 Depth=1
	s_or_b32 exec_lo, exec_lo, s23
	s_wait_dscnt 0x0
	s_barrier_signal -1
	s_barrier_wait -1
	s_and_saveexec_b32 s23, s73
	s_cbranch_execz .LBB188_313
; %bb.312:                              ;   in Loop: Header=BB188_3 Depth=1
	ds_load_b128 v[40:43], v54
	ds_load_b128 v[206:209], v52 offset:11072
	s_wait_dscnt 0x0
	v_mul_f64_e32 v[4:5], v[42:43], v[208:209]
	s_delay_alu instid0(VALU_DEP_1) | instskip(SKIP_1) | instid1(VALU_DEP_2)
	v_fma_f64 v[4:5], v[40:41], v[206:207], -v[4:5]
	v_mul_f64_e32 v[40:41], v[40:41], v[208:209]
	v_add_f64_e32 v[14:15], v[14:15], v[4:5]
	s_delay_alu instid0(VALU_DEP_2) | instskip(NEXT) | instid1(VALU_DEP_1)
	v_fmac_f64_e32 v[40:41], v[42:43], v[206:207]
	v_add_f64_e32 v[16:17], v[16:17], v[40:41]
.LBB188_313:                            ;   in Loop: Header=BB188_3 Depth=1
	s_or_b32 exec_lo, exec_lo, s23
	s_barrier_signal -1
	s_barrier_wait -1
	;; [unrolled: 26-line block ×3, first 2 shown]
	s_and_saveexec_b32 s23, s75
; %bb.318:                              ;   in Loop: Header=BB188_3 Depth=1
	ds_store_b128 v54, v[14:17]
; %bb.319:                              ;   in Loop: Header=BB188_3 Depth=1
	s_or_b32 exec_lo, exec_lo, s23
	s_wait_dscnt 0x0
	s_barrier_signal -1
	s_barrier_wait -1
	s_barrier_signal -1
	s_barrier_wait -1
	s_and_saveexec_b32 s23, s6
; %bb.320:                              ;   in Loop: Header=BB188_3 Depth=1
	v_xor_b32_e32 v17, 0x80000000, v17
	v_xor_b32_e32 v15, 0x80000000, v15
	ds_store_b128 v55, v[14:17] offset:8512
; %bb.321:                              ;   in Loop: Header=BB188_3 Depth=1
	s_or_b32 exec_lo, exec_lo, s23
	s_wait_dscnt 0x0
	s_barrier_signal -1
	s_barrier_wait -1
	s_barrier_signal -1
	s_barrier_wait -1
	s_and_saveexec_b32 s23, s76
	s_cbranch_execz .LBB188_323
; %bb.322:                              ;   in Loop: Header=BB188_3 Depth=1
	ds_load_b128 v[14:17], v89
	s_wait_dscnt 0x0
	ds_store_b128 v179, v[14:17]
	ds_load_b128 v[14:17], v92
	s_wait_dscnt 0x0
	ds_store_b128 v182, v[14:17]
	;; [unrolled: 3-line block ×4, first 2 shown]
.LBB188_323:                            ;   in Loop: Header=BB188_3 Depth=1
	s_or_b32 exec_lo, exec_lo, s23
	s_wait_dscnt 0x0
	s_barrier_signal -1
	s_barrier_wait -1
	s_and_saveexec_b32 s42, s29
	s_cbranch_execz .LBB188_325
; %bb.324:                              ;   in Loop: Header=BB188_3 Depth=1
	s_mov_b32 s48, s53
	s_mov_b32 s50, s53
	;; [unrolled: 1-line block ×3, first 2 shown]
	v_mov_b64_e32 v[14:15], s[48:49]
	v_mov_b64_e32 v[16:17], s[50:51]
	ds_store_b128 v2, v[14:17] offset:10560
	ds_store_b128 v2, v[14:17] offset:11088
	ds_load_b128 v[14:17], v2 offset:10576
	s_wait_dscnt 0x0
	ds_store_b128 v2, v[14:17] offset:11072
.LBB188_325:                            ;   in Loop: Header=BB188_3 Depth=1
	s_or_b32 exec_lo, exec_lo, s42
	v_mov_b64_e32 v[16:17], 0
	v_mov_b64_e32 v[14:15], 0
	s_wait_dscnt 0x0
	s_barrier_signal -1
	s_barrier_wait -1
	s_and_saveexec_b32 s42, s3
	s_cbranch_execz .LBB188_329
; %bb.326:                              ;   in Loop: Header=BB188_3 Depth=1
	ds_load_b128 v[14:17], v47 offset:10560
	ds_load_b128 v[40:43], v46 offset:10592
	s_wait_dscnt 0x0
	v_mul_f64_e32 v[4:5], v[16:17], v[42:43]
	v_mul_f64_e32 v[42:43], v[14:15], v[42:43]
	s_delay_alu instid0(VALU_DEP_2) | instskip(NEXT) | instid1(VALU_DEP_2)
	v_fma_f64 v[4:5], v[14:15], v[40:41], -v[4:5]
	v_fmac_f64_e32 v[42:43], v[16:17], v[40:41]
	s_delay_alu instid0(VALU_DEP_2) | instskip(NEXT) | instid1(VALU_DEP_2)
	v_add_f64_e32 v[14:15], 0, v[4:5]
	v_add_f64_e32 v[16:17], 0, v[42:43]
	s_and_saveexec_b32 s23, s4
	s_cbranch_execz .LBB188_328
; %bb.327:                              ;   in Loop: Header=BB188_3 Depth=1
	ds_load_b128 v[40:43], v2 offset:10576
	ds_load_b128 v[206:209], v86 offset:11104
	s_wait_dscnt 0x0
	v_mul_f64_e32 v[4:5], v[42:43], v[208:209]
	s_delay_alu instid0(VALU_DEP_1) | instskip(SKIP_1) | instid1(VALU_DEP_2)
	v_fma_f64 v[4:5], v[40:41], v[206:207], -v[4:5]
	v_mul_f64_e32 v[40:41], v[40:41], v[208:209]
	v_add_f64_e32 v[14:15], v[14:15], v[4:5]
	s_delay_alu instid0(VALU_DEP_2) | instskip(NEXT) | instid1(VALU_DEP_1)
	v_fmac_f64_e32 v[40:41], v[42:43], v[206:207]
	v_add_f64_e32 v[16:17], v[16:17], v[40:41]
.LBB188_328:                            ;   in Loop: Header=BB188_3 Depth=1
	s_or_b32 exec_lo, exec_lo, s23
	s_delay_alu instid0(VALU_DEP_2) | instskip(NEXT) | instid1(VALU_DEP_2)
	v_xor_b32_e32 v15, 0x80000000, v15
	v_xor_b32_e32 v17, 0x80000000, v17
.LBB188_329:                            ;   in Loop: Header=BB188_3 Depth=1
	s_or_b32 exec_lo, exec_lo, s42
	s_and_saveexec_b32 s23, s67
; %bb.330:                              ;   in Loop: Header=BB188_3 Depth=1
	ds_store_b128 v23, v[14:17]
; %bb.331:                              ;   in Loop: Header=BB188_3 Depth=1
	s_or_b32 exec_lo, exec_lo, s23
	s_wait_dscnt 0x0
	s_barrier_signal -1
	s_barrier_wait -1
	s_and_saveexec_b32 s23, s68
	s_cbranch_execz .LBB188_333
; %bb.332:                              ;   in Loop: Header=BB188_3 Depth=1
	ds_load_b128 v[40:43], v23
	ds_load_b128 v[206:209], v2 offset:11632
	s_wait_dscnt 0x0
	v_mul_f64_e32 v[4:5], v[42:43], v[208:209]
	s_delay_alu instid0(VALU_DEP_1) | instskip(SKIP_1) | instid1(VALU_DEP_2)
	v_fma_f64 v[4:5], v[40:41], v[206:207], -v[4:5]
	v_mul_f64_e32 v[40:41], v[40:41], v[208:209]
	v_add_f64_e32 v[14:15], v[14:15], v[4:5]
	s_delay_alu instid0(VALU_DEP_2) | instskip(NEXT) | instid1(VALU_DEP_1)
	v_fmac_f64_e32 v[40:41], v[42:43], v[206:207]
	v_add_f64_e32 v[16:17], v[16:17], v[40:41]
.LBB188_333:                            ;   in Loop: Header=BB188_3 Depth=1
	s_or_b32 exec_lo, exec_lo, s23
	s_barrier_signal -1
	s_barrier_wait -1
	s_and_saveexec_b32 s23, s68
; %bb.334:                              ;   in Loop: Header=BB188_3 Depth=1
	ds_store_b128 v23, v[14:17]
; %bb.335:                              ;   in Loop: Header=BB188_3 Depth=1
	s_or_b32 exec_lo, exec_lo, s23
	s_wait_dscnt 0x0
	s_barrier_signal -1
	s_barrier_wait -1
	s_barrier_signal -1
	s_barrier_wait -1
	s_and_saveexec_b32 s23, s3
; %bb.336:                              ;   in Loop: Header=BB188_3 Depth=1
	v_xor_b32_e32 v15, 0x80000000, v15
	v_xor_b32_e32 v17, 0x80000000, v17
	ds_store_b128 v46, v[14:17] offset:10592
; %bb.337:                              ;   in Loop: Header=BB188_3 Depth=1
	s_or_b32 exec_lo, exec_lo, s23
	s_wait_dscnt 0x0
	s_barrier_signal -1
	s_barrier_wait -1
	s_barrier_signal -1
	s_barrier_wait -1
	s_and_saveexec_b32 s23, s69
	s_cbranch_execz .LBB188_339
; %bb.338:                              ;   in Loop: Header=BB188_3 Depth=1
	ds_load_b128 v[14:17], v102
	s_wait_dscnt 0x0
	ds_store_b128 v183, v[14:17]
	ds_load_b128 v[14:17], v103
	s_wait_dscnt 0x0
	ds_store_b128 v184, v[14:17]
.LBB188_339:                            ;   in Loop: Header=BB188_3 Depth=1
	s_or_b32 exec_lo, exec_lo, s23
	s_wait_dscnt 0x0
	s_barrier_signal -1
	s_barrier_wait -1
	s_and_saveexec_b32 s42, s29
	s_cbranch_execz .LBB188_341
; %bb.340:                              ;   in Loop: Header=BB188_3 Depth=1
	s_mov_b32 s48, s53
	s_mov_b32 s50, s53
	;; [unrolled: 1-line block ×3, first 2 shown]
	v_mov_b64_e32 v[14:15], s[48:49]
	v_mov_b64_e32 v[16:17], s[50:51]
	ds_store_b128 v2, v[14:17] offset:11616
	ds_store_b128 v2, v[14:17] offset:12144
	ds_load_b128 v[14:17], v2 offset:11632
	s_wait_dscnt 0x0
	ds_store_b128 v2, v[14:17] offset:12128
.LBB188_341:                            ;   in Loop: Header=BB188_3 Depth=1
	s_or_b32 exec_lo, exec_lo, s42
	v_mov_b64_e32 v[16:17], 0
	v_mov_b64_e32 v[14:15], 0
	s_wait_dscnt 0x0
	s_barrier_signal -1
	s_barrier_wait -1
	s_and_saveexec_b32 s42, s9
	s_cbranch_execz .LBB188_351
; %bb.342:                              ;   in Loop: Header=BB188_3 Depth=1
	ds_load_b128 v[14:17], v57 offset:8448
	ds_load_b128 v[40:43], v62 offset:8576
	v_readlane_b32 s20, v205, 0
	s_wait_dscnt 0x0
	v_mul_f64_e32 v[4:5], v[16:17], v[42:43]
	v_mul_f64_e32 v[42:43], v[14:15], v[42:43]
	s_delay_alu instid0(VALU_DEP_2) | instskip(NEXT) | instid1(VALU_DEP_2)
	v_fma_f64 v[4:5], v[14:15], v[40:41], -v[4:5]
	v_fmac_f64_e32 v[42:43], v[16:17], v[40:41]
	s_delay_alu instid0(VALU_DEP_2) | instskip(NEXT) | instid1(VALU_DEP_2)
	v_add_f64_e32 v[14:15], 0, v[4:5]
	v_add_f64_e32 v[16:17], 0, v[42:43]
	s_and_saveexec_b32 s23, s20
	s_cbranch_execnz .LBB188_534
; %bb.343:                              ;   in Loop: Header=BB188_3 Depth=1
	s_or_b32 exec_lo, exec_lo, s23
	s_and_saveexec_b32 s23, s11
	s_cbranch_execnz .LBB188_535
.LBB188_344:                            ;   in Loop: Header=BB188_3 Depth=1
	s_or_b32 exec_lo, exec_lo, s23
	s_and_saveexec_b32 s23, s15
	s_cbranch_execnz .LBB188_536
.LBB188_345:                            ;   in Loop: Header=BB188_3 Depth=1
	s_or_b32 exec_lo, exec_lo, s23
	s_and_saveexec_b32 s23, s16
	s_cbranch_execnz .LBB188_537
.LBB188_346:                            ;   in Loop: Header=BB188_3 Depth=1
	s_or_b32 exec_lo, exec_lo, s23
	s_and_saveexec_b32 s23, s17
	s_cbranch_execnz .LBB188_538
.LBB188_347:                            ;   in Loop: Header=BB188_3 Depth=1
	s_or_b32 exec_lo, exec_lo, s23
	s_and_saveexec_b32 s23, s6
	s_cbranch_execnz .LBB188_539
.LBB188_348:                            ;   in Loop: Header=BB188_3 Depth=1
	s_or_b32 exec_lo, exec_lo, s23
	s_and_saveexec_b32 s23, s8
	s_cbranch_execz .LBB188_350
.LBB188_349:                            ;   in Loop: Header=BB188_3 Depth=1
	ds_load_b128 v[40:43], v2 offset:8560
	ds_load_b128 v[206:209], v48 offset:12160
	s_wait_dscnt 0x0
	v_mul_f64_e32 v[4:5], v[42:43], v[208:209]
	s_delay_alu instid0(VALU_DEP_1) | instskip(SKIP_1) | instid1(VALU_DEP_2)
	v_fma_f64 v[4:5], v[40:41], v[206:207], -v[4:5]
	v_mul_f64_e32 v[40:41], v[40:41], v[208:209]
	v_add_f64_e32 v[14:15], v[14:15], v[4:5]
	s_delay_alu instid0(VALU_DEP_2) | instskip(NEXT) | instid1(VALU_DEP_1)
	v_fmac_f64_e32 v[40:41], v[42:43], v[206:207]
	v_add_f64_e32 v[16:17], v[16:17], v[40:41]
.LBB188_350:                            ;   in Loop: Header=BB188_3 Depth=1
	s_or_b32 exec_lo, exec_lo, s23
	s_delay_alu instid0(VALU_DEP_2) | instskip(NEXT) | instid1(VALU_DEP_2)
	v_xor_b32_e32 v15, 0x80000000, v15
	v_xor_b32_e32 v17, 0x80000000, v17
.LBB188_351:                            ;   in Loop: Header=BB188_3 Depth=1
	s_or_b32 exec_lo, exec_lo, s42
	s_and_saveexec_b32 s23, s77
; %bb.352:                              ;   in Loop: Header=BB188_3 Depth=1
	ds_store_b128 v61, v[14:17]
; %bb.353:                              ;   in Loop: Header=BB188_3 Depth=1
	s_or_b32 exec_lo, exec_lo, s23
	s_wait_dscnt 0x0
	s_barrier_signal -1
	s_barrier_wait -1
	s_and_saveexec_b32 s23, s78
	s_cbranch_execz .LBB188_355
; %bb.354:                              ;   in Loop: Header=BB188_3 Depth=1
	ds_load_b128 v[40:43], v61
	ds_load_b128 v[206:209], v59 offset:12672
	s_wait_dscnt 0x0
	v_mul_f64_e32 v[4:5], v[42:43], v[208:209]
	s_delay_alu instid0(VALU_DEP_1) | instskip(SKIP_1) | instid1(VALU_DEP_2)
	v_fma_f64 v[4:5], v[40:41], v[206:207], -v[4:5]
	v_mul_f64_e32 v[40:41], v[40:41], v[208:209]
	v_add_f64_e32 v[14:15], v[14:15], v[4:5]
	s_delay_alu instid0(VALU_DEP_2) | instskip(NEXT) | instid1(VALU_DEP_1)
	v_fmac_f64_e32 v[40:41], v[42:43], v[206:207]
	v_add_f64_e32 v[16:17], v[16:17], v[40:41]
.LBB188_355:                            ;   in Loop: Header=BB188_3 Depth=1
	s_or_b32 exec_lo, exec_lo, s23
	s_barrier_signal -1
	s_barrier_wait -1
	s_and_saveexec_b32 s23, s79
; %bb.356:                              ;   in Loop: Header=BB188_3 Depth=1
	ds_store_b128 v61, v[14:17]
; %bb.357:                              ;   in Loop: Header=BB188_3 Depth=1
	s_or_b32 exec_lo, exec_lo, s23
	s_wait_dscnt 0x0
	s_barrier_signal -1
	s_barrier_wait -1
	s_and_saveexec_b32 s23, s80
	s_cbranch_execz .LBB188_359
; %bb.358:                              ;   in Loop: Header=BB188_3 Depth=1
	ds_load_b128 v[40:43], v61
	ds_load_b128 v[206:209], v59 offset:13184
	s_wait_dscnt 0x0
	v_mul_f64_e32 v[4:5], v[42:43], v[208:209]
	s_delay_alu instid0(VALU_DEP_1) | instskip(SKIP_1) | instid1(VALU_DEP_2)
	v_fma_f64 v[4:5], v[40:41], v[206:207], -v[4:5]
	v_mul_f64_e32 v[40:41], v[40:41], v[208:209]
	v_add_f64_e32 v[14:15], v[14:15], v[4:5]
	s_delay_alu instid0(VALU_DEP_2) | instskip(NEXT) | instid1(VALU_DEP_1)
	v_fmac_f64_e32 v[40:41], v[42:43], v[206:207]
	v_add_f64_e32 v[16:17], v[16:17], v[40:41]
.LBB188_359:                            ;   in Loop: Header=BB188_3 Depth=1
	s_or_b32 exec_lo, exec_lo, s23
	s_barrier_signal -1
	s_barrier_wait -1
	;; [unrolled: 26-line block ×7, first 2 shown]
	s_and_saveexec_b32 s23, s90
; %bb.380:                              ;   in Loop: Header=BB188_3 Depth=1
	ds_store_b128 v61, v[14:17]
; %bb.381:                              ;   in Loop: Header=BB188_3 Depth=1
	s_or_b32 exec_lo, exec_lo, s23
	s_wait_dscnt 0x0
	s_barrier_signal -1
	s_barrier_wait -1
	s_barrier_signal -1
	s_barrier_wait -1
	s_and_saveexec_b32 s23, s9
; %bb.382:                              ;   in Loop: Header=BB188_3 Depth=1
	v_xor_b32_e32 v15, 0x80000000, v15
	v_xor_b32_e32 v17, 0x80000000, v17
	ds_store_b128 v62, v[14:17] offset:8576
; %bb.383:                              ;   in Loop: Header=BB188_3 Depth=1
	s_or_b32 exec_lo, exec_lo, s23
	s_wait_dscnt 0x0
	s_barrier_signal -1
	s_barrier_wait -1
	s_barrier_signal -1
	s_barrier_wait -1
	s_and_saveexec_b32 s23, s91
	s_cbranch_execz .LBB188_385
; %bb.384:                              ;   in Loop: Header=BB188_3 Depth=1
	ds_load_b128 v[14:17], v76
	s_wait_dscnt 0x0
	ds_store_b128 v185, v[14:17]
	ds_load_b128 v[14:17], v77
	s_wait_dscnt 0x0
	ds_store_b128 v186, v[14:17]
	ds_load_b128 v[14:17], v78
	s_wait_dscnt 0x0
	ds_store_b128 v187, v[14:17]
	ds_load_b128 v[14:17], v79
	s_wait_dscnt 0x0
	ds_store_b128 v188, v[14:17]
	ds_load_b128 v[14:17], v80
	s_wait_dscnt 0x0
	ds_store_b128 v189, v[14:17]
	ds_load_b128 v[14:17], v81
	s_wait_dscnt 0x0
	ds_store_b128 v190, v[14:17]
	ds_load_b128 v[14:17], v82
	s_wait_dscnt 0x0
	ds_store_b128 v191, v[14:17]
	ds_load_b128 v[14:17], v83
	s_wait_dscnt 0x0
	ds_store_b128 v192, v[14:17]
.LBB188_385:                            ;   in Loop: Header=BB188_3 Depth=1
	s_or_b32 exec_lo, exec_lo, s23
	s_wait_dscnt 0x0
	s_barrier_signal -1
	s_barrier_wait -1
	s_and_saveexec_b32 s42, s29
	s_cbranch_execz .LBB188_387
; %bb.386:                              ;   in Loop: Header=BB188_3 Depth=1
	s_mov_b32 s48, s53
	s_mov_b32 s50, s53
	;; [unrolled: 1-line block ×3, first 2 shown]
	v_mov_b64_e32 v[14:15], s[48:49]
	v_mov_b64_e32 v[16:17], s[50:51]
	ds_store_b128 v2, v[14:17] offset:12672
	ds_store_b128 v2, v[14:17] offset:13200
	ds_load_b128 v[14:17], v2 offset:12688
	s_wait_dscnt 0x0
	ds_store_b128 v2, v[14:17] offset:13184
.LBB188_387:                            ;   in Loop: Header=BB188_3 Depth=1
	s_or_b32 exec_lo, exec_lo, s42
	v_mov_b64_e32 v[16:17], 0
	v_mov_b64_e32 v[14:15], 0
	s_wait_dscnt 0x0
	s_barrier_signal -1
	s_barrier_wait -1
	s_and_saveexec_b32 s42, s3
	s_cbranch_execz .LBB188_391
; %bb.388:                              ;   in Loop: Header=BB188_3 Depth=1
	ds_load_b128 v[14:17], v47 offset:12672
	ds_load_b128 v[40:43], v46 offset:12704
	s_wait_dscnt 0x0
	v_mul_f64_e32 v[4:5], v[16:17], v[42:43]
	v_mul_f64_e32 v[42:43], v[14:15], v[42:43]
	s_delay_alu instid0(VALU_DEP_2) | instskip(NEXT) | instid1(VALU_DEP_2)
	v_fma_f64 v[4:5], v[14:15], v[40:41], -v[4:5]
	v_fmac_f64_e32 v[42:43], v[16:17], v[40:41]
	s_delay_alu instid0(VALU_DEP_2) | instskip(NEXT) | instid1(VALU_DEP_2)
	v_add_f64_e32 v[14:15], 0, v[4:5]
	v_add_f64_e32 v[16:17], 0, v[42:43]
	s_and_saveexec_b32 s23, s4
	s_cbranch_execz .LBB188_390
; %bb.389:                              ;   in Loop: Header=BB188_3 Depth=1
	ds_load_b128 v[40:43], v2 offset:12688
	ds_load_b128 v[206:209], v53 offset:13216
	s_wait_dscnt 0x0
	v_mul_f64_e32 v[4:5], v[42:43], v[208:209]
	s_delay_alu instid0(VALU_DEP_1) | instskip(SKIP_1) | instid1(VALU_DEP_2)
	v_fma_f64 v[4:5], v[40:41], v[206:207], -v[4:5]
	v_mul_f64_e32 v[40:41], v[40:41], v[208:209]
	v_add_f64_e32 v[14:15], v[14:15], v[4:5]
	s_delay_alu instid0(VALU_DEP_2) | instskip(NEXT) | instid1(VALU_DEP_1)
	v_fmac_f64_e32 v[40:41], v[42:43], v[206:207]
	v_add_f64_e32 v[16:17], v[16:17], v[40:41]
.LBB188_390:                            ;   in Loop: Header=BB188_3 Depth=1
	s_or_b32 exec_lo, exec_lo, s23
	s_delay_alu instid0(VALU_DEP_2) | instskip(NEXT) | instid1(VALU_DEP_2)
	v_xor_b32_e32 v15, 0x80000000, v15
	v_xor_b32_e32 v17, 0x80000000, v17
.LBB188_391:                            ;   in Loop: Header=BB188_3 Depth=1
	s_or_b32 exec_lo, exec_lo, s42
	s_and_saveexec_b32 s23, s67
; %bb.392:                              ;   in Loop: Header=BB188_3 Depth=1
	ds_store_b128 v23, v[14:17]
; %bb.393:                              ;   in Loop: Header=BB188_3 Depth=1
	s_or_b32 exec_lo, exec_lo, s23
	s_wait_dscnt 0x0
	s_barrier_signal -1
	s_barrier_wait -1
	s_and_saveexec_b32 s23, s68
	s_cbranch_execz .LBB188_395
; %bb.394:                              ;   in Loop: Header=BB188_3 Depth=1
	ds_load_b128 v[40:43], v23
	ds_load_b128 v[206:209], v2 offset:13744
	s_wait_dscnt 0x0
	v_mul_f64_e32 v[4:5], v[42:43], v[208:209]
	s_delay_alu instid0(VALU_DEP_1) | instskip(SKIP_1) | instid1(VALU_DEP_2)
	v_fma_f64 v[4:5], v[40:41], v[206:207], -v[4:5]
	v_mul_f64_e32 v[40:41], v[40:41], v[208:209]
	v_add_f64_e32 v[14:15], v[14:15], v[4:5]
	s_delay_alu instid0(VALU_DEP_2) | instskip(NEXT) | instid1(VALU_DEP_1)
	v_fmac_f64_e32 v[40:41], v[42:43], v[206:207]
	v_add_f64_e32 v[16:17], v[16:17], v[40:41]
.LBB188_395:                            ;   in Loop: Header=BB188_3 Depth=1
	s_or_b32 exec_lo, exec_lo, s23
	s_barrier_signal -1
	s_barrier_wait -1
	s_and_saveexec_b32 s23, s68
; %bb.396:                              ;   in Loop: Header=BB188_3 Depth=1
	ds_store_b128 v23, v[14:17]
; %bb.397:                              ;   in Loop: Header=BB188_3 Depth=1
	s_or_b32 exec_lo, exec_lo, s23
	s_wait_dscnt 0x0
	s_barrier_signal -1
	s_barrier_wait -1
	s_barrier_signal -1
	s_barrier_wait -1
	s_and_saveexec_b32 s23, s3
; %bb.398:                              ;   in Loop: Header=BB188_3 Depth=1
	v_xor_b32_e32 v15, 0x80000000, v15
	v_xor_b32_e32 v17, 0x80000000, v17
	ds_store_b128 v46, v[14:17] offset:12704
; %bb.399:                              ;   in Loop: Header=BB188_3 Depth=1
	s_or_b32 exec_lo, exec_lo, s23
	s_wait_dscnt 0x0
	s_barrier_signal -1
	s_barrier_wait -1
	s_barrier_signal -1
	s_barrier_wait -1
	s_and_saveexec_b32 s23, s69
	s_cbranch_execz .LBB188_401
; %bb.400:                              ;   in Loop: Header=BB188_3 Depth=1
	ds_load_b128 v[14:17], v93
	s_wait_dscnt 0x0
	ds_store_b128 v193, v[14:17]
	ds_load_b128 v[14:17], v94
	s_wait_dscnt 0x0
	ds_store_b128 v194, v[14:17]
.LBB188_401:                            ;   in Loop: Header=BB188_3 Depth=1
	s_or_b32 exec_lo, exec_lo, s23
	s_wait_dscnt 0x0
	s_barrier_signal -1
	s_barrier_wait -1
	s_and_saveexec_b32 s42, s29
	s_cbranch_execz .LBB188_403
; %bb.402:                              ;   in Loop: Header=BB188_3 Depth=1
	s_mov_b32 s48, s53
	s_mov_b32 s50, s53
	;; [unrolled: 1-line block ×3, first 2 shown]
	v_mov_b64_e32 v[14:15], s[48:49]
	v_mov_b64_e32 v[16:17], s[50:51]
	ds_store_b128 v2, v[14:17] offset:13728
	ds_store_b128 v2, v[14:17] offset:14256
	ds_load_b128 v[14:17], v2 offset:13744
	s_wait_dscnt 0x0
	ds_store_b128 v2, v[14:17] offset:14240
.LBB188_403:                            ;   in Loop: Header=BB188_3 Depth=1
	s_or_b32 exec_lo, exec_lo, s42
	v_mov_b64_e32 v[16:17], 0
	v_mov_b64_e32 v[14:15], 0
	s_wait_dscnt 0x0
	s_barrier_signal -1
	s_barrier_wait -1
	s_and_saveexec_b32 s42, s6
	s_cbranch_execz .LBB188_409
; %bb.404:                              ;   in Loop: Header=BB188_3 Depth=1
	ds_load_b128 v[14:17], v50 offset:12672
	ds_load_b128 v[40:43], v55 offset:12736
	s_wait_dscnt 0x0
	v_mul_f64_e32 v[4:5], v[16:17], v[42:43]
	v_mul_f64_e32 v[42:43], v[14:15], v[42:43]
	s_delay_alu instid0(VALU_DEP_2) | instskip(NEXT) | instid1(VALU_DEP_2)
	v_fma_f64 v[4:5], v[14:15], v[40:41], -v[4:5]
	v_fmac_f64_e32 v[42:43], v[16:17], v[40:41]
	s_delay_alu instid0(VALU_DEP_2) | instskip(NEXT) | instid1(VALU_DEP_2)
	v_add_f64_e32 v[14:15], 0, v[4:5]
	v_add_f64_e32 v[16:17], 0, v[42:43]
	s_and_saveexec_b32 s23, s7
	s_cbranch_execnz .LBB188_540
; %bb.405:                              ;   in Loop: Header=BB188_3 Depth=1
	s_or_b32 exec_lo, exec_lo, s23
	s_and_saveexec_b32 s23, s8
	s_cbranch_execnz .LBB188_541
.LBB188_406:                            ;   in Loop: Header=BB188_3 Depth=1
	s_or_b32 exec_lo, exec_lo, s23
	s_and_saveexec_b32 s23, s3
	s_cbranch_execz .LBB188_408
.LBB188_407:                            ;   in Loop: Header=BB188_3 Depth=1
	ds_load_b128 v[40:43], v2 offset:12720
	ds_load_b128 v[206:209], v86 offset:14272
	s_wait_dscnt 0x0
	v_mul_f64_e32 v[4:5], v[42:43], v[208:209]
	s_delay_alu instid0(VALU_DEP_1) | instskip(SKIP_1) | instid1(VALU_DEP_2)
	v_fma_f64 v[4:5], v[40:41], v[206:207], -v[4:5]
	v_mul_f64_e32 v[40:41], v[40:41], v[208:209]
	v_add_f64_e32 v[14:15], v[14:15], v[4:5]
	s_delay_alu instid0(VALU_DEP_2) | instskip(NEXT) | instid1(VALU_DEP_1)
	v_fmac_f64_e32 v[40:41], v[42:43], v[206:207]
	v_add_f64_e32 v[16:17], v[16:17], v[40:41]
.LBB188_408:                            ;   in Loop: Header=BB188_3 Depth=1
	s_or_b32 exec_lo, exec_lo, s23
	s_delay_alu instid0(VALU_DEP_2) | instskip(NEXT) | instid1(VALU_DEP_2)
	v_xor_b32_e32 v15, 0x80000000, v15
	v_xor_b32_e32 v17, 0x80000000, v17
.LBB188_409:                            ;   in Loop: Header=BB188_3 Depth=1
	s_or_b32 exec_lo, exec_lo, s42
	s_and_saveexec_b32 s23, s70
; %bb.410:                              ;   in Loop: Header=BB188_3 Depth=1
	ds_store_b128 v54, v[14:17]
; %bb.411:                              ;   in Loop: Header=BB188_3 Depth=1
	s_or_b32 exec_lo, exec_lo, s23
	s_wait_dscnt 0x0
	s_barrier_signal -1
	s_barrier_wait -1
	s_and_saveexec_b32 s23, s71
	s_cbranch_execz .LBB188_413
; %bb.412:                              ;   in Loop: Header=BB188_3 Depth=1
	ds_load_b128 v[40:43], v54
	ds_load_b128 v[206:209], v52 offset:14784
	s_wait_dscnt 0x0
	v_mul_f64_e32 v[4:5], v[42:43], v[208:209]
	s_delay_alu instid0(VALU_DEP_1) | instskip(SKIP_1) | instid1(VALU_DEP_2)
	v_fma_f64 v[4:5], v[40:41], v[206:207], -v[4:5]
	v_mul_f64_e32 v[40:41], v[40:41], v[208:209]
	v_add_f64_e32 v[14:15], v[14:15], v[4:5]
	s_delay_alu instid0(VALU_DEP_2) | instskip(NEXT) | instid1(VALU_DEP_1)
	v_fmac_f64_e32 v[40:41], v[42:43], v[206:207]
	v_add_f64_e32 v[16:17], v[16:17], v[40:41]
.LBB188_413:                            ;   in Loop: Header=BB188_3 Depth=1
	s_or_b32 exec_lo, exec_lo, s23
	s_barrier_signal -1
	s_barrier_wait -1
	s_and_saveexec_b32 s23, s72
; %bb.414:                              ;   in Loop: Header=BB188_3 Depth=1
	ds_store_b128 v54, v[14:17]
; %bb.415:                              ;   in Loop: Header=BB188_3 Depth=1
	s_or_b32 exec_lo, exec_lo, s23
	s_wait_dscnt 0x0
	s_barrier_signal -1
	s_barrier_wait -1
	s_and_saveexec_b32 s23, s73
	s_cbranch_execz .LBB188_417
; %bb.416:                              ;   in Loop: Header=BB188_3 Depth=1
	ds_load_b128 v[40:43], v54
	ds_load_b128 v[206:209], v52 offset:15296
	s_wait_dscnt 0x0
	v_mul_f64_e32 v[4:5], v[42:43], v[208:209]
	s_delay_alu instid0(VALU_DEP_1) | instskip(SKIP_1) | instid1(VALU_DEP_2)
	v_fma_f64 v[4:5], v[40:41], v[206:207], -v[4:5]
	v_mul_f64_e32 v[40:41], v[40:41], v[208:209]
	v_add_f64_e32 v[14:15], v[14:15], v[4:5]
	s_delay_alu instid0(VALU_DEP_2) | instskip(NEXT) | instid1(VALU_DEP_1)
	v_fmac_f64_e32 v[40:41], v[42:43], v[206:207]
	v_add_f64_e32 v[16:17], v[16:17], v[40:41]
.LBB188_417:                            ;   in Loop: Header=BB188_3 Depth=1
	s_or_b32 exec_lo, exec_lo, s23
	s_barrier_signal -1
	s_barrier_wait -1
	;; [unrolled: 26-line block ×3, first 2 shown]
	s_and_saveexec_b32 s23, s75
; %bb.422:                              ;   in Loop: Header=BB188_3 Depth=1
	ds_store_b128 v54, v[14:17]
; %bb.423:                              ;   in Loop: Header=BB188_3 Depth=1
	s_or_b32 exec_lo, exec_lo, s23
	s_wait_dscnt 0x0
	s_barrier_signal -1
	s_barrier_wait -1
	s_barrier_signal -1
	s_barrier_wait -1
	s_and_saveexec_b32 s23, s6
; %bb.424:                              ;   in Loop: Header=BB188_3 Depth=1
	v_xor_b32_e32 v17, 0x80000000, v17
	v_xor_b32_e32 v15, 0x80000000, v15
	ds_store_b128 v55, v[14:17] offset:12736
; %bb.425:                              ;   in Loop: Header=BB188_3 Depth=1
	s_or_b32 exec_lo, exec_lo, s23
	s_wait_dscnt 0x0
	s_barrier_signal -1
	s_barrier_wait -1
	s_barrier_signal -1
	s_barrier_wait -1
	s_and_saveexec_b32 s23, s76
	s_cbranch_execz .LBB188_427
; %bb.426:                              ;   in Loop: Header=BB188_3 Depth=1
	ds_load_b128 v[14:17], v104
	s_wait_dscnt 0x0
	ds_store_b128 v195, v[14:17]
	ds_load_b128 v[14:17], v107
	s_wait_dscnt 0x0
	ds_store_b128 v198, v[14:17]
	;; [unrolled: 3-line block ×4, first 2 shown]
.LBB188_427:                            ;   in Loop: Header=BB188_3 Depth=1
	s_or_b32 exec_lo, exec_lo, s23
	s_wait_dscnt 0x0
	s_barrier_signal -1
	s_barrier_wait -1
	s_and_saveexec_b32 s42, s29
	s_cbranch_execz .LBB188_429
; %bb.428:                              ;   in Loop: Header=BB188_3 Depth=1
	s_mov_b32 s48, s53
	s_mov_b32 s50, s53
	s_mov_b32 s51, s53
	v_mov_b64_e32 v[14:15], s[48:49]
	v_mov_b64_e32 v[16:17], s[50:51]
	ds_store_b128 v2, v[14:17] offset:14784
	ds_store_b128 v2, v[14:17] offset:15312
	ds_load_b128 v[14:17], v2 offset:14800
	s_wait_dscnt 0x0
	ds_store_b128 v2, v[14:17] offset:15296
.LBB188_429:                            ;   in Loop: Header=BB188_3 Depth=1
	s_or_b32 exec_lo, exec_lo, s42
	v_mov_b64_e32 v[16:17], 0
	v_mov_b64_e32 v[14:15], 0
	s_wait_dscnt 0x0
	s_barrier_signal -1
	s_barrier_wait -1
	s_and_saveexec_b32 s42, s3
	s_cbranch_execz .LBB188_433
; %bb.430:                              ;   in Loop: Header=BB188_3 Depth=1
	ds_load_b128 v[14:17], v47 offset:14784
	ds_load_b128 v[40:43], v46 offset:14816
	s_wait_dscnt 0x0
	v_mul_f64_e32 v[4:5], v[16:17], v[42:43]
	v_mul_f64_e32 v[42:43], v[14:15], v[42:43]
	s_delay_alu instid0(VALU_DEP_2) | instskip(NEXT) | instid1(VALU_DEP_2)
	v_fma_f64 v[4:5], v[14:15], v[40:41], -v[4:5]
	v_fmac_f64_e32 v[42:43], v[16:17], v[40:41]
	s_delay_alu instid0(VALU_DEP_2) | instskip(NEXT) | instid1(VALU_DEP_2)
	v_add_f64_e32 v[14:15], 0, v[4:5]
	v_add_f64_e32 v[16:17], 0, v[42:43]
	s_and_saveexec_b32 s23, s4
	s_cbranch_execz .LBB188_432
; %bb.431:                              ;   in Loop: Header=BB188_3 Depth=1
	ds_load_b128 v[40:43], v2 offset:14800
	ds_load_b128 v[206:209], v97 offset:15328
	s_wait_dscnt 0x0
	v_mul_f64_e32 v[4:5], v[42:43], v[208:209]
	s_delay_alu instid0(VALU_DEP_1) | instskip(SKIP_1) | instid1(VALU_DEP_2)
	v_fma_f64 v[4:5], v[40:41], v[206:207], -v[4:5]
	v_mul_f64_e32 v[40:41], v[40:41], v[208:209]
	v_add_f64_e32 v[14:15], v[14:15], v[4:5]
	s_delay_alu instid0(VALU_DEP_2) | instskip(NEXT) | instid1(VALU_DEP_1)
	v_fmac_f64_e32 v[40:41], v[42:43], v[206:207]
	v_add_f64_e32 v[16:17], v[16:17], v[40:41]
.LBB188_432:                            ;   in Loop: Header=BB188_3 Depth=1
	s_or_b32 exec_lo, exec_lo, s23
	s_delay_alu instid0(VALU_DEP_2) | instskip(NEXT) | instid1(VALU_DEP_2)
	v_xor_b32_e32 v15, 0x80000000, v15
	v_xor_b32_e32 v17, 0x80000000, v17
.LBB188_433:                            ;   in Loop: Header=BB188_3 Depth=1
	s_or_b32 exec_lo, exec_lo, s42
	s_and_saveexec_b32 s23, s67
; %bb.434:                              ;   in Loop: Header=BB188_3 Depth=1
	ds_store_b128 v23, v[14:17]
; %bb.435:                              ;   in Loop: Header=BB188_3 Depth=1
	s_or_b32 exec_lo, exec_lo, s23
	s_wait_dscnt 0x0
	s_barrier_signal -1
	s_barrier_wait -1
	s_and_saveexec_b32 s23, s68
	s_cbranch_execz .LBB188_437
; %bb.436:                              ;   in Loop: Header=BB188_3 Depth=1
	ds_load_b128 v[40:43], v23
	ds_load_b128 v[206:209], v2 offset:15856
	s_wait_dscnt 0x0
	v_mul_f64_e32 v[4:5], v[42:43], v[208:209]
	s_delay_alu instid0(VALU_DEP_1) | instskip(SKIP_1) | instid1(VALU_DEP_2)
	v_fma_f64 v[4:5], v[40:41], v[206:207], -v[4:5]
	v_mul_f64_e32 v[40:41], v[40:41], v[208:209]
	v_add_f64_e32 v[14:15], v[14:15], v[4:5]
	s_delay_alu instid0(VALU_DEP_2) | instskip(NEXT) | instid1(VALU_DEP_1)
	v_fmac_f64_e32 v[40:41], v[42:43], v[206:207]
	v_add_f64_e32 v[16:17], v[16:17], v[40:41]
.LBB188_437:                            ;   in Loop: Header=BB188_3 Depth=1
	s_or_b32 exec_lo, exec_lo, s23
	s_barrier_signal -1
	s_barrier_wait -1
	s_and_saveexec_b32 s23, s68
; %bb.438:                              ;   in Loop: Header=BB188_3 Depth=1
	ds_store_b128 v23, v[14:17]
; %bb.439:                              ;   in Loop: Header=BB188_3 Depth=1
	s_or_b32 exec_lo, exec_lo, s23
	s_wait_dscnt 0x0
	s_barrier_signal -1
	s_barrier_wait -1
	s_barrier_signal -1
	s_barrier_wait -1
	s_and_saveexec_b32 s23, s3
; %bb.440:                              ;   in Loop: Header=BB188_3 Depth=1
	v_xor_b32_e32 v15, 0x80000000, v15
	v_xor_b32_e32 v17, 0x80000000, v17
	ds_store_b128 v46, v[14:17] offset:14816
; %bb.441:                              ;   in Loop: Header=BB188_3 Depth=1
	s_or_b32 exec_lo, exec_lo, s23
	s_wait_dscnt 0x0
	s_barrier_signal -1
	s_barrier_wait -1
	s_barrier_signal -1
	s_barrier_wait -1
	s_and_saveexec_b32 s23, s69
	s_cbranch_execz .LBB188_443
; %bb.442:                              ;   in Loop: Header=BB188_3 Depth=1
	ds_load_b128 v[14:17], v110
	s_wait_dscnt 0x0
	ds_store_b128 v114, v[14:17]
	ds_load_b128 v[14:17], v111
	s_wait_dscnt 0x0
	ds_store_b128 v115, v[14:17]
.LBB188_443:                            ;   in Loop: Header=BB188_3 Depth=1
	s_or_b32 exec_lo, exec_lo, s23
	s_wait_dscnt 0x0
	s_barrier_signal -1
	s_barrier_wait -1
	s_and_saveexec_b32 s42, s29
	s_cbranch_execz .LBB188_445
; %bb.444:                              ;   in Loop: Header=BB188_3 Depth=1
	s_mov_b32 s48, s53
	s_mov_b32 s50, s53
	;; [unrolled: 1-line block ×3, first 2 shown]
	v_mov_b64_e32 v[14:15], s[48:49]
	v_mov_b64_e32 v[16:17], s[50:51]
	ds_store_b128 v2, v[14:17] offset:15840
	ds_store_b128 v2, v[14:17] offset:16368
	ds_load_b128 v[14:17], v2 offset:15856
	s_wait_dscnt 0x0
	ds_store_b128 v2, v[14:17] offset:16352
.LBB188_445:                            ;   in Loop: Header=BB188_3 Depth=1
	s_or_b32 exec_lo, exec_lo, s42
.LBB188_446:                            ;   in Loop: Header=BB188_3 Depth=1
	v_mov_b64_e32 v[14:15], 0
	v_add_nc_u64_e32 v[40:41], s[0:1], v[20:21]
	s_wait_dscnt 0x0
	s_barrier_signal -1
	s_barrier_wait -1
	s_delay_alu instid0(VALU_DEP_2)
	v_mov_b64_e32 v[16:17], v[14:15]
	s_wait_xcnt 0x0
	s_and_saveexec_b32 s23, s104
	s_cbranch_execz .LBB188_448
; %bb.447:                              ;   in Loop: Header=BB188_3 Depth=1
	v_lshl_add_u64 v[4:5], v[30:31], 4, v[40:41]
	flat_load_b128 v[42:45], v[4:5]
	s_wait_loadcnt_dscnt 0x0
	v_mul_f64_e32 v[4:5], s[36:37], v[42:43]
	s_delay_alu instid0(VALU_DEP_1) | instskip(SKIP_1) | instid1(VALU_DEP_1)
	v_fma_f64 v[14:15], s[38:39], v[44:45], -v[4:5]
	v_mul_f64_e32 v[4:5], s[36:37], v[44:45]
	v_fma_f64 v[16:17], v[42:43], -s[38:39], -v[4:5]
.LBB188_448:                            ;   in Loop: Header=BB188_3 Depth=1
	s_or_b32 exec_lo, exec_lo, s23
	s_delay_alu instid0(SALU_CYCLE_1)
	s_and_not1_b32 vcc_lo, exec_lo, vcc_hi
	s_cbranch_vccnz .LBB188_471
; %bb.449:                              ;   in Loop: Header=BB188_3 Depth=1
	v_mov_b32_e32 v25, -1
	s_lshl_b64 s[42:43], s[52:53], 2
	s_mov_b32 s48, 0
	s_add_nc_u64 s[42:43], s[58:59], s[42:43]
	s_branch .LBB188_452
.LBB188_450:                            ;   in Loop: Header=BB188_452 Depth=2
	ds_load_b128 v[206:209], v133 offset:256
	s_wait_loadcnt_dscnt 0x0
	v_mul_f64_e32 v[4:5], v[42:43], v[208:209]
	s_delay_alu instid0(VALU_DEP_1) | instskip(SKIP_1) | instid1(VALU_DEP_2)
	v_fma_f64 v[4:5], v[20:21], v[206:207], -v[4:5]
	v_mul_f64_e32 v[20:21], v[20:21], v[208:209]
	v_add_f64_e32 v[14:15], v[14:15], v[4:5]
	s_delay_alu instid0(VALU_DEP_2) | instskip(NEXT) | instid1(VALU_DEP_1)
	v_fmac_f64_e32 v[20:21], v[42:43], v[206:207]
	v_add_f64_e32 v[16:17], v[16:17], v[20:21]
.LBB188_451:                            ;   in Loop: Header=BB188_452 Depth=2
	s_or_b32 exec_lo, exec_lo, s50
	s_add_co_i32 s48, s48, 1
	s_delay_alu instid0(SALU_CYCLE_1)
	s_cmp_eq_u32 s48, s62
	s_cbranch_scc1 .LBB188_471
.LBB188_452:                            ;   Parent Loop BB188_3 Depth=1
                                        ; =>  This Loop Header: Depth=2
                                        ;       Child Loop BB188_454 Depth 3
	v_cmp_gt_i32_e32 vcc_lo, s48, v25
	s_and_b32 s50, s31, vcc_lo
	s_delay_alu instid0(SALU_CYCLE_1)
	s_and_saveexec_b32 s23, s50
	s_cbranch_execz .LBB188_455
; %bb.453:                              ;   in Loop: Header=BB188_452 Depth=2
	global_load_b32 v25, v2, s[42:43]
	s_wait_loadcnt 0x0
	v_cmp_le_i32_e32 vcc_lo, s48, v25
	s_cbranch_vccnz .LBB188_455
.LBB188_454:                            ;   Parent Loop BB188_3 Depth=1
                                        ;     Parent Loop BB188_452 Depth=2
                                        ; =>    This Inner Loop Header: Depth=3
	global_wb scope:SCOPE_DEV
	s_wait_storecnt 0x0
	global_inv scope:SCOPE_DEV
	global_load_b32 v25, v2, s[42:43]
	s_wait_loadcnt 0x0
	v_cmp_gt_i32_e32 vcc_lo, s48, v25
	s_cbranch_vccnz .LBB188_454
.LBB188_455:                            ;   in Loop: Header=BB188_452 Depth=2
	s_or_b32 exec_lo, exec_lo, s23
	s_sub_co_i32 s50, s63, s48
	global_wb scope:SCOPE_DEV
	s_wait_storecnt 0x0
	global_inv scope:SCOPE_DEV
	s_lshl_b32 s51, s50, 5
	s_wait_loadcnt 0x0
	s_barrier_signal -1
	s_barrier_wait -1
	s_and_saveexec_b32 s23, s34
	s_cbranch_execz .LBB188_460
; %bb.456:                              ;   in Loop: Header=BB188_452 Depth=2
	s_ashr_i32 vcc_lo, s51, 31
	s_delay_alu instid0(SALU_CYCLE_1) | instskip(NEXT) | instid1(VALU_DEP_1)
	v_dual_mov_b32 v5, vcc_lo :: v_dual_bitop2_b32 v4, s51, v26 bitop3:0x54
	v_cmp_le_i64_e32 vcc_lo, s[54:55], v[4:5]
	s_and_saveexec_b32 s20, vcc_lo
	s_delay_alu instid0(SALU_CYCLE_1)
	s_xor_b32 vcc_lo, exec_lo, s20
; %bb.457:                              ;   in Loop: Header=BB188_452 Depth=2
	v_dual_mov_b32 v3, v2 :: v_dual_mov_b32 v4, v2
	v_mov_b32_e32 v5, v2
	ds_store_b128 v199, v[2:5]
                                        ; implicit-def: $vgpr4_vgpr5
; %bb.458:                              ;   in Loop: Header=BB188_452 Depth=2
	s_and_not1_saveexec_b32 s20, vcc_lo
	s_cbranch_execz .LBB188_460
; %bb.459:                              ;   in Loop: Header=BB188_452 Depth=2
	v_mul_u64_e32 v[4:5], s[56:57], v[4:5]
	s_delay_alu instid0(VALU_DEP_1)
	v_lshl_add_u64 v[4:5], v[4:5], 4, v[40:41]
	flat_load_b128 v[42:45], v[4:5]
	s_wait_loadcnt_dscnt 0x0
	ds_store_2addr_b64 v199, v[42:43], v[44:45] offset1:1
.LBB188_460:                            ;   in Loop: Header=BB188_452 Depth=2
	s_or_b32 exec_lo, exec_lo, s23
	v_add_nc_u32_e32 v20, s51, v24
	s_cmp_lg_u32 s50, s24
	s_wait_dscnt 0x0
	s_cselect_b32 s23, -1, 0
	s_barrier_signal -1
	v_ashrrev_i32_e32 v21, 31, v20
	v_cmp_gt_i32_e32 vcc_lo, s54, v20
	v_cndmask_b32_e64 v3, 0, 1, s23
	s_barrier_wait -1
	s_delay_alu instid0(VALU_DEP_3) | instskip(SKIP_1) | instid1(SALU_CYCLE_1)
	v_lshl_add_u64 v[4:5], v[20:21], 4, v[18:19]
	s_and_b32 s20, vcc_lo, s2
	s_and_saveexec_b32 s50, s20
	s_cbranch_execz .LBB188_466
; %bb.461:                              ;   in Loop: Header=BB188_452 Depth=2
	v_mov_b64_e32 v[42:43], v[6:7]
	s_and_not1_b32 vcc_lo, exec_lo, s23
	s_cbranch_vccnz .LBB188_463
; %bb.462:                              ;   in Loop: Header=BB188_452 Depth=2
	flat_load_b64 v[42:43], v[4:5]
.LBB188_463:                            ;   in Loop: Header=BB188_452 Depth=2
	v_cmp_ne_u32_e32 vcc_lo, 1, v3
	v_mov_b64_e32 v[44:45], v[8:9]
	s_cbranch_vccnz .LBB188_465
; %bb.464:                              ;   in Loop: Header=BB188_452 Depth=2
	flat_load_b64 v[44:45], v[4:5] offset:8
.LBB188_465:                            ;   in Loop: Header=BB188_452 Depth=2
	ds_load_b128 v[206:209], v133
	s_wait_loadcnt_dscnt 0x0
	v_mul_f64_e32 v[210:211], v[44:45], v[208:209]
	s_delay_alu instid0(VALU_DEP_1) | instskip(SKIP_1) | instid1(VALU_DEP_2)
	v_fma_f64 v[210:211], v[42:43], v[206:207], -v[210:211]
	v_mul_f64_e32 v[42:43], v[42:43], v[208:209]
	v_add_f64_e32 v[14:15], v[14:15], v[210:211]
	s_delay_alu instid0(VALU_DEP_2) | instskip(NEXT) | instid1(VALU_DEP_1)
	v_fmac_f64_e32 v[42:43], v[44:45], v[206:207]
	v_add_f64_e32 v[16:17], v[16:17], v[42:43]
.LBB188_466:                            ;   in Loop: Header=BB188_452 Depth=2
	s_or_b32 exec_lo, exec_lo, s50
	v_add_nc_u32_e32 v20, 16, v20
	s_delay_alu instid0(VALU_DEP_1) | instskip(SKIP_1) | instid1(SALU_CYCLE_1)
	v_cmp_gt_i32_e32 vcc_lo, s54, v20
	s_and_b32 s20, vcc_lo, s2
	s_and_saveexec_b32 s50, s20
	s_cbranch_execz .LBB188_451
; %bb.467:                              ;   in Loop: Header=BB188_452 Depth=2
	v_cmp_ne_u32_e32 vcc_lo, 1, v3
	v_mov_b64_e32 v[20:21], v[10:11]
	s_cbranch_vccnz .LBB188_469
; %bb.468:                              ;   in Loop: Header=BB188_452 Depth=2
	flat_load_b64 v[20:21], v[4:5] offset:256
.LBB188_469:                            ;   in Loop: Header=BB188_452 Depth=2
	v_cmp_ne_u32_e32 vcc_lo, 1, v3
	v_mov_b64_e32 v[42:43], v[12:13]
	s_cbranch_vccnz .LBB188_450
; %bb.470:                              ;   in Loop: Header=BB188_452 Depth=2
	flat_load_b64 v[42:43], v[4:5] offset:264
	s_branch .LBB188_450
.LBB188_471:                            ;   in Loop: Header=BB188_3 Depth=1
	ds_store_b128 v200, v[14:17]
	s_wait_dscnt 0x0
	s_barrier_signal -1
	s_barrier_wait -1
	s_and_saveexec_b32 s42, s5
	s_cbranch_execz .LBB188_473
; %bb.472:                              ;   in Loop: Header=BB188_3 Depth=1
	ds_load_b128 v[18:21], v201 offset:512
	s_wait_dscnt 0x0
	v_add_f64_e32 v[4:5], v[14:15], v[18:19]
	v_add_f64_e32 v[18:19], v[16:17], v[20:21]
	ds_load_b128 v[14:17], v201 offset:1024
	s_wait_dscnt 0x0
	v_add_f64_e32 v[4:5], v[4:5], v[14:15]
	v_add_f64_e32 v[18:19], v[18:19], v[16:17]
	;; [unrolled: 4-line block ×15, first 2 shown]
	s_delay_alu instid0(VALU_DEP_2) | instskip(NEXT) | instid1(VALU_DEP_2)
	v_xor_b32_e32 v3, 0x80000000, v5
	v_xor_b32_e32 v5, 0x80000000, v17
	s_delay_alu instid0(VALU_DEP_4) | instskip(NEXT) | instid1(VALU_DEP_4)
	v_cndmask_b32_e64 v14, v4, 0, s103
	v_cndmask_b32_e64 v16, v16, 0, s103
	s_delay_alu instid0(VALU_DEP_4) | instskip(NEXT) | instid1(VALU_DEP_4)
	v_cndmask_b32_e64 v15, v3, 0, s103
	v_cndmask_b32_e64 v17, v5, 0, s103
.LBB188_473:                            ;   in Loop: Header=BB188_3 Depth=1
	s_or_b32 exec_lo, exec_lo, s42
	s_delay_alu instid0(SALU_CYCLE_1)
	s_and_not1_b32 vcc_lo, exec_lo, s66
	s_cbranch_vccnz .LBB188_482
; %bb.474:                              ;   in Loop: Header=BB188_3 Depth=1
	s_and_saveexec_b32 s23, s5
; %bb.475:                              ;   in Loop: Header=BB188_3 Depth=1
	ds_store_b128 v202, v[14:17]
; %bb.476:                              ;   in Loop: Header=BB188_3 Depth=1
	s_or_b32 exec_lo, exec_lo, s23
	v_mov_b64_e32 v[18:19], 0
	v_mov_b64_e32 v[20:21], 0
	s_wait_dscnt 0x0
	s_barrier_signal -1
	s_barrier_wait -1
	s_and_saveexec_b32 s23, s13
	s_cbranch_execz .LBB188_478
; %bb.477:                              ;   in Loop: Header=BB188_3 Depth=1
	ds_load_b128 v[18:21], v133
	ds_load_b128 v[42:45], v27
	s_wait_dscnt 0x0
	v_mul_f64_e32 v[4:5], v[20:21], v[44:45]
	v_mul_f64_e32 v[44:45], v[18:19], v[44:45]
	s_delay_alu instid0(VALU_DEP_2) | instskip(NEXT) | instid1(VALU_DEP_2)
	v_fma_f64 v[4:5], v[18:19], v[42:43], -v[4:5]
	v_fmac_f64_e32 v[44:45], v[20:21], v[42:43]
	s_delay_alu instid0(VALU_DEP_2) | instskip(NEXT) | instid1(VALU_DEP_2)
	v_add_f64_e32 v[18:19], 0, v[4:5]
	v_add_f64_e32 v[20:21], 0, v[44:45]
.LBB188_478:                            ;   in Loop: Header=BB188_3 Depth=1
	s_or_b32 exec_lo, exec_lo, s23
	s_and_saveexec_b32 s23, s14
	s_cbranch_execz .LBB188_480
; %bb.479:                              ;   in Loop: Header=BB188_3 Depth=1
	ds_load_b128 v[42:45], v133 offset:256
	ds_load_b128 v[206:209], v27 offset:8192
	s_wait_dscnt 0x0
	v_mul_f64_e32 v[4:5], v[44:45], v[208:209]
	s_delay_alu instid0(VALU_DEP_1) | instskip(SKIP_1) | instid1(VALU_DEP_2)
	v_fma_f64 v[4:5], v[42:43], v[206:207], -v[4:5]
	v_mul_f64_e32 v[42:43], v[42:43], v[208:209]
	v_add_f64_e32 v[18:19], v[18:19], v[4:5]
	s_delay_alu instid0(VALU_DEP_2) | instskip(NEXT) | instid1(VALU_DEP_1)
	v_fmac_f64_e32 v[42:43], v[44:45], v[206:207]
	v_add_f64_e32 v[20:21], v[20:21], v[42:43]
.LBB188_480:                            ;   in Loop: Header=BB188_3 Depth=1
	s_or_b32 exec_lo, exec_lo, s23
	s_mov_b32 s43, 0
	s_mov_b32 s42, 0
	ds_store_b128 v200, v[18:21]
	s_wait_dscnt 0x0
	s_barrier_signal -1
	s_barrier_wait -1
                                        ; implicit-def: $vgpr4_vgpr5
                                        ; implicit-def: $vgpr42_vgpr43
	s_and_saveexec_b32 s48, s5
	s_cbranch_execz .LBB188_513
; %bb.481:                              ;   in Loop: Header=BB188_3 Depth=1
	ds_load_b128 v[42:45], v201 offset:512
	s_mov_b32 s42, exec_lo
	s_wait_dscnt 0x0
	v_add_f64_e32 v[4:5], v[18:19], v[42:43]
	v_add_f64_e32 v[42:43], v[20:21], v[44:45]
	ds_load_b128 v[18:21], v201 offset:1024
	s_wait_dscnt 0x0
	v_add_f64_e32 v[4:5], v[4:5], v[18:19]
	v_add_f64_e32 v[42:43], v[42:43], v[20:21]
	ds_load_b128 v[18:21], v201 offset:1536
	;; [unrolled: 4-line block ×14, first 2 shown]
	s_wait_dscnt 0x0
	v_add_f64_e32 v[42:43], v[4:5], v[18:19]
	v_add_f64_e32 v[4:5], v[44:45], v[20:21]
	s_or_b32 exec_lo, exec_lo, s48
	s_delay_alu instid0(SALU_CYCLE_1)
	s_and_b32 vcc_lo, exec_lo, s43
	s_cbranch_vccnz .LBB188_483
	s_branch .LBB188_514
.LBB188_482:                            ;   in Loop: Header=BB188_3 Depth=1
	s_mov_b32 s42, 0
                                        ; implicit-def: $vgpr4_vgpr5
                                        ; implicit-def: $vgpr42_vgpr43
	s_cbranch_execz .LBB188_514
.LBB188_483:                            ;   in Loop: Header=BB188_3 Depth=1
	v_dual_mov_b32 v3, v204 :: v_dual_mov_b32 v4, v203
	s_mov_b32 s43, 31
	s_branch .LBB188_485
.LBB188_484:                            ;   in Loop: Header=BB188_485 Depth=2
	s_or_b32 exec_lo, exec_lo, s23
	v_add_nc_u32_e32 v4, 0xfffffc00, v4
	v_add_nc_u32_e32 v3, 2, v3
	s_add_co_i32 s43, s43, -2
	s_cmp_lg_u32 s48, 0
	s_barrier_signal -1
	s_barrier_wait -1
	s_cbranch_scc0 .LBB188_493
.LBB188_485:                            ;   Parent Loop BB188_3 Depth=1
                                        ; =>  This Inner Loop Header: Depth=2
	s_delay_alu instid0(VALU_DEP_1) | instskip(SKIP_1) | instid1(SALU_CYCLE_1)
	v_cmp_eq_u32_e32 vcc_lo, 0, v3
	s_and_b32 s20, s5, vcc_lo
	s_and_saveexec_b32 s23, s20
; %bb.486:                              ;   in Loop: Header=BB188_485 Depth=2
	ds_store_b128 v2, v[14:17] offset:25088
; %bb.487:                              ;   in Loop: Header=BB188_485 Depth=2
	s_or_b32 exec_lo, exec_lo, s23
	v_cmp_gt_u32_e32 vcc_lo, s43, v22
	s_wait_dscnt 0x0
	s_barrier_signal -1
	s_barrier_wait -1
	s_and_b32 s20, s5, vcc_lo
	s_delay_alu instid0(SALU_CYCLE_1)
	s_and_saveexec_b32 s23, s20
	s_cbranch_execz .LBB188_489
; %bb.488:                              ;   in Loop: Header=BB188_485 Depth=2
	ds_load_b128 v[18:21], v2 offset:25088
	ds_load_b128 v[42:45], v4 offset:512
	s_wait_dscnt 0x0
	v_mul_f64_e32 v[206:207], v[20:21], v[44:45]
	s_delay_alu instid0(VALU_DEP_1) | instskip(SKIP_1) | instid1(VALU_DEP_2)
	v_fma_f64 v[206:207], v[18:19], v[42:43], -v[206:207]
	v_mul_f64_e32 v[18:19], v[18:19], v[44:45]
	v_add_f64_e32 v[14:15], v[14:15], v[206:207]
	s_delay_alu instid0(VALU_DEP_2) | instskip(NEXT) | instid1(VALU_DEP_1)
	v_fmac_f64_e32 v[18:19], v[20:21], v[42:43]
	v_add_f64_e32 v[16:17], v[16:17], v[18:19]
.LBB188_489:                            ;   in Loop: Header=BB188_485 Depth=2
	s_or_b32 exec_lo, exec_lo, s23
	s_add_co_i32 s48, s43, -1
	s_delay_alu instid0(SALU_CYCLE_1) | instskip(SKIP_3) | instid1(SALU_CYCLE_1)
	v_cmp_eq_u32_e32 vcc_lo, s48, v22
	s_barrier_signal -1
	s_barrier_wait -1
	s_and_b32 s20, s5, vcc_lo
	s_and_saveexec_b32 s23, s20
; %bb.490:                              ;   in Loop: Header=BB188_485 Depth=2
	ds_store_b128 v2, v[14:17] offset:25088
; %bb.491:                              ;   in Loop: Header=BB188_485 Depth=2
	s_or_b32 exec_lo, exec_lo, s23
	v_cmp_gt_u32_e32 vcc_lo, s48, v22
	s_wait_dscnt 0x0
	s_barrier_signal -1
	s_barrier_wait -1
	s_and_b32 s20, s5, vcc_lo
	s_delay_alu instid0(SALU_CYCLE_1)
	s_and_saveexec_b32 s23, s20
	s_cbranch_execz .LBB188_484
; %bb.492:                              ;   in Loop: Header=BB188_485 Depth=2
	ds_load_b128 v[18:21], v2 offset:25088
	ds_load_b128 v[42:45], v4
	s_wait_dscnt 0x0
	v_mul_f64_e32 v[206:207], v[20:21], v[44:45]
	s_delay_alu instid0(VALU_DEP_1) | instskip(SKIP_1) | instid1(VALU_DEP_2)
	v_fma_f64 v[206:207], v[18:19], v[42:43], -v[206:207]
	v_mul_f64_e32 v[18:19], v[18:19], v[44:45]
	v_add_f64_e32 v[14:15], v[14:15], v[206:207]
	s_delay_alu instid0(VALU_DEP_2) | instskip(NEXT) | instid1(VALU_DEP_1)
	v_fmac_f64_e32 v[18:19], v[20:21], v[42:43]
	v_add_f64_e32 v[16:17], v[16:17], v[18:19]
	s_branch .LBB188_484
.LBB188_493:                            ;   in Loop: Header=BB188_3 Depth=1
	s_and_b32 vcc_lo, exec_lo, s64
	s_mov_b32 s23, -1
	s_cbranch_vccnz .LBB188_515
; %bb.494:                              ;   in Loop: Header=BB188_3 Depth=1
	s_and_not1_b32 vcc_lo, exec_lo, s23
	s_cbranch_vccz .LBB188_516
.LBB188_495:                            ;   in Loop: Header=BB188_3 Depth=1
	s_and_saveexec_b32 s23, s42
	s_cbranch_execz .LBB188_497
.LBB188_496:                            ;   in Loop: Header=BB188_3 Depth=1
	v_lshl_add_u64 v[4:5], v[32:33], 4, v[40:41]
	flat_store_b128 v[4:5], v[14:17]
.LBB188_497:                            ;   in Loop: Header=BB188_3 Depth=1
	s_wait_xcnt 0x0
	s_or_b32 exec_lo, exec_lo, s23
	global_wb scope:SCOPE_DEV
	s_wait_storecnt_dscnt 0x0
	global_inv scope:SCOPE_DEV
	s_wait_loadcnt 0x0
	s_barrier_signal -1
	s_barrier_wait -1
	s_and_saveexec_b32 s23, s31
	s_cbranch_execz .LBB188_2
; %bb.498:                              ;   in Loop: Header=BB188_3 Depth=1
	s_lshl_b64 s[42:43], s[52:53], 2
	s_delay_alu instid0(SALU_CYCLE_1)
	s_add_nc_u64 s[42:43], s[58:59], s[42:43]
	global_load_b32 v3, v2, s[42:43]
	s_wait_loadcnt 0x0
	v_add_nc_u32_e32 v3, 1, v3
	global_store_b32 v2, v3, s[42:43]
	s_branch .LBB188_2
.LBB188_499:                            ;   in Loop: Header=BB188_3 Depth=1
	s_and_saveexec_b32 s42, s30
; %bb.500:                              ;   in Loop: Header=BB188_3 Depth=1
	v_dual_mov_b32 v3, v2 :: v_dual_mov_b32 v4, v2
	v_mov_b32_e32 v5, v2
	ds_store_b128 v150, v[2:5]
; %bb.501:                              ;   in Loop: Header=BB188_3 Depth=1
	s_or_b32 exec_lo, exec_lo, s42
	s_and_not1_saveexec_b32 s23, s23
	s_cbranch_execz .LBB188_12
.LBB188_502:                            ;   in Loop: Header=BB188_3 Depth=1
	v_lshl_add_u64 v[4:5], v[36:37], 4, v[14:15]
	flat_load_b128 v[40:43], v[4:5]
	s_wait_loadcnt_dscnt 0x0
	v_xor_b32_e32 v41, 0x80000000, v41
	v_xor_b32_e32 v43, 0x80000000, v43
	ds_store_b128 v150, v[40:43]
	s_or_b32 exec_lo, exec_lo, s23
	s_and_saveexec_b32 s23, s14
	s_delay_alu instid0(SALU_CYCLE_1)
	s_xor_b32 s23, exec_lo, s23
	s_cbranch_execz .LBB188_13
.LBB188_503:                            ;   in Loop: Header=BB188_3 Depth=1
	s_and_saveexec_b32 s42, s33
; %bb.504:                              ;   in Loop: Header=BB188_3 Depth=1
	v_dual_mov_b32 v3, v2 :: v_dual_mov_b32 v4, v2
	v_mov_b32_e32 v5, v2
	ds_store_b128 v151, v[2:5]
; %bb.505:                              ;   in Loop: Header=BB188_3 Depth=1
	s_or_b32 exec_lo, exec_lo, s42
	s_and_not1_saveexec_b32 s23, s23
	s_cbranch_execnz .LBB188_14
	s_branch .LBB188_15
.LBB188_506:                            ;   in Loop: Header=BB188_3 Depth=1
	s_and_saveexec_b32 s42, s30
; %bb.507:                              ;   in Loop: Header=BB188_3 Depth=1
	v_dual_mov_b32 v3, v2 :: v_dual_mov_b32 v4, v2
	v_mov_b32_e32 v5, v2
	ds_store_b128 v132, v[2:5]
; %bb.508:                              ;   in Loop: Header=BB188_3 Depth=1
	s_or_b32 exec_lo, exec_lo, s42
	s_and_not1_saveexec_b32 s23, s23
	s_cbranch_execz .LBB188_19
.LBB188_509:                            ;   in Loop: Header=BB188_3 Depth=1
	v_lshl_add_u64 v[4:5], v[36:37], 4, v[14:15]
	flat_load_b128 v[40:43], v[4:5]
	s_wait_loadcnt_dscnt 0x0
	v_xor_b32_e32 v41, 0x80000000, v41
	v_xor_b32_e32 v43, 0x80000000, v43
	ds_store_b128 v132, v[40:43]
	s_or_b32 exec_lo, exec_lo, s23
	s_and_saveexec_b32 s23, s26
	s_delay_alu instid0(SALU_CYCLE_1)
	s_xor_b32 s23, exec_lo, s23
	s_cbranch_execz .LBB188_20
.LBB188_510:                            ;   in Loop: Header=BB188_3 Depth=1
	s_and_saveexec_b32 s42, s33
; %bb.511:                              ;   in Loop: Header=BB188_3 Depth=1
	v_dual_mov_b32 v3, v2 :: v_dual_mov_b32 v4, v2
	v_mov_b32_e32 v5, v2
	ds_store_b128 v151, v[2:5]
; %bb.512:                              ;   in Loop: Header=BB188_3 Depth=1
	s_or_b32 exec_lo, exec_lo, s42
                                        ; implicit-def: $vgpr14_vgpr15
	s_and_not1_saveexec_b32 s23, s23
	s_cbranch_execnz .LBB188_21
	s_branch .LBB188_22
.LBB188_513:                            ;   in Loop: Header=BB188_3 Depth=1
	s_or_b32 exec_lo, exec_lo, s48
	s_delay_alu instid0(SALU_CYCLE_1)
	s_and_b32 vcc_lo, exec_lo, s43
	s_cbranch_vccnz .LBB188_483
.LBB188_514:                            ;   in Loop: Header=BB188_3 Depth=1
	s_delay_alu instid0(VALU_DEP_1) | instskip(NEXT) | instid1(VALU_DEP_3)
	v_mov_b64_e32 v[16:17], v[4:5]
	v_mov_b64_e32 v[14:15], v[42:43]
	s_and_saveexec_b32 s23, s42
	s_cbranch_execnz .LBB188_496
	s_branch .LBB188_497
.LBB188_515:                            ;   in Loop: Header=BB188_3 Depth=1
	s_and_not1_b32 s20, s42, exec_lo
	s_and_b32 s21, s5, exec_lo
	s_delay_alu instid0(SALU_CYCLE_1)
	s_or_b32 s42, s20, s21
	s_cbranch_execnz .LBB188_495
.LBB188_516:                            ;   in Loop: Header=BB188_3 Depth=1
	v_readlane_b32 s21, v205, 18
	s_and_not1_b32 s20, s42, exec_lo
	s_and_b32 s21, s21, exec_lo
	s_delay_alu instid0(SALU_CYCLE_1) | instskip(NEXT) | instid1(SALU_CYCLE_1)
	s_or_b32 s42, s20, s21
	s_and_saveexec_b32 s23, s42
	s_cbranch_execnz .LBB188_496
	s_branch .LBB188_497
.LBB188_517:                            ;   in Loop: Header=BB188_3 Depth=1
	ds_load_b128 v[40:43], v50 offset:16
	ds_load_b128 v[206:209], v56 offset:576
	s_wait_dscnt 0x0
	v_mul_f64_e32 v[4:5], v[42:43], v[208:209]
	s_delay_alu instid0(VALU_DEP_1) | instskip(SKIP_1) | instid1(VALU_DEP_2)
	v_fma_f64 v[4:5], v[40:41], v[206:207], -v[4:5]
	v_mul_f64_e32 v[40:41], v[40:41], v[208:209]
	v_add_f64_e32 v[14:15], v[14:15], v[4:5]
	s_delay_alu instid0(VALU_DEP_2) | instskip(NEXT) | instid1(VALU_DEP_1)
	v_fmac_f64_e32 v[40:41], v[42:43], v[206:207]
	v_add_f64_e32 v[16:17], v[16:17], v[40:41]
	s_or_b32 exec_lo, exec_lo, s23
	s_and_saveexec_b32 s23, s8
	s_cbranch_execz .LBB188_45
.LBB188_518:                            ;   in Loop: Header=BB188_3 Depth=1
	ds_load_b128 v[40:43], v50 offset:32
	ds_load_b128 v[206:209], v55 offset:1088
	s_wait_dscnt 0x0
	v_mul_f64_e32 v[4:5], v[42:43], v[208:209]
	s_delay_alu instid0(VALU_DEP_1) | instskip(SKIP_1) | instid1(VALU_DEP_2)
	v_fma_f64 v[4:5], v[40:41], v[206:207], -v[4:5]
	v_mul_f64_e32 v[40:41], v[40:41], v[208:209]
	v_add_f64_e32 v[14:15], v[14:15], v[4:5]
	s_delay_alu instid0(VALU_DEP_2) | instskip(NEXT) | instid1(VALU_DEP_1)
	v_fmac_f64_e32 v[40:41], v[42:43], v[206:207]
	v_add_f64_e32 v[16:17], v[16:17], v[40:41]
	s_or_b32 exec_lo, exec_lo, s23
	s_and_saveexec_b32 s23, s3
	s_cbranch_execnz .LBB188_46
	s_branch .LBB188_47
.LBB188_519:                            ;   in Loop: Header=BB188_3 Depth=1
	ds_load_b128 v[40:43], v57 offset:16
	ds_load_b128 v[206:209], v63 offset:640
	s_wait_dscnt 0x0
	v_mul_f64_e32 v[4:5], v[42:43], v[208:209]
	s_delay_alu instid0(VALU_DEP_1) | instskip(SKIP_1) | instid1(VALU_DEP_2)
	v_fma_f64 v[4:5], v[40:41], v[206:207], -v[4:5]
	v_mul_f64_e32 v[40:41], v[40:41], v[208:209]
	v_add_f64_e32 v[14:15], v[14:15], v[4:5]
	s_delay_alu instid0(VALU_DEP_2) | instskip(NEXT) | instid1(VALU_DEP_1)
	v_fmac_f64_e32 v[40:41], v[42:43], v[206:207]
	v_add_f64_e32 v[16:17], v[16:17], v[40:41]
	s_or_b32 exec_lo, exec_lo, s23
	s_and_saveexec_b32 s23, s11
	s_cbranch_execz .LBB188_87
.LBB188_520:                            ;   in Loop: Header=BB188_3 Depth=1
	ds_load_b128 v[40:43], v57 offset:32
	ds_load_b128 v[206:209], v63 offset:1152
	s_wait_dscnt 0x0
	v_mul_f64_e32 v[4:5], v[42:43], v[208:209]
	s_delay_alu instid0(VALU_DEP_1) | instskip(SKIP_1) | instid1(VALU_DEP_2)
	v_fma_f64 v[4:5], v[40:41], v[206:207], -v[4:5]
	v_mul_f64_e32 v[40:41], v[40:41], v[208:209]
	v_add_f64_e32 v[14:15], v[14:15], v[4:5]
	s_delay_alu instid0(VALU_DEP_2) | instskip(NEXT) | instid1(VALU_DEP_1)
	v_fmac_f64_e32 v[40:41], v[42:43], v[206:207]
	v_add_f64_e32 v[16:17], v[16:17], v[40:41]
	s_or_b32 exec_lo, exec_lo, s23
	s_and_saveexec_b32 s23, s15
	s_cbranch_execz .LBB188_88
.LBB188_521:                            ;   in Loop: Header=BB188_3 Depth=1
	ds_load_b128 v[40:43], v57 offset:48
	ds_load_b128 v[206:209], v63 offset:1664
	s_wait_dscnt 0x0
	v_mul_f64_e32 v[4:5], v[42:43], v[208:209]
	s_delay_alu instid0(VALU_DEP_1) | instskip(SKIP_1) | instid1(VALU_DEP_2)
	v_fma_f64 v[4:5], v[40:41], v[206:207], -v[4:5]
	v_mul_f64_e32 v[40:41], v[40:41], v[208:209]
	v_add_f64_e32 v[14:15], v[14:15], v[4:5]
	s_delay_alu instid0(VALU_DEP_2) | instskip(NEXT) | instid1(VALU_DEP_1)
	v_fmac_f64_e32 v[40:41], v[42:43], v[206:207]
	v_add_f64_e32 v[16:17], v[16:17], v[40:41]
	s_or_b32 exec_lo, exec_lo, s23
	s_and_saveexec_b32 s23, s16
	s_cbranch_execz .LBB188_89
.LBB188_522:                            ;   in Loop: Header=BB188_3 Depth=1
	ds_load_b128 v[40:43], v57 offset:64
	ds_load_b128 v[206:209], v62 offset:2176
	s_wait_dscnt 0x0
	v_mul_f64_e32 v[4:5], v[42:43], v[208:209]
	s_delay_alu instid0(VALU_DEP_1) | instskip(SKIP_1) | instid1(VALU_DEP_2)
	v_fma_f64 v[4:5], v[40:41], v[206:207], -v[4:5]
	v_mul_f64_e32 v[40:41], v[40:41], v[208:209]
	v_add_f64_e32 v[14:15], v[14:15], v[4:5]
	s_delay_alu instid0(VALU_DEP_2) | instskip(NEXT) | instid1(VALU_DEP_1)
	v_fmac_f64_e32 v[40:41], v[42:43], v[206:207]
	v_add_f64_e32 v[16:17], v[16:17], v[40:41]
	s_or_b32 exec_lo, exec_lo, s23
	s_and_saveexec_b32 s23, s17
	s_cbranch_execz .LBB188_90
.LBB188_523:                            ;   in Loop: Header=BB188_3 Depth=1
	ds_load_b128 v[40:43], v57 offset:80
	ds_load_b128 v[206:209], v63 offset:2688
	s_wait_dscnt 0x0
	v_mul_f64_e32 v[4:5], v[42:43], v[208:209]
	s_delay_alu instid0(VALU_DEP_1) | instskip(SKIP_1) | instid1(VALU_DEP_2)
	v_fma_f64 v[4:5], v[40:41], v[206:207], -v[4:5]
	v_mul_f64_e32 v[40:41], v[40:41], v[208:209]
	v_add_f64_e32 v[14:15], v[14:15], v[4:5]
	s_delay_alu instid0(VALU_DEP_2) | instskip(NEXT) | instid1(VALU_DEP_1)
	v_fmac_f64_e32 v[40:41], v[42:43], v[206:207]
	v_add_f64_e32 v[16:17], v[16:17], v[40:41]
	s_or_b32 exec_lo, exec_lo, s23
	s_and_saveexec_b32 s23, s6
	s_cbranch_execz .LBB188_91
.LBB188_524:                            ;   in Loop: Header=BB188_3 Depth=1
	ds_load_b128 v[40:43], v57 offset:96
	ds_load_b128 v[206:209], v62 offset:3200
	s_wait_dscnt 0x0
	v_mul_f64_e32 v[4:5], v[42:43], v[208:209]
	s_delay_alu instid0(VALU_DEP_1) | instskip(SKIP_1) | instid1(VALU_DEP_2)
	v_fma_f64 v[4:5], v[40:41], v[206:207], -v[4:5]
	v_mul_f64_e32 v[40:41], v[40:41], v[208:209]
	v_add_f64_e32 v[14:15], v[14:15], v[4:5]
	s_delay_alu instid0(VALU_DEP_2) | instskip(NEXT) | instid1(VALU_DEP_1)
	v_fmac_f64_e32 v[40:41], v[42:43], v[206:207]
	v_add_f64_e32 v[16:17], v[16:17], v[40:41]
	s_or_b32 exec_lo, exec_lo, s23
	s_and_saveexec_b32 s23, s8
	s_cbranch_execnz .LBB188_92
	s_branch .LBB188_93
.LBB188_525:                            ;   in Loop: Header=BB188_3 Depth=1
	ds_load_b128 v[40:43], v50 offset:4240
	ds_load_b128 v[206:209], v56 offset:4800
	s_wait_dscnt 0x0
	v_mul_f64_e32 v[4:5], v[42:43], v[208:209]
	s_delay_alu instid0(VALU_DEP_1) | instskip(SKIP_1) | instid1(VALU_DEP_2)
	v_fma_f64 v[4:5], v[40:41], v[206:207], -v[4:5]
	v_mul_f64_e32 v[40:41], v[40:41], v[208:209]
	v_add_f64_e32 v[14:15], v[14:15], v[4:5]
	s_delay_alu instid0(VALU_DEP_2) | instskip(NEXT) | instid1(VALU_DEP_1)
	v_fmac_f64_e32 v[40:41], v[42:43], v[206:207]
	v_add_f64_e32 v[16:17], v[16:17], v[40:41]
	s_or_b32 exec_lo, exec_lo, s23
	s_and_saveexec_b32 s23, s8
	s_cbranch_execz .LBB188_149
.LBB188_526:                            ;   in Loop: Header=BB188_3 Depth=1
	ds_load_b128 v[40:43], v50 offset:4256
	ds_load_b128 v[206:209], v55 offset:5312
	s_wait_dscnt 0x0
	v_mul_f64_e32 v[4:5], v[42:43], v[208:209]
	s_delay_alu instid0(VALU_DEP_1) | instskip(SKIP_1) | instid1(VALU_DEP_2)
	v_fma_f64 v[4:5], v[40:41], v[206:207], -v[4:5]
	v_mul_f64_e32 v[40:41], v[40:41], v[208:209]
	v_add_f64_e32 v[14:15], v[14:15], v[4:5]
	s_delay_alu instid0(VALU_DEP_2) | instskip(NEXT) | instid1(VALU_DEP_1)
	v_fmac_f64_e32 v[40:41], v[42:43], v[206:207]
	v_add_f64_e32 v[16:17], v[16:17], v[40:41]
	s_or_b32 exec_lo, exec_lo, s23
	s_and_saveexec_b32 s23, s3
	s_cbranch_execnz .LBB188_150
	s_branch .LBB188_151
.LBB188_527:                            ;   in Loop: Header=BB188_3 Depth=1
	ds_load_b128 v[40:43], v3 offset:160
	ds_load_b128 v[206:209], v176 offset:5376
	s_wait_dscnt 0x0
	v_mul_f64_e32 v[4:5], v[42:43], v[208:209]
	s_delay_alu instid0(VALU_DEP_1) | instskip(SKIP_1) | instid1(VALU_DEP_2)
	v_fma_f64 v[4:5], v[40:41], v[206:207], -v[4:5]
	v_mul_f64_e32 v[40:41], v[40:41], v[208:209]
	v_add_f64_e32 v[14:15], v[14:15], v[4:5]
	s_delay_alu instid0(VALU_DEP_2) | instskip(NEXT) | instid1(VALU_DEP_1)
	v_fmac_f64_e32 v[40:41], v[42:43], v[206:207]
	v_add_f64_e32 v[16:17], v[16:17], v[40:41]
	s_or_b32 exec_lo, exec_lo, s23
	s_and_saveexec_b32 s23, s22
	s_cbranch_execz .LBB188_209
.LBB188_528:                            ;   in Loop: Header=BB188_3 Depth=1
	ds_load_b128 v[40:43], v3 offset:176
	ds_load_b128 v[206:209], v176 offset:5888
	s_wait_dscnt 0x0
	v_mul_f64_e32 v[4:5], v[42:43], v[208:209]
	s_delay_alu instid0(VALU_DEP_1) | instskip(SKIP_1) | instid1(VALU_DEP_2)
	v_fma_f64 v[4:5], v[40:41], v[206:207], -v[4:5]
	v_mul_f64_e32 v[40:41], v[40:41], v[208:209]
	v_add_f64_e32 v[14:15], v[14:15], v[4:5]
	s_delay_alu instid0(VALU_DEP_2) | instskip(NEXT) | instid1(VALU_DEP_1)
	v_fmac_f64_e32 v[40:41], v[42:43], v[206:207]
	v_add_f64_e32 v[16:17], v[16:17], v[40:41]
	s_or_b32 exec_lo, exec_lo, s23
	s_and_saveexec_b32 s23, s9
	s_cbranch_execz .LBB188_210
.LBB188_529:                            ;   in Loop: Header=BB188_3 Depth=1
	ds_load_b128 v[40:43], v3 offset:192
	ds_load_b128 v[206:209], v176 offset:6400
	s_wait_dscnt 0x0
	v_mul_f64_e32 v[4:5], v[42:43], v[208:209]
	s_delay_alu instid0(VALU_DEP_1) | instskip(SKIP_1) | instid1(VALU_DEP_2)
	v_fma_f64 v[4:5], v[40:41], v[206:207], -v[4:5]
	v_mul_f64_e32 v[40:41], v[40:41], v[208:209]
	v_add_f64_e32 v[14:15], v[14:15], v[4:5]
	s_delay_alu instid0(VALU_DEP_2) | instskip(NEXT) | instid1(VALU_DEP_1)
	v_fmac_f64_e32 v[40:41], v[42:43], v[206:207]
	v_add_f64_e32 v[16:17], v[16:17], v[40:41]
	s_or_b32 exec_lo, exec_lo, s23
	s_and_saveexec_b32 s23, s11
	s_cbranch_execz .LBB188_211
.LBB188_530:                            ;   in Loop: Header=BB188_3 Depth=1
	ds_load_b128 v[40:43], v3 offset:208
	ds_load_b128 v[206:209], v176 offset:6912
	s_wait_dscnt 0x0
	v_mul_f64_e32 v[4:5], v[42:43], v[208:209]
	s_delay_alu instid0(VALU_DEP_1) | instskip(SKIP_1) | instid1(VALU_DEP_2)
	v_fma_f64 v[4:5], v[40:41], v[206:207], -v[4:5]
	v_mul_f64_e32 v[40:41], v[40:41], v[208:209]
	v_add_f64_e32 v[14:15], v[14:15], v[4:5]
	s_delay_alu instid0(VALU_DEP_2) | instskip(NEXT) | instid1(VALU_DEP_1)
	v_fmac_f64_e32 v[40:41], v[42:43], v[206:207]
	v_add_f64_e32 v[16:17], v[16:17], v[40:41]
	s_or_b32 exec_lo, exec_lo, s23
	s_and_saveexec_b32 s23, s16
	s_cbranch_execz .LBB188_212
.LBB188_531:                            ;   in Loop: Header=BB188_3 Depth=1
	ds_load_b128 v[40:43], v3 offset:224
	ds_load_b128 v[206:209], v176 offset:7424
	s_wait_dscnt 0x0
	v_mul_f64_e32 v[4:5], v[42:43], v[208:209]
	s_delay_alu instid0(VALU_DEP_1) | instskip(SKIP_1) | instid1(VALU_DEP_2)
	v_fma_f64 v[4:5], v[40:41], v[206:207], -v[4:5]
	v_mul_f64_e32 v[40:41], v[40:41], v[208:209]
	v_add_f64_e32 v[14:15], v[14:15], v[4:5]
	s_delay_alu instid0(VALU_DEP_2) | instskip(NEXT) | instid1(VALU_DEP_1)
	v_fmac_f64_e32 v[40:41], v[42:43], v[206:207]
	v_add_f64_e32 v[16:17], v[16:17], v[40:41]
	s_or_b32 exec_lo, exec_lo, s23
	s_and_saveexec_b32 s23, s6
	s_cbranch_execnz .LBB188_213
	s_branch .LBB188_214
.LBB188_532:                            ;   in Loop: Header=BB188_3 Depth=1
	ds_load_b128 v[40:43], v50 offset:8464
	ds_load_b128 v[206:209], v56 offset:9024
	s_wait_dscnt 0x0
	v_mul_f64_e32 v[4:5], v[42:43], v[208:209]
	s_delay_alu instid0(VALU_DEP_1) | instskip(SKIP_1) | instid1(VALU_DEP_2)
	v_fma_f64 v[4:5], v[40:41], v[206:207], -v[4:5]
	v_mul_f64_e32 v[40:41], v[40:41], v[208:209]
	v_add_f64_e32 v[14:15], v[14:15], v[4:5]
	s_delay_alu instid0(VALU_DEP_2) | instskip(NEXT) | instid1(VALU_DEP_1)
	v_fmac_f64_e32 v[40:41], v[42:43], v[206:207]
	v_add_f64_e32 v[16:17], v[16:17], v[40:41]
	s_or_b32 exec_lo, exec_lo, s23
	s_and_saveexec_b32 s23, s8
	s_cbranch_execz .LBB188_302
.LBB188_533:                            ;   in Loop: Header=BB188_3 Depth=1
	ds_load_b128 v[40:43], v50 offset:8480
	ds_load_b128 v[206:209], v55 offset:9536
	s_wait_dscnt 0x0
	v_mul_f64_e32 v[4:5], v[42:43], v[208:209]
	s_delay_alu instid0(VALU_DEP_1) | instskip(SKIP_1) | instid1(VALU_DEP_2)
	v_fma_f64 v[4:5], v[40:41], v[206:207], -v[4:5]
	v_mul_f64_e32 v[40:41], v[40:41], v[208:209]
	v_add_f64_e32 v[14:15], v[14:15], v[4:5]
	s_delay_alu instid0(VALU_DEP_2) | instskip(NEXT) | instid1(VALU_DEP_1)
	v_fmac_f64_e32 v[40:41], v[42:43], v[206:207]
	v_add_f64_e32 v[16:17], v[16:17], v[40:41]
	s_or_b32 exec_lo, exec_lo, s23
	s_and_saveexec_b32 s23, s3
	s_cbranch_execnz .LBB188_303
	s_branch .LBB188_304
.LBB188_534:                            ;   in Loop: Header=BB188_3 Depth=1
	ds_load_b128 v[40:43], v57 offset:8464
	ds_load_b128 v[206:209], v63 offset:9088
	s_wait_dscnt 0x0
	v_mul_f64_e32 v[4:5], v[42:43], v[208:209]
	s_delay_alu instid0(VALU_DEP_1) | instskip(SKIP_1) | instid1(VALU_DEP_2)
	v_fma_f64 v[4:5], v[40:41], v[206:207], -v[4:5]
	v_mul_f64_e32 v[40:41], v[40:41], v[208:209]
	v_add_f64_e32 v[14:15], v[14:15], v[4:5]
	s_delay_alu instid0(VALU_DEP_2) | instskip(NEXT) | instid1(VALU_DEP_1)
	v_fmac_f64_e32 v[40:41], v[42:43], v[206:207]
	v_add_f64_e32 v[16:17], v[16:17], v[40:41]
	s_or_b32 exec_lo, exec_lo, s23
	s_and_saveexec_b32 s23, s11
	s_cbranch_execz .LBB188_344
.LBB188_535:                            ;   in Loop: Header=BB188_3 Depth=1
	ds_load_b128 v[40:43], v57 offset:8480
	ds_load_b128 v[206:209], v63 offset:9600
	s_wait_dscnt 0x0
	v_mul_f64_e32 v[4:5], v[42:43], v[208:209]
	s_delay_alu instid0(VALU_DEP_1) | instskip(SKIP_1) | instid1(VALU_DEP_2)
	v_fma_f64 v[4:5], v[40:41], v[206:207], -v[4:5]
	v_mul_f64_e32 v[40:41], v[40:41], v[208:209]
	v_add_f64_e32 v[14:15], v[14:15], v[4:5]
	s_delay_alu instid0(VALU_DEP_2) | instskip(NEXT) | instid1(VALU_DEP_1)
	v_fmac_f64_e32 v[40:41], v[42:43], v[206:207]
	v_add_f64_e32 v[16:17], v[16:17], v[40:41]
	s_or_b32 exec_lo, exec_lo, s23
	s_and_saveexec_b32 s23, s15
	s_cbranch_execz .LBB188_345
.LBB188_536:                            ;   in Loop: Header=BB188_3 Depth=1
	ds_load_b128 v[40:43], v57 offset:8496
	ds_load_b128 v[206:209], v63 offset:10112
	s_wait_dscnt 0x0
	v_mul_f64_e32 v[4:5], v[42:43], v[208:209]
	s_delay_alu instid0(VALU_DEP_1) | instskip(SKIP_1) | instid1(VALU_DEP_2)
	v_fma_f64 v[4:5], v[40:41], v[206:207], -v[4:5]
	v_mul_f64_e32 v[40:41], v[40:41], v[208:209]
	v_add_f64_e32 v[14:15], v[14:15], v[4:5]
	s_delay_alu instid0(VALU_DEP_2) | instskip(NEXT) | instid1(VALU_DEP_1)
	v_fmac_f64_e32 v[40:41], v[42:43], v[206:207]
	v_add_f64_e32 v[16:17], v[16:17], v[40:41]
	s_or_b32 exec_lo, exec_lo, s23
	s_and_saveexec_b32 s23, s16
	s_cbranch_execz .LBB188_346
.LBB188_537:                            ;   in Loop: Header=BB188_3 Depth=1
	ds_load_b128 v[40:43], v57 offset:8512
	ds_load_b128 v[206:209], v62 offset:10624
	s_wait_dscnt 0x0
	v_mul_f64_e32 v[4:5], v[42:43], v[208:209]
	s_delay_alu instid0(VALU_DEP_1) | instskip(SKIP_1) | instid1(VALU_DEP_2)
	v_fma_f64 v[4:5], v[40:41], v[206:207], -v[4:5]
	v_mul_f64_e32 v[40:41], v[40:41], v[208:209]
	v_add_f64_e32 v[14:15], v[14:15], v[4:5]
	s_delay_alu instid0(VALU_DEP_2) | instskip(NEXT) | instid1(VALU_DEP_1)
	v_fmac_f64_e32 v[40:41], v[42:43], v[206:207]
	v_add_f64_e32 v[16:17], v[16:17], v[40:41]
	s_or_b32 exec_lo, exec_lo, s23
	s_and_saveexec_b32 s23, s17
	s_cbranch_execz .LBB188_347
.LBB188_538:                            ;   in Loop: Header=BB188_3 Depth=1
	ds_load_b128 v[40:43], v57 offset:8528
	ds_load_b128 v[206:209], v63 offset:11136
	s_wait_dscnt 0x0
	v_mul_f64_e32 v[4:5], v[42:43], v[208:209]
	s_delay_alu instid0(VALU_DEP_1) | instskip(SKIP_1) | instid1(VALU_DEP_2)
	v_fma_f64 v[4:5], v[40:41], v[206:207], -v[4:5]
	v_mul_f64_e32 v[40:41], v[40:41], v[208:209]
	v_add_f64_e32 v[14:15], v[14:15], v[4:5]
	s_delay_alu instid0(VALU_DEP_2) | instskip(NEXT) | instid1(VALU_DEP_1)
	v_fmac_f64_e32 v[40:41], v[42:43], v[206:207]
	v_add_f64_e32 v[16:17], v[16:17], v[40:41]
	s_or_b32 exec_lo, exec_lo, s23
	s_and_saveexec_b32 s23, s6
	s_cbranch_execz .LBB188_348
.LBB188_539:                            ;   in Loop: Header=BB188_3 Depth=1
	ds_load_b128 v[40:43], v57 offset:8544
	ds_load_b128 v[206:209], v62 offset:11648
	s_wait_dscnt 0x0
	v_mul_f64_e32 v[4:5], v[42:43], v[208:209]
	s_delay_alu instid0(VALU_DEP_1) | instskip(SKIP_1) | instid1(VALU_DEP_2)
	v_fma_f64 v[4:5], v[40:41], v[206:207], -v[4:5]
	v_mul_f64_e32 v[40:41], v[40:41], v[208:209]
	v_add_f64_e32 v[14:15], v[14:15], v[4:5]
	s_delay_alu instid0(VALU_DEP_2) | instskip(NEXT) | instid1(VALU_DEP_1)
	v_fmac_f64_e32 v[40:41], v[42:43], v[206:207]
	v_add_f64_e32 v[16:17], v[16:17], v[40:41]
	s_or_b32 exec_lo, exec_lo, s23
	s_and_saveexec_b32 s23, s8
	s_cbranch_execnz .LBB188_349
	s_branch .LBB188_350
.LBB188_540:                            ;   in Loop: Header=BB188_3 Depth=1
	ds_load_b128 v[40:43], v50 offset:12688
	ds_load_b128 v[206:209], v56 offset:13248
	s_wait_dscnt 0x0
	v_mul_f64_e32 v[4:5], v[42:43], v[208:209]
	s_delay_alu instid0(VALU_DEP_1) | instskip(SKIP_1) | instid1(VALU_DEP_2)
	v_fma_f64 v[4:5], v[40:41], v[206:207], -v[4:5]
	v_mul_f64_e32 v[40:41], v[40:41], v[208:209]
	v_add_f64_e32 v[14:15], v[14:15], v[4:5]
	s_delay_alu instid0(VALU_DEP_2) | instskip(NEXT) | instid1(VALU_DEP_1)
	v_fmac_f64_e32 v[40:41], v[42:43], v[206:207]
	v_add_f64_e32 v[16:17], v[16:17], v[40:41]
	s_or_b32 exec_lo, exec_lo, s23
	s_and_saveexec_b32 s23, s8
	s_cbranch_execz .LBB188_406
.LBB188_541:                            ;   in Loop: Header=BB188_3 Depth=1
	ds_load_b128 v[40:43], v50 offset:12704
	ds_load_b128 v[206:209], v55 offset:13760
	s_wait_dscnt 0x0
	v_mul_f64_e32 v[4:5], v[42:43], v[208:209]
	s_delay_alu instid0(VALU_DEP_1) | instskip(SKIP_1) | instid1(VALU_DEP_2)
	v_fma_f64 v[4:5], v[40:41], v[206:207], -v[4:5]
	v_mul_f64_e32 v[40:41], v[40:41], v[208:209]
	v_add_f64_e32 v[14:15], v[14:15], v[4:5]
	s_delay_alu instid0(VALU_DEP_2) | instskip(NEXT) | instid1(VALU_DEP_1)
	v_fmac_f64_e32 v[40:41], v[42:43], v[206:207]
	v_add_f64_e32 v[16:17], v[16:17], v[40:41]
	s_or_b32 exec_lo, exec_lo, s23
	s_and_saveexec_b32 s23, s3
	s_cbranch_execnz .LBB188_407
	s_branch .LBB188_408
.LBB188_542:
	s_endpgm
	.section	.rodata,"a",@progbits
	.p2align	6, 0x0
	.amdhsa_kernel _ZL19rocblas_trsv_deviceILi32ELi16ELb1ELb1ELb0ELb1E19rocblas_complex_numIdES1_PKPKS1_PKPS1_EviT7_lllT6_T8_lllPii
		.amdhsa_group_segment_fixed_size 25104
		.amdhsa_private_segment_fixed_size 0
		.amdhsa_kernarg_size 360
		.amdhsa_user_sgpr_count 2
		.amdhsa_user_sgpr_dispatch_ptr 0
		.amdhsa_user_sgpr_queue_ptr 0
		.amdhsa_user_sgpr_kernarg_segment_ptr 1
		.amdhsa_user_sgpr_dispatch_id 0
		.amdhsa_user_sgpr_kernarg_preload_length 0
		.amdhsa_user_sgpr_kernarg_preload_offset 0
		.amdhsa_user_sgpr_private_segment_size 0
		.amdhsa_wavefront_size32 1
		.amdhsa_uses_dynamic_stack 0
		.amdhsa_enable_private_segment 0
		.amdhsa_system_sgpr_workgroup_id_x 1
		.amdhsa_system_sgpr_workgroup_id_y 0
		.amdhsa_system_sgpr_workgroup_id_z 1
		.amdhsa_system_sgpr_workgroup_info 0
		.amdhsa_system_vgpr_workitem_id 1
		.amdhsa_next_free_vgpr 212
		.amdhsa_next_free_sgpr 105
		.amdhsa_named_barrier_count 0
		.amdhsa_reserve_vcc 1
		.amdhsa_float_round_mode_32 0
		.amdhsa_float_round_mode_16_64 0
		.amdhsa_float_denorm_mode_32 3
		.amdhsa_float_denorm_mode_16_64 3
		.amdhsa_fp16_overflow 0
		.amdhsa_memory_ordered 1
		.amdhsa_forward_progress 1
		.amdhsa_inst_pref_size 164
		.amdhsa_round_robin_scheduling 0
		.amdhsa_exception_fp_ieee_invalid_op 0
		.amdhsa_exception_fp_denorm_src 0
		.amdhsa_exception_fp_ieee_div_zero 0
		.amdhsa_exception_fp_ieee_overflow 0
		.amdhsa_exception_fp_ieee_underflow 0
		.amdhsa_exception_fp_ieee_inexact 0
		.amdhsa_exception_int_div_zero 0
	.end_amdhsa_kernel
	.section	.text._ZL19rocblas_trsv_deviceILi32ELi16ELb1ELb1ELb0ELb1E19rocblas_complex_numIdES1_PKPKS1_PKPS1_EviT7_lllT6_T8_lllPii,"axG",@progbits,_ZL19rocblas_trsv_deviceILi32ELi16ELb1ELb1ELb0ELb1E19rocblas_complex_numIdES1_PKPKS1_PKPS1_EviT7_lllT6_T8_lllPii,comdat
.Lfunc_end188:
	.size	_ZL19rocblas_trsv_deviceILi32ELi16ELb1ELb1ELb0ELb1E19rocblas_complex_numIdES1_PKPKS1_PKPS1_EviT7_lllT6_T8_lllPii, .Lfunc_end188-_ZL19rocblas_trsv_deviceILi32ELi16ELb1ELb1ELb0ELb1E19rocblas_complex_numIdES1_PKPKS1_PKPS1_EviT7_lllT6_T8_lllPii
                                        ; -- End function
	.set _ZL19rocblas_trsv_deviceILi32ELi16ELb1ELb1ELb0ELb1E19rocblas_complex_numIdES1_PKPKS1_PKPS1_EviT7_lllT6_T8_lllPii.num_vgpr, 212
	.set _ZL19rocblas_trsv_deviceILi32ELi16ELb1ELb1ELb0ELb1E19rocblas_complex_numIdES1_PKPKS1_PKPS1_EviT7_lllT6_T8_lllPii.num_agpr, 0
	.set _ZL19rocblas_trsv_deviceILi32ELi16ELb1ELb1ELb0ELb1E19rocblas_complex_numIdES1_PKPKS1_PKPS1_EviT7_lllT6_T8_lllPii.numbered_sgpr, 105
	.set _ZL19rocblas_trsv_deviceILi32ELi16ELb1ELb1ELb0ELb1E19rocblas_complex_numIdES1_PKPKS1_PKPS1_EviT7_lllT6_T8_lllPii.num_named_barrier, 0
	.set _ZL19rocblas_trsv_deviceILi32ELi16ELb1ELb1ELb0ELb1E19rocblas_complex_numIdES1_PKPKS1_PKPS1_EviT7_lllT6_T8_lllPii.private_seg_size, 0
	.set _ZL19rocblas_trsv_deviceILi32ELi16ELb1ELb1ELb0ELb1E19rocblas_complex_numIdES1_PKPKS1_PKPS1_EviT7_lllT6_T8_lllPii.uses_vcc, 1
	.set _ZL19rocblas_trsv_deviceILi32ELi16ELb1ELb1ELb0ELb1E19rocblas_complex_numIdES1_PKPKS1_PKPS1_EviT7_lllT6_T8_lllPii.uses_flat_scratch, 0
	.set _ZL19rocblas_trsv_deviceILi32ELi16ELb1ELb1ELb0ELb1E19rocblas_complex_numIdES1_PKPKS1_PKPS1_EviT7_lllT6_T8_lllPii.has_dyn_sized_stack, 0
	.set _ZL19rocblas_trsv_deviceILi32ELi16ELb1ELb1ELb0ELb1E19rocblas_complex_numIdES1_PKPKS1_PKPS1_EviT7_lllT6_T8_lllPii.has_recursion, 0
	.set _ZL19rocblas_trsv_deviceILi32ELi16ELb1ELb1ELb0ELb1E19rocblas_complex_numIdES1_PKPKS1_PKPS1_EviT7_lllT6_T8_lllPii.has_indirect_call, 0
	.section	.AMDGPU.csdata,"",@progbits
; Kernel info:
; codeLenInByte = 20916
; TotalNumSgprs: 107
; NumVgprs: 212
; ScratchSize: 0
; MemoryBound: 1
; FloatMode: 240
; IeeeMode: 1
; LDSByteSize: 25104 bytes/workgroup (compile time only)
; SGPRBlocks: 0
; VGPRBlocks: 13
; NumSGPRsForWavesPerEU: 107
; NumVGPRsForWavesPerEU: 212
; NamedBarCnt: 0
; Occupancy: 4
; WaveLimiterHint : 1
; COMPUTE_PGM_RSRC2:SCRATCH_EN: 0
; COMPUTE_PGM_RSRC2:USER_SGPR: 2
; COMPUTE_PGM_RSRC2:TRAP_HANDLER: 0
; COMPUTE_PGM_RSRC2:TGID_X_EN: 1
; COMPUTE_PGM_RSRC2:TGID_Y_EN: 0
; COMPUTE_PGM_RSRC2:TGID_Z_EN: 1
; COMPUTE_PGM_RSRC2:TIDIG_COMP_CNT: 1
	.section	.text._ZL19rocblas_trsv_deviceILi32ELi16ELb1ELb1ELb1ELb1E19rocblas_complex_numIdES1_PKPKS1_PKPS1_EviT7_lllT6_T8_lllPii,"axG",@progbits,_ZL19rocblas_trsv_deviceILi32ELi16ELb1ELb1ELb1ELb1E19rocblas_complex_numIdES1_PKPKS1_PKPS1_EviT7_lllT6_T8_lllPii,comdat
	.globl	_ZL19rocblas_trsv_deviceILi32ELi16ELb1ELb1ELb1ELb1E19rocblas_complex_numIdES1_PKPKS1_PKPS1_EviT7_lllT6_T8_lllPii ; -- Begin function _ZL19rocblas_trsv_deviceILi32ELi16ELb1ELb1ELb1ELb1E19rocblas_complex_numIdES1_PKPKS1_PKPS1_EviT7_lllT6_T8_lllPii
	.p2align	8
	.type	_ZL19rocblas_trsv_deviceILi32ELi16ELb1ELb1ELb1ELb1E19rocblas_complex_numIdES1_PKPKS1_PKPS1_EviT7_lllT6_T8_lllPii,@function
_ZL19rocblas_trsv_deviceILi32ELi16ELb1ELb1ELb1ELb1E19rocblas_complex_numIdES1_PKPKS1_PKPS1_EviT7_lllT6_T8_lllPii: ; @_ZL19rocblas_trsv_deviceILi32ELi16ELb1ELb1ELb1ELb1E19rocblas_complex_numIdES1_PKPKS1_PKPS1_EviT7_lllT6_T8_lllPii
; %bb.0:
	s_load_b32 s35, s[0:1], 0x60
	s_bfe_u32 s2, ttmp6, 0x40014
	s_lshr_b32 s3, ttmp7, 16
	s_add_co_i32 s2, s2, 1
	s_bfe_u32 s5, ttmp6, 0x40008
	s_mul_i32 s4, s3, s2
	s_getreg_b32 s2, hwreg(HW_REG_IB_STS2, 6, 4)
	s_add_co_i32 s5, s5, s4
	s_cmp_eq_u32 s2, 0
	s_mov_b32 s53, 0
	s_cselect_b32 s52, s3, s5
	s_wait_kmcnt 0x0
	s_cmp_ge_u32 s52, s35
	s_cbranch_scc1 .LBB189_542
; %bb.1:
	s_clause 0x2
	s_load_b32 s3, s[0:1], 0x74
	s_load_b32 s63, s[0:1], 0x68
	;; [unrolled: 1-line block ×3, first 2 shown]
	s_bfe_u32 s5, ttmp6, 0x4000c
	s_and_b32 s4, ttmp6, 15
	s_add_co_i32 s5, s5, 1
	v_and_b32_e32 v22, 0x3ff, v0
	s_mul_i32 s5, ttmp9, s5
	v_mov_b32_e32 v2, 0
	s_add_co_i32 s4, s4, s5
	s_cmp_eq_u32 s2, 0
	v_bfe_u32 v24, v0, 10, 10
	s_cselect_b32 s62, ttmp9, s4
	v_dual_lshlrev_b32 v1, 5, v22 :: v_dual_mov_b32 v27, v2
	s_clause 0x1
	s_load_b64 s[20:21], s[0:1], 0x18
	s_load_b128 s[44:47], s[0:1], 0x8
	v_add_nc_u32_e32 v4, 16, v24
	v_lshl_add_u32 v3, v24, 5, v22
                                        ; implicit-def: $vgpr205 : SGPR spill to VGPR lane
	s_clause 0x1
	s_load_b64 s[56:57], s[0:1], 0x48
	s_load_b64 s[58:59], s[0:1], 0x58
	s_wait_kmcnt 0x0
	s_and_b32 s2, s3, 0xffff
	s_add_co_i32 s63, s63, -1
	s_add_co_i32 s3, s54, -1
	s_ashr_i32 s55, s54, 31
	s_ashr_i32 s4, s3, 31
	s_lshr_b32 s5, s55, 27
	s_lshr_b32 s4, s4, 27
	s_add_co_i32 s5, s54, s5
	s_add_co_i32 s3, s3, s4
	s_and_not1_b32 s5, s5, 31
	s_sub_co_i32 s24, s63, s62
	s_ashr_i32 s3, s3, 5
	s_sub_co_i32 s25, s54, s5
	s_cmp_eq_u32 s3, s24
	v_lshl_add_u32 v9, v4, 5, v22
	s_cselect_b32 s3, -1, 0
	s_cmp_lg_u32 s25, 0
	v_mad_u32_u24 v26, v24, s2, v22
	s_cselect_b32 s4, -1, 0
	v_cmp_gt_u32_e64 s7, 2, v22
	s_and_b32 s26, s4, s3
	v_cmp_gt_u32_e64 s3, 4, v3
	s_xor_b32 s64, s26, -1
	s_cmp_lg_u32 s62, 0
	s_add_nc_u64 s[4:5], s[20:21], 1
	s_cselect_b32 s65, -1, 0
	s_lshl_b32 s18, s24, 5
	s_delay_alu instid0(SALU_CYCLE_1)
	v_dual_add_nc_u32 v8, v24, v1 :: v_dual_add_nc_u32 v5, s18, v24
	s_cmp_lt_i32 s62, 5
	v_dual_add_nc_u32 v1, v4, v1 :: v_dual_add_nc_u32 v6, s18, v22
	s_cselect_b32 vcc_lo, -1, 0
	s_delay_alu instid0(VALU_DEP_2) | instid1(SALU_CYCLE_1)
	v_dual_add_nc_u32 v28, 32, v5 :: v_dual_cndmask_b32 v8, v3, v8, vcc_lo
	v_lshrrev_b32_e32 v11, 1, v3
	s_or_b32 vcc_lo, vcc_lo, s26
	s_delay_alu instid0(VALU_DEP_2) | instskip(SKIP_4) | instid1(VALU_DEP_4)
	v_dual_ashrrev_i32 v7, 31, v6 :: v_dual_ashrrev_i32 v29, 31, v28
	v_dual_cndmask_b32 v9, v9, v1, vcc_lo :: v_dual_bitop2_b32 v1, 1, v0 bitop3:0x40
	v_lshrrev_b32_e32 v10, 10, v0
	v_lshl_add_u32 v23, v11, 4, 0x4000
	v_mul_u32_u24_e32 v47, 0x210, v11
	v_dual_lshlrev_b32 v48, 4, v22 :: v_dual_lshlrev_b32 v12, 4, v1
	s_delay_alu instid0(VALU_DEP_4) | instskip(SKIP_2) | instid1(VALU_DEP_4)
	v_bitop3_b32 v13, v0, v10, 0x3ff bitop3:0xa8
	v_cmp_eq_u32_e64 s6, 1, v1
	v_lshrrev_b32_e32 v10, 2, v3
	v_mad_u32_u24 v1, 0x1f0, v22, v48
	v_lshl_or_b32 v46, v11, 9, v12
	v_and_b32_e32 v11, 3, v0
	s_xor_b32 s8, s6, -1
	s_and_b32 s68, s6, s3
	v_cmp_gt_u32_e64 s6, 16, v3
	v_dual_add_nc_u32 v49, 32, v1 :: v_dual_lshlrev_b32 v12, 4, v10
	v_cmp_eq_u32_e64 s9, 0, v11
	v_mul_u32_u24_e32 v50, 0x210, v10
	v_dual_add_nc_u32 v51, 48, v1 :: v_dual_lshlrev_b32 v52, 4, v11
	v_mad_i32_i24 v53, 0xfffffe10, v22, v1
	v_cmp_ne_u32_e64 s10, 0, v11
	s_and_b32 s70, s9, s6
	v_cmp_eq_u32_e64 s9, 1, v11
	s_ashr_i32 s19, s18, 31
	v_sub_nc_u32_e32 v14, v50, v12
	s_mul_u64 s[22:23], s[4:5], s[18:19]
	v_cmp_eq_u32_e64 s5, 0, v24
	v_add_nc_u32_e32 v54, 0x4000, v12
	v_lshl_or_b32 v55, v10, 9, v52
	v_cmp_lt_u32_e64 s11, 1, v11
	v_cmp_eq_u32_e64 s12, 2, v11
	s_and_b32 s71, s10, s6
	v_cmp_eq_u32_e64 s10, 3, v11
	s_and_b32 s72, s9, s6
	v_lshrrev_b32_e32 v10, 3, v3
	v_cmp_gt_u32_e64 s9, 4, v22
	v_mad_u32_u24 v11, 0x1f0, v22, v53
	v_and_b32_e32 v12, 7, v0
	s_delay_alu instid0(VALU_DEP_4)
	v_dual_add_nc_u32 v56, v14, v52 :: v_dual_lshlrev_b32 v14, 4, v10
	s_and_b32 s74, s12, s6
	v_mul_u32_u24_e32 v57, 0x210, v10
	s_and_b32 s76, s5, s9
	v_add_nc_u32_e32 v58, 64, v11
	v_cmp_gt_u32_e64 s9, 64, v3
	v_cmp_eq_u32_e64 s12, 0, v12
	v_cmp_ne_u32_e64 s13, 0, v12
	v_dual_lshlrev_b32 v59, 4, v12 :: v_dual_sub_nc_u32 v15, v57, v14
	v_cmp_eq_u32_e64 s14, 1, v12
	s_and_b32 s77, s12, s9
	s_and_b32 s78, s13, s9
	v_cmp_lt_u32_e64 s12, 2, v12
	v_cmp_eq_u32_e64 s13, 3, v12
	v_dual_add_nc_u32 v63, v15, v59 :: v_dual_bitop2_b32 v0, 15, v0 bitop3:0x40
	s_and_b32 s79, s14, s9
	v_cmp_lt_u32_e64 s14, 3, v12
	s_and_b32 s82, s12, s9
	s_and_b32 s83, s13, s9
	v_cmp_eq_u32_e64 s12, 5, v12
	v_cmp_lt_u32_e64 s13, 5, v12
	s_and_b32 s75, s10, s6
	v_cmp_gt_u32_e64 s10, 56, v3
	v_cmp_lt_u32_e64 s15, 1, v12
	s_and_b32 s84, s14, s9
	v_cmp_eq_u32_e64 s14, 6, v12
	s_and_b32 s87, s12, s9
	s_and_b32 s88, s13, s9
	v_cmp_gt_u32_e64 s12, 0x100, v3
	v_cmp_eq_u32_e64 s13, 0, v0
	v_writelane_b32 v205, s10, 0
	v_cmp_eq_u32_e64 s16, 2, v12
	s_and_b32 s80, s15, s9
	v_cmp_eq_u32_e64 s15, 4, v12
	s_and_b32 s89, s14, s9
	v_cmp_ne_u32_e64 s14, 0, v0
	s_and_b32 s10, s13, s12
	s_and_b32 s81, s16, s9
	v_writelane_b32 v205, s10, 1
	v_cmp_lt_u32_e64 s16, 4, v12
	s_and_b32 s85, s15, s9
	v_cmp_eq_u32_e64 s15, 7, v12
	v_cmp_eq_u32_e64 s13, 1, v0
	s_and_b32 s10, s14, s12
	s_and_b32 s86, s16, s9
	v_writelane_b32 v205, s10, 2
	v_cmp_gt_u32_e64 s16, 8, v22
	s_and_b32 s90, s15, s9
	v_cmp_lt_u32_e64 s15, 1, v0
	s_and_b32 s10, s13, s12
	v_cmp_lt_u32_e64 s17, 2, v0
	v_writelane_b32 v205, s10, 3
	s_and_b32 s91, s5, s16
	v_cmp_eq_u32_e64 s16, 2, v0
	s_and_b32 s10, s15, s12
	v_cmp_eq_u32_e64 s13, 3, v0
	v_writelane_b32 v205, s10, 4
	v_cmp_lt_u32_e64 s14, 3, v0
	s_and_b32 s10, s16, s12
	v_cmp_eq_u32_e64 s15, 4, v0
	v_cmp_lt_u32_e64 s16, 4, v0
	v_writelane_b32 v205, s10, 5
	s_and_b32 s10, s17, s12
	v_cmp_eq_u32_e64 s17, 5, v0
	v_lshl_or_b32 v62, v10, 9, v59
	v_dual_lshlrev_b32 v10, 5, v3 :: v_dual_lshlrev_b32 v73, 4, v0
	v_writelane_b32 v205, s10, 6
	s_and_b32 s10, s13, s12
	v_cmp_lt_u32_e64 s13, 5, v0
	v_mad_i32_i24 v86, 0xfffffe10, v22, v11
	v_add_nc_u32_e32 v64, 0x80, v1
	v_writelane_b32 v205, s10, 7
	s_and_b32 s10, s14, s12
	v_cmp_eq_u32_e64 s14, 6, v0
	v_add_nc_u32_e32 v65, 0x90, v1
	v_add_nc_u32_e32 v66, 0xa0, v1
	v_writelane_b32 v205, s10, 8
	s_and_b32 s10, s15, s12
	v_cmp_lt_u32_e64 s15, 6, v0
	v_add_nc_u32_e32 v67, 0xb0, v1
	v_add_nc_u32_e32 v68, 0xc0, v1
	v_writelane_b32 v205, s10, 9
	s_and_b32 s10, s16, s12
	v_cmp_eq_u32_e64 s16, 7, v0
	v_add_nc_u32_e32 v69, 0xd0, v1
	v_add_nc_u32_e32 v70, 0xe0, v1
	v_writelane_b32 v205, s10, 10
	s_and_b32 s10, s17, s12
	v_cmp_lt_u32_e64 s17, 7, v0
	v_add_nc_u32_e32 v71, 0xf0, v1
	;; [unrolled: 10-line block ×3, first 2 shown]
	v_add_nc_u32_e32 v78, 0x21a0, v1
	v_writelane_b32 v205, s10, 13
	s_and_b32 s10, s15, s12
	v_cmp_eq_u32_e64 s15, 9, v0
	s_and_b32 s27, s14, s12
	v_cmp_eq_u32_e64 s14, 11, v0
	v_writelane_b32 v205, s10, 14
	s_and_b32 s10, s16, s12
	v_cmp_lt_u32_e64 s16, 9, v0
	s_and_b32 s28, s15, s12
	v_cmp_lt_u32_e64 s15, 11, v0
	v_writelane_b32 v205, s10, 15
	s_and_b32 s10, s17, s12
	v_cmp_eq_u32_e64 s17, 10, v0
	s_and_b32 s94, s14, s12
	s_and_b32 s95, s15, s12
	v_writelane_b32 v205, s10, 16
	s_and_b32 s10, s13, s12
	v_cmp_lt_u32_e64 s13, 10, v0
	s_and_b32 s92, s17, s12
	v_cmp_lt_u32_e64 s17, 12, v0
	v_writelane_b32 v205, s10, 17
	s_and_b32 s10, s16, s12
	v_cmp_eq_u32_e64 s16, 12, v0
	s_and_b32 s93, s13, s12
	v_cmp_eq_u32_e64 s13, 13, v0
	v_cmp_lt_u32_e64 s14, 13, v0
	v_cmp_eq_u32_e64 s15, 14, v0
	s_and_b32 s96, s16, s12
	v_cmp_eq_u32_e64 s16, 15, v0
	v_dual_add_nc_u32 v0, 48, v5 :: v_dual_lshlrev_b32 v5, 9, v22
	s_and_b32 s100, s15, s12
	v_add_nc_u32_e32 v79, 0x21b0, v1
	v_add_nc_u32_e32 v80, 0x21c0, v1
	s_delay_alu instid0(VALU_DEP_3)
	v_cmp_gt_i32_e64 s15, s54, v0
	v_mad_u32_u24 v0, 0x1f0, v22, v86
	v_add_nc_u32_e32 v81, 0x21d0, v1
	v_add_nc_u32_e32 v82, 0x21e0, v1
	;; [unrolled: 1-line block ×3, first 2 shown]
	s_and_b32 s99, s14, s12
	v_mad_i32_i24 v97, 0xfffffe10, v22, v0
	v_add_nc_u32_e32 v95, 0x860, v0
	v_add_nc_u32_e32 v96, 0x870, v0
	;; [unrolled: 1-line block ×4, first 2 shown]
	v_mad_u32_u24 v1, 0x1f0, v22, v97
	v_add_nc_u32_e32 v100, 0x10e0, v0
	v_add_nc_u32_e32 v101, 0x10d0, v0
	;; [unrolled: 1-line block ×8, first 2 shown]
	v_mad_i32_i24 v0, 0xfffffe10, v22, v1
	v_cmp_le_i32_e64 s14, s25, v22
	v_cmp_gt_i32_e64 s2, s54, v6
	s_and_b32 s97, s17, s12
	v_cmp_gt_u32_e64 s17, 16, v22
	v_add_nc_u32_e32 v108, 0x18e0, v1
	v_add_nc_u32_e32 v109, 0x18f0, v1
	;; [unrolled: 1-line block ×8, first 2 shown]
	v_mul_u64_e32 v[0:1], s[20:21], v[6:7]
	v_mul_u64_e32 v[30:31], s[56:57], v[6:7]
	v_dual_lshlrev_b32 v6, 4, v24 :: v_dual_lshlrev_b32 v151, 4, v9
	s_and_b32 s103, s14, s26
	s_xor_b32 s66, vcc_lo, -1
	v_cmp_gt_i32_e32 vcc_lo, s25, v22
	s_and_b32 s98, s13, s12
	s_xor_b32 s13, s103, -1
	s_and_b32 s67, s8, s3
	s_and_b32 s69, s5, s7
	;; [unrolled: 1-line block ×3, first 2 shown]
	v_dual_mov_b32 v25, v2 :: v_dual_add_nc_u32 v60, 0x70, v11
	v_and_b32_e32 v72, 0xfffffe00, v10
	s_and_b32 s101, s16, s12
	s_and_b32 s102, s5, s17
	;; [unrolled: 1-line block ×3, first 2 shown]
	v_or_b32_e32 v116, 0x100, v5
	v_mad_i32_i24 v10, 0xfffffe10, v22, v5
	v_or_b32_e32 v117, 0x110, v5
	v_or_b32_e32 v118, 0x120, v5
	v_or_b32_e32 v119, 0x130, v5
	v_or_b32_e32 v120, 0x140, v5
	v_or_b32_e32 v121, 0x150, v5
	v_or_b32_e32 v122, 0x160, v5
	v_or_b32_e32 v123, 0x170, v5
	v_or_b32_e32 v124, 0x180, v5
	v_or_b32_e32 v125, 0x190, v5
	v_or_b32_e32 v126, 0x1a0, v5
	v_or_b32_e32 v127, 0x1b0, v5
	v_or_b32_e32 v128, 0x1c0, v5
	v_or_b32_e32 v129, 0x1d0, v5
	v_or_b32_e32 v130, 0x1e0, v5
	v_or_b32_e32 v131, 0x1f0, v5
	v_dual_add_nc_u32 v132, v5, v6 :: v_dual_lshlrev_b32 v150, 4, v8
	v_mov_b32_e32 v5, v2
	s_cmp_gt_i32 s62, 0
	v_add_nc_u32_e32 v133, 0x6000, v6
	s_cselect_b32 vcc_hi, -1, 0
	v_add_nc_u64_e32 v[6:7], s[18:19], v[26:27]
	s_and_b32 s19, s5, vcc_lo
	v_mul_u64_e32 v[34:35], s[20:21], v[4:5]
	v_writelane_b32 v205, s19, 18
	v_mul_u64_e32 v[36:37], s[20:21], v[24:25]
	v_cmp_gt_u32_e64 s20, 0xf0, v3
	s_load_b256 s[36:43], s[0:1], 0x28
	v_mul_u64_e32 v[32:33], s[56:57], v[6:7]
	v_cmp_le_i32_e64 s16, s25, v24
	v_cmp_le_i32_e64 s17, s25, v4
	v_writelane_b32 v205, s20, 19
	v_cmp_gt_u32_e64 s20, 0xe0, v3
	v_cmp_le_u32_e64 s13, v22, v24
	s_or_b32 s16, s16, s14
	s_or_b32 s17, s17, s14
	v_cmp_le_u32_e64 s14, v22, v4
	v_writelane_b32 v205, s20, 20
	v_cmp_gt_u32_e64 s20, 0xd0, v3
	v_dual_add_nc_u32 v202, v133, v48 :: v_dual_bitop2_b32 v8, v4, v22 bitop3:0x54
	v_dual_lshlrev_b32 v38, 4, v22 :: v_dual_bitop2_b32 v170, -16, v3 bitop3:0x40
	s_delay_alu instid0(VALU_DEP_3)
	v_writelane_b32 v205, s20, 21
	v_cmp_gt_u32_e64 s20, 0xc0, v3
	v_cmp_gt_i32_e64 s18, s54, v28
	v_cmp_gt_u32_e64 s4, 2, v3
	v_cmp_gt_u32_e64 s7, 12, v3
	v_cmp_gt_u32_e64 s8, 8, v3
	v_writelane_b32 v205, s20, 22
	v_cmp_gt_u32_e64 s20, 0xb0, v3
	v_add_nc_u32_e32 v61, 0x4000, v14
	v_cmp_gt_u32_e64 s11, 48, v3
	v_add_nc_u32_e32 v84, 0x60, v11
	v_add_nc_u32_e32 v85, 0x50, v11
	v_writelane_b32 v205, s20, 23
	v_cmp_gt_u32_e64 s20, 0xa0, v3
	v_add_nc_u32_e32 v87, 0x10a0, v11
	v_add_nc_u32_e32 v88, 0x10b0, v11
	v_add_nc_u32_e32 v89, 0x2140, v11
	v_add_nc_u32_e32 v90, 0x2170, v11
	v_writelane_b32 v205, s20, 24
	v_cmp_gt_u32_e64 s20, 0x90, v3
	v_add_nc_u32_e32 v91, 0x2160, v11
	v_add_nc_u32_e32 v92, 0x2150, v11
	;; [unrolled: 6-line block ×4, first 2 shown]
	v_add_nc_u32_e32 v140, 0x2c00, v10
	v_add_nc_u32_e32 v141, 0x2e00, v10
	;; [unrolled: 1-line block ×10, first 2 shown]
	v_lshl_add_u32 v27, v24, 9, v10
	s_and_b32 s19, s15, s2
	s_or_b32 s25, s16, s13
	s_or_b32 s26, s17, s14
	s_lshl_b64 s[60:61], s[22:23], 4
	v_add_nc_u32_e32 v152, 0x400, v53
	v_add_nc_u32_e32 v153, 0x600, v53
	;; [unrolled: 1-line block ×23, first 2 shown]
	v_or_b32_e32 v176, v72, v73
	v_add_nc_u32_e32 v177, 0x2500, v53
	v_add_nc_u32_e32 v178, 0x2700, v53
	;; [unrolled: 1-line block ×22, first 2 shown]
	v_lshl_add_u32 v199, v26, 4, 0x6000
	v_lshl_add_u32 v200, v3, 4, 0x4000
	v_add_nc_u32_e32 v201, 0x4000, v48
	v_add_nc_u32_e32 v203, 0x3c00, v48
	v_subrev_nc_u32_e32 v204, 31, v22
	v_cmp_gt_u32_e64 s15, 40, v3
	v_cmp_gt_u32_e64 s16, 32, v3
	;; [unrolled: 1-line block ×3, first 2 shown]
	v_writelane_b32 v205, s20, 27
	v_cmp_gt_u32_e64 s20, 0x60, v3
	v_cmp_gt_u32_e64 s22, 0x50, v3
	v_cmp_eq_u32_e64 s29, 0, v13
	v_cmp_gt_u32_e64 s30, 32, v13
	v_cmp_eq_u32_e64 s31, 0, v26
	v_cmp_gt_u32_e64 s33, 32, v8
	v_cmp_gt_u32_e64 s34, 32, v26
	s_add_co_i32 s24, s24, 1
	s_and_b32 s18, s18, s2
	s_lshl_b64 s[46:47], s[46:47], 4
	s_wait_kmcnt 0x0
	s_lshl_b64 s[0:1], s[42:43], 4
	s_mov_b32 s49, 0x3ff00000
                                        ; implicit-def: $vgpr6_vgpr7
                                        ; implicit-def: $vgpr10_vgpr11
	v_writelane_b32 v205, s20, 28
	s_branch .LBB189_3
.LBB189_2:                              ;   in Loop: Header=BB189_3 Depth=1
	s_wait_xcnt 0x0
	s_or_b32 exec_lo, exec_lo, s23
	s_add_co_i32 s52, s52, 0x10000
	global_wb scope:SCOPE_DEV
	s_wait_storecnt 0x0
	global_inv scope:SCOPE_DEV
	s_cmp_lt_u32 s52, s35
	s_cbranch_scc0 .LBB189_542
.LBB189_3:                              ; =>This Loop Header: Depth=1
                                        ;     Child Loop BB189_452 Depth 2
                                        ;       Child Loop BB189_454 Depth 3
                                        ;     Child Loop BB189_485 Depth 2
	v_mov_b32_e32 v3, s52
	s_and_not1_b32 vcc_lo, exec_lo, s65
	s_clause 0x1
	global_load_b64 v[4:5], v3, s[44:45] scale_offset
	global_load_b64 v[20:21], v3, s[40:41] scale_offset
	s_wait_loadcnt 0x1
	v_add_nc_u64_e32 v[4:5], s[46:47], v[4:5]
	s_delay_alu instid0(VALU_DEP_1)
	v_lshl_add_u64 v[18:19], v[0:1], 4, v[4:5]
	s_cbranch_vccnz .LBB189_9
; %bb.4:                                ;   in Loop: Header=BB189_3 Depth=1
	v_mov_b64_e32 v[12:13], 0
	v_mov_b64_e32 v[6:7], 0
	;; [unrolled: 1-line block ×3, first 2 shown]
	v_lshl_add_u64 v[14:15], v[28:29], 4, v[18:19]
	s_wait_loadcnt 0x0
	s_barrier_signal -1
	s_barrier_wait -1
	s_wait_xcnt 0x0
	s_and_saveexec_b32 s23, s18
	s_cbranch_execz .LBB189_6
; %bb.5:                                ;   in Loop: Header=BB189_3 Depth=1
	flat_load_b128 v[6:9], v[14:15]
.LBB189_6:                              ;   in Loop: Header=BB189_3 Depth=1
	s_wait_xcnt 0x0
	s_or_b32 exec_lo, exec_lo, s23
	v_mov_b64_e32 v[10:11], 0
	s_wait_loadcnt_dscnt 0x0
	s_barrier_signal -1
	s_barrier_wait -1
	s_and_saveexec_b32 s23, s19
	s_cbranch_execz .LBB189_8
; %bb.7:                                ;   in Loop: Header=BB189_3 Depth=1
	flat_load_b128 v[10:13], v[14:15] offset:256
.LBB189_8:                              ;   in Loop: Header=BB189_3 Depth=1
	s_wait_xcnt 0x0
	s_or_b32 exec_lo, exec_lo, s23
.LBB189_9:                              ;   in Loop: Header=BB189_3 Depth=1
	v_add_nc_u64_e32 v[4:5], s[60:61], v[4:5]
	v_mov_b32_e32 v39, v2
	s_and_not1_b32 vcc_lo, exec_lo, s64
	s_mov_b32 s23, -1
	s_delay_alu instid0(VALU_DEP_1)
	v_add_nc_u64_e32 v[14:15], v[4:5], v[38:39]
	s_cbranch_vccnz .LBB189_16
; %bb.10:                               ;   in Loop: Header=BB189_3 Depth=1
	s_wait_xcnt 0x0
	s_and_saveexec_b32 s23, s13
	s_delay_alu instid0(SALU_CYCLE_1)
	s_xor_b32 s23, exec_lo, s23
	s_cbranch_execnz .LBB189_499
; %bb.11:                               ;   in Loop: Header=BB189_3 Depth=1
	s_and_not1_saveexec_b32 s23, s23
	s_cbranch_execnz .LBB189_502
.LBB189_12:                             ;   in Loop: Header=BB189_3 Depth=1
	s_or_b32 exec_lo, exec_lo, s23
	s_and_saveexec_b32 s23, s14
	s_delay_alu instid0(SALU_CYCLE_1)
	s_xor_b32 s23, exec_lo, s23
	s_cbranch_execnz .LBB189_503
.LBB189_13:                             ;   in Loop: Header=BB189_3 Depth=1
	s_and_not1_saveexec_b32 s23, s23
	s_cbranch_execz .LBB189_15
.LBB189_14:                             ;   in Loop: Header=BB189_3 Depth=1
	v_lshl_add_u64 v[4:5], v[34:35], 4, v[14:15]
	flat_load_b128 v[40:43], v[4:5]
	s_wait_loadcnt_dscnt 0x0
	v_xor_b32_e32 v41, 0x80000000, v41
	ds_store_b128 v151, v[40:43]
.LBB189_15:                             ;   in Loop: Header=BB189_3 Depth=1
	s_or_b32 exec_lo, exec_lo, s23
	s_mov_b32 s23, 0
.LBB189_16:                             ;   in Loop: Header=BB189_3 Depth=1
	s_delay_alu instid0(SALU_CYCLE_1)
	s_and_b32 vcc_lo, exec_lo, s23
	s_cbranch_vccz .LBB189_23
; %bb.17:                               ;   in Loop: Header=BB189_3 Depth=1
	s_wait_xcnt 0x0
	s_and_saveexec_b32 s23, s25
	s_delay_alu instid0(SALU_CYCLE_1)
	s_xor_b32 s23, exec_lo, s23
	s_cbranch_execnz .LBB189_506
; %bb.18:                               ;   in Loop: Header=BB189_3 Depth=1
	s_and_not1_saveexec_b32 s23, s23
	s_cbranch_execnz .LBB189_509
.LBB189_19:                             ;   in Loop: Header=BB189_3 Depth=1
	s_or_b32 exec_lo, exec_lo, s23
	s_and_saveexec_b32 s23, s26
	s_delay_alu instid0(SALU_CYCLE_1)
	s_xor_b32 s23, exec_lo, s23
	s_cbranch_execnz .LBB189_510
.LBB189_20:                             ;   in Loop: Header=BB189_3 Depth=1
	s_and_not1_saveexec_b32 s23, s23
	s_cbranch_execz .LBB189_22
.LBB189_21:                             ;   in Loop: Header=BB189_3 Depth=1
	v_lshl_add_u64 v[4:5], v[34:35], 4, v[14:15]
	flat_load_b128 v[14:17], v[4:5]
	s_wait_loadcnt_dscnt 0x0
	v_xor_b32_e32 v15, 0x80000000, v15
	ds_store_b128 v151, v[14:17]
.LBB189_22:                             ;   in Loop: Header=BB189_3 Depth=1
	s_or_b32 exec_lo, exec_lo, s23
.LBB189_23:                             ;   in Loop: Header=BB189_3 Depth=1
	s_delay_alu instid0(SALU_CYCLE_1)
	s_and_not1_b32 vcc_lo, exec_lo, s66
	s_wait_loadcnt_dscnt 0x0
	s_barrier_signal -1
	s_barrier_wait -1
	s_cbranch_vccnz .LBB189_446
; %bb.24:                               ;   in Loop: Header=BB189_3 Depth=1
	s_wait_xcnt 0x0
	s_and_saveexec_b32 s42, s29
	s_cbranch_execz .LBB189_26
; %bb.25:                               ;   in Loop: Header=BB189_3 Depth=1
	s_mov_b32 s48, s53
	s_mov_b32 s50, s53
	;; [unrolled: 1-line block ×3, first 2 shown]
	v_mov_b64_e32 v[14:15], s[48:49]
	v_mov_b64_e32 v[16:17], s[50:51]
	ds_store_b128 v2, v[14:17]
	ds_store_b128 v2, v[14:17] offset:528
	ds_load_b128 v[14:17], v2 offset:16
	s_wait_dscnt 0x0
	ds_store_b128 v2, v[14:17] offset:512
.LBB189_26:                             ;   in Loop: Header=BB189_3 Depth=1
	s_or_b32 exec_lo, exec_lo, s42
	v_mov_b64_e32 v[16:17], 0
	v_mov_b64_e32 v[14:15], 0
	s_wait_dscnt 0x0
	s_barrier_signal -1
	s_barrier_wait -1
	s_and_saveexec_b32 s42, s3
	s_cbranch_execz .LBB189_30
; %bb.27:                               ;   in Loop: Header=BB189_3 Depth=1
	ds_load_b128 v[14:17], v47
	ds_load_b128 v[40:43], v46 offset:32
	s_wait_dscnt 0x0
	v_mul_f64_e32 v[4:5], v[16:17], v[42:43]
	v_mul_f64_e32 v[42:43], v[14:15], v[42:43]
	s_delay_alu instid0(VALU_DEP_2) | instskip(NEXT) | instid1(VALU_DEP_2)
	v_fma_f64 v[4:5], v[14:15], v[40:41], -v[4:5]
	v_fmac_f64_e32 v[42:43], v[16:17], v[40:41]
	s_delay_alu instid0(VALU_DEP_2) | instskip(NEXT) | instid1(VALU_DEP_2)
	v_add_f64_e32 v[14:15], 0, v[4:5]
	v_add_f64_e32 v[16:17], 0, v[42:43]
	s_and_saveexec_b32 s23, s4
	s_cbranch_execz .LBB189_29
; %bb.28:                               ;   in Loop: Header=BB189_3 Depth=1
	ds_load_b128 v[40:43], v2 offset:16
	ds_load_b128 v[206:209], v48 offset:544
	s_wait_dscnt 0x0
	v_mul_f64_e32 v[4:5], v[42:43], v[208:209]
	s_delay_alu instid0(VALU_DEP_1) | instskip(SKIP_1) | instid1(VALU_DEP_2)
	v_fma_f64 v[4:5], v[40:41], v[206:207], -v[4:5]
	v_mul_f64_e32 v[40:41], v[40:41], v[208:209]
	v_add_f64_e32 v[14:15], v[14:15], v[4:5]
	s_delay_alu instid0(VALU_DEP_2) | instskip(NEXT) | instid1(VALU_DEP_1)
	v_fmac_f64_e32 v[40:41], v[42:43], v[206:207]
	v_add_f64_e32 v[16:17], v[16:17], v[40:41]
.LBB189_29:                             ;   in Loop: Header=BB189_3 Depth=1
	s_or_b32 exec_lo, exec_lo, s23
	s_delay_alu instid0(VALU_DEP_2) | instskip(NEXT) | instid1(VALU_DEP_2)
	v_xor_b32_e32 v15, 0x80000000, v15
	v_xor_b32_e32 v17, 0x80000000, v17
.LBB189_30:                             ;   in Loop: Header=BB189_3 Depth=1
	s_or_b32 exec_lo, exec_lo, s42
	s_and_saveexec_b32 s23, s67
; %bb.31:                               ;   in Loop: Header=BB189_3 Depth=1
	ds_store_b128 v23, v[14:17]
; %bb.32:                               ;   in Loop: Header=BB189_3 Depth=1
	s_or_b32 exec_lo, exec_lo, s23
	s_wait_dscnt 0x0
	s_barrier_signal -1
	s_barrier_wait -1
	s_and_saveexec_b32 s23, s68
	s_cbranch_execz .LBB189_34
; %bb.33:                               ;   in Loop: Header=BB189_3 Depth=1
	ds_load_b128 v[40:43], v23
	ds_load_b128 v[206:209], v2 offset:1072
	s_wait_dscnt 0x0
	v_mul_f64_e32 v[4:5], v[42:43], v[208:209]
	s_delay_alu instid0(VALU_DEP_1) | instskip(SKIP_1) | instid1(VALU_DEP_2)
	v_fma_f64 v[4:5], v[40:41], v[206:207], -v[4:5]
	v_mul_f64_e32 v[40:41], v[40:41], v[208:209]
	v_add_f64_e32 v[14:15], v[14:15], v[4:5]
	s_delay_alu instid0(VALU_DEP_2) | instskip(NEXT) | instid1(VALU_DEP_1)
	v_fmac_f64_e32 v[40:41], v[42:43], v[206:207]
	v_add_f64_e32 v[16:17], v[16:17], v[40:41]
.LBB189_34:                             ;   in Loop: Header=BB189_3 Depth=1
	s_or_b32 exec_lo, exec_lo, s23
	s_barrier_signal -1
	s_barrier_wait -1
	s_and_saveexec_b32 s23, s68
; %bb.35:                               ;   in Loop: Header=BB189_3 Depth=1
	ds_store_b128 v23, v[14:17]
; %bb.36:                               ;   in Loop: Header=BB189_3 Depth=1
	s_or_b32 exec_lo, exec_lo, s23
	s_wait_dscnt 0x0
	s_barrier_signal -1
	s_barrier_wait -1
	s_barrier_signal -1
	s_barrier_wait -1
	s_and_saveexec_b32 s23, s3
; %bb.37:                               ;   in Loop: Header=BB189_3 Depth=1
	v_xor_b32_e32 v15, 0x80000000, v15
	v_xor_b32_e32 v17, 0x80000000, v17
	ds_store_b128 v46, v[14:17] offset:32
; %bb.38:                               ;   in Loop: Header=BB189_3 Depth=1
	s_or_b32 exec_lo, exec_lo, s23
	s_wait_dscnt 0x0
	s_barrier_signal -1
	s_barrier_wait -1
	s_barrier_signal -1
	s_barrier_wait -1
	s_and_saveexec_b32 s23, s69
	s_cbranch_execz .LBB189_40
; %bb.39:                               ;   in Loop: Header=BB189_3 Depth=1
	ds_load_b128 v[14:17], v49
	s_wait_dscnt 0x0
	ds_store_b128 v152, v[14:17]
	ds_load_b128 v[14:17], v51
	s_wait_dscnt 0x0
	ds_store_b128 v153, v[14:17]
.LBB189_40:                             ;   in Loop: Header=BB189_3 Depth=1
	s_or_b32 exec_lo, exec_lo, s23
	s_wait_dscnt 0x0
	s_barrier_signal -1
	s_barrier_wait -1
	s_and_saveexec_b32 s42, s29
	s_cbranch_execz .LBB189_42
; %bb.41:                               ;   in Loop: Header=BB189_3 Depth=1
	s_mov_b32 s48, s53
	s_mov_b32 s50, s53
	;; [unrolled: 1-line block ×3, first 2 shown]
	v_mov_b64_e32 v[14:15], s[48:49]
	v_mov_b64_e32 v[16:17], s[50:51]
	ds_store_b128 v2, v[14:17] offset:1056
	ds_store_b128 v2, v[14:17] offset:1584
	ds_load_b128 v[14:17], v2 offset:1072
	s_wait_dscnt 0x0
	ds_store_b128 v2, v[14:17] offset:1568
.LBB189_42:                             ;   in Loop: Header=BB189_3 Depth=1
	s_or_b32 exec_lo, exec_lo, s42
	v_mov_b64_e32 v[16:17], 0
	v_mov_b64_e32 v[14:15], 0
	s_wait_dscnt 0x0
	s_barrier_signal -1
	s_barrier_wait -1
	s_and_saveexec_b32 s42, s6
	s_cbranch_execz .LBB189_48
; %bb.43:                               ;   in Loop: Header=BB189_3 Depth=1
	ds_load_b128 v[14:17], v50
	ds_load_b128 v[40:43], v55 offset:64
	s_wait_dscnt 0x0
	v_mul_f64_e32 v[4:5], v[16:17], v[42:43]
	v_mul_f64_e32 v[42:43], v[14:15], v[42:43]
	s_delay_alu instid0(VALU_DEP_2) | instskip(NEXT) | instid1(VALU_DEP_2)
	v_fma_f64 v[4:5], v[14:15], v[40:41], -v[4:5]
	v_fmac_f64_e32 v[42:43], v[16:17], v[40:41]
	s_delay_alu instid0(VALU_DEP_2) | instskip(NEXT) | instid1(VALU_DEP_2)
	v_add_f64_e32 v[14:15], 0, v[4:5]
	v_add_f64_e32 v[16:17], 0, v[42:43]
	s_and_saveexec_b32 s23, s7
	s_cbranch_execnz .LBB189_517
; %bb.44:                               ;   in Loop: Header=BB189_3 Depth=1
	s_or_b32 exec_lo, exec_lo, s23
	s_and_saveexec_b32 s23, s8
	s_cbranch_execnz .LBB189_518
.LBB189_45:                             ;   in Loop: Header=BB189_3 Depth=1
	s_or_b32 exec_lo, exec_lo, s23
	s_and_saveexec_b32 s23, s3
	s_cbranch_execz .LBB189_47
.LBB189_46:                             ;   in Loop: Header=BB189_3 Depth=1
	ds_load_b128 v[40:43], v2 offset:48
	ds_load_b128 v[206:209], v53 offset:1600
	s_wait_dscnt 0x0
	v_mul_f64_e32 v[4:5], v[42:43], v[208:209]
	s_delay_alu instid0(VALU_DEP_1) | instskip(SKIP_1) | instid1(VALU_DEP_2)
	v_fma_f64 v[4:5], v[40:41], v[206:207], -v[4:5]
	v_mul_f64_e32 v[40:41], v[40:41], v[208:209]
	v_add_f64_e32 v[14:15], v[14:15], v[4:5]
	s_delay_alu instid0(VALU_DEP_2) | instskip(NEXT) | instid1(VALU_DEP_1)
	v_fmac_f64_e32 v[40:41], v[42:43], v[206:207]
	v_add_f64_e32 v[16:17], v[16:17], v[40:41]
.LBB189_47:                             ;   in Loop: Header=BB189_3 Depth=1
	s_or_b32 exec_lo, exec_lo, s23
	s_delay_alu instid0(VALU_DEP_2) | instskip(NEXT) | instid1(VALU_DEP_2)
	v_xor_b32_e32 v15, 0x80000000, v15
	v_xor_b32_e32 v17, 0x80000000, v17
.LBB189_48:                             ;   in Loop: Header=BB189_3 Depth=1
	s_or_b32 exec_lo, exec_lo, s42
	s_and_saveexec_b32 s23, s70
; %bb.49:                               ;   in Loop: Header=BB189_3 Depth=1
	ds_store_b128 v54, v[14:17]
; %bb.50:                               ;   in Loop: Header=BB189_3 Depth=1
	s_or_b32 exec_lo, exec_lo, s23
	s_wait_dscnt 0x0
	s_barrier_signal -1
	s_barrier_wait -1
	s_and_saveexec_b32 s23, s71
	s_cbranch_execz .LBB189_52
; %bb.51:                               ;   in Loop: Header=BB189_3 Depth=1
	ds_load_b128 v[40:43], v54
	ds_load_b128 v[206:209], v52 offset:2112
	s_wait_dscnt 0x0
	v_mul_f64_e32 v[4:5], v[42:43], v[208:209]
	s_delay_alu instid0(VALU_DEP_1) | instskip(SKIP_1) | instid1(VALU_DEP_2)
	v_fma_f64 v[4:5], v[40:41], v[206:207], -v[4:5]
	v_mul_f64_e32 v[40:41], v[40:41], v[208:209]
	v_add_f64_e32 v[14:15], v[14:15], v[4:5]
	s_delay_alu instid0(VALU_DEP_2) | instskip(NEXT) | instid1(VALU_DEP_1)
	v_fmac_f64_e32 v[40:41], v[42:43], v[206:207]
	v_add_f64_e32 v[16:17], v[16:17], v[40:41]
.LBB189_52:                             ;   in Loop: Header=BB189_3 Depth=1
	s_or_b32 exec_lo, exec_lo, s23
	s_barrier_signal -1
	s_barrier_wait -1
	s_and_saveexec_b32 s23, s72
; %bb.53:                               ;   in Loop: Header=BB189_3 Depth=1
	ds_store_b128 v54, v[14:17]
; %bb.54:                               ;   in Loop: Header=BB189_3 Depth=1
	s_or_b32 exec_lo, exec_lo, s23
	s_wait_dscnt 0x0
	s_barrier_signal -1
	s_barrier_wait -1
	s_and_saveexec_b32 s23, s73
	s_cbranch_execz .LBB189_56
; %bb.55:                               ;   in Loop: Header=BB189_3 Depth=1
	ds_load_b128 v[40:43], v54
	ds_load_b128 v[206:209], v52 offset:2624
	s_wait_dscnt 0x0
	v_mul_f64_e32 v[4:5], v[42:43], v[208:209]
	s_delay_alu instid0(VALU_DEP_1) | instskip(SKIP_1) | instid1(VALU_DEP_2)
	v_fma_f64 v[4:5], v[40:41], v[206:207], -v[4:5]
	v_mul_f64_e32 v[40:41], v[40:41], v[208:209]
	v_add_f64_e32 v[14:15], v[14:15], v[4:5]
	s_delay_alu instid0(VALU_DEP_2) | instskip(NEXT) | instid1(VALU_DEP_1)
	v_fmac_f64_e32 v[40:41], v[42:43], v[206:207]
	v_add_f64_e32 v[16:17], v[16:17], v[40:41]
.LBB189_56:                             ;   in Loop: Header=BB189_3 Depth=1
	s_or_b32 exec_lo, exec_lo, s23
	s_barrier_signal -1
	s_barrier_wait -1
	;; [unrolled: 26-line block ×3, first 2 shown]
	s_and_saveexec_b32 s23, s75
; %bb.61:                               ;   in Loop: Header=BB189_3 Depth=1
	ds_store_b128 v54, v[14:17]
; %bb.62:                               ;   in Loop: Header=BB189_3 Depth=1
	s_or_b32 exec_lo, exec_lo, s23
	s_wait_dscnt 0x0
	s_barrier_signal -1
	s_barrier_wait -1
	s_barrier_signal -1
	s_barrier_wait -1
	s_and_saveexec_b32 s23, s6
; %bb.63:                               ;   in Loop: Header=BB189_3 Depth=1
	v_xor_b32_e32 v17, 0x80000000, v17
	v_xor_b32_e32 v15, 0x80000000, v15
	ds_store_b128 v55, v[14:17] offset:64
; %bb.64:                               ;   in Loop: Header=BB189_3 Depth=1
	s_or_b32 exec_lo, exec_lo, s23
	s_wait_dscnt 0x0
	s_barrier_signal -1
	s_barrier_wait -1
	s_barrier_signal -1
	s_barrier_wait -1
	s_and_saveexec_b32 s23, s76
	s_cbranch_execz .LBB189_66
; %bb.65:                               ;   in Loop: Header=BB189_3 Depth=1
	ds_load_b128 v[14:17], v58
	s_wait_dscnt 0x0
	ds_store_b128 v154, v[14:17]
	ds_load_b128 v[14:17], v85
	s_wait_dscnt 0x0
	ds_store_b128 v157, v[14:17]
	ds_load_b128 v[14:17], v84
	s_wait_dscnt 0x0
	ds_store_b128 v156, v[14:17]
	ds_load_b128 v[14:17], v60
	s_wait_dscnt 0x0
	ds_store_b128 v155, v[14:17]
.LBB189_66:                             ;   in Loop: Header=BB189_3 Depth=1
	s_or_b32 exec_lo, exec_lo, s23
	s_wait_dscnt 0x0
	s_barrier_signal -1
	s_barrier_wait -1
	s_and_saveexec_b32 s42, s29
	s_cbranch_execz .LBB189_68
; %bb.67:                               ;   in Loop: Header=BB189_3 Depth=1
	s_mov_b32 s48, s53
	s_mov_b32 s50, s53
	;; [unrolled: 1-line block ×3, first 2 shown]
	v_mov_b64_e32 v[14:15], s[48:49]
	v_mov_b64_e32 v[16:17], s[50:51]
	ds_store_b128 v2, v[14:17] offset:2112
	ds_store_b128 v2, v[14:17] offset:2640
	ds_load_b128 v[14:17], v2 offset:2128
	s_wait_dscnt 0x0
	ds_store_b128 v2, v[14:17] offset:2624
.LBB189_68:                             ;   in Loop: Header=BB189_3 Depth=1
	s_or_b32 exec_lo, exec_lo, s42
	v_mov_b64_e32 v[16:17], 0
	v_mov_b64_e32 v[14:15], 0
	s_wait_dscnt 0x0
	s_barrier_signal -1
	s_barrier_wait -1
	s_and_saveexec_b32 s42, s3
	s_cbranch_execz .LBB189_72
; %bb.69:                               ;   in Loop: Header=BB189_3 Depth=1
	ds_load_b128 v[14:17], v47 offset:2112
	ds_load_b128 v[40:43], v46 offset:2144
	s_wait_dscnt 0x0
	v_mul_f64_e32 v[4:5], v[16:17], v[42:43]
	v_mul_f64_e32 v[42:43], v[14:15], v[42:43]
	s_delay_alu instid0(VALU_DEP_2) | instskip(NEXT) | instid1(VALU_DEP_2)
	v_fma_f64 v[4:5], v[14:15], v[40:41], -v[4:5]
	v_fmac_f64_e32 v[42:43], v[16:17], v[40:41]
	s_delay_alu instid0(VALU_DEP_2) | instskip(NEXT) | instid1(VALU_DEP_2)
	v_add_f64_e32 v[14:15], 0, v[4:5]
	v_add_f64_e32 v[16:17], 0, v[42:43]
	s_and_saveexec_b32 s23, s4
	s_cbranch_execz .LBB189_71
; %bb.70:                               ;   in Loop: Header=BB189_3 Depth=1
	ds_load_b128 v[40:43], v2 offset:2128
	ds_load_b128 v[206:209], v86 offset:2656
	s_wait_dscnt 0x0
	v_mul_f64_e32 v[4:5], v[42:43], v[208:209]
	s_delay_alu instid0(VALU_DEP_1) | instskip(SKIP_1) | instid1(VALU_DEP_2)
	v_fma_f64 v[4:5], v[40:41], v[206:207], -v[4:5]
	v_mul_f64_e32 v[40:41], v[40:41], v[208:209]
	v_add_f64_e32 v[14:15], v[14:15], v[4:5]
	s_delay_alu instid0(VALU_DEP_2) | instskip(NEXT) | instid1(VALU_DEP_1)
	v_fmac_f64_e32 v[40:41], v[42:43], v[206:207]
	v_add_f64_e32 v[16:17], v[16:17], v[40:41]
.LBB189_71:                             ;   in Loop: Header=BB189_3 Depth=1
	s_or_b32 exec_lo, exec_lo, s23
	s_delay_alu instid0(VALU_DEP_2) | instskip(NEXT) | instid1(VALU_DEP_2)
	v_xor_b32_e32 v15, 0x80000000, v15
	v_xor_b32_e32 v17, 0x80000000, v17
.LBB189_72:                             ;   in Loop: Header=BB189_3 Depth=1
	s_or_b32 exec_lo, exec_lo, s42
	s_and_saveexec_b32 s23, s67
; %bb.73:                               ;   in Loop: Header=BB189_3 Depth=1
	ds_store_b128 v23, v[14:17]
; %bb.74:                               ;   in Loop: Header=BB189_3 Depth=1
	s_or_b32 exec_lo, exec_lo, s23
	s_wait_dscnt 0x0
	s_barrier_signal -1
	s_barrier_wait -1
	s_and_saveexec_b32 s23, s68
	s_cbranch_execz .LBB189_76
; %bb.75:                               ;   in Loop: Header=BB189_3 Depth=1
	ds_load_b128 v[40:43], v23
	ds_load_b128 v[206:209], v2 offset:3184
	s_wait_dscnt 0x0
	v_mul_f64_e32 v[4:5], v[42:43], v[208:209]
	s_delay_alu instid0(VALU_DEP_1) | instskip(SKIP_1) | instid1(VALU_DEP_2)
	v_fma_f64 v[4:5], v[40:41], v[206:207], -v[4:5]
	v_mul_f64_e32 v[40:41], v[40:41], v[208:209]
	v_add_f64_e32 v[14:15], v[14:15], v[4:5]
	s_delay_alu instid0(VALU_DEP_2) | instskip(NEXT) | instid1(VALU_DEP_1)
	v_fmac_f64_e32 v[40:41], v[42:43], v[206:207]
	v_add_f64_e32 v[16:17], v[16:17], v[40:41]
.LBB189_76:                             ;   in Loop: Header=BB189_3 Depth=1
	s_or_b32 exec_lo, exec_lo, s23
	s_barrier_signal -1
	s_barrier_wait -1
	s_and_saveexec_b32 s23, s68
; %bb.77:                               ;   in Loop: Header=BB189_3 Depth=1
	ds_store_b128 v23, v[14:17]
; %bb.78:                               ;   in Loop: Header=BB189_3 Depth=1
	s_or_b32 exec_lo, exec_lo, s23
	s_wait_dscnt 0x0
	s_barrier_signal -1
	s_barrier_wait -1
	s_barrier_signal -1
	s_barrier_wait -1
	s_and_saveexec_b32 s23, s3
; %bb.79:                               ;   in Loop: Header=BB189_3 Depth=1
	v_xor_b32_e32 v15, 0x80000000, v15
	v_xor_b32_e32 v17, 0x80000000, v17
	ds_store_b128 v46, v[14:17] offset:2144
; %bb.80:                               ;   in Loop: Header=BB189_3 Depth=1
	s_or_b32 exec_lo, exec_lo, s23
	s_wait_dscnt 0x0
	s_barrier_signal -1
	s_barrier_wait -1
	s_barrier_signal -1
	s_barrier_wait -1
	s_and_saveexec_b32 s23, s69
	s_cbranch_execz .LBB189_82
; %bb.81:                               ;   in Loop: Header=BB189_3 Depth=1
	ds_load_b128 v[14:17], v95
	s_wait_dscnt 0x0
	ds_store_b128 v158, v[14:17]
	ds_load_b128 v[14:17], v96
	s_wait_dscnt 0x0
	ds_store_b128 v159, v[14:17]
.LBB189_82:                             ;   in Loop: Header=BB189_3 Depth=1
	s_or_b32 exec_lo, exec_lo, s23
	s_wait_dscnt 0x0
	s_barrier_signal -1
	s_barrier_wait -1
	s_and_saveexec_b32 s42, s29
	s_cbranch_execz .LBB189_84
; %bb.83:                               ;   in Loop: Header=BB189_3 Depth=1
	s_mov_b32 s48, s53
	s_mov_b32 s50, s53
	;; [unrolled: 1-line block ×3, first 2 shown]
	v_mov_b64_e32 v[14:15], s[48:49]
	v_mov_b64_e32 v[16:17], s[50:51]
	ds_store_b128 v2, v[14:17] offset:3168
	ds_store_b128 v2, v[14:17] offset:3696
	ds_load_b128 v[14:17], v2 offset:3184
	s_wait_dscnt 0x0
	ds_store_b128 v2, v[14:17] offset:3680
.LBB189_84:                             ;   in Loop: Header=BB189_3 Depth=1
	s_or_b32 exec_lo, exec_lo, s42
	v_mov_b64_e32 v[16:17], 0
	v_mov_b64_e32 v[14:15], 0
	s_wait_dscnt 0x0
	s_barrier_signal -1
	s_barrier_wait -1
	s_and_saveexec_b32 s42, s9
	s_cbranch_execz .LBB189_94
; %bb.85:                               ;   in Loop: Header=BB189_3 Depth=1
	ds_load_b128 v[14:17], v57
	ds_load_b128 v[40:43], v62 offset:128
	v_readlane_b32 s20, v205, 0
	s_wait_dscnt 0x0
	v_mul_f64_e32 v[4:5], v[16:17], v[42:43]
	v_mul_f64_e32 v[42:43], v[14:15], v[42:43]
	s_delay_alu instid0(VALU_DEP_2) | instskip(NEXT) | instid1(VALU_DEP_2)
	v_fma_f64 v[4:5], v[14:15], v[40:41], -v[4:5]
	v_fmac_f64_e32 v[42:43], v[16:17], v[40:41]
	s_delay_alu instid0(VALU_DEP_2) | instskip(NEXT) | instid1(VALU_DEP_2)
	v_add_f64_e32 v[14:15], 0, v[4:5]
	v_add_f64_e32 v[16:17], 0, v[42:43]
	s_and_saveexec_b32 s23, s20
	s_cbranch_execnz .LBB189_519
; %bb.86:                               ;   in Loop: Header=BB189_3 Depth=1
	s_or_b32 exec_lo, exec_lo, s23
	s_and_saveexec_b32 s23, s11
	s_cbranch_execnz .LBB189_520
.LBB189_87:                             ;   in Loop: Header=BB189_3 Depth=1
	s_or_b32 exec_lo, exec_lo, s23
	s_and_saveexec_b32 s23, s15
	s_cbranch_execnz .LBB189_521
.LBB189_88:                             ;   in Loop: Header=BB189_3 Depth=1
	s_or_b32 exec_lo, exec_lo, s23
	s_and_saveexec_b32 s23, s16
	s_cbranch_execnz .LBB189_522
.LBB189_89:                             ;   in Loop: Header=BB189_3 Depth=1
	s_or_b32 exec_lo, exec_lo, s23
	s_and_saveexec_b32 s23, s17
	s_cbranch_execnz .LBB189_523
.LBB189_90:                             ;   in Loop: Header=BB189_3 Depth=1
	s_or_b32 exec_lo, exec_lo, s23
	s_and_saveexec_b32 s23, s6
	s_cbranch_execnz .LBB189_524
.LBB189_91:                             ;   in Loop: Header=BB189_3 Depth=1
	s_or_b32 exec_lo, exec_lo, s23
	s_and_saveexec_b32 s23, s8
	s_cbranch_execz .LBB189_93
.LBB189_92:                             ;   in Loop: Header=BB189_3 Depth=1
	ds_load_b128 v[40:43], v2 offset:112
	ds_load_b128 v[206:209], v48 offset:3712
	s_wait_dscnt 0x0
	v_mul_f64_e32 v[4:5], v[42:43], v[208:209]
	s_delay_alu instid0(VALU_DEP_1) | instskip(SKIP_1) | instid1(VALU_DEP_2)
	v_fma_f64 v[4:5], v[40:41], v[206:207], -v[4:5]
	v_mul_f64_e32 v[40:41], v[40:41], v[208:209]
	v_add_f64_e32 v[14:15], v[14:15], v[4:5]
	s_delay_alu instid0(VALU_DEP_2) | instskip(NEXT) | instid1(VALU_DEP_1)
	v_fmac_f64_e32 v[40:41], v[42:43], v[206:207]
	v_add_f64_e32 v[16:17], v[16:17], v[40:41]
.LBB189_93:                             ;   in Loop: Header=BB189_3 Depth=1
	s_or_b32 exec_lo, exec_lo, s23
	s_delay_alu instid0(VALU_DEP_2) | instskip(NEXT) | instid1(VALU_DEP_2)
	v_xor_b32_e32 v15, 0x80000000, v15
	v_xor_b32_e32 v17, 0x80000000, v17
.LBB189_94:                             ;   in Loop: Header=BB189_3 Depth=1
	s_or_b32 exec_lo, exec_lo, s42
	s_and_saveexec_b32 s23, s77
; %bb.95:                               ;   in Loop: Header=BB189_3 Depth=1
	ds_store_b128 v61, v[14:17]
; %bb.96:                               ;   in Loop: Header=BB189_3 Depth=1
	s_or_b32 exec_lo, exec_lo, s23
	s_wait_dscnt 0x0
	s_barrier_signal -1
	s_barrier_wait -1
	s_and_saveexec_b32 s23, s78
	s_cbranch_execz .LBB189_98
; %bb.97:                               ;   in Loop: Header=BB189_3 Depth=1
	ds_load_b128 v[40:43], v61
	ds_load_b128 v[206:209], v59 offset:4224
	s_wait_dscnt 0x0
	v_mul_f64_e32 v[4:5], v[42:43], v[208:209]
	s_delay_alu instid0(VALU_DEP_1) | instskip(SKIP_1) | instid1(VALU_DEP_2)
	v_fma_f64 v[4:5], v[40:41], v[206:207], -v[4:5]
	v_mul_f64_e32 v[40:41], v[40:41], v[208:209]
	v_add_f64_e32 v[14:15], v[14:15], v[4:5]
	s_delay_alu instid0(VALU_DEP_2) | instskip(NEXT) | instid1(VALU_DEP_1)
	v_fmac_f64_e32 v[40:41], v[42:43], v[206:207]
	v_add_f64_e32 v[16:17], v[16:17], v[40:41]
.LBB189_98:                             ;   in Loop: Header=BB189_3 Depth=1
	s_or_b32 exec_lo, exec_lo, s23
	s_barrier_signal -1
	s_barrier_wait -1
	s_and_saveexec_b32 s23, s79
; %bb.99:                               ;   in Loop: Header=BB189_3 Depth=1
	ds_store_b128 v61, v[14:17]
; %bb.100:                              ;   in Loop: Header=BB189_3 Depth=1
	s_or_b32 exec_lo, exec_lo, s23
	s_wait_dscnt 0x0
	s_barrier_signal -1
	s_barrier_wait -1
	s_and_saveexec_b32 s23, s80
	s_cbranch_execz .LBB189_102
; %bb.101:                              ;   in Loop: Header=BB189_3 Depth=1
	ds_load_b128 v[40:43], v61
	ds_load_b128 v[206:209], v59 offset:4736
	s_wait_dscnt 0x0
	v_mul_f64_e32 v[4:5], v[42:43], v[208:209]
	s_delay_alu instid0(VALU_DEP_1) | instskip(SKIP_1) | instid1(VALU_DEP_2)
	v_fma_f64 v[4:5], v[40:41], v[206:207], -v[4:5]
	v_mul_f64_e32 v[40:41], v[40:41], v[208:209]
	v_add_f64_e32 v[14:15], v[14:15], v[4:5]
	s_delay_alu instid0(VALU_DEP_2) | instskip(NEXT) | instid1(VALU_DEP_1)
	v_fmac_f64_e32 v[40:41], v[42:43], v[206:207]
	v_add_f64_e32 v[16:17], v[16:17], v[40:41]
.LBB189_102:                            ;   in Loop: Header=BB189_3 Depth=1
	s_or_b32 exec_lo, exec_lo, s23
	s_barrier_signal -1
	s_barrier_wait -1
	s_and_saveexec_b32 s23, s81
; %bb.103:                              ;   in Loop: Header=BB189_3 Depth=1
	ds_store_b128 v61, v[14:17]
; %bb.104:                              ;   in Loop: Header=BB189_3 Depth=1
	s_or_b32 exec_lo, exec_lo, s23
	s_wait_dscnt 0x0
	s_barrier_signal -1
	s_barrier_wait -1
	s_and_saveexec_b32 s23, s82
	s_cbranch_execz .LBB189_106
; %bb.105:                              ;   in Loop: Header=BB189_3 Depth=1
	ds_load_b128 v[40:43], v61
	ds_load_b128 v[206:209], v59 offset:5248
	s_wait_dscnt 0x0
	v_mul_f64_e32 v[4:5], v[42:43], v[208:209]
	s_delay_alu instid0(VALU_DEP_1) | instskip(SKIP_1) | instid1(VALU_DEP_2)
	v_fma_f64 v[4:5], v[40:41], v[206:207], -v[4:5]
	v_mul_f64_e32 v[40:41], v[40:41], v[208:209]
	v_add_f64_e32 v[14:15], v[14:15], v[4:5]
	s_delay_alu instid0(VALU_DEP_2) | instskip(NEXT) | instid1(VALU_DEP_1)
	v_fmac_f64_e32 v[40:41], v[42:43], v[206:207]
	v_add_f64_e32 v[16:17], v[16:17], v[40:41]
.LBB189_106:                            ;   in Loop: Header=BB189_3 Depth=1
	s_or_b32 exec_lo, exec_lo, s23
	s_barrier_signal -1
	s_barrier_wait -1
	s_and_saveexec_b32 s23, s83
; %bb.107:                              ;   in Loop: Header=BB189_3 Depth=1
	;; [unrolled: 26-line block ×6, first 2 shown]
	ds_store_b128 v61, v[14:17]
; %bb.124:                              ;   in Loop: Header=BB189_3 Depth=1
	s_or_b32 exec_lo, exec_lo, s23
	s_wait_dscnt 0x0
	s_barrier_signal -1
	s_barrier_wait -1
	s_barrier_signal -1
	s_barrier_wait -1
	s_and_saveexec_b32 s23, s9
; %bb.125:                              ;   in Loop: Header=BB189_3 Depth=1
	v_xor_b32_e32 v15, 0x80000000, v15
	v_xor_b32_e32 v17, 0x80000000, v17
	ds_store_b128 v62, v[14:17] offset:128
; %bb.126:                              ;   in Loop: Header=BB189_3 Depth=1
	s_or_b32 exec_lo, exec_lo, s23
	s_wait_dscnt 0x0
	s_barrier_signal -1
	s_barrier_wait -1
	s_barrier_signal -1
	s_barrier_wait -1
	s_and_saveexec_b32 s23, s91
	s_cbranch_execz .LBB189_128
; %bb.127:                              ;   in Loop: Header=BB189_3 Depth=1
	ds_load_b128 v[14:17], v64
	s_wait_dscnt 0x0
	ds_store_b128 v160, v[14:17]
	ds_load_b128 v[14:17], v65
	s_wait_dscnt 0x0
	ds_store_b128 v161, v[14:17]
	ds_load_b128 v[14:17], v66
	s_wait_dscnt 0x0
	ds_store_b128 v162, v[14:17]
	ds_load_b128 v[14:17], v67
	s_wait_dscnt 0x0
	ds_store_b128 v163, v[14:17]
	ds_load_b128 v[14:17], v68
	s_wait_dscnt 0x0
	ds_store_b128 v164, v[14:17]
	ds_load_b128 v[14:17], v69
	s_wait_dscnt 0x0
	ds_store_b128 v165, v[14:17]
	ds_load_b128 v[14:17], v70
	s_wait_dscnt 0x0
	ds_store_b128 v166, v[14:17]
	ds_load_b128 v[14:17], v71
	s_wait_dscnt 0x0
	ds_store_b128 v167, v[14:17]
.LBB189_128:                            ;   in Loop: Header=BB189_3 Depth=1
	s_or_b32 exec_lo, exec_lo, s23
	s_wait_dscnt 0x0
	s_barrier_signal -1
	s_barrier_wait -1
	s_and_saveexec_b32 s42, s29
	s_cbranch_execz .LBB189_130
; %bb.129:                              ;   in Loop: Header=BB189_3 Depth=1
	s_mov_b32 s48, s53
	s_mov_b32 s50, s53
	;; [unrolled: 1-line block ×3, first 2 shown]
	v_mov_b64_e32 v[14:15], s[48:49]
	v_mov_b64_e32 v[16:17], s[50:51]
	ds_store_b128 v2, v[14:17] offset:4224
	ds_store_b128 v2, v[14:17] offset:4752
	ds_load_b128 v[14:17], v2 offset:4240
	s_wait_dscnt 0x0
	ds_store_b128 v2, v[14:17] offset:4736
.LBB189_130:                            ;   in Loop: Header=BB189_3 Depth=1
	s_or_b32 exec_lo, exec_lo, s42
	v_mov_b64_e32 v[16:17], 0
	v_mov_b64_e32 v[14:15], 0
	s_wait_dscnt 0x0
	s_barrier_signal -1
	s_barrier_wait -1
	s_and_saveexec_b32 s42, s3
	s_cbranch_execz .LBB189_134
; %bb.131:                              ;   in Loop: Header=BB189_3 Depth=1
	ds_load_b128 v[14:17], v47 offset:4224
	ds_load_b128 v[40:43], v46 offset:4256
	s_wait_dscnt 0x0
	v_mul_f64_e32 v[4:5], v[16:17], v[42:43]
	v_mul_f64_e32 v[42:43], v[14:15], v[42:43]
	s_delay_alu instid0(VALU_DEP_2) | instskip(NEXT) | instid1(VALU_DEP_2)
	v_fma_f64 v[4:5], v[14:15], v[40:41], -v[4:5]
	v_fmac_f64_e32 v[42:43], v[16:17], v[40:41]
	s_delay_alu instid0(VALU_DEP_2) | instskip(NEXT) | instid1(VALU_DEP_2)
	v_add_f64_e32 v[14:15], 0, v[4:5]
	v_add_f64_e32 v[16:17], 0, v[42:43]
	s_and_saveexec_b32 s23, s4
	s_cbranch_execz .LBB189_133
; %bb.132:                              ;   in Loop: Header=BB189_3 Depth=1
	ds_load_b128 v[40:43], v2 offset:4240
	ds_load_b128 v[206:209], v53 offset:4768
	s_wait_dscnt 0x0
	v_mul_f64_e32 v[4:5], v[42:43], v[208:209]
	s_delay_alu instid0(VALU_DEP_1) | instskip(SKIP_1) | instid1(VALU_DEP_2)
	v_fma_f64 v[4:5], v[40:41], v[206:207], -v[4:5]
	v_mul_f64_e32 v[40:41], v[40:41], v[208:209]
	v_add_f64_e32 v[14:15], v[14:15], v[4:5]
	s_delay_alu instid0(VALU_DEP_2) | instskip(NEXT) | instid1(VALU_DEP_1)
	v_fmac_f64_e32 v[40:41], v[42:43], v[206:207]
	v_add_f64_e32 v[16:17], v[16:17], v[40:41]
.LBB189_133:                            ;   in Loop: Header=BB189_3 Depth=1
	s_or_b32 exec_lo, exec_lo, s23
	s_delay_alu instid0(VALU_DEP_2) | instskip(NEXT) | instid1(VALU_DEP_2)
	v_xor_b32_e32 v15, 0x80000000, v15
	v_xor_b32_e32 v17, 0x80000000, v17
.LBB189_134:                            ;   in Loop: Header=BB189_3 Depth=1
	s_or_b32 exec_lo, exec_lo, s42
	s_and_saveexec_b32 s23, s67
; %bb.135:                              ;   in Loop: Header=BB189_3 Depth=1
	ds_store_b128 v23, v[14:17]
; %bb.136:                              ;   in Loop: Header=BB189_3 Depth=1
	s_or_b32 exec_lo, exec_lo, s23
	s_wait_dscnt 0x0
	s_barrier_signal -1
	s_barrier_wait -1
	s_and_saveexec_b32 s23, s68
	s_cbranch_execz .LBB189_138
; %bb.137:                              ;   in Loop: Header=BB189_3 Depth=1
	ds_load_b128 v[40:43], v23
	ds_load_b128 v[206:209], v2 offset:5296
	s_wait_dscnt 0x0
	v_mul_f64_e32 v[4:5], v[42:43], v[208:209]
	s_delay_alu instid0(VALU_DEP_1) | instskip(SKIP_1) | instid1(VALU_DEP_2)
	v_fma_f64 v[4:5], v[40:41], v[206:207], -v[4:5]
	v_mul_f64_e32 v[40:41], v[40:41], v[208:209]
	v_add_f64_e32 v[14:15], v[14:15], v[4:5]
	s_delay_alu instid0(VALU_DEP_2) | instskip(NEXT) | instid1(VALU_DEP_1)
	v_fmac_f64_e32 v[40:41], v[42:43], v[206:207]
	v_add_f64_e32 v[16:17], v[16:17], v[40:41]
.LBB189_138:                            ;   in Loop: Header=BB189_3 Depth=1
	s_or_b32 exec_lo, exec_lo, s23
	s_barrier_signal -1
	s_barrier_wait -1
	s_and_saveexec_b32 s23, s68
; %bb.139:                              ;   in Loop: Header=BB189_3 Depth=1
	ds_store_b128 v23, v[14:17]
; %bb.140:                              ;   in Loop: Header=BB189_3 Depth=1
	s_or_b32 exec_lo, exec_lo, s23
	s_wait_dscnt 0x0
	s_barrier_signal -1
	s_barrier_wait -1
	s_barrier_signal -1
	s_barrier_wait -1
	s_and_saveexec_b32 s23, s3
; %bb.141:                              ;   in Loop: Header=BB189_3 Depth=1
	v_xor_b32_e32 v15, 0x80000000, v15
	v_xor_b32_e32 v17, 0x80000000, v17
	ds_store_b128 v46, v[14:17] offset:4256
; %bb.142:                              ;   in Loop: Header=BB189_3 Depth=1
	s_or_b32 exec_lo, exec_lo, s23
	s_wait_dscnt 0x0
	s_barrier_signal -1
	s_barrier_wait -1
	s_barrier_signal -1
	s_barrier_wait -1
	s_and_saveexec_b32 s23, s69
	s_cbranch_execz .LBB189_144
; %bb.143:                              ;   in Loop: Header=BB189_3 Depth=1
	ds_load_b128 v[14:17], v87
	s_wait_dscnt 0x0
	ds_store_b128 v168, v[14:17]
	ds_load_b128 v[14:17], v88
	s_wait_dscnt 0x0
	ds_store_b128 v169, v[14:17]
.LBB189_144:                            ;   in Loop: Header=BB189_3 Depth=1
	s_or_b32 exec_lo, exec_lo, s23
	s_wait_dscnt 0x0
	s_barrier_signal -1
	s_barrier_wait -1
	s_and_saveexec_b32 s42, s29
	s_cbranch_execz .LBB189_146
; %bb.145:                              ;   in Loop: Header=BB189_3 Depth=1
	s_mov_b32 s48, s53
	s_mov_b32 s50, s53
	;; [unrolled: 1-line block ×3, first 2 shown]
	v_mov_b64_e32 v[14:15], s[48:49]
	v_mov_b64_e32 v[16:17], s[50:51]
	ds_store_b128 v2, v[14:17] offset:5280
	ds_store_b128 v2, v[14:17] offset:5808
	ds_load_b128 v[14:17], v2 offset:5296
	s_wait_dscnt 0x0
	ds_store_b128 v2, v[14:17] offset:5792
.LBB189_146:                            ;   in Loop: Header=BB189_3 Depth=1
	s_or_b32 exec_lo, exec_lo, s42
	v_mov_b64_e32 v[16:17], 0
	v_mov_b64_e32 v[14:15], 0
	s_wait_dscnt 0x0
	s_barrier_signal -1
	s_barrier_wait -1
	s_and_saveexec_b32 s42, s6
	s_cbranch_execz .LBB189_152
; %bb.147:                              ;   in Loop: Header=BB189_3 Depth=1
	ds_load_b128 v[14:17], v50 offset:4224
	ds_load_b128 v[40:43], v55 offset:4288
	s_wait_dscnt 0x0
	v_mul_f64_e32 v[4:5], v[16:17], v[42:43]
	v_mul_f64_e32 v[42:43], v[14:15], v[42:43]
	s_delay_alu instid0(VALU_DEP_2) | instskip(NEXT) | instid1(VALU_DEP_2)
	v_fma_f64 v[4:5], v[14:15], v[40:41], -v[4:5]
	v_fmac_f64_e32 v[42:43], v[16:17], v[40:41]
	s_delay_alu instid0(VALU_DEP_2) | instskip(NEXT) | instid1(VALU_DEP_2)
	v_add_f64_e32 v[14:15], 0, v[4:5]
	v_add_f64_e32 v[16:17], 0, v[42:43]
	s_and_saveexec_b32 s23, s7
	s_cbranch_execnz .LBB189_525
; %bb.148:                              ;   in Loop: Header=BB189_3 Depth=1
	s_or_b32 exec_lo, exec_lo, s23
	s_and_saveexec_b32 s23, s8
	s_cbranch_execnz .LBB189_526
.LBB189_149:                            ;   in Loop: Header=BB189_3 Depth=1
	s_or_b32 exec_lo, exec_lo, s23
	s_and_saveexec_b32 s23, s3
	s_cbranch_execz .LBB189_151
.LBB189_150:                            ;   in Loop: Header=BB189_3 Depth=1
	ds_load_b128 v[40:43], v2 offset:4272
	ds_load_b128 v[206:209], v86 offset:5824
	s_wait_dscnt 0x0
	v_mul_f64_e32 v[4:5], v[42:43], v[208:209]
	s_delay_alu instid0(VALU_DEP_1) | instskip(SKIP_1) | instid1(VALU_DEP_2)
	v_fma_f64 v[4:5], v[40:41], v[206:207], -v[4:5]
	v_mul_f64_e32 v[40:41], v[40:41], v[208:209]
	v_add_f64_e32 v[14:15], v[14:15], v[4:5]
	s_delay_alu instid0(VALU_DEP_2) | instskip(NEXT) | instid1(VALU_DEP_1)
	v_fmac_f64_e32 v[40:41], v[42:43], v[206:207]
	v_add_f64_e32 v[16:17], v[16:17], v[40:41]
.LBB189_151:                            ;   in Loop: Header=BB189_3 Depth=1
	s_or_b32 exec_lo, exec_lo, s23
	s_delay_alu instid0(VALU_DEP_2) | instskip(NEXT) | instid1(VALU_DEP_2)
	v_xor_b32_e32 v15, 0x80000000, v15
	v_xor_b32_e32 v17, 0x80000000, v17
.LBB189_152:                            ;   in Loop: Header=BB189_3 Depth=1
	s_or_b32 exec_lo, exec_lo, s42
	s_and_saveexec_b32 s23, s70
; %bb.153:                              ;   in Loop: Header=BB189_3 Depth=1
	ds_store_b128 v54, v[14:17]
; %bb.154:                              ;   in Loop: Header=BB189_3 Depth=1
	s_or_b32 exec_lo, exec_lo, s23
	s_wait_dscnt 0x0
	s_barrier_signal -1
	s_barrier_wait -1
	s_and_saveexec_b32 s23, s71
	s_cbranch_execz .LBB189_156
; %bb.155:                              ;   in Loop: Header=BB189_3 Depth=1
	ds_load_b128 v[40:43], v54
	ds_load_b128 v[206:209], v52 offset:6336
	s_wait_dscnt 0x0
	v_mul_f64_e32 v[4:5], v[42:43], v[208:209]
	s_delay_alu instid0(VALU_DEP_1) | instskip(SKIP_1) | instid1(VALU_DEP_2)
	v_fma_f64 v[4:5], v[40:41], v[206:207], -v[4:5]
	v_mul_f64_e32 v[40:41], v[40:41], v[208:209]
	v_add_f64_e32 v[14:15], v[14:15], v[4:5]
	s_delay_alu instid0(VALU_DEP_2) | instskip(NEXT) | instid1(VALU_DEP_1)
	v_fmac_f64_e32 v[40:41], v[42:43], v[206:207]
	v_add_f64_e32 v[16:17], v[16:17], v[40:41]
.LBB189_156:                            ;   in Loop: Header=BB189_3 Depth=1
	s_or_b32 exec_lo, exec_lo, s23
	s_barrier_signal -1
	s_barrier_wait -1
	s_and_saveexec_b32 s23, s72
; %bb.157:                              ;   in Loop: Header=BB189_3 Depth=1
	ds_store_b128 v54, v[14:17]
; %bb.158:                              ;   in Loop: Header=BB189_3 Depth=1
	s_or_b32 exec_lo, exec_lo, s23
	s_wait_dscnt 0x0
	s_barrier_signal -1
	s_barrier_wait -1
	s_and_saveexec_b32 s23, s73
	s_cbranch_execz .LBB189_160
; %bb.159:                              ;   in Loop: Header=BB189_3 Depth=1
	ds_load_b128 v[40:43], v54
	ds_load_b128 v[206:209], v52 offset:6848
	s_wait_dscnt 0x0
	v_mul_f64_e32 v[4:5], v[42:43], v[208:209]
	s_delay_alu instid0(VALU_DEP_1) | instskip(SKIP_1) | instid1(VALU_DEP_2)
	v_fma_f64 v[4:5], v[40:41], v[206:207], -v[4:5]
	v_mul_f64_e32 v[40:41], v[40:41], v[208:209]
	v_add_f64_e32 v[14:15], v[14:15], v[4:5]
	s_delay_alu instid0(VALU_DEP_2) | instskip(NEXT) | instid1(VALU_DEP_1)
	v_fmac_f64_e32 v[40:41], v[42:43], v[206:207]
	v_add_f64_e32 v[16:17], v[16:17], v[40:41]
.LBB189_160:                            ;   in Loop: Header=BB189_3 Depth=1
	s_or_b32 exec_lo, exec_lo, s23
	s_barrier_signal -1
	s_barrier_wait -1
	s_and_saveexec_b32 s23, s74
; %bb.161:                              ;   in Loop: Header=BB189_3 Depth=1
	ds_store_b128 v54, v[14:17]
; %bb.162:                              ;   in Loop: Header=BB189_3 Depth=1
	s_or_b32 exec_lo, exec_lo, s23
	s_wait_dscnt 0x0
	s_barrier_signal -1
	s_barrier_wait -1
	s_and_saveexec_b32 s23, s75
	s_cbranch_execz .LBB189_164
; %bb.163:                              ;   in Loop: Header=BB189_3 Depth=1
	ds_load_b128 v[40:43], v54
	ds_load_b128 v[206:209], v2 offset:7408
	s_wait_dscnt 0x0
	v_mul_f64_e32 v[4:5], v[42:43], v[208:209]
	s_delay_alu instid0(VALU_DEP_1) | instskip(SKIP_1) | instid1(VALU_DEP_2)
	v_fma_f64 v[4:5], v[40:41], v[206:207], -v[4:5]
	v_mul_f64_e32 v[40:41], v[40:41], v[208:209]
	v_add_f64_e32 v[14:15], v[14:15], v[4:5]
	s_delay_alu instid0(VALU_DEP_2) | instskip(NEXT) | instid1(VALU_DEP_1)
	v_fmac_f64_e32 v[40:41], v[42:43], v[206:207]
	v_add_f64_e32 v[16:17], v[16:17], v[40:41]
.LBB189_164:                            ;   in Loop: Header=BB189_3 Depth=1
	s_or_b32 exec_lo, exec_lo, s23
	s_barrier_signal -1
	s_barrier_wait -1
	s_and_saveexec_b32 s23, s75
; %bb.165:                              ;   in Loop: Header=BB189_3 Depth=1
	ds_store_b128 v54, v[14:17]
; %bb.166:                              ;   in Loop: Header=BB189_3 Depth=1
	s_or_b32 exec_lo, exec_lo, s23
	s_wait_dscnt 0x0
	s_barrier_signal -1
	s_barrier_wait -1
	s_barrier_signal -1
	s_barrier_wait -1
	s_and_saveexec_b32 s23, s6
; %bb.167:                              ;   in Loop: Header=BB189_3 Depth=1
	v_xor_b32_e32 v17, 0x80000000, v17
	v_xor_b32_e32 v15, 0x80000000, v15
	ds_store_b128 v55, v[14:17] offset:4288
; %bb.168:                              ;   in Loop: Header=BB189_3 Depth=1
	s_or_b32 exec_lo, exec_lo, s23
	s_wait_dscnt 0x0
	s_barrier_signal -1
	s_barrier_wait -1
	s_barrier_signal -1
	s_barrier_wait -1
	s_and_saveexec_b32 s23, s76
	s_cbranch_execz .LBB189_170
; %bb.169:                              ;   in Loop: Header=BB189_3 Depth=1
	ds_load_b128 v[14:17], v98
	s_wait_dscnt 0x0
	ds_store_b128 v171, v[14:17]
	ds_load_b128 v[14:17], v101
	s_wait_dscnt 0x0
	ds_store_b128 v174, v[14:17]
	;; [unrolled: 3-line block ×4, first 2 shown]
.LBB189_170:                            ;   in Loop: Header=BB189_3 Depth=1
	s_or_b32 exec_lo, exec_lo, s23
	s_wait_dscnt 0x0
	s_barrier_signal -1
	s_barrier_wait -1
	s_and_saveexec_b32 s42, s29
	s_cbranch_execz .LBB189_172
; %bb.171:                              ;   in Loop: Header=BB189_3 Depth=1
	s_mov_b32 s48, s53
	s_mov_b32 s50, s53
	;; [unrolled: 1-line block ×3, first 2 shown]
	v_mov_b64_e32 v[14:15], s[48:49]
	v_mov_b64_e32 v[16:17], s[50:51]
	ds_store_b128 v2, v[14:17] offset:6336
	ds_store_b128 v2, v[14:17] offset:6864
	ds_load_b128 v[14:17], v2 offset:6352
	s_wait_dscnt 0x0
	ds_store_b128 v2, v[14:17] offset:6848
.LBB189_172:                            ;   in Loop: Header=BB189_3 Depth=1
	s_or_b32 exec_lo, exec_lo, s42
	v_mov_b64_e32 v[16:17], 0
	v_mov_b64_e32 v[14:15], 0
	s_wait_dscnt 0x0
	s_barrier_signal -1
	s_barrier_wait -1
	s_and_saveexec_b32 s42, s3
	s_cbranch_execz .LBB189_176
; %bb.173:                              ;   in Loop: Header=BB189_3 Depth=1
	ds_load_b128 v[14:17], v47 offset:6336
	ds_load_b128 v[40:43], v46 offset:6368
	s_wait_dscnt 0x0
	v_mul_f64_e32 v[4:5], v[16:17], v[42:43]
	v_mul_f64_e32 v[42:43], v[14:15], v[42:43]
	s_delay_alu instid0(VALU_DEP_2) | instskip(NEXT) | instid1(VALU_DEP_2)
	v_fma_f64 v[4:5], v[14:15], v[40:41], -v[4:5]
	v_fmac_f64_e32 v[42:43], v[16:17], v[40:41]
	s_delay_alu instid0(VALU_DEP_2) | instskip(NEXT) | instid1(VALU_DEP_2)
	v_add_f64_e32 v[14:15], 0, v[4:5]
	v_add_f64_e32 v[16:17], 0, v[42:43]
	s_and_saveexec_b32 s23, s4
	s_cbranch_execz .LBB189_175
; %bb.174:                              ;   in Loop: Header=BB189_3 Depth=1
	ds_load_b128 v[40:43], v2 offset:6352
	ds_load_b128 v[206:209], v97 offset:6880
	s_wait_dscnt 0x0
	v_mul_f64_e32 v[4:5], v[42:43], v[208:209]
	s_delay_alu instid0(VALU_DEP_1) | instskip(SKIP_1) | instid1(VALU_DEP_2)
	v_fma_f64 v[4:5], v[40:41], v[206:207], -v[4:5]
	v_mul_f64_e32 v[40:41], v[40:41], v[208:209]
	v_add_f64_e32 v[14:15], v[14:15], v[4:5]
	s_delay_alu instid0(VALU_DEP_2) | instskip(NEXT) | instid1(VALU_DEP_1)
	v_fmac_f64_e32 v[40:41], v[42:43], v[206:207]
	v_add_f64_e32 v[16:17], v[16:17], v[40:41]
.LBB189_175:                            ;   in Loop: Header=BB189_3 Depth=1
	s_or_b32 exec_lo, exec_lo, s23
	s_delay_alu instid0(VALU_DEP_2) | instskip(NEXT) | instid1(VALU_DEP_2)
	v_xor_b32_e32 v15, 0x80000000, v15
	v_xor_b32_e32 v17, 0x80000000, v17
.LBB189_176:                            ;   in Loop: Header=BB189_3 Depth=1
	s_or_b32 exec_lo, exec_lo, s42
	s_and_saveexec_b32 s23, s67
; %bb.177:                              ;   in Loop: Header=BB189_3 Depth=1
	ds_store_b128 v23, v[14:17]
; %bb.178:                              ;   in Loop: Header=BB189_3 Depth=1
	s_or_b32 exec_lo, exec_lo, s23
	s_wait_dscnt 0x0
	s_barrier_signal -1
	s_barrier_wait -1
	s_and_saveexec_b32 s23, s68
	s_cbranch_execz .LBB189_180
; %bb.179:                              ;   in Loop: Header=BB189_3 Depth=1
	ds_load_b128 v[40:43], v23
	ds_load_b128 v[206:209], v2 offset:7408
	s_wait_dscnt 0x0
	v_mul_f64_e32 v[4:5], v[42:43], v[208:209]
	s_delay_alu instid0(VALU_DEP_1) | instskip(SKIP_1) | instid1(VALU_DEP_2)
	v_fma_f64 v[4:5], v[40:41], v[206:207], -v[4:5]
	v_mul_f64_e32 v[40:41], v[40:41], v[208:209]
	v_add_f64_e32 v[14:15], v[14:15], v[4:5]
	s_delay_alu instid0(VALU_DEP_2) | instskip(NEXT) | instid1(VALU_DEP_1)
	v_fmac_f64_e32 v[40:41], v[42:43], v[206:207]
	v_add_f64_e32 v[16:17], v[16:17], v[40:41]
.LBB189_180:                            ;   in Loop: Header=BB189_3 Depth=1
	s_or_b32 exec_lo, exec_lo, s23
	s_barrier_signal -1
	s_barrier_wait -1
	s_and_saveexec_b32 s23, s68
; %bb.181:                              ;   in Loop: Header=BB189_3 Depth=1
	ds_store_b128 v23, v[14:17]
; %bb.182:                              ;   in Loop: Header=BB189_3 Depth=1
	s_or_b32 exec_lo, exec_lo, s23
	s_wait_dscnt 0x0
	s_barrier_signal -1
	s_barrier_wait -1
	s_barrier_signal -1
	s_barrier_wait -1
	s_and_saveexec_b32 s23, s3
; %bb.183:                              ;   in Loop: Header=BB189_3 Depth=1
	v_xor_b32_e32 v15, 0x80000000, v15
	v_xor_b32_e32 v17, 0x80000000, v17
	ds_store_b128 v46, v[14:17] offset:6368
; %bb.184:                              ;   in Loop: Header=BB189_3 Depth=1
	s_or_b32 exec_lo, exec_lo, s23
	s_wait_dscnt 0x0
	s_barrier_signal -1
	s_barrier_wait -1
	s_barrier_signal -1
	s_barrier_wait -1
	s_and_saveexec_b32 s23, s69
	s_cbranch_execz .LBB189_186
; %bb.185:                              ;   in Loop: Header=BB189_3 Depth=1
	ds_load_b128 v[14:17], v108
	s_wait_dscnt 0x0
	ds_store_b128 v112, v[14:17]
	ds_load_b128 v[14:17], v109
	s_wait_dscnt 0x0
	ds_store_b128 v113, v[14:17]
.LBB189_186:                            ;   in Loop: Header=BB189_3 Depth=1
	s_or_b32 exec_lo, exec_lo, s23
	s_wait_dscnt 0x0
	s_barrier_signal -1
	s_barrier_wait -1
	s_and_saveexec_b32 s42, s29
	s_cbranch_execz .LBB189_188
; %bb.187:                              ;   in Loop: Header=BB189_3 Depth=1
	s_mov_b32 s48, s53
	s_mov_b32 s50, s53
	s_mov_b32 s51, s53
	v_mov_b64_e32 v[14:15], s[48:49]
	v_mov_b64_e32 v[16:17], s[50:51]
	ds_store_b128 v2, v[14:17] offset:7392
	ds_store_b128 v2, v[14:17] offset:7920
	ds_load_b128 v[14:17], v2 offset:7408
	s_wait_dscnt 0x0
	ds_store_b128 v2, v[14:17] offset:7904
.LBB189_188:                            ;   in Loop: Header=BB189_3 Depth=1
	s_or_b32 exec_lo, exec_lo, s42
	v_mov_b64_e32 v[16:17], 0
	v_mov_b64_e32 v[14:15], 0
	s_wait_dscnt 0x0
	s_barrier_signal -1
	s_barrier_wait -1
	s_and_saveexec_b32 s42, s12
	s_cbranch_execz .LBB189_215
; %bb.189:                              ;   in Loop: Header=BB189_3 Depth=1
	v_add_nc_u32_e32 v3, v72, v170
	v_readlane_b32 s20, v205, 19
	ds_load_b128 v[14:17], v3
	ds_load_b128 v[40:43], v176 offset:256
	s_wait_dscnt 0x0
	v_mul_f64_e32 v[4:5], v[16:17], v[42:43]
	v_mul_f64_e32 v[42:43], v[14:15], v[42:43]
	s_delay_alu instid0(VALU_DEP_2) | instskip(NEXT) | instid1(VALU_DEP_2)
	v_fma_f64 v[4:5], v[14:15], v[40:41], -v[4:5]
	v_fmac_f64_e32 v[42:43], v[16:17], v[40:41]
	s_delay_alu instid0(VALU_DEP_2) | instskip(NEXT) | instid1(VALU_DEP_2)
	v_add_f64_e32 v[14:15], 0, v[4:5]
	v_add_f64_e32 v[16:17], 0, v[42:43]
	s_and_saveexec_b32 s23, s20
	s_cbranch_execz .LBB189_191
; %bb.190:                              ;   in Loop: Header=BB189_3 Depth=1
	ds_load_b128 v[40:43], v3 offset:16
	ds_load_b128 v[206:209], v176 offset:768
	s_wait_dscnt 0x0
	v_mul_f64_e32 v[4:5], v[42:43], v[208:209]
	s_delay_alu instid0(VALU_DEP_1) | instskip(SKIP_1) | instid1(VALU_DEP_2)
	v_fma_f64 v[4:5], v[40:41], v[206:207], -v[4:5]
	v_mul_f64_e32 v[40:41], v[40:41], v[208:209]
	v_add_f64_e32 v[14:15], v[14:15], v[4:5]
	s_delay_alu instid0(VALU_DEP_2) | instskip(NEXT) | instid1(VALU_DEP_1)
	v_fmac_f64_e32 v[40:41], v[42:43], v[206:207]
	v_add_f64_e32 v[16:17], v[16:17], v[40:41]
.LBB189_191:                            ;   in Loop: Header=BB189_3 Depth=1
	s_or_b32 exec_lo, exec_lo, s23
	v_readlane_b32 s20, v205, 20
	s_and_saveexec_b32 s23, s20
	s_cbranch_execz .LBB189_193
; %bb.192:                              ;   in Loop: Header=BB189_3 Depth=1
	ds_load_b128 v[40:43], v3 offset:32
	ds_load_b128 v[206:209], v176 offset:1280
	s_wait_dscnt 0x0
	v_mul_f64_e32 v[4:5], v[42:43], v[208:209]
	s_delay_alu instid0(VALU_DEP_1) | instskip(SKIP_1) | instid1(VALU_DEP_2)
	v_fma_f64 v[4:5], v[40:41], v[206:207], -v[4:5]
	v_mul_f64_e32 v[40:41], v[40:41], v[208:209]
	v_add_f64_e32 v[14:15], v[14:15], v[4:5]
	s_delay_alu instid0(VALU_DEP_2) | instskip(NEXT) | instid1(VALU_DEP_1)
	v_fmac_f64_e32 v[40:41], v[42:43], v[206:207]
	v_add_f64_e32 v[16:17], v[16:17], v[40:41]
.LBB189_193:                            ;   in Loop: Header=BB189_3 Depth=1
	s_or_b32 exec_lo, exec_lo, s23
	v_readlane_b32 s20, v205, 21
	s_and_saveexec_b32 s23, s20
	s_cbranch_execz .LBB189_195
; %bb.194:                              ;   in Loop: Header=BB189_3 Depth=1
	ds_load_b128 v[40:43], v3 offset:48
	ds_load_b128 v[206:209], v176 offset:1792
	s_wait_dscnt 0x0
	v_mul_f64_e32 v[4:5], v[42:43], v[208:209]
	s_delay_alu instid0(VALU_DEP_1) | instskip(SKIP_1) | instid1(VALU_DEP_2)
	v_fma_f64 v[4:5], v[40:41], v[206:207], -v[4:5]
	v_mul_f64_e32 v[40:41], v[40:41], v[208:209]
	v_add_f64_e32 v[14:15], v[14:15], v[4:5]
	s_delay_alu instid0(VALU_DEP_2) | instskip(NEXT) | instid1(VALU_DEP_1)
	v_fmac_f64_e32 v[40:41], v[42:43], v[206:207]
	v_add_f64_e32 v[16:17], v[16:17], v[40:41]
.LBB189_195:                            ;   in Loop: Header=BB189_3 Depth=1
	s_or_b32 exec_lo, exec_lo, s23
	v_readlane_b32 s20, v205, 22
	s_and_saveexec_b32 s23, s20
	s_cbranch_execz .LBB189_197
; %bb.196:                              ;   in Loop: Header=BB189_3 Depth=1
	ds_load_b128 v[40:43], v3 offset:64
	ds_load_b128 v[206:209], v176 offset:2304
	s_wait_dscnt 0x0
	v_mul_f64_e32 v[4:5], v[42:43], v[208:209]
	s_delay_alu instid0(VALU_DEP_1) | instskip(SKIP_1) | instid1(VALU_DEP_2)
	v_fma_f64 v[4:5], v[40:41], v[206:207], -v[4:5]
	v_mul_f64_e32 v[40:41], v[40:41], v[208:209]
	v_add_f64_e32 v[14:15], v[14:15], v[4:5]
	s_delay_alu instid0(VALU_DEP_2) | instskip(NEXT) | instid1(VALU_DEP_1)
	v_fmac_f64_e32 v[40:41], v[42:43], v[206:207]
	v_add_f64_e32 v[16:17], v[16:17], v[40:41]
.LBB189_197:                            ;   in Loop: Header=BB189_3 Depth=1
	s_or_b32 exec_lo, exec_lo, s23
	v_readlane_b32 s20, v205, 23
	s_and_saveexec_b32 s23, s20
	s_cbranch_execz .LBB189_199
; %bb.198:                              ;   in Loop: Header=BB189_3 Depth=1
	ds_load_b128 v[40:43], v3 offset:80
	ds_load_b128 v[206:209], v176 offset:2816
	s_wait_dscnt 0x0
	v_mul_f64_e32 v[4:5], v[42:43], v[208:209]
	s_delay_alu instid0(VALU_DEP_1) | instskip(SKIP_1) | instid1(VALU_DEP_2)
	v_fma_f64 v[4:5], v[40:41], v[206:207], -v[4:5]
	v_mul_f64_e32 v[40:41], v[40:41], v[208:209]
	v_add_f64_e32 v[14:15], v[14:15], v[4:5]
	s_delay_alu instid0(VALU_DEP_2) | instskip(NEXT) | instid1(VALU_DEP_1)
	v_fmac_f64_e32 v[40:41], v[42:43], v[206:207]
	v_add_f64_e32 v[16:17], v[16:17], v[40:41]
.LBB189_199:                            ;   in Loop: Header=BB189_3 Depth=1
	s_or_b32 exec_lo, exec_lo, s23
	v_readlane_b32 s20, v205, 24
	s_and_saveexec_b32 s23, s20
	s_cbranch_execz .LBB189_201
; %bb.200:                              ;   in Loop: Header=BB189_3 Depth=1
	ds_load_b128 v[40:43], v3 offset:96
	ds_load_b128 v[206:209], v176 offset:3328
	s_wait_dscnt 0x0
	v_mul_f64_e32 v[4:5], v[42:43], v[208:209]
	s_delay_alu instid0(VALU_DEP_1) | instskip(SKIP_1) | instid1(VALU_DEP_2)
	v_fma_f64 v[4:5], v[40:41], v[206:207], -v[4:5]
	v_mul_f64_e32 v[40:41], v[40:41], v[208:209]
	v_add_f64_e32 v[14:15], v[14:15], v[4:5]
	s_delay_alu instid0(VALU_DEP_2) | instskip(NEXT) | instid1(VALU_DEP_1)
	v_fmac_f64_e32 v[40:41], v[42:43], v[206:207]
	v_add_f64_e32 v[16:17], v[16:17], v[40:41]
.LBB189_201:                            ;   in Loop: Header=BB189_3 Depth=1
	s_or_b32 exec_lo, exec_lo, s23
	v_readlane_b32 s20, v205, 25
	s_and_saveexec_b32 s23, s20
	s_cbranch_execz .LBB189_203
; %bb.202:                              ;   in Loop: Header=BB189_3 Depth=1
	ds_load_b128 v[40:43], v3 offset:112
	ds_load_b128 v[206:209], v176 offset:3840
	s_wait_dscnt 0x0
	v_mul_f64_e32 v[4:5], v[42:43], v[208:209]
	s_delay_alu instid0(VALU_DEP_1) | instskip(SKIP_1) | instid1(VALU_DEP_2)
	v_fma_f64 v[4:5], v[40:41], v[206:207], -v[4:5]
	v_mul_f64_e32 v[40:41], v[40:41], v[208:209]
	v_add_f64_e32 v[14:15], v[14:15], v[4:5]
	s_delay_alu instid0(VALU_DEP_2) | instskip(NEXT) | instid1(VALU_DEP_1)
	v_fmac_f64_e32 v[40:41], v[42:43], v[206:207]
	v_add_f64_e32 v[16:17], v[16:17], v[40:41]
.LBB189_203:                            ;   in Loop: Header=BB189_3 Depth=1
	s_or_b32 exec_lo, exec_lo, s23
	v_readlane_b32 s20, v205, 26
	s_and_saveexec_b32 s23, s20
	s_cbranch_execz .LBB189_205
; %bb.204:                              ;   in Loop: Header=BB189_3 Depth=1
	ds_load_b128 v[40:43], v3 offset:128
	ds_load_b128 v[206:209], v176 offset:4352
	s_wait_dscnt 0x0
	v_mul_f64_e32 v[4:5], v[42:43], v[208:209]
	s_delay_alu instid0(VALU_DEP_1) | instskip(SKIP_1) | instid1(VALU_DEP_2)
	v_fma_f64 v[4:5], v[40:41], v[206:207], -v[4:5]
	v_mul_f64_e32 v[40:41], v[40:41], v[208:209]
	v_add_f64_e32 v[14:15], v[14:15], v[4:5]
	s_delay_alu instid0(VALU_DEP_2) | instskip(NEXT) | instid1(VALU_DEP_1)
	v_fmac_f64_e32 v[40:41], v[42:43], v[206:207]
	v_add_f64_e32 v[16:17], v[16:17], v[40:41]
.LBB189_205:                            ;   in Loop: Header=BB189_3 Depth=1
	s_or_b32 exec_lo, exec_lo, s23
	v_readlane_b32 s20, v205, 27
	s_and_saveexec_b32 s23, s20
	s_cbranch_execz .LBB189_207
; %bb.206:                              ;   in Loop: Header=BB189_3 Depth=1
	ds_load_b128 v[40:43], v3 offset:144
	ds_load_b128 v[206:209], v176 offset:4864
	s_wait_dscnt 0x0
	v_mul_f64_e32 v[4:5], v[42:43], v[208:209]
	s_delay_alu instid0(VALU_DEP_1) | instskip(SKIP_1) | instid1(VALU_DEP_2)
	v_fma_f64 v[4:5], v[40:41], v[206:207], -v[4:5]
	v_mul_f64_e32 v[40:41], v[40:41], v[208:209]
	v_add_f64_e32 v[14:15], v[14:15], v[4:5]
	s_delay_alu instid0(VALU_DEP_2) | instskip(NEXT) | instid1(VALU_DEP_1)
	v_fmac_f64_e32 v[40:41], v[42:43], v[206:207]
	v_add_f64_e32 v[16:17], v[16:17], v[40:41]
.LBB189_207:                            ;   in Loop: Header=BB189_3 Depth=1
	s_or_b32 exec_lo, exec_lo, s23
	v_readlane_b32 s20, v205, 28
	s_and_saveexec_b32 s23, s20
	s_cbranch_execnz .LBB189_527
; %bb.208:                              ;   in Loop: Header=BB189_3 Depth=1
	s_or_b32 exec_lo, exec_lo, s23
	s_and_saveexec_b32 s23, s22
	s_cbranch_execnz .LBB189_528
.LBB189_209:                            ;   in Loop: Header=BB189_3 Depth=1
	s_or_b32 exec_lo, exec_lo, s23
	s_and_saveexec_b32 s23, s9
	s_cbranch_execnz .LBB189_529
.LBB189_210:                            ;   in Loop: Header=BB189_3 Depth=1
	s_or_b32 exec_lo, exec_lo, s23
	s_and_saveexec_b32 s23, s11
	s_cbranch_execnz .LBB189_530
.LBB189_211:                            ;   in Loop: Header=BB189_3 Depth=1
	s_or_b32 exec_lo, exec_lo, s23
	s_and_saveexec_b32 s23, s16
	s_cbranch_execnz .LBB189_531
.LBB189_212:                            ;   in Loop: Header=BB189_3 Depth=1
	s_or_b32 exec_lo, exec_lo, s23
	s_and_saveexec_b32 s23, s6
	s_cbranch_execz .LBB189_214
.LBB189_213:                            ;   in Loop: Header=BB189_3 Depth=1
	ds_load_b128 v[40:43], v2 offset:240
	ds_load_b128 v[206:209], v48 offset:7936
	s_wait_dscnt 0x0
	v_mul_f64_e32 v[4:5], v[42:43], v[208:209]
	s_delay_alu instid0(VALU_DEP_1) | instskip(SKIP_1) | instid1(VALU_DEP_2)
	v_fma_f64 v[4:5], v[40:41], v[206:207], -v[4:5]
	v_mul_f64_e32 v[40:41], v[40:41], v[208:209]
	v_add_f64_e32 v[14:15], v[14:15], v[4:5]
	s_delay_alu instid0(VALU_DEP_2) | instskip(NEXT) | instid1(VALU_DEP_1)
	v_fmac_f64_e32 v[40:41], v[42:43], v[206:207]
	v_add_f64_e32 v[16:17], v[16:17], v[40:41]
.LBB189_214:                            ;   in Loop: Header=BB189_3 Depth=1
	s_or_b32 exec_lo, exec_lo, s23
	s_delay_alu instid0(VALU_DEP_3) | instskip(NEXT) | instid1(VALU_DEP_2)
	v_xor_b32_e32 v15, 0x80000000, v15
	v_xor_b32_e32 v17, 0x80000000, v17
.LBB189_215:                            ;   in Loop: Header=BB189_3 Depth=1
	s_or_b32 exec_lo, exec_lo, s42
	v_readlane_b32 s20, v205, 1
	s_and_saveexec_b32 s23, s20
; %bb.216:                              ;   in Loop: Header=BB189_3 Depth=1
	ds_store_b128 v175, v[14:17]
; %bb.217:                              ;   in Loop: Header=BB189_3 Depth=1
	s_or_b32 exec_lo, exec_lo, s23
	v_readlane_b32 s20, v205, 2
	s_wait_dscnt 0x0
	s_barrier_signal -1
	s_barrier_wait -1
	s_and_saveexec_b32 s23, s20
	s_cbranch_execz .LBB189_219
; %bb.218:                              ;   in Loop: Header=BB189_3 Depth=1
	ds_load_b128 v[40:43], v175
	ds_load_b128 v[206:209], v73 offset:8448
	s_wait_dscnt 0x0
	v_mul_f64_e32 v[4:5], v[42:43], v[208:209]
	s_delay_alu instid0(VALU_DEP_1) | instskip(SKIP_1) | instid1(VALU_DEP_2)
	v_fma_f64 v[4:5], v[40:41], v[206:207], -v[4:5]
	v_mul_f64_e32 v[40:41], v[40:41], v[208:209]
	v_add_f64_e32 v[14:15], v[14:15], v[4:5]
	s_delay_alu instid0(VALU_DEP_2) | instskip(NEXT) | instid1(VALU_DEP_1)
	v_fmac_f64_e32 v[40:41], v[42:43], v[206:207]
	v_add_f64_e32 v[16:17], v[16:17], v[40:41]
.LBB189_219:                            ;   in Loop: Header=BB189_3 Depth=1
	s_or_b32 exec_lo, exec_lo, s23
	v_readlane_b32 s20, v205, 3
	s_barrier_signal -1
	s_barrier_wait -1
	s_and_saveexec_b32 s23, s20
; %bb.220:                              ;   in Loop: Header=BB189_3 Depth=1
	ds_store_b128 v175, v[14:17]
; %bb.221:                              ;   in Loop: Header=BB189_3 Depth=1
	s_or_b32 exec_lo, exec_lo, s23
	v_readlane_b32 s20, v205, 4
	s_wait_dscnt 0x0
	s_barrier_signal -1
	s_barrier_wait -1
	s_and_saveexec_b32 s23, s20
	s_cbranch_execz .LBB189_223
; %bb.222:                              ;   in Loop: Header=BB189_3 Depth=1
	ds_load_b128 v[40:43], v175
	ds_load_b128 v[206:209], v73 offset:8960
	s_wait_dscnt 0x0
	v_mul_f64_e32 v[4:5], v[42:43], v[208:209]
	s_delay_alu instid0(VALU_DEP_1) | instskip(SKIP_1) | instid1(VALU_DEP_2)
	v_fma_f64 v[4:5], v[40:41], v[206:207], -v[4:5]
	v_mul_f64_e32 v[40:41], v[40:41], v[208:209]
	v_add_f64_e32 v[14:15], v[14:15], v[4:5]
	s_delay_alu instid0(VALU_DEP_2) | instskip(NEXT) | instid1(VALU_DEP_1)
	v_fmac_f64_e32 v[40:41], v[42:43], v[206:207]
	v_add_f64_e32 v[16:17], v[16:17], v[40:41]
.LBB189_223:                            ;   in Loop: Header=BB189_3 Depth=1
	s_or_b32 exec_lo, exec_lo, s23
	v_readlane_b32 s20, v205, 5
	s_barrier_signal -1
	s_barrier_wait -1
	;; [unrolled: 28-line block ×8, first 2 shown]
	s_and_saveexec_b32 s23, s20
; %bb.248:                              ;   in Loop: Header=BB189_3 Depth=1
	ds_store_b128 v175, v[14:17]
; %bb.249:                              ;   in Loop: Header=BB189_3 Depth=1
	s_or_b32 exec_lo, exec_lo, s23
	s_wait_dscnt 0x0
	s_barrier_signal -1
	s_barrier_wait -1
	s_and_saveexec_b32 s23, s27
	s_cbranch_execz .LBB189_251
; %bb.250:                              ;   in Loop: Header=BB189_3 Depth=1
	ds_load_b128 v[40:43], v175
	ds_load_b128 v[206:209], v73 offset:12544
	s_wait_dscnt 0x0
	v_mul_f64_e32 v[4:5], v[42:43], v[208:209]
	s_delay_alu instid0(VALU_DEP_1) | instskip(SKIP_1) | instid1(VALU_DEP_2)
	v_fma_f64 v[4:5], v[40:41], v[206:207], -v[4:5]
	v_mul_f64_e32 v[40:41], v[40:41], v[208:209]
	v_add_f64_e32 v[14:15], v[14:15], v[4:5]
	s_delay_alu instid0(VALU_DEP_2) | instskip(NEXT) | instid1(VALU_DEP_1)
	v_fmac_f64_e32 v[40:41], v[42:43], v[206:207]
	v_add_f64_e32 v[16:17], v[16:17], v[40:41]
.LBB189_251:                            ;   in Loop: Header=BB189_3 Depth=1
	s_or_b32 exec_lo, exec_lo, s23
	s_barrier_signal -1
	s_barrier_wait -1
	s_and_saveexec_b32 s23, s28
; %bb.252:                              ;   in Loop: Header=BB189_3 Depth=1
	ds_store_b128 v175, v[14:17]
; %bb.253:                              ;   in Loop: Header=BB189_3 Depth=1
	s_or_b32 exec_lo, exec_lo, s23
	s_wait_dscnt 0x0
	s_barrier_signal -1
	s_barrier_wait -1
	s_and_saveexec_b32 s23, s10
	s_cbranch_execz .LBB189_255
; %bb.254:                              ;   in Loop: Header=BB189_3 Depth=1
	ds_load_b128 v[40:43], v175
	ds_load_b128 v[206:209], v73 offset:13056
	s_wait_dscnt 0x0
	v_mul_f64_e32 v[4:5], v[42:43], v[208:209]
	s_delay_alu instid0(VALU_DEP_1) | instskip(SKIP_1) | instid1(VALU_DEP_2)
	v_fma_f64 v[4:5], v[40:41], v[206:207], -v[4:5]
	v_mul_f64_e32 v[40:41], v[40:41], v[208:209]
	v_add_f64_e32 v[14:15], v[14:15], v[4:5]
	s_delay_alu instid0(VALU_DEP_2) | instskip(NEXT) | instid1(VALU_DEP_1)
	v_fmac_f64_e32 v[40:41], v[42:43], v[206:207]
	v_add_f64_e32 v[16:17], v[16:17], v[40:41]
.LBB189_255:                            ;   in Loop: Header=BB189_3 Depth=1
	s_or_b32 exec_lo, exec_lo, s23
	s_barrier_signal -1
	s_barrier_wait -1
	;; [unrolled: 26-line block ×7, first 2 shown]
	s_and_saveexec_b32 s23, s101
; %bb.276:                              ;   in Loop: Header=BB189_3 Depth=1
	ds_store_b128 v175, v[14:17]
; %bb.277:                              ;   in Loop: Header=BB189_3 Depth=1
	s_or_b32 exec_lo, exec_lo, s23
	s_wait_dscnt 0x0
	s_barrier_signal -1
	s_barrier_wait -1
	s_barrier_signal -1
	s_barrier_wait -1
	s_and_saveexec_b32 s23, s12
; %bb.278:                              ;   in Loop: Header=BB189_3 Depth=1
	v_xor_b32_e32 v17, 0x80000000, v17
	v_xor_b32_e32 v15, 0x80000000, v15
	ds_store_b128 v176, v[14:17] offset:256
; %bb.279:                              ;   in Loop: Header=BB189_3 Depth=1
	s_or_b32 exec_lo, exec_lo, s23
	s_wait_dscnt 0x0
	s_barrier_signal -1
	s_barrier_wait -1
	s_barrier_signal -1
	s_barrier_wait -1
	s_and_saveexec_b32 s42, s102
	s_cbranch_execz .LBB189_281
; %bb.280:                              ;   in Loop: Header=BB189_3 Depth=1
	ds_load_b128 v[14:17], v116
	s_wait_dscnt 0x0
	ds_store_b128 v134, v[14:17]
	ds_load_b128 v[14:17], v117
	s_wait_dscnt 0x0
	ds_store_b128 v135, v[14:17]
	;; [unrolled: 3-line block ×16, first 2 shown]
.LBB189_281:                            ;   in Loop: Header=BB189_3 Depth=1
	s_or_b32 exec_lo, exec_lo, s42
	s_wait_dscnt 0x0
	s_barrier_signal -1
	s_barrier_wait -1
	s_and_saveexec_b32 s42, s29
	s_cbranch_execz .LBB189_283
; %bb.282:                              ;   in Loop: Header=BB189_3 Depth=1
	s_mov_b32 s48, s53
	s_mov_b32 s50, s53
	;; [unrolled: 1-line block ×3, first 2 shown]
	v_mov_b64_e32 v[14:15], s[48:49]
	v_mov_b64_e32 v[16:17], s[50:51]
	ds_store_b128 v2, v[14:17] offset:8448
	ds_store_b128 v2, v[14:17] offset:8976
	ds_load_b128 v[14:17], v2 offset:8464
	s_wait_dscnt 0x0
	ds_store_b128 v2, v[14:17] offset:8960
.LBB189_283:                            ;   in Loop: Header=BB189_3 Depth=1
	s_or_b32 exec_lo, exec_lo, s42
	v_mov_b64_e32 v[16:17], 0
	v_mov_b64_e32 v[14:15], 0
	s_wait_dscnt 0x0
	s_barrier_signal -1
	s_barrier_wait -1
	s_and_saveexec_b32 s42, s3
	s_cbranch_execz .LBB189_287
; %bb.284:                              ;   in Loop: Header=BB189_3 Depth=1
	ds_load_b128 v[14:17], v47 offset:8448
	ds_load_b128 v[40:43], v46 offset:8480
	s_wait_dscnt 0x0
	v_mul_f64_e32 v[4:5], v[16:17], v[42:43]
	v_mul_f64_e32 v[42:43], v[14:15], v[42:43]
	s_delay_alu instid0(VALU_DEP_2) | instskip(NEXT) | instid1(VALU_DEP_2)
	v_fma_f64 v[4:5], v[14:15], v[40:41], -v[4:5]
	v_fmac_f64_e32 v[42:43], v[16:17], v[40:41]
	s_delay_alu instid0(VALU_DEP_2) | instskip(NEXT) | instid1(VALU_DEP_2)
	v_add_f64_e32 v[14:15], 0, v[4:5]
	v_add_f64_e32 v[16:17], 0, v[42:43]
	s_and_saveexec_b32 s23, s4
	s_cbranch_execz .LBB189_286
; %bb.285:                              ;   in Loop: Header=BB189_3 Depth=1
	ds_load_b128 v[40:43], v2 offset:8464
	ds_load_b128 v[206:209], v48 offset:8992
	s_wait_dscnt 0x0
	v_mul_f64_e32 v[4:5], v[42:43], v[208:209]
	s_delay_alu instid0(VALU_DEP_1) | instskip(SKIP_1) | instid1(VALU_DEP_2)
	v_fma_f64 v[4:5], v[40:41], v[206:207], -v[4:5]
	v_mul_f64_e32 v[40:41], v[40:41], v[208:209]
	v_add_f64_e32 v[14:15], v[14:15], v[4:5]
	s_delay_alu instid0(VALU_DEP_2) | instskip(NEXT) | instid1(VALU_DEP_1)
	v_fmac_f64_e32 v[40:41], v[42:43], v[206:207]
	v_add_f64_e32 v[16:17], v[16:17], v[40:41]
.LBB189_286:                            ;   in Loop: Header=BB189_3 Depth=1
	s_or_b32 exec_lo, exec_lo, s23
	s_delay_alu instid0(VALU_DEP_2) | instskip(NEXT) | instid1(VALU_DEP_2)
	v_xor_b32_e32 v15, 0x80000000, v15
	v_xor_b32_e32 v17, 0x80000000, v17
.LBB189_287:                            ;   in Loop: Header=BB189_3 Depth=1
	s_or_b32 exec_lo, exec_lo, s42
	s_and_saveexec_b32 s23, s67
; %bb.288:                              ;   in Loop: Header=BB189_3 Depth=1
	ds_store_b128 v23, v[14:17]
; %bb.289:                              ;   in Loop: Header=BB189_3 Depth=1
	s_or_b32 exec_lo, exec_lo, s23
	s_wait_dscnt 0x0
	s_barrier_signal -1
	s_barrier_wait -1
	s_and_saveexec_b32 s23, s68
	s_cbranch_execz .LBB189_291
; %bb.290:                              ;   in Loop: Header=BB189_3 Depth=1
	ds_load_b128 v[40:43], v23
	ds_load_b128 v[206:209], v2 offset:9520
	s_wait_dscnt 0x0
	v_mul_f64_e32 v[4:5], v[42:43], v[208:209]
	s_delay_alu instid0(VALU_DEP_1) | instskip(SKIP_1) | instid1(VALU_DEP_2)
	v_fma_f64 v[4:5], v[40:41], v[206:207], -v[4:5]
	v_mul_f64_e32 v[40:41], v[40:41], v[208:209]
	v_add_f64_e32 v[14:15], v[14:15], v[4:5]
	s_delay_alu instid0(VALU_DEP_2) | instskip(NEXT) | instid1(VALU_DEP_1)
	v_fmac_f64_e32 v[40:41], v[42:43], v[206:207]
	v_add_f64_e32 v[16:17], v[16:17], v[40:41]
.LBB189_291:                            ;   in Loop: Header=BB189_3 Depth=1
	s_or_b32 exec_lo, exec_lo, s23
	s_barrier_signal -1
	s_barrier_wait -1
	s_and_saveexec_b32 s23, s68
; %bb.292:                              ;   in Loop: Header=BB189_3 Depth=1
	ds_store_b128 v23, v[14:17]
; %bb.293:                              ;   in Loop: Header=BB189_3 Depth=1
	s_or_b32 exec_lo, exec_lo, s23
	s_wait_dscnt 0x0
	s_barrier_signal -1
	s_barrier_wait -1
	s_barrier_signal -1
	s_barrier_wait -1
	s_and_saveexec_b32 s23, s3
; %bb.294:                              ;   in Loop: Header=BB189_3 Depth=1
	v_xor_b32_e32 v15, 0x80000000, v15
	v_xor_b32_e32 v17, 0x80000000, v17
	ds_store_b128 v46, v[14:17] offset:8480
; %bb.295:                              ;   in Loop: Header=BB189_3 Depth=1
	s_or_b32 exec_lo, exec_lo, s23
	s_wait_dscnt 0x0
	s_barrier_signal -1
	s_barrier_wait -1
	s_barrier_signal -1
	s_barrier_wait -1
	s_and_saveexec_b32 s23, s69
	s_cbranch_execz .LBB189_297
; %bb.296:                              ;   in Loop: Header=BB189_3 Depth=1
	ds_load_b128 v[14:17], v74
	s_wait_dscnt 0x0
	ds_store_b128 v177, v[14:17]
	ds_load_b128 v[14:17], v75
	s_wait_dscnt 0x0
	ds_store_b128 v178, v[14:17]
.LBB189_297:                            ;   in Loop: Header=BB189_3 Depth=1
	s_or_b32 exec_lo, exec_lo, s23
	s_wait_dscnt 0x0
	s_barrier_signal -1
	s_barrier_wait -1
	s_and_saveexec_b32 s42, s29
	s_cbranch_execz .LBB189_299
; %bb.298:                              ;   in Loop: Header=BB189_3 Depth=1
	s_mov_b32 s48, s53
	s_mov_b32 s50, s53
	;; [unrolled: 1-line block ×3, first 2 shown]
	v_mov_b64_e32 v[14:15], s[48:49]
	v_mov_b64_e32 v[16:17], s[50:51]
	ds_store_b128 v2, v[14:17] offset:9504
	ds_store_b128 v2, v[14:17] offset:10032
	ds_load_b128 v[14:17], v2 offset:9520
	s_wait_dscnt 0x0
	ds_store_b128 v2, v[14:17] offset:10016
.LBB189_299:                            ;   in Loop: Header=BB189_3 Depth=1
	s_or_b32 exec_lo, exec_lo, s42
	v_mov_b64_e32 v[16:17], 0
	v_mov_b64_e32 v[14:15], 0
	s_wait_dscnt 0x0
	s_barrier_signal -1
	s_barrier_wait -1
	s_and_saveexec_b32 s42, s6
	s_cbranch_execz .LBB189_305
; %bb.300:                              ;   in Loop: Header=BB189_3 Depth=1
	ds_load_b128 v[14:17], v50 offset:8448
	ds_load_b128 v[40:43], v55 offset:8512
	s_wait_dscnt 0x0
	v_mul_f64_e32 v[4:5], v[16:17], v[42:43]
	v_mul_f64_e32 v[42:43], v[14:15], v[42:43]
	s_delay_alu instid0(VALU_DEP_2) | instskip(NEXT) | instid1(VALU_DEP_2)
	v_fma_f64 v[4:5], v[14:15], v[40:41], -v[4:5]
	v_fmac_f64_e32 v[42:43], v[16:17], v[40:41]
	s_delay_alu instid0(VALU_DEP_2) | instskip(NEXT) | instid1(VALU_DEP_2)
	v_add_f64_e32 v[14:15], 0, v[4:5]
	v_add_f64_e32 v[16:17], 0, v[42:43]
	s_and_saveexec_b32 s23, s7
	s_cbranch_execnz .LBB189_532
; %bb.301:                              ;   in Loop: Header=BB189_3 Depth=1
	s_or_b32 exec_lo, exec_lo, s23
	s_and_saveexec_b32 s23, s8
	s_cbranch_execnz .LBB189_533
.LBB189_302:                            ;   in Loop: Header=BB189_3 Depth=1
	s_or_b32 exec_lo, exec_lo, s23
	s_and_saveexec_b32 s23, s3
	s_cbranch_execz .LBB189_304
.LBB189_303:                            ;   in Loop: Header=BB189_3 Depth=1
	ds_load_b128 v[40:43], v2 offset:8496
	ds_load_b128 v[206:209], v53 offset:10048
	s_wait_dscnt 0x0
	v_mul_f64_e32 v[4:5], v[42:43], v[208:209]
	s_delay_alu instid0(VALU_DEP_1) | instskip(SKIP_1) | instid1(VALU_DEP_2)
	v_fma_f64 v[4:5], v[40:41], v[206:207], -v[4:5]
	v_mul_f64_e32 v[40:41], v[40:41], v[208:209]
	v_add_f64_e32 v[14:15], v[14:15], v[4:5]
	s_delay_alu instid0(VALU_DEP_2) | instskip(NEXT) | instid1(VALU_DEP_1)
	v_fmac_f64_e32 v[40:41], v[42:43], v[206:207]
	v_add_f64_e32 v[16:17], v[16:17], v[40:41]
.LBB189_304:                            ;   in Loop: Header=BB189_3 Depth=1
	s_or_b32 exec_lo, exec_lo, s23
	s_delay_alu instid0(VALU_DEP_2) | instskip(NEXT) | instid1(VALU_DEP_2)
	v_xor_b32_e32 v15, 0x80000000, v15
	v_xor_b32_e32 v17, 0x80000000, v17
.LBB189_305:                            ;   in Loop: Header=BB189_3 Depth=1
	s_or_b32 exec_lo, exec_lo, s42
	s_and_saveexec_b32 s23, s70
; %bb.306:                              ;   in Loop: Header=BB189_3 Depth=1
	ds_store_b128 v54, v[14:17]
; %bb.307:                              ;   in Loop: Header=BB189_3 Depth=1
	s_or_b32 exec_lo, exec_lo, s23
	s_wait_dscnt 0x0
	s_barrier_signal -1
	s_barrier_wait -1
	s_and_saveexec_b32 s23, s71
	s_cbranch_execz .LBB189_309
; %bb.308:                              ;   in Loop: Header=BB189_3 Depth=1
	ds_load_b128 v[40:43], v54
	ds_load_b128 v[206:209], v52 offset:10560
	s_wait_dscnt 0x0
	v_mul_f64_e32 v[4:5], v[42:43], v[208:209]
	s_delay_alu instid0(VALU_DEP_1) | instskip(SKIP_1) | instid1(VALU_DEP_2)
	v_fma_f64 v[4:5], v[40:41], v[206:207], -v[4:5]
	v_mul_f64_e32 v[40:41], v[40:41], v[208:209]
	v_add_f64_e32 v[14:15], v[14:15], v[4:5]
	s_delay_alu instid0(VALU_DEP_2) | instskip(NEXT) | instid1(VALU_DEP_1)
	v_fmac_f64_e32 v[40:41], v[42:43], v[206:207]
	v_add_f64_e32 v[16:17], v[16:17], v[40:41]
.LBB189_309:                            ;   in Loop: Header=BB189_3 Depth=1
	s_or_b32 exec_lo, exec_lo, s23
	s_barrier_signal -1
	s_barrier_wait -1
	s_and_saveexec_b32 s23, s72
; %bb.310:                              ;   in Loop: Header=BB189_3 Depth=1
	ds_store_b128 v54, v[14:17]
; %bb.311:                              ;   in Loop: Header=BB189_3 Depth=1
	s_or_b32 exec_lo, exec_lo, s23
	s_wait_dscnt 0x0
	s_barrier_signal -1
	s_barrier_wait -1
	s_and_saveexec_b32 s23, s73
	s_cbranch_execz .LBB189_313
; %bb.312:                              ;   in Loop: Header=BB189_3 Depth=1
	ds_load_b128 v[40:43], v54
	ds_load_b128 v[206:209], v52 offset:11072
	s_wait_dscnt 0x0
	v_mul_f64_e32 v[4:5], v[42:43], v[208:209]
	s_delay_alu instid0(VALU_DEP_1) | instskip(SKIP_1) | instid1(VALU_DEP_2)
	v_fma_f64 v[4:5], v[40:41], v[206:207], -v[4:5]
	v_mul_f64_e32 v[40:41], v[40:41], v[208:209]
	v_add_f64_e32 v[14:15], v[14:15], v[4:5]
	s_delay_alu instid0(VALU_DEP_2) | instskip(NEXT) | instid1(VALU_DEP_1)
	v_fmac_f64_e32 v[40:41], v[42:43], v[206:207]
	v_add_f64_e32 v[16:17], v[16:17], v[40:41]
.LBB189_313:                            ;   in Loop: Header=BB189_3 Depth=1
	s_or_b32 exec_lo, exec_lo, s23
	s_barrier_signal -1
	s_barrier_wait -1
	;; [unrolled: 26-line block ×3, first 2 shown]
	s_and_saveexec_b32 s23, s75
; %bb.318:                              ;   in Loop: Header=BB189_3 Depth=1
	ds_store_b128 v54, v[14:17]
; %bb.319:                              ;   in Loop: Header=BB189_3 Depth=1
	s_or_b32 exec_lo, exec_lo, s23
	s_wait_dscnt 0x0
	s_barrier_signal -1
	s_barrier_wait -1
	s_barrier_signal -1
	s_barrier_wait -1
	s_and_saveexec_b32 s23, s6
; %bb.320:                              ;   in Loop: Header=BB189_3 Depth=1
	v_xor_b32_e32 v17, 0x80000000, v17
	v_xor_b32_e32 v15, 0x80000000, v15
	ds_store_b128 v55, v[14:17] offset:8512
; %bb.321:                              ;   in Loop: Header=BB189_3 Depth=1
	s_or_b32 exec_lo, exec_lo, s23
	s_wait_dscnt 0x0
	s_barrier_signal -1
	s_barrier_wait -1
	s_barrier_signal -1
	s_barrier_wait -1
	s_and_saveexec_b32 s23, s76
	s_cbranch_execz .LBB189_323
; %bb.322:                              ;   in Loop: Header=BB189_3 Depth=1
	ds_load_b128 v[14:17], v89
	s_wait_dscnt 0x0
	ds_store_b128 v179, v[14:17]
	ds_load_b128 v[14:17], v92
	s_wait_dscnt 0x0
	ds_store_b128 v182, v[14:17]
	ds_load_b128 v[14:17], v91
	s_wait_dscnt 0x0
	ds_store_b128 v181, v[14:17]
	ds_load_b128 v[14:17], v90
	s_wait_dscnt 0x0
	ds_store_b128 v180, v[14:17]
.LBB189_323:                            ;   in Loop: Header=BB189_3 Depth=1
	s_or_b32 exec_lo, exec_lo, s23
	s_wait_dscnt 0x0
	s_barrier_signal -1
	s_barrier_wait -1
	s_and_saveexec_b32 s42, s29
	s_cbranch_execz .LBB189_325
; %bb.324:                              ;   in Loop: Header=BB189_3 Depth=1
	s_mov_b32 s48, s53
	s_mov_b32 s50, s53
	;; [unrolled: 1-line block ×3, first 2 shown]
	v_mov_b64_e32 v[14:15], s[48:49]
	v_mov_b64_e32 v[16:17], s[50:51]
	ds_store_b128 v2, v[14:17] offset:10560
	ds_store_b128 v2, v[14:17] offset:11088
	ds_load_b128 v[14:17], v2 offset:10576
	s_wait_dscnt 0x0
	ds_store_b128 v2, v[14:17] offset:11072
.LBB189_325:                            ;   in Loop: Header=BB189_3 Depth=1
	s_or_b32 exec_lo, exec_lo, s42
	v_mov_b64_e32 v[16:17], 0
	v_mov_b64_e32 v[14:15], 0
	s_wait_dscnt 0x0
	s_barrier_signal -1
	s_barrier_wait -1
	s_and_saveexec_b32 s42, s3
	s_cbranch_execz .LBB189_329
; %bb.326:                              ;   in Loop: Header=BB189_3 Depth=1
	ds_load_b128 v[14:17], v47 offset:10560
	ds_load_b128 v[40:43], v46 offset:10592
	s_wait_dscnt 0x0
	v_mul_f64_e32 v[4:5], v[16:17], v[42:43]
	v_mul_f64_e32 v[42:43], v[14:15], v[42:43]
	s_delay_alu instid0(VALU_DEP_2) | instskip(NEXT) | instid1(VALU_DEP_2)
	v_fma_f64 v[4:5], v[14:15], v[40:41], -v[4:5]
	v_fmac_f64_e32 v[42:43], v[16:17], v[40:41]
	s_delay_alu instid0(VALU_DEP_2) | instskip(NEXT) | instid1(VALU_DEP_2)
	v_add_f64_e32 v[14:15], 0, v[4:5]
	v_add_f64_e32 v[16:17], 0, v[42:43]
	s_and_saveexec_b32 s23, s4
	s_cbranch_execz .LBB189_328
; %bb.327:                              ;   in Loop: Header=BB189_3 Depth=1
	ds_load_b128 v[40:43], v2 offset:10576
	ds_load_b128 v[206:209], v86 offset:11104
	s_wait_dscnt 0x0
	v_mul_f64_e32 v[4:5], v[42:43], v[208:209]
	s_delay_alu instid0(VALU_DEP_1) | instskip(SKIP_1) | instid1(VALU_DEP_2)
	v_fma_f64 v[4:5], v[40:41], v[206:207], -v[4:5]
	v_mul_f64_e32 v[40:41], v[40:41], v[208:209]
	v_add_f64_e32 v[14:15], v[14:15], v[4:5]
	s_delay_alu instid0(VALU_DEP_2) | instskip(NEXT) | instid1(VALU_DEP_1)
	v_fmac_f64_e32 v[40:41], v[42:43], v[206:207]
	v_add_f64_e32 v[16:17], v[16:17], v[40:41]
.LBB189_328:                            ;   in Loop: Header=BB189_3 Depth=1
	s_or_b32 exec_lo, exec_lo, s23
	s_delay_alu instid0(VALU_DEP_2) | instskip(NEXT) | instid1(VALU_DEP_2)
	v_xor_b32_e32 v15, 0x80000000, v15
	v_xor_b32_e32 v17, 0x80000000, v17
.LBB189_329:                            ;   in Loop: Header=BB189_3 Depth=1
	s_or_b32 exec_lo, exec_lo, s42
	s_and_saveexec_b32 s23, s67
; %bb.330:                              ;   in Loop: Header=BB189_3 Depth=1
	ds_store_b128 v23, v[14:17]
; %bb.331:                              ;   in Loop: Header=BB189_3 Depth=1
	s_or_b32 exec_lo, exec_lo, s23
	s_wait_dscnt 0x0
	s_barrier_signal -1
	s_barrier_wait -1
	s_and_saveexec_b32 s23, s68
	s_cbranch_execz .LBB189_333
; %bb.332:                              ;   in Loop: Header=BB189_3 Depth=1
	ds_load_b128 v[40:43], v23
	ds_load_b128 v[206:209], v2 offset:11632
	s_wait_dscnt 0x0
	v_mul_f64_e32 v[4:5], v[42:43], v[208:209]
	s_delay_alu instid0(VALU_DEP_1) | instskip(SKIP_1) | instid1(VALU_DEP_2)
	v_fma_f64 v[4:5], v[40:41], v[206:207], -v[4:5]
	v_mul_f64_e32 v[40:41], v[40:41], v[208:209]
	v_add_f64_e32 v[14:15], v[14:15], v[4:5]
	s_delay_alu instid0(VALU_DEP_2) | instskip(NEXT) | instid1(VALU_DEP_1)
	v_fmac_f64_e32 v[40:41], v[42:43], v[206:207]
	v_add_f64_e32 v[16:17], v[16:17], v[40:41]
.LBB189_333:                            ;   in Loop: Header=BB189_3 Depth=1
	s_or_b32 exec_lo, exec_lo, s23
	s_barrier_signal -1
	s_barrier_wait -1
	s_and_saveexec_b32 s23, s68
; %bb.334:                              ;   in Loop: Header=BB189_3 Depth=1
	ds_store_b128 v23, v[14:17]
; %bb.335:                              ;   in Loop: Header=BB189_3 Depth=1
	s_or_b32 exec_lo, exec_lo, s23
	s_wait_dscnt 0x0
	s_barrier_signal -1
	s_barrier_wait -1
	s_barrier_signal -1
	s_barrier_wait -1
	s_and_saveexec_b32 s23, s3
; %bb.336:                              ;   in Loop: Header=BB189_3 Depth=1
	v_xor_b32_e32 v15, 0x80000000, v15
	v_xor_b32_e32 v17, 0x80000000, v17
	ds_store_b128 v46, v[14:17] offset:10592
; %bb.337:                              ;   in Loop: Header=BB189_3 Depth=1
	s_or_b32 exec_lo, exec_lo, s23
	s_wait_dscnt 0x0
	s_barrier_signal -1
	s_barrier_wait -1
	s_barrier_signal -1
	s_barrier_wait -1
	s_and_saveexec_b32 s23, s69
	s_cbranch_execz .LBB189_339
; %bb.338:                              ;   in Loop: Header=BB189_3 Depth=1
	ds_load_b128 v[14:17], v102
	s_wait_dscnt 0x0
	ds_store_b128 v183, v[14:17]
	ds_load_b128 v[14:17], v103
	s_wait_dscnt 0x0
	ds_store_b128 v184, v[14:17]
.LBB189_339:                            ;   in Loop: Header=BB189_3 Depth=1
	s_or_b32 exec_lo, exec_lo, s23
	s_wait_dscnt 0x0
	s_barrier_signal -1
	s_barrier_wait -1
	s_and_saveexec_b32 s42, s29
	s_cbranch_execz .LBB189_341
; %bb.340:                              ;   in Loop: Header=BB189_3 Depth=1
	s_mov_b32 s48, s53
	s_mov_b32 s50, s53
	;; [unrolled: 1-line block ×3, first 2 shown]
	v_mov_b64_e32 v[14:15], s[48:49]
	v_mov_b64_e32 v[16:17], s[50:51]
	ds_store_b128 v2, v[14:17] offset:11616
	ds_store_b128 v2, v[14:17] offset:12144
	ds_load_b128 v[14:17], v2 offset:11632
	s_wait_dscnt 0x0
	ds_store_b128 v2, v[14:17] offset:12128
.LBB189_341:                            ;   in Loop: Header=BB189_3 Depth=1
	s_or_b32 exec_lo, exec_lo, s42
	v_mov_b64_e32 v[16:17], 0
	v_mov_b64_e32 v[14:15], 0
	s_wait_dscnt 0x0
	s_barrier_signal -1
	s_barrier_wait -1
	s_and_saveexec_b32 s42, s9
	s_cbranch_execz .LBB189_351
; %bb.342:                              ;   in Loop: Header=BB189_3 Depth=1
	ds_load_b128 v[14:17], v57 offset:8448
	ds_load_b128 v[40:43], v62 offset:8576
	v_readlane_b32 s20, v205, 0
	s_wait_dscnt 0x0
	v_mul_f64_e32 v[4:5], v[16:17], v[42:43]
	v_mul_f64_e32 v[42:43], v[14:15], v[42:43]
	s_delay_alu instid0(VALU_DEP_2) | instskip(NEXT) | instid1(VALU_DEP_2)
	v_fma_f64 v[4:5], v[14:15], v[40:41], -v[4:5]
	v_fmac_f64_e32 v[42:43], v[16:17], v[40:41]
	s_delay_alu instid0(VALU_DEP_2) | instskip(NEXT) | instid1(VALU_DEP_2)
	v_add_f64_e32 v[14:15], 0, v[4:5]
	v_add_f64_e32 v[16:17], 0, v[42:43]
	s_and_saveexec_b32 s23, s20
	s_cbranch_execnz .LBB189_534
; %bb.343:                              ;   in Loop: Header=BB189_3 Depth=1
	s_or_b32 exec_lo, exec_lo, s23
	s_and_saveexec_b32 s23, s11
	s_cbranch_execnz .LBB189_535
.LBB189_344:                            ;   in Loop: Header=BB189_3 Depth=1
	s_or_b32 exec_lo, exec_lo, s23
	s_and_saveexec_b32 s23, s15
	s_cbranch_execnz .LBB189_536
.LBB189_345:                            ;   in Loop: Header=BB189_3 Depth=1
	s_or_b32 exec_lo, exec_lo, s23
	s_and_saveexec_b32 s23, s16
	s_cbranch_execnz .LBB189_537
.LBB189_346:                            ;   in Loop: Header=BB189_3 Depth=1
	s_or_b32 exec_lo, exec_lo, s23
	s_and_saveexec_b32 s23, s17
	s_cbranch_execnz .LBB189_538
.LBB189_347:                            ;   in Loop: Header=BB189_3 Depth=1
	s_or_b32 exec_lo, exec_lo, s23
	s_and_saveexec_b32 s23, s6
	s_cbranch_execnz .LBB189_539
.LBB189_348:                            ;   in Loop: Header=BB189_3 Depth=1
	s_or_b32 exec_lo, exec_lo, s23
	s_and_saveexec_b32 s23, s8
	s_cbranch_execz .LBB189_350
.LBB189_349:                            ;   in Loop: Header=BB189_3 Depth=1
	ds_load_b128 v[40:43], v2 offset:8560
	ds_load_b128 v[206:209], v48 offset:12160
	s_wait_dscnt 0x0
	v_mul_f64_e32 v[4:5], v[42:43], v[208:209]
	s_delay_alu instid0(VALU_DEP_1) | instskip(SKIP_1) | instid1(VALU_DEP_2)
	v_fma_f64 v[4:5], v[40:41], v[206:207], -v[4:5]
	v_mul_f64_e32 v[40:41], v[40:41], v[208:209]
	v_add_f64_e32 v[14:15], v[14:15], v[4:5]
	s_delay_alu instid0(VALU_DEP_2) | instskip(NEXT) | instid1(VALU_DEP_1)
	v_fmac_f64_e32 v[40:41], v[42:43], v[206:207]
	v_add_f64_e32 v[16:17], v[16:17], v[40:41]
.LBB189_350:                            ;   in Loop: Header=BB189_3 Depth=1
	s_or_b32 exec_lo, exec_lo, s23
	s_delay_alu instid0(VALU_DEP_2) | instskip(NEXT) | instid1(VALU_DEP_2)
	v_xor_b32_e32 v15, 0x80000000, v15
	v_xor_b32_e32 v17, 0x80000000, v17
.LBB189_351:                            ;   in Loop: Header=BB189_3 Depth=1
	s_or_b32 exec_lo, exec_lo, s42
	s_and_saveexec_b32 s23, s77
; %bb.352:                              ;   in Loop: Header=BB189_3 Depth=1
	ds_store_b128 v61, v[14:17]
; %bb.353:                              ;   in Loop: Header=BB189_3 Depth=1
	s_or_b32 exec_lo, exec_lo, s23
	s_wait_dscnt 0x0
	s_barrier_signal -1
	s_barrier_wait -1
	s_and_saveexec_b32 s23, s78
	s_cbranch_execz .LBB189_355
; %bb.354:                              ;   in Loop: Header=BB189_3 Depth=1
	ds_load_b128 v[40:43], v61
	ds_load_b128 v[206:209], v59 offset:12672
	s_wait_dscnt 0x0
	v_mul_f64_e32 v[4:5], v[42:43], v[208:209]
	s_delay_alu instid0(VALU_DEP_1) | instskip(SKIP_1) | instid1(VALU_DEP_2)
	v_fma_f64 v[4:5], v[40:41], v[206:207], -v[4:5]
	v_mul_f64_e32 v[40:41], v[40:41], v[208:209]
	v_add_f64_e32 v[14:15], v[14:15], v[4:5]
	s_delay_alu instid0(VALU_DEP_2) | instskip(NEXT) | instid1(VALU_DEP_1)
	v_fmac_f64_e32 v[40:41], v[42:43], v[206:207]
	v_add_f64_e32 v[16:17], v[16:17], v[40:41]
.LBB189_355:                            ;   in Loop: Header=BB189_3 Depth=1
	s_or_b32 exec_lo, exec_lo, s23
	s_barrier_signal -1
	s_barrier_wait -1
	s_and_saveexec_b32 s23, s79
; %bb.356:                              ;   in Loop: Header=BB189_3 Depth=1
	ds_store_b128 v61, v[14:17]
; %bb.357:                              ;   in Loop: Header=BB189_3 Depth=1
	s_or_b32 exec_lo, exec_lo, s23
	s_wait_dscnt 0x0
	s_barrier_signal -1
	s_barrier_wait -1
	s_and_saveexec_b32 s23, s80
	s_cbranch_execz .LBB189_359
; %bb.358:                              ;   in Loop: Header=BB189_3 Depth=1
	ds_load_b128 v[40:43], v61
	ds_load_b128 v[206:209], v59 offset:13184
	s_wait_dscnt 0x0
	v_mul_f64_e32 v[4:5], v[42:43], v[208:209]
	s_delay_alu instid0(VALU_DEP_1) | instskip(SKIP_1) | instid1(VALU_DEP_2)
	v_fma_f64 v[4:5], v[40:41], v[206:207], -v[4:5]
	v_mul_f64_e32 v[40:41], v[40:41], v[208:209]
	v_add_f64_e32 v[14:15], v[14:15], v[4:5]
	s_delay_alu instid0(VALU_DEP_2) | instskip(NEXT) | instid1(VALU_DEP_1)
	v_fmac_f64_e32 v[40:41], v[42:43], v[206:207]
	v_add_f64_e32 v[16:17], v[16:17], v[40:41]
.LBB189_359:                            ;   in Loop: Header=BB189_3 Depth=1
	s_or_b32 exec_lo, exec_lo, s23
	s_barrier_signal -1
	s_barrier_wait -1
	;; [unrolled: 26-line block ×7, first 2 shown]
	s_and_saveexec_b32 s23, s90
; %bb.380:                              ;   in Loop: Header=BB189_3 Depth=1
	ds_store_b128 v61, v[14:17]
; %bb.381:                              ;   in Loop: Header=BB189_3 Depth=1
	s_or_b32 exec_lo, exec_lo, s23
	s_wait_dscnt 0x0
	s_barrier_signal -1
	s_barrier_wait -1
	s_barrier_signal -1
	s_barrier_wait -1
	s_and_saveexec_b32 s23, s9
; %bb.382:                              ;   in Loop: Header=BB189_3 Depth=1
	v_xor_b32_e32 v15, 0x80000000, v15
	v_xor_b32_e32 v17, 0x80000000, v17
	ds_store_b128 v62, v[14:17] offset:8576
; %bb.383:                              ;   in Loop: Header=BB189_3 Depth=1
	s_or_b32 exec_lo, exec_lo, s23
	s_wait_dscnt 0x0
	s_barrier_signal -1
	s_barrier_wait -1
	s_barrier_signal -1
	s_barrier_wait -1
	s_and_saveexec_b32 s23, s91
	s_cbranch_execz .LBB189_385
; %bb.384:                              ;   in Loop: Header=BB189_3 Depth=1
	ds_load_b128 v[14:17], v76
	s_wait_dscnt 0x0
	ds_store_b128 v185, v[14:17]
	ds_load_b128 v[14:17], v77
	s_wait_dscnt 0x0
	ds_store_b128 v186, v[14:17]
	;; [unrolled: 3-line block ×8, first 2 shown]
.LBB189_385:                            ;   in Loop: Header=BB189_3 Depth=1
	s_or_b32 exec_lo, exec_lo, s23
	s_wait_dscnt 0x0
	s_barrier_signal -1
	s_barrier_wait -1
	s_and_saveexec_b32 s42, s29
	s_cbranch_execz .LBB189_387
; %bb.386:                              ;   in Loop: Header=BB189_3 Depth=1
	s_mov_b32 s48, s53
	s_mov_b32 s50, s53
	;; [unrolled: 1-line block ×3, first 2 shown]
	v_mov_b64_e32 v[14:15], s[48:49]
	v_mov_b64_e32 v[16:17], s[50:51]
	ds_store_b128 v2, v[14:17] offset:12672
	ds_store_b128 v2, v[14:17] offset:13200
	ds_load_b128 v[14:17], v2 offset:12688
	s_wait_dscnt 0x0
	ds_store_b128 v2, v[14:17] offset:13184
.LBB189_387:                            ;   in Loop: Header=BB189_3 Depth=1
	s_or_b32 exec_lo, exec_lo, s42
	v_mov_b64_e32 v[16:17], 0
	v_mov_b64_e32 v[14:15], 0
	s_wait_dscnt 0x0
	s_barrier_signal -1
	s_barrier_wait -1
	s_and_saveexec_b32 s42, s3
	s_cbranch_execz .LBB189_391
; %bb.388:                              ;   in Loop: Header=BB189_3 Depth=1
	ds_load_b128 v[14:17], v47 offset:12672
	ds_load_b128 v[40:43], v46 offset:12704
	s_wait_dscnt 0x0
	v_mul_f64_e32 v[4:5], v[16:17], v[42:43]
	v_mul_f64_e32 v[42:43], v[14:15], v[42:43]
	s_delay_alu instid0(VALU_DEP_2) | instskip(NEXT) | instid1(VALU_DEP_2)
	v_fma_f64 v[4:5], v[14:15], v[40:41], -v[4:5]
	v_fmac_f64_e32 v[42:43], v[16:17], v[40:41]
	s_delay_alu instid0(VALU_DEP_2) | instskip(NEXT) | instid1(VALU_DEP_2)
	v_add_f64_e32 v[14:15], 0, v[4:5]
	v_add_f64_e32 v[16:17], 0, v[42:43]
	s_and_saveexec_b32 s23, s4
	s_cbranch_execz .LBB189_390
; %bb.389:                              ;   in Loop: Header=BB189_3 Depth=1
	ds_load_b128 v[40:43], v2 offset:12688
	ds_load_b128 v[206:209], v53 offset:13216
	s_wait_dscnt 0x0
	v_mul_f64_e32 v[4:5], v[42:43], v[208:209]
	s_delay_alu instid0(VALU_DEP_1) | instskip(SKIP_1) | instid1(VALU_DEP_2)
	v_fma_f64 v[4:5], v[40:41], v[206:207], -v[4:5]
	v_mul_f64_e32 v[40:41], v[40:41], v[208:209]
	v_add_f64_e32 v[14:15], v[14:15], v[4:5]
	s_delay_alu instid0(VALU_DEP_2) | instskip(NEXT) | instid1(VALU_DEP_1)
	v_fmac_f64_e32 v[40:41], v[42:43], v[206:207]
	v_add_f64_e32 v[16:17], v[16:17], v[40:41]
.LBB189_390:                            ;   in Loop: Header=BB189_3 Depth=1
	s_or_b32 exec_lo, exec_lo, s23
	s_delay_alu instid0(VALU_DEP_2) | instskip(NEXT) | instid1(VALU_DEP_2)
	v_xor_b32_e32 v15, 0x80000000, v15
	v_xor_b32_e32 v17, 0x80000000, v17
.LBB189_391:                            ;   in Loop: Header=BB189_3 Depth=1
	s_or_b32 exec_lo, exec_lo, s42
	s_and_saveexec_b32 s23, s67
; %bb.392:                              ;   in Loop: Header=BB189_3 Depth=1
	ds_store_b128 v23, v[14:17]
; %bb.393:                              ;   in Loop: Header=BB189_3 Depth=1
	s_or_b32 exec_lo, exec_lo, s23
	s_wait_dscnt 0x0
	s_barrier_signal -1
	s_barrier_wait -1
	s_and_saveexec_b32 s23, s68
	s_cbranch_execz .LBB189_395
; %bb.394:                              ;   in Loop: Header=BB189_3 Depth=1
	ds_load_b128 v[40:43], v23
	ds_load_b128 v[206:209], v2 offset:13744
	s_wait_dscnt 0x0
	v_mul_f64_e32 v[4:5], v[42:43], v[208:209]
	s_delay_alu instid0(VALU_DEP_1) | instskip(SKIP_1) | instid1(VALU_DEP_2)
	v_fma_f64 v[4:5], v[40:41], v[206:207], -v[4:5]
	v_mul_f64_e32 v[40:41], v[40:41], v[208:209]
	v_add_f64_e32 v[14:15], v[14:15], v[4:5]
	s_delay_alu instid0(VALU_DEP_2) | instskip(NEXT) | instid1(VALU_DEP_1)
	v_fmac_f64_e32 v[40:41], v[42:43], v[206:207]
	v_add_f64_e32 v[16:17], v[16:17], v[40:41]
.LBB189_395:                            ;   in Loop: Header=BB189_3 Depth=1
	s_or_b32 exec_lo, exec_lo, s23
	s_barrier_signal -1
	s_barrier_wait -1
	s_and_saveexec_b32 s23, s68
; %bb.396:                              ;   in Loop: Header=BB189_3 Depth=1
	ds_store_b128 v23, v[14:17]
; %bb.397:                              ;   in Loop: Header=BB189_3 Depth=1
	s_or_b32 exec_lo, exec_lo, s23
	s_wait_dscnt 0x0
	s_barrier_signal -1
	s_barrier_wait -1
	s_barrier_signal -1
	s_barrier_wait -1
	s_and_saveexec_b32 s23, s3
; %bb.398:                              ;   in Loop: Header=BB189_3 Depth=1
	v_xor_b32_e32 v15, 0x80000000, v15
	v_xor_b32_e32 v17, 0x80000000, v17
	ds_store_b128 v46, v[14:17] offset:12704
; %bb.399:                              ;   in Loop: Header=BB189_3 Depth=1
	s_or_b32 exec_lo, exec_lo, s23
	s_wait_dscnt 0x0
	s_barrier_signal -1
	s_barrier_wait -1
	s_barrier_signal -1
	s_barrier_wait -1
	s_and_saveexec_b32 s23, s69
	s_cbranch_execz .LBB189_401
; %bb.400:                              ;   in Loop: Header=BB189_3 Depth=1
	ds_load_b128 v[14:17], v93
	s_wait_dscnt 0x0
	ds_store_b128 v193, v[14:17]
	ds_load_b128 v[14:17], v94
	s_wait_dscnt 0x0
	ds_store_b128 v194, v[14:17]
.LBB189_401:                            ;   in Loop: Header=BB189_3 Depth=1
	s_or_b32 exec_lo, exec_lo, s23
	s_wait_dscnt 0x0
	s_barrier_signal -1
	s_barrier_wait -1
	s_and_saveexec_b32 s42, s29
	s_cbranch_execz .LBB189_403
; %bb.402:                              ;   in Loop: Header=BB189_3 Depth=1
	s_mov_b32 s48, s53
	s_mov_b32 s50, s53
	;; [unrolled: 1-line block ×3, first 2 shown]
	v_mov_b64_e32 v[14:15], s[48:49]
	v_mov_b64_e32 v[16:17], s[50:51]
	ds_store_b128 v2, v[14:17] offset:13728
	ds_store_b128 v2, v[14:17] offset:14256
	ds_load_b128 v[14:17], v2 offset:13744
	s_wait_dscnt 0x0
	ds_store_b128 v2, v[14:17] offset:14240
.LBB189_403:                            ;   in Loop: Header=BB189_3 Depth=1
	s_or_b32 exec_lo, exec_lo, s42
	v_mov_b64_e32 v[16:17], 0
	v_mov_b64_e32 v[14:15], 0
	s_wait_dscnt 0x0
	s_barrier_signal -1
	s_barrier_wait -1
	s_and_saveexec_b32 s42, s6
	s_cbranch_execz .LBB189_409
; %bb.404:                              ;   in Loop: Header=BB189_3 Depth=1
	ds_load_b128 v[14:17], v50 offset:12672
	ds_load_b128 v[40:43], v55 offset:12736
	s_wait_dscnt 0x0
	v_mul_f64_e32 v[4:5], v[16:17], v[42:43]
	v_mul_f64_e32 v[42:43], v[14:15], v[42:43]
	s_delay_alu instid0(VALU_DEP_2) | instskip(NEXT) | instid1(VALU_DEP_2)
	v_fma_f64 v[4:5], v[14:15], v[40:41], -v[4:5]
	v_fmac_f64_e32 v[42:43], v[16:17], v[40:41]
	s_delay_alu instid0(VALU_DEP_2) | instskip(NEXT) | instid1(VALU_DEP_2)
	v_add_f64_e32 v[14:15], 0, v[4:5]
	v_add_f64_e32 v[16:17], 0, v[42:43]
	s_and_saveexec_b32 s23, s7
	s_cbranch_execnz .LBB189_540
; %bb.405:                              ;   in Loop: Header=BB189_3 Depth=1
	s_or_b32 exec_lo, exec_lo, s23
	s_and_saveexec_b32 s23, s8
	s_cbranch_execnz .LBB189_541
.LBB189_406:                            ;   in Loop: Header=BB189_3 Depth=1
	s_or_b32 exec_lo, exec_lo, s23
	s_and_saveexec_b32 s23, s3
	s_cbranch_execz .LBB189_408
.LBB189_407:                            ;   in Loop: Header=BB189_3 Depth=1
	ds_load_b128 v[40:43], v2 offset:12720
	ds_load_b128 v[206:209], v86 offset:14272
	s_wait_dscnt 0x0
	v_mul_f64_e32 v[4:5], v[42:43], v[208:209]
	s_delay_alu instid0(VALU_DEP_1) | instskip(SKIP_1) | instid1(VALU_DEP_2)
	v_fma_f64 v[4:5], v[40:41], v[206:207], -v[4:5]
	v_mul_f64_e32 v[40:41], v[40:41], v[208:209]
	v_add_f64_e32 v[14:15], v[14:15], v[4:5]
	s_delay_alu instid0(VALU_DEP_2) | instskip(NEXT) | instid1(VALU_DEP_1)
	v_fmac_f64_e32 v[40:41], v[42:43], v[206:207]
	v_add_f64_e32 v[16:17], v[16:17], v[40:41]
.LBB189_408:                            ;   in Loop: Header=BB189_3 Depth=1
	s_or_b32 exec_lo, exec_lo, s23
	s_delay_alu instid0(VALU_DEP_2) | instskip(NEXT) | instid1(VALU_DEP_2)
	v_xor_b32_e32 v15, 0x80000000, v15
	v_xor_b32_e32 v17, 0x80000000, v17
.LBB189_409:                            ;   in Loop: Header=BB189_3 Depth=1
	s_or_b32 exec_lo, exec_lo, s42
	s_and_saveexec_b32 s23, s70
; %bb.410:                              ;   in Loop: Header=BB189_3 Depth=1
	ds_store_b128 v54, v[14:17]
; %bb.411:                              ;   in Loop: Header=BB189_3 Depth=1
	s_or_b32 exec_lo, exec_lo, s23
	s_wait_dscnt 0x0
	s_barrier_signal -1
	s_barrier_wait -1
	s_and_saveexec_b32 s23, s71
	s_cbranch_execz .LBB189_413
; %bb.412:                              ;   in Loop: Header=BB189_3 Depth=1
	ds_load_b128 v[40:43], v54
	ds_load_b128 v[206:209], v52 offset:14784
	s_wait_dscnt 0x0
	v_mul_f64_e32 v[4:5], v[42:43], v[208:209]
	s_delay_alu instid0(VALU_DEP_1) | instskip(SKIP_1) | instid1(VALU_DEP_2)
	v_fma_f64 v[4:5], v[40:41], v[206:207], -v[4:5]
	v_mul_f64_e32 v[40:41], v[40:41], v[208:209]
	v_add_f64_e32 v[14:15], v[14:15], v[4:5]
	s_delay_alu instid0(VALU_DEP_2) | instskip(NEXT) | instid1(VALU_DEP_1)
	v_fmac_f64_e32 v[40:41], v[42:43], v[206:207]
	v_add_f64_e32 v[16:17], v[16:17], v[40:41]
.LBB189_413:                            ;   in Loop: Header=BB189_3 Depth=1
	s_or_b32 exec_lo, exec_lo, s23
	s_barrier_signal -1
	s_barrier_wait -1
	s_and_saveexec_b32 s23, s72
; %bb.414:                              ;   in Loop: Header=BB189_3 Depth=1
	ds_store_b128 v54, v[14:17]
; %bb.415:                              ;   in Loop: Header=BB189_3 Depth=1
	s_or_b32 exec_lo, exec_lo, s23
	s_wait_dscnt 0x0
	s_barrier_signal -1
	s_barrier_wait -1
	s_and_saveexec_b32 s23, s73
	s_cbranch_execz .LBB189_417
; %bb.416:                              ;   in Loop: Header=BB189_3 Depth=1
	ds_load_b128 v[40:43], v54
	ds_load_b128 v[206:209], v52 offset:15296
	s_wait_dscnt 0x0
	v_mul_f64_e32 v[4:5], v[42:43], v[208:209]
	s_delay_alu instid0(VALU_DEP_1) | instskip(SKIP_1) | instid1(VALU_DEP_2)
	v_fma_f64 v[4:5], v[40:41], v[206:207], -v[4:5]
	v_mul_f64_e32 v[40:41], v[40:41], v[208:209]
	v_add_f64_e32 v[14:15], v[14:15], v[4:5]
	s_delay_alu instid0(VALU_DEP_2) | instskip(NEXT) | instid1(VALU_DEP_1)
	v_fmac_f64_e32 v[40:41], v[42:43], v[206:207]
	v_add_f64_e32 v[16:17], v[16:17], v[40:41]
.LBB189_417:                            ;   in Loop: Header=BB189_3 Depth=1
	s_or_b32 exec_lo, exec_lo, s23
	s_barrier_signal -1
	s_barrier_wait -1
	;; [unrolled: 26-line block ×3, first 2 shown]
	s_and_saveexec_b32 s23, s75
; %bb.422:                              ;   in Loop: Header=BB189_3 Depth=1
	ds_store_b128 v54, v[14:17]
; %bb.423:                              ;   in Loop: Header=BB189_3 Depth=1
	s_or_b32 exec_lo, exec_lo, s23
	s_wait_dscnt 0x0
	s_barrier_signal -1
	s_barrier_wait -1
	s_barrier_signal -1
	s_barrier_wait -1
	s_and_saveexec_b32 s23, s6
; %bb.424:                              ;   in Loop: Header=BB189_3 Depth=1
	v_xor_b32_e32 v17, 0x80000000, v17
	v_xor_b32_e32 v15, 0x80000000, v15
	ds_store_b128 v55, v[14:17] offset:12736
; %bb.425:                              ;   in Loop: Header=BB189_3 Depth=1
	s_or_b32 exec_lo, exec_lo, s23
	s_wait_dscnt 0x0
	s_barrier_signal -1
	s_barrier_wait -1
	s_barrier_signal -1
	s_barrier_wait -1
	s_and_saveexec_b32 s23, s76
	s_cbranch_execz .LBB189_427
; %bb.426:                              ;   in Loop: Header=BB189_3 Depth=1
	ds_load_b128 v[14:17], v104
	s_wait_dscnt 0x0
	ds_store_b128 v195, v[14:17]
	ds_load_b128 v[14:17], v107
	s_wait_dscnt 0x0
	ds_store_b128 v198, v[14:17]
	;; [unrolled: 3-line block ×4, first 2 shown]
.LBB189_427:                            ;   in Loop: Header=BB189_3 Depth=1
	s_or_b32 exec_lo, exec_lo, s23
	s_wait_dscnt 0x0
	s_barrier_signal -1
	s_barrier_wait -1
	s_and_saveexec_b32 s42, s29
	s_cbranch_execz .LBB189_429
; %bb.428:                              ;   in Loop: Header=BB189_3 Depth=1
	s_mov_b32 s48, s53
	s_mov_b32 s50, s53
	;; [unrolled: 1-line block ×3, first 2 shown]
	v_mov_b64_e32 v[14:15], s[48:49]
	v_mov_b64_e32 v[16:17], s[50:51]
	ds_store_b128 v2, v[14:17] offset:14784
	ds_store_b128 v2, v[14:17] offset:15312
	ds_load_b128 v[14:17], v2 offset:14800
	s_wait_dscnt 0x0
	ds_store_b128 v2, v[14:17] offset:15296
.LBB189_429:                            ;   in Loop: Header=BB189_3 Depth=1
	s_or_b32 exec_lo, exec_lo, s42
	v_mov_b64_e32 v[16:17], 0
	v_mov_b64_e32 v[14:15], 0
	s_wait_dscnt 0x0
	s_barrier_signal -1
	s_barrier_wait -1
	s_and_saveexec_b32 s42, s3
	s_cbranch_execz .LBB189_433
; %bb.430:                              ;   in Loop: Header=BB189_3 Depth=1
	ds_load_b128 v[14:17], v47 offset:14784
	ds_load_b128 v[40:43], v46 offset:14816
	s_wait_dscnt 0x0
	v_mul_f64_e32 v[4:5], v[16:17], v[42:43]
	v_mul_f64_e32 v[42:43], v[14:15], v[42:43]
	s_delay_alu instid0(VALU_DEP_2) | instskip(NEXT) | instid1(VALU_DEP_2)
	v_fma_f64 v[4:5], v[14:15], v[40:41], -v[4:5]
	v_fmac_f64_e32 v[42:43], v[16:17], v[40:41]
	s_delay_alu instid0(VALU_DEP_2) | instskip(NEXT) | instid1(VALU_DEP_2)
	v_add_f64_e32 v[14:15], 0, v[4:5]
	v_add_f64_e32 v[16:17], 0, v[42:43]
	s_and_saveexec_b32 s23, s4
	s_cbranch_execz .LBB189_432
; %bb.431:                              ;   in Loop: Header=BB189_3 Depth=1
	ds_load_b128 v[40:43], v2 offset:14800
	ds_load_b128 v[206:209], v97 offset:15328
	s_wait_dscnt 0x0
	v_mul_f64_e32 v[4:5], v[42:43], v[208:209]
	s_delay_alu instid0(VALU_DEP_1) | instskip(SKIP_1) | instid1(VALU_DEP_2)
	v_fma_f64 v[4:5], v[40:41], v[206:207], -v[4:5]
	v_mul_f64_e32 v[40:41], v[40:41], v[208:209]
	v_add_f64_e32 v[14:15], v[14:15], v[4:5]
	s_delay_alu instid0(VALU_DEP_2) | instskip(NEXT) | instid1(VALU_DEP_1)
	v_fmac_f64_e32 v[40:41], v[42:43], v[206:207]
	v_add_f64_e32 v[16:17], v[16:17], v[40:41]
.LBB189_432:                            ;   in Loop: Header=BB189_3 Depth=1
	s_or_b32 exec_lo, exec_lo, s23
	s_delay_alu instid0(VALU_DEP_2) | instskip(NEXT) | instid1(VALU_DEP_2)
	v_xor_b32_e32 v15, 0x80000000, v15
	v_xor_b32_e32 v17, 0x80000000, v17
.LBB189_433:                            ;   in Loop: Header=BB189_3 Depth=1
	s_or_b32 exec_lo, exec_lo, s42
	s_and_saveexec_b32 s23, s67
; %bb.434:                              ;   in Loop: Header=BB189_3 Depth=1
	ds_store_b128 v23, v[14:17]
; %bb.435:                              ;   in Loop: Header=BB189_3 Depth=1
	s_or_b32 exec_lo, exec_lo, s23
	s_wait_dscnt 0x0
	s_barrier_signal -1
	s_barrier_wait -1
	s_and_saveexec_b32 s23, s68
	s_cbranch_execz .LBB189_437
; %bb.436:                              ;   in Loop: Header=BB189_3 Depth=1
	ds_load_b128 v[40:43], v23
	ds_load_b128 v[206:209], v2 offset:15856
	s_wait_dscnt 0x0
	v_mul_f64_e32 v[4:5], v[42:43], v[208:209]
	s_delay_alu instid0(VALU_DEP_1) | instskip(SKIP_1) | instid1(VALU_DEP_2)
	v_fma_f64 v[4:5], v[40:41], v[206:207], -v[4:5]
	v_mul_f64_e32 v[40:41], v[40:41], v[208:209]
	v_add_f64_e32 v[14:15], v[14:15], v[4:5]
	s_delay_alu instid0(VALU_DEP_2) | instskip(NEXT) | instid1(VALU_DEP_1)
	v_fmac_f64_e32 v[40:41], v[42:43], v[206:207]
	v_add_f64_e32 v[16:17], v[16:17], v[40:41]
.LBB189_437:                            ;   in Loop: Header=BB189_3 Depth=1
	s_or_b32 exec_lo, exec_lo, s23
	s_barrier_signal -1
	s_barrier_wait -1
	s_and_saveexec_b32 s23, s68
; %bb.438:                              ;   in Loop: Header=BB189_3 Depth=1
	ds_store_b128 v23, v[14:17]
; %bb.439:                              ;   in Loop: Header=BB189_3 Depth=1
	s_or_b32 exec_lo, exec_lo, s23
	s_wait_dscnt 0x0
	s_barrier_signal -1
	s_barrier_wait -1
	s_barrier_signal -1
	s_barrier_wait -1
	s_and_saveexec_b32 s23, s3
; %bb.440:                              ;   in Loop: Header=BB189_3 Depth=1
	v_xor_b32_e32 v15, 0x80000000, v15
	v_xor_b32_e32 v17, 0x80000000, v17
	ds_store_b128 v46, v[14:17] offset:14816
; %bb.441:                              ;   in Loop: Header=BB189_3 Depth=1
	s_or_b32 exec_lo, exec_lo, s23
	s_wait_dscnt 0x0
	s_barrier_signal -1
	s_barrier_wait -1
	s_barrier_signal -1
	s_barrier_wait -1
	s_and_saveexec_b32 s23, s69
	s_cbranch_execz .LBB189_443
; %bb.442:                              ;   in Loop: Header=BB189_3 Depth=1
	ds_load_b128 v[14:17], v110
	s_wait_dscnt 0x0
	ds_store_b128 v114, v[14:17]
	ds_load_b128 v[14:17], v111
	s_wait_dscnt 0x0
	ds_store_b128 v115, v[14:17]
.LBB189_443:                            ;   in Loop: Header=BB189_3 Depth=1
	s_or_b32 exec_lo, exec_lo, s23
	s_wait_dscnt 0x0
	s_barrier_signal -1
	s_barrier_wait -1
	s_and_saveexec_b32 s42, s29
	s_cbranch_execz .LBB189_445
; %bb.444:                              ;   in Loop: Header=BB189_3 Depth=1
	s_mov_b32 s48, s53
	s_mov_b32 s50, s53
	;; [unrolled: 1-line block ×3, first 2 shown]
	v_mov_b64_e32 v[14:15], s[48:49]
	v_mov_b64_e32 v[16:17], s[50:51]
	ds_store_b128 v2, v[14:17] offset:15840
	ds_store_b128 v2, v[14:17] offset:16368
	ds_load_b128 v[14:17], v2 offset:15856
	s_wait_dscnt 0x0
	ds_store_b128 v2, v[14:17] offset:16352
.LBB189_445:                            ;   in Loop: Header=BB189_3 Depth=1
	s_or_b32 exec_lo, exec_lo, s42
.LBB189_446:                            ;   in Loop: Header=BB189_3 Depth=1
	v_mov_b64_e32 v[14:15], 0
	v_add_nc_u64_e32 v[40:41], s[0:1], v[20:21]
	s_wait_dscnt 0x0
	s_barrier_signal -1
	s_barrier_wait -1
	s_delay_alu instid0(VALU_DEP_2)
	v_mov_b64_e32 v[16:17], v[14:15]
	s_wait_xcnt 0x0
	s_and_saveexec_b32 s23, s104
	s_cbranch_execz .LBB189_448
; %bb.447:                              ;   in Loop: Header=BB189_3 Depth=1
	v_lshl_add_u64 v[4:5], v[30:31], 4, v[40:41]
	flat_load_b128 v[42:45], v[4:5]
	s_wait_loadcnt_dscnt 0x0
	v_mul_f64_e32 v[4:5], s[36:37], v[42:43]
	s_delay_alu instid0(VALU_DEP_1) | instskip(SKIP_1) | instid1(VALU_DEP_1)
	v_fma_f64 v[14:15], s[38:39], v[44:45], -v[4:5]
	v_mul_f64_e32 v[4:5], s[36:37], v[44:45]
	v_fma_f64 v[16:17], v[42:43], -s[38:39], -v[4:5]
.LBB189_448:                            ;   in Loop: Header=BB189_3 Depth=1
	s_or_b32 exec_lo, exec_lo, s23
	s_delay_alu instid0(SALU_CYCLE_1)
	s_and_not1_b32 vcc_lo, exec_lo, vcc_hi
	s_cbranch_vccnz .LBB189_471
; %bb.449:                              ;   in Loop: Header=BB189_3 Depth=1
	v_mov_b32_e32 v25, -1
	s_lshl_b64 s[42:43], s[52:53], 2
	s_mov_b32 s48, 0
	s_add_nc_u64 s[42:43], s[58:59], s[42:43]
	s_branch .LBB189_452
.LBB189_450:                            ;   in Loop: Header=BB189_452 Depth=2
	ds_load_b128 v[206:209], v133 offset:256
	s_wait_loadcnt_dscnt 0x0
	v_mul_f64_e32 v[4:5], v[42:43], v[208:209]
	v_mul_f64_e32 v[42:43], v[42:43], v[206:207]
	s_delay_alu instid0(VALU_DEP_2) | instskip(NEXT) | instid1(VALU_DEP_2)
	v_fmac_f64_e32 v[4:5], v[20:21], v[206:207]
	v_fma_f64 v[20:21], v[20:21], v[208:209], -v[42:43]
	s_delay_alu instid0(VALU_DEP_2) | instskip(NEXT) | instid1(VALU_DEP_2)
	v_add_f64_e32 v[14:15], v[14:15], v[4:5]
	v_add_f64_e32 v[16:17], v[16:17], v[20:21]
.LBB189_451:                            ;   in Loop: Header=BB189_452 Depth=2
	s_or_b32 exec_lo, exec_lo, s50
	s_add_co_i32 s48, s48, 1
	s_delay_alu instid0(SALU_CYCLE_1)
	s_cmp_eq_u32 s48, s62
	s_cbranch_scc1 .LBB189_471
.LBB189_452:                            ;   Parent Loop BB189_3 Depth=1
                                        ; =>  This Loop Header: Depth=2
                                        ;       Child Loop BB189_454 Depth 3
	v_cmp_gt_i32_e32 vcc_lo, s48, v25
	s_and_b32 s50, s31, vcc_lo
	s_delay_alu instid0(SALU_CYCLE_1)
	s_and_saveexec_b32 s23, s50
	s_cbranch_execz .LBB189_455
; %bb.453:                              ;   in Loop: Header=BB189_452 Depth=2
	global_load_b32 v25, v2, s[42:43]
	s_wait_loadcnt 0x0
	v_cmp_le_i32_e32 vcc_lo, s48, v25
	s_cbranch_vccnz .LBB189_455
.LBB189_454:                            ;   Parent Loop BB189_3 Depth=1
                                        ;     Parent Loop BB189_452 Depth=2
                                        ; =>    This Inner Loop Header: Depth=3
	global_wb scope:SCOPE_DEV
	s_wait_storecnt 0x0
	global_inv scope:SCOPE_DEV
	global_load_b32 v25, v2, s[42:43]
	s_wait_loadcnt 0x0
	v_cmp_gt_i32_e32 vcc_lo, s48, v25
	s_cbranch_vccnz .LBB189_454
.LBB189_455:                            ;   in Loop: Header=BB189_452 Depth=2
	s_or_b32 exec_lo, exec_lo, s23
	s_sub_co_i32 s50, s63, s48
	global_wb scope:SCOPE_DEV
	s_wait_storecnt 0x0
	global_inv scope:SCOPE_DEV
	s_lshl_b32 s51, s50, 5
	s_wait_loadcnt 0x0
	s_barrier_signal -1
	s_barrier_wait -1
	s_and_saveexec_b32 s23, s34
	s_cbranch_execz .LBB189_460
; %bb.456:                              ;   in Loop: Header=BB189_452 Depth=2
	s_ashr_i32 vcc_lo, s51, 31
	s_delay_alu instid0(SALU_CYCLE_1) | instskip(NEXT) | instid1(VALU_DEP_1)
	v_dual_mov_b32 v5, vcc_lo :: v_dual_bitop2_b32 v4, s51, v26 bitop3:0x54
	v_cmp_le_i64_e32 vcc_lo, s[54:55], v[4:5]
	s_and_saveexec_b32 s20, vcc_lo
	s_delay_alu instid0(SALU_CYCLE_1)
	s_xor_b32 vcc_lo, exec_lo, s20
; %bb.457:                              ;   in Loop: Header=BB189_452 Depth=2
	v_dual_mov_b32 v3, v2 :: v_dual_mov_b32 v4, v2
	v_mov_b32_e32 v5, v2
	ds_store_b128 v199, v[2:5]
                                        ; implicit-def: $vgpr4_vgpr5
; %bb.458:                              ;   in Loop: Header=BB189_452 Depth=2
	s_and_not1_saveexec_b32 s20, vcc_lo
	s_cbranch_execz .LBB189_460
; %bb.459:                              ;   in Loop: Header=BB189_452 Depth=2
	v_mul_u64_e32 v[4:5], s[56:57], v[4:5]
	s_delay_alu instid0(VALU_DEP_1)
	v_lshl_add_u64 v[4:5], v[4:5], 4, v[40:41]
	flat_load_b128 v[42:45], v[4:5]
	s_wait_loadcnt_dscnt 0x0
	ds_store_2addr_b64 v199, v[42:43], v[44:45] offset1:1
.LBB189_460:                            ;   in Loop: Header=BB189_452 Depth=2
	s_or_b32 exec_lo, exec_lo, s23
	v_add_nc_u32_e32 v20, s51, v24
	s_cmp_lg_u32 s50, s24
	s_wait_dscnt 0x0
	s_cselect_b32 s23, -1, 0
	s_barrier_signal -1
	v_ashrrev_i32_e32 v21, 31, v20
	v_cmp_gt_i32_e32 vcc_lo, s54, v20
	v_cndmask_b32_e64 v3, 0, 1, s23
	s_barrier_wait -1
	s_delay_alu instid0(VALU_DEP_3) | instskip(SKIP_1) | instid1(SALU_CYCLE_1)
	v_lshl_add_u64 v[4:5], v[20:21], 4, v[18:19]
	s_and_b32 s20, vcc_lo, s2
	s_and_saveexec_b32 s50, s20
	s_cbranch_execz .LBB189_466
; %bb.461:                              ;   in Loop: Header=BB189_452 Depth=2
	v_mov_b64_e32 v[42:43], v[6:7]
	s_and_not1_b32 vcc_lo, exec_lo, s23
	s_cbranch_vccnz .LBB189_463
; %bb.462:                              ;   in Loop: Header=BB189_452 Depth=2
	flat_load_b64 v[42:43], v[4:5]
.LBB189_463:                            ;   in Loop: Header=BB189_452 Depth=2
	v_cmp_ne_u32_e32 vcc_lo, 1, v3
	v_mov_b64_e32 v[44:45], v[8:9]
	s_cbranch_vccnz .LBB189_465
; %bb.464:                              ;   in Loop: Header=BB189_452 Depth=2
	flat_load_b64 v[44:45], v[4:5] offset:8
.LBB189_465:                            ;   in Loop: Header=BB189_452 Depth=2
	ds_load_b128 v[206:209], v133
	s_wait_loadcnt_dscnt 0x0
	v_mul_f64_e32 v[210:211], v[44:45], v[208:209]
	v_mul_f64_e32 v[44:45], v[44:45], v[206:207]
	s_delay_alu instid0(VALU_DEP_2) | instskip(NEXT) | instid1(VALU_DEP_2)
	v_fmac_f64_e32 v[210:211], v[42:43], v[206:207]
	v_fma_f64 v[42:43], v[42:43], v[208:209], -v[44:45]
	s_delay_alu instid0(VALU_DEP_2) | instskip(NEXT) | instid1(VALU_DEP_2)
	v_add_f64_e32 v[14:15], v[14:15], v[210:211]
	v_add_f64_e32 v[16:17], v[16:17], v[42:43]
.LBB189_466:                            ;   in Loop: Header=BB189_452 Depth=2
	s_or_b32 exec_lo, exec_lo, s50
	v_add_nc_u32_e32 v20, 16, v20
	s_delay_alu instid0(VALU_DEP_1) | instskip(SKIP_1) | instid1(SALU_CYCLE_1)
	v_cmp_gt_i32_e32 vcc_lo, s54, v20
	s_and_b32 s20, vcc_lo, s2
	s_and_saveexec_b32 s50, s20
	s_cbranch_execz .LBB189_451
; %bb.467:                              ;   in Loop: Header=BB189_452 Depth=2
	v_cmp_ne_u32_e32 vcc_lo, 1, v3
	v_mov_b64_e32 v[20:21], v[10:11]
	s_cbranch_vccnz .LBB189_469
; %bb.468:                              ;   in Loop: Header=BB189_452 Depth=2
	flat_load_b64 v[20:21], v[4:5] offset:256
.LBB189_469:                            ;   in Loop: Header=BB189_452 Depth=2
	v_cmp_ne_u32_e32 vcc_lo, 1, v3
	v_mov_b64_e32 v[42:43], v[12:13]
	s_cbranch_vccnz .LBB189_450
; %bb.470:                              ;   in Loop: Header=BB189_452 Depth=2
	flat_load_b64 v[42:43], v[4:5] offset:264
	s_branch .LBB189_450
.LBB189_471:                            ;   in Loop: Header=BB189_3 Depth=1
	ds_store_b128 v200, v[14:17]
	s_wait_dscnt 0x0
	s_barrier_signal -1
	s_barrier_wait -1
	s_and_saveexec_b32 s42, s5
	s_cbranch_execz .LBB189_473
; %bb.472:                              ;   in Loop: Header=BB189_3 Depth=1
	ds_load_b128 v[18:21], v201 offset:512
	s_wait_dscnt 0x0
	v_add_f64_e32 v[4:5], v[14:15], v[18:19]
	v_add_f64_e32 v[18:19], v[16:17], v[20:21]
	ds_load_b128 v[14:17], v201 offset:1024
	s_wait_dscnt 0x0
	v_add_f64_e32 v[4:5], v[4:5], v[14:15]
	v_add_f64_e32 v[18:19], v[18:19], v[16:17]
	;; [unrolled: 4-line block ×15, first 2 shown]
	s_delay_alu instid0(VALU_DEP_2) | instskip(NEXT) | instid1(VALU_DEP_2)
	v_xor_b32_e32 v3, 0x80000000, v5
	v_xor_b32_e32 v5, 0x80000000, v17
	s_delay_alu instid0(VALU_DEP_4) | instskip(NEXT) | instid1(VALU_DEP_4)
	v_cndmask_b32_e64 v14, v4, 0, s103
	v_cndmask_b32_e64 v16, v16, 0, s103
	s_delay_alu instid0(VALU_DEP_4) | instskip(NEXT) | instid1(VALU_DEP_4)
	v_cndmask_b32_e64 v15, v3, 0, s103
	v_cndmask_b32_e64 v17, v5, 0, s103
.LBB189_473:                            ;   in Loop: Header=BB189_3 Depth=1
	s_or_b32 exec_lo, exec_lo, s42
	s_delay_alu instid0(SALU_CYCLE_1)
	s_and_not1_b32 vcc_lo, exec_lo, s66
	s_cbranch_vccnz .LBB189_482
; %bb.474:                              ;   in Loop: Header=BB189_3 Depth=1
	s_and_saveexec_b32 s23, s5
; %bb.475:                              ;   in Loop: Header=BB189_3 Depth=1
	ds_store_b128 v202, v[14:17]
; %bb.476:                              ;   in Loop: Header=BB189_3 Depth=1
	s_or_b32 exec_lo, exec_lo, s23
	v_mov_b64_e32 v[18:19], 0
	v_mov_b64_e32 v[20:21], 0
	s_wait_dscnt 0x0
	s_barrier_signal -1
	s_barrier_wait -1
	s_and_saveexec_b32 s23, s13
	s_cbranch_execz .LBB189_478
; %bb.477:                              ;   in Loop: Header=BB189_3 Depth=1
	ds_load_b128 v[18:21], v133
	ds_load_b128 v[42:45], v27
	s_wait_dscnt 0x0
	v_mul_f64_e32 v[4:5], v[20:21], v[44:45]
	v_mul_f64_e32 v[44:45], v[18:19], v[44:45]
	s_delay_alu instid0(VALU_DEP_2) | instskip(NEXT) | instid1(VALU_DEP_2)
	v_fma_f64 v[4:5], v[18:19], v[42:43], -v[4:5]
	v_fmac_f64_e32 v[44:45], v[20:21], v[42:43]
	s_delay_alu instid0(VALU_DEP_2) | instskip(NEXT) | instid1(VALU_DEP_2)
	v_add_f64_e32 v[18:19], 0, v[4:5]
	v_add_f64_e32 v[20:21], 0, v[44:45]
.LBB189_478:                            ;   in Loop: Header=BB189_3 Depth=1
	s_or_b32 exec_lo, exec_lo, s23
	s_and_saveexec_b32 s23, s14
	s_cbranch_execz .LBB189_480
; %bb.479:                              ;   in Loop: Header=BB189_3 Depth=1
	ds_load_b128 v[42:45], v133 offset:256
	ds_load_b128 v[206:209], v27 offset:8192
	s_wait_dscnt 0x0
	v_mul_f64_e32 v[4:5], v[44:45], v[208:209]
	s_delay_alu instid0(VALU_DEP_1) | instskip(SKIP_1) | instid1(VALU_DEP_2)
	v_fma_f64 v[4:5], v[42:43], v[206:207], -v[4:5]
	v_mul_f64_e32 v[42:43], v[42:43], v[208:209]
	v_add_f64_e32 v[18:19], v[18:19], v[4:5]
	s_delay_alu instid0(VALU_DEP_2) | instskip(NEXT) | instid1(VALU_DEP_1)
	v_fmac_f64_e32 v[42:43], v[44:45], v[206:207]
	v_add_f64_e32 v[20:21], v[20:21], v[42:43]
.LBB189_480:                            ;   in Loop: Header=BB189_3 Depth=1
	s_or_b32 exec_lo, exec_lo, s23
	s_mov_b32 s43, 0
	s_mov_b32 s42, 0
	ds_store_b128 v200, v[18:21]
	s_wait_dscnt 0x0
	s_barrier_signal -1
	s_barrier_wait -1
                                        ; implicit-def: $vgpr4_vgpr5
                                        ; implicit-def: $vgpr42_vgpr43
	s_and_saveexec_b32 s48, s5
	s_cbranch_execz .LBB189_513
; %bb.481:                              ;   in Loop: Header=BB189_3 Depth=1
	ds_load_b128 v[42:45], v201 offset:512
	s_mov_b32 s42, exec_lo
	s_wait_dscnt 0x0
	v_add_f64_e32 v[4:5], v[18:19], v[42:43]
	v_add_f64_e32 v[42:43], v[20:21], v[44:45]
	ds_load_b128 v[18:21], v201 offset:1024
	s_wait_dscnt 0x0
	v_add_f64_e32 v[4:5], v[4:5], v[18:19]
	v_add_f64_e32 v[42:43], v[42:43], v[20:21]
	ds_load_b128 v[18:21], v201 offset:1536
	;; [unrolled: 4-line block ×14, first 2 shown]
	s_wait_dscnt 0x0
	v_add_f64_e32 v[42:43], v[4:5], v[18:19]
	v_add_f64_e32 v[4:5], v[44:45], v[20:21]
	s_or_b32 exec_lo, exec_lo, s48
	s_delay_alu instid0(SALU_CYCLE_1)
	s_and_b32 vcc_lo, exec_lo, s43
	s_cbranch_vccnz .LBB189_483
	s_branch .LBB189_514
.LBB189_482:                            ;   in Loop: Header=BB189_3 Depth=1
	s_mov_b32 s42, 0
                                        ; implicit-def: $vgpr4_vgpr5
                                        ; implicit-def: $vgpr42_vgpr43
	s_cbranch_execz .LBB189_514
.LBB189_483:                            ;   in Loop: Header=BB189_3 Depth=1
	v_dual_mov_b32 v3, v204 :: v_dual_mov_b32 v4, v203
	s_mov_b32 s43, 31
	s_branch .LBB189_485
.LBB189_484:                            ;   in Loop: Header=BB189_485 Depth=2
	s_or_b32 exec_lo, exec_lo, s23
	v_add_nc_u32_e32 v4, 0xfffffc00, v4
	v_add_nc_u32_e32 v3, 2, v3
	s_add_co_i32 s43, s43, -2
	s_cmp_lg_u32 s48, 0
	s_barrier_signal -1
	s_barrier_wait -1
	s_cbranch_scc0 .LBB189_493
.LBB189_485:                            ;   Parent Loop BB189_3 Depth=1
                                        ; =>  This Inner Loop Header: Depth=2
	s_delay_alu instid0(VALU_DEP_1) | instskip(SKIP_1) | instid1(SALU_CYCLE_1)
	v_cmp_eq_u32_e32 vcc_lo, 0, v3
	s_and_b32 s20, s5, vcc_lo
	s_and_saveexec_b32 s23, s20
; %bb.486:                              ;   in Loop: Header=BB189_485 Depth=2
	ds_store_b128 v2, v[14:17] offset:25088
; %bb.487:                              ;   in Loop: Header=BB189_485 Depth=2
	s_or_b32 exec_lo, exec_lo, s23
	v_cmp_gt_u32_e32 vcc_lo, s43, v22
	s_wait_dscnt 0x0
	s_barrier_signal -1
	s_barrier_wait -1
	s_and_b32 s20, s5, vcc_lo
	s_delay_alu instid0(SALU_CYCLE_1)
	s_and_saveexec_b32 s23, s20
	s_cbranch_execz .LBB189_489
; %bb.488:                              ;   in Loop: Header=BB189_485 Depth=2
	ds_load_b128 v[18:21], v2 offset:25088
	ds_load_b128 v[42:45], v4 offset:512
	s_wait_dscnt 0x0
	v_mul_f64_e32 v[206:207], v[20:21], v[44:45]
	s_delay_alu instid0(VALU_DEP_1) | instskip(SKIP_1) | instid1(VALU_DEP_2)
	v_fma_f64 v[206:207], v[18:19], v[42:43], -v[206:207]
	v_mul_f64_e32 v[18:19], v[18:19], v[44:45]
	v_add_f64_e32 v[14:15], v[14:15], v[206:207]
	s_delay_alu instid0(VALU_DEP_2) | instskip(NEXT) | instid1(VALU_DEP_1)
	v_fmac_f64_e32 v[18:19], v[20:21], v[42:43]
	v_add_f64_e32 v[16:17], v[16:17], v[18:19]
.LBB189_489:                            ;   in Loop: Header=BB189_485 Depth=2
	s_or_b32 exec_lo, exec_lo, s23
	s_add_co_i32 s48, s43, -1
	s_delay_alu instid0(SALU_CYCLE_1) | instskip(SKIP_3) | instid1(SALU_CYCLE_1)
	v_cmp_eq_u32_e32 vcc_lo, s48, v22
	s_barrier_signal -1
	s_barrier_wait -1
	s_and_b32 s20, s5, vcc_lo
	s_and_saveexec_b32 s23, s20
; %bb.490:                              ;   in Loop: Header=BB189_485 Depth=2
	ds_store_b128 v2, v[14:17] offset:25088
; %bb.491:                              ;   in Loop: Header=BB189_485 Depth=2
	s_or_b32 exec_lo, exec_lo, s23
	v_cmp_gt_u32_e32 vcc_lo, s48, v22
	s_wait_dscnt 0x0
	s_barrier_signal -1
	s_barrier_wait -1
	s_and_b32 s20, s5, vcc_lo
	s_delay_alu instid0(SALU_CYCLE_1)
	s_and_saveexec_b32 s23, s20
	s_cbranch_execz .LBB189_484
; %bb.492:                              ;   in Loop: Header=BB189_485 Depth=2
	ds_load_b128 v[18:21], v2 offset:25088
	ds_load_b128 v[42:45], v4
	s_wait_dscnt 0x0
	v_mul_f64_e32 v[206:207], v[20:21], v[44:45]
	s_delay_alu instid0(VALU_DEP_1) | instskip(SKIP_1) | instid1(VALU_DEP_2)
	v_fma_f64 v[206:207], v[18:19], v[42:43], -v[206:207]
	v_mul_f64_e32 v[18:19], v[18:19], v[44:45]
	v_add_f64_e32 v[14:15], v[14:15], v[206:207]
	s_delay_alu instid0(VALU_DEP_2) | instskip(NEXT) | instid1(VALU_DEP_1)
	v_fmac_f64_e32 v[18:19], v[20:21], v[42:43]
	v_add_f64_e32 v[16:17], v[16:17], v[18:19]
	s_branch .LBB189_484
.LBB189_493:                            ;   in Loop: Header=BB189_3 Depth=1
	s_and_b32 vcc_lo, exec_lo, s64
	s_mov_b32 s23, -1
	s_cbranch_vccnz .LBB189_515
; %bb.494:                              ;   in Loop: Header=BB189_3 Depth=1
	s_and_not1_b32 vcc_lo, exec_lo, s23
	s_cbranch_vccz .LBB189_516
.LBB189_495:                            ;   in Loop: Header=BB189_3 Depth=1
	s_and_saveexec_b32 s23, s42
	s_cbranch_execz .LBB189_497
.LBB189_496:                            ;   in Loop: Header=BB189_3 Depth=1
	v_lshl_add_u64 v[4:5], v[32:33], 4, v[40:41]
	flat_store_b128 v[4:5], v[14:17]
.LBB189_497:                            ;   in Loop: Header=BB189_3 Depth=1
	s_wait_xcnt 0x0
	s_or_b32 exec_lo, exec_lo, s23
	global_wb scope:SCOPE_DEV
	s_wait_storecnt_dscnt 0x0
	global_inv scope:SCOPE_DEV
	s_wait_loadcnt 0x0
	s_barrier_signal -1
	s_barrier_wait -1
	s_and_saveexec_b32 s23, s31
	s_cbranch_execz .LBB189_2
; %bb.498:                              ;   in Loop: Header=BB189_3 Depth=1
	s_lshl_b64 s[42:43], s[52:53], 2
	s_delay_alu instid0(SALU_CYCLE_1)
	s_add_nc_u64 s[42:43], s[58:59], s[42:43]
	global_load_b32 v3, v2, s[42:43]
	s_wait_loadcnt 0x0
	v_add_nc_u32_e32 v3, 1, v3
	global_store_b32 v2, v3, s[42:43]
	s_branch .LBB189_2
.LBB189_499:                            ;   in Loop: Header=BB189_3 Depth=1
	s_and_saveexec_b32 s42, s30
; %bb.500:                              ;   in Loop: Header=BB189_3 Depth=1
	v_dual_mov_b32 v3, v2 :: v_dual_mov_b32 v4, v2
	v_mov_b32_e32 v5, v2
	ds_store_b128 v150, v[2:5]
; %bb.501:                              ;   in Loop: Header=BB189_3 Depth=1
	s_or_b32 exec_lo, exec_lo, s42
	s_and_not1_saveexec_b32 s23, s23
	s_cbranch_execz .LBB189_12
.LBB189_502:                            ;   in Loop: Header=BB189_3 Depth=1
	v_lshl_add_u64 v[4:5], v[36:37], 4, v[14:15]
	flat_load_b128 v[40:43], v[4:5]
	s_wait_loadcnt_dscnt 0x0
	v_xor_b32_e32 v41, 0x80000000, v41
	ds_store_b128 v150, v[40:43]
	s_or_b32 exec_lo, exec_lo, s23
	s_and_saveexec_b32 s23, s14
	s_delay_alu instid0(SALU_CYCLE_1)
	s_xor_b32 s23, exec_lo, s23
	s_cbranch_execz .LBB189_13
.LBB189_503:                            ;   in Loop: Header=BB189_3 Depth=1
	s_and_saveexec_b32 s42, s33
; %bb.504:                              ;   in Loop: Header=BB189_3 Depth=1
	v_dual_mov_b32 v3, v2 :: v_dual_mov_b32 v4, v2
	v_mov_b32_e32 v5, v2
	ds_store_b128 v151, v[2:5]
; %bb.505:                              ;   in Loop: Header=BB189_3 Depth=1
	s_or_b32 exec_lo, exec_lo, s42
	s_and_not1_saveexec_b32 s23, s23
	s_cbranch_execnz .LBB189_14
	s_branch .LBB189_15
.LBB189_506:                            ;   in Loop: Header=BB189_3 Depth=1
	s_and_saveexec_b32 s42, s30
; %bb.507:                              ;   in Loop: Header=BB189_3 Depth=1
	v_dual_mov_b32 v3, v2 :: v_dual_mov_b32 v4, v2
	v_mov_b32_e32 v5, v2
	ds_store_b128 v132, v[2:5]
; %bb.508:                              ;   in Loop: Header=BB189_3 Depth=1
	s_or_b32 exec_lo, exec_lo, s42
	s_and_not1_saveexec_b32 s23, s23
	s_cbranch_execz .LBB189_19
.LBB189_509:                            ;   in Loop: Header=BB189_3 Depth=1
	v_lshl_add_u64 v[4:5], v[36:37], 4, v[14:15]
	flat_load_b128 v[40:43], v[4:5]
	s_wait_loadcnt_dscnt 0x0
	v_xor_b32_e32 v41, 0x80000000, v41
	ds_store_b128 v132, v[40:43]
	s_or_b32 exec_lo, exec_lo, s23
	s_and_saveexec_b32 s23, s26
	s_delay_alu instid0(SALU_CYCLE_1)
	s_xor_b32 s23, exec_lo, s23
	s_cbranch_execz .LBB189_20
.LBB189_510:                            ;   in Loop: Header=BB189_3 Depth=1
	s_and_saveexec_b32 s42, s33
; %bb.511:                              ;   in Loop: Header=BB189_3 Depth=1
	v_dual_mov_b32 v3, v2 :: v_dual_mov_b32 v4, v2
	v_mov_b32_e32 v5, v2
	ds_store_b128 v151, v[2:5]
; %bb.512:                              ;   in Loop: Header=BB189_3 Depth=1
	s_or_b32 exec_lo, exec_lo, s42
                                        ; implicit-def: $vgpr14_vgpr15
	s_and_not1_saveexec_b32 s23, s23
	s_cbranch_execnz .LBB189_21
	s_branch .LBB189_22
.LBB189_513:                            ;   in Loop: Header=BB189_3 Depth=1
	s_or_b32 exec_lo, exec_lo, s48
	s_delay_alu instid0(SALU_CYCLE_1)
	s_and_b32 vcc_lo, exec_lo, s43
	s_cbranch_vccnz .LBB189_483
.LBB189_514:                            ;   in Loop: Header=BB189_3 Depth=1
	s_delay_alu instid0(VALU_DEP_1) | instskip(NEXT) | instid1(VALU_DEP_3)
	v_mov_b64_e32 v[16:17], v[4:5]
	v_mov_b64_e32 v[14:15], v[42:43]
	s_and_saveexec_b32 s23, s42
	s_cbranch_execnz .LBB189_496
	s_branch .LBB189_497
.LBB189_515:                            ;   in Loop: Header=BB189_3 Depth=1
	s_and_not1_b32 s20, s42, exec_lo
	s_and_b32 s21, s5, exec_lo
	s_delay_alu instid0(SALU_CYCLE_1)
	s_or_b32 s42, s20, s21
	s_cbranch_execnz .LBB189_495
.LBB189_516:                            ;   in Loop: Header=BB189_3 Depth=1
	v_readlane_b32 s21, v205, 18
	s_and_not1_b32 s20, s42, exec_lo
	s_and_b32 s21, s21, exec_lo
	s_delay_alu instid0(SALU_CYCLE_1) | instskip(NEXT) | instid1(SALU_CYCLE_1)
	s_or_b32 s42, s20, s21
	s_and_saveexec_b32 s23, s42
	s_cbranch_execnz .LBB189_496
	s_branch .LBB189_497
.LBB189_517:                            ;   in Loop: Header=BB189_3 Depth=1
	ds_load_b128 v[40:43], v50 offset:16
	ds_load_b128 v[206:209], v56 offset:576
	s_wait_dscnt 0x0
	v_mul_f64_e32 v[4:5], v[42:43], v[208:209]
	s_delay_alu instid0(VALU_DEP_1) | instskip(SKIP_1) | instid1(VALU_DEP_2)
	v_fma_f64 v[4:5], v[40:41], v[206:207], -v[4:5]
	v_mul_f64_e32 v[40:41], v[40:41], v[208:209]
	v_add_f64_e32 v[14:15], v[14:15], v[4:5]
	s_delay_alu instid0(VALU_DEP_2) | instskip(NEXT) | instid1(VALU_DEP_1)
	v_fmac_f64_e32 v[40:41], v[42:43], v[206:207]
	v_add_f64_e32 v[16:17], v[16:17], v[40:41]
	s_or_b32 exec_lo, exec_lo, s23
	s_and_saveexec_b32 s23, s8
	s_cbranch_execz .LBB189_45
.LBB189_518:                            ;   in Loop: Header=BB189_3 Depth=1
	ds_load_b128 v[40:43], v50 offset:32
	ds_load_b128 v[206:209], v55 offset:1088
	s_wait_dscnt 0x0
	v_mul_f64_e32 v[4:5], v[42:43], v[208:209]
	s_delay_alu instid0(VALU_DEP_1) | instskip(SKIP_1) | instid1(VALU_DEP_2)
	v_fma_f64 v[4:5], v[40:41], v[206:207], -v[4:5]
	v_mul_f64_e32 v[40:41], v[40:41], v[208:209]
	v_add_f64_e32 v[14:15], v[14:15], v[4:5]
	s_delay_alu instid0(VALU_DEP_2) | instskip(NEXT) | instid1(VALU_DEP_1)
	v_fmac_f64_e32 v[40:41], v[42:43], v[206:207]
	v_add_f64_e32 v[16:17], v[16:17], v[40:41]
	s_or_b32 exec_lo, exec_lo, s23
	s_and_saveexec_b32 s23, s3
	s_cbranch_execnz .LBB189_46
	s_branch .LBB189_47
.LBB189_519:                            ;   in Loop: Header=BB189_3 Depth=1
	ds_load_b128 v[40:43], v57 offset:16
	ds_load_b128 v[206:209], v63 offset:640
	s_wait_dscnt 0x0
	v_mul_f64_e32 v[4:5], v[42:43], v[208:209]
	s_delay_alu instid0(VALU_DEP_1) | instskip(SKIP_1) | instid1(VALU_DEP_2)
	v_fma_f64 v[4:5], v[40:41], v[206:207], -v[4:5]
	v_mul_f64_e32 v[40:41], v[40:41], v[208:209]
	v_add_f64_e32 v[14:15], v[14:15], v[4:5]
	s_delay_alu instid0(VALU_DEP_2) | instskip(NEXT) | instid1(VALU_DEP_1)
	v_fmac_f64_e32 v[40:41], v[42:43], v[206:207]
	v_add_f64_e32 v[16:17], v[16:17], v[40:41]
	s_or_b32 exec_lo, exec_lo, s23
	s_and_saveexec_b32 s23, s11
	s_cbranch_execz .LBB189_87
.LBB189_520:                            ;   in Loop: Header=BB189_3 Depth=1
	ds_load_b128 v[40:43], v57 offset:32
	ds_load_b128 v[206:209], v63 offset:1152
	s_wait_dscnt 0x0
	v_mul_f64_e32 v[4:5], v[42:43], v[208:209]
	s_delay_alu instid0(VALU_DEP_1) | instskip(SKIP_1) | instid1(VALU_DEP_2)
	v_fma_f64 v[4:5], v[40:41], v[206:207], -v[4:5]
	v_mul_f64_e32 v[40:41], v[40:41], v[208:209]
	v_add_f64_e32 v[14:15], v[14:15], v[4:5]
	s_delay_alu instid0(VALU_DEP_2) | instskip(NEXT) | instid1(VALU_DEP_1)
	v_fmac_f64_e32 v[40:41], v[42:43], v[206:207]
	v_add_f64_e32 v[16:17], v[16:17], v[40:41]
	s_or_b32 exec_lo, exec_lo, s23
	s_and_saveexec_b32 s23, s15
	s_cbranch_execz .LBB189_88
.LBB189_521:                            ;   in Loop: Header=BB189_3 Depth=1
	ds_load_b128 v[40:43], v57 offset:48
	ds_load_b128 v[206:209], v63 offset:1664
	s_wait_dscnt 0x0
	v_mul_f64_e32 v[4:5], v[42:43], v[208:209]
	s_delay_alu instid0(VALU_DEP_1) | instskip(SKIP_1) | instid1(VALU_DEP_2)
	v_fma_f64 v[4:5], v[40:41], v[206:207], -v[4:5]
	v_mul_f64_e32 v[40:41], v[40:41], v[208:209]
	v_add_f64_e32 v[14:15], v[14:15], v[4:5]
	s_delay_alu instid0(VALU_DEP_2) | instskip(NEXT) | instid1(VALU_DEP_1)
	v_fmac_f64_e32 v[40:41], v[42:43], v[206:207]
	v_add_f64_e32 v[16:17], v[16:17], v[40:41]
	s_or_b32 exec_lo, exec_lo, s23
	s_and_saveexec_b32 s23, s16
	s_cbranch_execz .LBB189_89
.LBB189_522:                            ;   in Loop: Header=BB189_3 Depth=1
	ds_load_b128 v[40:43], v57 offset:64
	ds_load_b128 v[206:209], v62 offset:2176
	s_wait_dscnt 0x0
	v_mul_f64_e32 v[4:5], v[42:43], v[208:209]
	s_delay_alu instid0(VALU_DEP_1) | instskip(SKIP_1) | instid1(VALU_DEP_2)
	v_fma_f64 v[4:5], v[40:41], v[206:207], -v[4:5]
	v_mul_f64_e32 v[40:41], v[40:41], v[208:209]
	v_add_f64_e32 v[14:15], v[14:15], v[4:5]
	s_delay_alu instid0(VALU_DEP_2) | instskip(NEXT) | instid1(VALU_DEP_1)
	v_fmac_f64_e32 v[40:41], v[42:43], v[206:207]
	v_add_f64_e32 v[16:17], v[16:17], v[40:41]
	s_or_b32 exec_lo, exec_lo, s23
	s_and_saveexec_b32 s23, s17
	s_cbranch_execz .LBB189_90
.LBB189_523:                            ;   in Loop: Header=BB189_3 Depth=1
	ds_load_b128 v[40:43], v57 offset:80
	ds_load_b128 v[206:209], v63 offset:2688
	s_wait_dscnt 0x0
	v_mul_f64_e32 v[4:5], v[42:43], v[208:209]
	s_delay_alu instid0(VALU_DEP_1) | instskip(SKIP_1) | instid1(VALU_DEP_2)
	v_fma_f64 v[4:5], v[40:41], v[206:207], -v[4:5]
	v_mul_f64_e32 v[40:41], v[40:41], v[208:209]
	v_add_f64_e32 v[14:15], v[14:15], v[4:5]
	s_delay_alu instid0(VALU_DEP_2) | instskip(NEXT) | instid1(VALU_DEP_1)
	v_fmac_f64_e32 v[40:41], v[42:43], v[206:207]
	v_add_f64_e32 v[16:17], v[16:17], v[40:41]
	s_or_b32 exec_lo, exec_lo, s23
	s_and_saveexec_b32 s23, s6
	s_cbranch_execz .LBB189_91
.LBB189_524:                            ;   in Loop: Header=BB189_3 Depth=1
	ds_load_b128 v[40:43], v57 offset:96
	ds_load_b128 v[206:209], v62 offset:3200
	s_wait_dscnt 0x0
	v_mul_f64_e32 v[4:5], v[42:43], v[208:209]
	s_delay_alu instid0(VALU_DEP_1) | instskip(SKIP_1) | instid1(VALU_DEP_2)
	v_fma_f64 v[4:5], v[40:41], v[206:207], -v[4:5]
	v_mul_f64_e32 v[40:41], v[40:41], v[208:209]
	v_add_f64_e32 v[14:15], v[14:15], v[4:5]
	s_delay_alu instid0(VALU_DEP_2) | instskip(NEXT) | instid1(VALU_DEP_1)
	v_fmac_f64_e32 v[40:41], v[42:43], v[206:207]
	v_add_f64_e32 v[16:17], v[16:17], v[40:41]
	s_or_b32 exec_lo, exec_lo, s23
	s_and_saveexec_b32 s23, s8
	s_cbranch_execnz .LBB189_92
	s_branch .LBB189_93
.LBB189_525:                            ;   in Loop: Header=BB189_3 Depth=1
	ds_load_b128 v[40:43], v50 offset:4240
	ds_load_b128 v[206:209], v56 offset:4800
	s_wait_dscnt 0x0
	v_mul_f64_e32 v[4:5], v[42:43], v[208:209]
	s_delay_alu instid0(VALU_DEP_1) | instskip(SKIP_1) | instid1(VALU_DEP_2)
	v_fma_f64 v[4:5], v[40:41], v[206:207], -v[4:5]
	v_mul_f64_e32 v[40:41], v[40:41], v[208:209]
	v_add_f64_e32 v[14:15], v[14:15], v[4:5]
	s_delay_alu instid0(VALU_DEP_2) | instskip(NEXT) | instid1(VALU_DEP_1)
	v_fmac_f64_e32 v[40:41], v[42:43], v[206:207]
	v_add_f64_e32 v[16:17], v[16:17], v[40:41]
	s_or_b32 exec_lo, exec_lo, s23
	s_and_saveexec_b32 s23, s8
	s_cbranch_execz .LBB189_149
.LBB189_526:                            ;   in Loop: Header=BB189_3 Depth=1
	ds_load_b128 v[40:43], v50 offset:4256
	ds_load_b128 v[206:209], v55 offset:5312
	s_wait_dscnt 0x0
	v_mul_f64_e32 v[4:5], v[42:43], v[208:209]
	s_delay_alu instid0(VALU_DEP_1) | instskip(SKIP_1) | instid1(VALU_DEP_2)
	v_fma_f64 v[4:5], v[40:41], v[206:207], -v[4:5]
	v_mul_f64_e32 v[40:41], v[40:41], v[208:209]
	v_add_f64_e32 v[14:15], v[14:15], v[4:5]
	s_delay_alu instid0(VALU_DEP_2) | instskip(NEXT) | instid1(VALU_DEP_1)
	v_fmac_f64_e32 v[40:41], v[42:43], v[206:207]
	v_add_f64_e32 v[16:17], v[16:17], v[40:41]
	s_or_b32 exec_lo, exec_lo, s23
	s_and_saveexec_b32 s23, s3
	s_cbranch_execnz .LBB189_150
	s_branch .LBB189_151
.LBB189_527:                            ;   in Loop: Header=BB189_3 Depth=1
	ds_load_b128 v[40:43], v3 offset:160
	ds_load_b128 v[206:209], v176 offset:5376
	s_wait_dscnt 0x0
	v_mul_f64_e32 v[4:5], v[42:43], v[208:209]
	s_delay_alu instid0(VALU_DEP_1) | instskip(SKIP_1) | instid1(VALU_DEP_2)
	v_fma_f64 v[4:5], v[40:41], v[206:207], -v[4:5]
	v_mul_f64_e32 v[40:41], v[40:41], v[208:209]
	v_add_f64_e32 v[14:15], v[14:15], v[4:5]
	s_delay_alu instid0(VALU_DEP_2) | instskip(NEXT) | instid1(VALU_DEP_1)
	v_fmac_f64_e32 v[40:41], v[42:43], v[206:207]
	v_add_f64_e32 v[16:17], v[16:17], v[40:41]
	s_or_b32 exec_lo, exec_lo, s23
	s_and_saveexec_b32 s23, s22
	s_cbranch_execz .LBB189_209
.LBB189_528:                            ;   in Loop: Header=BB189_3 Depth=1
	ds_load_b128 v[40:43], v3 offset:176
	ds_load_b128 v[206:209], v176 offset:5888
	s_wait_dscnt 0x0
	v_mul_f64_e32 v[4:5], v[42:43], v[208:209]
	s_delay_alu instid0(VALU_DEP_1) | instskip(SKIP_1) | instid1(VALU_DEP_2)
	v_fma_f64 v[4:5], v[40:41], v[206:207], -v[4:5]
	v_mul_f64_e32 v[40:41], v[40:41], v[208:209]
	v_add_f64_e32 v[14:15], v[14:15], v[4:5]
	s_delay_alu instid0(VALU_DEP_2) | instskip(NEXT) | instid1(VALU_DEP_1)
	v_fmac_f64_e32 v[40:41], v[42:43], v[206:207]
	v_add_f64_e32 v[16:17], v[16:17], v[40:41]
	s_or_b32 exec_lo, exec_lo, s23
	s_and_saveexec_b32 s23, s9
	s_cbranch_execz .LBB189_210
.LBB189_529:                            ;   in Loop: Header=BB189_3 Depth=1
	ds_load_b128 v[40:43], v3 offset:192
	ds_load_b128 v[206:209], v176 offset:6400
	s_wait_dscnt 0x0
	v_mul_f64_e32 v[4:5], v[42:43], v[208:209]
	s_delay_alu instid0(VALU_DEP_1) | instskip(SKIP_1) | instid1(VALU_DEP_2)
	v_fma_f64 v[4:5], v[40:41], v[206:207], -v[4:5]
	v_mul_f64_e32 v[40:41], v[40:41], v[208:209]
	v_add_f64_e32 v[14:15], v[14:15], v[4:5]
	s_delay_alu instid0(VALU_DEP_2) | instskip(NEXT) | instid1(VALU_DEP_1)
	v_fmac_f64_e32 v[40:41], v[42:43], v[206:207]
	v_add_f64_e32 v[16:17], v[16:17], v[40:41]
	s_or_b32 exec_lo, exec_lo, s23
	s_and_saveexec_b32 s23, s11
	s_cbranch_execz .LBB189_211
.LBB189_530:                            ;   in Loop: Header=BB189_3 Depth=1
	ds_load_b128 v[40:43], v3 offset:208
	ds_load_b128 v[206:209], v176 offset:6912
	s_wait_dscnt 0x0
	v_mul_f64_e32 v[4:5], v[42:43], v[208:209]
	s_delay_alu instid0(VALU_DEP_1) | instskip(SKIP_1) | instid1(VALU_DEP_2)
	v_fma_f64 v[4:5], v[40:41], v[206:207], -v[4:5]
	v_mul_f64_e32 v[40:41], v[40:41], v[208:209]
	v_add_f64_e32 v[14:15], v[14:15], v[4:5]
	s_delay_alu instid0(VALU_DEP_2) | instskip(NEXT) | instid1(VALU_DEP_1)
	v_fmac_f64_e32 v[40:41], v[42:43], v[206:207]
	v_add_f64_e32 v[16:17], v[16:17], v[40:41]
	s_or_b32 exec_lo, exec_lo, s23
	s_and_saveexec_b32 s23, s16
	s_cbranch_execz .LBB189_212
.LBB189_531:                            ;   in Loop: Header=BB189_3 Depth=1
	ds_load_b128 v[40:43], v3 offset:224
	ds_load_b128 v[206:209], v176 offset:7424
	s_wait_dscnt 0x0
	v_mul_f64_e32 v[4:5], v[42:43], v[208:209]
	s_delay_alu instid0(VALU_DEP_1) | instskip(SKIP_1) | instid1(VALU_DEP_2)
	v_fma_f64 v[4:5], v[40:41], v[206:207], -v[4:5]
	v_mul_f64_e32 v[40:41], v[40:41], v[208:209]
	v_add_f64_e32 v[14:15], v[14:15], v[4:5]
	s_delay_alu instid0(VALU_DEP_2) | instskip(NEXT) | instid1(VALU_DEP_1)
	v_fmac_f64_e32 v[40:41], v[42:43], v[206:207]
	v_add_f64_e32 v[16:17], v[16:17], v[40:41]
	s_or_b32 exec_lo, exec_lo, s23
	s_and_saveexec_b32 s23, s6
	s_cbranch_execnz .LBB189_213
	s_branch .LBB189_214
.LBB189_532:                            ;   in Loop: Header=BB189_3 Depth=1
	ds_load_b128 v[40:43], v50 offset:8464
	ds_load_b128 v[206:209], v56 offset:9024
	s_wait_dscnt 0x0
	v_mul_f64_e32 v[4:5], v[42:43], v[208:209]
	s_delay_alu instid0(VALU_DEP_1) | instskip(SKIP_1) | instid1(VALU_DEP_2)
	v_fma_f64 v[4:5], v[40:41], v[206:207], -v[4:5]
	v_mul_f64_e32 v[40:41], v[40:41], v[208:209]
	v_add_f64_e32 v[14:15], v[14:15], v[4:5]
	s_delay_alu instid0(VALU_DEP_2) | instskip(NEXT) | instid1(VALU_DEP_1)
	v_fmac_f64_e32 v[40:41], v[42:43], v[206:207]
	v_add_f64_e32 v[16:17], v[16:17], v[40:41]
	s_or_b32 exec_lo, exec_lo, s23
	s_and_saveexec_b32 s23, s8
	s_cbranch_execz .LBB189_302
.LBB189_533:                            ;   in Loop: Header=BB189_3 Depth=1
	ds_load_b128 v[40:43], v50 offset:8480
	ds_load_b128 v[206:209], v55 offset:9536
	s_wait_dscnt 0x0
	v_mul_f64_e32 v[4:5], v[42:43], v[208:209]
	s_delay_alu instid0(VALU_DEP_1) | instskip(SKIP_1) | instid1(VALU_DEP_2)
	v_fma_f64 v[4:5], v[40:41], v[206:207], -v[4:5]
	v_mul_f64_e32 v[40:41], v[40:41], v[208:209]
	v_add_f64_e32 v[14:15], v[14:15], v[4:5]
	s_delay_alu instid0(VALU_DEP_2) | instskip(NEXT) | instid1(VALU_DEP_1)
	v_fmac_f64_e32 v[40:41], v[42:43], v[206:207]
	v_add_f64_e32 v[16:17], v[16:17], v[40:41]
	s_or_b32 exec_lo, exec_lo, s23
	s_and_saveexec_b32 s23, s3
	s_cbranch_execnz .LBB189_303
	s_branch .LBB189_304
.LBB189_534:                            ;   in Loop: Header=BB189_3 Depth=1
	ds_load_b128 v[40:43], v57 offset:8464
	ds_load_b128 v[206:209], v63 offset:9088
	s_wait_dscnt 0x0
	v_mul_f64_e32 v[4:5], v[42:43], v[208:209]
	s_delay_alu instid0(VALU_DEP_1) | instskip(SKIP_1) | instid1(VALU_DEP_2)
	v_fma_f64 v[4:5], v[40:41], v[206:207], -v[4:5]
	v_mul_f64_e32 v[40:41], v[40:41], v[208:209]
	v_add_f64_e32 v[14:15], v[14:15], v[4:5]
	s_delay_alu instid0(VALU_DEP_2) | instskip(NEXT) | instid1(VALU_DEP_1)
	v_fmac_f64_e32 v[40:41], v[42:43], v[206:207]
	v_add_f64_e32 v[16:17], v[16:17], v[40:41]
	s_or_b32 exec_lo, exec_lo, s23
	s_and_saveexec_b32 s23, s11
	s_cbranch_execz .LBB189_344
.LBB189_535:                            ;   in Loop: Header=BB189_3 Depth=1
	ds_load_b128 v[40:43], v57 offset:8480
	ds_load_b128 v[206:209], v63 offset:9600
	s_wait_dscnt 0x0
	v_mul_f64_e32 v[4:5], v[42:43], v[208:209]
	s_delay_alu instid0(VALU_DEP_1) | instskip(SKIP_1) | instid1(VALU_DEP_2)
	v_fma_f64 v[4:5], v[40:41], v[206:207], -v[4:5]
	v_mul_f64_e32 v[40:41], v[40:41], v[208:209]
	v_add_f64_e32 v[14:15], v[14:15], v[4:5]
	s_delay_alu instid0(VALU_DEP_2) | instskip(NEXT) | instid1(VALU_DEP_1)
	v_fmac_f64_e32 v[40:41], v[42:43], v[206:207]
	v_add_f64_e32 v[16:17], v[16:17], v[40:41]
	s_or_b32 exec_lo, exec_lo, s23
	s_and_saveexec_b32 s23, s15
	s_cbranch_execz .LBB189_345
.LBB189_536:                            ;   in Loop: Header=BB189_3 Depth=1
	ds_load_b128 v[40:43], v57 offset:8496
	ds_load_b128 v[206:209], v63 offset:10112
	s_wait_dscnt 0x0
	v_mul_f64_e32 v[4:5], v[42:43], v[208:209]
	s_delay_alu instid0(VALU_DEP_1) | instskip(SKIP_1) | instid1(VALU_DEP_2)
	v_fma_f64 v[4:5], v[40:41], v[206:207], -v[4:5]
	v_mul_f64_e32 v[40:41], v[40:41], v[208:209]
	v_add_f64_e32 v[14:15], v[14:15], v[4:5]
	s_delay_alu instid0(VALU_DEP_2) | instskip(NEXT) | instid1(VALU_DEP_1)
	v_fmac_f64_e32 v[40:41], v[42:43], v[206:207]
	v_add_f64_e32 v[16:17], v[16:17], v[40:41]
	s_or_b32 exec_lo, exec_lo, s23
	s_and_saveexec_b32 s23, s16
	s_cbranch_execz .LBB189_346
.LBB189_537:                            ;   in Loop: Header=BB189_3 Depth=1
	ds_load_b128 v[40:43], v57 offset:8512
	ds_load_b128 v[206:209], v62 offset:10624
	s_wait_dscnt 0x0
	v_mul_f64_e32 v[4:5], v[42:43], v[208:209]
	s_delay_alu instid0(VALU_DEP_1) | instskip(SKIP_1) | instid1(VALU_DEP_2)
	v_fma_f64 v[4:5], v[40:41], v[206:207], -v[4:5]
	v_mul_f64_e32 v[40:41], v[40:41], v[208:209]
	v_add_f64_e32 v[14:15], v[14:15], v[4:5]
	s_delay_alu instid0(VALU_DEP_2) | instskip(NEXT) | instid1(VALU_DEP_1)
	v_fmac_f64_e32 v[40:41], v[42:43], v[206:207]
	v_add_f64_e32 v[16:17], v[16:17], v[40:41]
	s_or_b32 exec_lo, exec_lo, s23
	s_and_saveexec_b32 s23, s17
	s_cbranch_execz .LBB189_347
.LBB189_538:                            ;   in Loop: Header=BB189_3 Depth=1
	ds_load_b128 v[40:43], v57 offset:8528
	ds_load_b128 v[206:209], v63 offset:11136
	s_wait_dscnt 0x0
	v_mul_f64_e32 v[4:5], v[42:43], v[208:209]
	s_delay_alu instid0(VALU_DEP_1) | instskip(SKIP_1) | instid1(VALU_DEP_2)
	v_fma_f64 v[4:5], v[40:41], v[206:207], -v[4:5]
	v_mul_f64_e32 v[40:41], v[40:41], v[208:209]
	v_add_f64_e32 v[14:15], v[14:15], v[4:5]
	s_delay_alu instid0(VALU_DEP_2) | instskip(NEXT) | instid1(VALU_DEP_1)
	v_fmac_f64_e32 v[40:41], v[42:43], v[206:207]
	v_add_f64_e32 v[16:17], v[16:17], v[40:41]
	s_or_b32 exec_lo, exec_lo, s23
	s_and_saveexec_b32 s23, s6
	s_cbranch_execz .LBB189_348
.LBB189_539:                            ;   in Loop: Header=BB189_3 Depth=1
	ds_load_b128 v[40:43], v57 offset:8544
	ds_load_b128 v[206:209], v62 offset:11648
	s_wait_dscnt 0x0
	v_mul_f64_e32 v[4:5], v[42:43], v[208:209]
	s_delay_alu instid0(VALU_DEP_1) | instskip(SKIP_1) | instid1(VALU_DEP_2)
	v_fma_f64 v[4:5], v[40:41], v[206:207], -v[4:5]
	v_mul_f64_e32 v[40:41], v[40:41], v[208:209]
	v_add_f64_e32 v[14:15], v[14:15], v[4:5]
	s_delay_alu instid0(VALU_DEP_2) | instskip(NEXT) | instid1(VALU_DEP_1)
	v_fmac_f64_e32 v[40:41], v[42:43], v[206:207]
	v_add_f64_e32 v[16:17], v[16:17], v[40:41]
	s_or_b32 exec_lo, exec_lo, s23
	s_and_saveexec_b32 s23, s8
	s_cbranch_execnz .LBB189_349
	s_branch .LBB189_350
.LBB189_540:                            ;   in Loop: Header=BB189_3 Depth=1
	ds_load_b128 v[40:43], v50 offset:12688
	ds_load_b128 v[206:209], v56 offset:13248
	s_wait_dscnt 0x0
	v_mul_f64_e32 v[4:5], v[42:43], v[208:209]
	s_delay_alu instid0(VALU_DEP_1) | instskip(SKIP_1) | instid1(VALU_DEP_2)
	v_fma_f64 v[4:5], v[40:41], v[206:207], -v[4:5]
	v_mul_f64_e32 v[40:41], v[40:41], v[208:209]
	v_add_f64_e32 v[14:15], v[14:15], v[4:5]
	s_delay_alu instid0(VALU_DEP_2) | instskip(NEXT) | instid1(VALU_DEP_1)
	v_fmac_f64_e32 v[40:41], v[42:43], v[206:207]
	v_add_f64_e32 v[16:17], v[16:17], v[40:41]
	s_or_b32 exec_lo, exec_lo, s23
	s_and_saveexec_b32 s23, s8
	s_cbranch_execz .LBB189_406
.LBB189_541:                            ;   in Loop: Header=BB189_3 Depth=1
	ds_load_b128 v[40:43], v50 offset:12704
	ds_load_b128 v[206:209], v55 offset:13760
	s_wait_dscnt 0x0
	v_mul_f64_e32 v[4:5], v[42:43], v[208:209]
	s_delay_alu instid0(VALU_DEP_1) | instskip(SKIP_1) | instid1(VALU_DEP_2)
	v_fma_f64 v[4:5], v[40:41], v[206:207], -v[4:5]
	v_mul_f64_e32 v[40:41], v[40:41], v[208:209]
	v_add_f64_e32 v[14:15], v[14:15], v[4:5]
	s_delay_alu instid0(VALU_DEP_2) | instskip(NEXT) | instid1(VALU_DEP_1)
	v_fmac_f64_e32 v[40:41], v[42:43], v[206:207]
	v_add_f64_e32 v[16:17], v[16:17], v[40:41]
	s_or_b32 exec_lo, exec_lo, s23
	s_and_saveexec_b32 s23, s3
	s_cbranch_execnz .LBB189_407
	s_branch .LBB189_408
.LBB189_542:
	s_endpgm
	.section	.rodata,"a",@progbits
	.p2align	6, 0x0
	.amdhsa_kernel _ZL19rocblas_trsv_deviceILi32ELi16ELb1ELb1ELb1ELb1E19rocblas_complex_numIdES1_PKPKS1_PKPS1_EviT7_lllT6_T8_lllPii
		.amdhsa_group_segment_fixed_size 25104
		.amdhsa_private_segment_fixed_size 0
		.amdhsa_kernarg_size 360
		.amdhsa_user_sgpr_count 2
		.amdhsa_user_sgpr_dispatch_ptr 0
		.amdhsa_user_sgpr_queue_ptr 0
		.amdhsa_user_sgpr_kernarg_segment_ptr 1
		.amdhsa_user_sgpr_dispatch_id 0
		.amdhsa_user_sgpr_kernarg_preload_length 0
		.amdhsa_user_sgpr_kernarg_preload_offset 0
		.amdhsa_user_sgpr_private_segment_size 0
		.amdhsa_wavefront_size32 1
		.amdhsa_uses_dynamic_stack 0
		.amdhsa_enable_private_segment 0
		.amdhsa_system_sgpr_workgroup_id_x 1
		.amdhsa_system_sgpr_workgroup_id_y 0
		.amdhsa_system_sgpr_workgroup_id_z 1
		.amdhsa_system_sgpr_workgroup_info 0
		.amdhsa_system_vgpr_workitem_id 1
		.amdhsa_next_free_vgpr 212
		.amdhsa_next_free_sgpr 105
		.amdhsa_named_barrier_count 0
		.amdhsa_reserve_vcc 1
		.amdhsa_float_round_mode_32 0
		.amdhsa_float_round_mode_16_64 0
		.amdhsa_float_denorm_mode_32 3
		.amdhsa_float_denorm_mode_16_64 3
		.amdhsa_fp16_overflow 0
		.amdhsa_memory_ordered 1
		.amdhsa_forward_progress 1
		.amdhsa_inst_pref_size 164
		.amdhsa_round_robin_scheduling 0
		.amdhsa_exception_fp_ieee_invalid_op 0
		.amdhsa_exception_fp_denorm_src 0
		.amdhsa_exception_fp_ieee_div_zero 0
		.amdhsa_exception_fp_ieee_overflow 0
		.amdhsa_exception_fp_ieee_underflow 0
		.amdhsa_exception_fp_ieee_inexact 0
		.amdhsa_exception_int_div_zero 0
	.end_amdhsa_kernel
	.section	.text._ZL19rocblas_trsv_deviceILi32ELi16ELb1ELb1ELb1ELb1E19rocblas_complex_numIdES1_PKPKS1_PKPS1_EviT7_lllT6_T8_lllPii,"axG",@progbits,_ZL19rocblas_trsv_deviceILi32ELi16ELb1ELb1ELb1ELb1E19rocblas_complex_numIdES1_PKPKS1_PKPS1_EviT7_lllT6_T8_lllPii,comdat
.Lfunc_end189:
	.size	_ZL19rocblas_trsv_deviceILi32ELi16ELb1ELb1ELb1ELb1E19rocblas_complex_numIdES1_PKPKS1_PKPS1_EviT7_lllT6_T8_lllPii, .Lfunc_end189-_ZL19rocblas_trsv_deviceILi32ELi16ELb1ELb1ELb1ELb1E19rocblas_complex_numIdES1_PKPKS1_PKPS1_EviT7_lllT6_T8_lllPii
                                        ; -- End function
	.set _ZL19rocblas_trsv_deviceILi32ELi16ELb1ELb1ELb1ELb1E19rocblas_complex_numIdES1_PKPKS1_PKPS1_EviT7_lllT6_T8_lllPii.num_vgpr, 212
	.set _ZL19rocblas_trsv_deviceILi32ELi16ELb1ELb1ELb1ELb1E19rocblas_complex_numIdES1_PKPKS1_PKPS1_EviT7_lllT6_T8_lllPii.num_agpr, 0
	.set _ZL19rocblas_trsv_deviceILi32ELi16ELb1ELb1ELb1ELb1E19rocblas_complex_numIdES1_PKPKS1_PKPS1_EviT7_lllT6_T8_lllPii.numbered_sgpr, 105
	.set _ZL19rocblas_trsv_deviceILi32ELi16ELb1ELb1ELb1ELb1E19rocblas_complex_numIdES1_PKPKS1_PKPS1_EviT7_lllT6_T8_lllPii.num_named_barrier, 0
	.set _ZL19rocblas_trsv_deviceILi32ELi16ELb1ELb1ELb1ELb1E19rocblas_complex_numIdES1_PKPKS1_PKPS1_EviT7_lllT6_T8_lllPii.private_seg_size, 0
	.set _ZL19rocblas_trsv_deviceILi32ELi16ELb1ELb1ELb1ELb1E19rocblas_complex_numIdES1_PKPKS1_PKPS1_EviT7_lllT6_T8_lllPii.uses_vcc, 1
	.set _ZL19rocblas_trsv_deviceILi32ELi16ELb1ELb1ELb1ELb1E19rocblas_complex_numIdES1_PKPKS1_PKPS1_EviT7_lllT6_T8_lllPii.uses_flat_scratch, 0
	.set _ZL19rocblas_trsv_deviceILi32ELi16ELb1ELb1ELb1ELb1E19rocblas_complex_numIdES1_PKPKS1_PKPS1_EviT7_lllT6_T8_lllPii.has_dyn_sized_stack, 0
	.set _ZL19rocblas_trsv_deviceILi32ELi16ELb1ELb1ELb1ELb1E19rocblas_complex_numIdES1_PKPKS1_PKPS1_EviT7_lllT6_T8_lllPii.has_recursion, 0
	.set _ZL19rocblas_trsv_deviceILi32ELi16ELb1ELb1ELb1ELb1E19rocblas_complex_numIdES1_PKPKS1_PKPS1_EviT7_lllT6_T8_lllPii.has_indirect_call, 0
	.section	.AMDGPU.csdata,"",@progbits
; Kernel info:
; codeLenInByte = 20884
; TotalNumSgprs: 107
; NumVgprs: 212
; ScratchSize: 0
; MemoryBound: 1
; FloatMode: 240
; IeeeMode: 1
; LDSByteSize: 25104 bytes/workgroup (compile time only)
; SGPRBlocks: 0
; VGPRBlocks: 13
; NumSGPRsForWavesPerEU: 107
; NumVGPRsForWavesPerEU: 212
; NamedBarCnt: 0
; Occupancy: 4
; WaveLimiterHint : 1
; COMPUTE_PGM_RSRC2:SCRATCH_EN: 0
; COMPUTE_PGM_RSRC2:USER_SGPR: 2
; COMPUTE_PGM_RSRC2:TRAP_HANDLER: 0
; COMPUTE_PGM_RSRC2:TGID_X_EN: 1
; COMPUTE_PGM_RSRC2:TGID_Y_EN: 0
; COMPUTE_PGM_RSRC2:TGID_Z_EN: 1
; COMPUTE_PGM_RSRC2:TIDIG_COMP_CNT: 1
	.section	.text._ZL19rocblas_trsv_deviceILi32ELi16ELb1ELb0ELb0ELb0E19rocblas_complex_numIdES1_PKPKS1_PKPS1_EviT7_lllT6_T8_lllPii,"axG",@progbits,_ZL19rocblas_trsv_deviceILi32ELi16ELb1ELb0ELb0ELb0E19rocblas_complex_numIdES1_PKPKS1_PKPS1_EviT7_lllT6_T8_lllPii,comdat
	.globl	_ZL19rocblas_trsv_deviceILi32ELi16ELb1ELb0ELb0ELb0E19rocblas_complex_numIdES1_PKPKS1_PKPS1_EviT7_lllT6_T8_lllPii ; -- Begin function _ZL19rocblas_trsv_deviceILi32ELi16ELb1ELb0ELb0ELb0E19rocblas_complex_numIdES1_PKPKS1_PKPS1_EviT7_lllT6_T8_lllPii
	.p2align	8
	.type	_ZL19rocblas_trsv_deviceILi32ELi16ELb1ELb0ELb0ELb0E19rocblas_complex_numIdES1_PKPKS1_PKPS1_EviT7_lllT6_T8_lllPii,@function
_ZL19rocblas_trsv_deviceILi32ELi16ELb1ELb0ELb0ELb0E19rocblas_complex_numIdES1_PKPKS1_PKPS1_EviT7_lllT6_T8_lllPii: ; @_ZL19rocblas_trsv_deviceILi32ELi16ELb1ELb0ELb0ELb0E19rocblas_complex_numIdES1_PKPKS1_PKPS1_EviT7_lllT6_T8_lllPii
; %bb.0:
	s_load_b32 s39, s[0:1], 0x60
	s_bfe_u32 s2, ttmp6, 0x40014
	s_lshr_b32 s3, ttmp7, 16
	s_add_co_i32 s2, s2, 1
	s_bfe_u32 s5, ttmp6, 0x40008
	s_mul_i32 s4, s3, s2
	s_getreg_b32 s2, hwreg(HW_REG_IB_STS2, 6, 4)
	s_add_co_i32 s5, s5, s4
	s_cmp_eq_u32 s2, 0
	s_mov_b32 s53, 0
	s_cselect_b32 s52, s3, s5
	s_wait_kmcnt 0x0
	s_cmp_ge_u32 s52, s39
	s_cbranch_scc1 .LBB190_544
; %bb.1:
	s_clause 0x2
	s_load_b32 s3, s[0:1], 0x74
	s_load_b32 s64, s[0:1], 0x0
	s_load_b64 s[54:55], s[0:1], 0x18
	s_bfe_u32 s5, ttmp6, 0x4000c
	s_and_b32 s4, ttmp6, 15
	s_add_co_i32 s5, s5, 1
	v_bfe_u32 v42, v0, 10, 10
	s_mul_i32 s5, ttmp9, s5
	v_and_b32_e32 v20, 0x3ff, v0
	s_add_co_i32 s4, s4, s5
	s_cmp_eq_u32 s2, 0
	v_dual_mov_b32 v1, 0 :: v_dual_lshlrev_b32 v6, 5, v42
	s_cselect_b32 s65, ttmp9, s4
	v_and_b32_e32 v9, 1, v0
	s_delay_alu instid0(VALU_DEP_2)
	v_dual_mov_b32 v23, v1 :: v_dual_lshlrev_b32 v46, 4, v20
	v_mov_b32_e32 v21, v1
	v_add_nc_u16 v7, v6, v20
	v_add_nc_u32_e32 v11, v6, v20
	s_wait_kmcnt 0x0
	s_and_b32 s4, s3, 0xffff
	s_add_co_i32 s2, s64, -1
	s_ashr_i32 s3, s64, 31
	s_ashr_i32 s5, s2, 31
	s_lshr_b32 s3, s3, 27
	s_lshr_b32 s5, s5, 27
	s_add_co_i32 s3, s64, s3
	s_add_co_i32 s2, s2, s5
	s_and_not1_b32 s3, s3, 31
	s_ashr_i32 s2, s2, 5
	s_sub_co_i32 s33, s64, s3
	s_cmp_eq_u32 s2, s65
	v_lshrrev_b16 v7, 1, v7
	s_cselect_b32 s5, -1, 0
	s_cmp_lg_u32 s33, 0
	s_add_nc_u64 s[2:3], s[54:55], 1
	s_cselect_b32 s6, -1, 0
	s_lshl_b32 s24, s65, 5
	v_mad_u32_u24 v22, v42, s4, v20
	v_dual_add_nc_u32 v8, s24, v42 :: v_dual_add_nc_u32 v24, s24, v20
	v_mad_nc_u64_u32 v[2:3], s2, s24, v[20:21]
	s_ashr_i32 s25, s24, 31
	s_mul_i32 s3, s3, s24
	s_delay_alu instid0(VALU_DEP_2)
	v_subrev_nc_u32_e32 v4, 32, v8
	v_ashrrev_i32_e32 v25, 31, v24
	s_mul_i32 s4, s2, s25
	v_lshlrev_b32_e32 v6, 4, v9
	v_sub_co_u32 v43, s7, s65, 1
	v_ashrrev_i32_e32 v5, 31, v4
	s_and_b32 s14, s6, s5
	v_add3_u32 v3, s4, s3, v3
	v_cmp_gt_u32_e64 s4, 4, v11
	s_xor_b32 s66, s7, -1
	v_mul_u64_e32 v[26:27], s[54:55], v[4:5]
	v_lshrrev_b32_e32 v5, 10, v0
	s_xor_b32 s67, s14, -1
	s_cmp_gt_i32 s65, 4
                                        ; implicit-def: $vgpr78 : SGPR spill to VGPR lane
	v_cmp_le_i32_e64 s23, s33, v20
	s_cselect_b32 s3, -1, 0
	v_bitop3_b32 v10, v0, v5, 0x3ff bitop3:0xa8
	v_and_b32_e32 v5, 0xffff, v7
	v_cmp_gt_i32_e32 vcc_lo, s33, v20
	s_and_b32 s14, s23, s14
	s_and_b32 s68, s3, s67
	v_cmp_gt_i32_e64 s2, s64, v24
	v_lshl_add_u32 v21, v5, 4, 0x4000
	v_lshl_or_b32 v44, v5, 9, v6
	v_mul_u32_u24_e32 v45, 0x210, v5
	v_dual_lshrrev_b32 v5, 2, v11 :: v_dual_bitop2_b32 v6, 3, v0 bitop3:0x40
	v_cmp_ne_u32_e64 s34, v20, v42
	s_clause 0x2
	s_load_b64 s[56:57], s[0:1], 0x48
	s_load_b64 s[58:59], s[0:1], 0x58
	s_load_b128 s[48:51], s[0:1], 0x8
	v_lshlrev_b32_e32 v7, 4, v5
	v_cmp_eq_u32_e64 s6, 1, v9
	v_mul_u32_u24_e32 v48, 0x210, v5
	v_lshlrev_b32_e32 v47, 4, v6
	v_cmp_ne_u32_e64 s10, 0, v6
	v_cmp_eq_u32_e64 s9, 0, v6
	s_xor_b32 s7, s6, -1
	s_and_b32 s70, s6, s4
	v_cmp_gt_u32_e64 s6, 16, v11
	v_lshl_or_b32 v50, v5, 9, v47
	v_sub_nc_u32_e32 v5, v48, v7
	v_cmp_eq_u32_e64 s11, 1, v6
	v_add_nc_u32_e32 v49, 0x4000, v7
	s_and_b32 s72, s10, s6
	v_cmp_eq_u32_e64 s10, 2, v6
	v_add_nc_u32_e32 v51, v5, v47
	s_and_b32 s71, s9, s6
	s_and_b32 s73, s11, s6
	v_cmp_lt_u32_e64 s9, 1, v6
	v_cmp_eq_u32_e64 s11, 3, v6
	v_and_b32_e32 v6, 7, v0
	s_and_b32 s75, s10, s6
	v_cmp_gt_u32_e64 s10, 56, v11
	s_and_b32 s74, s9, s6
	v_cmp_gt_u32_e64 s9, 64, v11
	v_cmp_eq_u32_e64 s15, 0, v6
	v_dual_lshrrev_b32 v5, 3, v11 :: v_dual_lshlrev_b32 v53, 4, v6
	v_writelane_b32 v78, s10, 0
	v_cmp_gt_u32_e64 s10, 40, v11
	s_and_b32 s77, s15, s9
	v_cmp_eq_u32_e64 s15, 1, v6
	v_lshlrev_b32_e32 v7, 4, v5
	v_mul_u32_u24_e32 v52, 0x210, v5
	v_writelane_b32 v78, s10, 1
	v_cmp_gt_u32_e64 s10, 24, v11
	v_cmp_lt_u32_e64 s18, 2, v6
	s_and_b32 s79, s15, s9
	v_cmp_lt_u32_e64 s15, 3, v6
	v_lshl_or_b32 v55, v5, 9, v53
	v_writelane_b32 v78, s10, 2
	v_cmp_gt_u32_e64 s10, 0xf0, v11
	v_cmp_eq_u32_e64 s19, 3, v6
	s_and_b32 s82, s18, s9
	v_cmp_eq_u32_e64 s18, 5, v6
	s_and_b32 s84, s15, s9
	v_lshlrev_b32_e32 v5, 5, v11
	v_dual_sub_nc_u32 v9, v52, v7 :: v_dual_bitop2_b32 v0, 15, v0 bitop3:0x40
	v_cmp_eq_u32_e64 s15, 6, v6
	v_writelane_b32 v78, s10, 3
	v_cmp_gt_u32_e64 s10, 0xe0, v11
	s_and_b32 s83, s19, s9
	v_cmp_lt_u32_e64 s19, 5, v6
	s_and_b32 s87, s18, s9
	s_and_b32 s89, s15, s9
	v_cmp_gt_u32_e64 s15, 0x100, v11
	v_cmp_eq_u32_e64 s18, 0, v0
	v_writelane_b32 v78, s10, 4
	s_and_b32 s88, s19, s9
	v_cmp_ne_u32_e64 s19, 0, v0
	v_cmp_eq_u32_e64 s20, 1, v0
	s_and_b32 s10, s18, s15
	v_cmp_lt_u32_e64 s18, 1, v0
	v_writelane_b32 v78, s10, 5
	s_and_b32 s10, s19, s15
	v_cmp_ne_u32_e64 s16, 0, v6
	v_cmp_eq_u32_e64 s19, 2, v0
	v_cmp_eq_u32_e64 s21, 3, v0
	v_writelane_b32 v78, s10, 6
	s_and_b32 s10, s20, s15
	s_and_b32 s78, s16, s9
	v_cmp_lt_u32_e64 s16, 1, v6
	v_cmp_lt_u32_e64 s20, 2, v0
	v_writelane_b32 v78, s10, 7
	s_and_b32 s10, s18, s15
	v_cmp_lt_u32_e64 s18, 3, v0
	s_and_b32 s80, s16, s9
	v_cmp_eq_u32_e64 s16, 4, v6
	v_writelane_b32 v78, s10, 8
	s_and_b32 s10, s19, s15
	v_cmp_eq_u32_e64 s19, 4, v0
	s_and_b32 s98, s18, s15
	v_cmp_eq_u32_e64 s18, 5, v0
	;; [unrolled: 2-line block ×4, first 2 shown]
	s_and_b32 s101, s18, s15
	v_cmp_lt_u32_e64 s18, 6, v0
	v_writelane_b32 v78, s10, 9
	s_and_b32 s10, s20, s15
	s_and_b32 s103, s19, s15
	v_cmp_lt_u32_e64 s19, 7, v0
	v_cmp_lt_u32_e64 s20, 4, v0
	s_and_b32 s104, s18, s15
	v_cmp_lt_u32_e64 s18, 8, v0
	s_and_b32 s90, s16, s9
	s_and_b32 s16, s19, s15
	v_cmp_eq_u32_e64 s19, 9, v0
	v_cmp_eq_u32_e64 s17, 2, v6
	v_writelane_b32 v78, s10, 10
	s_and_b32 s10, s21, s15
	v_cmp_lt_u32_e64 s21, 5, v0
	s_and_b32 s100, s20, s15
	v_cmp_eq_u32_e64 s20, 7, v0
	s_and_b32 s26, s18, s15
	v_cmp_eq_u32_e64 s18, 10, v0
	;; [unrolled: 2-line block ×3, first 2 shown]
	s_and_b32 s81, s17, s9
	v_cmp_lt_u32_e64 s17, 4, v6
	s_and_b32 s102, s21, s15
	v_cmp_eq_u32_e64 s21, 8, v0
	s_and_b32 vcc_hi, s20, s15
	v_cmp_lt_u32_e64 s20, 9, v0
	s_and_b32 s29, s18, s15
	v_cmp_lt_u32_e64 s18, 11, v0
	s_and_b32 s31, s19, s15
	;; [unrolled: 2-line block ×3, first 2 shown]
	s_and_b32 s17, s21, s15
	v_cmp_lt_u32_e64 s21, 10, v0
	s_and_b32 s28, s20, s15
	v_cmp_eq_u32_e64 s20, 12, v0
	s_and_b32 s37, s18, s15
	v_cmp_lt_u32_e64 s18, 13, v0
	s_and_b32 s22, s19, s15
	v_cmp_eq_u32_e64 s19, 14, v0
	s_and_b32 s30, s21, s15
	v_cmp_eq_u32_e64 s21, 13, v0
	s_and_b32 s38, s20, s15
	s_and_b32 s12, s18, s15
	v_cmp_eq_u32_e64 s20, 15, v0
	v_cmp_eq_u32_e64 s18, 0, v42
	s_and_b32 s91, s19, s15
	s_xor_b32 s19, s14, -1
	s_and_b32 s69, s7, s4
	s_and_b32 s76, s11, s6
	v_writelane_b32 v78, s10, 11
	s_and_b32 s10, s21, s15
	s_and_b32 s92, s20, s15
	;; [unrolled: 1-line block ×3, first 2 shown]
	v_dual_add_nc_u32 v56, v9, v53 :: v_dual_lshlrev_b32 v59, 4, v0
	v_and_b32_e32 v58, 0xffe00, v5
	s_cmp_gt_i32 s65, 0
	v_cmp_gt_i32_e64 s19, s64, v4
	s_cselect_b32 s94, -1, 0
	s_and_b32 s21, s18, vcc_lo
	v_dual_add_nc_u32 v12, 16, v42 :: v_dual_bitop2_b32 v61, v58, v59 bitop3:0x54
	v_writelane_b32 v78, s21, 12
	v_cmp_le_i32_e32 vcc_lo, s33, v42
	v_add_nc_u32_e32 v54, 0x4000, v7
	v_add_nc_u64_e32 v[6:7], s[24:25], v[22:23]
	s_and_b32 s25, s2, s19
	v_cmp_le_u32_e64 s19, v20, v42
	v_writelane_b32 v78, s34, 13
	v_dual_add_nc_u32 v0, s24, v22 :: v_dual_add_nc_u32 v8, -16, v8
	v_cmp_le_i32_e64 s24, s33, v12
	s_or_b32 s33, vcc_lo, s23
	v_cmp_ne_u32_e64 s35, v20, v12
	s_or_b32 s95, s33, s19
	s_or_b32 s33, s23, s34
	;; [unrolled: 1-line block ×3, first 2 shown]
	v_writelane_b32 v78, s33, 14
	s_or_b32 s23, s23, s35
	s_wait_kmcnt 0x0
	v_mul_u64_e32 v[28:29], s[56:57], v[24:25]
	v_mul_u64_e32 v[32:33], s[56:57], v[0:1]
	;; [unrolled: 1-line block ×3, first 2 shown]
	v_writelane_b32 v78, s35, 15
	v_mad_nc_u64_u32 v[30:31], s54, v42, v[2:3]
	v_mad_nc_u64_u32 v[34:35], s54, v12, v[2:3]
	s_load_b256 s[40:47], s[0:1], 0x28
	v_lshl_add_u32 v62, v42, 4, 0x6000
	v_writelane_b32 v78, s23, 16
	v_cmp_gt_u32_e64 s23, 0xd0, v11
	v_mul_u32_u24_e32 v68, 0x210, v20
	s_delay_alu instid0(VALU_DEP_4) | instskip(SKIP_1) | instid1(VALU_DEP_4)
	v_dual_lshlrev_b32 v5, 9, v20 :: v_dual_add_nc_u32 v67, v62, v46
	v_and_b32_e32 v57, 0x7ff0, v11
	v_writelane_b32 v78, s23, 17
	v_cmp_gt_u32_e64 s23, 0xc0, v11
	v_mad_u32 v31, s55, v42, v31
	v_mad_u32 v35, s55, v12, v35
	v_sub_nc_u32_e32 v23, v68, v5
	v_or_b32_e32 v0, v12, v20
	v_writelane_b32 v78, s23, 18
	v_cmp_gt_u32_e64 s23, 0xb0, v11
	v_cmp_gt_i32_e64 s20, s64, v8
	v_cmp_le_u32_e64 s21, v20, v12
	v_cmp_eq_u32_e64 s3, 0, v10
	v_cmp_gt_u32_e64 s5, 2, v11
	v_writelane_b32 v78, s23, 19
	v_cmp_gt_u32_e64 s23, 0xa0, v11
	v_cmp_gt_u32_e64 s7, 12, v11
	;; [unrolled: 1-line block ×5, first 2 shown]
	v_writelane_b32 v78, s23, 20
	v_cmp_gt_u32_e64 s23, 0x90, v11
	v_add_nc_u32_e32 v60, 0x4000, v57
	v_lshl_add_u32 v63, v22, 4, 0x6000
	v_lshl_add_u32 v64, v11, 4, 0x4000
	v_or_b32_e32 v65, 0x4000, v46
	v_writelane_b32 v78, s23, 21
	v_cmp_gt_u32_e64 s23, 0x80, v11
	v_lshl_add_u32 v66, v42, 9, v46
	v_lshl_add_u32 v69, v12, 9, v23
	v_cmp_eq_u32_e64 s33, 0, v22
	v_cmp_gt_u32_e64 s34, 32, v22
	v_writelane_b32 v78, s23, 22
	v_cmp_gt_u32_e64 s23, 0x70, v11
	v_cmp_ge_u32_e64 s35, v20, v42
	v_cmp_ge_u32_e64 s36, v20, v12
	s_and_b32 s20, s2, s20
	s_or_b32 s24, s24, s21
	v_writelane_b32 v78, s23, 23
	v_cmp_gt_u32_e64 s23, 0x60, v11
	s_lshl_b64 s[60:61], s[54:55], 8
	s_lshl_b64 s[50:51], s[50:51], 4
	s_wait_kmcnt 0x0
	s_lshl_b64 s[46:47], s[46:47], 4
                                        ; implicit-def: $vgpr4_vgpr5
                                        ; implicit-def: $vgpr8_vgpr9
	v_writelane_b32 v78, s23, 24
	v_cmp_gt_u32_e64 s23, 0x50, v11
	s_delay_alu instid0(VALU_DEP_1) | instskip(SKIP_1) | instid1(VALU_DEP_1)
	v_writelane_b32 v78, s23, 25
	v_cmp_gt_u32_e64 s23, 32, v10
	v_writelane_b32 v78, s23, 26
	v_cmp_gt_u32_e64 s23, 32, v0
	s_delay_alu instid0(VALU_DEP_1)
	v_writelane_b32 v78, s23, 27
	s_branch .LBB190_3
.LBB190_2:                              ;   in Loop: Header=BB190_3 Depth=1
	s_wait_xcnt 0x0
	s_or_b32 exec_lo, exec_lo, s0
	s_add_co_i32 s52, s52, 0x10000
	global_wb scope:SCOPE_DEV
	s_wait_storecnt 0x0
	global_inv scope:SCOPE_DEV
	s_cmp_lt_u32 s52, s39
	s_cbranch_scc0 .LBB190_544
.LBB190_3:                              ; =>This Loop Header: Depth=1
                                        ;     Child Loop BB190_433 Depth 2
                                        ;       Child Loop BB190_435 Depth 3
                                        ;     Child Loop BB190_466 Depth 2
	v_mov_b32_e32 v0, s52
	s_and_not1_b32 vcc_lo, exec_lo, s66
	s_clause 0x1
	global_load_b64 v[2:3], v0, s[48:49] scale_offset
	global_load_b64 v[40:41], v0, s[44:45] scale_offset
	s_wait_loadcnt 0x1
	v_add_nc_u64_e32 v[38:39], s[50:51], v[2:3]
	s_cbranch_vccz .LBB190_6
; %bb.4:                                ;   in Loop: Header=BB190_3 Depth=1
	s_and_not1_b32 vcc_lo, exec_lo, s67
	s_mov_b32 s0, -1
	s_cbranch_vccz .LBB190_11
.LBB190_5:                              ;   in Loop: Header=BB190_3 Depth=1
	s_and_b32 vcc_lo, exec_lo, s0
	s_cbranch_vccnz .LBB190_18
	s_branch .LBB190_25
.LBB190_6:                              ;   in Loop: Header=BB190_3 Depth=1
	s_delay_alu instid0(VALU_DEP_1)
	v_lshl_add_u64 v[2:3], v[26:27], 4, v[38:39]
	v_mov_b64_e32 v[10:11], 0
	v_mov_b64_e32 v[4:5], 0
	;; [unrolled: 1-line block ×3, first 2 shown]
	s_wait_loadcnt 0x0
	v_lshl_add_u64 v[2:3], v[24:25], 4, v[2:3]
	s_barrier_signal -1
	s_barrier_wait -1
	s_wait_xcnt 0x0
	s_and_saveexec_b32 s0, s25
	s_cbranch_execz .LBB190_8
; %bb.7:                                ;   in Loop: Header=BB190_3 Depth=1
	flat_load_b128 v[4:7], v[2:3]
.LBB190_8:                              ;   in Loop: Header=BB190_3 Depth=1
	s_wait_xcnt 0x0
	s_or_b32 exec_lo, exec_lo, s0
	v_mov_b64_e32 v[8:9], 0
	s_wait_loadcnt_dscnt 0x0
	s_barrier_signal -1
	s_barrier_wait -1
	s_and_saveexec_b32 s0, s20
	s_cbranch_execz .LBB190_10
; %bb.9:                                ;   in Loop: Header=BB190_3 Depth=1
	v_add_nc_u64_e32 v[2:3], s[60:61], v[2:3]
	flat_load_b128 v[8:11], v[2:3]
.LBB190_10:                             ;   in Loop: Header=BB190_3 Depth=1
	s_wait_xcnt 0x0
	s_or_b32 exec_lo, exec_lo, s0
	s_delay_alu instid0(SALU_CYCLE_1)
	s_and_not1_b32 vcc_lo, exec_lo, s67
	s_mov_b32 s0, -1
	s_cbranch_vccnz .LBB190_5
.LBB190_11:                             ;   in Loop: Header=BB190_3 Depth=1
	s_mov_b32 s1, 0
                                        ; implicit-def: $vgpr14_vgpr15
	s_wait_xcnt 0x0
	s_and_saveexec_b32 s0, s19
	s_delay_alu instid0(SALU_CYCLE_1)
	s_xor_b32 s0, exec_lo, s0
	s_cbranch_execnz .LBB190_479
; %bb.12:                               ;   in Loop: Header=BB190_3 Depth=1
	s_and_not1_saveexec_b32 s0, s0
	s_cbranch_execnz .LBB190_488
.LBB190_13:                             ;   in Loop: Header=BB190_3 Depth=1
	s_or_b32 exec_lo, exec_lo, s0
	s_and_saveexec_b32 s0, s1
	s_cbranch_execnz .LBB190_489
.LBB190_14:                             ;   in Loop: Header=BB190_3 Depth=1
	s_or_b32 exec_lo, exec_lo, s0
	s_and_saveexec_b32 s0, s21
	s_delay_alu instid0(SALU_CYCLE_1)
	s_xor_b32 s0, exec_lo, s0
	s_cbranch_execnz .LBB190_490
.LBB190_15:                             ;   in Loop: Header=BB190_3 Depth=1
	s_and_not1_saveexec_b32 s0, s0
	s_cbranch_execz .LBB190_17
.LBB190_16:                             ;   in Loop: Header=BB190_3 Depth=1
	v_lshl_add_u64 v[2:3], v[34:35], 4, v[38:39]
	flat_load_b128 v[12:15], v[2:3]
	s_wait_loadcnt_dscnt 0x0
	v_xor_b32_e32 v13, 0x80000000, v13
	v_xor_b32_e32 v15, 0x80000000, v15
	ds_store_b128 v69, v[12:15]
.LBB190_17:                             ;   in Loop: Header=BB190_3 Depth=1
	s_or_b32 exec_lo, exec_lo, s0
	s_branch .LBB190_25
.LBB190_18:                             ;   in Loop: Header=BB190_3 Depth=1
	s_mov_b32 s1, 0
                                        ; implicit-def: $vgpr14_vgpr15
	s_wait_xcnt 0x0
	s_and_saveexec_b32 s0, s95
	s_delay_alu instid0(SALU_CYCLE_1)
	s_xor_b32 s0, exec_lo, s0
	s_cbranch_execnz .LBB190_501
; %bb.19:                               ;   in Loop: Header=BB190_3 Depth=1
	s_and_not1_saveexec_b32 s0, s0
	s_cbranch_execnz .LBB190_510
.LBB190_20:                             ;   in Loop: Header=BB190_3 Depth=1
	s_or_b32 exec_lo, exec_lo, s0
	s_and_saveexec_b32 s0, s1
	s_cbranch_execnz .LBB190_511
.LBB190_21:                             ;   in Loop: Header=BB190_3 Depth=1
	s_or_b32 exec_lo, exec_lo, s0
	s_and_saveexec_b32 s0, s24
	s_delay_alu instid0(SALU_CYCLE_1)
	s_xor_b32 s0, exec_lo, s0
	s_cbranch_execnz .LBB190_512
.LBB190_22:                             ;   in Loop: Header=BB190_3 Depth=1
	s_and_not1_saveexec_b32 s0, s0
	s_cbranch_execz .LBB190_24
.LBB190_23:                             ;   in Loop: Header=BB190_3 Depth=1
	v_lshl_add_u64 v[2:3], v[34:35], 4, v[38:39]
	flat_load_b128 v[12:15], v[2:3]
	s_wait_loadcnt_dscnt 0x0
	v_xor_b32_e32 v13, 0x80000000, v13
	v_xor_b32_e32 v15, 0x80000000, v15
	ds_store_b128 v69, v[12:15]
.LBB190_24:                             ;   in Loop: Header=BB190_3 Depth=1
	s_or_b32 exec_lo, exec_lo, s0
.LBB190_25:                             ;   in Loop: Header=BB190_3 Depth=1
	s_delay_alu instid0(SALU_CYCLE_1)
	s_and_not1_b32 vcc_lo, exec_lo, s68
	s_wait_loadcnt_dscnt 0x0
	s_barrier_signal -1
	s_barrier_wait -1
	s_cbranch_vccnz .LBB190_427
; %bb.26:                               ;   in Loop: Header=BB190_3 Depth=1
	s_wait_xcnt 0x0
	s_and_saveexec_b32 s0, s3
	s_cbranch_execz .LBB190_28
; %bb.27:                               ;   in Loop: Header=BB190_3 Depth=1
	ds_load_b128 v[12:15], v1 offset:528
	ds_load_b128 v[16:19], v1
	ds_load_b128 v[70:73], v1 offset:16
	s_wait_dscnt 0x1
	v_mul_f64_e32 v[2:3], v[12:13], v[18:19]
	v_mul_f64_e32 v[18:19], v[14:15], v[18:19]
	s_delay_alu instid0(VALU_DEP_2) | instskip(NEXT) | instid1(VALU_DEP_2)
	v_fmac_f64_e32 v[2:3], v[14:15], v[16:17]
	v_fma_f64 v[12:13], v[12:13], v[16:17], -v[18:19]
	s_wait_dscnt 0x0
	s_delay_alu instid0(VALU_DEP_2) | instskip(NEXT) | instid1(VALU_DEP_2)
	v_mul_f64_e32 v[16:17], v[2:3], v[72:73]
	v_mul_f64_e32 v[14:15], v[12:13], v[72:73]
	s_delay_alu instid0(VALU_DEP_2) | instskip(NEXT) | instid1(VALU_DEP_2)
	v_fma_f64 v[12:13], v[70:71], v[12:13], -v[16:17]
	v_fmac_f64_e32 v[14:15], v[70:71], v[2:3]
	ds_store_b128 v1, v[12:15] offset:16
.LBB190_28:                             ;   in Loop: Header=BB190_3 Depth=1
	s_or_b32 exec_lo, exec_lo, s0
	v_mov_b64_e32 v[14:15], 0
	v_mov_b64_e32 v[12:13], 0
	s_wait_dscnt 0x0
	s_barrier_signal -1
	s_barrier_wait -1
	s_and_saveexec_b32 s0, s4
	s_cbranch_execz .LBB190_32
; %bb.29:                               ;   in Loop: Header=BB190_3 Depth=1
	ds_load_b128 v[12:15], v45
	ds_load_b128 v[16:19], v44 offset:32
	s_wait_dscnt 0x0
	v_mul_f64_e32 v[2:3], v[14:15], v[18:19]
	v_mul_f64_e32 v[18:19], v[12:13], v[18:19]
	s_delay_alu instid0(VALU_DEP_2) | instskip(NEXT) | instid1(VALU_DEP_2)
	v_fma_f64 v[2:3], v[12:13], v[16:17], -v[2:3]
	v_fmac_f64_e32 v[18:19], v[14:15], v[16:17]
	s_delay_alu instid0(VALU_DEP_2) | instskip(NEXT) | instid1(VALU_DEP_2)
	v_add_f64_e32 v[12:13], 0, v[2:3]
	v_add_f64_e32 v[14:15], 0, v[18:19]
	s_and_saveexec_b32 s1, s5
	s_cbranch_execz .LBB190_31
; %bb.30:                               ;   in Loop: Header=BB190_3 Depth=1
	ds_load_b128 v[16:19], v1 offset:16
	ds_load_b128 v[70:73], v46 offset:544
	s_wait_dscnt 0x0
	v_mul_f64_e32 v[2:3], v[18:19], v[72:73]
	v_mul_f64_e32 v[72:73], v[16:17], v[72:73]
	s_delay_alu instid0(VALU_DEP_2) | instskip(NEXT) | instid1(VALU_DEP_2)
	v_fma_f64 v[2:3], v[16:17], v[70:71], -v[2:3]
	v_fmac_f64_e32 v[72:73], v[18:19], v[70:71]
	s_delay_alu instid0(VALU_DEP_2) | instskip(NEXT) | instid1(VALU_DEP_2)
	v_add_f64_e32 v[12:13], v[12:13], v[2:3]
	v_add_f64_e32 v[14:15], v[14:15], v[72:73]
.LBB190_31:                             ;   in Loop: Header=BB190_3 Depth=1
	s_or_b32 exec_lo, exec_lo, s1
	s_delay_alu instid0(VALU_DEP_2) | instskip(NEXT) | instid1(VALU_DEP_2)
	v_xor_b32_e32 v13, 0x80000000, v13
	v_xor_b32_e32 v15, 0x80000000, v15
.LBB190_32:                             ;   in Loop: Header=BB190_3 Depth=1
	s_or_b32 exec_lo, exec_lo, s0
	s_and_saveexec_b32 s0, s69
	s_cbranch_execz .LBB190_34
; %bb.33:                               ;   in Loop: Header=BB190_3 Depth=1
	ds_load_b128 v[16:19], v1 offset:1056
	s_wait_dscnt 0x0
	v_mul_f64_e32 v[2:3], v[14:15], v[18:19]
	v_mul_f64_e32 v[72:73], v[12:13], v[18:19]
	s_delay_alu instid0(VALU_DEP_2) | instskip(NEXT) | instid1(VALU_DEP_2)
	v_fma_f64 v[70:71], v[12:13], v[16:17], -v[2:3]
	v_fmac_f64_e32 v[72:73], v[14:15], v[16:17]
	s_delay_alu instid0(VALU_DEP_2) | instskip(NEXT) | instid1(VALU_DEP_2)
	v_mov_b64_e32 v[12:13], v[70:71]
	v_mov_b64_e32 v[14:15], v[72:73]
	ds_store_b128 v21, v[70:73]
.LBB190_34:                             ;   in Loop: Header=BB190_3 Depth=1
	s_or_b32 exec_lo, exec_lo, s0
	s_wait_dscnt 0x0
	s_barrier_signal -1
	s_barrier_wait -1
	s_and_saveexec_b32 s0, s70
	s_cbranch_execz .LBB190_36
; %bb.35:                               ;   in Loop: Header=BB190_3 Depth=1
	ds_load_b128 v[16:19], v21
	ds_load_b128 v[70:73], v1 offset:1072
	s_wait_dscnt 0x0
	v_mul_f64_e32 v[2:3], v[18:19], v[72:73]
	v_mul_f64_e32 v[72:73], v[16:17], v[72:73]
	s_delay_alu instid0(VALU_DEP_2) | instskip(NEXT) | instid1(VALU_DEP_2)
	v_fma_f64 v[2:3], v[16:17], v[70:71], -v[2:3]
	v_fmac_f64_e32 v[72:73], v[18:19], v[70:71]
	s_delay_alu instid0(VALU_DEP_2) | instskip(NEXT) | instid1(VALU_DEP_2)
	v_add_f64_e32 v[12:13], v[12:13], v[2:3]
	v_add_f64_e32 v[14:15], v[14:15], v[72:73]
.LBB190_36:                             ;   in Loop: Header=BB190_3 Depth=1
	s_or_b32 exec_lo, exec_lo, s0
	s_barrier_signal -1
	s_barrier_wait -1
	s_and_saveexec_b32 s0, s70
	s_cbranch_execz .LBB190_38
; %bb.37:                               ;   in Loop: Header=BB190_3 Depth=1
	ds_load_b128 v[16:19], v1 offset:1584
	s_wait_dscnt 0x0
	v_mul_f64_e32 v[2:3], v[14:15], v[18:19]
	v_mul_f64_e32 v[72:73], v[12:13], v[18:19]
	s_delay_alu instid0(VALU_DEP_2) | instskip(NEXT) | instid1(VALU_DEP_2)
	v_fma_f64 v[70:71], v[12:13], v[16:17], -v[2:3]
	v_fmac_f64_e32 v[72:73], v[14:15], v[16:17]
	s_delay_alu instid0(VALU_DEP_2) | instskip(NEXT) | instid1(VALU_DEP_2)
	v_mov_b64_e32 v[12:13], v[70:71]
	v_mov_b64_e32 v[14:15], v[72:73]
	ds_store_b128 v21, v[70:73]
.LBB190_38:                             ;   in Loop: Header=BB190_3 Depth=1
	s_or_b32 exec_lo, exec_lo, s0
	s_wait_dscnt 0x0
	s_barrier_signal -1
	s_barrier_wait -1
	s_barrier_signal -1
	s_barrier_wait -1
	s_and_saveexec_b32 s0, s4
; %bb.39:                               ;   in Loop: Header=BB190_3 Depth=1
	s_delay_alu instid0(VALU_DEP_2) | instskip(NEXT) | instid1(VALU_DEP_2)
	v_xor_b32_e32 v13, 0x80000000, v13
	v_xor_b32_e32 v15, 0x80000000, v15
	ds_store_b128 v44, v[12:15] offset:32
; %bb.40:                               ;   in Loop: Header=BB190_3 Depth=1
	s_or_b32 exec_lo, exec_lo, s0
	s_wait_dscnt 0x0
	s_barrier_signal -1
	s_barrier_wait -1
	s_barrier_signal -1
	s_barrier_wait -1
	s_and_saveexec_b32 s0, s3
	s_cbranch_execz .LBB190_42
; %bb.41:                               ;   in Loop: Header=BB190_3 Depth=1
	ds_load_b128 v[12:15], v1 offset:1584
	ds_load_b128 v[16:19], v1 offset:1056
	;; [unrolled: 1-line block ×3, first 2 shown]
	s_wait_dscnt 0x1
	v_mul_f64_e32 v[2:3], v[12:13], v[18:19]
	v_mul_f64_e32 v[18:19], v[14:15], v[18:19]
	s_delay_alu instid0(VALU_DEP_2) | instskip(NEXT) | instid1(VALU_DEP_2)
	v_fmac_f64_e32 v[2:3], v[14:15], v[16:17]
	v_fma_f64 v[12:13], v[12:13], v[16:17], -v[18:19]
	s_wait_dscnt 0x0
	s_delay_alu instid0(VALU_DEP_2) | instskip(NEXT) | instid1(VALU_DEP_2)
	v_mul_f64_e32 v[16:17], v[2:3], v[72:73]
	v_mul_f64_e32 v[14:15], v[12:13], v[72:73]
	s_delay_alu instid0(VALU_DEP_2) | instskip(NEXT) | instid1(VALU_DEP_2)
	v_fma_f64 v[12:13], v[70:71], v[12:13], -v[16:17]
	v_fmac_f64_e32 v[14:15], v[70:71], v[2:3]
	ds_store_b128 v1, v[12:15] offset:1072
.LBB190_42:                             ;   in Loop: Header=BB190_3 Depth=1
	s_or_b32 exec_lo, exec_lo, s0
	v_mov_b64_e32 v[14:15], 0
	v_mov_b64_e32 v[12:13], 0
	s_wait_dscnt 0x0
	s_barrier_signal -1
	s_barrier_wait -1
	s_and_saveexec_b32 s0, s6
	s_cbranch_execz .LBB190_48
; %bb.43:                               ;   in Loop: Header=BB190_3 Depth=1
	ds_load_b128 v[12:15], v48
	ds_load_b128 v[16:19], v50 offset:64
	s_wait_dscnt 0x0
	v_mul_f64_e32 v[2:3], v[14:15], v[18:19]
	v_mul_f64_e32 v[18:19], v[12:13], v[18:19]
	s_delay_alu instid0(VALU_DEP_2) | instskip(NEXT) | instid1(VALU_DEP_2)
	v_fma_f64 v[2:3], v[12:13], v[16:17], -v[2:3]
	v_fmac_f64_e32 v[18:19], v[14:15], v[16:17]
	s_delay_alu instid0(VALU_DEP_2) | instskip(NEXT) | instid1(VALU_DEP_2)
	v_add_f64_e32 v[12:13], 0, v[2:3]
	v_add_f64_e32 v[14:15], 0, v[18:19]
	s_and_saveexec_b32 s1, s7
	s_cbranch_execnz .LBB190_528
; %bb.44:                               ;   in Loop: Header=BB190_3 Depth=1
	s_or_b32 exec_lo, exec_lo, s1
	s_and_saveexec_b32 s1, s8
	s_cbranch_execnz .LBB190_529
.LBB190_45:                             ;   in Loop: Header=BB190_3 Depth=1
	s_or_b32 exec_lo, exec_lo, s1
	s_and_saveexec_b32 s1, s4
	s_cbranch_execz .LBB190_47
.LBB190_46:                             ;   in Loop: Header=BB190_3 Depth=1
	ds_load_b128 v[16:19], v1 offset:48
	ds_load_b128 v[70:73], v46 offset:1600
	s_wait_dscnt 0x0
	v_mul_f64_e32 v[2:3], v[18:19], v[72:73]
	v_mul_f64_e32 v[72:73], v[16:17], v[72:73]
	s_delay_alu instid0(VALU_DEP_2) | instskip(NEXT) | instid1(VALU_DEP_2)
	v_fma_f64 v[2:3], v[16:17], v[70:71], -v[2:3]
	v_fmac_f64_e32 v[72:73], v[18:19], v[70:71]
	s_delay_alu instid0(VALU_DEP_2) | instskip(NEXT) | instid1(VALU_DEP_2)
	v_add_f64_e32 v[12:13], v[12:13], v[2:3]
	v_add_f64_e32 v[14:15], v[14:15], v[72:73]
.LBB190_47:                             ;   in Loop: Header=BB190_3 Depth=1
	s_or_b32 exec_lo, exec_lo, s1
	s_delay_alu instid0(VALU_DEP_2) | instskip(NEXT) | instid1(VALU_DEP_2)
	v_xor_b32_e32 v13, 0x80000000, v13
	v_xor_b32_e32 v15, 0x80000000, v15
.LBB190_48:                             ;   in Loop: Header=BB190_3 Depth=1
	s_or_b32 exec_lo, exec_lo, s0
	s_and_saveexec_b32 s0, s71
	s_cbranch_execz .LBB190_50
; %bb.49:                               ;   in Loop: Header=BB190_3 Depth=1
	ds_load_b128 v[16:19], v1 offset:2112
	s_wait_dscnt 0x0
	v_mul_f64_e32 v[2:3], v[14:15], v[18:19]
	v_mul_f64_e32 v[72:73], v[12:13], v[18:19]
	s_delay_alu instid0(VALU_DEP_2) | instskip(NEXT) | instid1(VALU_DEP_2)
	v_fma_f64 v[70:71], v[12:13], v[16:17], -v[2:3]
	v_fmac_f64_e32 v[72:73], v[14:15], v[16:17]
	s_delay_alu instid0(VALU_DEP_2) | instskip(NEXT) | instid1(VALU_DEP_2)
	v_mov_b64_e32 v[12:13], v[70:71]
	v_mov_b64_e32 v[14:15], v[72:73]
	ds_store_b128 v49, v[70:73]
.LBB190_50:                             ;   in Loop: Header=BB190_3 Depth=1
	s_or_b32 exec_lo, exec_lo, s0
	s_wait_dscnt 0x0
	s_barrier_signal -1
	s_barrier_wait -1
	s_and_saveexec_b32 s0, s72
	s_cbranch_execz .LBB190_52
; %bb.51:                               ;   in Loop: Header=BB190_3 Depth=1
	ds_load_b128 v[16:19], v49
	ds_load_b128 v[70:73], v47 offset:2112
	s_wait_dscnt 0x0
	v_mul_f64_e32 v[2:3], v[18:19], v[72:73]
	v_mul_f64_e32 v[72:73], v[16:17], v[72:73]
	s_delay_alu instid0(VALU_DEP_2) | instskip(NEXT) | instid1(VALU_DEP_2)
	v_fma_f64 v[2:3], v[16:17], v[70:71], -v[2:3]
	v_fmac_f64_e32 v[72:73], v[18:19], v[70:71]
	s_delay_alu instid0(VALU_DEP_2) | instskip(NEXT) | instid1(VALU_DEP_2)
	v_add_f64_e32 v[12:13], v[12:13], v[2:3]
	v_add_f64_e32 v[14:15], v[14:15], v[72:73]
.LBB190_52:                             ;   in Loop: Header=BB190_3 Depth=1
	s_or_b32 exec_lo, exec_lo, s0
	s_barrier_signal -1
	s_barrier_wait -1
	s_and_saveexec_b32 s0, s73
	s_cbranch_execz .LBB190_54
; %bb.53:                               ;   in Loop: Header=BB190_3 Depth=1
	ds_load_b128 v[16:19], v1 offset:2640
	s_wait_dscnt 0x0
	v_mul_f64_e32 v[2:3], v[14:15], v[18:19]
	v_mul_f64_e32 v[72:73], v[12:13], v[18:19]
	s_delay_alu instid0(VALU_DEP_2) | instskip(NEXT) | instid1(VALU_DEP_2)
	v_fma_f64 v[70:71], v[12:13], v[16:17], -v[2:3]
	v_fmac_f64_e32 v[72:73], v[14:15], v[16:17]
	s_delay_alu instid0(VALU_DEP_2) | instskip(NEXT) | instid1(VALU_DEP_2)
	v_mov_b64_e32 v[12:13], v[70:71]
	v_mov_b64_e32 v[14:15], v[72:73]
	ds_store_b128 v49, v[70:73]
.LBB190_54:                             ;   in Loop: Header=BB190_3 Depth=1
	s_or_b32 exec_lo, exec_lo, s0
	s_wait_dscnt 0x0
	s_barrier_signal -1
	s_barrier_wait -1
	s_and_saveexec_b32 s0, s74
	s_cbranch_execz .LBB190_56
; %bb.55:                               ;   in Loop: Header=BB190_3 Depth=1
	ds_load_b128 v[16:19], v49
	ds_load_b128 v[70:73], v47 offset:2624
	s_wait_dscnt 0x0
	v_mul_f64_e32 v[2:3], v[18:19], v[72:73]
	v_mul_f64_e32 v[72:73], v[16:17], v[72:73]
	s_delay_alu instid0(VALU_DEP_2) | instskip(NEXT) | instid1(VALU_DEP_2)
	v_fma_f64 v[2:3], v[16:17], v[70:71], -v[2:3]
	v_fmac_f64_e32 v[72:73], v[18:19], v[70:71]
	s_delay_alu instid0(VALU_DEP_2) | instskip(NEXT) | instid1(VALU_DEP_2)
	v_add_f64_e32 v[12:13], v[12:13], v[2:3]
	v_add_f64_e32 v[14:15], v[14:15], v[72:73]
.LBB190_56:                             ;   in Loop: Header=BB190_3 Depth=1
	s_or_b32 exec_lo, exec_lo, s0
	s_barrier_signal -1
	s_barrier_wait -1
	s_and_saveexec_b32 s0, s75
	s_cbranch_execz .LBB190_58
; %bb.57:                               ;   in Loop: Header=BB190_3 Depth=1
	ds_load_b128 v[16:19], v1 offset:3168
	s_wait_dscnt 0x0
	v_mul_f64_e32 v[2:3], v[14:15], v[18:19]
	v_mul_f64_e32 v[72:73], v[12:13], v[18:19]
	s_delay_alu instid0(VALU_DEP_2) | instskip(NEXT) | instid1(VALU_DEP_2)
	v_fma_f64 v[70:71], v[12:13], v[16:17], -v[2:3]
	v_fmac_f64_e32 v[72:73], v[14:15], v[16:17]
	s_delay_alu instid0(VALU_DEP_2) | instskip(NEXT) | instid1(VALU_DEP_2)
	v_mov_b64_e32 v[12:13], v[70:71]
	v_mov_b64_e32 v[14:15], v[72:73]
	ds_store_b128 v49, v[70:73]
.LBB190_58:                             ;   in Loop: Header=BB190_3 Depth=1
	s_or_b32 exec_lo, exec_lo, s0
	s_wait_dscnt 0x0
	s_barrier_signal -1
	s_barrier_wait -1
	s_and_saveexec_b32 s0, s76
	s_cbranch_execz .LBB190_60
; %bb.59:                               ;   in Loop: Header=BB190_3 Depth=1
	ds_load_b128 v[16:19], v49
	ds_load_b128 v[70:73], v1 offset:3184
	s_wait_dscnt 0x0
	v_mul_f64_e32 v[2:3], v[18:19], v[72:73]
	v_mul_f64_e32 v[72:73], v[16:17], v[72:73]
	s_delay_alu instid0(VALU_DEP_2) | instskip(NEXT) | instid1(VALU_DEP_2)
	v_fma_f64 v[2:3], v[16:17], v[70:71], -v[2:3]
	v_fmac_f64_e32 v[72:73], v[18:19], v[70:71]
	s_delay_alu instid0(VALU_DEP_2) | instskip(NEXT) | instid1(VALU_DEP_2)
	v_add_f64_e32 v[12:13], v[12:13], v[2:3]
	v_add_f64_e32 v[14:15], v[14:15], v[72:73]
.LBB190_60:                             ;   in Loop: Header=BB190_3 Depth=1
	s_or_b32 exec_lo, exec_lo, s0
	s_barrier_signal -1
	s_barrier_wait -1
	s_and_saveexec_b32 s0, s76
	s_cbranch_execz .LBB190_62
; %bb.61:                               ;   in Loop: Header=BB190_3 Depth=1
	ds_load_b128 v[16:19], v1 offset:3696
	s_wait_dscnt 0x0
	v_mul_f64_e32 v[2:3], v[14:15], v[18:19]
	v_mul_f64_e32 v[72:73], v[12:13], v[18:19]
	s_delay_alu instid0(VALU_DEP_2) | instskip(NEXT) | instid1(VALU_DEP_2)
	v_fma_f64 v[70:71], v[12:13], v[16:17], -v[2:3]
	v_fmac_f64_e32 v[72:73], v[14:15], v[16:17]
	s_delay_alu instid0(VALU_DEP_2) | instskip(NEXT) | instid1(VALU_DEP_2)
	v_mov_b64_e32 v[12:13], v[70:71]
	v_mov_b64_e32 v[14:15], v[72:73]
	ds_store_b128 v49, v[70:73]
.LBB190_62:                             ;   in Loop: Header=BB190_3 Depth=1
	s_or_b32 exec_lo, exec_lo, s0
	s_wait_dscnt 0x0
	s_barrier_signal -1
	s_barrier_wait -1
	s_barrier_signal -1
	s_barrier_wait -1
	s_and_saveexec_b32 s0, s6
; %bb.63:                               ;   in Loop: Header=BB190_3 Depth=1
	s_delay_alu instid0(VALU_DEP_1) | instskip(NEXT) | instid1(VALU_DEP_3)
	v_xor_b32_e32 v15, 0x80000000, v15
	v_xor_b32_e32 v13, 0x80000000, v13
	ds_store_b128 v50, v[12:15] offset:64
; %bb.64:                               ;   in Loop: Header=BB190_3 Depth=1
	s_or_b32 exec_lo, exec_lo, s0
	s_wait_dscnt 0x0
	s_barrier_signal -1
	s_barrier_wait -1
	s_barrier_signal -1
	s_barrier_wait -1
	s_and_saveexec_b32 s0, s3
	s_cbranch_execz .LBB190_66
; %bb.65:                               ;   in Loop: Header=BB190_3 Depth=1
	ds_load_b128 v[12:15], v1 offset:2640
	ds_load_b128 v[16:19], v1 offset:2112
	ds_load_b128 v[70:73], v1 offset:2128
	s_wait_dscnt 0x1
	v_mul_f64_e32 v[2:3], v[12:13], v[18:19]
	v_mul_f64_e32 v[18:19], v[14:15], v[18:19]
	s_delay_alu instid0(VALU_DEP_2) | instskip(NEXT) | instid1(VALU_DEP_2)
	v_fmac_f64_e32 v[2:3], v[14:15], v[16:17]
	v_fma_f64 v[12:13], v[12:13], v[16:17], -v[18:19]
	s_wait_dscnt 0x0
	s_delay_alu instid0(VALU_DEP_2) | instskip(NEXT) | instid1(VALU_DEP_2)
	v_mul_f64_e32 v[16:17], v[2:3], v[72:73]
	v_mul_f64_e32 v[14:15], v[12:13], v[72:73]
	s_delay_alu instid0(VALU_DEP_2) | instskip(NEXT) | instid1(VALU_DEP_2)
	v_fma_f64 v[12:13], v[70:71], v[12:13], -v[16:17]
	v_fmac_f64_e32 v[14:15], v[70:71], v[2:3]
	ds_store_b128 v1, v[12:15] offset:2128
.LBB190_66:                             ;   in Loop: Header=BB190_3 Depth=1
	s_or_b32 exec_lo, exec_lo, s0
	v_mov_b64_e32 v[14:15], 0
	v_mov_b64_e32 v[12:13], 0
	s_wait_dscnt 0x0
	s_barrier_signal -1
	s_barrier_wait -1
	s_and_saveexec_b32 s0, s4
	s_cbranch_execz .LBB190_70
; %bb.67:                               ;   in Loop: Header=BB190_3 Depth=1
	ds_load_b128 v[12:15], v45 offset:2112
	ds_load_b128 v[16:19], v44 offset:2144
	s_wait_dscnt 0x0
	v_mul_f64_e32 v[2:3], v[14:15], v[18:19]
	v_mul_f64_e32 v[18:19], v[12:13], v[18:19]
	s_delay_alu instid0(VALU_DEP_2) | instskip(NEXT) | instid1(VALU_DEP_2)
	v_fma_f64 v[2:3], v[12:13], v[16:17], -v[2:3]
	v_fmac_f64_e32 v[18:19], v[14:15], v[16:17]
	s_delay_alu instid0(VALU_DEP_2) | instskip(NEXT) | instid1(VALU_DEP_2)
	v_add_f64_e32 v[12:13], 0, v[2:3]
	v_add_f64_e32 v[14:15], 0, v[18:19]
	s_and_saveexec_b32 s1, s5
	s_cbranch_execz .LBB190_69
; %bb.68:                               ;   in Loop: Header=BB190_3 Depth=1
	ds_load_b128 v[16:19], v1 offset:2128
	ds_load_b128 v[70:73], v46 offset:2656
	s_wait_dscnt 0x0
	v_mul_f64_e32 v[2:3], v[18:19], v[72:73]
	v_mul_f64_e32 v[72:73], v[16:17], v[72:73]
	s_delay_alu instid0(VALU_DEP_2) | instskip(NEXT) | instid1(VALU_DEP_2)
	v_fma_f64 v[2:3], v[16:17], v[70:71], -v[2:3]
	v_fmac_f64_e32 v[72:73], v[18:19], v[70:71]
	s_delay_alu instid0(VALU_DEP_2) | instskip(NEXT) | instid1(VALU_DEP_2)
	v_add_f64_e32 v[12:13], v[12:13], v[2:3]
	v_add_f64_e32 v[14:15], v[14:15], v[72:73]
.LBB190_69:                             ;   in Loop: Header=BB190_3 Depth=1
	s_or_b32 exec_lo, exec_lo, s1
	s_delay_alu instid0(VALU_DEP_2) | instskip(NEXT) | instid1(VALU_DEP_2)
	v_xor_b32_e32 v13, 0x80000000, v13
	v_xor_b32_e32 v15, 0x80000000, v15
.LBB190_70:                             ;   in Loop: Header=BB190_3 Depth=1
	s_or_b32 exec_lo, exec_lo, s0
	s_and_saveexec_b32 s0, s69
	s_cbranch_execz .LBB190_72
; %bb.71:                               ;   in Loop: Header=BB190_3 Depth=1
	ds_load_b128 v[16:19], v1 offset:3168
	s_wait_dscnt 0x0
	v_mul_f64_e32 v[2:3], v[14:15], v[18:19]
	v_mul_f64_e32 v[72:73], v[12:13], v[18:19]
	s_delay_alu instid0(VALU_DEP_2) | instskip(NEXT) | instid1(VALU_DEP_2)
	v_fma_f64 v[70:71], v[12:13], v[16:17], -v[2:3]
	v_fmac_f64_e32 v[72:73], v[14:15], v[16:17]
	s_delay_alu instid0(VALU_DEP_2) | instskip(NEXT) | instid1(VALU_DEP_2)
	v_mov_b64_e32 v[12:13], v[70:71]
	v_mov_b64_e32 v[14:15], v[72:73]
	ds_store_b128 v21, v[70:73]
.LBB190_72:                             ;   in Loop: Header=BB190_3 Depth=1
	s_or_b32 exec_lo, exec_lo, s0
	s_wait_dscnt 0x0
	s_barrier_signal -1
	s_barrier_wait -1
	s_and_saveexec_b32 s0, s70
	s_cbranch_execz .LBB190_74
; %bb.73:                               ;   in Loop: Header=BB190_3 Depth=1
	ds_load_b128 v[16:19], v21
	ds_load_b128 v[70:73], v1 offset:3184
	s_wait_dscnt 0x0
	v_mul_f64_e32 v[2:3], v[18:19], v[72:73]
	v_mul_f64_e32 v[72:73], v[16:17], v[72:73]
	s_delay_alu instid0(VALU_DEP_2) | instskip(NEXT) | instid1(VALU_DEP_2)
	v_fma_f64 v[2:3], v[16:17], v[70:71], -v[2:3]
	v_fmac_f64_e32 v[72:73], v[18:19], v[70:71]
	s_delay_alu instid0(VALU_DEP_2) | instskip(NEXT) | instid1(VALU_DEP_2)
	v_add_f64_e32 v[12:13], v[12:13], v[2:3]
	v_add_f64_e32 v[14:15], v[14:15], v[72:73]
.LBB190_74:                             ;   in Loop: Header=BB190_3 Depth=1
	s_or_b32 exec_lo, exec_lo, s0
	s_barrier_signal -1
	s_barrier_wait -1
	s_and_saveexec_b32 s0, s70
	s_cbranch_execz .LBB190_76
; %bb.75:                               ;   in Loop: Header=BB190_3 Depth=1
	ds_load_b128 v[16:19], v1 offset:3696
	s_wait_dscnt 0x0
	v_mul_f64_e32 v[2:3], v[14:15], v[18:19]
	v_mul_f64_e32 v[72:73], v[12:13], v[18:19]
	s_delay_alu instid0(VALU_DEP_2) | instskip(NEXT) | instid1(VALU_DEP_2)
	v_fma_f64 v[70:71], v[12:13], v[16:17], -v[2:3]
	v_fmac_f64_e32 v[72:73], v[14:15], v[16:17]
	s_delay_alu instid0(VALU_DEP_2) | instskip(NEXT) | instid1(VALU_DEP_2)
	v_mov_b64_e32 v[12:13], v[70:71]
	v_mov_b64_e32 v[14:15], v[72:73]
	ds_store_b128 v21, v[70:73]
.LBB190_76:                             ;   in Loop: Header=BB190_3 Depth=1
	s_or_b32 exec_lo, exec_lo, s0
	s_wait_dscnt 0x0
	s_barrier_signal -1
	s_barrier_wait -1
	s_barrier_signal -1
	s_barrier_wait -1
	s_and_saveexec_b32 s0, s4
; %bb.77:                               ;   in Loop: Header=BB190_3 Depth=1
	s_delay_alu instid0(VALU_DEP_2) | instskip(NEXT) | instid1(VALU_DEP_2)
	v_xor_b32_e32 v13, 0x80000000, v13
	v_xor_b32_e32 v15, 0x80000000, v15
	ds_store_b128 v44, v[12:15] offset:2144
; %bb.78:                               ;   in Loop: Header=BB190_3 Depth=1
	s_or_b32 exec_lo, exec_lo, s0
	s_wait_dscnt 0x0
	s_barrier_signal -1
	s_barrier_wait -1
	s_barrier_signal -1
	s_barrier_wait -1
	s_and_saveexec_b32 s0, s3
	s_cbranch_execz .LBB190_80
; %bb.79:                               ;   in Loop: Header=BB190_3 Depth=1
	ds_load_b128 v[12:15], v1 offset:3696
	ds_load_b128 v[16:19], v1 offset:3168
	;; [unrolled: 1-line block ×3, first 2 shown]
	s_wait_dscnt 0x1
	v_mul_f64_e32 v[2:3], v[12:13], v[18:19]
	v_mul_f64_e32 v[18:19], v[14:15], v[18:19]
	s_delay_alu instid0(VALU_DEP_2) | instskip(NEXT) | instid1(VALU_DEP_2)
	v_fmac_f64_e32 v[2:3], v[14:15], v[16:17]
	v_fma_f64 v[12:13], v[12:13], v[16:17], -v[18:19]
	s_wait_dscnt 0x0
	s_delay_alu instid0(VALU_DEP_2) | instskip(NEXT) | instid1(VALU_DEP_2)
	v_mul_f64_e32 v[16:17], v[2:3], v[72:73]
	v_mul_f64_e32 v[14:15], v[12:13], v[72:73]
	s_delay_alu instid0(VALU_DEP_2) | instskip(NEXT) | instid1(VALU_DEP_2)
	v_fma_f64 v[12:13], v[70:71], v[12:13], -v[16:17]
	v_fmac_f64_e32 v[14:15], v[70:71], v[2:3]
	ds_store_b128 v1, v[12:15] offset:3184
.LBB190_80:                             ;   in Loop: Header=BB190_3 Depth=1
	s_or_b32 exec_lo, exec_lo, s0
	v_mov_b64_e32 v[14:15], 0
	v_mov_b64_e32 v[12:13], 0
	s_wait_dscnt 0x0
	s_barrier_signal -1
	s_barrier_wait -1
	s_and_saveexec_b32 s0, s9
	s_cbranch_execz .LBB190_94
; %bb.81:                               ;   in Loop: Header=BB190_3 Depth=1
	ds_load_b128 v[12:15], v52
	ds_load_b128 v[16:19], v55 offset:128
	s_wait_dscnt 0x0
	v_mul_f64_e32 v[2:3], v[14:15], v[18:19]
	v_mul_f64_e32 v[18:19], v[12:13], v[18:19]
	s_delay_alu instid0(VALU_DEP_2) | instskip(NEXT) | instid1(VALU_DEP_2)
	v_fma_f64 v[2:3], v[12:13], v[16:17], -v[2:3]
	v_fmac_f64_e32 v[18:19], v[14:15], v[16:17]
	s_delay_alu instid0(VALU_DEP_2) | instskip(NEXT) | instid1(VALU_DEP_2)
	v_add_f64_e32 v[12:13], 0, v[2:3]
	v_add_f64_e32 v[14:15], 0, v[18:19]
	s_mov_b32 s1, exec_lo
	v_readlane_b32 s23, v78, 0
	s_and_b32 s23, s1, s23
	s_delay_alu instid0(SALU_CYCLE_1)
	s_mov_b32 exec_lo, s23
	s_cbranch_execz .LBB190_83
; %bb.82:                               ;   in Loop: Header=BB190_3 Depth=1
	ds_load_b128 v[16:19], v52 offset:16
	ds_load_b128 v[70:73], v56 offset:640
	s_wait_dscnt 0x0
	v_mul_f64_e32 v[2:3], v[18:19], v[72:73]
	v_mul_f64_e32 v[72:73], v[16:17], v[72:73]
	s_delay_alu instid0(VALU_DEP_2) | instskip(NEXT) | instid1(VALU_DEP_2)
	v_fma_f64 v[2:3], v[16:17], v[70:71], -v[2:3]
	v_fmac_f64_e32 v[72:73], v[18:19], v[70:71]
	s_delay_alu instid0(VALU_DEP_2) | instskip(NEXT) | instid1(VALU_DEP_2)
	v_add_f64_e32 v[12:13], v[12:13], v[2:3]
	v_add_f64_e32 v[14:15], v[14:15], v[72:73]
.LBB190_83:                             ;   in Loop: Header=BB190_3 Depth=1
	s_or_b32 exec_lo, exec_lo, s1
	s_and_saveexec_b32 s1, s11
	s_cbranch_execz .LBB190_85
; %bb.84:                               ;   in Loop: Header=BB190_3 Depth=1
	ds_load_b128 v[16:19], v52 offset:32
	ds_load_b128 v[70:73], v56 offset:1152
	s_wait_dscnt 0x0
	v_mul_f64_e32 v[2:3], v[18:19], v[72:73]
	v_mul_f64_e32 v[72:73], v[16:17], v[72:73]
	s_delay_alu instid0(VALU_DEP_2) | instskip(NEXT) | instid1(VALU_DEP_2)
	v_fma_f64 v[2:3], v[16:17], v[70:71], -v[2:3]
	v_fmac_f64_e32 v[72:73], v[18:19], v[70:71]
	s_delay_alu instid0(VALU_DEP_2) | instskip(NEXT) | instid1(VALU_DEP_2)
	v_add_f64_e32 v[12:13], v[12:13], v[2:3]
	v_add_f64_e32 v[14:15], v[14:15], v[72:73]
.LBB190_85:                             ;   in Loop: Header=BB190_3 Depth=1
	s_or_b32 exec_lo, exec_lo, s1
	s_delay_alu instid0(SALU_CYCLE_1) | instskip(SKIP_2) | instid1(SALU_CYCLE_1)
	s_mov_b32 s1, exec_lo
	v_readlane_b32 s23, v78, 1
	s_and_b32 s23, s1, s23
	s_mov_b32 exec_lo, s23
	s_cbranch_execz .LBB190_87
; %bb.86:                               ;   in Loop: Header=BB190_3 Depth=1
	ds_load_b128 v[16:19], v52 offset:48
	ds_load_b128 v[70:73], v56 offset:1664
	s_wait_dscnt 0x0
	v_mul_f64_e32 v[2:3], v[18:19], v[72:73]
	v_mul_f64_e32 v[72:73], v[16:17], v[72:73]
	s_delay_alu instid0(VALU_DEP_2) | instskip(NEXT) | instid1(VALU_DEP_2)
	v_fma_f64 v[2:3], v[16:17], v[70:71], -v[2:3]
	v_fmac_f64_e32 v[72:73], v[18:19], v[70:71]
	s_delay_alu instid0(VALU_DEP_2) | instskip(NEXT) | instid1(VALU_DEP_2)
	v_add_f64_e32 v[12:13], v[12:13], v[2:3]
	v_add_f64_e32 v[14:15], v[14:15], v[72:73]
.LBB190_87:                             ;   in Loop: Header=BB190_3 Depth=1
	s_or_b32 exec_lo, exec_lo, s1
	s_and_saveexec_b32 s1, s13
	s_cbranch_execz .LBB190_89
; %bb.88:                               ;   in Loop: Header=BB190_3 Depth=1
	ds_load_b128 v[16:19], v52 offset:64
	ds_load_b128 v[70:73], v55 offset:2176
	s_wait_dscnt 0x0
	v_mul_f64_e32 v[2:3], v[18:19], v[72:73]
	v_mul_f64_e32 v[72:73], v[16:17], v[72:73]
	s_delay_alu instid0(VALU_DEP_2) | instskip(NEXT) | instid1(VALU_DEP_2)
	v_fma_f64 v[2:3], v[16:17], v[70:71], -v[2:3]
	v_fmac_f64_e32 v[72:73], v[18:19], v[70:71]
	s_delay_alu instid0(VALU_DEP_2) | instskip(NEXT) | instid1(VALU_DEP_2)
	v_add_f64_e32 v[12:13], v[12:13], v[2:3]
	v_add_f64_e32 v[14:15], v[14:15], v[72:73]
.LBB190_89:                             ;   in Loop: Header=BB190_3 Depth=1
	s_or_b32 exec_lo, exec_lo, s1
	s_delay_alu instid0(SALU_CYCLE_1) | instskip(SKIP_2) | instid1(SALU_CYCLE_1)
	s_mov_b32 s1, exec_lo
	v_readlane_b32 s23, v78, 2
	s_and_b32 s23, s1, s23
	s_mov_b32 exec_lo, s23
	s_cbranch_execnz .LBB190_530
; %bb.90:                               ;   in Loop: Header=BB190_3 Depth=1
	s_or_b32 exec_lo, exec_lo, s1
	s_and_saveexec_b32 s1, s6
	s_cbranch_execnz .LBB190_531
.LBB190_91:                             ;   in Loop: Header=BB190_3 Depth=1
	s_or_b32 exec_lo, exec_lo, s1
	s_and_saveexec_b32 s1, s8
	s_cbranch_execz .LBB190_93
.LBB190_92:                             ;   in Loop: Header=BB190_3 Depth=1
	ds_load_b128 v[16:19], v1 offset:112
	ds_load_b128 v[70:73], v46 offset:3712
	s_wait_dscnt 0x0
	v_mul_f64_e32 v[2:3], v[18:19], v[72:73]
	v_mul_f64_e32 v[72:73], v[16:17], v[72:73]
	s_delay_alu instid0(VALU_DEP_2) | instskip(NEXT) | instid1(VALU_DEP_2)
	v_fma_f64 v[2:3], v[16:17], v[70:71], -v[2:3]
	v_fmac_f64_e32 v[72:73], v[18:19], v[70:71]
	s_delay_alu instid0(VALU_DEP_2) | instskip(NEXT) | instid1(VALU_DEP_2)
	v_add_f64_e32 v[12:13], v[12:13], v[2:3]
	v_add_f64_e32 v[14:15], v[14:15], v[72:73]
.LBB190_93:                             ;   in Loop: Header=BB190_3 Depth=1
	s_or_b32 exec_lo, exec_lo, s1
	s_delay_alu instid0(VALU_DEP_2) | instskip(NEXT) | instid1(VALU_DEP_2)
	v_xor_b32_e32 v13, 0x80000000, v13
	v_xor_b32_e32 v15, 0x80000000, v15
.LBB190_94:                             ;   in Loop: Header=BB190_3 Depth=1
	s_or_b32 exec_lo, exec_lo, s0
	s_and_saveexec_b32 s0, s77
	s_cbranch_execz .LBB190_96
; %bb.95:                               ;   in Loop: Header=BB190_3 Depth=1
	ds_load_b128 v[16:19], v1 offset:4224
	s_wait_dscnt 0x0
	v_mul_f64_e32 v[2:3], v[14:15], v[18:19]
	v_mul_f64_e32 v[72:73], v[12:13], v[18:19]
	s_delay_alu instid0(VALU_DEP_2) | instskip(NEXT) | instid1(VALU_DEP_2)
	v_fma_f64 v[70:71], v[12:13], v[16:17], -v[2:3]
	v_fmac_f64_e32 v[72:73], v[14:15], v[16:17]
	s_delay_alu instid0(VALU_DEP_2) | instskip(NEXT) | instid1(VALU_DEP_2)
	v_mov_b64_e32 v[12:13], v[70:71]
	v_mov_b64_e32 v[14:15], v[72:73]
	ds_store_b128 v54, v[70:73]
.LBB190_96:                             ;   in Loop: Header=BB190_3 Depth=1
	s_or_b32 exec_lo, exec_lo, s0
	s_wait_dscnt 0x0
	s_barrier_signal -1
	s_barrier_wait -1
	s_and_saveexec_b32 s0, s78
	s_cbranch_execz .LBB190_98
; %bb.97:                               ;   in Loop: Header=BB190_3 Depth=1
	ds_load_b128 v[16:19], v54
	ds_load_b128 v[70:73], v53 offset:4224
	s_wait_dscnt 0x0
	v_mul_f64_e32 v[2:3], v[18:19], v[72:73]
	v_mul_f64_e32 v[72:73], v[16:17], v[72:73]
	s_delay_alu instid0(VALU_DEP_2) | instskip(NEXT) | instid1(VALU_DEP_2)
	v_fma_f64 v[2:3], v[16:17], v[70:71], -v[2:3]
	v_fmac_f64_e32 v[72:73], v[18:19], v[70:71]
	s_delay_alu instid0(VALU_DEP_2) | instskip(NEXT) | instid1(VALU_DEP_2)
	v_add_f64_e32 v[12:13], v[12:13], v[2:3]
	v_add_f64_e32 v[14:15], v[14:15], v[72:73]
.LBB190_98:                             ;   in Loop: Header=BB190_3 Depth=1
	s_or_b32 exec_lo, exec_lo, s0
	s_barrier_signal -1
	s_barrier_wait -1
	s_and_saveexec_b32 s0, s79
	s_cbranch_execz .LBB190_100
; %bb.99:                               ;   in Loop: Header=BB190_3 Depth=1
	ds_load_b128 v[16:19], v1 offset:4752
	s_wait_dscnt 0x0
	v_mul_f64_e32 v[2:3], v[14:15], v[18:19]
	v_mul_f64_e32 v[72:73], v[12:13], v[18:19]
	s_delay_alu instid0(VALU_DEP_2) | instskip(NEXT) | instid1(VALU_DEP_2)
	v_fma_f64 v[70:71], v[12:13], v[16:17], -v[2:3]
	v_fmac_f64_e32 v[72:73], v[14:15], v[16:17]
	s_delay_alu instid0(VALU_DEP_2) | instskip(NEXT) | instid1(VALU_DEP_2)
	v_mov_b64_e32 v[12:13], v[70:71]
	v_mov_b64_e32 v[14:15], v[72:73]
	ds_store_b128 v54, v[70:73]
.LBB190_100:                            ;   in Loop: Header=BB190_3 Depth=1
	s_or_b32 exec_lo, exec_lo, s0
	s_wait_dscnt 0x0
	s_barrier_signal -1
	s_barrier_wait -1
	s_and_saveexec_b32 s0, s80
	s_cbranch_execz .LBB190_102
; %bb.101:                              ;   in Loop: Header=BB190_3 Depth=1
	ds_load_b128 v[16:19], v54
	ds_load_b128 v[70:73], v53 offset:4736
	s_wait_dscnt 0x0
	v_mul_f64_e32 v[2:3], v[18:19], v[72:73]
	v_mul_f64_e32 v[72:73], v[16:17], v[72:73]
	s_delay_alu instid0(VALU_DEP_2) | instskip(NEXT) | instid1(VALU_DEP_2)
	v_fma_f64 v[2:3], v[16:17], v[70:71], -v[2:3]
	v_fmac_f64_e32 v[72:73], v[18:19], v[70:71]
	s_delay_alu instid0(VALU_DEP_2) | instskip(NEXT) | instid1(VALU_DEP_2)
	v_add_f64_e32 v[12:13], v[12:13], v[2:3]
	v_add_f64_e32 v[14:15], v[14:15], v[72:73]
.LBB190_102:                            ;   in Loop: Header=BB190_3 Depth=1
	s_or_b32 exec_lo, exec_lo, s0
	s_barrier_signal -1
	s_barrier_wait -1
	s_and_saveexec_b32 s0, s81
	s_cbranch_execz .LBB190_104
; %bb.103:                              ;   in Loop: Header=BB190_3 Depth=1
	ds_load_b128 v[16:19], v1 offset:5280
	s_wait_dscnt 0x0
	v_mul_f64_e32 v[2:3], v[14:15], v[18:19]
	v_mul_f64_e32 v[72:73], v[12:13], v[18:19]
	s_delay_alu instid0(VALU_DEP_2) | instskip(NEXT) | instid1(VALU_DEP_2)
	v_fma_f64 v[70:71], v[12:13], v[16:17], -v[2:3]
	v_fmac_f64_e32 v[72:73], v[14:15], v[16:17]
	s_delay_alu instid0(VALU_DEP_2) | instskip(NEXT) | instid1(VALU_DEP_2)
	v_mov_b64_e32 v[12:13], v[70:71]
	v_mov_b64_e32 v[14:15], v[72:73]
	ds_store_b128 v54, v[70:73]
.LBB190_104:                            ;   in Loop: Header=BB190_3 Depth=1
	s_or_b32 exec_lo, exec_lo, s0
	s_wait_dscnt 0x0
	s_barrier_signal -1
	s_barrier_wait -1
	s_and_saveexec_b32 s0, s82
	s_cbranch_execz .LBB190_106
; %bb.105:                              ;   in Loop: Header=BB190_3 Depth=1
	ds_load_b128 v[16:19], v54
	ds_load_b128 v[70:73], v53 offset:5248
	s_wait_dscnt 0x0
	v_mul_f64_e32 v[2:3], v[18:19], v[72:73]
	v_mul_f64_e32 v[72:73], v[16:17], v[72:73]
	s_delay_alu instid0(VALU_DEP_2) | instskip(NEXT) | instid1(VALU_DEP_2)
	v_fma_f64 v[2:3], v[16:17], v[70:71], -v[2:3]
	v_fmac_f64_e32 v[72:73], v[18:19], v[70:71]
	s_delay_alu instid0(VALU_DEP_2) | instskip(NEXT) | instid1(VALU_DEP_2)
	v_add_f64_e32 v[12:13], v[12:13], v[2:3]
	v_add_f64_e32 v[14:15], v[14:15], v[72:73]
.LBB190_106:                            ;   in Loop: Header=BB190_3 Depth=1
	s_or_b32 exec_lo, exec_lo, s0
	s_barrier_signal -1
	s_barrier_wait -1
	s_and_saveexec_b32 s0, s83
	s_cbranch_execz .LBB190_108
; %bb.107:                              ;   in Loop: Header=BB190_3 Depth=1
	ds_load_b128 v[16:19], v1 offset:5808
	s_wait_dscnt 0x0
	v_mul_f64_e32 v[2:3], v[14:15], v[18:19]
	v_mul_f64_e32 v[72:73], v[12:13], v[18:19]
	s_delay_alu instid0(VALU_DEP_2) | instskip(NEXT) | instid1(VALU_DEP_2)
	v_fma_f64 v[70:71], v[12:13], v[16:17], -v[2:3]
	v_fmac_f64_e32 v[72:73], v[14:15], v[16:17]
	s_delay_alu instid0(VALU_DEP_2) | instskip(NEXT) | instid1(VALU_DEP_2)
	v_mov_b64_e32 v[12:13], v[70:71]
	v_mov_b64_e32 v[14:15], v[72:73]
	ds_store_b128 v54, v[70:73]
.LBB190_108:                            ;   in Loop: Header=BB190_3 Depth=1
	;; [unrolled: 37-line block ×6, first 2 shown]
	s_or_b32 exec_lo, exec_lo, s0
	s_wait_dscnt 0x0
	s_barrier_signal -1
	s_barrier_wait -1
	s_barrier_signal -1
	s_barrier_wait -1
	s_and_saveexec_b32 s0, s9
; %bb.125:                              ;   in Loop: Header=BB190_3 Depth=1
	s_delay_alu instid0(VALU_DEP_2) | instskip(NEXT) | instid1(VALU_DEP_2)
	v_xor_b32_e32 v13, 0x80000000, v13
	v_xor_b32_e32 v15, 0x80000000, v15
	ds_store_b128 v55, v[12:15] offset:128
; %bb.126:                              ;   in Loop: Header=BB190_3 Depth=1
	s_or_b32 exec_lo, exec_lo, s0
	s_wait_dscnt 0x0
	s_barrier_signal -1
	s_barrier_wait -1
	s_barrier_signal -1
	s_barrier_wait -1
	s_and_saveexec_b32 s0, s3
	s_cbranch_execz .LBB190_128
; %bb.127:                              ;   in Loop: Header=BB190_3 Depth=1
	ds_load_b128 v[12:15], v1 offset:4752
	ds_load_b128 v[16:19], v1 offset:4224
	;; [unrolled: 1-line block ×3, first 2 shown]
	s_wait_dscnt 0x1
	v_mul_f64_e32 v[2:3], v[12:13], v[18:19]
	v_mul_f64_e32 v[18:19], v[14:15], v[18:19]
	s_delay_alu instid0(VALU_DEP_2) | instskip(NEXT) | instid1(VALU_DEP_2)
	v_fmac_f64_e32 v[2:3], v[14:15], v[16:17]
	v_fma_f64 v[12:13], v[12:13], v[16:17], -v[18:19]
	s_wait_dscnt 0x0
	s_delay_alu instid0(VALU_DEP_2) | instskip(NEXT) | instid1(VALU_DEP_2)
	v_mul_f64_e32 v[16:17], v[2:3], v[72:73]
	v_mul_f64_e32 v[14:15], v[12:13], v[72:73]
	s_delay_alu instid0(VALU_DEP_2) | instskip(NEXT) | instid1(VALU_DEP_2)
	v_fma_f64 v[12:13], v[70:71], v[12:13], -v[16:17]
	v_fmac_f64_e32 v[14:15], v[70:71], v[2:3]
	ds_store_b128 v1, v[12:15] offset:4240
.LBB190_128:                            ;   in Loop: Header=BB190_3 Depth=1
	s_or_b32 exec_lo, exec_lo, s0
	v_mov_b64_e32 v[14:15], 0
	v_mov_b64_e32 v[12:13], 0
	s_wait_dscnt 0x0
	s_barrier_signal -1
	s_barrier_wait -1
	s_and_saveexec_b32 s0, s4
	s_cbranch_execz .LBB190_132
; %bb.129:                              ;   in Loop: Header=BB190_3 Depth=1
	ds_load_b128 v[12:15], v45 offset:4224
	ds_load_b128 v[16:19], v44 offset:4256
	s_wait_dscnt 0x0
	v_mul_f64_e32 v[2:3], v[14:15], v[18:19]
	v_mul_f64_e32 v[18:19], v[12:13], v[18:19]
	s_delay_alu instid0(VALU_DEP_2) | instskip(NEXT) | instid1(VALU_DEP_2)
	v_fma_f64 v[2:3], v[12:13], v[16:17], -v[2:3]
	v_fmac_f64_e32 v[18:19], v[14:15], v[16:17]
	s_delay_alu instid0(VALU_DEP_2) | instskip(NEXT) | instid1(VALU_DEP_2)
	v_add_f64_e32 v[12:13], 0, v[2:3]
	v_add_f64_e32 v[14:15], 0, v[18:19]
	s_and_saveexec_b32 s1, s5
	s_cbranch_execz .LBB190_131
; %bb.130:                              ;   in Loop: Header=BB190_3 Depth=1
	ds_load_b128 v[16:19], v1 offset:4240
	ds_load_b128 v[70:73], v46 offset:4768
	s_wait_dscnt 0x0
	v_mul_f64_e32 v[2:3], v[18:19], v[72:73]
	v_mul_f64_e32 v[72:73], v[16:17], v[72:73]
	s_delay_alu instid0(VALU_DEP_2) | instskip(NEXT) | instid1(VALU_DEP_2)
	v_fma_f64 v[2:3], v[16:17], v[70:71], -v[2:3]
	v_fmac_f64_e32 v[72:73], v[18:19], v[70:71]
	s_delay_alu instid0(VALU_DEP_2) | instskip(NEXT) | instid1(VALU_DEP_2)
	v_add_f64_e32 v[12:13], v[12:13], v[2:3]
	v_add_f64_e32 v[14:15], v[14:15], v[72:73]
.LBB190_131:                            ;   in Loop: Header=BB190_3 Depth=1
	s_or_b32 exec_lo, exec_lo, s1
	s_delay_alu instid0(VALU_DEP_2) | instskip(NEXT) | instid1(VALU_DEP_2)
	v_xor_b32_e32 v13, 0x80000000, v13
	v_xor_b32_e32 v15, 0x80000000, v15
.LBB190_132:                            ;   in Loop: Header=BB190_3 Depth=1
	s_or_b32 exec_lo, exec_lo, s0
	s_and_saveexec_b32 s0, s69
	s_cbranch_execz .LBB190_134
; %bb.133:                              ;   in Loop: Header=BB190_3 Depth=1
	ds_load_b128 v[16:19], v1 offset:5280
	s_wait_dscnt 0x0
	v_mul_f64_e32 v[2:3], v[14:15], v[18:19]
	v_mul_f64_e32 v[72:73], v[12:13], v[18:19]
	s_delay_alu instid0(VALU_DEP_2) | instskip(NEXT) | instid1(VALU_DEP_2)
	v_fma_f64 v[70:71], v[12:13], v[16:17], -v[2:3]
	v_fmac_f64_e32 v[72:73], v[14:15], v[16:17]
	s_delay_alu instid0(VALU_DEP_2) | instskip(NEXT) | instid1(VALU_DEP_2)
	v_mov_b64_e32 v[12:13], v[70:71]
	v_mov_b64_e32 v[14:15], v[72:73]
	ds_store_b128 v21, v[70:73]
.LBB190_134:                            ;   in Loop: Header=BB190_3 Depth=1
	s_or_b32 exec_lo, exec_lo, s0
	s_wait_dscnt 0x0
	s_barrier_signal -1
	s_barrier_wait -1
	s_and_saveexec_b32 s0, s70
	s_cbranch_execz .LBB190_136
; %bb.135:                              ;   in Loop: Header=BB190_3 Depth=1
	ds_load_b128 v[16:19], v21
	ds_load_b128 v[70:73], v1 offset:5296
	s_wait_dscnt 0x0
	v_mul_f64_e32 v[2:3], v[18:19], v[72:73]
	v_mul_f64_e32 v[72:73], v[16:17], v[72:73]
	s_delay_alu instid0(VALU_DEP_2) | instskip(NEXT) | instid1(VALU_DEP_2)
	v_fma_f64 v[2:3], v[16:17], v[70:71], -v[2:3]
	v_fmac_f64_e32 v[72:73], v[18:19], v[70:71]
	s_delay_alu instid0(VALU_DEP_2) | instskip(NEXT) | instid1(VALU_DEP_2)
	v_add_f64_e32 v[12:13], v[12:13], v[2:3]
	v_add_f64_e32 v[14:15], v[14:15], v[72:73]
.LBB190_136:                            ;   in Loop: Header=BB190_3 Depth=1
	s_or_b32 exec_lo, exec_lo, s0
	s_barrier_signal -1
	s_barrier_wait -1
	s_and_saveexec_b32 s0, s70
	s_cbranch_execz .LBB190_138
; %bb.137:                              ;   in Loop: Header=BB190_3 Depth=1
	ds_load_b128 v[16:19], v1 offset:5808
	s_wait_dscnt 0x0
	v_mul_f64_e32 v[2:3], v[14:15], v[18:19]
	v_mul_f64_e32 v[72:73], v[12:13], v[18:19]
	s_delay_alu instid0(VALU_DEP_2) | instskip(NEXT) | instid1(VALU_DEP_2)
	v_fma_f64 v[70:71], v[12:13], v[16:17], -v[2:3]
	v_fmac_f64_e32 v[72:73], v[14:15], v[16:17]
	s_delay_alu instid0(VALU_DEP_2) | instskip(NEXT) | instid1(VALU_DEP_2)
	v_mov_b64_e32 v[12:13], v[70:71]
	v_mov_b64_e32 v[14:15], v[72:73]
	ds_store_b128 v21, v[70:73]
.LBB190_138:                            ;   in Loop: Header=BB190_3 Depth=1
	s_or_b32 exec_lo, exec_lo, s0
	s_wait_dscnt 0x0
	s_barrier_signal -1
	s_barrier_wait -1
	s_barrier_signal -1
	s_barrier_wait -1
	s_and_saveexec_b32 s0, s4
; %bb.139:                              ;   in Loop: Header=BB190_3 Depth=1
	s_delay_alu instid0(VALU_DEP_2) | instskip(NEXT) | instid1(VALU_DEP_2)
	v_xor_b32_e32 v13, 0x80000000, v13
	v_xor_b32_e32 v15, 0x80000000, v15
	ds_store_b128 v44, v[12:15] offset:4256
; %bb.140:                              ;   in Loop: Header=BB190_3 Depth=1
	s_or_b32 exec_lo, exec_lo, s0
	s_wait_dscnt 0x0
	s_barrier_signal -1
	s_barrier_wait -1
	s_barrier_signal -1
	s_barrier_wait -1
	s_and_saveexec_b32 s0, s3
	s_cbranch_execz .LBB190_142
; %bb.141:                              ;   in Loop: Header=BB190_3 Depth=1
	ds_load_b128 v[12:15], v1 offset:5808
	ds_load_b128 v[16:19], v1 offset:5280
	;; [unrolled: 1-line block ×3, first 2 shown]
	s_wait_dscnt 0x1
	v_mul_f64_e32 v[2:3], v[12:13], v[18:19]
	v_mul_f64_e32 v[18:19], v[14:15], v[18:19]
	s_delay_alu instid0(VALU_DEP_2) | instskip(NEXT) | instid1(VALU_DEP_2)
	v_fmac_f64_e32 v[2:3], v[14:15], v[16:17]
	v_fma_f64 v[12:13], v[12:13], v[16:17], -v[18:19]
	s_wait_dscnt 0x0
	s_delay_alu instid0(VALU_DEP_2) | instskip(NEXT) | instid1(VALU_DEP_2)
	v_mul_f64_e32 v[16:17], v[2:3], v[72:73]
	v_mul_f64_e32 v[14:15], v[12:13], v[72:73]
	s_delay_alu instid0(VALU_DEP_2) | instskip(NEXT) | instid1(VALU_DEP_2)
	v_fma_f64 v[12:13], v[70:71], v[12:13], -v[16:17]
	v_fmac_f64_e32 v[14:15], v[70:71], v[2:3]
	ds_store_b128 v1, v[12:15] offset:5296
.LBB190_142:                            ;   in Loop: Header=BB190_3 Depth=1
	s_or_b32 exec_lo, exec_lo, s0
	v_mov_b64_e32 v[14:15], 0
	v_mov_b64_e32 v[12:13], 0
	s_wait_dscnt 0x0
	s_barrier_signal -1
	s_barrier_wait -1
	s_and_saveexec_b32 s0, s6
	s_cbranch_execz .LBB190_148
; %bb.143:                              ;   in Loop: Header=BB190_3 Depth=1
	ds_load_b128 v[12:15], v48 offset:4224
	ds_load_b128 v[16:19], v50 offset:4288
	s_wait_dscnt 0x0
	v_mul_f64_e32 v[2:3], v[14:15], v[18:19]
	v_mul_f64_e32 v[18:19], v[12:13], v[18:19]
	s_delay_alu instid0(VALU_DEP_2) | instskip(NEXT) | instid1(VALU_DEP_2)
	v_fma_f64 v[2:3], v[12:13], v[16:17], -v[2:3]
	v_fmac_f64_e32 v[18:19], v[14:15], v[16:17]
	s_delay_alu instid0(VALU_DEP_2) | instskip(NEXT) | instid1(VALU_DEP_2)
	v_add_f64_e32 v[12:13], 0, v[2:3]
	v_add_f64_e32 v[14:15], 0, v[18:19]
	s_and_saveexec_b32 s1, s7
	s_cbranch_execnz .LBB190_532
; %bb.144:                              ;   in Loop: Header=BB190_3 Depth=1
	s_or_b32 exec_lo, exec_lo, s1
	s_and_saveexec_b32 s1, s8
	s_cbranch_execnz .LBB190_533
.LBB190_145:                            ;   in Loop: Header=BB190_3 Depth=1
	s_or_b32 exec_lo, exec_lo, s1
	s_and_saveexec_b32 s1, s4
	s_cbranch_execz .LBB190_147
.LBB190_146:                            ;   in Loop: Header=BB190_3 Depth=1
	ds_load_b128 v[16:19], v1 offset:4272
	ds_load_b128 v[70:73], v46 offset:5824
	s_wait_dscnt 0x0
	v_mul_f64_e32 v[2:3], v[18:19], v[72:73]
	v_mul_f64_e32 v[72:73], v[16:17], v[72:73]
	s_delay_alu instid0(VALU_DEP_2) | instskip(NEXT) | instid1(VALU_DEP_2)
	v_fma_f64 v[2:3], v[16:17], v[70:71], -v[2:3]
	v_fmac_f64_e32 v[72:73], v[18:19], v[70:71]
	s_delay_alu instid0(VALU_DEP_2) | instskip(NEXT) | instid1(VALU_DEP_2)
	v_add_f64_e32 v[12:13], v[12:13], v[2:3]
	v_add_f64_e32 v[14:15], v[14:15], v[72:73]
.LBB190_147:                            ;   in Loop: Header=BB190_3 Depth=1
	s_or_b32 exec_lo, exec_lo, s1
	s_delay_alu instid0(VALU_DEP_2) | instskip(NEXT) | instid1(VALU_DEP_2)
	v_xor_b32_e32 v13, 0x80000000, v13
	v_xor_b32_e32 v15, 0x80000000, v15
.LBB190_148:                            ;   in Loop: Header=BB190_3 Depth=1
	s_or_b32 exec_lo, exec_lo, s0
	s_and_saveexec_b32 s0, s71
	s_cbranch_execz .LBB190_150
; %bb.149:                              ;   in Loop: Header=BB190_3 Depth=1
	ds_load_b128 v[16:19], v1 offset:6336
	s_wait_dscnt 0x0
	v_mul_f64_e32 v[2:3], v[14:15], v[18:19]
	v_mul_f64_e32 v[72:73], v[12:13], v[18:19]
	s_delay_alu instid0(VALU_DEP_2) | instskip(NEXT) | instid1(VALU_DEP_2)
	v_fma_f64 v[70:71], v[12:13], v[16:17], -v[2:3]
	v_fmac_f64_e32 v[72:73], v[14:15], v[16:17]
	s_delay_alu instid0(VALU_DEP_2) | instskip(NEXT) | instid1(VALU_DEP_2)
	v_mov_b64_e32 v[12:13], v[70:71]
	v_mov_b64_e32 v[14:15], v[72:73]
	ds_store_b128 v49, v[70:73]
.LBB190_150:                            ;   in Loop: Header=BB190_3 Depth=1
	s_or_b32 exec_lo, exec_lo, s0
	s_wait_dscnt 0x0
	s_barrier_signal -1
	s_barrier_wait -1
	s_and_saveexec_b32 s0, s72
	s_cbranch_execz .LBB190_152
; %bb.151:                              ;   in Loop: Header=BB190_3 Depth=1
	ds_load_b128 v[16:19], v49
	ds_load_b128 v[70:73], v47 offset:6336
	s_wait_dscnt 0x0
	v_mul_f64_e32 v[2:3], v[18:19], v[72:73]
	v_mul_f64_e32 v[72:73], v[16:17], v[72:73]
	s_delay_alu instid0(VALU_DEP_2) | instskip(NEXT) | instid1(VALU_DEP_2)
	v_fma_f64 v[2:3], v[16:17], v[70:71], -v[2:3]
	v_fmac_f64_e32 v[72:73], v[18:19], v[70:71]
	s_delay_alu instid0(VALU_DEP_2) | instskip(NEXT) | instid1(VALU_DEP_2)
	v_add_f64_e32 v[12:13], v[12:13], v[2:3]
	v_add_f64_e32 v[14:15], v[14:15], v[72:73]
.LBB190_152:                            ;   in Loop: Header=BB190_3 Depth=1
	s_or_b32 exec_lo, exec_lo, s0
	s_barrier_signal -1
	s_barrier_wait -1
	s_and_saveexec_b32 s0, s73
	s_cbranch_execz .LBB190_154
; %bb.153:                              ;   in Loop: Header=BB190_3 Depth=1
	ds_load_b128 v[16:19], v1 offset:6864
	s_wait_dscnt 0x0
	v_mul_f64_e32 v[2:3], v[14:15], v[18:19]
	v_mul_f64_e32 v[72:73], v[12:13], v[18:19]
	s_delay_alu instid0(VALU_DEP_2) | instskip(NEXT) | instid1(VALU_DEP_2)
	v_fma_f64 v[70:71], v[12:13], v[16:17], -v[2:3]
	v_fmac_f64_e32 v[72:73], v[14:15], v[16:17]
	s_delay_alu instid0(VALU_DEP_2) | instskip(NEXT) | instid1(VALU_DEP_2)
	v_mov_b64_e32 v[12:13], v[70:71]
	v_mov_b64_e32 v[14:15], v[72:73]
	ds_store_b128 v49, v[70:73]
.LBB190_154:                            ;   in Loop: Header=BB190_3 Depth=1
	s_or_b32 exec_lo, exec_lo, s0
	s_wait_dscnt 0x0
	s_barrier_signal -1
	s_barrier_wait -1
	s_and_saveexec_b32 s0, s74
	s_cbranch_execz .LBB190_156
; %bb.155:                              ;   in Loop: Header=BB190_3 Depth=1
	ds_load_b128 v[16:19], v49
	ds_load_b128 v[70:73], v47 offset:6848
	s_wait_dscnt 0x0
	v_mul_f64_e32 v[2:3], v[18:19], v[72:73]
	v_mul_f64_e32 v[72:73], v[16:17], v[72:73]
	s_delay_alu instid0(VALU_DEP_2) | instskip(NEXT) | instid1(VALU_DEP_2)
	v_fma_f64 v[2:3], v[16:17], v[70:71], -v[2:3]
	v_fmac_f64_e32 v[72:73], v[18:19], v[70:71]
	s_delay_alu instid0(VALU_DEP_2) | instskip(NEXT) | instid1(VALU_DEP_2)
	v_add_f64_e32 v[12:13], v[12:13], v[2:3]
	v_add_f64_e32 v[14:15], v[14:15], v[72:73]
.LBB190_156:                            ;   in Loop: Header=BB190_3 Depth=1
	s_or_b32 exec_lo, exec_lo, s0
	s_barrier_signal -1
	s_barrier_wait -1
	s_and_saveexec_b32 s0, s75
	s_cbranch_execz .LBB190_158
; %bb.157:                              ;   in Loop: Header=BB190_3 Depth=1
	ds_load_b128 v[16:19], v1 offset:7392
	s_wait_dscnt 0x0
	v_mul_f64_e32 v[2:3], v[14:15], v[18:19]
	v_mul_f64_e32 v[72:73], v[12:13], v[18:19]
	s_delay_alu instid0(VALU_DEP_2) | instskip(NEXT) | instid1(VALU_DEP_2)
	v_fma_f64 v[70:71], v[12:13], v[16:17], -v[2:3]
	v_fmac_f64_e32 v[72:73], v[14:15], v[16:17]
	s_delay_alu instid0(VALU_DEP_2) | instskip(NEXT) | instid1(VALU_DEP_2)
	v_mov_b64_e32 v[12:13], v[70:71]
	v_mov_b64_e32 v[14:15], v[72:73]
	ds_store_b128 v49, v[70:73]
.LBB190_158:                            ;   in Loop: Header=BB190_3 Depth=1
	s_or_b32 exec_lo, exec_lo, s0
	s_wait_dscnt 0x0
	s_barrier_signal -1
	s_barrier_wait -1
	s_and_saveexec_b32 s0, s76
	s_cbranch_execz .LBB190_160
; %bb.159:                              ;   in Loop: Header=BB190_3 Depth=1
	ds_load_b128 v[16:19], v49
	ds_load_b128 v[70:73], v1 offset:7408
	s_wait_dscnt 0x0
	v_mul_f64_e32 v[2:3], v[18:19], v[72:73]
	v_mul_f64_e32 v[72:73], v[16:17], v[72:73]
	s_delay_alu instid0(VALU_DEP_2) | instskip(NEXT) | instid1(VALU_DEP_2)
	v_fma_f64 v[2:3], v[16:17], v[70:71], -v[2:3]
	v_fmac_f64_e32 v[72:73], v[18:19], v[70:71]
	s_delay_alu instid0(VALU_DEP_2) | instskip(NEXT) | instid1(VALU_DEP_2)
	v_add_f64_e32 v[12:13], v[12:13], v[2:3]
	v_add_f64_e32 v[14:15], v[14:15], v[72:73]
.LBB190_160:                            ;   in Loop: Header=BB190_3 Depth=1
	s_or_b32 exec_lo, exec_lo, s0
	s_barrier_signal -1
	s_barrier_wait -1
	s_and_saveexec_b32 s0, s76
	s_cbranch_execz .LBB190_162
; %bb.161:                              ;   in Loop: Header=BB190_3 Depth=1
	ds_load_b128 v[16:19], v1 offset:7920
	s_wait_dscnt 0x0
	v_mul_f64_e32 v[2:3], v[14:15], v[18:19]
	v_mul_f64_e32 v[72:73], v[12:13], v[18:19]
	s_delay_alu instid0(VALU_DEP_2) | instskip(NEXT) | instid1(VALU_DEP_2)
	v_fma_f64 v[70:71], v[12:13], v[16:17], -v[2:3]
	v_fmac_f64_e32 v[72:73], v[14:15], v[16:17]
	s_delay_alu instid0(VALU_DEP_2) | instskip(NEXT) | instid1(VALU_DEP_2)
	v_mov_b64_e32 v[12:13], v[70:71]
	v_mov_b64_e32 v[14:15], v[72:73]
	ds_store_b128 v49, v[70:73]
.LBB190_162:                            ;   in Loop: Header=BB190_3 Depth=1
	s_or_b32 exec_lo, exec_lo, s0
	s_wait_dscnt 0x0
	s_barrier_signal -1
	s_barrier_wait -1
	s_barrier_signal -1
	s_barrier_wait -1
	s_and_saveexec_b32 s0, s6
; %bb.163:                              ;   in Loop: Header=BB190_3 Depth=1
	s_delay_alu instid0(VALU_DEP_1) | instskip(NEXT) | instid1(VALU_DEP_3)
	v_xor_b32_e32 v15, 0x80000000, v15
	v_xor_b32_e32 v13, 0x80000000, v13
	ds_store_b128 v50, v[12:15] offset:4288
; %bb.164:                              ;   in Loop: Header=BB190_3 Depth=1
	s_or_b32 exec_lo, exec_lo, s0
	s_wait_dscnt 0x0
	s_barrier_signal -1
	s_barrier_wait -1
	s_barrier_signal -1
	s_barrier_wait -1
	s_and_saveexec_b32 s0, s3
	s_cbranch_execz .LBB190_166
; %bb.165:                              ;   in Loop: Header=BB190_3 Depth=1
	ds_load_b128 v[12:15], v1 offset:6864
	ds_load_b128 v[16:19], v1 offset:6336
	;; [unrolled: 1-line block ×3, first 2 shown]
	s_wait_dscnt 0x1
	v_mul_f64_e32 v[2:3], v[12:13], v[18:19]
	v_mul_f64_e32 v[18:19], v[14:15], v[18:19]
	s_delay_alu instid0(VALU_DEP_2) | instskip(NEXT) | instid1(VALU_DEP_2)
	v_fmac_f64_e32 v[2:3], v[14:15], v[16:17]
	v_fma_f64 v[12:13], v[12:13], v[16:17], -v[18:19]
	s_wait_dscnt 0x0
	s_delay_alu instid0(VALU_DEP_2) | instskip(NEXT) | instid1(VALU_DEP_2)
	v_mul_f64_e32 v[16:17], v[2:3], v[72:73]
	v_mul_f64_e32 v[14:15], v[12:13], v[72:73]
	s_delay_alu instid0(VALU_DEP_2) | instskip(NEXT) | instid1(VALU_DEP_2)
	v_fma_f64 v[12:13], v[70:71], v[12:13], -v[16:17]
	v_fmac_f64_e32 v[14:15], v[70:71], v[2:3]
	ds_store_b128 v1, v[12:15] offset:6352
.LBB190_166:                            ;   in Loop: Header=BB190_3 Depth=1
	s_or_b32 exec_lo, exec_lo, s0
	v_mov_b64_e32 v[14:15], 0
	v_mov_b64_e32 v[12:13], 0
	s_wait_dscnt 0x0
	s_barrier_signal -1
	s_barrier_wait -1
	s_and_saveexec_b32 s0, s4
	s_cbranch_execz .LBB190_170
; %bb.167:                              ;   in Loop: Header=BB190_3 Depth=1
	ds_load_b128 v[12:15], v45 offset:6336
	ds_load_b128 v[16:19], v44 offset:6368
	s_wait_dscnt 0x0
	v_mul_f64_e32 v[2:3], v[14:15], v[18:19]
	v_mul_f64_e32 v[18:19], v[12:13], v[18:19]
	s_delay_alu instid0(VALU_DEP_2) | instskip(NEXT) | instid1(VALU_DEP_2)
	v_fma_f64 v[2:3], v[12:13], v[16:17], -v[2:3]
	v_fmac_f64_e32 v[18:19], v[14:15], v[16:17]
	s_delay_alu instid0(VALU_DEP_2) | instskip(NEXT) | instid1(VALU_DEP_2)
	v_add_f64_e32 v[12:13], 0, v[2:3]
	v_add_f64_e32 v[14:15], 0, v[18:19]
	s_and_saveexec_b32 s1, s5
	s_cbranch_execz .LBB190_169
; %bb.168:                              ;   in Loop: Header=BB190_3 Depth=1
	ds_load_b128 v[16:19], v1 offset:6352
	ds_load_b128 v[70:73], v46 offset:6880
	s_wait_dscnt 0x0
	v_mul_f64_e32 v[2:3], v[18:19], v[72:73]
	v_mul_f64_e32 v[72:73], v[16:17], v[72:73]
	s_delay_alu instid0(VALU_DEP_2) | instskip(NEXT) | instid1(VALU_DEP_2)
	v_fma_f64 v[2:3], v[16:17], v[70:71], -v[2:3]
	v_fmac_f64_e32 v[72:73], v[18:19], v[70:71]
	s_delay_alu instid0(VALU_DEP_2) | instskip(NEXT) | instid1(VALU_DEP_2)
	v_add_f64_e32 v[12:13], v[12:13], v[2:3]
	v_add_f64_e32 v[14:15], v[14:15], v[72:73]
.LBB190_169:                            ;   in Loop: Header=BB190_3 Depth=1
	s_or_b32 exec_lo, exec_lo, s1
	s_delay_alu instid0(VALU_DEP_2) | instskip(NEXT) | instid1(VALU_DEP_2)
	v_xor_b32_e32 v13, 0x80000000, v13
	v_xor_b32_e32 v15, 0x80000000, v15
.LBB190_170:                            ;   in Loop: Header=BB190_3 Depth=1
	s_or_b32 exec_lo, exec_lo, s0
	s_and_saveexec_b32 s0, s69
	s_cbranch_execz .LBB190_172
; %bb.171:                              ;   in Loop: Header=BB190_3 Depth=1
	ds_load_b128 v[16:19], v1 offset:7392
	s_wait_dscnt 0x0
	v_mul_f64_e32 v[2:3], v[14:15], v[18:19]
	v_mul_f64_e32 v[72:73], v[12:13], v[18:19]
	s_delay_alu instid0(VALU_DEP_2) | instskip(NEXT) | instid1(VALU_DEP_2)
	v_fma_f64 v[70:71], v[12:13], v[16:17], -v[2:3]
	v_fmac_f64_e32 v[72:73], v[14:15], v[16:17]
	s_delay_alu instid0(VALU_DEP_2) | instskip(NEXT) | instid1(VALU_DEP_2)
	v_mov_b64_e32 v[12:13], v[70:71]
	v_mov_b64_e32 v[14:15], v[72:73]
	ds_store_b128 v21, v[70:73]
.LBB190_172:                            ;   in Loop: Header=BB190_3 Depth=1
	s_or_b32 exec_lo, exec_lo, s0
	s_wait_dscnt 0x0
	s_barrier_signal -1
	s_barrier_wait -1
	s_and_saveexec_b32 s0, s70
	s_cbranch_execz .LBB190_174
; %bb.173:                              ;   in Loop: Header=BB190_3 Depth=1
	ds_load_b128 v[16:19], v21
	ds_load_b128 v[70:73], v1 offset:7408
	s_wait_dscnt 0x0
	v_mul_f64_e32 v[2:3], v[18:19], v[72:73]
	v_mul_f64_e32 v[72:73], v[16:17], v[72:73]
	s_delay_alu instid0(VALU_DEP_2) | instskip(NEXT) | instid1(VALU_DEP_2)
	v_fma_f64 v[2:3], v[16:17], v[70:71], -v[2:3]
	v_fmac_f64_e32 v[72:73], v[18:19], v[70:71]
	s_delay_alu instid0(VALU_DEP_2) | instskip(NEXT) | instid1(VALU_DEP_2)
	v_add_f64_e32 v[12:13], v[12:13], v[2:3]
	v_add_f64_e32 v[14:15], v[14:15], v[72:73]
.LBB190_174:                            ;   in Loop: Header=BB190_3 Depth=1
	s_or_b32 exec_lo, exec_lo, s0
	s_barrier_signal -1
	s_barrier_wait -1
	s_and_saveexec_b32 s0, s70
	s_cbranch_execz .LBB190_176
; %bb.175:                              ;   in Loop: Header=BB190_3 Depth=1
	ds_load_b128 v[16:19], v1 offset:7920
	s_wait_dscnt 0x0
	v_mul_f64_e32 v[2:3], v[14:15], v[18:19]
	v_mul_f64_e32 v[72:73], v[12:13], v[18:19]
	s_delay_alu instid0(VALU_DEP_2) | instskip(NEXT) | instid1(VALU_DEP_2)
	v_fma_f64 v[70:71], v[12:13], v[16:17], -v[2:3]
	v_fmac_f64_e32 v[72:73], v[14:15], v[16:17]
	s_delay_alu instid0(VALU_DEP_2) | instskip(NEXT) | instid1(VALU_DEP_2)
	v_mov_b64_e32 v[12:13], v[70:71]
	v_mov_b64_e32 v[14:15], v[72:73]
	ds_store_b128 v21, v[70:73]
.LBB190_176:                            ;   in Loop: Header=BB190_3 Depth=1
	s_or_b32 exec_lo, exec_lo, s0
	s_wait_dscnt 0x0
	s_barrier_signal -1
	s_barrier_wait -1
	s_barrier_signal -1
	s_barrier_wait -1
	s_and_saveexec_b32 s0, s4
; %bb.177:                              ;   in Loop: Header=BB190_3 Depth=1
	s_delay_alu instid0(VALU_DEP_2) | instskip(NEXT) | instid1(VALU_DEP_2)
	v_xor_b32_e32 v13, 0x80000000, v13
	v_xor_b32_e32 v15, 0x80000000, v15
	ds_store_b128 v44, v[12:15] offset:6368
; %bb.178:                              ;   in Loop: Header=BB190_3 Depth=1
	s_or_b32 exec_lo, exec_lo, s0
	s_wait_dscnt 0x0
	s_barrier_signal -1
	s_barrier_wait -1
	s_barrier_signal -1
	s_barrier_wait -1
	s_and_saveexec_b32 s0, s3
	s_cbranch_execz .LBB190_180
; %bb.179:                              ;   in Loop: Header=BB190_3 Depth=1
	ds_load_b128 v[12:15], v1 offset:7920
	ds_load_b128 v[16:19], v1 offset:7392
	;; [unrolled: 1-line block ×3, first 2 shown]
	s_wait_dscnt 0x1
	v_mul_f64_e32 v[2:3], v[12:13], v[18:19]
	v_mul_f64_e32 v[18:19], v[14:15], v[18:19]
	s_delay_alu instid0(VALU_DEP_2) | instskip(NEXT) | instid1(VALU_DEP_2)
	v_fmac_f64_e32 v[2:3], v[14:15], v[16:17]
	v_fma_f64 v[12:13], v[12:13], v[16:17], -v[18:19]
	s_wait_dscnt 0x0
	s_delay_alu instid0(VALU_DEP_2) | instskip(NEXT) | instid1(VALU_DEP_2)
	v_mul_f64_e32 v[16:17], v[2:3], v[72:73]
	v_mul_f64_e32 v[14:15], v[12:13], v[72:73]
	s_delay_alu instid0(VALU_DEP_2) | instskip(NEXT) | instid1(VALU_DEP_2)
	v_fma_f64 v[12:13], v[70:71], v[12:13], -v[16:17]
	v_fmac_f64_e32 v[14:15], v[70:71], v[2:3]
	ds_store_b128 v1, v[12:15] offset:7408
.LBB190_180:                            ;   in Loop: Header=BB190_3 Depth=1
	s_or_b32 exec_lo, exec_lo, s0
	v_mov_b64_e32 v[14:15], 0
	v_mov_b64_e32 v[12:13], 0
	s_wait_dscnt 0x0
	s_barrier_signal -1
	s_barrier_wait -1
	s_and_saveexec_b32 s0, s15
	s_cbranch_execz .LBB190_208
; %bb.181:                              ;   in Loop: Header=BB190_3 Depth=1
	v_add_nc_u32_e32 v0, v58, v57
	ds_load_b128 v[12:15], v61 offset:256
	ds_load_b128 v[16:19], v0
	s_wait_dscnt 0x0
	v_mul_f64_e32 v[2:3], v[18:19], v[14:15]
	v_mul_f64_e32 v[14:15], v[16:17], v[14:15]
	s_delay_alu instid0(VALU_DEP_2) | instskip(NEXT) | instid1(VALU_DEP_2)
	v_fma_f64 v[2:3], v[16:17], v[12:13], -v[2:3]
	v_fmac_f64_e32 v[14:15], v[18:19], v[12:13]
	s_delay_alu instid0(VALU_DEP_2) | instskip(NEXT) | instid1(VALU_DEP_2)
	v_add_f64_e32 v[12:13], 0, v[2:3]
	v_add_f64_e32 v[14:15], 0, v[14:15]
	s_mov_b32 s1, exec_lo
	v_readlane_b32 s23, v78, 3
	s_and_b32 s23, s1, s23
	s_delay_alu instid0(SALU_CYCLE_1)
	s_mov_b32 exec_lo, s23
	s_cbranch_execz .LBB190_183
; %bb.182:                              ;   in Loop: Header=BB190_3 Depth=1
	ds_load_b128 v[16:19], v0 offset:16
	ds_load_b128 v[70:73], v61 offset:768
	s_wait_dscnt 0x0
	v_mul_f64_e32 v[2:3], v[18:19], v[72:73]
	v_mul_f64_e32 v[72:73], v[16:17], v[72:73]
	s_delay_alu instid0(VALU_DEP_2) | instskip(NEXT) | instid1(VALU_DEP_2)
	v_fma_f64 v[2:3], v[16:17], v[70:71], -v[2:3]
	v_fmac_f64_e32 v[72:73], v[18:19], v[70:71]
	s_delay_alu instid0(VALU_DEP_2) | instskip(NEXT) | instid1(VALU_DEP_2)
	v_add_f64_e32 v[12:13], v[12:13], v[2:3]
	v_add_f64_e32 v[14:15], v[14:15], v[72:73]
.LBB190_183:                            ;   in Loop: Header=BB190_3 Depth=1
	s_or_b32 exec_lo, exec_lo, s1
	s_delay_alu instid0(SALU_CYCLE_1) | instskip(SKIP_2) | instid1(SALU_CYCLE_1)
	s_mov_b32 s1, exec_lo
	v_readlane_b32 s23, v78, 4
	s_and_b32 s23, s1, s23
	s_mov_b32 exec_lo, s23
	s_cbranch_execz .LBB190_185
; %bb.184:                              ;   in Loop: Header=BB190_3 Depth=1
	ds_load_b128 v[16:19], v0 offset:32
	ds_load_b128 v[70:73], v61 offset:1280
	s_wait_dscnt 0x0
	v_mul_f64_e32 v[2:3], v[18:19], v[72:73]
	v_mul_f64_e32 v[72:73], v[16:17], v[72:73]
	s_delay_alu instid0(VALU_DEP_2) | instskip(NEXT) | instid1(VALU_DEP_2)
	v_fma_f64 v[2:3], v[16:17], v[70:71], -v[2:3]
	v_fmac_f64_e32 v[72:73], v[18:19], v[70:71]
	s_delay_alu instid0(VALU_DEP_2) | instskip(NEXT) | instid1(VALU_DEP_2)
	v_add_f64_e32 v[12:13], v[12:13], v[2:3]
	v_add_f64_e32 v[14:15], v[14:15], v[72:73]
.LBB190_185:                            ;   in Loop: Header=BB190_3 Depth=1
	s_or_b32 exec_lo, exec_lo, s1
	s_delay_alu instid0(SALU_CYCLE_1) | instskip(SKIP_2) | instid1(SALU_CYCLE_1)
	s_mov_b32 s1, exec_lo
	v_readlane_b32 s23, v78, 17
	s_and_b32 s23, s1, s23
	;; [unrolled: 20-line block ×10, first 2 shown]
	s_mov_b32 exec_lo, s23
	s_cbranch_execnz .LBB190_534
; %bb.202:                              ;   in Loop: Header=BB190_3 Depth=1
	s_or_b32 exec_lo, exec_lo, s1
	s_and_saveexec_b32 s1, s9
	s_cbranch_execnz .LBB190_535
.LBB190_203:                            ;   in Loop: Header=BB190_3 Depth=1
	s_or_b32 exec_lo, exec_lo, s1
	s_and_saveexec_b32 s1, s11
	s_cbranch_execnz .LBB190_536
.LBB190_204:                            ;   in Loop: Header=BB190_3 Depth=1
	s_or_b32 exec_lo, exec_lo, s1
	s_and_saveexec_b32 s1, s13
	s_cbranch_execnz .LBB190_537
.LBB190_205:                            ;   in Loop: Header=BB190_3 Depth=1
	s_or_b32 exec_lo, exec_lo, s1
	s_and_saveexec_b32 s1, s6
	s_cbranch_execz .LBB190_207
.LBB190_206:                            ;   in Loop: Header=BB190_3 Depth=1
	ds_load_b128 v[16:19], v1 offset:240
	ds_load_b128 v[70:73], v46 offset:7936
	s_wait_dscnt 0x0
	v_mul_f64_e32 v[2:3], v[18:19], v[72:73]
	v_mul_f64_e32 v[72:73], v[16:17], v[72:73]
	s_delay_alu instid0(VALU_DEP_2) | instskip(NEXT) | instid1(VALU_DEP_2)
	v_fma_f64 v[2:3], v[16:17], v[70:71], -v[2:3]
	v_fmac_f64_e32 v[72:73], v[18:19], v[70:71]
	s_delay_alu instid0(VALU_DEP_2) | instskip(NEXT) | instid1(VALU_DEP_2)
	v_add_f64_e32 v[12:13], v[12:13], v[2:3]
	v_add_f64_e32 v[14:15], v[14:15], v[72:73]
.LBB190_207:                            ;   in Loop: Header=BB190_3 Depth=1
	s_or_b32 exec_lo, exec_lo, s1
	s_delay_alu instid0(VALU_DEP_2) | instskip(NEXT) | instid1(VALU_DEP_2)
	v_xor_b32_e32 v13, 0x80000000, v13
	v_xor_b32_e32 v15, 0x80000000, v15
.LBB190_208:                            ;   in Loop: Header=BB190_3 Depth=1
	s_or_b32 exec_lo, exec_lo, s0
	s_delay_alu instid0(SALU_CYCLE_1) | instskip(SKIP_2) | instid1(SALU_CYCLE_1)
	s_mov_b32 s0, exec_lo
	v_readlane_b32 s1, v78, 5
	s_and_b32 s1, s0, s1
	s_mov_b32 exec_lo, s1
	s_cbranch_execz .LBB190_210
; %bb.209:                              ;   in Loop: Header=BB190_3 Depth=1
	ds_load_b128 v[16:19], v1 offset:8448
	s_wait_dscnt 0x0
	v_mul_f64_e32 v[2:3], v[14:15], v[18:19]
	v_mul_f64_e32 v[72:73], v[12:13], v[18:19]
	s_delay_alu instid0(VALU_DEP_2) | instskip(NEXT) | instid1(VALU_DEP_2)
	v_fma_f64 v[70:71], v[12:13], v[16:17], -v[2:3]
	v_fmac_f64_e32 v[72:73], v[14:15], v[16:17]
	s_delay_alu instid0(VALU_DEP_2) | instskip(NEXT) | instid1(VALU_DEP_2)
	v_mov_b64_e32 v[12:13], v[70:71]
	v_mov_b64_e32 v[14:15], v[72:73]
	ds_store_b128 v60, v[70:73]
.LBB190_210:                            ;   in Loop: Header=BB190_3 Depth=1
	s_or_b32 exec_lo, exec_lo, s0
	s_wait_dscnt 0x0
	s_barrier_signal -1
	s_barrier_wait -1
	s_mov_b32 s0, exec_lo
	v_readlane_b32 s1, v78, 6
	s_and_b32 s1, s0, s1
	s_delay_alu instid0(SALU_CYCLE_1)
	s_mov_b32 exec_lo, s1
	s_cbranch_execz .LBB190_212
; %bb.211:                              ;   in Loop: Header=BB190_3 Depth=1
	ds_load_b128 v[16:19], v60
	ds_load_b128 v[70:73], v59 offset:8448
	s_wait_dscnt 0x0
	v_mul_f64_e32 v[2:3], v[18:19], v[72:73]
	v_mul_f64_e32 v[72:73], v[16:17], v[72:73]
	s_delay_alu instid0(VALU_DEP_2) | instskip(NEXT) | instid1(VALU_DEP_2)
	v_fma_f64 v[2:3], v[16:17], v[70:71], -v[2:3]
	v_fmac_f64_e32 v[72:73], v[18:19], v[70:71]
	s_delay_alu instid0(VALU_DEP_2) | instskip(NEXT) | instid1(VALU_DEP_2)
	v_add_f64_e32 v[12:13], v[12:13], v[2:3]
	v_add_f64_e32 v[14:15], v[14:15], v[72:73]
.LBB190_212:                            ;   in Loop: Header=BB190_3 Depth=1
	s_or_b32 exec_lo, exec_lo, s0
	s_barrier_signal -1
	s_barrier_wait -1
	s_mov_b32 s0, exec_lo
	v_readlane_b32 s1, v78, 7
	s_and_b32 s1, s0, s1
	s_delay_alu instid0(SALU_CYCLE_1)
	s_mov_b32 exec_lo, s1
	s_cbranch_execz .LBB190_214
; %bb.213:                              ;   in Loop: Header=BB190_3 Depth=1
	ds_load_b128 v[16:19], v1 offset:8976
	s_wait_dscnt 0x0
	v_mul_f64_e32 v[2:3], v[14:15], v[18:19]
	v_mul_f64_e32 v[72:73], v[12:13], v[18:19]
	s_delay_alu instid0(VALU_DEP_2) | instskip(NEXT) | instid1(VALU_DEP_2)
	v_fma_f64 v[70:71], v[12:13], v[16:17], -v[2:3]
	v_fmac_f64_e32 v[72:73], v[14:15], v[16:17]
	s_delay_alu instid0(VALU_DEP_2) | instskip(NEXT) | instid1(VALU_DEP_2)
	v_mov_b64_e32 v[12:13], v[70:71]
	v_mov_b64_e32 v[14:15], v[72:73]
	ds_store_b128 v60, v[70:73]
.LBB190_214:                            ;   in Loop: Header=BB190_3 Depth=1
	s_or_b32 exec_lo, exec_lo, s0
	s_wait_dscnt 0x0
	s_barrier_signal -1
	s_barrier_wait -1
	s_mov_b32 s0, exec_lo
	v_readlane_b32 s1, v78, 8
	s_and_b32 s1, s0, s1
	s_delay_alu instid0(SALU_CYCLE_1)
	s_mov_b32 exec_lo, s1
	s_cbranch_execz .LBB190_216
; %bb.215:                              ;   in Loop: Header=BB190_3 Depth=1
	ds_load_b128 v[16:19], v60
	ds_load_b128 v[70:73], v59 offset:8960
	s_wait_dscnt 0x0
	v_mul_f64_e32 v[2:3], v[18:19], v[72:73]
	v_mul_f64_e32 v[72:73], v[16:17], v[72:73]
	s_delay_alu instid0(VALU_DEP_2) | instskip(NEXT) | instid1(VALU_DEP_2)
	v_fma_f64 v[2:3], v[16:17], v[70:71], -v[2:3]
	v_fmac_f64_e32 v[72:73], v[18:19], v[70:71]
	s_delay_alu instid0(VALU_DEP_2) | instskip(NEXT) | instid1(VALU_DEP_2)
	v_add_f64_e32 v[12:13], v[12:13], v[2:3]
	v_add_f64_e32 v[14:15], v[14:15], v[72:73]
.LBB190_216:                            ;   in Loop: Header=BB190_3 Depth=1
	s_or_b32 exec_lo, exec_lo, s0
	s_barrier_signal -1
	s_barrier_wait -1
	s_mov_b32 s0, exec_lo
	v_readlane_b32 s1, v78, 9
	s_and_b32 s1, s0, s1
	s_delay_alu instid0(SALU_CYCLE_1)
	;; [unrolled: 45-line block ×3, first 2 shown]
	s_mov_b32 exec_lo, s1
	s_cbranch_execz .LBB190_222
; %bb.221:                              ;   in Loop: Header=BB190_3 Depth=1
	ds_load_b128 v[16:19], v1 offset:10032
	s_wait_dscnt 0x0
	v_mul_f64_e32 v[2:3], v[14:15], v[18:19]
	v_mul_f64_e32 v[72:73], v[12:13], v[18:19]
	s_delay_alu instid0(VALU_DEP_2) | instskip(NEXT) | instid1(VALU_DEP_2)
	v_fma_f64 v[70:71], v[12:13], v[16:17], -v[2:3]
	v_fmac_f64_e32 v[72:73], v[14:15], v[16:17]
	s_delay_alu instid0(VALU_DEP_2) | instskip(NEXT) | instid1(VALU_DEP_2)
	v_mov_b64_e32 v[12:13], v[70:71]
	v_mov_b64_e32 v[14:15], v[72:73]
	ds_store_b128 v60, v[70:73]
.LBB190_222:                            ;   in Loop: Header=BB190_3 Depth=1
	s_or_b32 exec_lo, exec_lo, s0
	s_wait_dscnt 0x0
	s_barrier_signal -1
	s_barrier_wait -1
	s_and_saveexec_b32 s0, s98
	s_cbranch_execz .LBB190_224
; %bb.223:                              ;   in Loop: Header=BB190_3 Depth=1
	ds_load_b128 v[16:19], v60
	ds_load_b128 v[70:73], v59 offset:9984
	s_wait_dscnt 0x0
	v_mul_f64_e32 v[2:3], v[18:19], v[72:73]
	v_mul_f64_e32 v[72:73], v[16:17], v[72:73]
	s_delay_alu instid0(VALU_DEP_2) | instskip(NEXT) | instid1(VALU_DEP_2)
	v_fma_f64 v[2:3], v[16:17], v[70:71], -v[2:3]
	v_fmac_f64_e32 v[72:73], v[18:19], v[70:71]
	s_delay_alu instid0(VALU_DEP_2) | instskip(NEXT) | instid1(VALU_DEP_2)
	v_add_f64_e32 v[12:13], v[12:13], v[2:3]
	v_add_f64_e32 v[14:15], v[14:15], v[72:73]
.LBB190_224:                            ;   in Loop: Header=BB190_3 Depth=1
	s_or_b32 exec_lo, exec_lo, s0
	s_barrier_signal -1
	s_barrier_wait -1
	s_and_saveexec_b32 s0, s99
	s_cbranch_execz .LBB190_226
; %bb.225:                              ;   in Loop: Header=BB190_3 Depth=1
	ds_load_b128 v[16:19], v1 offset:10560
	s_wait_dscnt 0x0
	v_mul_f64_e32 v[2:3], v[14:15], v[18:19]
	v_mul_f64_e32 v[72:73], v[12:13], v[18:19]
	s_delay_alu instid0(VALU_DEP_2) | instskip(NEXT) | instid1(VALU_DEP_2)
	v_fma_f64 v[70:71], v[12:13], v[16:17], -v[2:3]
	v_fmac_f64_e32 v[72:73], v[14:15], v[16:17]
	s_delay_alu instid0(VALU_DEP_2) | instskip(NEXT) | instid1(VALU_DEP_2)
	v_mov_b64_e32 v[12:13], v[70:71]
	v_mov_b64_e32 v[14:15], v[72:73]
	ds_store_b128 v60, v[70:73]
.LBB190_226:                            ;   in Loop: Header=BB190_3 Depth=1
	s_or_b32 exec_lo, exec_lo, s0
	s_wait_dscnt 0x0
	s_barrier_signal -1
	s_barrier_wait -1
	s_and_saveexec_b32 s0, s100
	s_cbranch_execz .LBB190_228
; %bb.227:                              ;   in Loop: Header=BB190_3 Depth=1
	ds_load_b128 v[16:19], v60
	ds_load_b128 v[70:73], v59 offset:10496
	s_wait_dscnt 0x0
	v_mul_f64_e32 v[2:3], v[18:19], v[72:73]
	v_mul_f64_e32 v[72:73], v[16:17], v[72:73]
	s_delay_alu instid0(VALU_DEP_2) | instskip(NEXT) | instid1(VALU_DEP_2)
	v_fma_f64 v[2:3], v[16:17], v[70:71], -v[2:3]
	v_fmac_f64_e32 v[72:73], v[18:19], v[70:71]
	s_delay_alu instid0(VALU_DEP_2) | instskip(NEXT) | instid1(VALU_DEP_2)
	v_add_f64_e32 v[12:13], v[12:13], v[2:3]
	v_add_f64_e32 v[14:15], v[14:15], v[72:73]
.LBB190_228:                            ;   in Loop: Header=BB190_3 Depth=1
	s_or_b32 exec_lo, exec_lo, s0
	s_barrier_signal -1
	s_barrier_wait -1
	s_and_saveexec_b32 s0, s101
	;; [unrolled: 37-line block ×3, first 2 shown]
	s_cbranch_execz .LBB190_234
; %bb.233:                              ;   in Loop: Header=BB190_3 Depth=1
	ds_load_b128 v[16:19], v1 offset:11616
	s_wait_dscnt 0x0
	v_mul_f64_e32 v[2:3], v[14:15], v[18:19]
	v_mul_f64_e32 v[72:73], v[12:13], v[18:19]
	s_delay_alu instid0(VALU_DEP_2) | instskip(NEXT) | instid1(VALU_DEP_2)
	v_fma_f64 v[70:71], v[12:13], v[16:17], -v[2:3]
	v_fmac_f64_e32 v[72:73], v[14:15], v[16:17]
	s_delay_alu instid0(VALU_DEP_2) | instskip(NEXT) | instid1(VALU_DEP_2)
	v_mov_b64_e32 v[12:13], v[70:71]
	v_mov_b64_e32 v[14:15], v[72:73]
	ds_store_b128 v60, v[70:73]
.LBB190_234:                            ;   in Loop: Header=BB190_3 Depth=1
	s_or_b32 exec_lo, exec_lo, s0
	s_wait_dscnt 0x0
	s_barrier_signal -1
	s_barrier_wait -1
	s_and_saveexec_b32 s0, s104
	s_cbranch_execz .LBB190_236
; %bb.235:                              ;   in Loop: Header=BB190_3 Depth=1
	ds_load_b128 v[16:19], v60
	ds_load_b128 v[70:73], v59 offset:11520
	s_wait_dscnt 0x0
	v_mul_f64_e32 v[2:3], v[18:19], v[72:73]
	v_mul_f64_e32 v[72:73], v[16:17], v[72:73]
	s_delay_alu instid0(VALU_DEP_2) | instskip(NEXT) | instid1(VALU_DEP_2)
	v_fma_f64 v[2:3], v[16:17], v[70:71], -v[2:3]
	v_fmac_f64_e32 v[72:73], v[18:19], v[70:71]
	s_delay_alu instid0(VALU_DEP_2) | instskip(NEXT) | instid1(VALU_DEP_2)
	v_add_f64_e32 v[12:13], v[12:13], v[2:3]
	v_add_f64_e32 v[14:15], v[14:15], v[72:73]
.LBB190_236:                            ;   in Loop: Header=BB190_3 Depth=1
	s_or_b32 exec_lo, exec_lo, s0
	s_barrier_signal -1
	s_barrier_wait -1
	s_and_saveexec_b32 s0, vcc_hi
	s_cbranch_execz .LBB190_238
; %bb.237:                              ;   in Loop: Header=BB190_3 Depth=1
	ds_load_b128 v[16:19], v1 offset:12144
	s_wait_dscnt 0x0
	v_mul_f64_e32 v[2:3], v[14:15], v[18:19]
	v_mul_f64_e32 v[72:73], v[12:13], v[18:19]
	s_delay_alu instid0(VALU_DEP_2) | instskip(NEXT) | instid1(VALU_DEP_2)
	v_fma_f64 v[70:71], v[12:13], v[16:17], -v[2:3]
	v_fmac_f64_e32 v[72:73], v[14:15], v[16:17]
	s_delay_alu instid0(VALU_DEP_2) | instskip(NEXT) | instid1(VALU_DEP_2)
	v_mov_b64_e32 v[12:13], v[70:71]
	v_mov_b64_e32 v[14:15], v[72:73]
	ds_store_b128 v60, v[70:73]
.LBB190_238:                            ;   in Loop: Header=BB190_3 Depth=1
	s_or_b32 exec_lo, exec_lo, s0
	s_wait_dscnt 0x0
	s_barrier_signal -1
	s_barrier_wait -1
	s_and_saveexec_b32 s0, s16
	s_cbranch_execz .LBB190_240
; %bb.239:                              ;   in Loop: Header=BB190_3 Depth=1
	ds_load_b128 v[16:19], v60
	ds_load_b128 v[70:73], v59 offset:12032
	s_wait_dscnt 0x0
	v_mul_f64_e32 v[2:3], v[18:19], v[72:73]
	v_mul_f64_e32 v[72:73], v[16:17], v[72:73]
	s_delay_alu instid0(VALU_DEP_2) | instskip(NEXT) | instid1(VALU_DEP_2)
	v_fma_f64 v[2:3], v[16:17], v[70:71], -v[2:3]
	v_fmac_f64_e32 v[72:73], v[18:19], v[70:71]
	s_delay_alu instid0(VALU_DEP_2) | instskip(NEXT) | instid1(VALU_DEP_2)
	v_add_f64_e32 v[12:13], v[12:13], v[2:3]
	v_add_f64_e32 v[14:15], v[14:15], v[72:73]
.LBB190_240:                            ;   in Loop: Header=BB190_3 Depth=1
	s_or_b32 exec_lo, exec_lo, s0
	s_barrier_signal -1
	s_barrier_wait -1
	s_and_saveexec_b32 s0, s17
	s_cbranch_execz .LBB190_242
; %bb.241:                              ;   in Loop: Header=BB190_3 Depth=1
	ds_load_b128 v[16:19], v1 offset:12672
	s_wait_dscnt 0x0
	v_mul_f64_e32 v[2:3], v[14:15], v[18:19]
	v_mul_f64_e32 v[72:73], v[12:13], v[18:19]
	s_delay_alu instid0(VALU_DEP_2) | instskip(NEXT) | instid1(VALU_DEP_2)
	v_fma_f64 v[70:71], v[12:13], v[16:17], -v[2:3]
	v_fmac_f64_e32 v[72:73], v[14:15], v[16:17]
	s_delay_alu instid0(VALU_DEP_2) | instskip(NEXT) | instid1(VALU_DEP_2)
	v_mov_b64_e32 v[12:13], v[70:71]
	v_mov_b64_e32 v[14:15], v[72:73]
	ds_store_b128 v60, v[70:73]
.LBB190_242:                            ;   in Loop: Header=BB190_3 Depth=1
	s_or_b32 exec_lo, exec_lo, s0
	s_wait_dscnt 0x0
	s_barrier_signal -1
	s_barrier_wait -1
	s_and_saveexec_b32 s0, s26
	s_cbranch_execz .LBB190_244
; %bb.243:                              ;   in Loop: Header=BB190_3 Depth=1
	ds_load_b128 v[16:19], v60
	ds_load_b128 v[70:73], v59 offset:12544
	s_wait_dscnt 0x0
	v_mul_f64_e32 v[2:3], v[18:19], v[72:73]
	v_mul_f64_e32 v[72:73], v[16:17], v[72:73]
	s_delay_alu instid0(VALU_DEP_2) | instskip(NEXT) | instid1(VALU_DEP_2)
	v_fma_f64 v[2:3], v[16:17], v[70:71], -v[2:3]
	v_fmac_f64_e32 v[72:73], v[18:19], v[70:71]
	s_delay_alu instid0(VALU_DEP_2) | instskip(NEXT) | instid1(VALU_DEP_2)
	v_add_f64_e32 v[12:13], v[12:13], v[2:3]
	v_add_f64_e32 v[14:15], v[14:15], v[72:73]
.LBB190_244:                            ;   in Loop: Header=BB190_3 Depth=1
	s_or_b32 exec_lo, exec_lo, s0
	s_barrier_signal -1
	s_barrier_wait -1
	s_and_saveexec_b32 s0, s27
	;; [unrolled: 37-line block ×8, first 2 shown]
	s_cbranch_execz .LBB190_270
; %bb.269:                              ;   in Loop: Header=BB190_3 Depth=1
	ds_load_b128 v[16:19], v1 offset:16368
	s_wait_dscnt 0x0
	v_mul_f64_e32 v[2:3], v[14:15], v[18:19]
	v_mul_f64_e32 v[72:73], v[12:13], v[18:19]
	s_delay_alu instid0(VALU_DEP_2) | instskip(NEXT) | instid1(VALU_DEP_2)
	v_fma_f64 v[70:71], v[12:13], v[16:17], -v[2:3]
	v_fmac_f64_e32 v[72:73], v[14:15], v[16:17]
	s_delay_alu instid0(VALU_DEP_2) | instskip(NEXT) | instid1(VALU_DEP_2)
	v_mov_b64_e32 v[12:13], v[70:71]
	v_mov_b64_e32 v[14:15], v[72:73]
	ds_store_b128 v60, v[70:73]
.LBB190_270:                            ;   in Loop: Header=BB190_3 Depth=1
	s_or_b32 exec_lo, exec_lo, s0
	s_wait_dscnt 0x0
	s_barrier_signal -1
	s_barrier_wait -1
	s_barrier_signal -1
	s_barrier_wait -1
	s_and_saveexec_b32 s0, s15
; %bb.271:                              ;   in Loop: Header=BB190_3 Depth=1
	s_delay_alu instid0(VALU_DEP_1) | instskip(NEXT) | instid1(VALU_DEP_3)
	v_xor_b32_e32 v15, 0x80000000, v15
	v_xor_b32_e32 v13, 0x80000000, v13
	ds_store_b128 v61, v[12:15] offset:256
; %bb.272:                              ;   in Loop: Header=BB190_3 Depth=1
	s_or_b32 exec_lo, exec_lo, s0
	s_wait_dscnt 0x0
	s_barrier_signal -1
	s_barrier_wait -1
	s_barrier_signal -1
	s_barrier_wait -1
	s_and_saveexec_b32 s0, s3
	s_cbranch_execz .LBB190_274
; %bb.273:                              ;   in Loop: Header=BB190_3 Depth=1
	ds_load_b128 v[12:15], v1 offset:8976
	ds_load_b128 v[16:19], v1 offset:8448
	ds_load_b128 v[70:73], v1 offset:8464
	s_wait_dscnt 0x1
	v_mul_f64_e32 v[2:3], v[12:13], v[18:19]
	v_mul_f64_e32 v[18:19], v[14:15], v[18:19]
	s_delay_alu instid0(VALU_DEP_2) | instskip(NEXT) | instid1(VALU_DEP_2)
	v_fmac_f64_e32 v[2:3], v[14:15], v[16:17]
	v_fma_f64 v[12:13], v[12:13], v[16:17], -v[18:19]
	s_wait_dscnt 0x0
	s_delay_alu instid0(VALU_DEP_2) | instskip(NEXT) | instid1(VALU_DEP_2)
	v_mul_f64_e32 v[16:17], v[2:3], v[72:73]
	v_mul_f64_e32 v[14:15], v[12:13], v[72:73]
	s_delay_alu instid0(VALU_DEP_2) | instskip(NEXT) | instid1(VALU_DEP_2)
	v_fma_f64 v[12:13], v[70:71], v[12:13], -v[16:17]
	v_fmac_f64_e32 v[14:15], v[70:71], v[2:3]
	ds_store_b128 v1, v[12:15] offset:8464
.LBB190_274:                            ;   in Loop: Header=BB190_3 Depth=1
	s_or_b32 exec_lo, exec_lo, s0
	v_mov_b64_e32 v[14:15], 0
	v_mov_b64_e32 v[12:13], 0
	s_wait_dscnt 0x0
	s_barrier_signal -1
	s_barrier_wait -1
	s_and_saveexec_b32 s0, s4
	s_cbranch_execz .LBB190_278
; %bb.275:                              ;   in Loop: Header=BB190_3 Depth=1
	ds_load_b128 v[12:15], v45 offset:8448
	ds_load_b128 v[16:19], v44 offset:8480
	s_wait_dscnt 0x0
	v_mul_f64_e32 v[2:3], v[14:15], v[18:19]
	v_mul_f64_e32 v[18:19], v[12:13], v[18:19]
	s_delay_alu instid0(VALU_DEP_2) | instskip(NEXT) | instid1(VALU_DEP_2)
	v_fma_f64 v[2:3], v[12:13], v[16:17], -v[2:3]
	v_fmac_f64_e32 v[18:19], v[14:15], v[16:17]
	s_delay_alu instid0(VALU_DEP_2) | instskip(NEXT) | instid1(VALU_DEP_2)
	v_add_f64_e32 v[12:13], 0, v[2:3]
	v_add_f64_e32 v[14:15], 0, v[18:19]
	s_and_saveexec_b32 s1, s5
	s_cbranch_execz .LBB190_277
; %bb.276:                              ;   in Loop: Header=BB190_3 Depth=1
	ds_load_b128 v[16:19], v1 offset:8464
	ds_load_b128 v[70:73], v46 offset:8992
	s_wait_dscnt 0x0
	v_mul_f64_e32 v[2:3], v[18:19], v[72:73]
	v_mul_f64_e32 v[72:73], v[16:17], v[72:73]
	s_delay_alu instid0(VALU_DEP_2) | instskip(NEXT) | instid1(VALU_DEP_2)
	v_fma_f64 v[2:3], v[16:17], v[70:71], -v[2:3]
	v_fmac_f64_e32 v[72:73], v[18:19], v[70:71]
	s_delay_alu instid0(VALU_DEP_2) | instskip(NEXT) | instid1(VALU_DEP_2)
	v_add_f64_e32 v[12:13], v[12:13], v[2:3]
	v_add_f64_e32 v[14:15], v[14:15], v[72:73]
.LBB190_277:                            ;   in Loop: Header=BB190_3 Depth=1
	s_or_b32 exec_lo, exec_lo, s1
	s_delay_alu instid0(VALU_DEP_2) | instskip(NEXT) | instid1(VALU_DEP_2)
	v_xor_b32_e32 v13, 0x80000000, v13
	v_xor_b32_e32 v15, 0x80000000, v15
.LBB190_278:                            ;   in Loop: Header=BB190_3 Depth=1
	s_or_b32 exec_lo, exec_lo, s0
	s_and_saveexec_b32 s0, s69
	s_cbranch_execz .LBB190_280
; %bb.279:                              ;   in Loop: Header=BB190_3 Depth=1
	ds_load_b128 v[16:19], v1 offset:9504
	s_wait_dscnt 0x0
	v_mul_f64_e32 v[2:3], v[14:15], v[18:19]
	v_mul_f64_e32 v[72:73], v[12:13], v[18:19]
	s_delay_alu instid0(VALU_DEP_2) | instskip(NEXT) | instid1(VALU_DEP_2)
	v_fma_f64 v[70:71], v[12:13], v[16:17], -v[2:3]
	v_fmac_f64_e32 v[72:73], v[14:15], v[16:17]
	s_delay_alu instid0(VALU_DEP_2) | instskip(NEXT) | instid1(VALU_DEP_2)
	v_mov_b64_e32 v[12:13], v[70:71]
	v_mov_b64_e32 v[14:15], v[72:73]
	ds_store_b128 v21, v[70:73]
.LBB190_280:                            ;   in Loop: Header=BB190_3 Depth=1
	s_or_b32 exec_lo, exec_lo, s0
	s_wait_dscnt 0x0
	s_barrier_signal -1
	s_barrier_wait -1
	s_and_saveexec_b32 s0, s70
	s_cbranch_execz .LBB190_282
; %bb.281:                              ;   in Loop: Header=BB190_3 Depth=1
	ds_load_b128 v[16:19], v21
	ds_load_b128 v[70:73], v1 offset:9520
	s_wait_dscnt 0x0
	v_mul_f64_e32 v[2:3], v[18:19], v[72:73]
	v_mul_f64_e32 v[72:73], v[16:17], v[72:73]
	s_delay_alu instid0(VALU_DEP_2) | instskip(NEXT) | instid1(VALU_DEP_2)
	v_fma_f64 v[2:3], v[16:17], v[70:71], -v[2:3]
	v_fmac_f64_e32 v[72:73], v[18:19], v[70:71]
	s_delay_alu instid0(VALU_DEP_2) | instskip(NEXT) | instid1(VALU_DEP_2)
	v_add_f64_e32 v[12:13], v[12:13], v[2:3]
	v_add_f64_e32 v[14:15], v[14:15], v[72:73]
.LBB190_282:                            ;   in Loop: Header=BB190_3 Depth=1
	s_or_b32 exec_lo, exec_lo, s0
	s_barrier_signal -1
	s_barrier_wait -1
	s_and_saveexec_b32 s0, s70
	s_cbranch_execz .LBB190_284
; %bb.283:                              ;   in Loop: Header=BB190_3 Depth=1
	ds_load_b128 v[16:19], v1 offset:10032
	s_wait_dscnt 0x0
	v_mul_f64_e32 v[2:3], v[14:15], v[18:19]
	v_mul_f64_e32 v[72:73], v[12:13], v[18:19]
	s_delay_alu instid0(VALU_DEP_2) | instskip(NEXT) | instid1(VALU_DEP_2)
	v_fma_f64 v[70:71], v[12:13], v[16:17], -v[2:3]
	v_fmac_f64_e32 v[72:73], v[14:15], v[16:17]
	s_delay_alu instid0(VALU_DEP_2) | instskip(NEXT) | instid1(VALU_DEP_2)
	v_mov_b64_e32 v[12:13], v[70:71]
	v_mov_b64_e32 v[14:15], v[72:73]
	ds_store_b128 v21, v[70:73]
.LBB190_284:                            ;   in Loop: Header=BB190_3 Depth=1
	s_or_b32 exec_lo, exec_lo, s0
	s_wait_dscnt 0x0
	s_barrier_signal -1
	s_barrier_wait -1
	s_barrier_signal -1
	s_barrier_wait -1
	s_and_saveexec_b32 s0, s4
; %bb.285:                              ;   in Loop: Header=BB190_3 Depth=1
	s_delay_alu instid0(VALU_DEP_2) | instskip(NEXT) | instid1(VALU_DEP_2)
	v_xor_b32_e32 v13, 0x80000000, v13
	v_xor_b32_e32 v15, 0x80000000, v15
	ds_store_b128 v44, v[12:15] offset:8480
; %bb.286:                              ;   in Loop: Header=BB190_3 Depth=1
	s_or_b32 exec_lo, exec_lo, s0
	s_wait_dscnt 0x0
	s_barrier_signal -1
	s_barrier_wait -1
	s_barrier_signal -1
	s_barrier_wait -1
	s_and_saveexec_b32 s0, s3
	s_cbranch_execz .LBB190_288
; %bb.287:                              ;   in Loop: Header=BB190_3 Depth=1
	ds_load_b128 v[12:15], v1 offset:10032
	ds_load_b128 v[16:19], v1 offset:9504
	;; [unrolled: 1-line block ×3, first 2 shown]
	s_wait_dscnt 0x1
	v_mul_f64_e32 v[2:3], v[12:13], v[18:19]
	v_mul_f64_e32 v[18:19], v[14:15], v[18:19]
	s_delay_alu instid0(VALU_DEP_2) | instskip(NEXT) | instid1(VALU_DEP_2)
	v_fmac_f64_e32 v[2:3], v[14:15], v[16:17]
	v_fma_f64 v[12:13], v[12:13], v[16:17], -v[18:19]
	s_wait_dscnt 0x0
	s_delay_alu instid0(VALU_DEP_2) | instskip(NEXT) | instid1(VALU_DEP_2)
	v_mul_f64_e32 v[16:17], v[2:3], v[72:73]
	v_mul_f64_e32 v[14:15], v[12:13], v[72:73]
	s_delay_alu instid0(VALU_DEP_2) | instskip(NEXT) | instid1(VALU_DEP_2)
	v_fma_f64 v[12:13], v[70:71], v[12:13], -v[16:17]
	v_fmac_f64_e32 v[14:15], v[70:71], v[2:3]
	ds_store_b128 v1, v[12:15] offset:9520
.LBB190_288:                            ;   in Loop: Header=BB190_3 Depth=1
	s_or_b32 exec_lo, exec_lo, s0
	v_mov_b64_e32 v[14:15], 0
	v_mov_b64_e32 v[12:13], 0
	s_wait_dscnt 0x0
	s_barrier_signal -1
	s_barrier_wait -1
	s_and_saveexec_b32 s0, s6
	s_cbranch_execz .LBB190_294
; %bb.289:                              ;   in Loop: Header=BB190_3 Depth=1
	ds_load_b128 v[12:15], v48 offset:8448
	ds_load_b128 v[16:19], v50 offset:8512
	s_wait_dscnt 0x0
	v_mul_f64_e32 v[2:3], v[14:15], v[18:19]
	v_mul_f64_e32 v[18:19], v[12:13], v[18:19]
	s_delay_alu instid0(VALU_DEP_2) | instskip(NEXT) | instid1(VALU_DEP_2)
	v_fma_f64 v[2:3], v[12:13], v[16:17], -v[2:3]
	v_fmac_f64_e32 v[18:19], v[14:15], v[16:17]
	s_delay_alu instid0(VALU_DEP_2) | instskip(NEXT) | instid1(VALU_DEP_2)
	v_add_f64_e32 v[12:13], 0, v[2:3]
	v_add_f64_e32 v[14:15], 0, v[18:19]
	s_and_saveexec_b32 s1, s7
	s_cbranch_execnz .LBB190_538
; %bb.290:                              ;   in Loop: Header=BB190_3 Depth=1
	s_or_b32 exec_lo, exec_lo, s1
	s_and_saveexec_b32 s1, s8
	s_cbranch_execnz .LBB190_539
.LBB190_291:                            ;   in Loop: Header=BB190_3 Depth=1
	s_or_b32 exec_lo, exec_lo, s1
	s_and_saveexec_b32 s1, s4
	s_cbranch_execz .LBB190_293
.LBB190_292:                            ;   in Loop: Header=BB190_3 Depth=1
	ds_load_b128 v[16:19], v1 offset:8496
	ds_load_b128 v[70:73], v46 offset:10048
	s_wait_dscnt 0x0
	v_mul_f64_e32 v[2:3], v[18:19], v[72:73]
	v_mul_f64_e32 v[72:73], v[16:17], v[72:73]
	s_delay_alu instid0(VALU_DEP_2) | instskip(NEXT) | instid1(VALU_DEP_2)
	v_fma_f64 v[2:3], v[16:17], v[70:71], -v[2:3]
	v_fmac_f64_e32 v[72:73], v[18:19], v[70:71]
	s_delay_alu instid0(VALU_DEP_2) | instskip(NEXT) | instid1(VALU_DEP_2)
	v_add_f64_e32 v[12:13], v[12:13], v[2:3]
	v_add_f64_e32 v[14:15], v[14:15], v[72:73]
.LBB190_293:                            ;   in Loop: Header=BB190_3 Depth=1
	s_or_b32 exec_lo, exec_lo, s1
	s_delay_alu instid0(VALU_DEP_2) | instskip(NEXT) | instid1(VALU_DEP_2)
	v_xor_b32_e32 v13, 0x80000000, v13
	v_xor_b32_e32 v15, 0x80000000, v15
.LBB190_294:                            ;   in Loop: Header=BB190_3 Depth=1
	s_or_b32 exec_lo, exec_lo, s0
	s_and_saveexec_b32 s0, s71
	s_cbranch_execz .LBB190_296
; %bb.295:                              ;   in Loop: Header=BB190_3 Depth=1
	ds_load_b128 v[16:19], v1 offset:10560
	s_wait_dscnt 0x0
	v_mul_f64_e32 v[2:3], v[14:15], v[18:19]
	v_mul_f64_e32 v[72:73], v[12:13], v[18:19]
	s_delay_alu instid0(VALU_DEP_2) | instskip(NEXT) | instid1(VALU_DEP_2)
	v_fma_f64 v[70:71], v[12:13], v[16:17], -v[2:3]
	v_fmac_f64_e32 v[72:73], v[14:15], v[16:17]
	s_delay_alu instid0(VALU_DEP_2) | instskip(NEXT) | instid1(VALU_DEP_2)
	v_mov_b64_e32 v[12:13], v[70:71]
	v_mov_b64_e32 v[14:15], v[72:73]
	ds_store_b128 v49, v[70:73]
.LBB190_296:                            ;   in Loop: Header=BB190_3 Depth=1
	s_or_b32 exec_lo, exec_lo, s0
	s_wait_dscnt 0x0
	s_barrier_signal -1
	s_barrier_wait -1
	s_and_saveexec_b32 s0, s72
	s_cbranch_execz .LBB190_298
; %bb.297:                              ;   in Loop: Header=BB190_3 Depth=1
	ds_load_b128 v[16:19], v49
	ds_load_b128 v[70:73], v47 offset:10560
	s_wait_dscnt 0x0
	v_mul_f64_e32 v[2:3], v[18:19], v[72:73]
	v_mul_f64_e32 v[72:73], v[16:17], v[72:73]
	s_delay_alu instid0(VALU_DEP_2) | instskip(NEXT) | instid1(VALU_DEP_2)
	v_fma_f64 v[2:3], v[16:17], v[70:71], -v[2:3]
	v_fmac_f64_e32 v[72:73], v[18:19], v[70:71]
	s_delay_alu instid0(VALU_DEP_2) | instskip(NEXT) | instid1(VALU_DEP_2)
	v_add_f64_e32 v[12:13], v[12:13], v[2:3]
	v_add_f64_e32 v[14:15], v[14:15], v[72:73]
.LBB190_298:                            ;   in Loop: Header=BB190_3 Depth=1
	s_or_b32 exec_lo, exec_lo, s0
	s_barrier_signal -1
	s_barrier_wait -1
	s_and_saveexec_b32 s0, s73
	s_cbranch_execz .LBB190_300
; %bb.299:                              ;   in Loop: Header=BB190_3 Depth=1
	ds_load_b128 v[16:19], v1 offset:11088
	s_wait_dscnt 0x0
	v_mul_f64_e32 v[2:3], v[14:15], v[18:19]
	v_mul_f64_e32 v[72:73], v[12:13], v[18:19]
	s_delay_alu instid0(VALU_DEP_2) | instskip(NEXT) | instid1(VALU_DEP_2)
	v_fma_f64 v[70:71], v[12:13], v[16:17], -v[2:3]
	v_fmac_f64_e32 v[72:73], v[14:15], v[16:17]
	s_delay_alu instid0(VALU_DEP_2) | instskip(NEXT) | instid1(VALU_DEP_2)
	v_mov_b64_e32 v[12:13], v[70:71]
	v_mov_b64_e32 v[14:15], v[72:73]
	ds_store_b128 v49, v[70:73]
.LBB190_300:                            ;   in Loop: Header=BB190_3 Depth=1
	s_or_b32 exec_lo, exec_lo, s0
	s_wait_dscnt 0x0
	s_barrier_signal -1
	s_barrier_wait -1
	s_and_saveexec_b32 s0, s74
	s_cbranch_execz .LBB190_302
; %bb.301:                              ;   in Loop: Header=BB190_3 Depth=1
	ds_load_b128 v[16:19], v49
	ds_load_b128 v[70:73], v47 offset:11072
	s_wait_dscnt 0x0
	v_mul_f64_e32 v[2:3], v[18:19], v[72:73]
	v_mul_f64_e32 v[72:73], v[16:17], v[72:73]
	s_delay_alu instid0(VALU_DEP_2) | instskip(NEXT) | instid1(VALU_DEP_2)
	v_fma_f64 v[2:3], v[16:17], v[70:71], -v[2:3]
	v_fmac_f64_e32 v[72:73], v[18:19], v[70:71]
	s_delay_alu instid0(VALU_DEP_2) | instskip(NEXT) | instid1(VALU_DEP_2)
	v_add_f64_e32 v[12:13], v[12:13], v[2:3]
	v_add_f64_e32 v[14:15], v[14:15], v[72:73]
.LBB190_302:                            ;   in Loop: Header=BB190_3 Depth=1
	s_or_b32 exec_lo, exec_lo, s0
	s_barrier_signal -1
	s_barrier_wait -1
	s_and_saveexec_b32 s0, s75
	s_cbranch_execz .LBB190_304
; %bb.303:                              ;   in Loop: Header=BB190_3 Depth=1
	ds_load_b128 v[16:19], v1 offset:11616
	s_wait_dscnt 0x0
	v_mul_f64_e32 v[2:3], v[14:15], v[18:19]
	v_mul_f64_e32 v[72:73], v[12:13], v[18:19]
	s_delay_alu instid0(VALU_DEP_2) | instskip(NEXT) | instid1(VALU_DEP_2)
	v_fma_f64 v[70:71], v[12:13], v[16:17], -v[2:3]
	v_fmac_f64_e32 v[72:73], v[14:15], v[16:17]
	s_delay_alu instid0(VALU_DEP_2) | instskip(NEXT) | instid1(VALU_DEP_2)
	v_mov_b64_e32 v[12:13], v[70:71]
	v_mov_b64_e32 v[14:15], v[72:73]
	ds_store_b128 v49, v[70:73]
.LBB190_304:                            ;   in Loop: Header=BB190_3 Depth=1
	s_or_b32 exec_lo, exec_lo, s0
	s_wait_dscnt 0x0
	s_barrier_signal -1
	s_barrier_wait -1
	s_and_saveexec_b32 s0, s76
	s_cbranch_execz .LBB190_306
; %bb.305:                              ;   in Loop: Header=BB190_3 Depth=1
	ds_load_b128 v[16:19], v49
	ds_load_b128 v[70:73], v1 offset:11632
	s_wait_dscnt 0x0
	v_mul_f64_e32 v[2:3], v[18:19], v[72:73]
	v_mul_f64_e32 v[72:73], v[16:17], v[72:73]
	s_delay_alu instid0(VALU_DEP_2) | instskip(NEXT) | instid1(VALU_DEP_2)
	v_fma_f64 v[2:3], v[16:17], v[70:71], -v[2:3]
	v_fmac_f64_e32 v[72:73], v[18:19], v[70:71]
	s_delay_alu instid0(VALU_DEP_2) | instskip(NEXT) | instid1(VALU_DEP_2)
	v_add_f64_e32 v[12:13], v[12:13], v[2:3]
	v_add_f64_e32 v[14:15], v[14:15], v[72:73]
.LBB190_306:                            ;   in Loop: Header=BB190_3 Depth=1
	s_or_b32 exec_lo, exec_lo, s0
	s_barrier_signal -1
	s_barrier_wait -1
	s_and_saveexec_b32 s0, s76
	s_cbranch_execz .LBB190_308
; %bb.307:                              ;   in Loop: Header=BB190_3 Depth=1
	ds_load_b128 v[16:19], v1 offset:12144
	s_wait_dscnt 0x0
	v_mul_f64_e32 v[2:3], v[14:15], v[18:19]
	v_mul_f64_e32 v[72:73], v[12:13], v[18:19]
	s_delay_alu instid0(VALU_DEP_2) | instskip(NEXT) | instid1(VALU_DEP_2)
	v_fma_f64 v[70:71], v[12:13], v[16:17], -v[2:3]
	v_fmac_f64_e32 v[72:73], v[14:15], v[16:17]
	s_delay_alu instid0(VALU_DEP_2) | instskip(NEXT) | instid1(VALU_DEP_2)
	v_mov_b64_e32 v[12:13], v[70:71]
	v_mov_b64_e32 v[14:15], v[72:73]
	ds_store_b128 v49, v[70:73]
.LBB190_308:                            ;   in Loop: Header=BB190_3 Depth=1
	s_or_b32 exec_lo, exec_lo, s0
	s_wait_dscnt 0x0
	s_barrier_signal -1
	s_barrier_wait -1
	s_barrier_signal -1
	s_barrier_wait -1
	s_and_saveexec_b32 s0, s6
; %bb.309:                              ;   in Loop: Header=BB190_3 Depth=1
	s_delay_alu instid0(VALU_DEP_1) | instskip(NEXT) | instid1(VALU_DEP_3)
	v_xor_b32_e32 v15, 0x80000000, v15
	v_xor_b32_e32 v13, 0x80000000, v13
	ds_store_b128 v50, v[12:15] offset:8512
; %bb.310:                              ;   in Loop: Header=BB190_3 Depth=1
	s_or_b32 exec_lo, exec_lo, s0
	s_wait_dscnt 0x0
	s_barrier_signal -1
	s_barrier_wait -1
	s_barrier_signal -1
	s_barrier_wait -1
	s_and_saveexec_b32 s0, s3
	s_cbranch_execz .LBB190_312
; %bb.311:                              ;   in Loop: Header=BB190_3 Depth=1
	ds_load_b128 v[12:15], v1 offset:11088
	ds_load_b128 v[16:19], v1 offset:10560
	;; [unrolled: 1-line block ×3, first 2 shown]
	s_wait_dscnt 0x1
	v_mul_f64_e32 v[2:3], v[12:13], v[18:19]
	v_mul_f64_e32 v[18:19], v[14:15], v[18:19]
	s_delay_alu instid0(VALU_DEP_2) | instskip(NEXT) | instid1(VALU_DEP_2)
	v_fmac_f64_e32 v[2:3], v[14:15], v[16:17]
	v_fma_f64 v[12:13], v[12:13], v[16:17], -v[18:19]
	s_wait_dscnt 0x0
	s_delay_alu instid0(VALU_DEP_2) | instskip(NEXT) | instid1(VALU_DEP_2)
	v_mul_f64_e32 v[16:17], v[2:3], v[72:73]
	v_mul_f64_e32 v[14:15], v[12:13], v[72:73]
	s_delay_alu instid0(VALU_DEP_2) | instskip(NEXT) | instid1(VALU_DEP_2)
	v_fma_f64 v[12:13], v[70:71], v[12:13], -v[16:17]
	v_fmac_f64_e32 v[14:15], v[70:71], v[2:3]
	ds_store_b128 v1, v[12:15] offset:10576
.LBB190_312:                            ;   in Loop: Header=BB190_3 Depth=1
	s_or_b32 exec_lo, exec_lo, s0
	v_mov_b64_e32 v[14:15], 0
	v_mov_b64_e32 v[12:13], 0
	s_wait_dscnt 0x0
	s_barrier_signal -1
	s_barrier_wait -1
	s_and_saveexec_b32 s0, s4
	s_cbranch_execz .LBB190_316
; %bb.313:                              ;   in Loop: Header=BB190_3 Depth=1
	ds_load_b128 v[12:15], v45 offset:10560
	ds_load_b128 v[16:19], v44 offset:10592
	s_wait_dscnt 0x0
	v_mul_f64_e32 v[2:3], v[14:15], v[18:19]
	v_mul_f64_e32 v[18:19], v[12:13], v[18:19]
	s_delay_alu instid0(VALU_DEP_2) | instskip(NEXT) | instid1(VALU_DEP_2)
	v_fma_f64 v[2:3], v[12:13], v[16:17], -v[2:3]
	v_fmac_f64_e32 v[18:19], v[14:15], v[16:17]
	s_delay_alu instid0(VALU_DEP_2) | instskip(NEXT) | instid1(VALU_DEP_2)
	v_add_f64_e32 v[12:13], 0, v[2:3]
	v_add_f64_e32 v[14:15], 0, v[18:19]
	s_and_saveexec_b32 s1, s5
	s_cbranch_execz .LBB190_315
; %bb.314:                              ;   in Loop: Header=BB190_3 Depth=1
	ds_load_b128 v[16:19], v1 offset:10576
	ds_load_b128 v[70:73], v46 offset:11104
	s_wait_dscnt 0x0
	v_mul_f64_e32 v[2:3], v[18:19], v[72:73]
	v_mul_f64_e32 v[72:73], v[16:17], v[72:73]
	s_delay_alu instid0(VALU_DEP_2) | instskip(NEXT) | instid1(VALU_DEP_2)
	v_fma_f64 v[2:3], v[16:17], v[70:71], -v[2:3]
	v_fmac_f64_e32 v[72:73], v[18:19], v[70:71]
	s_delay_alu instid0(VALU_DEP_2) | instskip(NEXT) | instid1(VALU_DEP_2)
	v_add_f64_e32 v[12:13], v[12:13], v[2:3]
	v_add_f64_e32 v[14:15], v[14:15], v[72:73]
.LBB190_315:                            ;   in Loop: Header=BB190_3 Depth=1
	s_or_b32 exec_lo, exec_lo, s1
	s_delay_alu instid0(VALU_DEP_2) | instskip(NEXT) | instid1(VALU_DEP_2)
	v_xor_b32_e32 v13, 0x80000000, v13
	v_xor_b32_e32 v15, 0x80000000, v15
.LBB190_316:                            ;   in Loop: Header=BB190_3 Depth=1
	s_or_b32 exec_lo, exec_lo, s0
	s_and_saveexec_b32 s0, s69
	s_cbranch_execz .LBB190_318
; %bb.317:                              ;   in Loop: Header=BB190_3 Depth=1
	ds_load_b128 v[16:19], v1 offset:11616
	s_wait_dscnt 0x0
	v_mul_f64_e32 v[2:3], v[14:15], v[18:19]
	v_mul_f64_e32 v[72:73], v[12:13], v[18:19]
	s_delay_alu instid0(VALU_DEP_2) | instskip(NEXT) | instid1(VALU_DEP_2)
	v_fma_f64 v[70:71], v[12:13], v[16:17], -v[2:3]
	v_fmac_f64_e32 v[72:73], v[14:15], v[16:17]
	s_delay_alu instid0(VALU_DEP_2) | instskip(NEXT) | instid1(VALU_DEP_2)
	v_mov_b64_e32 v[12:13], v[70:71]
	v_mov_b64_e32 v[14:15], v[72:73]
	ds_store_b128 v21, v[70:73]
.LBB190_318:                            ;   in Loop: Header=BB190_3 Depth=1
	s_or_b32 exec_lo, exec_lo, s0
	s_wait_dscnt 0x0
	s_barrier_signal -1
	s_barrier_wait -1
	s_and_saveexec_b32 s0, s70
	s_cbranch_execz .LBB190_320
; %bb.319:                              ;   in Loop: Header=BB190_3 Depth=1
	ds_load_b128 v[16:19], v21
	ds_load_b128 v[70:73], v1 offset:11632
	s_wait_dscnt 0x0
	v_mul_f64_e32 v[2:3], v[18:19], v[72:73]
	v_mul_f64_e32 v[72:73], v[16:17], v[72:73]
	s_delay_alu instid0(VALU_DEP_2) | instskip(NEXT) | instid1(VALU_DEP_2)
	v_fma_f64 v[2:3], v[16:17], v[70:71], -v[2:3]
	v_fmac_f64_e32 v[72:73], v[18:19], v[70:71]
	s_delay_alu instid0(VALU_DEP_2) | instskip(NEXT) | instid1(VALU_DEP_2)
	v_add_f64_e32 v[12:13], v[12:13], v[2:3]
	v_add_f64_e32 v[14:15], v[14:15], v[72:73]
.LBB190_320:                            ;   in Loop: Header=BB190_3 Depth=1
	s_or_b32 exec_lo, exec_lo, s0
	s_barrier_signal -1
	s_barrier_wait -1
	s_and_saveexec_b32 s0, s70
	s_cbranch_execz .LBB190_322
; %bb.321:                              ;   in Loop: Header=BB190_3 Depth=1
	ds_load_b128 v[16:19], v1 offset:12144
	s_wait_dscnt 0x0
	v_mul_f64_e32 v[2:3], v[14:15], v[18:19]
	v_mul_f64_e32 v[72:73], v[12:13], v[18:19]
	s_delay_alu instid0(VALU_DEP_2) | instskip(NEXT) | instid1(VALU_DEP_2)
	v_fma_f64 v[70:71], v[12:13], v[16:17], -v[2:3]
	v_fmac_f64_e32 v[72:73], v[14:15], v[16:17]
	s_delay_alu instid0(VALU_DEP_2) | instskip(NEXT) | instid1(VALU_DEP_2)
	v_mov_b64_e32 v[12:13], v[70:71]
	v_mov_b64_e32 v[14:15], v[72:73]
	ds_store_b128 v21, v[70:73]
.LBB190_322:                            ;   in Loop: Header=BB190_3 Depth=1
	s_or_b32 exec_lo, exec_lo, s0
	s_wait_dscnt 0x0
	s_barrier_signal -1
	s_barrier_wait -1
	s_barrier_signal -1
	s_barrier_wait -1
	s_and_saveexec_b32 s0, s4
; %bb.323:                              ;   in Loop: Header=BB190_3 Depth=1
	s_delay_alu instid0(VALU_DEP_2) | instskip(NEXT) | instid1(VALU_DEP_2)
	v_xor_b32_e32 v13, 0x80000000, v13
	v_xor_b32_e32 v15, 0x80000000, v15
	ds_store_b128 v44, v[12:15] offset:10592
; %bb.324:                              ;   in Loop: Header=BB190_3 Depth=1
	s_or_b32 exec_lo, exec_lo, s0
	s_wait_dscnt 0x0
	s_barrier_signal -1
	s_barrier_wait -1
	s_barrier_signal -1
	s_barrier_wait -1
	s_and_saveexec_b32 s0, s3
	s_cbranch_execz .LBB190_326
; %bb.325:                              ;   in Loop: Header=BB190_3 Depth=1
	ds_load_b128 v[12:15], v1 offset:12144
	ds_load_b128 v[16:19], v1 offset:11616
	;; [unrolled: 1-line block ×3, first 2 shown]
	s_wait_dscnt 0x1
	v_mul_f64_e32 v[2:3], v[12:13], v[18:19]
	v_mul_f64_e32 v[18:19], v[14:15], v[18:19]
	s_delay_alu instid0(VALU_DEP_2) | instskip(NEXT) | instid1(VALU_DEP_2)
	v_fmac_f64_e32 v[2:3], v[14:15], v[16:17]
	v_fma_f64 v[12:13], v[12:13], v[16:17], -v[18:19]
	s_wait_dscnt 0x0
	s_delay_alu instid0(VALU_DEP_2) | instskip(NEXT) | instid1(VALU_DEP_2)
	v_mul_f64_e32 v[16:17], v[2:3], v[72:73]
	v_mul_f64_e32 v[14:15], v[12:13], v[72:73]
	s_delay_alu instid0(VALU_DEP_2) | instskip(NEXT) | instid1(VALU_DEP_2)
	v_fma_f64 v[12:13], v[70:71], v[12:13], -v[16:17]
	v_fmac_f64_e32 v[14:15], v[70:71], v[2:3]
	ds_store_b128 v1, v[12:15] offset:11632
.LBB190_326:                            ;   in Loop: Header=BB190_3 Depth=1
	s_or_b32 exec_lo, exec_lo, s0
	v_mov_b64_e32 v[14:15], 0
	v_mov_b64_e32 v[12:13], 0
	s_wait_dscnt 0x0
	s_barrier_signal -1
	s_barrier_wait -1
	s_and_saveexec_b32 s0, s9
	s_cbranch_execz .LBB190_340
; %bb.327:                              ;   in Loop: Header=BB190_3 Depth=1
	ds_load_b128 v[12:15], v52 offset:8448
	ds_load_b128 v[16:19], v55 offset:8576
	s_wait_dscnt 0x0
	v_mul_f64_e32 v[2:3], v[14:15], v[18:19]
	v_mul_f64_e32 v[18:19], v[12:13], v[18:19]
	s_delay_alu instid0(VALU_DEP_2) | instskip(NEXT) | instid1(VALU_DEP_2)
	v_fma_f64 v[2:3], v[12:13], v[16:17], -v[2:3]
	v_fmac_f64_e32 v[18:19], v[14:15], v[16:17]
	s_delay_alu instid0(VALU_DEP_2) | instskip(NEXT) | instid1(VALU_DEP_2)
	v_add_f64_e32 v[12:13], 0, v[2:3]
	v_add_f64_e32 v[14:15], 0, v[18:19]
	s_mov_b32 s1, exec_lo
	v_readlane_b32 s23, v78, 0
	s_and_b32 s23, s1, s23
	s_delay_alu instid0(SALU_CYCLE_1)
	s_mov_b32 exec_lo, s23
	s_cbranch_execz .LBB190_329
; %bb.328:                              ;   in Loop: Header=BB190_3 Depth=1
	ds_load_b128 v[16:19], v52 offset:8464
	ds_load_b128 v[70:73], v56 offset:9088
	s_wait_dscnt 0x0
	v_mul_f64_e32 v[2:3], v[18:19], v[72:73]
	v_mul_f64_e32 v[72:73], v[16:17], v[72:73]
	s_delay_alu instid0(VALU_DEP_2) | instskip(NEXT) | instid1(VALU_DEP_2)
	v_fma_f64 v[2:3], v[16:17], v[70:71], -v[2:3]
	v_fmac_f64_e32 v[72:73], v[18:19], v[70:71]
	s_delay_alu instid0(VALU_DEP_2) | instskip(NEXT) | instid1(VALU_DEP_2)
	v_add_f64_e32 v[12:13], v[12:13], v[2:3]
	v_add_f64_e32 v[14:15], v[14:15], v[72:73]
.LBB190_329:                            ;   in Loop: Header=BB190_3 Depth=1
	s_or_b32 exec_lo, exec_lo, s1
	s_and_saveexec_b32 s1, s11
	s_cbranch_execz .LBB190_331
; %bb.330:                              ;   in Loop: Header=BB190_3 Depth=1
	ds_load_b128 v[16:19], v52 offset:8480
	ds_load_b128 v[70:73], v56 offset:9600
	s_wait_dscnt 0x0
	v_mul_f64_e32 v[2:3], v[18:19], v[72:73]
	v_mul_f64_e32 v[72:73], v[16:17], v[72:73]
	s_delay_alu instid0(VALU_DEP_2) | instskip(NEXT) | instid1(VALU_DEP_2)
	v_fma_f64 v[2:3], v[16:17], v[70:71], -v[2:3]
	v_fmac_f64_e32 v[72:73], v[18:19], v[70:71]
	s_delay_alu instid0(VALU_DEP_2) | instskip(NEXT) | instid1(VALU_DEP_2)
	v_add_f64_e32 v[12:13], v[12:13], v[2:3]
	v_add_f64_e32 v[14:15], v[14:15], v[72:73]
.LBB190_331:                            ;   in Loop: Header=BB190_3 Depth=1
	s_or_b32 exec_lo, exec_lo, s1
	s_delay_alu instid0(SALU_CYCLE_1) | instskip(SKIP_2) | instid1(SALU_CYCLE_1)
	s_mov_b32 s1, exec_lo
	v_readlane_b32 s23, v78, 1
	s_and_b32 s23, s1, s23
	s_mov_b32 exec_lo, s23
	s_cbranch_execz .LBB190_333
; %bb.332:                              ;   in Loop: Header=BB190_3 Depth=1
	ds_load_b128 v[16:19], v52 offset:8496
	ds_load_b128 v[70:73], v56 offset:10112
	s_wait_dscnt 0x0
	v_mul_f64_e32 v[2:3], v[18:19], v[72:73]
	v_mul_f64_e32 v[72:73], v[16:17], v[72:73]
	s_delay_alu instid0(VALU_DEP_2) | instskip(NEXT) | instid1(VALU_DEP_2)
	v_fma_f64 v[2:3], v[16:17], v[70:71], -v[2:3]
	v_fmac_f64_e32 v[72:73], v[18:19], v[70:71]
	s_delay_alu instid0(VALU_DEP_2) | instskip(NEXT) | instid1(VALU_DEP_2)
	v_add_f64_e32 v[12:13], v[12:13], v[2:3]
	v_add_f64_e32 v[14:15], v[14:15], v[72:73]
.LBB190_333:                            ;   in Loop: Header=BB190_3 Depth=1
	s_or_b32 exec_lo, exec_lo, s1
	s_and_saveexec_b32 s1, s13
	s_cbranch_execz .LBB190_335
; %bb.334:                              ;   in Loop: Header=BB190_3 Depth=1
	ds_load_b128 v[16:19], v52 offset:8512
	ds_load_b128 v[70:73], v55 offset:10624
	s_wait_dscnt 0x0
	v_mul_f64_e32 v[2:3], v[18:19], v[72:73]
	v_mul_f64_e32 v[72:73], v[16:17], v[72:73]
	s_delay_alu instid0(VALU_DEP_2) | instskip(NEXT) | instid1(VALU_DEP_2)
	v_fma_f64 v[2:3], v[16:17], v[70:71], -v[2:3]
	v_fmac_f64_e32 v[72:73], v[18:19], v[70:71]
	s_delay_alu instid0(VALU_DEP_2) | instskip(NEXT) | instid1(VALU_DEP_2)
	v_add_f64_e32 v[12:13], v[12:13], v[2:3]
	v_add_f64_e32 v[14:15], v[14:15], v[72:73]
.LBB190_335:                            ;   in Loop: Header=BB190_3 Depth=1
	s_or_b32 exec_lo, exec_lo, s1
	s_delay_alu instid0(SALU_CYCLE_1) | instskip(SKIP_2) | instid1(SALU_CYCLE_1)
	s_mov_b32 s1, exec_lo
	v_readlane_b32 s23, v78, 2
	s_and_b32 s23, s1, s23
	s_mov_b32 exec_lo, s23
	s_cbranch_execnz .LBB190_540
; %bb.336:                              ;   in Loop: Header=BB190_3 Depth=1
	s_or_b32 exec_lo, exec_lo, s1
	s_and_saveexec_b32 s1, s6
	s_cbranch_execnz .LBB190_541
.LBB190_337:                            ;   in Loop: Header=BB190_3 Depth=1
	s_or_b32 exec_lo, exec_lo, s1
	s_and_saveexec_b32 s1, s8
	s_cbranch_execz .LBB190_339
.LBB190_338:                            ;   in Loop: Header=BB190_3 Depth=1
	ds_load_b128 v[16:19], v1 offset:8560
	ds_load_b128 v[70:73], v46 offset:12160
	s_wait_dscnt 0x0
	v_mul_f64_e32 v[2:3], v[18:19], v[72:73]
	v_mul_f64_e32 v[72:73], v[16:17], v[72:73]
	s_delay_alu instid0(VALU_DEP_2) | instskip(NEXT) | instid1(VALU_DEP_2)
	v_fma_f64 v[2:3], v[16:17], v[70:71], -v[2:3]
	v_fmac_f64_e32 v[72:73], v[18:19], v[70:71]
	s_delay_alu instid0(VALU_DEP_2) | instskip(NEXT) | instid1(VALU_DEP_2)
	v_add_f64_e32 v[12:13], v[12:13], v[2:3]
	v_add_f64_e32 v[14:15], v[14:15], v[72:73]
.LBB190_339:                            ;   in Loop: Header=BB190_3 Depth=1
	s_or_b32 exec_lo, exec_lo, s1
	s_delay_alu instid0(VALU_DEP_2) | instskip(NEXT) | instid1(VALU_DEP_2)
	v_xor_b32_e32 v13, 0x80000000, v13
	v_xor_b32_e32 v15, 0x80000000, v15
.LBB190_340:                            ;   in Loop: Header=BB190_3 Depth=1
	s_or_b32 exec_lo, exec_lo, s0
	s_and_saveexec_b32 s0, s77
	s_cbranch_execz .LBB190_342
; %bb.341:                              ;   in Loop: Header=BB190_3 Depth=1
	ds_load_b128 v[16:19], v1 offset:12672
	s_wait_dscnt 0x0
	v_mul_f64_e32 v[2:3], v[14:15], v[18:19]
	v_mul_f64_e32 v[72:73], v[12:13], v[18:19]
	s_delay_alu instid0(VALU_DEP_2) | instskip(NEXT) | instid1(VALU_DEP_2)
	v_fma_f64 v[70:71], v[12:13], v[16:17], -v[2:3]
	v_fmac_f64_e32 v[72:73], v[14:15], v[16:17]
	s_delay_alu instid0(VALU_DEP_2) | instskip(NEXT) | instid1(VALU_DEP_2)
	v_mov_b64_e32 v[12:13], v[70:71]
	v_mov_b64_e32 v[14:15], v[72:73]
	ds_store_b128 v54, v[70:73]
.LBB190_342:                            ;   in Loop: Header=BB190_3 Depth=1
	s_or_b32 exec_lo, exec_lo, s0
	s_wait_dscnt 0x0
	s_barrier_signal -1
	s_barrier_wait -1
	s_and_saveexec_b32 s0, s78
	s_cbranch_execz .LBB190_344
; %bb.343:                              ;   in Loop: Header=BB190_3 Depth=1
	ds_load_b128 v[16:19], v54
	ds_load_b128 v[70:73], v53 offset:12672
	s_wait_dscnt 0x0
	v_mul_f64_e32 v[2:3], v[18:19], v[72:73]
	v_mul_f64_e32 v[72:73], v[16:17], v[72:73]
	s_delay_alu instid0(VALU_DEP_2) | instskip(NEXT) | instid1(VALU_DEP_2)
	v_fma_f64 v[2:3], v[16:17], v[70:71], -v[2:3]
	v_fmac_f64_e32 v[72:73], v[18:19], v[70:71]
	s_delay_alu instid0(VALU_DEP_2) | instskip(NEXT) | instid1(VALU_DEP_2)
	v_add_f64_e32 v[12:13], v[12:13], v[2:3]
	v_add_f64_e32 v[14:15], v[14:15], v[72:73]
.LBB190_344:                            ;   in Loop: Header=BB190_3 Depth=1
	s_or_b32 exec_lo, exec_lo, s0
	s_barrier_signal -1
	s_barrier_wait -1
	s_and_saveexec_b32 s0, s79
	s_cbranch_execz .LBB190_346
; %bb.345:                              ;   in Loop: Header=BB190_3 Depth=1
	ds_load_b128 v[16:19], v1 offset:13200
	s_wait_dscnt 0x0
	v_mul_f64_e32 v[2:3], v[14:15], v[18:19]
	v_mul_f64_e32 v[72:73], v[12:13], v[18:19]
	s_delay_alu instid0(VALU_DEP_2) | instskip(NEXT) | instid1(VALU_DEP_2)
	v_fma_f64 v[70:71], v[12:13], v[16:17], -v[2:3]
	v_fmac_f64_e32 v[72:73], v[14:15], v[16:17]
	s_delay_alu instid0(VALU_DEP_2) | instskip(NEXT) | instid1(VALU_DEP_2)
	v_mov_b64_e32 v[12:13], v[70:71]
	v_mov_b64_e32 v[14:15], v[72:73]
	ds_store_b128 v54, v[70:73]
.LBB190_346:                            ;   in Loop: Header=BB190_3 Depth=1
	s_or_b32 exec_lo, exec_lo, s0
	s_wait_dscnt 0x0
	s_barrier_signal -1
	s_barrier_wait -1
	s_and_saveexec_b32 s0, s80
	s_cbranch_execz .LBB190_348
; %bb.347:                              ;   in Loop: Header=BB190_3 Depth=1
	ds_load_b128 v[16:19], v54
	ds_load_b128 v[70:73], v53 offset:13184
	s_wait_dscnt 0x0
	v_mul_f64_e32 v[2:3], v[18:19], v[72:73]
	v_mul_f64_e32 v[72:73], v[16:17], v[72:73]
	s_delay_alu instid0(VALU_DEP_2) | instskip(NEXT) | instid1(VALU_DEP_2)
	v_fma_f64 v[2:3], v[16:17], v[70:71], -v[2:3]
	v_fmac_f64_e32 v[72:73], v[18:19], v[70:71]
	s_delay_alu instid0(VALU_DEP_2) | instskip(NEXT) | instid1(VALU_DEP_2)
	v_add_f64_e32 v[12:13], v[12:13], v[2:3]
	v_add_f64_e32 v[14:15], v[14:15], v[72:73]
.LBB190_348:                            ;   in Loop: Header=BB190_3 Depth=1
	s_or_b32 exec_lo, exec_lo, s0
	s_barrier_signal -1
	s_barrier_wait -1
	;; [unrolled: 37-line block ×7, first 2 shown]
	s_and_saveexec_b32 s0, s90
	s_cbranch_execz .LBB190_370
; %bb.369:                              ;   in Loop: Header=BB190_3 Depth=1
	ds_load_b128 v[16:19], v1 offset:16368
	s_wait_dscnt 0x0
	v_mul_f64_e32 v[2:3], v[14:15], v[18:19]
	v_mul_f64_e32 v[72:73], v[12:13], v[18:19]
	s_delay_alu instid0(VALU_DEP_2) | instskip(NEXT) | instid1(VALU_DEP_2)
	v_fma_f64 v[70:71], v[12:13], v[16:17], -v[2:3]
	v_fmac_f64_e32 v[72:73], v[14:15], v[16:17]
	s_delay_alu instid0(VALU_DEP_2) | instskip(NEXT) | instid1(VALU_DEP_2)
	v_mov_b64_e32 v[12:13], v[70:71]
	v_mov_b64_e32 v[14:15], v[72:73]
	ds_store_b128 v54, v[70:73]
.LBB190_370:                            ;   in Loop: Header=BB190_3 Depth=1
	s_or_b32 exec_lo, exec_lo, s0
	s_wait_dscnt 0x0
	s_barrier_signal -1
	s_barrier_wait -1
	s_barrier_signal -1
	s_barrier_wait -1
	s_and_saveexec_b32 s0, s9
; %bb.371:                              ;   in Loop: Header=BB190_3 Depth=1
	s_delay_alu instid0(VALU_DEP_2) | instskip(NEXT) | instid1(VALU_DEP_2)
	v_xor_b32_e32 v13, 0x80000000, v13
	v_xor_b32_e32 v15, 0x80000000, v15
	ds_store_b128 v55, v[12:15] offset:8576
; %bb.372:                              ;   in Loop: Header=BB190_3 Depth=1
	s_or_b32 exec_lo, exec_lo, s0
	s_wait_dscnt 0x0
	s_barrier_signal -1
	s_barrier_wait -1
	s_barrier_signal -1
	s_barrier_wait -1
	s_and_saveexec_b32 s0, s3
	s_cbranch_execz .LBB190_374
; %bb.373:                              ;   in Loop: Header=BB190_3 Depth=1
	ds_load_b128 v[12:15], v1 offset:13200
	ds_load_b128 v[16:19], v1 offset:12672
	;; [unrolled: 1-line block ×3, first 2 shown]
	s_wait_dscnt 0x1
	v_mul_f64_e32 v[2:3], v[12:13], v[18:19]
	v_mul_f64_e32 v[18:19], v[14:15], v[18:19]
	s_delay_alu instid0(VALU_DEP_2) | instskip(NEXT) | instid1(VALU_DEP_2)
	v_fmac_f64_e32 v[2:3], v[14:15], v[16:17]
	v_fma_f64 v[12:13], v[12:13], v[16:17], -v[18:19]
	s_wait_dscnt 0x0
	s_delay_alu instid0(VALU_DEP_2) | instskip(NEXT) | instid1(VALU_DEP_2)
	v_mul_f64_e32 v[16:17], v[2:3], v[72:73]
	v_mul_f64_e32 v[14:15], v[12:13], v[72:73]
	s_delay_alu instid0(VALU_DEP_2) | instskip(NEXT) | instid1(VALU_DEP_2)
	v_fma_f64 v[12:13], v[70:71], v[12:13], -v[16:17]
	v_fmac_f64_e32 v[14:15], v[70:71], v[2:3]
	ds_store_b128 v1, v[12:15] offset:12688
.LBB190_374:                            ;   in Loop: Header=BB190_3 Depth=1
	s_or_b32 exec_lo, exec_lo, s0
	v_mov_b64_e32 v[14:15], 0
	v_mov_b64_e32 v[12:13], 0
	s_wait_dscnt 0x0
	s_barrier_signal -1
	s_barrier_wait -1
	s_and_saveexec_b32 s0, s4
	s_cbranch_execz .LBB190_378
; %bb.375:                              ;   in Loop: Header=BB190_3 Depth=1
	ds_load_b128 v[12:15], v45 offset:12672
	ds_load_b128 v[16:19], v44 offset:12704
	s_wait_dscnt 0x0
	v_mul_f64_e32 v[2:3], v[14:15], v[18:19]
	v_mul_f64_e32 v[18:19], v[12:13], v[18:19]
	s_delay_alu instid0(VALU_DEP_2) | instskip(NEXT) | instid1(VALU_DEP_2)
	v_fma_f64 v[2:3], v[12:13], v[16:17], -v[2:3]
	v_fmac_f64_e32 v[18:19], v[14:15], v[16:17]
	s_delay_alu instid0(VALU_DEP_2) | instskip(NEXT) | instid1(VALU_DEP_2)
	v_add_f64_e32 v[12:13], 0, v[2:3]
	v_add_f64_e32 v[14:15], 0, v[18:19]
	s_and_saveexec_b32 s1, s5
	s_cbranch_execz .LBB190_377
; %bb.376:                              ;   in Loop: Header=BB190_3 Depth=1
	ds_load_b128 v[16:19], v1 offset:12688
	ds_load_b128 v[70:73], v46 offset:13216
	s_wait_dscnt 0x0
	v_mul_f64_e32 v[2:3], v[18:19], v[72:73]
	v_mul_f64_e32 v[72:73], v[16:17], v[72:73]
	s_delay_alu instid0(VALU_DEP_2) | instskip(NEXT) | instid1(VALU_DEP_2)
	v_fma_f64 v[2:3], v[16:17], v[70:71], -v[2:3]
	v_fmac_f64_e32 v[72:73], v[18:19], v[70:71]
	s_delay_alu instid0(VALU_DEP_2) | instskip(NEXT) | instid1(VALU_DEP_2)
	v_add_f64_e32 v[12:13], v[12:13], v[2:3]
	v_add_f64_e32 v[14:15], v[14:15], v[72:73]
.LBB190_377:                            ;   in Loop: Header=BB190_3 Depth=1
	s_or_b32 exec_lo, exec_lo, s1
	s_delay_alu instid0(VALU_DEP_2) | instskip(NEXT) | instid1(VALU_DEP_2)
	v_xor_b32_e32 v13, 0x80000000, v13
	v_xor_b32_e32 v15, 0x80000000, v15
.LBB190_378:                            ;   in Loop: Header=BB190_3 Depth=1
	s_or_b32 exec_lo, exec_lo, s0
	s_and_saveexec_b32 s0, s69
	s_cbranch_execz .LBB190_380
; %bb.379:                              ;   in Loop: Header=BB190_3 Depth=1
	ds_load_b128 v[16:19], v1 offset:13728
	s_wait_dscnt 0x0
	v_mul_f64_e32 v[2:3], v[14:15], v[18:19]
	v_mul_f64_e32 v[72:73], v[12:13], v[18:19]
	s_delay_alu instid0(VALU_DEP_2) | instskip(NEXT) | instid1(VALU_DEP_2)
	v_fma_f64 v[70:71], v[12:13], v[16:17], -v[2:3]
	v_fmac_f64_e32 v[72:73], v[14:15], v[16:17]
	s_delay_alu instid0(VALU_DEP_2) | instskip(NEXT) | instid1(VALU_DEP_2)
	v_mov_b64_e32 v[12:13], v[70:71]
	v_mov_b64_e32 v[14:15], v[72:73]
	ds_store_b128 v21, v[70:73]
.LBB190_380:                            ;   in Loop: Header=BB190_3 Depth=1
	s_or_b32 exec_lo, exec_lo, s0
	s_wait_dscnt 0x0
	s_barrier_signal -1
	s_barrier_wait -1
	s_and_saveexec_b32 s0, s70
	s_cbranch_execz .LBB190_382
; %bb.381:                              ;   in Loop: Header=BB190_3 Depth=1
	ds_load_b128 v[16:19], v21
	ds_load_b128 v[70:73], v1 offset:13744
	s_wait_dscnt 0x0
	v_mul_f64_e32 v[2:3], v[18:19], v[72:73]
	v_mul_f64_e32 v[72:73], v[16:17], v[72:73]
	s_delay_alu instid0(VALU_DEP_2) | instskip(NEXT) | instid1(VALU_DEP_2)
	v_fma_f64 v[2:3], v[16:17], v[70:71], -v[2:3]
	v_fmac_f64_e32 v[72:73], v[18:19], v[70:71]
	s_delay_alu instid0(VALU_DEP_2) | instskip(NEXT) | instid1(VALU_DEP_2)
	v_add_f64_e32 v[12:13], v[12:13], v[2:3]
	v_add_f64_e32 v[14:15], v[14:15], v[72:73]
.LBB190_382:                            ;   in Loop: Header=BB190_3 Depth=1
	s_or_b32 exec_lo, exec_lo, s0
	s_barrier_signal -1
	s_barrier_wait -1
	s_and_saveexec_b32 s0, s70
	s_cbranch_execz .LBB190_384
; %bb.383:                              ;   in Loop: Header=BB190_3 Depth=1
	ds_load_b128 v[16:19], v1 offset:14256
	s_wait_dscnt 0x0
	v_mul_f64_e32 v[2:3], v[14:15], v[18:19]
	v_mul_f64_e32 v[72:73], v[12:13], v[18:19]
	s_delay_alu instid0(VALU_DEP_2) | instskip(NEXT) | instid1(VALU_DEP_2)
	v_fma_f64 v[70:71], v[12:13], v[16:17], -v[2:3]
	v_fmac_f64_e32 v[72:73], v[14:15], v[16:17]
	s_delay_alu instid0(VALU_DEP_2) | instskip(NEXT) | instid1(VALU_DEP_2)
	v_mov_b64_e32 v[12:13], v[70:71]
	v_mov_b64_e32 v[14:15], v[72:73]
	ds_store_b128 v21, v[70:73]
.LBB190_384:                            ;   in Loop: Header=BB190_3 Depth=1
	s_or_b32 exec_lo, exec_lo, s0
	s_wait_dscnt 0x0
	s_barrier_signal -1
	s_barrier_wait -1
	s_barrier_signal -1
	s_barrier_wait -1
	s_and_saveexec_b32 s0, s4
; %bb.385:                              ;   in Loop: Header=BB190_3 Depth=1
	s_delay_alu instid0(VALU_DEP_2) | instskip(NEXT) | instid1(VALU_DEP_2)
	v_xor_b32_e32 v13, 0x80000000, v13
	v_xor_b32_e32 v15, 0x80000000, v15
	ds_store_b128 v44, v[12:15] offset:12704
; %bb.386:                              ;   in Loop: Header=BB190_3 Depth=1
	s_or_b32 exec_lo, exec_lo, s0
	s_wait_dscnt 0x0
	s_barrier_signal -1
	s_barrier_wait -1
	s_barrier_signal -1
	s_barrier_wait -1
	s_and_saveexec_b32 s0, s3
	s_cbranch_execz .LBB190_388
; %bb.387:                              ;   in Loop: Header=BB190_3 Depth=1
	ds_load_b128 v[12:15], v1 offset:14256
	ds_load_b128 v[16:19], v1 offset:13728
	;; [unrolled: 1-line block ×3, first 2 shown]
	s_wait_dscnt 0x1
	v_mul_f64_e32 v[2:3], v[12:13], v[18:19]
	v_mul_f64_e32 v[18:19], v[14:15], v[18:19]
	s_delay_alu instid0(VALU_DEP_2) | instskip(NEXT) | instid1(VALU_DEP_2)
	v_fmac_f64_e32 v[2:3], v[14:15], v[16:17]
	v_fma_f64 v[12:13], v[12:13], v[16:17], -v[18:19]
	s_wait_dscnt 0x0
	s_delay_alu instid0(VALU_DEP_2) | instskip(NEXT) | instid1(VALU_DEP_2)
	v_mul_f64_e32 v[16:17], v[2:3], v[72:73]
	v_mul_f64_e32 v[14:15], v[12:13], v[72:73]
	s_delay_alu instid0(VALU_DEP_2) | instskip(NEXT) | instid1(VALU_DEP_2)
	v_fma_f64 v[12:13], v[70:71], v[12:13], -v[16:17]
	v_fmac_f64_e32 v[14:15], v[70:71], v[2:3]
	ds_store_b128 v1, v[12:15] offset:13744
.LBB190_388:                            ;   in Loop: Header=BB190_3 Depth=1
	s_or_b32 exec_lo, exec_lo, s0
	v_mov_b64_e32 v[14:15], 0
	v_mov_b64_e32 v[12:13], 0
	s_wait_dscnt 0x0
	s_barrier_signal -1
	s_barrier_wait -1
	s_and_saveexec_b32 s0, s6
	s_cbranch_execz .LBB190_394
; %bb.389:                              ;   in Loop: Header=BB190_3 Depth=1
	ds_load_b128 v[12:15], v48 offset:12672
	ds_load_b128 v[16:19], v50 offset:12736
	s_wait_dscnt 0x0
	v_mul_f64_e32 v[2:3], v[14:15], v[18:19]
	v_mul_f64_e32 v[18:19], v[12:13], v[18:19]
	s_delay_alu instid0(VALU_DEP_2) | instskip(NEXT) | instid1(VALU_DEP_2)
	v_fma_f64 v[2:3], v[12:13], v[16:17], -v[2:3]
	v_fmac_f64_e32 v[18:19], v[14:15], v[16:17]
	s_delay_alu instid0(VALU_DEP_2) | instskip(NEXT) | instid1(VALU_DEP_2)
	v_add_f64_e32 v[12:13], 0, v[2:3]
	v_add_f64_e32 v[14:15], 0, v[18:19]
	s_and_saveexec_b32 s1, s7
	s_cbranch_execnz .LBB190_542
; %bb.390:                              ;   in Loop: Header=BB190_3 Depth=1
	s_or_b32 exec_lo, exec_lo, s1
	s_and_saveexec_b32 s1, s8
	s_cbranch_execnz .LBB190_543
.LBB190_391:                            ;   in Loop: Header=BB190_3 Depth=1
	s_or_b32 exec_lo, exec_lo, s1
	s_and_saveexec_b32 s1, s4
	s_cbranch_execz .LBB190_393
.LBB190_392:                            ;   in Loop: Header=BB190_3 Depth=1
	ds_load_b128 v[16:19], v1 offset:12720
	ds_load_b128 v[70:73], v46 offset:14272
	s_wait_dscnt 0x0
	v_mul_f64_e32 v[2:3], v[18:19], v[72:73]
	v_mul_f64_e32 v[72:73], v[16:17], v[72:73]
	s_delay_alu instid0(VALU_DEP_2) | instskip(NEXT) | instid1(VALU_DEP_2)
	v_fma_f64 v[2:3], v[16:17], v[70:71], -v[2:3]
	v_fmac_f64_e32 v[72:73], v[18:19], v[70:71]
	s_delay_alu instid0(VALU_DEP_2) | instskip(NEXT) | instid1(VALU_DEP_2)
	v_add_f64_e32 v[12:13], v[12:13], v[2:3]
	v_add_f64_e32 v[14:15], v[14:15], v[72:73]
.LBB190_393:                            ;   in Loop: Header=BB190_3 Depth=1
	s_or_b32 exec_lo, exec_lo, s1
	s_delay_alu instid0(VALU_DEP_2) | instskip(NEXT) | instid1(VALU_DEP_2)
	v_xor_b32_e32 v13, 0x80000000, v13
	v_xor_b32_e32 v15, 0x80000000, v15
.LBB190_394:                            ;   in Loop: Header=BB190_3 Depth=1
	s_or_b32 exec_lo, exec_lo, s0
	s_and_saveexec_b32 s0, s71
	s_cbranch_execz .LBB190_396
; %bb.395:                              ;   in Loop: Header=BB190_3 Depth=1
	ds_load_b128 v[16:19], v1 offset:14784
	s_wait_dscnt 0x0
	v_mul_f64_e32 v[2:3], v[14:15], v[18:19]
	v_mul_f64_e32 v[72:73], v[12:13], v[18:19]
	s_delay_alu instid0(VALU_DEP_2) | instskip(NEXT) | instid1(VALU_DEP_2)
	v_fma_f64 v[70:71], v[12:13], v[16:17], -v[2:3]
	v_fmac_f64_e32 v[72:73], v[14:15], v[16:17]
	s_delay_alu instid0(VALU_DEP_2) | instskip(NEXT) | instid1(VALU_DEP_2)
	v_mov_b64_e32 v[12:13], v[70:71]
	v_mov_b64_e32 v[14:15], v[72:73]
	ds_store_b128 v49, v[70:73]
.LBB190_396:                            ;   in Loop: Header=BB190_3 Depth=1
	s_or_b32 exec_lo, exec_lo, s0
	s_wait_dscnt 0x0
	s_barrier_signal -1
	s_barrier_wait -1
	s_and_saveexec_b32 s0, s72
	s_cbranch_execz .LBB190_398
; %bb.397:                              ;   in Loop: Header=BB190_3 Depth=1
	ds_load_b128 v[16:19], v49
	ds_load_b128 v[70:73], v47 offset:14784
	s_wait_dscnt 0x0
	v_mul_f64_e32 v[2:3], v[18:19], v[72:73]
	v_mul_f64_e32 v[72:73], v[16:17], v[72:73]
	s_delay_alu instid0(VALU_DEP_2) | instskip(NEXT) | instid1(VALU_DEP_2)
	v_fma_f64 v[2:3], v[16:17], v[70:71], -v[2:3]
	v_fmac_f64_e32 v[72:73], v[18:19], v[70:71]
	s_delay_alu instid0(VALU_DEP_2) | instskip(NEXT) | instid1(VALU_DEP_2)
	v_add_f64_e32 v[12:13], v[12:13], v[2:3]
	v_add_f64_e32 v[14:15], v[14:15], v[72:73]
.LBB190_398:                            ;   in Loop: Header=BB190_3 Depth=1
	s_or_b32 exec_lo, exec_lo, s0
	s_barrier_signal -1
	s_barrier_wait -1
	s_and_saveexec_b32 s0, s73
	s_cbranch_execz .LBB190_400
; %bb.399:                              ;   in Loop: Header=BB190_3 Depth=1
	ds_load_b128 v[16:19], v1 offset:15312
	s_wait_dscnt 0x0
	v_mul_f64_e32 v[2:3], v[14:15], v[18:19]
	v_mul_f64_e32 v[72:73], v[12:13], v[18:19]
	s_delay_alu instid0(VALU_DEP_2) | instskip(NEXT) | instid1(VALU_DEP_2)
	v_fma_f64 v[70:71], v[12:13], v[16:17], -v[2:3]
	v_fmac_f64_e32 v[72:73], v[14:15], v[16:17]
	s_delay_alu instid0(VALU_DEP_2) | instskip(NEXT) | instid1(VALU_DEP_2)
	v_mov_b64_e32 v[12:13], v[70:71]
	v_mov_b64_e32 v[14:15], v[72:73]
	ds_store_b128 v49, v[70:73]
.LBB190_400:                            ;   in Loop: Header=BB190_3 Depth=1
	s_or_b32 exec_lo, exec_lo, s0
	s_wait_dscnt 0x0
	s_barrier_signal -1
	s_barrier_wait -1
	s_and_saveexec_b32 s0, s74
	s_cbranch_execz .LBB190_402
; %bb.401:                              ;   in Loop: Header=BB190_3 Depth=1
	ds_load_b128 v[16:19], v49
	ds_load_b128 v[70:73], v47 offset:15296
	s_wait_dscnt 0x0
	v_mul_f64_e32 v[2:3], v[18:19], v[72:73]
	v_mul_f64_e32 v[72:73], v[16:17], v[72:73]
	s_delay_alu instid0(VALU_DEP_2) | instskip(NEXT) | instid1(VALU_DEP_2)
	v_fma_f64 v[2:3], v[16:17], v[70:71], -v[2:3]
	v_fmac_f64_e32 v[72:73], v[18:19], v[70:71]
	s_delay_alu instid0(VALU_DEP_2) | instskip(NEXT) | instid1(VALU_DEP_2)
	v_add_f64_e32 v[12:13], v[12:13], v[2:3]
	v_add_f64_e32 v[14:15], v[14:15], v[72:73]
.LBB190_402:                            ;   in Loop: Header=BB190_3 Depth=1
	s_or_b32 exec_lo, exec_lo, s0
	s_barrier_signal -1
	s_barrier_wait -1
	;; [unrolled: 37-line block ×3, first 2 shown]
	s_and_saveexec_b32 s0, s76
	s_cbranch_execz .LBB190_408
; %bb.407:                              ;   in Loop: Header=BB190_3 Depth=1
	ds_load_b128 v[16:19], v1 offset:16368
	s_wait_dscnt 0x0
	v_mul_f64_e32 v[2:3], v[14:15], v[18:19]
	v_mul_f64_e32 v[72:73], v[12:13], v[18:19]
	s_delay_alu instid0(VALU_DEP_2) | instskip(NEXT) | instid1(VALU_DEP_2)
	v_fma_f64 v[70:71], v[12:13], v[16:17], -v[2:3]
	v_fmac_f64_e32 v[72:73], v[14:15], v[16:17]
	s_delay_alu instid0(VALU_DEP_2) | instskip(NEXT) | instid1(VALU_DEP_2)
	v_mov_b64_e32 v[12:13], v[70:71]
	v_mov_b64_e32 v[14:15], v[72:73]
	ds_store_b128 v49, v[70:73]
.LBB190_408:                            ;   in Loop: Header=BB190_3 Depth=1
	s_or_b32 exec_lo, exec_lo, s0
	s_wait_dscnt 0x0
	s_barrier_signal -1
	s_barrier_wait -1
	s_barrier_signal -1
	s_barrier_wait -1
	s_and_saveexec_b32 s0, s6
; %bb.409:                              ;   in Loop: Header=BB190_3 Depth=1
	s_delay_alu instid0(VALU_DEP_1) | instskip(NEXT) | instid1(VALU_DEP_3)
	v_xor_b32_e32 v15, 0x80000000, v15
	v_xor_b32_e32 v13, 0x80000000, v13
	ds_store_b128 v50, v[12:15] offset:12736
; %bb.410:                              ;   in Loop: Header=BB190_3 Depth=1
	s_or_b32 exec_lo, exec_lo, s0
	s_wait_dscnt 0x0
	s_barrier_signal -1
	s_barrier_wait -1
	s_barrier_signal -1
	s_barrier_wait -1
	s_and_saveexec_b32 s0, s3
	s_cbranch_execz .LBB190_412
; %bb.411:                              ;   in Loop: Header=BB190_3 Depth=1
	ds_load_b128 v[12:15], v1 offset:15312
	ds_load_b128 v[16:19], v1 offset:14784
	;; [unrolled: 1-line block ×3, first 2 shown]
	s_wait_dscnt 0x1
	v_mul_f64_e32 v[2:3], v[12:13], v[18:19]
	v_mul_f64_e32 v[18:19], v[14:15], v[18:19]
	s_delay_alu instid0(VALU_DEP_2) | instskip(NEXT) | instid1(VALU_DEP_2)
	v_fmac_f64_e32 v[2:3], v[14:15], v[16:17]
	v_fma_f64 v[12:13], v[12:13], v[16:17], -v[18:19]
	s_wait_dscnt 0x0
	s_delay_alu instid0(VALU_DEP_2) | instskip(NEXT) | instid1(VALU_DEP_2)
	v_mul_f64_e32 v[16:17], v[2:3], v[72:73]
	v_mul_f64_e32 v[14:15], v[12:13], v[72:73]
	s_delay_alu instid0(VALU_DEP_2) | instskip(NEXT) | instid1(VALU_DEP_2)
	v_fma_f64 v[12:13], v[70:71], v[12:13], -v[16:17]
	v_fmac_f64_e32 v[14:15], v[70:71], v[2:3]
	ds_store_b128 v1, v[12:15] offset:14800
.LBB190_412:                            ;   in Loop: Header=BB190_3 Depth=1
	s_or_b32 exec_lo, exec_lo, s0
	v_mov_b64_e32 v[14:15], 0
	v_mov_b64_e32 v[12:13], 0
	s_wait_dscnt 0x0
	s_barrier_signal -1
	s_barrier_wait -1
	s_and_saveexec_b32 s0, s4
	s_cbranch_execz .LBB190_416
; %bb.413:                              ;   in Loop: Header=BB190_3 Depth=1
	ds_load_b128 v[12:15], v45 offset:14784
	ds_load_b128 v[16:19], v44 offset:14816
	s_wait_dscnt 0x0
	v_mul_f64_e32 v[2:3], v[14:15], v[18:19]
	v_mul_f64_e32 v[18:19], v[12:13], v[18:19]
	s_delay_alu instid0(VALU_DEP_2) | instskip(NEXT) | instid1(VALU_DEP_2)
	v_fma_f64 v[2:3], v[12:13], v[16:17], -v[2:3]
	v_fmac_f64_e32 v[18:19], v[14:15], v[16:17]
	s_delay_alu instid0(VALU_DEP_2) | instskip(NEXT) | instid1(VALU_DEP_2)
	v_add_f64_e32 v[12:13], 0, v[2:3]
	v_add_f64_e32 v[14:15], 0, v[18:19]
	s_and_saveexec_b32 s1, s5
	s_cbranch_execz .LBB190_415
; %bb.414:                              ;   in Loop: Header=BB190_3 Depth=1
	ds_load_b128 v[16:19], v1 offset:14800
	ds_load_b128 v[70:73], v46 offset:15328
	s_wait_dscnt 0x0
	v_mul_f64_e32 v[2:3], v[18:19], v[72:73]
	v_mul_f64_e32 v[72:73], v[16:17], v[72:73]
	s_delay_alu instid0(VALU_DEP_2) | instskip(NEXT) | instid1(VALU_DEP_2)
	v_fma_f64 v[2:3], v[16:17], v[70:71], -v[2:3]
	v_fmac_f64_e32 v[72:73], v[18:19], v[70:71]
	s_delay_alu instid0(VALU_DEP_2) | instskip(NEXT) | instid1(VALU_DEP_2)
	v_add_f64_e32 v[12:13], v[12:13], v[2:3]
	v_add_f64_e32 v[14:15], v[14:15], v[72:73]
.LBB190_415:                            ;   in Loop: Header=BB190_3 Depth=1
	s_or_b32 exec_lo, exec_lo, s1
	s_delay_alu instid0(VALU_DEP_2) | instskip(NEXT) | instid1(VALU_DEP_2)
	v_xor_b32_e32 v13, 0x80000000, v13
	v_xor_b32_e32 v15, 0x80000000, v15
.LBB190_416:                            ;   in Loop: Header=BB190_3 Depth=1
	s_or_b32 exec_lo, exec_lo, s0
	s_and_saveexec_b32 s0, s69
	s_cbranch_execz .LBB190_418
; %bb.417:                              ;   in Loop: Header=BB190_3 Depth=1
	ds_load_b128 v[16:19], v1 offset:15840
	s_wait_dscnt 0x0
	v_mul_f64_e32 v[2:3], v[14:15], v[18:19]
	v_mul_f64_e32 v[72:73], v[12:13], v[18:19]
	s_delay_alu instid0(VALU_DEP_2) | instskip(NEXT) | instid1(VALU_DEP_2)
	v_fma_f64 v[70:71], v[12:13], v[16:17], -v[2:3]
	v_fmac_f64_e32 v[72:73], v[14:15], v[16:17]
	s_delay_alu instid0(VALU_DEP_2) | instskip(NEXT) | instid1(VALU_DEP_2)
	v_mov_b64_e32 v[12:13], v[70:71]
	v_mov_b64_e32 v[14:15], v[72:73]
	ds_store_b128 v21, v[70:73]
.LBB190_418:                            ;   in Loop: Header=BB190_3 Depth=1
	s_or_b32 exec_lo, exec_lo, s0
	s_wait_dscnt 0x0
	s_barrier_signal -1
	s_barrier_wait -1
	s_and_saveexec_b32 s0, s70
	s_cbranch_execz .LBB190_420
; %bb.419:                              ;   in Loop: Header=BB190_3 Depth=1
	ds_load_b128 v[16:19], v21
	ds_load_b128 v[70:73], v1 offset:15856
	s_wait_dscnt 0x0
	v_mul_f64_e32 v[2:3], v[18:19], v[72:73]
	v_mul_f64_e32 v[72:73], v[16:17], v[72:73]
	s_delay_alu instid0(VALU_DEP_2) | instskip(NEXT) | instid1(VALU_DEP_2)
	v_fma_f64 v[2:3], v[16:17], v[70:71], -v[2:3]
	v_fmac_f64_e32 v[72:73], v[18:19], v[70:71]
	s_delay_alu instid0(VALU_DEP_2) | instskip(NEXT) | instid1(VALU_DEP_2)
	v_add_f64_e32 v[12:13], v[12:13], v[2:3]
	v_add_f64_e32 v[14:15], v[14:15], v[72:73]
.LBB190_420:                            ;   in Loop: Header=BB190_3 Depth=1
	s_or_b32 exec_lo, exec_lo, s0
	s_barrier_signal -1
	s_barrier_wait -1
	s_and_saveexec_b32 s0, s70
	s_cbranch_execz .LBB190_422
; %bb.421:                              ;   in Loop: Header=BB190_3 Depth=1
	ds_load_b128 v[16:19], v1 offset:16368
	s_wait_dscnt 0x0
	v_mul_f64_e32 v[2:3], v[14:15], v[18:19]
	v_mul_f64_e32 v[72:73], v[12:13], v[18:19]
	s_delay_alu instid0(VALU_DEP_2) | instskip(NEXT) | instid1(VALU_DEP_2)
	v_fma_f64 v[70:71], v[12:13], v[16:17], -v[2:3]
	v_fmac_f64_e32 v[72:73], v[14:15], v[16:17]
	s_delay_alu instid0(VALU_DEP_2) | instskip(NEXT) | instid1(VALU_DEP_2)
	v_mov_b64_e32 v[12:13], v[70:71]
	v_mov_b64_e32 v[14:15], v[72:73]
	ds_store_b128 v21, v[70:73]
.LBB190_422:                            ;   in Loop: Header=BB190_3 Depth=1
	s_or_b32 exec_lo, exec_lo, s0
	s_wait_dscnt 0x0
	s_barrier_signal -1
	s_barrier_wait -1
	s_barrier_signal -1
	s_barrier_wait -1
	s_and_saveexec_b32 s0, s4
; %bb.423:                              ;   in Loop: Header=BB190_3 Depth=1
	s_delay_alu instid0(VALU_DEP_2) | instskip(NEXT) | instid1(VALU_DEP_2)
	v_xor_b32_e32 v13, 0x80000000, v13
	v_xor_b32_e32 v15, 0x80000000, v15
	ds_store_b128 v44, v[12:15] offset:14816
; %bb.424:                              ;   in Loop: Header=BB190_3 Depth=1
	s_or_b32 exec_lo, exec_lo, s0
	s_wait_dscnt 0x0
	s_barrier_signal -1
	s_barrier_wait -1
	s_barrier_signal -1
	s_barrier_wait -1
	s_and_saveexec_b32 s0, s3
	s_cbranch_execz .LBB190_426
; %bb.425:                              ;   in Loop: Header=BB190_3 Depth=1
	ds_load_b128 v[12:15], v1 offset:16368
	ds_load_b128 v[16:19], v1 offset:15840
	;; [unrolled: 1-line block ×3, first 2 shown]
	s_wait_dscnt 0x1
	v_mul_f64_e32 v[2:3], v[12:13], v[18:19]
	v_mul_f64_e32 v[18:19], v[14:15], v[18:19]
	s_delay_alu instid0(VALU_DEP_2) | instskip(NEXT) | instid1(VALU_DEP_2)
	v_fmac_f64_e32 v[2:3], v[14:15], v[16:17]
	v_fma_f64 v[12:13], v[12:13], v[16:17], -v[18:19]
	s_wait_dscnt 0x0
	s_delay_alu instid0(VALU_DEP_2) | instskip(NEXT) | instid1(VALU_DEP_2)
	v_mul_f64_e32 v[16:17], v[2:3], v[72:73]
	v_mul_f64_e32 v[14:15], v[12:13], v[72:73]
	s_delay_alu instid0(VALU_DEP_2) | instskip(NEXT) | instid1(VALU_DEP_2)
	v_fma_f64 v[12:13], v[70:71], v[12:13], -v[16:17]
	v_fmac_f64_e32 v[14:15], v[70:71], v[2:3]
	ds_store_b128 v1, v[12:15] offset:15856
.LBB190_426:                            ;   in Loop: Header=BB190_3 Depth=1
	s_or_b32 exec_lo, exec_lo, s0
.LBB190_427:                            ;   in Loop: Header=BB190_3 Depth=1
	v_add_nc_u64_e32 v[40:41], s[46:47], v[40:41]
	v_mov_b64_e32 v[12:13], 0
	v_mov_b64_e32 v[14:15], 0
	s_wait_dscnt 0x0
	s_barrier_signal -1
	s_barrier_wait -1
	s_wait_xcnt 0x0
	s_and_saveexec_b32 s0, s93
	s_cbranch_execz .LBB190_429
; %bb.428:                              ;   in Loop: Header=BB190_3 Depth=1
	v_lshl_add_u64 v[2:3], v[28:29], 4, v[40:41]
	flat_load_b128 v[14:17], v[2:3]
	s_wait_loadcnt_dscnt 0x0
	v_mul_f64_e32 v[2:3], s[40:41], v[14:15]
	v_mul_f64_e32 v[18:19], s[40:41], v[16:17]
	s_delay_alu instid0(VALU_DEP_2) | instskip(NEXT) | instid1(VALU_DEP_2)
	v_fma_f64 v[12:13], s[42:43], v[16:17], -v[2:3]
	v_fma_f64 v[14:15], v[14:15], -s[42:43], -v[18:19]
.LBB190_429:                            ;   in Loop: Header=BB190_3 Depth=1
	s_or_b32 exec_lo, exec_lo, s0
	s_delay_alu instid0(SALU_CYCLE_1)
	s_and_not1_b32 vcc_lo, exec_lo, s94
	s_cbranch_vccnz .LBB190_452
; %bb.430:                              ;   in Loop: Header=BB190_3 Depth=1
	v_lshl_add_u64 v[16:17], v[24:25], 4, v[38:39]
	v_mov_b32_e32 v70, -1
	s_lshl_b64 s[0:1], s[52:53], 2
	s_delay_alu instid0(SALU_CYCLE_1)
	s_add_nc_u64 s[62:63], s[58:59], s[0:1]
	s_mov_b32 s1, 0
	s_branch .LBB190_433
.LBB190_431:                            ;   in Loop: Header=BB190_433 Depth=2
	ds_load_b128 v[72:75], v62 offset:256
	s_wait_loadcnt_dscnt 0x0
	v_mul_f64_e32 v[18:19], v[38:39], v[74:75]
	v_mul_f64_e32 v[74:75], v[2:3], v[74:75]
	s_delay_alu instid0(VALU_DEP_2) | instskip(NEXT) | instid1(VALU_DEP_2)
	v_fma_f64 v[2:3], v[2:3], v[72:73], -v[18:19]
	v_fmac_f64_e32 v[74:75], v[38:39], v[72:73]
	s_delay_alu instid0(VALU_DEP_2) | instskip(NEXT) | instid1(VALU_DEP_2)
	v_add_f64_e32 v[12:13], v[12:13], v[2:3]
	v_add_f64_e32 v[14:15], v[14:15], v[74:75]
.LBB190_432:                            ;   in Loop: Header=BB190_433 Depth=2
	s_or_b32 exec_lo, exec_lo, s0
	s_add_co_i32 s1, s1, 1
	s_delay_alu instid0(SALU_CYCLE_1)
	s_cmp_eq_u32 s1, s65
	s_cbranch_scc1 .LBB190_452
.LBB190_433:                            ;   Parent Loop BB190_3 Depth=1
                                        ; =>  This Loop Header: Depth=2
                                        ;       Child Loop BB190_435 Depth 3
	v_cmp_gt_i32_e32 vcc_lo, s1, v70
	s_and_b32 s23, s33, vcc_lo
	s_delay_alu instid0(SALU_CYCLE_1)
	s_and_saveexec_b32 s0, s23
	s_cbranch_execz .LBB190_436
; %bb.434:                              ;   in Loop: Header=BB190_433 Depth=2
	global_load_b32 v70, v1, s[62:63]
	s_wait_loadcnt 0x0
	v_cmp_le_i32_e32 vcc_lo, s1, v70
	s_cbranch_vccnz .LBB190_436
.LBB190_435:                            ;   Parent Loop BB190_3 Depth=1
                                        ;     Parent Loop BB190_433 Depth=2
                                        ; =>    This Inner Loop Header: Depth=3
	global_wb scope:SCOPE_DEV
	s_wait_storecnt 0x0
	global_inv scope:SCOPE_DEV
	global_load_b32 v70, v1, s[62:63]
	s_wait_loadcnt 0x0
	v_cmp_gt_i32_e32 vcc_lo, s1, v70
	s_cbranch_vccnz .LBB190_435
.LBB190_436:                            ;   in Loop: Header=BB190_433 Depth=2
	s_or_b32 exec_lo, exec_lo, s0
	s_lshl_b32 s0, s1, 5
	global_wb scope:SCOPE_DEV
	s_wait_storecnt 0x0
	global_inv scope:SCOPE_DEV
	s_wait_loadcnt 0x0
	s_barrier_signal -1
	s_barrier_wait -1
	s_and_saveexec_b32 s23, s34
	s_cbranch_execz .LBB190_441
; %bb.437:                              ;   in Loop: Header=BB190_433 Depth=2
	v_or_b32_e32 v0, s0, v22
	s_delay_alu instid0(VALU_DEP_1) | instskip(SKIP_1) | instid1(SALU_CYCLE_1)
	v_cmp_le_i32_e32 vcc_lo, s64, v0
	s_and_saveexec_b32 s96, vcc_lo
	s_xor_b32 vcc_lo, exec_lo, s96
; %bb.438:                              ;   in Loop: Header=BB190_433 Depth=2
	v_dual_mov_b32 v0, v1 :: v_dual_mov_b32 v2, v1
	v_mov_b32_e32 v3, v1
	ds_store_b128 v63, v[0:3]
; %bb.439:                              ;   in Loop: Header=BB190_433 Depth=2
	s_and_not1_saveexec_b32 s96, vcc_lo
	s_cbranch_execz .LBB190_441
; %bb.440:                              ;   in Loop: Header=BB190_433 Depth=2
	v_mul_u64_e32 v[2:3], s[56:57], v[0:1]
	s_delay_alu instid0(VALU_DEP_1)
	v_lshl_add_u64 v[2:3], v[2:3], 4, v[40:41]
	flat_load_b128 v[72:75], v[2:3]
	s_wait_loadcnt_dscnt 0x0
	ds_store_2addr_b64 v63, v[72:73], v[74:75] offset1:1
.LBB190_441:                            ;   in Loop: Header=BB190_433 Depth=2
	s_or_b32 exec_lo, exec_lo, s23
	v_add_nc_u32_e32 v0, s0, v42
	v_cmp_ne_u32_e32 vcc_lo, s1, v43
	s_wait_dscnt 0x0
	s_barrier_signal -1
	s_barrier_wait -1
	v_mul_u64_e32 v[2:3], s[54:55], v[0:1]
	v_cmp_gt_i32_e64 s0, s64, v0
	v_cndmask_b32_e64 v71, 0, 1, vcc_lo
	s_and_b32 s23, s2, s0
	v_lshl_add_u64 v[2:3], v[2:3], 4, v[16:17]
	s_and_saveexec_b32 s0, s23
	s_cbranch_execz .LBB190_447
; %bb.442:                              ;   in Loop: Header=BB190_433 Depth=2
	v_mov_b64_e32 v[18:19], v[4:5]
	s_and_not1_b32 vcc_lo, exec_lo, vcc_lo
	s_cbranch_vccnz .LBB190_444
; %bb.443:                              ;   in Loop: Header=BB190_433 Depth=2
	flat_load_b64 v[18:19], v[2:3]
.LBB190_444:                            ;   in Loop: Header=BB190_433 Depth=2
	v_cmp_ne_u32_e32 vcc_lo, 1, v71
	v_mov_b64_e32 v[38:39], v[6:7]
	s_cbranch_vccnz .LBB190_446
; %bb.445:                              ;   in Loop: Header=BB190_433 Depth=2
	flat_load_b64 v[38:39], v[2:3] offset:8
.LBB190_446:                            ;   in Loop: Header=BB190_433 Depth=2
	ds_load_b128 v[72:75], v62
	s_wait_loadcnt_dscnt 0x0
	v_mul_f64_e32 v[76:77], v[38:39], v[74:75]
	v_mul_f64_e32 v[74:75], v[18:19], v[74:75]
	s_delay_alu instid0(VALU_DEP_2) | instskip(NEXT) | instid1(VALU_DEP_2)
	v_fma_f64 v[18:19], v[18:19], v[72:73], -v[76:77]
	v_fmac_f64_e32 v[74:75], v[38:39], v[72:73]
	s_delay_alu instid0(VALU_DEP_2) | instskip(NEXT) | instid1(VALU_DEP_2)
	v_add_f64_e32 v[12:13], v[12:13], v[18:19]
	v_add_f64_e32 v[14:15], v[14:15], v[74:75]
.LBB190_447:                            ;   in Loop: Header=BB190_433 Depth=2
	s_or_b32 exec_lo, exec_lo, s0
	v_add_nc_u32_e32 v0, 16, v0
	s_delay_alu instid0(VALU_DEP_1) | instskip(SKIP_1) | instid1(SALU_CYCLE_1)
	v_cmp_gt_i32_e32 vcc_lo, s64, v0
	s_and_b32 s23, s2, vcc_lo
	s_and_saveexec_b32 s0, s23
	s_cbranch_execz .LBB190_432
; %bb.448:                              ;   in Loop: Header=BB190_433 Depth=2
	v_cmp_ne_u32_e32 vcc_lo, 1, v71
	v_add_nc_u64_e32 v[18:19], s[60:61], v[2:3]
	v_mov_b64_e32 v[2:3], v[8:9]
	s_cbranch_vccnz .LBB190_450
; %bb.449:                              ;   in Loop: Header=BB190_433 Depth=2
	flat_load_b64 v[2:3], v[18:19]
.LBB190_450:                            ;   in Loop: Header=BB190_433 Depth=2
	v_cmp_ne_u32_e32 vcc_lo, 1, v71
	v_mov_b64_e32 v[38:39], v[10:11]
	s_cbranch_vccnz .LBB190_431
; %bb.451:                              ;   in Loop: Header=BB190_433 Depth=2
	flat_load_b64 v[38:39], v[18:19] offset:8
	s_branch .LBB190_431
.LBB190_452:                            ;   in Loop: Header=BB190_3 Depth=1
	ds_store_b128 v64, v[12:15]
	s_wait_dscnt 0x0
	s_barrier_signal -1
	s_barrier_wait -1
	s_and_saveexec_b32 s0, s18
	s_cbranch_execz .LBB190_454
; %bb.453:                              ;   in Loop: Header=BB190_3 Depth=1
	ds_load_b128 v[16:19], v65 offset:512
	ds_load_b128 v[70:73], v65 offset:1024
	s_wait_dscnt 0x1
	v_add_f64_e32 v[2:3], v[12:13], v[16:17]
	v_add_f64_e32 v[12:13], v[14:15], v[18:19]
	s_wait_dscnt 0x0
	s_delay_alu instid0(VALU_DEP_2) | instskip(NEXT) | instid1(VALU_DEP_2)
	v_add_f64_e32 v[2:3], v[2:3], v[70:71]
	v_add_f64_e32 v[38:39], v[12:13], v[72:73]
	ds_load_b128 v[12:15], v65 offset:1536
	ds_load_b128 v[16:19], v65 offset:2048
	s_wait_dscnt 0x1
	v_add_f64_e32 v[2:3], v[2:3], v[12:13]
	v_add_f64_e32 v[12:13], v[38:39], v[14:15]
	s_wait_dscnt 0x0
	s_delay_alu instid0(VALU_DEP_2) | instskip(NEXT) | instid1(VALU_DEP_2)
	v_add_f64_e32 v[2:3], v[2:3], v[16:17]
	v_add_f64_e32 v[38:39], v[12:13], v[18:19]
	;; [unrolled: 9-line block ×7, first 2 shown]
	ds_load_b128 v[12:15], v65 offset:7680
	s_wait_dscnt 0x0
	v_add_f64_e32 v[2:3], v[2:3], v[12:13]
	v_add_f64_e32 v[14:15], v[16:17], v[14:15]
	s_delay_alu instid0(VALU_DEP_2) | instskip(NEXT) | instid1(VALU_DEP_2)
	v_xor_b32_e32 v0, 0x80000000, v3
	v_xor_b32_e32 v3, 0x80000000, v15
	s_delay_alu instid0(VALU_DEP_4) | instskip(NEXT) | instid1(VALU_DEP_4)
	v_cndmask_b32_e64 v12, v2, 0, s14
	v_cndmask_b32_e64 v14, v14, 0, s14
	s_delay_alu instid0(VALU_DEP_4) | instskip(NEXT) | instid1(VALU_DEP_4)
	v_cndmask_b32_e64 v13, v0, 0, s14
	v_cndmask_b32_e64 v15, v3, 0, s14
.LBB190_454:                            ;   in Loop: Header=BB190_3 Depth=1
	s_or_b32 exec_lo, exec_lo, s0
	s_delay_alu instid0(SALU_CYCLE_1)
	s_and_not1_b32 vcc_lo, exec_lo, s68
	s_cbranch_vccnz .LBB190_463
; %bb.455:                              ;   in Loop: Header=BB190_3 Depth=1
	s_and_saveexec_b32 s0, s18
; %bb.456:                              ;   in Loop: Header=BB190_3 Depth=1
	ds_store_b128 v67, v[12:15]
; %bb.457:                              ;   in Loop: Header=BB190_3 Depth=1
	s_or_b32 exec_lo, exec_lo, s0
	v_mov_b64_e32 v[16:17], 0
	v_mov_b64_e32 v[18:19], 0
	s_wait_dscnt 0x0
	s_barrier_signal -1
	s_barrier_wait -1
	s_and_saveexec_b32 s0, s35
	s_cbranch_execz .LBB190_459
; %bb.458:                              ;   in Loop: Header=BB190_3 Depth=1
	ds_load_b128 v[16:19], v62
	ds_load_b128 v[70:73], v66
	s_wait_dscnt 0x0
	v_mul_f64_e32 v[2:3], v[18:19], v[72:73]
	v_mul_f64_e32 v[38:39], v[16:17], v[72:73]
	s_delay_alu instid0(VALU_DEP_2) | instskip(NEXT) | instid1(VALU_DEP_2)
	v_fma_f64 v[2:3], v[16:17], v[70:71], -v[2:3]
	v_fmac_f64_e32 v[38:39], v[18:19], v[70:71]
	s_delay_alu instid0(VALU_DEP_2) | instskip(NEXT) | instid1(VALU_DEP_2)
	v_add_f64_e32 v[16:17], 0, v[2:3]
	v_add_f64_e32 v[18:19], 0, v[38:39]
.LBB190_459:                            ;   in Loop: Header=BB190_3 Depth=1
	s_or_b32 exec_lo, exec_lo, s0
	s_and_saveexec_b32 s0, s36
	s_cbranch_execz .LBB190_461
; %bb.460:                              ;   in Loop: Header=BB190_3 Depth=1
	ds_load_b128 v[70:73], v62 offset:256
	ds_load_b128 v[74:77], v66 offset:8192
	s_wait_dscnt 0x0
	v_mul_f64_e32 v[2:3], v[72:73], v[76:77]
	v_mul_f64_e32 v[38:39], v[70:71], v[76:77]
	s_delay_alu instid0(VALU_DEP_2) | instskip(NEXT) | instid1(VALU_DEP_2)
	v_fma_f64 v[2:3], v[70:71], v[74:75], -v[2:3]
	v_fmac_f64_e32 v[38:39], v[72:73], v[74:75]
	s_delay_alu instid0(VALU_DEP_2) | instskip(NEXT) | instid1(VALU_DEP_2)
	v_add_f64_e32 v[16:17], v[16:17], v[2:3]
	v_add_f64_e32 v[18:19], v[18:19], v[38:39]
.LBB190_461:                            ;   in Loop: Header=BB190_3 Depth=1
	s_or_b32 exec_lo, exec_lo, s0
	s_mov_b32 s1, 0
	s_mov_b32 s0, 0
	ds_store_b128 v64, v[16:19]
	s_wait_dscnt 0x0
	s_barrier_signal -1
	s_barrier_wait -1
                                        ; implicit-def: $vgpr2_vgpr3
                                        ; implicit-def: $vgpr38_vgpr39
	s_and_saveexec_b32 s62, s18
	s_cbranch_execz .LBB190_523
; %bb.462:                              ;   in Loop: Header=BB190_3 Depth=1
	ds_load_b128 v[70:73], v65 offset:512
	ds_load_b128 v[74:77], v65 offset:1024
	s_mov_b32 s0, exec_lo
	s_wait_dscnt 0x1
	v_add_f64_e32 v[2:3], v[16:17], v[70:71]
	v_add_f64_e32 v[16:17], v[18:19], v[72:73]
	s_wait_dscnt 0x0
	s_delay_alu instid0(VALU_DEP_2) | instskip(NEXT) | instid1(VALU_DEP_2)
	v_add_f64_e32 v[2:3], v[2:3], v[74:75]
	v_add_f64_e32 v[38:39], v[16:17], v[76:77]
	ds_load_b128 v[16:19], v65 offset:1536
	ds_load_b128 v[70:73], v65 offset:2048
	s_wait_dscnt 0x1
	v_add_f64_e32 v[2:3], v[2:3], v[16:17]
	v_add_f64_e32 v[16:17], v[38:39], v[18:19]
	s_wait_dscnt 0x0
	s_delay_alu instid0(VALU_DEP_2) | instskip(NEXT) | instid1(VALU_DEP_2)
	v_add_f64_e32 v[2:3], v[2:3], v[70:71]
	v_add_f64_e32 v[38:39], v[16:17], v[72:73]
	ds_load_b128 v[16:19], v65 offset:2560
	ds_load_b128 v[70:73], v65 offset:3072
	;; [unrolled: 9-line block ×6, first 2 shown]
	s_wait_dscnt 0x1
	v_add_f64_e32 v[2:3], v[2:3], v[16:17]
	v_add_f64_e32 v[16:17], v[38:39], v[18:19]
	s_wait_dscnt 0x0
	s_delay_alu instid0(VALU_DEP_2) | instskip(NEXT) | instid1(VALU_DEP_2)
	v_add_f64_e32 v[2:3], v[2:3], v[70:71]
	v_add_f64_e32 v[70:71], v[16:17], v[72:73]
	ds_load_b128 v[16:19], v65 offset:7680
	s_wait_dscnt 0x0
	v_add_f64_e32 v[38:39], v[2:3], v[16:17]
	v_add_f64_e32 v[2:3], v[70:71], v[18:19]
	s_or_b32 exec_lo, exec_lo, s62
	s_delay_alu instid0(SALU_CYCLE_1)
	s_and_b32 vcc_lo, exec_lo, s1
	s_cbranch_vccnz .LBB190_464
	s_branch .LBB190_524
.LBB190_463:                            ;   in Loop: Header=BB190_3 Depth=1
	s_mov_b32 s0, 0
                                        ; implicit-def: $vgpr2_vgpr3
                                        ; implicit-def: $vgpr38_vgpr39
	s_cbranch_execz .LBB190_524
.LBB190_464:                            ;   in Loop: Header=BB190_3 Depth=1
	v_dual_mov_b32 v0, v20 :: v_dual_mov_b32 v2, v23
	s_mov_b32 s1, 0
	s_branch .LBB190_466
.LBB190_465:                            ;   in Loop: Header=BB190_466 Depth=2
	s_or_b32 exec_lo, exec_lo, s23
	v_add_nc_u32_e32 v2, 0x400, v2
	v_add_nc_u32_e32 v0, -2, v0
	s_add_co_i32 s1, s1, 2
	s_delay_alu instid0(SALU_CYCLE_1)
	s_cmp_lg_u32 s1, 32
	s_barrier_signal -1
	s_barrier_wait -1
	s_cbranch_scc0 .LBB190_474
.LBB190_466:                            ;   Parent Loop BB190_3 Depth=1
                                        ; =>  This Inner Loop Header: Depth=2
	s_delay_alu instid0(VALU_DEP_1) | instskip(SKIP_1) | instid1(SALU_CYCLE_1)
	v_cmp_eq_u32_e32 vcc_lo, 0, v0
	s_and_b32 s62, s18, vcc_lo
	s_and_saveexec_b32 s23, s62
	s_cbranch_execz .LBB190_468
; %bb.467:                              ;   in Loop: Header=BB190_466 Depth=2
	ds_load_b128 v[16:19], v68
	s_wait_dscnt 0x0
	v_mul_f64_e32 v[38:39], v[14:15], v[18:19]
	v_mul_f64_e32 v[72:73], v[12:13], v[18:19]
	s_delay_alu instid0(VALU_DEP_2) | instskip(NEXT) | instid1(VALU_DEP_2)
	v_fma_f64 v[70:71], v[12:13], v[16:17], -v[38:39]
	v_fmac_f64_e32 v[72:73], v[14:15], v[16:17]
	s_delay_alu instid0(VALU_DEP_2) | instskip(NEXT) | instid1(VALU_DEP_2)
	v_mov_b64_e32 v[12:13], v[70:71]
	v_mov_b64_e32 v[14:15], v[72:73]
	ds_store_b128 v1, v[70:73] offset:25088
.LBB190_468:                            ;   in Loop: Header=BB190_466 Depth=2
	s_or_b32 exec_lo, exec_lo, s23
	v_cmp_lt_u32_e32 vcc_lo, s1, v20
	s_wait_dscnt 0x0
	s_barrier_signal -1
	s_barrier_wait -1
	s_and_b32 s62, s18, vcc_lo
	s_delay_alu instid0(SALU_CYCLE_1)
	s_and_saveexec_b32 s23, s62
	s_cbranch_execz .LBB190_470
; %bb.469:                              ;   in Loop: Header=BB190_466 Depth=2
	ds_load_b128 v[16:19], v1 offset:25088
	ds_load_b128 v[70:73], v2
	s_wait_dscnt 0x0
	v_mul_f64_e32 v[38:39], v[18:19], v[72:73]
	v_mul_f64_e32 v[72:73], v[16:17], v[72:73]
	s_delay_alu instid0(VALU_DEP_2) | instskip(NEXT) | instid1(VALU_DEP_2)
	v_fma_f64 v[16:17], v[16:17], v[70:71], -v[38:39]
	v_fmac_f64_e32 v[72:73], v[18:19], v[70:71]
	s_delay_alu instid0(VALU_DEP_2) | instskip(NEXT) | instid1(VALU_DEP_2)
	v_add_f64_e32 v[12:13], v[12:13], v[16:17]
	v_add_f64_e32 v[14:15], v[14:15], v[72:73]
.LBB190_470:                            ;   in Loop: Header=BB190_466 Depth=2
	s_or_b32 exec_lo, exec_lo, s23
	s_or_b32 s62, s1, 1
	s_delay_alu instid0(SALU_CYCLE_1) | instskip(SKIP_3) | instid1(SALU_CYCLE_1)
	v_cmp_eq_u32_e32 vcc_lo, s62, v20
	s_barrier_signal -1
	s_barrier_wait -1
	s_and_b32 s63, s18, vcc_lo
	s_and_saveexec_b32 s23, s63
	s_cbranch_execz .LBB190_472
; %bb.471:                              ;   in Loop: Header=BB190_466 Depth=2
	ds_load_b128 v[16:19], v68
	s_wait_dscnt 0x0
	v_mul_f64_e32 v[38:39], v[14:15], v[18:19]
	v_mul_f64_e32 v[72:73], v[12:13], v[18:19]
	s_delay_alu instid0(VALU_DEP_2) | instskip(NEXT) | instid1(VALU_DEP_2)
	v_fma_f64 v[70:71], v[12:13], v[16:17], -v[38:39]
	v_fmac_f64_e32 v[72:73], v[14:15], v[16:17]
	s_delay_alu instid0(VALU_DEP_2) | instskip(NEXT) | instid1(VALU_DEP_2)
	v_mov_b64_e32 v[12:13], v[70:71]
	v_mov_b64_e32 v[14:15], v[72:73]
	ds_store_b128 v1, v[70:73] offset:25088
.LBB190_472:                            ;   in Loop: Header=BB190_466 Depth=2
	s_or_b32 exec_lo, exec_lo, s23
	v_cmp_lt_u32_e32 vcc_lo, s62, v20
	s_wait_dscnt 0x0
	s_barrier_signal -1
	s_barrier_wait -1
	s_and_b32 s62, s18, vcc_lo
	s_delay_alu instid0(SALU_CYCLE_1)
	s_and_saveexec_b32 s23, s62
	s_cbranch_execz .LBB190_465
; %bb.473:                              ;   in Loop: Header=BB190_466 Depth=2
	ds_load_b128 v[16:19], v1 offset:25088
	ds_load_b128 v[70:73], v2 offset:512
	s_wait_dscnt 0x0
	v_mul_f64_e32 v[38:39], v[18:19], v[72:73]
	v_mul_f64_e32 v[72:73], v[16:17], v[72:73]
	s_delay_alu instid0(VALU_DEP_2) | instskip(NEXT) | instid1(VALU_DEP_2)
	v_fma_f64 v[16:17], v[16:17], v[70:71], -v[38:39]
	v_fmac_f64_e32 v[72:73], v[18:19], v[70:71]
	s_delay_alu instid0(VALU_DEP_2) | instskip(NEXT) | instid1(VALU_DEP_2)
	v_add_f64_e32 v[12:13], v[12:13], v[16:17]
	v_add_f64_e32 v[14:15], v[14:15], v[72:73]
	s_branch .LBB190_465
.LBB190_474:                            ;   in Loop: Header=BB190_3 Depth=1
	s_and_b32 vcc_lo, exec_lo, s67
	s_mov_b32 s1, -1
	s_cbranch_vccz .LBB190_476
; %bb.475:                              ;   in Loop: Header=BB190_3 Depth=1
	s_and_not1_b32 s0, s0, exec_lo
	s_and_b32 s23, s18, exec_lo
	s_mov_b32 s1, 0
	s_or_b32 s0, s0, s23
.LBB190_476:                            ;   in Loop: Header=BB190_3 Depth=1
	s_and_not1_b32 vcc_lo, exec_lo, s1
	s_cbranch_vccnz .LBB190_478
; %bb.477:                              ;   in Loop: Header=BB190_3 Depth=1
	v_readlane_b32 s1, v78, 12
	s_and_not1_b32 s0, s0, exec_lo
	s_and_b32 s1, s1, exec_lo
	s_delay_alu instid0(SALU_CYCLE_1)
	s_or_b32 s0, s0, s1
.LBB190_478:                            ;   in Loop: Header=BB190_3 Depth=1
	v_mov_b64_e32 v[2:3], v[36:37]
	s_and_saveexec_b32 s1, s0
	s_cbranch_execnz .LBB190_525
	s_branch .LBB190_526
.LBB190_479:                            ;   in Loop: Header=BB190_3 Depth=1
	s_mov_b32 s23, exec_lo
	v_readlane_b32 s62, v78, 13
	s_and_b32 s62, s23, s62
	s_delay_alu instid0(SALU_CYCLE_1)
	s_xor_b32 s23, s62, s23
	s_mov_b32 exec_lo, s62
	s_cbranch_execz .LBB190_481
; %bb.480:                              ;   in Loop: Header=BB190_3 Depth=1
	v_readlane_b32 s1, v78, 26
	s_and_b32 s1, s1, exec_lo
.LBB190_481:                            ;   in Loop: Header=BB190_3 Depth=1
	s_or_saveexec_b32 s62, s23
	v_mov_b64_e32 v[14:15], 0
	v_mov_b64_e32 v[12:13], 0
	s_xor_b32 exec_lo, exec_lo, s62
	s_cbranch_execz .LBB190_487
; %bb.482:                              ;   in Loop: Header=BB190_3 Depth=1
	v_lshl_add_u64 v[2:3], v[30:31], 4, v[38:39]
	s_mov_b32 s63, exec_lo
                                        ; implicit-def: $vgpr14_vgpr15
	flat_load_b128 v[16:19], v[2:3]
	s_wait_loadcnt_dscnt 0x0
	v_cmpx_ngt_f64_e64 |v[16:17]|, |v[18:19]|
	s_xor_b32 s63, exec_lo, s63
	s_cbranch_execz .LBB190_484
; %bb.483:                              ;   in Loop: Header=BB190_3 Depth=1
	v_div_scale_f64 v[2:3], null, v[18:19], v[18:19], v[16:17]
	v_div_scale_f64 v[70:71], vcc_lo, v[16:17], v[18:19], v[16:17]
	s_delay_alu instid0(VALU_DEP_2) | instskip(SKIP_1) | instid1(TRANS32_DEP_1)
	v_rcp_f64_e32 v[12:13], v[2:3]
	v_nop
	v_fma_f64 v[14:15], -v[2:3], v[12:13], 1.0
	s_delay_alu instid0(VALU_DEP_1) | instskip(NEXT) | instid1(VALU_DEP_1)
	v_fmac_f64_e32 v[12:13], v[12:13], v[14:15]
	v_fma_f64 v[14:15], -v[2:3], v[12:13], 1.0
	s_delay_alu instid0(VALU_DEP_1) | instskip(NEXT) | instid1(VALU_DEP_1)
	v_fmac_f64_e32 v[12:13], v[12:13], v[14:15]
	v_mul_f64_e32 v[14:15], v[70:71], v[12:13]
	s_delay_alu instid0(VALU_DEP_1) | instskip(NEXT) | instid1(VALU_DEP_1)
	v_fma_f64 v[2:3], -v[2:3], v[14:15], v[70:71]
	v_div_fmas_f64 v[2:3], v[2:3], v[12:13], v[14:15]
	s_delay_alu instid0(VALU_DEP_1) | instskip(NEXT) | instid1(VALU_DEP_1)
	v_div_fixup_f64 v[2:3], v[2:3], v[18:19], v[16:17]
	v_fmac_f64_e32 v[18:19], v[16:17], v[2:3]
	s_delay_alu instid0(VALU_DEP_1) | instskip(NEXT) | instid1(VALU_DEP_1)
	v_div_scale_f64 v[12:13], null, v[18:19], v[18:19], 1.0
	v_rcp_f64_e32 v[14:15], v[12:13]
	v_nop
	s_delay_alu instid0(TRANS32_DEP_1) | instskip(NEXT) | instid1(VALU_DEP_1)
	v_fma_f64 v[16:17], -v[12:13], v[14:15], 1.0
	v_fmac_f64_e32 v[14:15], v[14:15], v[16:17]
	s_delay_alu instid0(VALU_DEP_1) | instskip(NEXT) | instid1(VALU_DEP_1)
	v_fma_f64 v[16:17], -v[12:13], v[14:15], 1.0
	v_fmac_f64_e32 v[14:15], v[14:15], v[16:17]
	v_div_scale_f64 v[16:17], vcc_lo, 1.0, v[18:19], 1.0
	s_delay_alu instid0(VALU_DEP_1) | instskip(NEXT) | instid1(VALU_DEP_1)
	v_mul_f64_e32 v[70:71], v[16:17], v[14:15]
	v_fma_f64 v[12:13], -v[12:13], v[70:71], v[16:17]
	s_delay_alu instid0(VALU_DEP_1) | instskip(NEXT) | instid1(VALU_DEP_1)
	v_div_fmas_f64 v[12:13], v[12:13], v[14:15], v[70:71]
	v_div_fixup_f64 v[14:15], v[12:13], v[18:19], 1.0
                                        ; implicit-def: $vgpr16_vgpr17
	s_delay_alu instid0(VALU_DEP_1)
	v_mul_f64_e32 v[12:13], v[2:3], v[14:15]
	v_xor_b32_e32 v15, 0x80000000, v15
.LBB190_484:                            ;   in Loop: Header=BB190_3 Depth=1
	s_and_not1_saveexec_b32 s63, s63
	s_cbranch_execz .LBB190_486
; %bb.485:                              ;   in Loop: Header=BB190_3 Depth=1
	v_div_scale_f64 v[2:3], null, v[16:17], v[16:17], v[18:19]
	v_div_scale_f64 v[70:71], vcc_lo, v[18:19], v[16:17], v[18:19]
	s_delay_alu instid0(VALU_DEP_2) | instskip(SKIP_1) | instid1(TRANS32_DEP_1)
	v_rcp_f64_e32 v[12:13], v[2:3]
	v_nop
	v_fma_f64 v[14:15], -v[2:3], v[12:13], 1.0
	s_delay_alu instid0(VALU_DEP_1) | instskip(NEXT) | instid1(VALU_DEP_1)
	v_fmac_f64_e32 v[12:13], v[12:13], v[14:15]
	v_fma_f64 v[14:15], -v[2:3], v[12:13], 1.0
	s_delay_alu instid0(VALU_DEP_1) | instskip(NEXT) | instid1(VALU_DEP_1)
	v_fmac_f64_e32 v[12:13], v[12:13], v[14:15]
	v_mul_f64_e32 v[14:15], v[70:71], v[12:13]
	s_delay_alu instid0(VALU_DEP_1) | instskip(NEXT) | instid1(VALU_DEP_1)
	v_fma_f64 v[2:3], -v[2:3], v[14:15], v[70:71]
	v_div_fmas_f64 v[2:3], v[2:3], v[12:13], v[14:15]
	s_delay_alu instid0(VALU_DEP_1) | instskip(NEXT) | instid1(VALU_DEP_1)
	v_div_fixup_f64 v[2:3], v[2:3], v[16:17], v[18:19]
	v_fmac_f64_e32 v[16:17], v[18:19], v[2:3]
	s_delay_alu instid0(VALU_DEP_1) | instskip(NEXT) | instid1(VALU_DEP_1)
	v_div_scale_f64 v[12:13], null, v[16:17], v[16:17], 1.0
	v_rcp_f64_e32 v[14:15], v[12:13]
	v_nop
	s_delay_alu instid0(TRANS32_DEP_1) | instskip(NEXT) | instid1(VALU_DEP_1)
	v_fma_f64 v[18:19], -v[12:13], v[14:15], 1.0
	v_fmac_f64_e32 v[14:15], v[14:15], v[18:19]
	s_delay_alu instid0(VALU_DEP_1) | instskip(NEXT) | instid1(VALU_DEP_1)
	v_fma_f64 v[18:19], -v[12:13], v[14:15], 1.0
	v_fmac_f64_e32 v[14:15], v[14:15], v[18:19]
	v_div_scale_f64 v[18:19], vcc_lo, 1.0, v[16:17], 1.0
	s_delay_alu instid0(VALU_DEP_1) | instskip(NEXT) | instid1(VALU_DEP_1)
	v_mul_f64_e32 v[70:71], v[18:19], v[14:15]
	v_fma_f64 v[12:13], -v[12:13], v[70:71], v[18:19]
	s_delay_alu instid0(VALU_DEP_1) | instskip(NEXT) | instid1(VALU_DEP_1)
	v_div_fmas_f64 v[12:13], v[12:13], v[14:15], v[70:71]
	v_div_fixup_f64 v[12:13], v[12:13], v[16:17], 1.0
	s_delay_alu instid0(VALU_DEP_1)
	v_mul_f64_e64 v[14:15], v[2:3], -v[12:13]
.LBB190_486:                            ;   in Loop: Header=BB190_3 Depth=1
	s_or_b32 exec_lo, exec_lo, s63
	s_delay_alu instid0(SALU_CYCLE_1)
	s_or_b32 s1, s1, exec_lo
.LBB190_487:                            ;   in Loop: Header=BB190_3 Depth=1
	s_or_b32 exec_lo, exec_lo, s62
	s_delay_alu instid0(SALU_CYCLE_1)
	s_and_b32 s1, s1, exec_lo
	s_and_not1_saveexec_b32 s0, s0
	s_cbranch_execz .LBB190_13
.LBB190_488:                            ;   in Loop: Header=BB190_3 Depth=1
	v_lshl_add_u64 v[2:3], v[30:31], 4, v[38:39]
	s_or_b32 s1, s1, exec_lo
	flat_load_b128 v[12:15], v[2:3]
	s_wait_loadcnt_dscnt 0x0
	v_xor_b32_e32 v13, 0x80000000, v13
	v_xor_b32_e32 v15, 0x80000000, v15
	s_or_b32 exec_lo, exec_lo, s0
	s_and_saveexec_b32 s0, s1
	s_cbranch_execz .LBB190_14
.LBB190_489:                            ;   in Loop: Header=BB190_3 Depth=1
	ds_store_b128 v66, v[12:15]
	s_or_b32 exec_lo, exec_lo, s0
	s_and_saveexec_b32 s0, s21
	s_delay_alu instid0(SALU_CYCLE_1)
	s_xor_b32 s0, exec_lo, s0
	s_cbranch_execz .LBB190_15
.LBB190_490:                            ;   in Loop: Header=BB190_3 Depth=1
	s_mov_b32 s1, exec_lo
	v_readlane_b32 s23, v78, 15
	s_and_b32 s23, s1, s23
	s_delay_alu instid0(SALU_CYCLE_1)
	s_xor_b32 s1, s23, s1
	s_mov_b32 exec_lo, s23
	s_cbranch_execz .LBB190_494
; %bb.491:                              ;   in Loop: Header=BB190_3 Depth=1
	s_mov_b32 s23, exec_lo
	v_readlane_b32 s62, v78, 27
	s_and_b32 s62, s23, s62
	s_delay_alu instid0(SALU_CYCLE_1)
	s_mov_b32 exec_lo, s62
; %bb.492:                              ;   in Loop: Header=BB190_3 Depth=1
	v_dual_mov_b32 v0, v1 :: v_dual_mov_b32 v2, v1
	v_mov_b32_e32 v3, v1
	ds_store_b128 v69, v[0:3]
; %bb.493:                              ;   in Loop: Header=BB190_3 Depth=1
	s_or_b32 exec_lo, exec_lo, s23
.LBB190_494:                            ;   in Loop: Header=BB190_3 Depth=1
	s_and_not1_saveexec_b32 s1, s1
	s_cbranch_execz .LBB190_500
; %bb.495:                              ;   in Loop: Header=BB190_3 Depth=1
	v_lshl_add_u64 v[2:3], v[34:35], 4, v[38:39]
	s_mov_b32 s62, exec_lo
                                        ; implicit-def: $vgpr16_vgpr17
	flat_load_b128 v[12:15], v[2:3]
	s_wait_loadcnt_dscnt 0x0
	v_cmpx_ngt_f64_e64 |v[12:13]|, |v[14:15]|
	s_xor_b32 s62, exec_lo, s62
	s_cbranch_execz .LBB190_497
; %bb.496:                              ;   in Loop: Header=BB190_3 Depth=1
	v_div_scale_f64 v[2:3], null, v[14:15], v[14:15], v[12:13]
	v_div_scale_f64 v[70:71], vcc_lo, v[12:13], v[14:15], v[12:13]
	s_delay_alu instid0(VALU_DEP_2) | instskip(SKIP_1) | instid1(TRANS32_DEP_1)
	v_rcp_f64_e32 v[16:17], v[2:3]
	v_nop
	v_fma_f64 v[18:19], -v[2:3], v[16:17], 1.0
	s_delay_alu instid0(VALU_DEP_1) | instskip(NEXT) | instid1(VALU_DEP_1)
	v_fmac_f64_e32 v[16:17], v[16:17], v[18:19]
	v_fma_f64 v[18:19], -v[2:3], v[16:17], 1.0
	s_delay_alu instid0(VALU_DEP_1) | instskip(NEXT) | instid1(VALU_DEP_1)
	v_fmac_f64_e32 v[16:17], v[16:17], v[18:19]
	v_mul_f64_e32 v[18:19], v[70:71], v[16:17]
	s_delay_alu instid0(VALU_DEP_1) | instskip(NEXT) | instid1(VALU_DEP_1)
	v_fma_f64 v[2:3], -v[2:3], v[18:19], v[70:71]
	v_div_fmas_f64 v[2:3], v[2:3], v[16:17], v[18:19]
	s_delay_alu instid0(VALU_DEP_1) | instskip(NEXT) | instid1(VALU_DEP_1)
	v_div_fixup_f64 v[2:3], v[2:3], v[14:15], v[12:13]
	v_fmac_f64_e32 v[14:15], v[12:13], v[2:3]
	s_delay_alu instid0(VALU_DEP_1) | instskip(NEXT) | instid1(VALU_DEP_1)
	v_div_scale_f64 v[12:13], null, v[14:15], v[14:15], 1.0
	v_rcp_f64_e32 v[16:17], v[12:13]
	v_nop
	s_delay_alu instid0(TRANS32_DEP_1) | instskip(NEXT) | instid1(VALU_DEP_1)
	v_fma_f64 v[18:19], -v[12:13], v[16:17], 1.0
	v_fmac_f64_e32 v[16:17], v[16:17], v[18:19]
	s_delay_alu instid0(VALU_DEP_1) | instskip(NEXT) | instid1(VALU_DEP_1)
	v_fma_f64 v[18:19], -v[12:13], v[16:17], 1.0
	v_fmac_f64_e32 v[16:17], v[16:17], v[18:19]
	v_div_scale_f64 v[18:19], vcc_lo, 1.0, v[14:15], 1.0
	s_delay_alu instid0(VALU_DEP_1) | instskip(NEXT) | instid1(VALU_DEP_1)
	v_mul_f64_e32 v[70:71], v[18:19], v[16:17]
	v_fma_f64 v[12:13], -v[12:13], v[70:71], v[18:19]
	s_delay_alu instid0(VALU_DEP_1) | instskip(NEXT) | instid1(VALU_DEP_1)
	v_div_fmas_f64 v[12:13], v[12:13], v[16:17], v[70:71]
	v_div_fixup_f64 v[18:19], v[12:13], v[14:15], 1.0
                                        ; implicit-def: $vgpr12_vgpr13
	s_delay_alu instid0(VALU_DEP_1)
	v_mul_f64_e32 v[16:17], v[2:3], v[18:19]
	v_xor_b32_e32 v19, 0x80000000, v19
.LBB190_497:                            ;   in Loop: Header=BB190_3 Depth=1
	s_and_not1_saveexec_b32 s62, s62
	s_cbranch_execz .LBB190_499
; %bb.498:                              ;   in Loop: Header=BB190_3 Depth=1
	v_div_scale_f64 v[2:3], null, v[12:13], v[12:13], v[14:15]
	v_div_scale_f64 v[70:71], vcc_lo, v[14:15], v[12:13], v[14:15]
	s_delay_alu instid0(VALU_DEP_2) | instskip(SKIP_1) | instid1(TRANS32_DEP_1)
	v_rcp_f64_e32 v[16:17], v[2:3]
	v_nop
	v_fma_f64 v[18:19], -v[2:3], v[16:17], 1.0
	s_delay_alu instid0(VALU_DEP_1) | instskip(NEXT) | instid1(VALU_DEP_1)
	v_fmac_f64_e32 v[16:17], v[16:17], v[18:19]
	v_fma_f64 v[18:19], -v[2:3], v[16:17], 1.0
	s_delay_alu instid0(VALU_DEP_1) | instskip(NEXT) | instid1(VALU_DEP_1)
	v_fmac_f64_e32 v[16:17], v[16:17], v[18:19]
	v_mul_f64_e32 v[18:19], v[70:71], v[16:17]
	s_delay_alu instid0(VALU_DEP_1) | instskip(NEXT) | instid1(VALU_DEP_1)
	v_fma_f64 v[2:3], -v[2:3], v[18:19], v[70:71]
	v_div_fmas_f64 v[2:3], v[2:3], v[16:17], v[18:19]
	s_delay_alu instid0(VALU_DEP_1) | instskip(NEXT) | instid1(VALU_DEP_1)
	v_div_fixup_f64 v[2:3], v[2:3], v[12:13], v[14:15]
	v_fmac_f64_e32 v[12:13], v[14:15], v[2:3]
	s_delay_alu instid0(VALU_DEP_1) | instskip(NEXT) | instid1(VALU_DEP_1)
	v_div_scale_f64 v[14:15], null, v[12:13], v[12:13], 1.0
	v_rcp_f64_e32 v[16:17], v[14:15]
	v_nop
	s_delay_alu instid0(TRANS32_DEP_1) | instskip(NEXT) | instid1(VALU_DEP_1)
	v_fma_f64 v[18:19], -v[14:15], v[16:17], 1.0
	v_fmac_f64_e32 v[16:17], v[16:17], v[18:19]
	s_delay_alu instid0(VALU_DEP_1) | instskip(NEXT) | instid1(VALU_DEP_1)
	v_fma_f64 v[18:19], -v[14:15], v[16:17], 1.0
	v_fmac_f64_e32 v[16:17], v[16:17], v[18:19]
	v_div_scale_f64 v[18:19], vcc_lo, 1.0, v[12:13], 1.0
	s_delay_alu instid0(VALU_DEP_1) | instskip(NEXT) | instid1(VALU_DEP_1)
	v_mul_f64_e32 v[70:71], v[18:19], v[16:17]
	v_fma_f64 v[14:15], -v[14:15], v[70:71], v[18:19]
	s_delay_alu instid0(VALU_DEP_1) | instskip(NEXT) | instid1(VALU_DEP_1)
	v_div_fmas_f64 v[14:15], v[14:15], v[16:17], v[70:71]
	v_div_fixup_f64 v[16:17], v[14:15], v[12:13], 1.0
	s_delay_alu instid0(VALU_DEP_1)
	v_mul_f64_e64 v[18:19], v[2:3], -v[16:17]
.LBB190_499:                            ;   in Loop: Header=BB190_3 Depth=1
	s_or_b32 exec_lo, exec_lo, s62
	ds_store_b128 v69, v[16:19]
.LBB190_500:                            ;   in Loop: Header=BB190_3 Depth=1
	s_or_b32 exec_lo, exec_lo, s1
	s_and_not1_saveexec_b32 s0, s0
	s_cbranch_execnz .LBB190_16
	s_branch .LBB190_17
.LBB190_501:                            ;   in Loop: Header=BB190_3 Depth=1
	s_mov_b32 s23, exec_lo
	v_readlane_b32 s62, v78, 14
	s_and_b32 s62, s23, s62
	s_delay_alu instid0(SALU_CYCLE_1)
	s_xor_b32 s23, s62, s23
	s_mov_b32 exec_lo, s62
	s_cbranch_execz .LBB190_503
; %bb.502:                              ;   in Loop: Header=BB190_3 Depth=1
	v_readlane_b32 s1, v78, 26
	s_and_b32 s1, s1, exec_lo
.LBB190_503:                            ;   in Loop: Header=BB190_3 Depth=1
	s_or_saveexec_b32 s62, s23
	v_mov_b64_e32 v[14:15], 0
	v_mov_b64_e32 v[12:13], 0
	s_xor_b32 exec_lo, exec_lo, s62
	s_cbranch_execz .LBB190_509
; %bb.504:                              ;   in Loop: Header=BB190_3 Depth=1
	v_lshl_add_u64 v[2:3], v[30:31], 4, v[38:39]
	s_mov_b32 s63, exec_lo
                                        ; implicit-def: $vgpr14_vgpr15
	flat_load_b128 v[16:19], v[2:3]
	s_wait_loadcnt_dscnt 0x0
	v_cmpx_ngt_f64_e64 |v[16:17]|, |v[18:19]|
	s_xor_b32 s63, exec_lo, s63
	s_cbranch_execz .LBB190_506
; %bb.505:                              ;   in Loop: Header=BB190_3 Depth=1
	v_div_scale_f64 v[2:3], null, v[18:19], v[18:19], v[16:17]
	v_div_scale_f64 v[70:71], vcc_lo, v[16:17], v[18:19], v[16:17]
	s_delay_alu instid0(VALU_DEP_2) | instskip(SKIP_1) | instid1(TRANS32_DEP_1)
	v_rcp_f64_e32 v[12:13], v[2:3]
	v_nop
	v_fma_f64 v[14:15], -v[2:3], v[12:13], 1.0
	s_delay_alu instid0(VALU_DEP_1) | instskip(NEXT) | instid1(VALU_DEP_1)
	v_fmac_f64_e32 v[12:13], v[12:13], v[14:15]
	v_fma_f64 v[14:15], -v[2:3], v[12:13], 1.0
	s_delay_alu instid0(VALU_DEP_1) | instskip(NEXT) | instid1(VALU_DEP_1)
	v_fmac_f64_e32 v[12:13], v[12:13], v[14:15]
	v_mul_f64_e32 v[14:15], v[70:71], v[12:13]
	s_delay_alu instid0(VALU_DEP_1) | instskip(NEXT) | instid1(VALU_DEP_1)
	v_fma_f64 v[2:3], -v[2:3], v[14:15], v[70:71]
	v_div_fmas_f64 v[2:3], v[2:3], v[12:13], v[14:15]
	s_delay_alu instid0(VALU_DEP_1) | instskip(NEXT) | instid1(VALU_DEP_1)
	v_div_fixup_f64 v[2:3], v[2:3], v[18:19], v[16:17]
	v_fmac_f64_e32 v[18:19], v[16:17], v[2:3]
	s_delay_alu instid0(VALU_DEP_1) | instskip(NEXT) | instid1(VALU_DEP_1)
	v_div_scale_f64 v[12:13], null, v[18:19], v[18:19], 1.0
	v_rcp_f64_e32 v[14:15], v[12:13]
	v_nop
	s_delay_alu instid0(TRANS32_DEP_1) | instskip(NEXT) | instid1(VALU_DEP_1)
	v_fma_f64 v[16:17], -v[12:13], v[14:15], 1.0
	v_fmac_f64_e32 v[14:15], v[14:15], v[16:17]
	s_delay_alu instid0(VALU_DEP_1) | instskip(NEXT) | instid1(VALU_DEP_1)
	v_fma_f64 v[16:17], -v[12:13], v[14:15], 1.0
	v_fmac_f64_e32 v[14:15], v[14:15], v[16:17]
	v_div_scale_f64 v[16:17], vcc_lo, 1.0, v[18:19], 1.0
	s_delay_alu instid0(VALU_DEP_1) | instskip(NEXT) | instid1(VALU_DEP_1)
	v_mul_f64_e32 v[70:71], v[16:17], v[14:15]
	v_fma_f64 v[12:13], -v[12:13], v[70:71], v[16:17]
	s_delay_alu instid0(VALU_DEP_1) | instskip(NEXT) | instid1(VALU_DEP_1)
	v_div_fmas_f64 v[12:13], v[12:13], v[14:15], v[70:71]
	v_div_fixup_f64 v[14:15], v[12:13], v[18:19], 1.0
                                        ; implicit-def: $vgpr16_vgpr17
	s_delay_alu instid0(VALU_DEP_1)
	v_mul_f64_e32 v[12:13], v[2:3], v[14:15]
	v_xor_b32_e32 v15, 0x80000000, v15
.LBB190_506:                            ;   in Loop: Header=BB190_3 Depth=1
	s_and_not1_saveexec_b32 s63, s63
	s_cbranch_execz .LBB190_508
; %bb.507:                              ;   in Loop: Header=BB190_3 Depth=1
	v_div_scale_f64 v[2:3], null, v[16:17], v[16:17], v[18:19]
	v_div_scale_f64 v[70:71], vcc_lo, v[18:19], v[16:17], v[18:19]
	s_delay_alu instid0(VALU_DEP_2) | instskip(SKIP_1) | instid1(TRANS32_DEP_1)
	v_rcp_f64_e32 v[12:13], v[2:3]
	v_nop
	v_fma_f64 v[14:15], -v[2:3], v[12:13], 1.0
	s_delay_alu instid0(VALU_DEP_1) | instskip(NEXT) | instid1(VALU_DEP_1)
	v_fmac_f64_e32 v[12:13], v[12:13], v[14:15]
	v_fma_f64 v[14:15], -v[2:3], v[12:13], 1.0
	s_delay_alu instid0(VALU_DEP_1) | instskip(NEXT) | instid1(VALU_DEP_1)
	v_fmac_f64_e32 v[12:13], v[12:13], v[14:15]
	v_mul_f64_e32 v[14:15], v[70:71], v[12:13]
	s_delay_alu instid0(VALU_DEP_1) | instskip(NEXT) | instid1(VALU_DEP_1)
	v_fma_f64 v[2:3], -v[2:3], v[14:15], v[70:71]
	v_div_fmas_f64 v[2:3], v[2:3], v[12:13], v[14:15]
	s_delay_alu instid0(VALU_DEP_1) | instskip(NEXT) | instid1(VALU_DEP_1)
	v_div_fixup_f64 v[2:3], v[2:3], v[16:17], v[18:19]
	v_fmac_f64_e32 v[16:17], v[18:19], v[2:3]
	s_delay_alu instid0(VALU_DEP_1) | instskip(NEXT) | instid1(VALU_DEP_1)
	v_div_scale_f64 v[12:13], null, v[16:17], v[16:17], 1.0
	v_rcp_f64_e32 v[14:15], v[12:13]
	v_nop
	s_delay_alu instid0(TRANS32_DEP_1) | instskip(NEXT) | instid1(VALU_DEP_1)
	v_fma_f64 v[18:19], -v[12:13], v[14:15], 1.0
	v_fmac_f64_e32 v[14:15], v[14:15], v[18:19]
	s_delay_alu instid0(VALU_DEP_1) | instskip(NEXT) | instid1(VALU_DEP_1)
	v_fma_f64 v[18:19], -v[12:13], v[14:15], 1.0
	v_fmac_f64_e32 v[14:15], v[14:15], v[18:19]
	v_div_scale_f64 v[18:19], vcc_lo, 1.0, v[16:17], 1.0
	s_delay_alu instid0(VALU_DEP_1) | instskip(NEXT) | instid1(VALU_DEP_1)
	v_mul_f64_e32 v[70:71], v[18:19], v[14:15]
	v_fma_f64 v[12:13], -v[12:13], v[70:71], v[18:19]
	s_delay_alu instid0(VALU_DEP_1) | instskip(NEXT) | instid1(VALU_DEP_1)
	v_div_fmas_f64 v[12:13], v[12:13], v[14:15], v[70:71]
	v_div_fixup_f64 v[12:13], v[12:13], v[16:17], 1.0
	s_delay_alu instid0(VALU_DEP_1)
	v_mul_f64_e64 v[14:15], v[2:3], -v[12:13]
.LBB190_508:                            ;   in Loop: Header=BB190_3 Depth=1
	s_or_b32 exec_lo, exec_lo, s63
	s_delay_alu instid0(SALU_CYCLE_1)
	s_or_b32 s1, s1, exec_lo
.LBB190_509:                            ;   in Loop: Header=BB190_3 Depth=1
	s_or_b32 exec_lo, exec_lo, s62
	s_delay_alu instid0(SALU_CYCLE_1)
	s_and_b32 s1, s1, exec_lo
	s_and_not1_saveexec_b32 s0, s0
	s_cbranch_execz .LBB190_20
.LBB190_510:                            ;   in Loop: Header=BB190_3 Depth=1
	v_lshl_add_u64 v[2:3], v[30:31], 4, v[38:39]
	s_or_b32 s1, s1, exec_lo
	flat_load_b128 v[12:15], v[2:3]
	s_wait_loadcnt_dscnt 0x0
	v_xor_b32_e32 v13, 0x80000000, v13
	v_xor_b32_e32 v15, 0x80000000, v15
	s_or_b32 exec_lo, exec_lo, s0
	s_and_saveexec_b32 s0, s1
	s_cbranch_execz .LBB190_21
.LBB190_511:                            ;   in Loop: Header=BB190_3 Depth=1
	ds_store_b128 v66, v[12:15]
	s_or_b32 exec_lo, exec_lo, s0
	s_and_saveexec_b32 s0, s24
	s_delay_alu instid0(SALU_CYCLE_1)
	s_xor_b32 s0, exec_lo, s0
	s_cbranch_execz .LBB190_22
.LBB190_512:                            ;   in Loop: Header=BB190_3 Depth=1
	s_mov_b32 s1, exec_lo
	v_readlane_b32 s23, v78, 16
	s_and_b32 s23, s1, s23
	s_delay_alu instid0(SALU_CYCLE_1)
	s_xor_b32 s1, s23, s1
	s_mov_b32 exec_lo, s23
	s_cbranch_execz .LBB190_516
; %bb.513:                              ;   in Loop: Header=BB190_3 Depth=1
	s_mov_b32 s23, exec_lo
	v_readlane_b32 s62, v78, 27
	s_and_b32 s62, s23, s62
	s_delay_alu instid0(SALU_CYCLE_1)
	s_mov_b32 exec_lo, s62
; %bb.514:                              ;   in Loop: Header=BB190_3 Depth=1
	v_dual_mov_b32 v0, v1 :: v_dual_mov_b32 v2, v1
	v_mov_b32_e32 v3, v1
	ds_store_b128 v69, v[0:3]
; %bb.515:                              ;   in Loop: Header=BB190_3 Depth=1
	s_or_b32 exec_lo, exec_lo, s23
.LBB190_516:                            ;   in Loop: Header=BB190_3 Depth=1
	s_and_not1_saveexec_b32 s1, s1
	s_cbranch_execz .LBB190_522
; %bb.517:                              ;   in Loop: Header=BB190_3 Depth=1
	v_lshl_add_u64 v[2:3], v[34:35], 4, v[38:39]
	s_mov_b32 s62, exec_lo
                                        ; implicit-def: $vgpr16_vgpr17
	flat_load_b128 v[12:15], v[2:3]
	s_wait_loadcnt_dscnt 0x0
	v_cmpx_ngt_f64_e64 |v[12:13]|, |v[14:15]|
	s_xor_b32 s62, exec_lo, s62
	s_cbranch_execz .LBB190_519
; %bb.518:                              ;   in Loop: Header=BB190_3 Depth=1
	v_div_scale_f64 v[2:3], null, v[14:15], v[14:15], v[12:13]
	v_div_scale_f64 v[70:71], vcc_lo, v[12:13], v[14:15], v[12:13]
	s_delay_alu instid0(VALU_DEP_2) | instskip(SKIP_1) | instid1(TRANS32_DEP_1)
	v_rcp_f64_e32 v[16:17], v[2:3]
	v_nop
	v_fma_f64 v[18:19], -v[2:3], v[16:17], 1.0
	s_delay_alu instid0(VALU_DEP_1) | instskip(NEXT) | instid1(VALU_DEP_1)
	v_fmac_f64_e32 v[16:17], v[16:17], v[18:19]
	v_fma_f64 v[18:19], -v[2:3], v[16:17], 1.0
	s_delay_alu instid0(VALU_DEP_1) | instskip(NEXT) | instid1(VALU_DEP_1)
	v_fmac_f64_e32 v[16:17], v[16:17], v[18:19]
	v_mul_f64_e32 v[18:19], v[70:71], v[16:17]
	s_delay_alu instid0(VALU_DEP_1) | instskip(NEXT) | instid1(VALU_DEP_1)
	v_fma_f64 v[2:3], -v[2:3], v[18:19], v[70:71]
	v_div_fmas_f64 v[2:3], v[2:3], v[16:17], v[18:19]
	s_delay_alu instid0(VALU_DEP_1) | instskip(NEXT) | instid1(VALU_DEP_1)
	v_div_fixup_f64 v[2:3], v[2:3], v[14:15], v[12:13]
	v_fmac_f64_e32 v[14:15], v[12:13], v[2:3]
	s_delay_alu instid0(VALU_DEP_1) | instskip(NEXT) | instid1(VALU_DEP_1)
	v_div_scale_f64 v[12:13], null, v[14:15], v[14:15], 1.0
	v_rcp_f64_e32 v[16:17], v[12:13]
	v_nop
	s_delay_alu instid0(TRANS32_DEP_1) | instskip(NEXT) | instid1(VALU_DEP_1)
	v_fma_f64 v[18:19], -v[12:13], v[16:17], 1.0
	v_fmac_f64_e32 v[16:17], v[16:17], v[18:19]
	s_delay_alu instid0(VALU_DEP_1) | instskip(NEXT) | instid1(VALU_DEP_1)
	v_fma_f64 v[18:19], -v[12:13], v[16:17], 1.0
	v_fmac_f64_e32 v[16:17], v[16:17], v[18:19]
	v_div_scale_f64 v[18:19], vcc_lo, 1.0, v[14:15], 1.0
	s_delay_alu instid0(VALU_DEP_1) | instskip(NEXT) | instid1(VALU_DEP_1)
	v_mul_f64_e32 v[70:71], v[18:19], v[16:17]
	v_fma_f64 v[12:13], -v[12:13], v[70:71], v[18:19]
	s_delay_alu instid0(VALU_DEP_1) | instskip(NEXT) | instid1(VALU_DEP_1)
	v_div_fmas_f64 v[12:13], v[12:13], v[16:17], v[70:71]
	v_div_fixup_f64 v[18:19], v[12:13], v[14:15], 1.0
                                        ; implicit-def: $vgpr12_vgpr13
	s_delay_alu instid0(VALU_DEP_1)
	v_mul_f64_e32 v[16:17], v[2:3], v[18:19]
	v_xor_b32_e32 v19, 0x80000000, v19
.LBB190_519:                            ;   in Loop: Header=BB190_3 Depth=1
	s_and_not1_saveexec_b32 s62, s62
	s_cbranch_execz .LBB190_521
; %bb.520:                              ;   in Loop: Header=BB190_3 Depth=1
	v_div_scale_f64 v[2:3], null, v[12:13], v[12:13], v[14:15]
	v_div_scale_f64 v[70:71], vcc_lo, v[14:15], v[12:13], v[14:15]
	s_delay_alu instid0(VALU_DEP_2) | instskip(SKIP_1) | instid1(TRANS32_DEP_1)
	v_rcp_f64_e32 v[16:17], v[2:3]
	v_nop
	v_fma_f64 v[18:19], -v[2:3], v[16:17], 1.0
	s_delay_alu instid0(VALU_DEP_1) | instskip(NEXT) | instid1(VALU_DEP_1)
	v_fmac_f64_e32 v[16:17], v[16:17], v[18:19]
	v_fma_f64 v[18:19], -v[2:3], v[16:17], 1.0
	s_delay_alu instid0(VALU_DEP_1) | instskip(NEXT) | instid1(VALU_DEP_1)
	v_fmac_f64_e32 v[16:17], v[16:17], v[18:19]
	v_mul_f64_e32 v[18:19], v[70:71], v[16:17]
	s_delay_alu instid0(VALU_DEP_1) | instskip(NEXT) | instid1(VALU_DEP_1)
	v_fma_f64 v[2:3], -v[2:3], v[18:19], v[70:71]
	v_div_fmas_f64 v[2:3], v[2:3], v[16:17], v[18:19]
	s_delay_alu instid0(VALU_DEP_1) | instskip(NEXT) | instid1(VALU_DEP_1)
	v_div_fixup_f64 v[2:3], v[2:3], v[12:13], v[14:15]
	v_fmac_f64_e32 v[12:13], v[14:15], v[2:3]
	s_delay_alu instid0(VALU_DEP_1) | instskip(NEXT) | instid1(VALU_DEP_1)
	v_div_scale_f64 v[14:15], null, v[12:13], v[12:13], 1.0
	v_rcp_f64_e32 v[16:17], v[14:15]
	v_nop
	s_delay_alu instid0(TRANS32_DEP_1) | instskip(NEXT) | instid1(VALU_DEP_1)
	v_fma_f64 v[18:19], -v[14:15], v[16:17], 1.0
	v_fmac_f64_e32 v[16:17], v[16:17], v[18:19]
	s_delay_alu instid0(VALU_DEP_1) | instskip(NEXT) | instid1(VALU_DEP_1)
	v_fma_f64 v[18:19], -v[14:15], v[16:17], 1.0
	v_fmac_f64_e32 v[16:17], v[16:17], v[18:19]
	v_div_scale_f64 v[18:19], vcc_lo, 1.0, v[12:13], 1.0
	s_delay_alu instid0(VALU_DEP_1) | instskip(NEXT) | instid1(VALU_DEP_1)
	v_mul_f64_e32 v[70:71], v[18:19], v[16:17]
	v_fma_f64 v[14:15], -v[14:15], v[70:71], v[18:19]
	s_delay_alu instid0(VALU_DEP_1) | instskip(NEXT) | instid1(VALU_DEP_1)
	v_div_fmas_f64 v[14:15], v[14:15], v[16:17], v[70:71]
	v_div_fixup_f64 v[16:17], v[14:15], v[12:13], 1.0
	s_delay_alu instid0(VALU_DEP_1)
	v_mul_f64_e64 v[18:19], v[2:3], -v[16:17]
.LBB190_521:                            ;   in Loop: Header=BB190_3 Depth=1
	s_or_b32 exec_lo, exec_lo, s62
	ds_store_b128 v69, v[16:19]
.LBB190_522:                            ;   in Loop: Header=BB190_3 Depth=1
	s_or_b32 exec_lo, exec_lo, s1
	s_and_not1_saveexec_b32 s0, s0
	s_cbranch_execnz .LBB190_23
	s_branch .LBB190_24
.LBB190_523:                            ;   in Loop: Header=BB190_3 Depth=1
	s_or_b32 exec_lo, exec_lo, s62
	s_delay_alu instid0(SALU_CYCLE_1)
	s_and_b32 vcc_lo, exec_lo, s1
	s_cbranch_vccnz .LBB190_464
.LBB190_524:                            ;   in Loop: Header=BB190_3 Depth=1
	s_delay_alu instid0(VALU_DEP_1) | instskip(NEXT) | instid1(VALU_DEP_3)
	v_mov_b64_e32 v[14:15], v[2:3]
	v_mov_b64_e32 v[12:13], v[38:39]
	;; [unrolled: 1-line block ×3, first 2 shown]
	s_and_saveexec_b32 s1, s0
	s_cbranch_execz .LBB190_526
.LBB190_525:                            ;   in Loop: Header=BB190_3 Depth=1
	s_delay_alu instid0(VALU_DEP_1)
	v_lshl_add_u64 v[2:3], v[2:3], 4, v[40:41]
	flat_store_b128 v[2:3], v[12:15]
.LBB190_526:                            ;   in Loop: Header=BB190_3 Depth=1
	s_wait_xcnt 0x0
	s_or_b32 exec_lo, exec_lo, s1
	global_wb scope:SCOPE_DEV
	s_wait_storecnt_dscnt 0x0
	global_inv scope:SCOPE_DEV
	s_wait_loadcnt 0x0
	s_barrier_signal -1
	s_barrier_wait -1
	s_and_saveexec_b32 s0, s33
	s_cbranch_execz .LBB190_2
; %bb.527:                              ;   in Loop: Header=BB190_3 Depth=1
	s_lshl_b64 s[62:63], s[52:53], 2
	s_delay_alu instid0(SALU_CYCLE_1)
	s_add_nc_u64 s[62:63], s[58:59], s[62:63]
	global_load_b32 v0, v1, s[62:63]
	s_wait_loadcnt 0x0
	v_add_nc_u32_e32 v0, 1, v0
	global_store_b32 v1, v0, s[62:63]
	s_branch .LBB190_2
.LBB190_528:                            ;   in Loop: Header=BB190_3 Depth=1
	ds_load_b128 v[16:19], v48 offset:16
	ds_load_b128 v[70:73], v51 offset:576
	s_wait_dscnt 0x0
	v_mul_f64_e32 v[2:3], v[18:19], v[72:73]
	v_mul_f64_e32 v[72:73], v[16:17], v[72:73]
	s_delay_alu instid0(VALU_DEP_2) | instskip(NEXT) | instid1(VALU_DEP_2)
	v_fma_f64 v[2:3], v[16:17], v[70:71], -v[2:3]
	v_fmac_f64_e32 v[72:73], v[18:19], v[70:71]
	s_delay_alu instid0(VALU_DEP_2) | instskip(NEXT) | instid1(VALU_DEP_2)
	v_add_f64_e32 v[12:13], v[12:13], v[2:3]
	v_add_f64_e32 v[14:15], v[14:15], v[72:73]
	s_or_b32 exec_lo, exec_lo, s1
	s_and_saveexec_b32 s1, s8
	s_cbranch_execz .LBB190_45
.LBB190_529:                            ;   in Loop: Header=BB190_3 Depth=1
	ds_load_b128 v[16:19], v48 offset:32
	ds_load_b128 v[70:73], v50 offset:1088
	s_wait_dscnt 0x0
	v_mul_f64_e32 v[2:3], v[18:19], v[72:73]
	v_mul_f64_e32 v[72:73], v[16:17], v[72:73]
	s_delay_alu instid0(VALU_DEP_2) | instskip(NEXT) | instid1(VALU_DEP_2)
	v_fma_f64 v[2:3], v[16:17], v[70:71], -v[2:3]
	v_fmac_f64_e32 v[72:73], v[18:19], v[70:71]
	s_delay_alu instid0(VALU_DEP_2) | instskip(NEXT) | instid1(VALU_DEP_2)
	v_add_f64_e32 v[12:13], v[12:13], v[2:3]
	v_add_f64_e32 v[14:15], v[14:15], v[72:73]
	s_or_b32 exec_lo, exec_lo, s1
	s_and_saveexec_b32 s1, s4
	s_cbranch_execnz .LBB190_46
	s_branch .LBB190_47
.LBB190_530:                            ;   in Loop: Header=BB190_3 Depth=1
	ds_load_b128 v[16:19], v52 offset:80
	ds_load_b128 v[70:73], v56 offset:2688
	s_wait_dscnt 0x0
	v_mul_f64_e32 v[2:3], v[18:19], v[72:73]
	v_mul_f64_e32 v[72:73], v[16:17], v[72:73]
	s_delay_alu instid0(VALU_DEP_2) | instskip(NEXT) | instid1(VALU_DEP_2)
	v_fma_f64 v[2:3], v[16:17], v[70:71], -v[2:3]
	v_fmac_f64_e32 v[72:73], v[18:19], v[70:71]
	s_delay_alu instid0(VALU_DEP_2) | instskip(NEXT) | instid1(VALU_DEP_2)
	v_add_f64_e32 v[12:13], v[12:13], v[2:3]
	v_add_f64_e32 v[14:15], v[14:15], v[72:73]
	s_or_b32 exec_lo, exec_lo, s1
	s_and_saveexec_b32 s1, s6
	s_cbranch_execz .LBB190_91
.LBB190_531:                            ;   in Loop: Header=BB190_3 Depth=1
	ds_load_b128 v[16:19], v52 offset:96
	ds_load_b128 v[70:73], v55 offset:3200
	s_wait_dscnt 0x0
	v_mul_f64_e32 v[2:3], v[18:19], v[72:73]
	v_mul_f64_e32 v[72:73], v[16:17], v[72:73]
	s_delay_alu instid0(VALU_DEP_2) | instskip(NEXT) | instid1(VALU_DEP_2)
	v_fma_f64 v[2:3], v[16:17], v[70:71], -v[2:3]
	v_fmac_f64_e32 v[72:73], v[18:19], v[70:71]
	s_delay_alu instid0(VALU_DEP_2) | instskip(NEXT) | instid1(VALU_DEP_2)
	v_add_f64_e32 v[12:13], v[12:13], v[2:3]
	v_add_f64_e32 v[14:15], v[14:15], v[72:73]
	s_or_b32 exec_lo, exec_lo, s1
	s_and_saveexec_b32 s1, s8
	s_cbranch_execnz .LBB190_92
	s_branch .LBB190_93
.LBB190_532:                            ;   in Loop: Header=BB190_3 Depth=1
	ds_load_b128 v[16:19], v48 offset:4240
	ds_load_b128 v[70:73], v51 offset:4800
	s_wait_dscnt 0x0
	v_mul_f64_e32 v[2:3], v[18:19], v[72:73]
	v_mul_f64_e32 v[72:73], v[16:17], v[72:73]
	s_delay_alu instid0(VALU_DEP_2) | instskip(NEXT) | instid1(VALU_DEP_2)
	v_fma_f64 v[2:3], v[16:17], v[70:71], -v[2:3]
	v_fmac_f64_e32 v[72:73], v[18:19], v[70:71]
	s_delay_alu instid0(VALU_DEP_2) | instskip(NEXT) | instid1(VALU_DEP_2)
	v_add_f64_e32 v[12:13], v[12:13], v[2:3]
	v_add_f64_e32 v[14:15], v[14:15], v[72:73]
	s_or_b32 exec_lo, exec_lo, s1
	s_and_saveexec_b32 s1, s8
	s_cbranch_execz .LBB190_145
.LBB190_533:                            ;   in Loop: Header=BB190_3 Depth=1
	ds_load_b128 v[16:19], v48 offset:4256
	ds_load_b128 v[70:73], v50 offset:5312
	s_wait_dscnt 0x0
	v_mul_f64_e32 v[2:3], v[18:19], v[72:73]
	v_mul_f64_e32 v[72:73], v[16:17], v[72:73]
	s_delay_alu instid0(VALU_DEP_2) | instskip(NEXT) | instid1(VALU_DEP_2)
	v_fma_f64 v[2:3], v[16:17], v[70:71], -v[2:3]
	v_fmac_f64_e32 v[72:73], v[18:19], v[70:71]
	s_delay_alu instid0(VALU_DEP_2) | instskip(NEXT) | instid1(VALU_DEP_2)
	v_add_f64_e32 v[12:13], v[12:13], v[2:3]
	v_add_f64_e32 v[14:15], v[14:15], v[72:73]
	s_or_b32 exec_lo, exec_lo, s1
	s_and_saveexec_b32 s1, s4
	s_cbranch_execnz .LBB190_146
	s_branch .LBB190_147
.LBB190_534:                            ;   in Loop: Header=BB190_3 Depth=1
	ds_load_b128 v[16:19], v0 offset:176
	ds_load_b128 v[70:73], v61 offset:5888
	s_wait_dscnt 0x0
	v_mul_f64_e32 v[2:3], v[18:19], v[72:73]
	v_mul_f64_e32 v[72:73], v[16:17], v[72:73]
	s_delay_alu instid0(VALU_DEP_2) | instskip(NEXT) | instid1(VALU_DEP_2)
	v_fma_f64 v[2:3], v[16:17], v[70:71], -v[2:3]
	v_fmac_f64_e32 v[72:73], v[18:19], v[70:71]
	s_delay_alu instid0(VALU_DEP_2) | instskip(NEXT) | instid1(VALU_DEP_2)
	v_add_f64_e32 v[12:13], v[12:13], v[2:3]
	v_add_f64_e32 v[14:15], v[14:15], v[72:73]
	s_or_b32 exec_lo, exec_lo, s1
	s_and_saveexec_b32 s1, s9
	s_cbranch_execz .LBB190_203
.LBB190_535:                            ;   in Loop: Header=BB190_3 Depth=1
	ds_load_b128 v[16:19], v0 offset:192
	ds_load_b128 v[70:73], v61 offset:6400
	s_wait_dscnt 0x0
	v_mul_f64_e32 v[2:3], v[18:19], v[72:73]
	v_mul_f64_e32 v[72:73], v[16:17], v[72:73]
	s_delay_alu instid0(VALU_DEP_2) | instskip(NEXT) | instid1(VALU_DEP_2)
	v_fma_f64 v[2:3], v[16:17], v[70:71], -v[2:3]
	v_fmac_f64_e32 v[72:73], v[18:19], v[70:71]
	s_delay_alu instid0(VALU_DEP_2) | instskip(NEXT) | instid1(VALU_DEP_2)
	v_add_f64_e32 v[12:13], v[12:13], v[2:3]
	v_add_f64_e32 v[14:15], v[14:15], v[72:73]
	s_or_b32 exec_lo, exec_lo, s1
	s_and_saveexec_b32 s1, s11
	s_cbranch_execz .LBB190_204
.LBB190_536:                            ;   in Loop: Header=BB190_3 Depth=1
	ds_load_b128 v[16:19], v0 offset:208
	ds_load_b128 v[70:73], v61 offset:6912
	s_wait_dscnt 0x0
	v_mul_f64_e32 v[2:3], v[18:19], v[72:73]
	v_mul_f64_e32 v[72:73], v[16:17], v[72:73]
	s_delay_alu instid0(VALU_DEP_2) | instskip(NEXT) | instid1(VALU_DEP_2)
	v_fma_f64 v[2:3], v[16:17], v[70:71], -v[2:3]
	v_fmac_f64_e32 v[72:73], v[18:19], v[70:71]
	s_delay_alu instid0(VALU_DEP_2) | instskip(NEXT) | instid1(VALU_DEP_2)
	v_add_f64_e32 v[12:13], v[12:13], v[2:3]
	v_add_f64_e32 v[14:15], v[14:15], v[72:73]
	s_or_b32 exec_lo, exec_lo, s1
	s_and_saveexec_b32 s1, s13
	s_cbranch_execz .LBB190_205
.LBB190_537:                            ;   in Loop: Header=BB190_3 Depth=1
	ds_load_b128 v[16:19], v0 offset:224
	ds_load_b128 v[70:73], v61 offset:7424
	s_wait_dscnt 0x0
	v_mul_f64_e32 v[2:3], v[18:19], v[72:73]
	v_mul_f64_e32 v[72:73], v[16:17], v[72:73]
	s_delay_alu instid0(VALU_DEP_2) | instskip(NEXT) | instid1(VALU_DEP_2)
	v_fma_f64 v[2:3], v[16:17], v[70:71], -v[2:3]
	v_fmac_f64_e32 v[72:73], v[18:19], v[70:71]
	s_delay_alu instid0(VALU_DEP_2) | instskip(NEXT) | instid1(VALU_DEP_2)
	v_add_f64_e32 v[12:13], v[12:13], v[2:3]
	v_add_f64_e32 v[14:15], v[14:15], v[72:73]
	s_or_b32 exec_lo, exec_lo, s1
	s_and_saveexec_b32 s1, s6
	s_cbranch_execnz .LBB190_206
	s_branch .LBB190_207
.LBB190_538:                            ;   in Loop: Header=BB190_3 Depth=1
	ds_load_b128 v[16:19], v48 offset:8464
	ds_load_b128 v[70:73], v51 offset:9024
	s_wait_dscnt 0x0
	v_mul_f64_e32 v[2:3], v[18:19], v[72:73]
	v_mul_f64_e32 v[72:73], v[16:17], v[72:73]
	s_delay_alu instid0(VALU_DEP_2) | instskip(NEXT) | instid1(VALU_DEP_2)
	v_fma_f64 v[2:3], v[16:17], v[70:71], -v[2:3]
	v_fmac_f64_e32 v[72:73], v[18:19], v[70:71]
	s_delay_alu instid0(VALU_DEP_2) | instskip(NEXT) | instid1(VALU_DEP_2)
	v_add_f64_e32 v[12:13], v[12:13], v[2:3]
	v_add_f64_e32 v[14:15], v[14:15], v[72:73]
	s_or_b32 exec_lo, exec_lo, s1
	s_and_saveexec_b32 s1, s8
	s_cbranch_execz .LBB190_291
.LBB190_539:                            ;   in Loop: Header=BB190_3 Depth=1
	ds_load_b128 v[16:19], v48 offset:8480
	ds_load_b128 v[70:73], v50 offset:9536
	s_wait_dscnt 0x0
	v_mul_f64_e32 v[2:3], v[18:19], v[72:73]
	v_mul_f64_e32 v[72:73], v[16:17], v[72:73]
	s_delay_alu instid0(VALU_DEP_2) | instskip(NEXT) | instid1(VALU_DEP_2)
	v_fma_f64 v[2:3], v[16:17], v[70:71], -v[2:3]
	v_fmac_f64_e32 v[72:73], v[18:19], v[70:71]
	s_delay_alu instid0(VALU_DEP_2) | instskip(NEXT) | instid1(VALU_DEP_2)
	v_add_f64_e32 v[12:13], v[12:13], v[2:3]
	v_add_f64_e32 v[14:15], v[14:15], v[72:73]
	s_or_b32 exec_lo, exec_lo, s1
	s_and_saveexec_b32 s1, s4
	s_cbranch_execnz .LBB190_292
	s_branch .LBB190_293
.LBB190_540:                            ;   in Loop: Header=BB190_3 Depth=1
	ds_load_b128 v[16:19], v52 offset:8528
	ds_load_b128 v[70:73], v56 offset:11136
	s_wait_dscnt 0x0
	v_mul_f64_e32 v[2:3], v[18:19], v[72:73]
	v_mul_f64_e32 v[72:73], v[16:17], v[72:73]
	s_delay_alu instid0(VALU_DEP_2) | instskip(NEXT) | instid1(VALU_DEP_2)
	v_fma_f64 v[2:3], v[16:17], v[70:71], -v[2:3]
	v_fmac_f64_e32 v[72:73], v[18:19], v[70:71]
	s_delay_alu instid0(VALU_DEP_2) | instskip(NEXT) | instid1(VALU_DEP_2)
	v_add_f64_e32 v[12:13], v[12:13], v[2:3]
	v_add_f64_e32 v[14:15], v[14:15], v[72:73]
	s_or_b32 exec_lo, exec_lo, s1
	s_and_saveexec_b32 s1, s6
	s_cbranch_execz .LBB190_337
.LBB190_541:                            ;   in Loop: Header=BB190_3 Depth=1
	ds_load_b128 v[16:19], v52 offset:8544
	ds_load_b128 v[70:73], v55 offset:11648
	s_wait_dscnt 0x0
	v_mul_f64_e32 v[2:3], v[18:19], v[72:73]
	v_mul_f64_e32 v[72:73], v[16:17], v[72:73]
	s_delay_alu instid0(VALU_DEP_2) | instskip(NEXT) | instid1(VALU_DEP_2)
	v_fma_f64 v[2:3], v[16:17], v[70:71], -v[2:3]
	v_fmac_f64_e32 v[72:73], v[18:19], v[70:71]
	s_delay_alu instid0(VALU_DEP_2) | instskip(NEXT) | instid1(VALU_DEP_2)
	v_add_f64_e32 v[12:13], v[12:13], v[2:3]
	v_add_f64_e32 v[14:15], v[14:15], v[72:73]
	s_or_b32 exec_lo, exec_lo, s1
	s_and_saveexec_b32 s1, s8
	s_cbranch_execnz .LBB190_338
	s_branch .LBB190_339
.LBB190_542:                            ;   in Loop: Header=BB190_3 Depth=1
	ds_load_b128 v[16:19], v48 offset:12688
	ds_load_b128 v[70:73], v51 offset:13248
	s_wait_dscnt 0x0
	v_mul_f64_e32 v[2:3], v[18:19], v[72:73]
	v_mul_f64_e32 v[72:73], v[16:17], v[72:73]
	s_delay_alu instid0(VALU_DEP_2) | instskip(NEXT) | instid1(VALU_DEP_2)
	v_fma_f64 v[2:3], v[16:17], v[70:71], -v[2:3]
	v_fmac_f64_e32 v[72:73], v[18:19], v[70:71]
	s_delay_alu instid0(VALU_DEP_2) | instskip(NEXT) | instid1(VALU_DEP_2)
	v_add_f64_e32 v[12:13], v[12:13], v[2:3]
	v_add_f64_e32 v[14:15], v[14:15], v[72:73]
	s_or_b32 exec_lo, exec_lo, s1
	s_and_saveexec_b32 s1, s8
	s_cbranch_execz .LBB190_391
.LBB190_543:                            ;   in Loop: Header=BB190_3 Depth=1
	ds_load_b128 v[16:19], v48 offset:12704
	ds_load_b128 v[70:73], v50 offset:13760
	s_wait_dscnt 0x0
	v_mul_f64_e32 v[2:3], v[18:19], v[72:73]
	v_mul_f64_e32 v[72:73], v[16:17], v[72:73]
	s_delay_alu instid0(VALU_DEP_2) | instskip(NEXT) | instid1(VALU_DEP_2)
	v_fma_f64 v[2:3], v[16:17], v[70:71], -v[2:3]
	v_fmac_f64_e32 v[72:73], v[18:19], v[70:71]
	s_delay_alu instid0(VALU_DEP_2) | instskip(NEXT) | instid1(VALU_DEP_2)
	v_add_f64_e32 v[12:13], v[12:13], v[2:3]
	v_add_f64_e32 v[14:15], v[14:15], v[72:73]
	s_or_b32 exec_lo, exec_lo, s1
	s_and_saveexec_b32 s1, s4
	s_cbranch_execnz .LBB190_392
	s_branch .LBB190_393
.LBB190_544:
	s_endpgm
	.section	.rodata,"a",@progbits
	.p2align	6, 0x0
	.amdhsa_kernel _ZL19rocblas_trsv_deviceILi32ELi16ELb1ELb0ELb0ELb0E19rocblas_complex_numIdES1_PKPKS1_PKPS1_EviT7_lllT6_T8_lllPii
		.amdhsa_group_segment_fixed_size 25104
		.amdhsa_private_segment_fixed_size 0
		.amdhsa_kernarg_size 360
		.amdhsa_user_sgpr_count 2
		.amdhsa_user_sgpr_dispatch_ptr 0
		.amdhsa_user_sgpr_queue_ptr 0
		.amdhsa_user_sgpr_kernarg_segment_ptr 1
		.amdhsa_user_sgpr_dispatch_id 0
		.amdhsa_user_sgpr_kernarg_preload_length 0
		.amdhsa_user_sgpr_kernarg_preload_offset 0
		.amdhsa_user_sgpr_private_segment_size 0
		.amdhsa_wavefront_size32 1
		.amdhsa_uses_dynamic_stack 0
		.amdhsa_enable_private_segment 0
		.amdhsa_system_sgpr_workgroup_id_x 1
		.amdhsa_system_sgpr_workgroup_id_y 0
		.amdhsa_system_sgpr_workgroup_id_z 1
		.amdhsa_system_sgpr_workgroup_info 0
		.amdhsa_system_vgpr_workitem_id 1
		.amdhsa_next_free_vgpr 79
		.amdhsa_next_free_sgpr 105
		.amdhsa_named_barrier_count 0
		.amdhsa_reserve_vcc 1
		.amdhsa_float_round_mode_32 0
		.amdhsa_float_round_mode_16_64 0
		.amdhsa_float_denorm_mode_32 3
		.amdhsa_float_denorm_mode_16_64 3
		.amdhsa_fp16_overflow 0
		.amdhsa_memory_ordered 1
		.amdhsa_forward_progress 1
		.amdhsa_inst_pref_size 193
		.amdhsa_round_robin_scheduling 0
		.amdhsa_exception_fp_ieee_invalid_op 0
		.amdhsa_exception_fp_denorm_src 0
		.amdhsa_exception_fp_ieee_div_zero 0
		.amdhsa_exception_fp_ieee_overflow 0
		.amdhsa_exception_fp_ieee_underflow 0
		.amdhsa_exception_fp_ieee_inexact 0
		.amdhsa_exception_int_div_zero 0
	.end_amdhsa_kernel
	.section	.text._ZL19rocblas_trsv_deviceILi32ELi16ELb1ELb0ELb0ELb0E19rocblas_complex_numIdES1_PKPKS1_PKPS1_EviT7_lllT6_T8_lllPii,"axG",@progbits,_ZL19rocblas_trsv_deviceILi32ELi16ELb1ELb0ELb0ELb0E19rocblas_complex_numIdES1_PKPKS1_PKPS1_EviT7_lllT6_T8_lllPii,comdat
.Lfunc_end190:
	.size	_ZL19rocblas_trsv_deviceILi32ELi16ELb1ELb0ELb0ELb0E19rocblas_complex_numIdES1_PKPKS1_PKPS1_EviT7_lllT6_T8_lllPii, .Lfunc_end190-_ZL19rocblas_trsv_deviceILi32ELi16ELb1ELb0ELb0ELb0E19rocblas_complex_numIdES1_PKPKS1_PKPS1_EviT7_lllT6_T8_lllPii
                                        ; -- End function
	.set _ZL19rocblas_trsv_deviceILi32ELi16ELb1ELb0ELb0ELb0E19rocblas_complex_numIdES1_PKPKS1_PKPS1_EviT7_lllT6_T8_lllPii.num_vgpr, 79
	.set _ZL19rocblas_trsv_deviceILi32ELi16ELb1ELb0ELb0ELb0E19rocblas_complex_numIdES1_PKPKS1_PKPS1_EviT7_lllT6_T8_lllPii.num_agpr, 0
	.set _ZL19rocblas_trsv_deviceILi32ELi16ELb1ELb0ELb0ELb0E19rocblas_complex_numIdES1_PKPKS1_PKPS1_EviT7_lllT6_T8_lllPii.numbered_sgpr, 105
	.set _ZL19rocblas_trsv_deviceILi32ELi16ELb1ELb0ELb0ELb0E19rocblas_complex_numIdES1_PKPKS1_PKPS1_EviT7_lllT6_T8_lllPii.num_named_barrier, 0
	.set _ZL19rocblas_trsv_deviceILi32ELi16ELb1ELb0ELb0ELb0E19rocblas_complex_numIdES1_PKPKS1_PKPS1_EviT7_lllT6_T8_lllPii.private_seg_size, 0
	.set _ZL19rocblas_trsv_deviceILi32ELi16ELb1ELb0ELb0ELb0E19rocblas_complex_numIdES1_PKPKS1_PKPS1_EviT7_lllT6_T8_lllPii.uses_vcc, 1
	.set _ZL19rocblas_trsv_deviceILi32ELi16ELb1ELb0ELb0ELb0E19rocblas_complex_numIdES1_PKPKS1_PKPS1_EviT7_lllT6_T8_lllPii.uses_flat_scratch, 0
	.set _ZL19rocblas_trsv_deviceILi32ELi16ELb1ELb0ELb0ELb0E19rocblas_complex_numIdES1_PKPKS1_PKPS1_EviT7_lllT6_T8_lllPii.has_dyn_sized_stack, 0
	.set _ZL19rocblas_trsv_deviceILi32ELi16ELb1ELb0ELb0ELb0E19rocblas_complex_numIdES1_PKPKS1_PKPS1_EviT7_lllT6_T8_lllPii.has_recursion, 0
	.set _ZL19rocblas_trsv_deviceILi32ELi16ELb1ELb0ELb0ELb0E19rocblas_complex_numIdES1_PKPKS1_PKPS1_EviT7_lllT6_T8_lllPii.has_indirect_call, 0
	.section	.AMDGPU.csdata,"",@progbits
; Kernel info:
; codeLenInByte = 24592
; TotalNumSgprs: 107
; NumVgprs: 79
; ScratchSize: 0
; MemoryBound: 1
; FloatMode: 240
; IeeeMode: 1
; LDSByteSize: 25104 bytes/workgroup (compile time only)
; SGPRBlocks: 0
; VGPRBlocks: 4
; NumSGPRsForWavesPerEU: 107
; NumVGPRsForWavesPerEU: 79
; NamedBarCnt: 0
; Occupancy: 12
; WaveLimiterHint : 1
; COMPUTE_PGM_RSRC2:SCRATCH_EN: 0
; COMPUTE_PGM_RSRC2:USER_SGPR: 2
; COMPUTE_PGM_RSRC2:TRAP_HANDLER: 0
; COMPUTE_PGM_RSRC2:TGID_X_EN: 1
; COMPUTE_PGM_RSRC2:TGID_Y_EN: 0
; COMPUTE_PGM_RSRC2:TGID_Z_EN: 1
; COMPUTE_PGM_RSRC2:TIDIG_COMP_CNT: 1
	.section	.text._ZL19rocblas_trsv_deviceILi32ELi16ELb1ELb1ELb0ELb0E19rocblas_complex_numIdES1_PKPKS1_PKPS1_EviT7_lllT6_T8_lllPii,"axG",@progbits,_ZL19rocblas_trsv_deviceILi32ELi16ELb1ELb1ELb0ELb0E19rocblas_complex_numIdES1_PKPKS1_PKPS1_EviT7_lllT6_T8_lllPii,comdat
	.globl	_ZL19rocblas_trsv_deviceILi32ELi16ELb1ELb1ELb0ELb0E19rocblas_complex_numIdES1_PKPKS1_PKPS1_EviT7_lllT6_T8_lllPii ; -- Begin function _ZL19rocblas_trsv_deviceILi32ELi16ELb1ELb1ELb0ELb0E19rocblas_complex_numIdES1_PKPKS1_PKPS1_EviT7_lllT6_T8_lllPii
	.p2align	8
	.type	_ZL19rocblas_trsv_deviceILi32ELi16ELb1ELb1ELb0ELb0E19rocblas_complex_numIdES1_PKPKS1_PKPS1_EviT7_lllT6_T8_lllPii,@function
_ZL19rocblas_trsv_deviceILi32ELi16ELb1ELb1ELb0ELb0E19rocblas_complex_numIdES1_PKPKS1_PKPS1_EviT7_lllT6_T8_lllPii: ; @_ZL19rocblas_trsv_deviceILi32ELi16ELb1ELb1ELb0ELb0E19rocblas_complex_numIdES1_PKPKS1_PKPS1_EviT7_lllT6_T8_lllPii
; %bb.0:
	s_load_b32 s37, s[0:1], 0x60
	s_bfe_u32 s2, ttmp6, 0x40014
	s_lshr_b32 s3, ttmp7, 16
	s_add_co_i32 s2, s2, 1
	s_bfe_u32 s5, ttmp6, 0x40008
	s_mul_i32 s4, s3, s2
	s_getreg_b32 s2, hwreg(HW_REG_IB_STS2, 6, 4)
	s_add_co_i32 s5, s5, s4
	s_cmp_eq_u32 s2, 0
	s_mov_b32 s39, 0
	s_cselect_b32 s38, s3, s5
	s_wait_kmcnt 0x0
	s_cmp_ge_u32 s38, s37
	s_cbranch_scc1 .LBB191_574
; %bb.1:
	s_clause 0x2
	s_load_b32 s3, s[0:1], 0x74
	s_load_b32 s59, s[0:1], 0x68
	;; [unrolled: 1-line block ×3, first 2 shown]
	s_bfe_u32 s5, ttmp6, 0x4000c
	s_and_b32 s4, ttmp6, 15
	s_add_co_i32 s5, s5, 1
	s_clause 0x1
	s_load_b64 s[18:19], s[0:1], 0x18
	s_load_b128 s[48:51], s[0:1], 0x8
	s_mul_i32 s5, ttmp9, s5
	v_and_b32_e32 v22, 0x3ff, v0
	s_add_co_i32 s4, s4, s5
	s_cmp_eq_u32 s2, 0
	v_bfe_u32 v42, v0, 10, 10
	s_cselect_b32 s58, ttmp9, s4
	v_dual_mov_b32 v2, 0 :: v_dual_lshlrev_b32 v1, 5, v22
                                        ; implicit-def: $vgpr212 : SGPR spill to VGPR lane
	s_clause 0x1
	s_load_b64 s[54:55], s[0:1], 0x48
	s_load_b64 s[56:57], s[0:1], 0x58
	v_add_nc_u32_e32 v8, 16, v42
	v_lshl_add_u32 v3, v42, 5, v22
	v_dual_mov_b32 v25, v2 :: v_dual_mov_b32 v23, v2
	s_wait_kmcnt 0x0
	s_and_b32 s2, s3, 0xffff
	s_add_co_i32 s3, s52, -1
	s_ashr_i32 s53, s52, 31
	s_ashr_i32 s4, s3, 31
	s_lshr_b32 s5, s53, 27
	s_lshr_b32 s4, s4, 27
	s_add_co_i32 s5, s52, s5
	s_add_co_i32 s59, s59, -1
	s_add_co_i32 s3, s3, s4
	s_and_not1_b32 s5, s5, 31
	s_sub_co_i32 s92, s59, s58
	s_ashr_i32 s3, s3, 5
	s_sub_co_i32 s17, s52, s5
	s_cmp_eq_u32 s3, s92
	v_add_nc_u32_e32 v9, v42, v1
	s_cselect_b32 s3, -1, 0
	s_cmp_lg_u32 s17, 0
	v_lshl_add_u32 v11, v8, 5, v22
	s_cselect_b32 s4, -1, 0
	v_lshlrev_b32_e32 v45, 4, v22
	s_and_b32 s31, s4, s3
	s_add_nc_u64 s[4:5], s[18:19], 1
	s_xor_b32 s60, s31, -1
	s_cmp_lg_u32 s58, 0
	v_add_nc_u32_e32 v1, v8, v1
	s_cselect_b32 s61, -1, 0
	s_lshl_b32 s20, s92, 5
	s_cmp_lt_i32 s58, 5
	v_add_nc_u32_e32 v10, s20, v42
	s_cselect_b32 vcc_lo, -1, 0
	v_dual_cndmask_b32 v9, v3, v9 :: v_dual_add_nc_u32 v6, s20, v22
	s_or_b32 vcc_lo, vcc_lo, s31
	v_mad_nc_u64_u32 v[4:5], s4, s20, v[22:23]
	v_dual_cndmask_b32 v11, v11, v1 :: v_dual_add_nc_u32 v26, 32, v10
	s_delay_alu instid0(VALU_DEP_3) | instskip(SKIP_2) | instid1(VALU_DEP_3)
	v_dual_ashrrev_i32 v7, 31, v6 :: v_dual_bitop2_b32 v1, 1, v0 bitop3:0x40
	v_lshrrev_b32_e32 v13, 1, v3
	s_ashr_i32 s21, s20, 31
	v_dual_ashrrev_i32 v27, 31, v26 :: v_dual_lshrrev_b32 v12, 10, v0
	s_delay_alu instid0(VALU_DEP_3)
	v_lshlrev_b32_e32 v14, 4, v1
	s_mul_i32 s3, s4, s21
	s_mul_i32 s4, s5, s20
	v_lshl_add_u32 v23, v13, 4, 0x4000
	v_add3_u32 v5, s3, s4, v5
	v_cmp_gt_u32_e64 s3, 4, v3
	v_cmp_eq_u32_e64 s6, 1, v1
	v_lshl_or_b32 v43, v13, 9, v14
	v_mul_u32_u24_e32 v44, 0x210, v13
	v_lshrrev_b32_e32 v13, 2, v3
	v_mad_u32_u24 v1, 0x1f0, v22, v45
	v_and_b32_e32 v14, 3, v0
	s_xor_b32 s8, s6, -1
	s_and_b32 s64, s6, s3
	v_mul_u32_u24_e32 v47, 0x210, v13
	v_add_nc_u32_e32 v46, 32, v1
	v_dual_lshlrev_b32 v15, 4, v13 :: v_dual_lshlrev_b32 v49, 4, v14
	v_cmp_gt_u32_e64 s6, 16, v3
	v_cmp_eq_u32_e64 s9, 0, v14
	s_delay_alu instid0(VALU_DEP_3)
	v_dual_add_nc_u32 v48, 48, v1 :: v_dual_sub_nc_u32 v16, v47, v15
	v_cmp_eq_u32_e64 s5, 0, v42
	v_add_nc_u32_e32 v51, 0x4000, v15
	s_and_b32 s66, s9, s6
	v_cmp_eq_u32_e64 s9, 1, v14
	v_lshl_or_b32 v52, v13, 9, v49
	v_dual_add_nc_u32 v53, v16, v49 :: v_dual_lshrrev_b32 v13, 3, v3
	v_cmp_lt_u32_e64 s11, 1, v14
	v_cmp_eq_u32_e64 s12, 2, v14
	s_and_b32 s68, s9, s6
	v_cmp_gt_u32_e64 s9, 4, v22
	v_dual_lshlrev_b32 v16, 4, v13 :: v_dual_bitop2_b32 v15, 7, v0 bitop3:0x40
	s_and_b32 s69, s11, s6
	s_and_b32 s70, s12, s6
	;; [unrolled: 1-line block ×3, first 2 shown]
	v_cmp_gt_u32_e64 s9, 64, v3
	v_cmp_eq_u32_e64 s11, 0, v15
	v_cmp_ne_u32_e64 s12, 0, v15
	v_cmp_ne_u32_e64 s10, 0, v14
	v_cmp_eq_u32_e64 s13, 1, v15
	v_bitop3_b32 v12, v0, v12, 0x3ff bitop3:0xa8
	s_and_b32 s73, s11, s9
	s_and_b32 s74, s12, s9
	v_cmp_lt_u32_e64 s11, 2, v15
	v_cmp_eq_u32_e64 s12, 3, v15
	s_and_b32 s67, s10, s6
	v_cmp_eq_u32_e64 s10, 3, v14
	s_and_b32 s75, s13, s9
	v_cmp_lt_u32_e64 s13, 3, v15
	s_and_b32 s78, s11, s9
	s_and_b32 s79, s12, s9
	v_cmp_eq_u32_e64 s11, 5, v15
	v_cmp_lt_u32_e64 s12, 5, v15
	v_and_b32_e32 v0, 15, v0
	s_and_b32 s71, s10, s6
	v_cmp_gt_u32_e64 s10, 56, v3
	v_cmp_lt_u32_e64 s14, 1, v15
	s_and_b32 s80, s13, s9
	v_cmp_eq_u32_e64 s13, 6, v15
	s_and_b32 s83, s11, s9
	s_and_b32 s84, s12, s9
	v_cmp_gt_u32_e64 s11, 0x100, v3
	v_cmp_eq_u32_e64 s12, 0, v0
	v_writelane_b32 v212, s10, 0
	v_cmp_eq_u32_e64 s15, 2, v15
	s_and_b32 s76, s14, s9
	v_cmp_eq_u32_e64 s14, 4, v15
	s_and_b32 s85, s13, s9
	v_cmp_ne_u32_e64 s13, 0, v0
	s_and_b32 s10, s12, s11
	s_and_b32 s77, s15, s9
	v_writelane_b32 v212, s10, 1
	v_cmp_lt_u32_e64 s15, 4, v15
	s_and_b32 s81, s14, s9
	v_cmp_eq_u32_e64 s14, 7, v15
	v_cmp_eq_u32_e64 s12, 1, v0
	s_and_b32 s10, s13, s11
	s_and_b32 s82, s15, s9
	v_writelane_b32 v212, s10, 2
	v_cmp_gt_u32_e64 s15, 8, v22
	s_and_b32 s86, s14, s9
	v_cmp_lt_u32_e64 s14, 1, v0
	s_and_b32 s10, s12, s11
	v_cmp_lt_u32_e64 s16, 2, v0
	v_writelane_b32 v212, s10, 3
	s_and_b32 s87, s5, s15
	v_cmp_eq_u32_e64 s15, 2, v0
	s_and_b32 s10, s14, s11
	v_cmp_eq_u32_e64 s12, 3, v0
	v_writelane_b32 v212, s10, 4
	v_cmp_lt_u32_e64 s13, 3, v0
	s_and_b32 s10, s15, s11
	v_cmp_eq_u32_e64 s14, 4, v0
	v_cmp_lt_u32_e64 s15, 4, v0
	v_writelane_b32 v212, s10, 5
	s_and_b32 s10, s16, s11
	v_mad_i32_i24 v50, 0xfffffe10, v22, v1
	v_cmp_eq_u32_e64 s16, 5, v0
	v_mul_u32_u24_e32 v54, 0x210, v13
	v_writelane_b32 v212, s10, 6
	s_and_b32 s10, s12, s11
	v_cmp_lt_u32_e64 s12, 5, v0
	v_mad_u32_u24 v14, 0x1f0, v22, v50
	v_lshlrev_b32_e32 v56, 4, v15
	v_writelane_b32 v212, s10, 7
	s_and_b32 s10, s13, s11
	v_cmp_eq_u32_e64 s13, 6, v0
	s_and_b32 s99, s12, s11
	v_cmp_eq_u32_e64 s12, 8, v0
	v_writelane_b32 v212, s10, 8
	s_and_b32 s10, s14, s11
	v_cmp_lt_u32_e64 s14, 6, v0
	s_and_b32 s100, s13, s11
	v_cmp_lt_u32_e64 s13, 8, v0
	v_writelane_b32 v212, s10, 9
	s_and_b32 s10, s15, s11
	v_cmp_eq_u32_e64 s15, 7, v0
	s_and_b32 s101, s14, s11
	v_cmp_eq_u32_e64 s14, 9, v0
	v_writelane_b32 v212, s10, 10
	s_and_b32 s10, s16, s11
	v_cmp_lt_u32_e64 s16, 7, v0
	s_and_b32 s102, s15, s11
	v_cmp_lt_u32_e64 s15, 9, v0
	v_dual_add_nc_u32 v55, 64, v14 :: v_dual_sub_nc_u32 v17, v54, v16
	s_and_b32 s103, s16, s11
	v_cmp_eq_u32_e64 s16, 10, v0
	s_and_b32 s104, s12, s11
	s_and_b32 vcc_hi, s13, s11
	s_and_b32 s22, s14, s11
	s_and_b32 s23, s15, s11
	v_cmp_lt_u32_e64 s12, 10, v0
	v_cmp_eq_u32_e64 s13, 11, v0
	v_cmp_lt_u32_e64 s14, 11, v0
	v_cmp_eq_u32_e64 s15, 12, v0
	v_lshl_or_b32 v59, v13, 9, v56
	v_dual_lshlrev_b32 v13, 5, v3 :: v_dual_add_nc_u32 v60, v17, v56
	v_lshlrev_b32_e32 v70, 4, v0
	s_and_b32 s24, s16, s11
	v_cmp_lt_u32_e64 s16, 12, v0
	s_and_b32 s25, s12, s11
	s_and_b32 s26, s13, s11
	;; [unrolled: 1-line block ×4, first 2 shown]
	v_cmp_eq_u32_e64 s12, 13, v0
	v_cmp_lt_u32_e64 s13, 13, v0
	v_cmp_eq_u32_e64 s14, 14, v0
	v_cmp_eq_u32_e64 s15, 15, v0
	v_add_nc_u32_e32 v0, 48, v10
	v_mad_i32_i24 v83, 0xfffffe10, v22, v14
	s_and_b32 s29, s16, s11
	s_and_b32 s34, s14, s11
	v_cmp_gt_u32_e64 s16, 16, v22
	v_cmp_gt_i32_e64 s14, s52, v0
	v_mad_u32_u24 v0, 0x1f0, v22, v83
	v_add_nc_u32_e32 v61, 0x80, v1
	v_add_nc_u32_e32 v62, 0x90, v1
	s_and_b32 s88, s5, s16
	v_cmp_le_i32_e64 s16, s17, v22
	v_mad_i32_i24 v94, 0xfffffe10, v22, v0
	v_add_nc_u32_e32 v63, 0xa0, v1
	v_add_nc_u32_e32 v64, 0xb0, v1
	v_add_nc_u32_e32 v65, 0xc0, v1
	v_add_nc_u32_e32 v66, 0xd0, v1
	v_add_nc_u32_e32 v67, 0xe0, v1
	v_add_nc_u32_e32 v68, 0xf0, v1
	v_add_nc_u32_e32 v71, 0x2120, v1
	v_add_nc_u32_e32 v72, 0x2130, v1
	v_add_nc_u32_e32 v73, 0x2180, v1
	v_add_nc_u32_e32 v74, 0x2190, v1
	v_add_nc_u32_e32 v75, 0x21a0, v1
	v_add_nc_u32_e32 v76, 0x21b0, v1
	v_add_nc_u32_e32 v77, 0x21c0, v1
	v_add_nc_u32_e32 v78, 0x21d0, v1
	v_add_nc_u32_e32 v79, 0x21e0, v1
	v_add_nc_u32_e32 v80, 0x21f0, v1
	v_mad_u32_u24 v1, 0x1f0, v22, v94
	v_cmp_gt_u32_e64 s7, 2, v22
	s_and_b32 s89, s16, s31
	s_xor_b32 s62, vcc_lo, -1
	v_cmp_gt_i32_e32 vcc_lo, s17, v22
	s_and_b32 s30, s12, s11
	v_add_nc_u32_e32 v92, 0x860, v0
	v_add_nc_u32_e32 v93, 0x870, v0
	;; [unrolled: 1-line block ×12, first 2 shown]
	v_mad_i32_i24 v0, 0xfffffe10, v22, v1
	s_xor_b32 s12, s89, -1
	s_and_b32 s63, s8, s3
	s_and_b32 s65, s5, s7
	v_writelane_b32 v212, s10, 11
	s_and_b32 s33, s13, s11
	s_and_b32 s10, s15, s11
	;; [unrolled: 1-line block ×3, first 2 shown]
	s_cmp_gt_i32 s58, 0
	v_add_nc_u32_e32 v105, 0x18e0, v1
	v_add_nc_u32_e32 v106, 0x18f0, v1
	;; [unrolled: 1-line block ×8, first 2 shown]
	v_mul_u64_e32 v[0:1], s[18:19], v[6:7]
	s_cselect_b32 s91, -1, 0
	v_mad_nc_u64_u32 v[32:33], s18, v42, v[4:5]
	v_mad_nc_u64_u32 v[34:35], s18, v8, v[4:5]
	s_and_b32 s18, s5, vcc_lo
	v_mad_u32_u24 v24, v42, s2, v22
	v_writelane_b32 v212, s18, 12
	v_cmp_ne_u32_e64 s18, v22, v42
	v_cmp_gt_i32_e64 s2, s52, v6
	v_cmp_gt_i32_e64 s15, s52, v26
	v_cmp_le_i32_e32 vcc_lo, s17, v42
	v_cmp_le_i32_e64 s17, s17, v8
	v_writelane_b32 v212, s18, 13
	v_mul_u64_e32 v[28:29], s[54:55], v[6:7]
	v_add_nc_u64_e32 v[6:7], s[20:21], v[24:25]
	s_and_b32 s21, s15, s2
	s_or_b32 s15, s17, s16
	s_or_b32 s17, s16, s18
	v_mad_u32 v33, s19, v42, v33
	v_mad_u32 v35, s19, v8, v35
	v_cmp_ne_u32_e64 s19, v22, v8
	v_writelane_b32 v212, s17, 14
	s_and_b32 s20, s14, s2
	s_or_b32 s14, vcc_lo, s16
	v_cmp_gt_u32_e64 s31, 0xf0, v3
	s_or_b32 s16, s16, s19
	v_writelane_b32 v212, s19, 15
	v_mul_u64_e32 v[30:31], s[54:55], v[6:7]
	v_lshlrev_b32_e32 v10, 9, v22
	s_load_b256 s[40:47], s[0:1], 0x28
	v_and_b32_e32 v69, 0xfffffe00, v13
	v_writelane_b32 v212, s16, 16
	s_movk_i32 s35, 0x3c00
	v_mad_i32_i24 v13, 0xfffffe10, v22, v10
	v_dual_lshlrev_b32 v148, 4, v9 :: v_dual_bitop2_b32 v4, v8, v22 bitop3:0x54
	v_writelane_b32 v212, s31, 17
	v_cmp_gt_u32_e64 s31, 0xe0, v3
	s_delay_alu instid0(VALU_DEP_4)
	v_add_nc_u32_e32 v113, 0x2000, v13
	v_add_nc_u32_e32 v114, 0x2200, v13
	v_add_nc_u32_e32 v115, 0x2400, v13
	v_add_nc_u32_e32 v116, 0x2600, v13
	v_writelane_b32 v212, s31, 18
	v_cmp_gt_u32_e64 s31, 0xd0, v3
	v_add_nc_u32_e32 v117, 0x2800, v13
	v_add_nc_u32_e32 v118, 0x2a00, v13
	v_add_nc_u32_e32 v119, 0x2c00, v13
	v_add_nc_u32_e32 v120, 0x2e00, v13
	v_writelane_b32 v212, s31, 19
	v_cmp_gt_u32_e64 s31, 0xc0, v3
	;; [unrolled: 6-line block ×4, first 2 shown]
	v_lshl_add_u32 v128, v42, 9, v13
	v_lshlrev_b32_e32 v13, 4, v42
	v_mad_u32_u24 v202, 0x210, v22, s35
	v_cmp_gt_u32_e64 s35, 32, v12
	v_writelane_b32 v212, s31, 22
	v_cmp_gt_u32_e64 s31, 0x90, v3
	v_add_nc_u32_e32 v129, 0x6000, v13
	v_and_b32_e32 v168, -16, v3
	v_cmp_le_u32_e64 s12, v22, v42
	v_cmp_le_u32_e64 s13, v22, v8
	v_writelane_b32 v212, s31, 23
	v_cmp_gt_u32_e64 s31, 0x80, v3
	v_cmp_gt_u32_e64 s4, 2, v3
	;; [unrolled: 1-line block ×4, first 2 shown]
	v_add_nc_u32_e32 v57, 0x70, v14
	v_writelane_b32 v212, s31, 24
	v_cmp_gt_u32_e64 s31, 0x70, v3
	v_add_nc_u32_e32 v58, 0x4000, v16
	v_add_nc_u32_e32 v81, 0x60, v14
	v_add_nc_u32_e32 v82, 0x50, v14
	v_add_nc_u32_e32 v84, 0x10a0, v14
	v_writelane_b32 v212, s31, 25
	v_cmp_gt_u32_e64 s31, 0x60, v3
	v_add_nc_u32_e32 v85, 0x10b0, v14
	v_add_nc_u32_e32 v86, 0x2140, v14
	v_add_nc_u32_e32 v87, 0x2170, v14
	;; [unrolled: 6-line block ×3, first 2 shown]
	v_dual_add_nc_u32 v130, v10, v13 :: v_dual_sub_nc_u32 v147, 0, v10
	v_writelane_b32 v212, s31, 27
	v_or_b32_e32 v131, 0x100, v10
	v_or_b32_e32 v132, 0x110, v10
	;; [unrolled: 1-line block ×4, first 2 shown]
	v_writelane_b32 v212, s35, 28
	v_cmp_gt_u32_e64 s35, 32, v4
	v_or_b32_e32 v135, 0x140, v10
	v_or_b32_e32 v136, 0x150, v10
	;; [unrolled: 1-line block ×12, first 2 shown]
	v_dual_lshlrev_b32 v149, 4, v11 :: v_dual_bitop2_b32 v174, v69, v70 bitop3:0x54
	v_add_nc_u32_e32 v150, 0x400, v50
	v_add_nc_u32_e32 v151, 0x600, v50
	v_add_nc_u32_e32 v152, 0x800, v50
	v_add_nc_u32_e32 v153, 0xe00, v50
	v_add_nc_u32_e32 v154, 0xc00, v50
	v_add_nc_u32_e32 v155, 0xa00, v50
	v_add_nc_u32_e32 v156, 0xc40, v94
	v_add_nc_u32_e32 v157, 0xe40, v94
	v_add_nc_u32_e32 v158, 0x1000, v50
	v_add_nc_u32_e32 v159, 0x1200, v50
	v_add_nc_u32_e32 v160, 0x1400, v50
	v_add_nc_u32_e32 v161, 0x1600, v50
	v_add_nc_u32_e32 v162, 0x1800, v50
	v_add_nc_u32_e32 v163, 0x1a00, v50
	v_add_nc_u32_e32 v164, 0x1c00, v50
	v_add_nc_u32_e32 v165, 0x1e00, v50
	v_add_nc_u32_e32 v166, 0x1480, v83
	v_add_nc_u32_e32 v167, 0x1680, v83
	v_add_nc_u32_e32 v169, 0x1880, v83
	v_add_nc_u32_e32 v170, 0x1e80, v83
	v_add_nc_u32_e32 v171, 0x1c80, v83
	v_add_nc_u32_e32 v172, 0x1a80, v83
	v_add_nc_u32_e32 v175, 0x2500, v50
	v_add_nc_u32_e32 v176, 0x2700, v50
	v_add_nc_u32_e32 v177, 0x2900, v50
	v_add_nc_u32_e32 v178, 0x2f00, v50
	v_add_nc_u32_e32 v179, 0x2d00, v50
	v_add_nc_u32_e32 v180, 0x2b00, v50
	v_add_nc_u32_e32 v181, 0x2d40, v94
	v_add_nc_u32_e32 v182, 0x2f40, v94
	v_add_nc_u32_e32 v183, 0x3100, v50
	v_add_nc_u32_e32 v184, 0x3300, v50
	v_add_nc_u32_e32 v185, 0x3500, v50
	v_add_nc_u32_e32 v186, 0x3700, v50
	v_add_nc_u32_e32 v187, 0x3900, v50
	v_add_nc_u32_e32 v188, 0x3b00, v50
	v_add_nc_u32_e32 v189, 0x3d00, v50
	v_add_nc_u32_e32 v190, 0x3f00, v50
	v_add_nc_u32_e32 v191, 0x3580, v83
	v_add_nc_u32_e32 v192, 0x3780, v83
	v_add_nc_u32_e32 v193, 0x3980, v83
	v_add_nc_u32_e32 v194, 0x3f80, v83
	v_add_nc_u32_e32 v195, 0x3d80, v83
	v_add_nc_u32_e32 v196, 0x3b80, v83
	v_lshl_add_u32 v197, v24, 4, 0x6000
	v_lshl_add_u32 v198, v3, 4, 0x4000
	v_add_nc_u32_e32 v199, 0x4000, v45
	v_add_nc_u32_e32 v200, v129, v45
	;; [unrolled: 1-line block ×3, first 2 shown]
	v_mul_u32_u24_e32 v201, 0x210, v22
	v_cmp_gt_u32_e64 s16, 48, v3
	v_cmp_gt_u32_e64 s17, 40, v3
	;; [unrolled: 1-line block ×4, first 2 shown]
	v_cmp_eq_u32_e64 s31, 0, v12
	v_writelane_b32 v212, s35, 29
	v_cmp_eq_u32_e64 s35, 0, v24
	v_cmp_gt_u32_e64 s36, 32, v24
	s_add_co_i32 s92, s92, 1
	s_or_b32 s14, s14, s12
	s_or_b32 s15, s15, s13
	s_lshl_b64 s[50:51], s[50:51], 4
	s_wait_kmcnt 0x0
	s_lshl_b64 s[0:1], s[46:47], 4
                                        ; implicit-def: $vgpr6_vgpr7
                                        ; implicit-def: $vgpr10_vgpr11
	s_branch .LBB191_3
.LBB191_2:                              ;   in Loop: Header=BB191_3 Depth=1
	s_wait_xcnt 0x0
	s_or_b32 exec_lo, exec_lo, s46
	s_add_co_i32 s38, s38, 0x10000
	global_wb scope:SCOPE_DEV
	s_wait_storecnt 0x0
	global_inv scope:SCOPE_DEV
	s_cmp_lt_u32 s38, s37
	s_cbranch_scc0 .LBB191_574
.LBB191_3:                              ; =>This Loop Header: Depth=1
                                        ;     Child Loop BB191_453 Depth 2
                                        ;       Child Loop BB191_455 Depth 3
                                        ;     Child Loop BB191_486 Depth 2
	v_mov_b32_e32 v3, s38
	s_and_not1_b32 vcc_lo, exec_lo, s61
	s_clause 0x1
	global_load_b64 v[4:5], v3, s[48:49] scale_offset
	global_load_b64 v[38:39], v3, s[44:45] scale_offset
	s_wait_loadcnt 0x1
	v_add_nc_u64_e32 v[40:41], s[50:51], v[4:5]
	s_delay_alu instid0(VALU_DEP_1)
	v_lshl_add_u64 v[36:37], v[0:1], 4, v[40:41]
	s_cbranch_vccnz .LBB191_9
; %bb.4:                                ;   in Loop: Header=BB191_3 Depth=1
	v_mov_b64_e32 v[12:13], 0
	v_mov_b64_e32 v[6:7], 0
	;; [unrolled: 1-line block ×3, first 2 shown]
	v_lshl_add_u64 v[4:5], v[26:27], 4, v[36:37]
	s_wait_loadcnt 0x0
	s_barrier_signal -1
	s_barrier_wait -1
	s_wait_xcnt 0x0
	s_and_saveexec_b32 s46, s21
	s_cbranch_execz .LBB191_6
; %bb.5:                                ;   in Loop: Header=BB191_3 Depth=1
	flat_load_b128 v[6:9], v[4:5]
.LBB191_6:                              ;   in Loop: Header=BB191_3 Depth=1
	s_wait_xcnt 0x0
	s_or_b32 exec_lo, exec_lo, s46
	v_mov_b64_e32 v[10:11], 0
	s_wait_loadcnt_dscnt 0x0
	s_barrier_signal -1
	s_barrier_wait -1
	s_and_saveexec_b32 s46, s20
	s_cbranch_execz .LBB191_8
; %bb.7:                                ;   in Loop: Header=BB191_3 Depth=1
	flat_load_b128 v[10:13], v[4:5] offset:256
.LBB191_8:                              ;   in Loop: Header=BB191_3 Depth=1
	s_wait_xcnt 0x0
	s_or_b32 exec_lo, exec_lo, s46
.LBB191_9:                              ;   in Loop: Header=BB191_3 Depth=1
	s_delay_alu instid0(SALU_CYCLE_1)
	s_and_not1_b32 vcc_lo, exec_lo, s60
	s_mov_b32 s46, -1
	s_cbranch_vccnz .LBB191_16
; %bb.10:                               ;   in Loop: Header=BB191_3 Depth=1
	s_wait_xcnt 0x0
	s_and_saveexec_b32 s46, s12
	s_delay_alu instid0(SALU_CYCLE_1)
	s_xor_b32 s46, exec_lo, s46
	s_cbranch_execnz .LBB191_500
; %bb.11:                               ;   in Loop: Header=BB191_3 Depth=1
	s_and_not1_saveexec_b32 s46, s46
	s_cbranch_execnz .LBB191_511
.LBB191_12:                             ;   in Loop: Header=BB191_3 Depth=1
	s_or_b32 exec_lo, exec_lo, s46
	s_and_saveexec_b32 s46, s13
	s_delay_alu instid0(SALU_CYCLE_1)
	s_xor_b32 s46, exec_lo, s46
	s_cbranch_execnz .LBB191_512
.LBB191_13:                             ;   in Loop: Header=BB191_3 Depth=1
	s_and_not1_saveexec_b32 s46, s46
	s_cbranch_execz .LBB191_15
.LBB191_14:                             ;   in Loop: Header=BB191_3 Depth=1
	v_lshl_add_u64 v[4:5], v[34:35], 4, v[40:41]
	flat_load_b128 v[14:17], v[4:5]
	s_wait_loadcnt_dscnt 0x0
	v_xor_b32_e32 v15, 0x80000000, v15
	v_xor_b32_e32 v17, 0x80000000, v17
	ds_store_b128 v149, v[14:17]
.LBB191_15:                             ;   in Loop: Header=BB191_3 Depth=1
	s_or_b32 exec_lo, exec_lo, s46
	s_mov_b32 s46, 0
.LBB191_16:                             ;   in Loop: Header=BB191_3 Depth=1
	s_delay_alu instid0(SALU_CYCLE_1)
	s_and_b32 vcc_lo, exec_lo, s46
	s_cbranch_vccz .LBB191_23
; %bb.17:                               ;   in Loop: Header=BB191_3 Depth=1
	s_wait_xcnt 0x0
	s_and_saveexec_b32 s46, s14
	s_delay_alu instid0(SALU_CYCLE_1)
	s_xor_b32 s46, exec_lo, s46
	s_cbranch_execnz .LBB191_523
; %bb.18:                               ;   in Loop: Header=BB191_3 Depth=1
	s_and_not1_saveexec_b32 s46, s46
	s_cbranch_execnz .LBB191_534
.LBB191_19:                             ;   in Loop: Header=BB191_3 Depth=1
	s_or_b32 exec_lo, exec_lo, s46
	s_and_saveexec_b32 s46, s15
	s_delay_alu instid0(SALU_CYCLE_1)
	s_xor_b32 s46, exec_lo, s46
	s_cbranch_execnz .LBB191_535
.LBB191_20:                             ;   in Loop: Header=BB191_3 Depth=1
	s_and_not1_saveexec_b32 s46, s46
	s_cbranch_execz .LBB191_22
.LBB191_21:                             ;   in Loop: Header=BB191_3 Depth=1
	v_lshl_add_u64 v[4:5], v[34:35], 4, v[40:41]
	flat_load_b128 v[14:17], v[4:5]
	s_wait_loadcnt_dscnt 0x0
	v_xor_b32_e32 v15, 0x80000000, v15
	v_xor_b32_e32 v17, 0x80000000, v17
	ds_store_b128 v149, v[14:17]
.LBB191_22:                             ;   in Loop: Header=BB191_3 Depth=1
	s_or_b32 exec_lo, exec_lo, s46
.LBB191_23:                             ;   in Loop: Header=BB191_3 Depth=1
	s_delay_alu instid0(SALU_CYCLE_1)
	s_and_not1_b32 vcc_lo, exec_lo, s62
	s_wait_loadcnt_dscnt 0x0
	s_barrier_signal -1
	s_barrier_wait -1
	s_cbranch_vccnz .LBB191_447
; %bb.24:                               ;   in Loop: Header=BB191_3 Depth=1
	s_wait_xcnt 0x0
	s_and_saveexec_b32 s46, s31
	s_cbranch_execz .LBB191_26
; %bb.25:                               ;   in Loop: Header=BB191_3 Depth=1
	ds_load_b128 v[14:17], v2 offset:528
	ds_load_b128 v[18:21], v2
	s_wait_dscnt 0x0
	v_mul_f64_e32 v[4:5], v[14:15], v[20:21]
	v_mul_f64_e32 v[20:21], v[16:17], v[20:21]
	s_delay_alu instid0(VALU_DEP_2) | instskip(NEXT) | instid1(VALU_DEP_2)
	v_fmac_f64_e32 v[4:5], v[16:17], v[18:19]
	v_fma_f64 v[20:21], v[14:15], v[18:19], -v[20:21]
	ds_load_b128 v[14:17], v2 offset:16
	s_wait_dscnt 0x0
	v_mul_f64_e32 v[40:41], v[4:5], v[16:17]
	v_mul_f64_e32 v[18:19], v[20:21], v[16:17]
	s_delay_alu instid0(VALU_DEP_2) | instskip(NEXT) | instid1(VALU_DEP_2)
	v_fma_f64 v[16:17], v[14:15], v[20:21], -v[40:41]
	v_fmac_f64_e32 v[18:19], v[14:15], v[4:5]
	ds_store_b128 v2, v[16:19] offset:16
	ds_store_b128 v2, v[16:19] offset:512
.LBB191_26:                             ;   in Loop: Header=BB191_3 Depth=1
	s_or_b32 exec_lo, exec_lo, s46
	v_mov_b64_e32 v[16:17], 0
	v_mov_b64_e32 v[14:15], 0
	s_wait_dscnt 0x0
	s_barrier_signal -1
	s_barrier_wait -1
	s_and_saveexec_b32 s46, s3
	s_cbranch_execz .LBB191_30
; %bb.27:                               ;   in Loop: Header=BB191_3 Depth=1
	ds_load_b128 v[14:17], v44
	ds_load_b128 v[18:21], v43 offset:32
	s_wait_dscnt 0x0
	v_mul_f64_e32 v[4:5], v[16:17], v[20:21]
	v_mul_f64_e32 v[20:21], v[14:15], v[20:21]
	s_delay_alu instid0(VALU_DEP_2) | instskip(NEXT) | instid1(VALU_DEP_2)
	v_fma_f64 v[4:5], v[14:15], v[18:19], -v[4:5]
	v_fmac_f64_e32 v[20:21], v[16:17], v[18:19]
	s_delay_alu instid0(VALU_DEP_2) | instskip(NEXT) | instid1(VALU_DEP_2)
	v_add_f64_e32 v[14:15], 0, v[4:5]
	v_add_f64_e32 v[16:17], 0, v[20:21]
	s_and_saveexec_b32 s47, s4
	s_cbranch_execz .LBB191_29
; %bb.28:                               ;   in Loop: Header=BB191_3 Depth=1
	ds_load_b128 v[18:21], v2 offset:16
	ds_load_b128 v[204:207], v45 offset:544
	s_wait_dscnt 0x0
	v_mul_f64_e32 v[4:5], v[20:21], v[206:207]
	s_delay_alu instid0(VALU_DEP_1) | instskip(SKIP_1) | instid1(VALU_DEP_2)
	v_fma_f64 v[4:5], v[18:19], v[204:205], -v[4:5]
	v_mul_f64_e32 v[18:19], v[18:19], v[206:207]
	v_add_f64_e32 v[14:15], v[14:15], v[4:5]
	s_delay_alu instid0(VALU_DEP_2) | instskip(NEXT) | instid1(VALU_DEP_1)
	v_fmac_f64_e32 v[18:19], v[20:21], v[204:205]
	v_add_f64_e32 v[16:17], v[16:17], v[18:19]
.LBB191_29:                             ;   in Loop: Header=BB191_3 Depth=1
	s_or_b32 exec_lo, exec_lo, s47
	s_delay_alu instid0(VALU_DEP_2) | instskip(NEXT) | instid1(VALU_DEP_2)
	v_xor_b32_e32 v15, 0x80000000, v15
	v_xor_b32_e32 v17, 0x80000000, v17
.LBB191_30:                             ;   in Loop: Header=BB191_3 Depth=1
	s_or_b32 exec_lo, exec_lo, s46
	s_and_saveexec_b32 s46, s63
	s_cbranch_execz .LBB191_32
; %bb.31:                               ;   in Loop: Header=BB191_3 Depth=1
	ds_load_b128 v[18:21], v2 offset:1056
	s_wait_dscnt 0x0
	v_mul_f64_e32 v[4:5], v[16:17], v[20:21]
	v_mul_f64_e32 v[206:207], v[14:15], v[20:21]
	s_delay_alu instid0(VALU_DEP_2) | instskip(NEXT) | instid1(VALU_DEP_2)
	v_fma_f64 v[204:205], v[14:15], v[18:19], -v[4:5]
	v_fmac_f64_e32 v[206:207], v[16:17], v[18:19]
	s_delay_alu instid0(VALU_DEP_2) | instskip(NEXT) | instid1(VALU_DEP_2)
	v_mov_b64_e32 v[14:15], v[204:205]
	v_mov_b64_e32 v[16:17], v[206:207]
	ds_store_b128 v23, v[204:207]
.LBB191_32:                             ;   in Loop: Header=BB191_3 Depth=1
	s_or_b32 exec_lo, exec_lo, s46
	s_wait_dscnt 0x0
	s_barrier_signal -1
	s_barrier_wait -1
	s_and_saveexec_b32 s46, s64
	s_cbranch_execz .LBB191_34
; %bb.33:                               ;   in Loop: Header=BB191_3 Depth=1
	ds_load_b128 v[18:21], v23
	ds_load_b128 v[204:207], v2 offset:1072
	s_wait_dscnt 0x0
	v_mul_f64_e32 v[4:5], v[20:21], v[206:207]
	s_delay_alu instid0(VALU_DEP_1) | instskip(SKIP_1) | instid1(VALU_DEP_2)
	v_fma_f64 v[4:5], v[18:19], v[204:205], -v[4:5]
	v_mul_f64_e32 v[18:19], v[18:19], v[206:207]
	v_add_f64_e32 v[14:15], v[14:15], v[4:5]
	s_delay_alu instid0(VALU_DEP_2) | instskip(NEXT) | instid1(VALU_DEP_1)
	v_fmac_f64_e32 v[18:19], v[20:21], v[204:205]
	v_add_f64_e32 v[16:17], v[16:17], v[18:19]
.LBB191_34:                             ;   in Loop: Header=BB191_3 Depth=1
	s_or_b32 exec_lo, exec_lo, s46
	s_barrier_signal -1
	s_barrier_wait -1
	s_and_saveexec_b32 s46, s64
	s_cbranch_execz .LBB191_36
; %bb.35:                               ;   in Loop: Header=BB191_3 Depth=1
	ds_load_b128 v[18:21], v2 offset:1584
	s_wait_dscnt 0x0
	v_mul_f64_e32 v[4:5], v[16:17], v[20:21]
	v_mul_f64_e32 v[206:207], v[14:15], v[20:21]
	s_delay_alu instid0(VALU_DEP_2) | instskip(NEXT) | instid1(VALU_DEP_2)
	v_fma_f64 v[204:205], v[14:15], v[18:19], -v[4:5]
	v_fmac_f64_e32 v[206:207], v[16:17], v[18:19]
	s_delay_alu instid0(VALU_DEP_2) | instskip(NEXT) | instid1(VALU_DEP_2)
	v_mov_b64_e32 v[14:15], v[204:205]
	v_mov_b64_e32 v[16:17], v[206:207]
	ds_store_b128 v23, v[204:207]
.LBB191_36:                             ;   in Loop: Header=BB191_3 Depth=1
	s_or_b32 exec_lo, exec_lo, s46
	s_wait_dscnt 0x0
	s_barrier_signal -1
	s_barrier_wait -1
	s_barrier_signal -1
	s_barrier_wait -1
	s_and_saveexec_b32 s46, s3
; %bb.37:                               ;   in Loop: Header=BB191_3 Depth=1
	s_delay_alu instid0(VALU_DEP_3) | instskip(NEXT) | instid1(VALU_DEP_2)
	v_xor_b32_e32 v15, 0x80000000, v15
	v_xor_b32_e32 v17, 0x80000000, v17
	ds_store_b128 v43, v[14:17] offset:32
; %bb.38:                               ;   in Loop: Header=BB191_3 Depth=1
	s_or_b32 exec_lo, exec_lo, s46
	s_wait_dscnt 0x0
	s_barrier_signal -1
	s_barrier_wait -1
	s_barrier_signal -1
	s_barrier_wait -1
	s_and_saveexec_b32 s46, s65
	s_cbranch_execz .LBB191_40
; %bb.39:                               ;   in Loop: Header=BB191_3 Depth=1
	ds_load_b128 v[14:17], v46
	s_wait_dscnt 0x0
	ds_store_b128 v150, v[14:17]
	ds_load_b128 v[14:17], v48
	s_wait_dscnt 0x0
	ds_store_b128 v151, v[14:17]
.LBB191_40:                             ;   in Loop: Header=BB191_3 Depth=1
	s_or_b32 exec_lo, exec_lo, s46
	s_wait_dscnt 0x0
	s_barrier_signal -1
	s_barrier_wait -1
	s_and_saveexec_b32 s46, s31
	s_cbranch_execz .LBB191_42
; %bb.41:                               ;   in Loop: Header=BB191_3 Depth=1
	ds_load_b128 v[14:17], v2 offset:1584
	ds_load_b128 v[18:21], v2 offset:1056
	s_wait_dscnt 0x0
	v_mul_f64_e32 v[4:5], v[14:15], v[20:21]
	v_mul_f64_e32 v[20:21], v[16:17], v[20:21]
	s_delay_alu instid0(VALU_DEP_2) | instskip(NEXT) | instid1(VALU_DEP_2)
	v_fmac_f64_e32 v[4:5], v[16:17], v[18:19]
	v_fma_f64 v[20:21], v[14:15], v[18:19], -v[20:21]
	ds_load_b128 v[14:17], v2 offset:1072
	s_wait_dscnt 0x0
	v_mul_f64_e32 v[40:41], v[4:5], v[16:17]
	v_mul_f64_e32 v[18:19], v[20:21], v[16:17]
	s_delay_alu instid0(VALU_DEP_2) | instskip(NEXT) | instid1(VALU_DEP_2)
	v_fma_f64 v[16:17], v[14:15], v[20:21], -v[40:41]
	v_fmac_f64_e32 v[18:19], v[14:15], v[4:5]
	ds_store_b128 v2, v[16:19] offset:1072
	ds_store_b128 v2, v[16:19] offset:1568
.LBB191_42:                             ;   in Loop: Header=BB191_3 Depth=1
	s_or_b32 exec_lo, exec_lo, s46
	v_mov_b64_e32 v[16:17], 0
	v_mov_b64_e32 v[14:15], 0
	s_wait_dscnt 0x0
	s_barrier_signal -1
	s_barrier_wait -1
	s_and_saveexec_b32 s46, s6
	s_cbranch_execz .LBB191_48
; %bb.43:                               ;   in Loop: Header=BB191_3 Depth=1
	ds_load_b128 v[14:17], v47
	ds_load_b128 v[18:21], v52 offset:64
	s_wait_dscnt 0x0
	v_mul_f64_e32 v[4:5], v[16:17], v[20:21]
	v_mul_f64_e32 v[20:21], v[14:15], v[20:21]
	s_delay_alu instid0(VALU_DEP_2) | instskip(NEXT) | instid1(VALU_DEP_2)
	v_fma_f64 v[4:5], v[14:15], v[18:19], -v[4:5]
	v_fmac_f64_e32 v[20:21], v[16:17], v[18:19]
	s_delay_alu instid0(VALU_DEP_2) | instskip(NEXT) | instid1(VALU_DEP_2)
	v_add_f64_e32 v[14:15], 0, v[4:5]
	v_add_f64_e32 v[16:17], 0, v[20:21]
	s_and_saveexec_b32 s47, s7
	s_cbranch_execnz .LBB191_550
; %bb.44:                               ;   in Loop: Header=BB191_3 Depth=1
	s_or_b32 exec_lo, exec_lo, s47
	s_and_saveexec_b32 s47, s8
	s_cbranch_execnz .LBB191_551
.LBB191_45:                             ;   in Loop: Header=BB191_3 Depth=1
	s_or_b32 exec_lo, exec_lo, s47
	s_and_saveexec_b32 s47, s3
	s_cbranch_execz .LBB191_47
.LBB191_46:                             ;   in Loop: Header=BB191_3 Depth=1
	ds_load_b128 v[18:21], v2 offset:48
	ds_load_b128 v[204:207], v50 offset:1600
	s_wait_dscnt 0x0
	v_mul_f64_e32 v[4:5], v[20:21], v[206:207]
	s_delay_alu instid0(VALU_DEP_1) | instskip(SKIP_1) | instid1(VALU_DEP_2)
	v_fma_f64 v[4:5], v[18:19], v[204:205], -v[4:5]
	v_mul_f64_e32 v[18:19], v[18:19], v[206:207]
	v_add_f64_e32 v[14:15], v[14:15], v[4:5]
	s_delay_alu instid0(VALU_DEP_2) | instskip(NEXT) | instid1(VALU_DEP_1)
	v_fmac_f64_e32 v[18:19], v[20:21], v[204:205]
	v_add_f64_e32 v[16:17], v[16:17], v[18:19]
.LBB191_47:                             ;   in Loop: Header=BB191_3 Depth=1
	s_or_b32 exec_lo, exec_lo, s47
	s_delay_alu instid0(VALU_DEP_2) | instskip(NEXT) | instid1(VALU_DEP_2)
	v_xor_b32_e32 v15, 0x80000000, v15
	v_xor_b32_e32 v17, 0x80000000, v17
.LBB191_48:                             ;   in Loop: Header=BB191_3 Depth=1
	s_or_b32 exec_lo, exec_lo, s46
	s_and_saveexec_b32 s46, s66
	s_cbranch_execz .LBB191_50
; %bb.49:                               ;   in Loop: Header=BB191_3 Depth=1
	ds_load_b128 v[18:21], v2 offset:2112
	s_wait_dscnt 0x0
	v_mul_f64_e32 v[4:5], v[16:17], v[20:21]
	v_mul_f64_e32 v[206:207], v[14:15], v[20:21]
	s_delay_alu instid0(VALU_DEP_2) | instskip(NEXT) | instid1(VALU_DEP_2)
	v_fma_f64 v[204:205], v[14:15], v[18:19], -v[4:5]
	v_fmac_f64_e32 v[206:207], v[16:17], v[18:19]
	s_delay_alu instid0(VALU_DEP_2) | instskip(NEXT) | instid1(VALU_DEP_2)
	v_mov_b64_e32 v[14:15], v[204:205]
	v_mov_b64_e32 v[16:17], v[206:207]
	ds_store_b128 v51, v[204:207]
.LBB191_50:                             ;   in Loop: Header=BB191_3 Depth=1
	s_or_b32 exec_lo, exec_lo, s46
	s_wait_dscnt 0x0
	s_barrier_signal -1
	s_barrier_wait -1
	s_and_saveexec_b32 s46, s67
	s_cbranch_execz .LBB191_52
; %bb.51:                               ;   in Loop: Header=BB191_3 Depth=1
	ds_load_b128 v[18:21], v51
	ds_load_b128 v[204:207], v49 offset:2112
	s_wait_dscnt 0x0
	v_mul_f64_e32 v[4:5], v[20:21], v[206:207]
	s_delay_alu instid0(VALU_DEP_1) | instskip(SKIP_1) | instid1(VALU_DEP_2)
	v_fma_f64 v[4:5], v[18:19], v[204:205], -v[4:5]
	v_mul_f64_e32 v[18:19], v[18:19], v[206:207]
	v_add_f64_e32 v[14:15], v[14:15], v[4:5]
	s_delay_alu instid0(VALU_DEP_2) | instskip(NEXT) | instid1(VALU_DEP_1)
	v_fmac_f64_e32 v[18:19], v[20:21], v[204:205]
	v_add_f64_e32 v[16:17], v[16:17], v[18:19]
.LBB191_52:                             ;   in Loop: Header=BB191_3 Depth=1
	s_or_b32 exec_lo, exec_lo, s46
	s_barrier_signal -1
	s_barrier_wait -1
	s_and_saveexec_b32 s46, s68
	s_cbranch_execz .LBB191_54
; %bb.53:                               ;   in Loop: Header=BB191_3 Depth=1
	ds_load_b128 v[18:21], v2 offset:2640
	s_wait_dscnt 0x0
	v_mul_f64_e32 v[4:5], v[16:17], v[20:21]
	v_mul_f64_e32 v[206:207], v[14:15], v[20:21]
	s_delay_alu instid0(VALU_DEP_2) | instskip(NEXT) | instid1(VALU_DEP_2)
	v_fma_f64 v[204:205], v[14:15], v[18:19], -v[4:5]
	v_fmac_f64_e32 v[206:207], v[16:17], v[18:19]
	s_delay_alu instid0(VALU_DEP_2) | instskip(NEXT) | instid1(VALU_DEP_2)
	v_mov_b64_e32 v[14:15], v[204:205]
	v_mov_b64_e32 v[16:17], v[206:207]
	ds_store_b128 v51, v[204:207]
.LBB191_54:                             ;   in Loop: Header=BB191_3 Depth=1
	s_or_b32 exec_lo, exec_lo, s46
	s_wait_dscnt 0x0
	s_barrier_signal -1
	s_barrier_wait -1
	s_and_saveexec_b32 s46, s69
	s_cbranch_execz .LBB191_56
; %bb.55:                               ;   in Loop: Header=BB191_3 Depth=1
	ds_load_b128 v[18:21], v51
	ds_load_b128 v[204:207], v49 offset:2624
	s_wait_dscnt 0x0
	v_mul_f64_e32 v[4:5], v[20:21], v[206:207]
	s_delay_alu instid0(VALU_DEP_1) | instskip(SKIP_1) | instid1(VALU_DEP_2)
	v_fma_f64 v[4:5], v[18:19], v[204:205], -v[4:5]
	v_mul_f64_e32 v[18:19], v[18:19], v[206:207]
	v_add_f64_e32 v[14:15], v[14:15], v[4:5]
	s_delay_alu instid0(VALU_DEP_2) | instskip(NEXT) | instid1(VALU_DEP_1)
	v_fmac_f64_e32 v[18:19], v[20:21], v[204:205]
	v_add_f64_e32 v[16:17], v[16:17], v[18:19]
.LBB191_56:                             ;   in Loop: Header=BB191_3 Depth=1
	s_or_b32 exec_lo, exec_lo, s46
	s_barrier_signal -1
	s_barrier_wait -1
	;; [unrolled: 37-line block ×3, first 2 shown]
	s_and_saveexec_b32 s46, s71
	s_cbranch_execz .LBB191_62
; %bb.61:                               ;   in Loop: Header=BB191_3 Depth=1
	ds_load_b128 v[18:21], v2 offset:3696
	s_wait_dscnt 0x0
	v_mul_f64_e32 v[4:5], v[16:17], v[20:21]
	v_mul_f64_e32 v[206:207], v[14:15], v[20:21]
	s_delay_alu instid0(VALU_DEP_2) | instskip(NEXT) | instid1(VALU_DEP_2)
	v_fma_f64 v[204:205], v[14:15], v[18:19], -v[4:5]
	v_fmac_f64_e32 v[206:207], v[16:17], v[18:19]
	s_delay_alu instid0(VALU_DEP_2) | instskip(NEXT) | instid1(VALU_DEP_2)
	v_mov_b64_e32 v[14:15], v[204:205]
	v_mov_b64_e32 v[16:17], v[206:207]
	ds_store_b128 v51, v[204:207]
.LBB191_62:                             ;   in Loop: Header=BB191_3 Depth=1
	s_or_b32 exec_lo, exec_lo, s46
	s_wait_dscnt 0x0
	s_barrier_signal -1
	s_barrier_wait -1
	s_barrier_signal -1
	s_barrier_wait -1
	s_and_saveexec_b32 s46, s6
; %bb.63:                               ;   in Loop: Header=BB191_3 Depth=1
	s_delay_alu instid0(VALU_DEP_1) | instskip(NEXT) | instid1(VALU_DEP_4)
	v_xor_b32_e32 v17, 0x80000000, v17
	v_xor_b32_e32 v15, 0x80000000, v15
	ds_store_b128 v52, v[14:17] offset:64
; %bb.64:                               ;   in Loop: Header=BB191_3 Depth=1
	s_or_b32 exec_lo, exec_lo, s46
	s_wait_dscnt 0x0
	s_barrier_signal -1
	s_barrier_wait -1
	s_barrier_signal -1
	s_barrier_wait -1
	s_and_saveexec_b32 s46, s72
	s_cbranch_execz .LBB191_66
; %bb.65:                               ;   in Loop: Header=BB191_3 Depth=1
	ds_load_b128 v[14:17], v55
	s_wait_dscnt 0x0
	ds_store_b128 v152, v[14:17]
	ds_load_b128 v[14:17], v82
	s_wait_dscnt 0x0
	ds_store_b128 v155, v[14:17]
	;; [unrolled: 3-line block ×4, first 2 shown]
.LBB191_66:                             ;   in Loop: Header=BB191_3 Depth=1
	s_or_b32 exec_lo, exec_lo, s46
	s_wait_dscnt 0x0
	s_barrier_signal -1
	s_barrier_wait -1
	s_and_saveexec_b32 s46, s31
	s_cbranch_execz .LBB191_68
; %bb.67:                               ;   in Loop: Header=BB191_3 Depth=1
	ds_load_b128 v[14:17], v2 offset:2640
	ds_load_b128 v[18:21], v2 offset:2112
	s_wait_dscnt 0x0
	v_mul_f64_e32 v[4:5], v[14:15], v[20:21]
	v_mul_f64_e32 v[20:21], v[16:17], v[20:21]
	s_delay_alu instid0(VALU_DEP_2) | instskip(NEXT) | instid1(VALU_DEP_2)
	v_fmac_f64_e32 v[4:5], v[16:17], v[18:19]
	v_fma_f64 v[20:21], v[14:15], v[18:19], -v[20:21]
	ds_load_b128 v[14:17], v2 offset:2128
	s_wait_dscnt 0x0
	v_mul_f64_e32 v[40:41], v[4:5], v[16:17]
	v_mul_f64_e32 v[18:19], v[20:21], v[16:17]
	s_delay_alu instid0(VALU_DEP_2) | instskip(NEXT) | instid1(VALU_DEP_2)
	v_fma_f64 v[16:17], v[14:15], v[20:21], -v[40:41]
	v_fmac_f64_e32 v[18:19], v[14:15], v[4:5]
	ds_store_b128 v2, v[16:19] offset:2128
	ds_store_b128 v2, v[16:19] offset:2624
.LBB191_68:                             ;   in Loop: Header=BB191_3 Depth=1
	s_or_b32 exec_lo, exec_lo, s46
	v_mov_b64_e32 v[16:17], 0
	v_mov_b64_e32 v[14:15], 0
	s_wait_dscnt 0x0
	s_barrier_signal -1
	s_barrier_wait -1
	s_and_saveexec_b32 s46, s3
	s_cbranch_execz .LBB191_72
; %bb.69:                               ;   in Loop: Header=BB191_3 Depth=1
	ds_load_b128 v[14:17], v44 offset:2112
	ds_load_b128 v[18:21], v43 offset:2144
	s_wait_dscnt 0x0
	v_mul_f64_e32 v[4:5], v[16:17], v[20:21]
	v_mul_f64_e32 v[20:21], v[14:15], v[20:21]
	s_delay_alu instid0(VALU_DEP_2) | instskip(NEXT) | instid1(VALU_DEP_2)
	v_fma_f64 v[4:5], v[14:15], v[18:19], -v[4:5]
	v_fmac_f64_e32 v[20:21], v[16:17], v[18:19]
	s_delay_alu instid0(VALU_DEP_2) | instskip(NEXT) | instid1(VALU_DEP_2)
	v_add_f64_e32 v[14:15], 0, v[4:5]
	v_add_f64_e32 v[16:17], 0, v[20:21]
	s_and_saveexec_b32 s47, s4
	s_cbranch_execz .LBB191_71
; %bb.70:                               ;   in Loop: Header=BB191_3 Depth=1
	ds_load_b128 v[18:21], v2 offset:2128
	ds_load_b128 v[204:207], v83 offset:2656
	s_wait_dscnt 0x0
	v_mul_f64_e32 v[4:5], v[20:21], v[206:207]
	s_delay_alu instid0(VALU_DEP_1) | instskip(SKIP_1) | instid1(VALU_DEP_2)
	v_fma_f64 v[4:5], v[18:19], v[204:205], -v[4:5]
	v_mul_f64_e32 v[18:19], v[18:19], v[206:207]
	v_add_f64_e32 v[14:15], v[14:15], v[4:5]
	s_delay_alu instid0(VALU_DEP_2) | instskip(NEXT) | instid1(VALU_DEP_1)
	v_fmac_f64_e32 v[18:19], v[20:21], v[204:205]
	v_add_f64_e32 v[16:17], v[16:17], v[18:19]
.LBB191_71:                             ;   in Loop: Header=BB191_3 Depth=1
	s_or_b32 exec_lo, exec_lo, s47
	s_delay_alu instid0(VALU_DEP_2) | instskip(NEXT) | instid1(VALU_DEP_2)
	v_xor_b32_e32 v15, 0x80000000, v15
	v_xor_b32_e32 v17, 0x80000000, v17
.LBB191_72:                             ;   in Loop: Header=BB191_3 Depth=1
	s_or_b32 exec_lo, exec_lo, s46
	s_and_saveexec_b32 s46, s63
	s_cbranch_execz .LBB191_74
; %bb.73:                               ;   in Loop: Header=BB191_3 Depth=1
	ds_load_b128 v[18:21], v2 offset:3168
	s_wait_dscnt 0x0
	v_mul_f64_e32 v[4:5], v[16:17], v[20:21]
	v_mul_f64_e32 v[206:207], v[14:15], v[20:21]
	s_delay_alu instid0(VALU_DEP_2) | instskip(NEXT) | instid1(VALU_DEP_2)
	v_fma_f64 v[204:205], v[14:15], v[18:19], -v[4:5]
	v_fmac_f64_e32 v[206:207], v[16:17], v[18:19]
	s_delay_alu instid0(VALU_DEP_2) | instskip(NEXT) | instid1(VALU_DEP_2)
	v_mov_b64_e32 v[14:15], v[204:205]
	v_mov_b64_e32 v[16:17], v[206:207]
	ds_store_b128 v23, v[204:207]
.LBB191_74:                             ;   in Loop: Header=BB191_3 Depth=1
	s_or_b32 exec_lo, exec_lo, s46
	s_wait_dscnt 0x0
	s_barrier_signal -1
	s_barrier_wait -1
	s_and_saveexec_b32 s46, s64
	s_cbranch_execz .LBB191_76
; %bb.75:                               ;   in Loop: Header=BB191_3 Depth=1
	ds_load_b128 v[18:21], v23
	ds_load_b128 v[204:207], v2 offset:3184
	s_wait_dscnt 0x0
	v_mul_f64_e32 v[4:5], v[20:21], v[206:207]
	s_delay_alu instid0(VALU_DEP_1) | instskip(SKIP_1) | instid1(VALU_DEP_2)
	v_fma_f64 v[4:5], v[18:19], v[204:205], -v[4:5]
	v_mul_f64_e32 v[18:19], v[18:19], v[206:207]
	v_add_f64_e32 v[14:15], v[14:15], v[4:5]
	s_delay_alu instid0(VALU_DEP_2) | instskip(NEXT) | instid1(VALU_DEP_1)
	v_fmac_f64_e32 v[18:19], v[20:21], v[204:205]
	v_add_f64_e32 v[16:17], v[16:17], v[18:19]
.LBB191_76:                             ;   in Loop: Header=BB191_3 Depth=1
	s_or_b32 exec_lo, exec_lo, s46
	s_barrier_signal -1
	s_barrier_wait -1
	s_and_saveexec_b32 s46, s64
	s_cbranch_execz .LBB191_78
; %bb.77:                               ;   in Loop: Header=BB191_3 Depth=1
	ds_load_b128 v[18:21], v2 offset:3696
	s_wait_dscnt 0x0
	v_mul_f64_e32 v[4:5], v[16:17], v[20:21]
	v_mul_f64_e32 v[206:207], v[14:15], v[20:21]
	s_delay_alu instid0(VALU_DEP_2) | instskip(NEXT) | instid1(VALU_DEP_2)
	v_fma_f64 v[204:205], v[14:15], v[18:19], -v[4:5]
	v_fmac_f64_e32 v[206:207], v[16:17], v[18:19]
	s_delay_alu instid0(VALU_DEP_2) | instskip(NEXT) | instid1(VALU_DEP_2)
	v_mov_b64_e32 v[14:15], v[204:205]
	v_mov_b64_e32 v[16:17], v[206:207]
	ds_store_b128 v23, v[204:207]
.LBB191_78:                             ;   in Loop: Header=BB191_3 Depth=1
	s_or_b32 exec_lo, exec_lo, s46
	s_wait_dscnt 0x0
	s_barrier_signal -1
	s_barrier_wait -1
	s_barrier_signal -1
	s_barrier_wait -1
	s_and_saveexec_b32 s46, s3
; %bb.79:                               ;   in Loop: Header=BB191_3 Depth=1
	s_delay_alu instid0(VALU_DEP_3) | instskip(NEXT) | instid1(VALU_DEP_2)
	v_xor_b32_e32 v15, 0x80000000, v15
	v_xor_b32_e32 v17, 0x80000000, v17
	ds_store_b128 v43, v[14:17] offset:2144
; %bb.80:                               ;   in Loop: Header=BB191_3 Depth=1
	s_or_b32 exec_lo, exec_lo, s46
	s_wait_dscnt 0x0
	s_barrier_signal -1
	s_barrier_wait -1
	s_barrier_signal -1
	s_barrier_wait -1
	s_and_saveexec_b32 s46, s65
	s_cbranch_execz .LBB191_82
; %bb.81:                               ;   in Loop: Header=BB191_3 Depth=1
	ds_load_b128 v[14:17], v92
	s_wait_dscnt 0x0
	ds_store_b128 v156, v[14:17]
	ds_load_b128 v[14:17], v93
	s_wait_dscnt 0x0
	ds_store_b128 v157, v[14:17]
.LBB191_82:                             ;   in Loop: Header=BB191_3 Depth=1
	s_or_b32 exec_lo, exec_lo, s46
	s_wait_dscnt 0x0
	s_barrier_signal -1
	s_barrier_wait -1
	s_and_saveexec_b32 s46, s31
	s_cbranch_execz .LBB191_84
; %bb.83:                               ;   in Loop: Header=BB191_3 Depth=1
	ds_load_b128 v[14:17], v2 offset:3696
	ds_load_b128 v[18:21], v2 offset:3168
	s_wait_dscnt 0x0
	v_mul_f64_e32 v[4:5], v[14:15], v[20:21]
	v_mul_f64_e32 v[20:21], v[16:17], v[20:21]
	s_delay_alu instid0(VALU_DEP_2) | instskip(NEXT) | instid1(VALU_DEP_2)
	v_fmac_f64_e32 v[4:5], v[16:17], v[18:19]
	v_fma_f64 v[20:21], v[14:15], v[18:19], -v[20:21]
	ds_load_b128 v[14:17], v2 offset:3184
	s_wait_dscnt 0x0
	v_mul_f64_e32 v[40:41], v[4:5], v[16:17]
	v_mul_f64_e32 v[18:19], v[20:21], v[16:17]
	s_delay_alu instid0(VALU_DEP_2) | instskip(NEXT) | instid1(VALU_DEP_2)
	v_fma_f64 v[16:17], v[14:15], v[20:21], -v[40:41]
	v_fmac_f64_e32 v[18:19], v[14:15], v[4:5]
	ds_store_b128 v2, v[16:19] offset:3184
	ds_store_b128 v2, v[16:19] offset:3680
.LBB191_84:                             ;   in Loop: Header=BB191_3 Depth=1
	s_or_b32 exec_lo, exec_lo, s46
	v_mov_b64_e32 v[16:17], 0
	v_mov_b64_e32 v[14:15], 0
	s_wait_dscnt 0x0
	s_barrier_signal -1
	s_barrier_wait -1
	s_and_saveexec_b32 s46, s9
	s_cbranch_execz .LBB191_94
; %bb.85:                               ;   in Loop: Header=BB191_3 Depth=1
	ds_load_b128 v[14:17], v54
	ds_load_b128 v[18:21], v59 offset:128
	s_wait_dscnt 0x0
	v_mul_f64_e32 v[4:5], v[16:17], v[20:21]
	v_mul_f64_e32 v[20:21], v[14:15], v[20:21]
	s_delay_alu instid0(VALU_DEP_2) | instskip(NEXT) | instid1(VALU_DEP_2)
	v_fma_f64 v[4:5], v[14:15], v[18:19], -v[4:5]
	v_fmac_f64_e32 v[20:21], v[16:17], v[18:19]
	s_delay_alu instid0(VALU_DEP_2) | instskip(NEXT) | instid1(VALU_DEP_2)
	v_add_f64_e32 v[14:15], 0, v[4:5]
	v_add_f64_e32 v[16:17], 0, v[20:21]
	s_mov_b32 s47, exec_lo
	v_readlane_b32 s93, v212, 0
	s_and_b32 s93, s47, s93
	s_delay_alu instid0(SALU_CYCLE_1)
	s_mov_b32 exec_lo, s93
	s_cbranch_execnz .LBB191_552
; %bb.86:                               ;   in Loop: Header=BB191_3 Depth=1
	s_or_b32 exec_lo, exec_lo, s47
	s_and_saveexec_b32 s47, s16
	s_cbranch_execnz .LBB191_553
.LBB191_87:                             ;   in Loop: Header=BB191_3 Depth=1
	s_or_b32 exec_lo, exec_lo, s47
	s_and_saveexec_b32 s47, s17
	s_cbranch_execnz .LBB191_554
.LBB191_88:                             ;   in Loop: Header=BB191_3 Depth=1
	s_or_b32 exec_lo, exec_lo, s47
	s_and_saveexec_b32 s47, s18
	s_cbranch_execnz .LBB191_555
.LBB191_89:                             ;   in Loop: Header=BB191_3 Depth=1
	s_or_b32 exec_lo, exec_lo, s47
	s_and_saveexec_b32 s47, s19
	s_cbranch_execnz .LBB191_556
.LBB191_90:                             ;   in Loop: Header=BB191_3 Depth=1
	s_or_b32 exec_lo, exec_lo, s47
	s_and_saveexec_b32 s47, s6
	s_cbranch_execnz .LBB191_557
.LBB191_91:                             ;   in Loop: Header=BB191_3 Depth=1
	s_or_b32 exec_lo, exec_lo, s47
	s_and_saveexec_b32 s47, s8
	s_cbranch_execz .LBB191_93
.LBB191_92:                             ;   in Loop: Header=BB191_3 Depth=1
	ds_load_b128 v[18:21], v2 offset:112
	ds_load_b128 v[204:207], v45 offset:3712
	s_wait_dscnt 0x0
	v_mul_f64_e32 v[4:5], v[20:21], v[206:207]
	s_delay_alu instid0(VALU_DEP_1) | instskip(SKIP_1) | instid1(VALU_DEP_2)
	v_fma_f64 v[4:5], v[18:19], v[204:205], -v[4:5]
	v_mul_f64_e32 v[18:19], v[18:19], v[206:207]
	v_add_f64_e32 v[14:15], v[14:15], v[4:5]
	s_delay_alu instid0(VALU_DEP_2) | instskip(NEXT) | instid1(VALU_DEP_1)
	v_fmac_f64_e32 v[18:19], v[20:21], v[204:205]
	v_add_f64_e32 v[16:17], v[16:17], v[18:19]
.LBB191_93:                             ;   in Loop: Header=BB191_3 Depth=1
	s_or_b32 exec_lo, exec_lo, s47
	s_delay_alu instid0(VALU_DEP_3) | instskip(NEXT) | instid1(VALU_DEP_2)
	v_xor_b32_e32 v15, 0x80000000, v15
	v_xor_b32_e32 v17, 0x80000000, v17
.LBB191_94:                             ;   in Loop: Header=BB191_3 Depth=1
	s_or_b32 exec_lo, exec_lo, s46
	s_and_saveexec_b32 s46, s73
	s_cbranch_execz .LBB191_96
; %bb.95:                               ;   in Loop: Header=BB191_3 Depth=1
	ds_load_b128 v[18:21], v2 offset:4224
	s_wait_dscnt 0x0
	v_mul_f64_e32 v[4:5], v[16:17], v[20:21]
	v_mul_f64_e32 v[206:207], v[14:15], v[20:21]
	s_delay_alu instid0(VALU_DEP_2) | instskip(NEXT) | instid1(VALU_DEP_2)
	v_fma_f64 v[204:205], v[14:15], v[18:19], -v[4:5]
	v_fmac_f64_e32 v[206:207], v[16:17], v[18:19]
	s_delay_alu instid0(VALU_DEP_2) | instskip(NEXT) | instid1(VALU_DEP_2)
	v_mov_b64_e32 v[14:15], v[204:205]
	v_mov_b64_e32 v[16:17], v[206:207]
	ds_store_b128 v58, v[204:207]
.LBB191_96:                             ;   in Loop: Header=BB191_3 Depth=1
	s_or_b32 exec_lo, exec_lo, s46
	s_wait_dscnt 0x0
	s_barrier_signal -1
	s_barrier_wait -1
	s_and_saveexec_b32 s46, s74
	s_cbranch_execz .LBB191_98
; %bb.97:                               ;   in Loop: Header=BB191_3 Depth=1
	ds_load_b128 v[18:21], v58
	ds_load_b128 v[204:207], v56 offset:4224
	s_wait_dscnt 0x0
	v_mul_f64_e32 v[4:5], v[20:21], v[206:207]
	s_delay_alu instid0(VALU_DEP_1) | instskip(SKIP_1) | instid1(VALU_DEP_2)
	v_fma_f64 v[4:5], v[18:19], v[204:205], -v[4:5]
	v_mul_f64_e32 v[18:19], v[18:19], v[206:207]
	v_add_f64_e32 v[14:15], v[14:15], v[4:5]
	s_delay_alu instid0(VALU_DEP_2) | instskip(NEXT) | instid1(VALU_DEP_1)
	v_fmac_f64_e32 v[18:19], v[20:21], v[204:205]
	v_add_f64_e32 v[16:17], v[16:17], v[18:19]
.LBB191_98:                             ;   in Loop: Header=BB191_3 Depth=1
	s_or_b32 exec_lo, exec_lo, s46
	s_barrier_signal -1
	s_barrier_wait -1
	s_and_saveexec_b32 s46, s75
	s_cbranch_execz .LBB191_100
; %bb.99:                               ;   in Loop: Header=BB191_3 Depth=1
	ds_load_b128 v[18:21], v2 offset:4752
	s_wait_dscnt 0x0
	v_mul_f64_e32 v[4:5], v[16:17], v[20:21]
	v_mul_f64_e32 v[206:207], v[14:15], v[20:21]
	s_delay_alu instid0(VALU_DEP_2) | instskip(NEXT) | instid1(VALU_DEP_2)
	v_fma_f64 v[204:205], v[14:15], v[18:19], -v[4:5]
	v_fmac_f64_e32 v[206:207], v[16:17], v[18:19]
	s_delay_alu instid0(VALU_DEP_2) | instskip(NEXT) | instid1(VALU_DEP_2)
	v_mov_b64_e32 v[14:15], v[204:205]
	v_mov_b64_e32 v[16:17], v[206:207]
	ds_store_b128 v58, v[204:207]
.LBB191_100:                            ;   in Loop: Header=BB191_3 Depth=1
	s_or_b32 exec_lo, exec_lo, s46
	s_wait_dscnt 0x0
	s_barrier_signal -1
	s_barrier_wait -1
	s_and_saveexec_b32 s46, s76
	s_cbranch_execz .LBB191_102
; %bb.101:                              ;   in Loop: Header=BB191_3 Depth=1
	ds_load_b128 v[18:21], v58
	ds_load_b128 v[204:207], v56 offset:4736
	s_wait_dscnt 0x0
	v_mul_f64_e32 v[4:5], v[20:21], v[206:207]
	s_delay_alu instid0(VALU_DEP_1) | instskip(SKIP_1) | instid1(VALU_DEP_2)
	v_fma_f64 v[4:5], v[18:19], v[204:205], -v[4:5]
	v_mul_f64_e32 v[18:19], v[18:19], v[206:207]
	v_add_f64_e32 v[14:15], v[14:15], v[4:5]
	s_delay_alu instid0(VALU_DEP_2) | instskip(NEXT) | instid1(VALU_DEP_1)
	v_fmac_f64_e32 v[18:19], v[20:21], v[204:205]
	v_add_f64_e32 v[16:17], v[16:17], v[18:19]
.LBB191_102:                            ;   in Loop: Header=BB191_3 Depth=1
	s_or_b32 exec_lo, exec_lo, s46
	s_barrier_signal -1
	s_barrier_wait -1
	s_and_saveexec_b32 s46, s77
	s_cbranch_execz .LBB191_104
; %bb.103:                              ;   in Loop: Header=BB191_3 Depth=1
	ds_load_b128 v[18:21], v2 offset:5280
	s_wait_dscnt 0x0
	v_mul_f64_e32 v[4:5], v[16:17], v[20:21]
	v_mul_f64_e32 v[206:207], v[14:15], v[20:21]
	s_delay_alu instid0(VALU_DEP_2) | instskip(NEXT) | instid1(VALU_DEP_2)
	v_fma_f64 v[204:205], v[14:15], v[18:19], -v[4:5]
	v_fmac_f64_e32 v[206:207], v[16:17], v[18:19]
	s_delay_alu instid0(VALU_DEP_2) | instskip(NEXT) | instid1(VALU_DEP_2)
	v_mov_b64_e32 v[14:15], v[204:205]
	v_mov_b64_e32 v[16:17], v[206:207]
	ds_store_b128 v58, v[204:207]
.LBB191_104:                            ;   in Loop: Header=BB191_3 Depth=1
	s_or_b32 exec_lo, exec_lo, s46
	s_wait_dscnt 0x0
	s_barrier_signal -1
	s_barrier_wait -1
	s_and_saveexec_b32 s46, s78
	s_cbranch_execz .LBB191_106
; %bb.105:                              ;   in Loop: Header=BB191_3 Depth=1
	ds_load_b128 v[18:21], v58
	ds_load_b128 v[204:207], v56 offset:5248
	s_wait_dscnt 0x0
	v_mul_f64_e32 v[4:5], v[20:21], v[206:207]
	s_delay_alu instid0(VALU_DEP_1) | instskip(SKIP_1) | instid1(VALU_DEP_2)
	v_fma_f64 v[4:5], v[18:19], v[204:205], -v[4:5]
	v_mul_f64_e32 v[18:19], v[18:19], v[206:207]
	v_add_f64_e32 v[14:15], v[14:15], v[4:5]
	s_delay_alu instid0(VALU_DEP_2) | instskip(NEXT) | instid1(VALU_DEP_1)
	v_fmac_f64_e32 v[18:19], v[20:21], v[204:205]
	v_add_f64_e32 v[16:17], v[16:17], v[18:19]
.LBB191_106:                            ;   in Loop: Header=BB191_3 Depth=1
	s_or_b32 exec_lo, exec_lo, s46
	s_barrier_signal -1
	s_barrier_wait -1
	s_and_saveexec_b32 s46, s79
	s_cbranch_execz .LBB191_108
; %bb.107:                              ;   in Loop: Header=BB191_3 Depth=1
	ds_load_b128 v[18:21], v2 offset:5808
	s_wait_dscnt 0x0
	v_mul_f64_e32 v[4:5], v[16:17], v[20:21]
	v_mul_f64_e32 v[206:207], v[14:15], v[20:21]
	s_delay_alu instid0(VALU_DEP_2) | instskip(NEXT) | instid1(VALU_DEP_2)
	v_fma_f64 v[204:205], v[14:15], v[18:19], -v[4:5]
	v_fmac_f64_e32 v[206:207], v[16:17], v[18:19]
	s_delay_alu instid0(VALU_DEP_2) | instskip(NEXT) | instid1(VALU_DEP_2)
	v_mov_b64_e32 v[14:15], v[204:205]
	v_mov_b64_e32 v[16:17], v[206:207]
	ds_store_b128 v58, v[204:207]
.LBB191_108:                            ;   in Loop: Header=BB191_3 Depth=1
	;; [unrolled: 37-line block ×6, first 2 shown]
	s_or_b32 exec_lo, exec_lo, s46
	s_wait_dscnt 0x0
	s_barrier_signal -1
	s_barrier_wait -1
	s_barrier_signal -1
	s_barrier_wait -1
	s_and_saveexec_b32 s46, s9
; %bb.125:                              ;   in Loop: Header=BB191_3 Depth=1
	s_delay_alu instid0(VALU_DEP_3) | instskip(NEXT) | instid1(VALU_DEP_2)
	v_xor_b32_e32 v15, 0x80000000, v15
	v_xor_b32_e32 v17, 0x80000000, v17
	ds_store_b128 v59, v[14:17] offset:128
; %bb.126:                              ;   in Loop: Header=BB191_3 Depth=1
	s_or_b32 exec_lo, exec_lo, s46
	s_wait_dscnt 0x0
	s_barrier_signal -1
	s_barrier_wait -1
	s_barrier_signal -1
	s_barrier_wait -1
	s_and_saveexec_b32 s46, s87
	s_cbranch_execz .LBB191_128
; %bb.127:                              ;   in Loop: Header=BB191_3 Depth=1
	ds_load_b128 v[14:17], v61
	s_wait_dscnt 0x0
	ds_store_b128 v158, v[14:17]
	ds_load_b128 v[14:17], v62
	s_wait_dscnt 0x0
	ds_store_b128 v159, v[14:17]
	;; [unrolled: 3-line block ×8, first 2 shown]
.LBB191_128:                            ;   in Loop: Header=BB191_3 Depth=1
	s_or_b32 exec_lo, exec_lo, s46
	s_wait_dscnt 0x0
	s_barrier_signal -1
	s_barrier_wait -1
	s_and_saveexec_b32 s46, s31
	s_cbranch_execz .LBB191_130
; %bb.129:                              ;   in Loop: Header=BB191_3 Depth=1
	ds_load_b128 v[14:17], v2 offset:4752
	ds_load_b128 v[18:21], v2 offset:4224
	s_wait_dscnt 0x0
	v_mul_f64_e32 v[4:5], v[14:15], v[20:21]
	v_mul_f64_e32 v[20:21], v[16:17], v[20:21]
	s_delay_alu instid0(VALU_DEP_2) | instskip(NEXT) | instid1(VALU_DEP_2)
	v_fmac_f64_e32 v[4:5], v[16:17], v[18:19]
	v_fma_f64 v[20:21], v[14:15], v[18:19], -v[20:21]
	ds_load_b128 v[14:17], v2 offset:4240
	s_wait_dscnt 0x0
	v_mul_f64_e32 v[40:41], v[4:5], v[16:17]
	v_mul_f64_e32 v[18:19], v[20:21], v[16:17]
	s_delay_alu instid0(VALU_DEP_2) | instskip(NEXT) | instid1(VALU_DEP_2)
	v_fma_f64 v[16:17], v[14:15], v[20:21], -v[40:41]
	v_fmac_f64_e32 v[18:19], v[14:15], v[4:5]
	ds_store_b128 v2, v[16:19] offset:4240
	ds_store_b128 v2, v[16:19] offset:4736
.LBB191_130:                            ;   in Loop: Header=BB191_3 Depth=1
	s_or_b32 exec_lo, exec_lo, s46
	v_mov_b64_e32 v[16:17], 0
	v_mov_b64_e32 v[14:15], 0
	s_wait_dscnt 0x0
	s_barrier_signal -1
	s_barrier_wait -1
	s_and_saveexec_b32 s46, s3
	s_cbranch_execz .LBB191_134
; %bb.131:                              ;   in Loop: Header=BB191_3 Depth=1
	ds_load_b128 v[14:17], v44 offset:4224
	ds_load_b128 v[18:21], v43 offset:4256
	s_wait_dscnt 0x0
	v_mul_f64_e32 v[4:5], v[16:17], v[20:21]
	v_mul_f64_e32 v[20:21], v[14:15], v[20:21]
	s_delay_alu instid0(VALU_DEP_2) | instskip(NEXT) | instid1(VALU_DEP_2)
	v_fma_f64 v[4:5], v[14:15], v[18:19], -v[4:5]
	v_fmac_f64_e32 v[20:21], v[16:17], v[18:19]
	s_delay_alu instid0(VALU_DEP_2) | instskip(NEXT) | instid1(VALU_DEP_2)
	v_add_f64_e32 v[14:15], 0, v[4:5]
	v_add_f64_e32 v[16:17], 0, v[20:21]
	s_and_saveexec_b32 s47, s4
	s_cbranch_execz .LBB191_133
; %bb.132:                              ;   in Loop: Header=BB191_3 Depth=1
	ds_load_b128 v[18:21], v2 offset:4240
	ds_load_b128 v[204:207], v50 offset:4768
	s_wait_dscnt 0x0
	v_mul_f64_e32 v[4:5], v[20:21], v[206:207]
	s_delay_alu instid0(VALU_DEP_1) | instskip(SKIP_1) | instid1(VALU_DEP_2)
	v_fma_f64 v[4:5], v[18:19], v[204:205], -v[4:5]
	v_mul_f64_e32 v[18:19], v[18:19], v[206:207]
	v_add_f64_e32 v[14:15], v[14:15], v[4:5]
	s_delay_alu instid0(VALU_DEP_2) | instskip(NEXT) | instid1(VALU_DEP_1)
	v_fmac_f64_e32 v[18:19], v[20:21], v[204:205]
	v_add_f64_e32 v[16:17], v[16:17], v[18:19]
.LBB191_133:                            ;   in Loop: Header=BB191_3 Depth=1
	s_or_b32 exec_lo, exec_lo, s47
	s_delay_alu instid0(VALU_DEP_2) | instskip(NEXT) | instid1(VALU_DEP_2)
	v_xor_b32_e32 v15, 0x80000000, v15
	v_xor_b32_e32 v17, 0x80000000, v17
.LBB191_134:                            ;   in Loop: Header=BB191_3 Depth=1
	s_or_b32 exec_lo, exec_lo, s46
	s_and_saveexec_b32 s46, s63
	s_cbranch_execz .LBB191_136
; %bb.135:                              ;   in Loop: Header=BB191_3 Depth=1
	ds_load_b128 v[18:21], v2 offset:5280
	s_wait_dscnt 0x0
	v_mul_f64_e32 v[4:5], v[16:17], v[20:21]
	v_mul_f64_e32 v[206:207], v[14:15], v[20:21]
	s_delay_alu instid0(VALU_DEP_2) | instskip(NEXT) | instid1(VALU_DEP_2)
	v_fma_f64 v[204:205], v[14:15], v[18:19], -v[4:5]
	v_fmac_f64_e32 v[206:207], v[16:17], v[18:19]
	s_delay_alu instid0(VALU_DEP_2) | instskip(NEXT) | instid1(VALU_DEP_2)
	v_mov_b64_e32 v[14:15], v[204:205]
	v_mov_b64_e32 v[16:17], v[206:207]
	ds_store_b128 v23, v[204:207]
.LBB191_136:                            ;   in Loop: Header=BB191_3 Depth=1
	s_or_b32 exec_lo, exec_lo, s46
	s_wait_dscnt 0x0
	s_barrier_signal -1
	s_barrier_wait -1
	s_and_saveexec_b32 s46, s64
	s_cbranch_execz .LBB191_138
; %bb.137:                              ;   in Loop: Header=BB191_3 Depth=1
	ds_load_b128 v[18:21], v23
	ds_load_b128 v[204:207], v2 offset:5296
	s_wait_dscnt 0x0
	v_mul_f64_e32 v[4:5], v[20:21], v[206:207]
	s_delay_alu instid0(VALU_DEP_1) | instskip(SKIP_1) | instid1(VALU_DEP_2)
	v_fma_f64 v[4:5], v[18:19], v[204:205], -v[4:5]
	v_mul_f64_e32 v[18:19], v[18:19], v[206:207]
	v_add_f64_e32 v[14:15], v[14:15], v[4:5]
	s_delay_alu instid0(VALU_DEP_2) | instskip(NEXT) | instid1(VALU_DEP_1)
	v_fmac_f64_e32 v[18:19], v[20:21], v[204:205]
	v_add_f64_e32 v[16:17], v[16:17], v[18:19]
.LBB191_138:                            ;   in Loop: Header=BB191_3 Depth=1
	s_or_b32 exec_lo, exec_lo, s46
	s_barrier_signal -1
	s_barrier_wait -1
	s_and_saveexec_b32 s46, s64
	s_cbranch_execz .LBB191_140
; %bb.139:                              ;   in Loop: Header=BB191_3 Depth=1
	ds_load_b128 v[18:21], v2 offset:5808
	s_wait_dscnt 0x0
	v_mul_f64_e32 v[4:5], v[16:17], v[20:21]
	v_mul_f64_e32 v[206:207], v[14:15], v[20:21]
	s_delay_alu instid0(VALU_DEP_2) | instskip(NEXT) | instid1(VALU_DEP_2)
	v_fma_f64 v[204:205], v[14:15], v[18:19], -v[4:5]
	v_fmac_f64_e32 v[206:207], v[16:17], v[18:19]
	s_delay_alu instid0(VALU_DEP_2) | instskip(NEXT) | instid1(VALU_DEP_2)
	v_mov_b64_e32 v[14:15], v[204:205]
	v_mov_b64_e32 v[16:17], v[206:207]
	ds_store_b128 v23, v[204:207]
.LBB191_140:                            ;   in Loop: Header=BB191_3 Depth=1
	s_or_b32 exec_lo, exec_lo, s46
	s_wait_dscnt 0x0
	s_barrier_signal -1
	s_barrier_wait -1
	s_barrier_signal -1
	s_barrier_wait -1
	s_and_saveexec_b32 s46, s3
; %bb.141:                              ;   in Loop: Header=BB191_3 Depth=1
	s_delay_alu instid0(VALU_DEP_3) | instskip(NEXT) | instid1(VALU_DEP_2)
	v_xor_b32_e32 v15, 0x80000000, v15
	v_xor_b32_e32 v17, 0x80000000, v17
	ds_store_b128 v43, v[14:17] offset:4256
; %bb.142:                              ;   in Loop: Header=BB191_3 Depth=1
	s_or_b32 exec_lo, exec_lo, s46
	s_wait_dscnt 0x0
	s_barrier_signal -1
	s_barrier_wait -1
	s_barrier_signal -1
	s_barrier_wait -1
	s_and_saveexec_b32 s46, s65
	s_cbranch_execz .LBB191_144
; %bb.143:                              ;   in Loop: Header=BB191_3 Depth=1
	ds_load_b128 v[14:17], v84
	s_wait_dscnt 0x0
	ds_store_b128 v166, v[14:17]
	ds_load_b128 v[14:17], v85
	s_wait_dscnt 0x0
	ds_store_b128 v167, v[14:17]
.LBB191_144:                            ;   in Loop: Header=BB191_3 Depth=1
	s_or_b32 exec_lo, exec_lo, s46
	s_wait_dscnt 0x0
	s_barrier_signal -1
	s_barrier_wait -1
	s_and_saveexec_b32 s46, s31
	s_cbranch_execz .LBB191_146
; %bb.145:                              ;   in Loop: Header=BB191_3 Depth=1
	ds_load_b128 v[14:17], v2 offset:5808
	ds_load_b128 v[18:21], v2 offset:5280
	s_wait_dscnt 0x0
	v_mul_f64_e32 v[4:5], v[14:15], v[20:21]
	v_mul_f64_e32 v[20:21], v[16:17], v[20:21]
	s_delay_alu instid0(VALU_DEP_2) | instskip(NEXT) | instid1(VALU_DEP_2)
	v_fmac_f64_e32 v[4:5], v[16:17], v[18:19]
	v_fma_f64 v[20:21], v[14:15], v[18:19], -v[20:21]
	ds_load_b128 v[14:17], v2 offset:5296
	s_wait_dscnt 0x0
	v_mul_f64_e32 v[40:41], v[4:5], v[16:17]
	v_mul_f64_e32 v[18:19], v[20:21], v[16:17]
	s_delay_alu instid0(VALU_DEP_2) | instskip(NEXT) | instid1(VALU_DEP_2)
	v_fma_f64 v[16:17], v[14:15], v[20:21], -v[40:41]
	v_fmac_f64_e32 v[18:19], v[14:15], v[4:5]
	ds_store_b128 v2, v[16:19] offset:5296
	ds_store_b128 v2, v[16:19] offset:5792
.LBB191_146:                            ;   in Loop: Header=BB191_3 Depth=1
	s_or_b32 exec_lo, exec_lo, s46
	v_mov_b64_e32 v[16:17], 0
	v_mov_b64_e32 v[14:15], 0
	s_wait_dscnt 0x0
	s_barrier_signal -1
	s_barrier_wait -1
	s_and_saveexec_b32 s46, s6
	s_cbranch_execz .LBB191_152
; %bb.147:                              ;   in Loop: Header=BB191_3 Depth=1
	ds_load_b128 v[14:17], v47 offset:4224
	ds_load_b128 v[18:21], v52 offset:4288
	s_wait_dscnt 0x0
	v_mul_f64_e32 v[4:5], v[16:17], v[20:21]
	v_mul_f64_e32 v[20:21], v[14:15], v[20:21]
	s_delay_alu instid0(VALU_DEP_2) | instskip(NEXT) | instid1(VALU_DEP_2)
	v_fma_f64 v[4:5], v[14:15], v[18:19], -v[4:5]
	v_fmac_f64_e32 v[20:21], v[16:17], v[18:19]
	s_delay_alu instid0(VALU_DEP_2) | instskip(NEXT) | instid1(VALU_DEP_2)
	v_add_f64_e32 v[14:15], 0, v[4:5]
	v_add_f64_e32 v[16:17], 0, v[20:21]
	s_and_saveexec_b32 s47, s7
	s_cbranch_execnz .LBB191_558
; %bb.148:                              ;   in Loop: Header=BB191_3 Depth=1
	s_or_b32 exec_lo, exec_lo, s47
	s_and_saveexec_b32 s47, s8
	s_cbranch_execnz .LBB191_559
.LBB191_149:                            ;   in Loop: Header=BB191_3 Depth=1
	s_or_b32 exec_lo, exec_lo, s47
	s_and_saveexec_b32 s47, s3
	s_cbranch_execz .LBB191_151
.LBB191_150:                            ;   in Loop: Header=BB191_3 Depth=1
	ds_load_b128 v[18:21], v2 offset:4272
	ds_load_b128 v[204:207], v83 offset:5824
	s_wait_dscnt 0x0
	v_mul_f64_e32 v[4:5], v[20:21], v[206:207]
	s_delay_alu instid0(VALU_DEP_1) | instskip(SKIP_1) | instid1(VALU_DEP_2)
	v_fma_f64 v[4:5], v[18:19], v[204:205], -v[4:5]
	v_mul_f64_e32 v[18:19], v[18:19], v[206:207]
	v_add_f64_e32 v[14:15], v[14:15], v[4:5]
	s_delay_alu instid0(VALU_DEP_2) | instskip(NEXT) | instid1(VALU_DEP_1)
	v_fmac_f64_e32 v[18:19], v[20:21], v[204:205]
	v_add_f64_e32 v[16:17], v[16:17], v[18:19]
.LBB191_151:                            ;   in Loop: Header=BB191_3 Depth=1
	s_or_b32 exec_lo, exec_lo, s47
	s_delay_alu instid0(VALU_DEP_2) | instskip(NEXT) | instid1(VALU_DEP_2)
	v_xor_b32_e32 v15, 0x80000000, v15
	v_xor_b32_e32 v17, 0x80000000, v17
.LBB191_152:                            ;   in Loop: Header=BB191_3 Depth=1
	s_or_b32 exec_lo, exec_lo, s46
	s_and_saveexec_b32 s46, s66
	s_cbranch_execz .LBB191_154
; %bb.153:                              ;   in Loop: Header=BB191_3 Depth=1
	ds_load_b128 v[18:21], v2 offset:6336
	s_wait_dscnt 0x0
	v_mul_f64_e32 v[4:5], v[16:17], v[20:21]
	v_mul_f64_e32 v[206:207], v[14:15], v[20:21]
	s_delay_alu instid0(VALU_DEP_2) | instskip(NEXT) | instid1(VALU_DEP_2)
	v_fma_f64 v[204:205], v[14:15], v[18:19], -v[4:5]
	v_fmac_f64_e32 v[206:207], v[16:17], v[18:19]
	s_delay_alu instid0(VALU_DEP_2) | instskip(NEXT) | instid1(VALU_DEP_2)
	v_mov_b64_e32 v[14:15], v[204:205]
	v_mov_b64_e32 v[16:17], v[206:207]
	ds_store_b128 v51, v[204:207]
.LBB191_154:                            ;   in Loop: Header=BB191_3 Depth=1
	s_or_b32 exec_lo, exec_lo, s46
	s_wait_dscnt 0x0
	s_barrier_signal -1
	s_barrier_wait -1
	s_and_saveexec_b32 s46, s67
	s_cbranch_execz .LBB191_156
; %bb.155:                              ;   in Loop: Header=BB191_3 Depth=1
	ds_load_b128 v[18:21], v51
	ds_load_b128 v[204:207], v49 offset:6336
	s_wait_dscnt 0x0
	v_mul_f64_e32 v[4:5], v[20:21], v[206:207]
	s_delay_alu instid0(VALU_DEP_1) | instskip(SKIP_1) | instid1(VALU_DEP_2)
	v_fma_f64 v[4:5], v[18:19], v[204:205], -v[4:5]
	v_mul_f64_e32 v[18:19], v[18:19], v[206:207]
	v_add_f64_e32 v[14:15], v[14:15], v[4:5]
	s_delay_alu instid0(VALU_DEP_2) | instskip(NEXT) | instid1(VALU_DEP_1)
	v_fmac_f64_e32 v[18:19], v[20:21], v[204:205]
	v_add_f64_e32 v[16:17], v[16:17], v[18:19]
.LBB191_156:                            ;   in Loop: Header=BB191_3 Depth=1
	s_or_b32 exec_lo, exec_lo, s46
	s_barrier_signal -1
	s_barrier_wait -1
	s_and_saveexec_b32 s46, s68
	s_cbranch_execz .LBB191_158
; %bb.157:                              ;   in Loop: Header=BB191_3 Depth=1
	ds_load_b128 v[18:21], v2 offset:6864
	s_wait_dscnt 0x0
	v_mul_f64_e32 v[4:5], v[16:17], v[20:21]
	v_mul_f64_e32 v[206:207], v[14:15], v[20:21]
	s_delay_alu instid0(VALU_DEP_2) | instskip(NEXT) | instid1(VALU_DEP_2)
	v_fma_f64 v[204:205], v[14:15], v[18:19], -v[4:5]
	v_fmac_f64_e32 v[206:207], v[16:17], v[18:19]
	s_delay_alu instid0(VALU_DEP_2) | instskip(NEXT) | instid1(VALU_DEP_2)
	v_mov_b64_e32 v[14:15], v[204:205]
	v_mov_b64_e32 v[16:17], v[206:207]
	ds_store_b128 v51, v[204:207]
.LBB191_158:                            ;   in Loop: Header=BB191_3 Depth=1
	s_or_b32 exec_lo, exec_lo, s46
	s_wait_dscnt 0x0
	s_barrier_signal -1
	s_barrier_wait -1
	s_and_saveexec_b32 s46, s69
	s_cbranch_execz .LBB191_160
; %bb.159:                              ;   in Loop: Header=BB191_3 Depth=1
	ds_load_b128 v[18:21], v51
	ds_load_b128 v[204:207], v49 offset:6848
	s_wait_dscnt 0x0
	v_mul_f64_e32 v[4:5], v[20:21], v[206:207]
	s_delay_alu instid0(VALU_DEP_1) | instskip(SKIP_1) | instid1(VALU_DEP_2)
	v_fma_f64 v[4:5], v[18:19], v[204:205], -v[4:5]
	v_mul_f64_e32 v[18:19], v[18:19], v[206:207]
	v_add_f64_e32 v[14:15], v[14:15], v[4:5]
	s_delay_alu instid0(VALU_DEP_2) | instskip(NEXT) | instid1(VALU_DEP_1)
	v_fmac_f64_e32 v[18:19], v[20:21], v[204:205]
	v_add_f64_e32 v[16:17], v[16:17], v[18:19]
.LBB191_160:                            ;   in Loop: Header=BB191_3 Depth=1
	s_or_b32 exec_lo, exec_lo, s46
	s_barrier_signal -1
	s_barrier_wait -1
	;; [unrolled: 37-line block ×3, first 2 shown]
	s_and_saveexec_b32 s46, s71
	s_cbranch_execz .LBB191_166
; %bb.165:                              ;   in Loop: Header=BB191_3 Depth=1
	ds_load_b128 v[18:21], v2 offset:7920
	s_wait_dscnt 0x0
	v_mul_f64_e32 v[4:5], v[16:17], v[20:21]
	v_mul_f64_e32 v[206:207], v[14:15], v[20:21]
	s_delay_alu instid0(VALU_DEP_2) | instskip(NEXT) | instid1(VALU_DEP_2)
	v_fma_f64 v[204:205], v[14:15], v[18:19], -v[4:5]
	v_fmac_f64_e32 v[206:207], v[16:17], v[18:19]
	s_delay_alu instid0(VALU_DEP_2) | instskip(NEXT) | instid1(VALU_DEP_2)
	v_mov_b64_e32 v[14:15], v[204:205]
	v_mov_b64_e32 v[16:17], v[206:207]
	ds_store_b128 v51, v[204:207]
.LBB191_166:                            ;   in Loop: Header=BB191_3 Depth=1
	s_or_b32 exec_lo, exec_lo, s46
	s_wait_dscnt 0x0
	s_barrier_signal -1
	s_barrier_wait -1
	s_barrier_signal -1
	s_barrier_wait -1
	s_and_saveexec_b32 s46, s6
; %bb.167:                              ;   in Loop: Header=BB191_3 Depth=1
	s_delay_alu instid0(VALU_DEP_1) | instskip(NEXT) | instid1(VALU_DEP_4)
	v_xor_b32_e32 v17, 0x80000000, v17
	v_xor_b32_e32 v15, 0x80000000, v15
	ds_store_b128 v52, v[14:17] offset:4288
; %bb.168:                              ;   in Loop: Header=BB191_3 Depth=1
	s_or_b32 exec_lo, exec_lo, s46
	s_wait_dscnt 0x0
	s_barrier_signal -1
	s_barrier_wait -1
	s_barrier_signal -1
	s_barrier_wait -1
	s_and_saveexec_b32 s46, s72
	s_cbranch_execz .LBB191_170
; %bb.169:                              ;   in Loop: Header=BB191_3 Depth=1
	ds_load_b128 v[14:17], v95
	s_wait_dscnt 0x0
	ds_store_b128 v169, v[14:17]
	ds_load_b128 v[14:17], v98
	s_wait_dscnt 0x0
	ds_store_b128 v172, v[14:17]
	;; [unrolled: 3-line block ×4, first 2 shown]
.LBB191_170:                            ;   in Loop: Header=BB191_3 Depth=1
	s_or_b32 exec_lo, exec_lo, s46
	s_wait_dscnt 0x0
	s_barrier_signal -1
	s_barrier_wait -1
	s_and_saveexec_b32 s46, s31
	s_cbranch_execz .LBB191_172
; %bb.171:                              ;   in Loop: Header=BB191_3 Depth=1
	ds_load_b128 v[14:17], v2 offset:6864
	ds_load_b128 v[18:21], v2 offset:6336
	s_wait_dscnt 0x0
	v_mul_f64_e32 v[4:5], v[14:15], v[20:21]
	v_mul_f64_e32 v[20:21], v[16:17], v[20:21]
	s_delay_alu instid0(VALU_DEP_2) | instskip(NEXT) | instid1(VALU_DEP_2)
	v_fmac_f64_e32 v[4:5], v[16:17], v[18:19]
	v_fma_f64 v[20:21], v[14:15], v[18:19], -v[20:21]
	ds_load_b128 v[14:17], v2 offset:6352
	s_wait_dscnt 0x0
	v_mul_f64_e32 v[40:41], v[4:5], v[16:17]
	v_mul_f64_e32 v[18:19], v[20:21], v[16:17]
	s_delay_alu instid0(VALU_DEP_2) | instskip(NEXT) | instid1(VALU_DEP_2)
	v_fma_f64 v[16:17], v[14:15], v[20:21], -v[40:41]
	v_fmac_f64_e32 v[18:19], v[14:15], v[4:5]
	ds_store_b128 v2, v[16:19] offset:6352
	ds_store_b128 v2, v[16:19] offset:6848
.LBB191_172:                            ;   in Loop: Header=BB191_3 Depth=1
	s_or_b32 exec_lo, exec_lo, s46
	v_mov_b64_e32 v[16:17], 0
	v_mov_b64_e32 v[14:15], 0
	s_wait_dscnt 0x0
	s_barrier_signal -1
	s_barrier_wait -1
	s_and_saveexec_b32 s46, s3
	s_cbranch_execz .LBB191_176
; %bb.173:                              ;   in Loop: Header=BB191_3 Depth=1
	ds_load_b128 v[14:17], v44 offset:6336
	ds_load_b128 v[18:21], v43 offset:6368
	s_wait_dscnt 0x0
	v_mul_f64_e32 v[4:5], v[16:17], v[20:21]
	v_mul_f64_e32 v[20:21], v[14:15], v[20:21]
	s_delay_alu instid0(VALU_DEP_2) | instskip(NEXT) | instid1(VALU_DEP_2)
	v_fma_f64 v[4:5], v[14:15], v[18:19], -v[4:5]
	v_fmac_f64_e32 v[20:21], v[16:17], v[18:19]
	s_delay_alu instid0(VALU_DEP_2) | instskip(NEXT) | instid1(VALU_DEP_2)
	v_add_f64_e32 v[14:15], 0, v[4:5]
	v_add_f64_e32 v[16:17], 0, v[20:21]
	s_and_saveexec_b32 s47, s4
	s_cbranch_execz .LBB191_175
; %bb.174:                              ;   in Loop: Header=BB191_3 Depth=1
	ds_load_b128 v[18:21], v2 offset:6352
	ds_load_b128 v[204:207], v94 offset:6880
	s_wait_dscnt 0x0
	v_mul_f64_e32 v[4:5], v[20:21], v[206:207]
	s_delay_alu instid0(VALU_DEP_1) | instskip(SKIP_1) | instid1(VALU_DEP_2)
	v_fma_f64 v[4:5], v[18:19], v[204:205], -v[4:5]
	v_mul_f64_e32 v[18:19], v[18:19], v[206:207]
	v_add_f64_e32 v[14:15], v[14:15], v[4:5]
	s_delay_alu instid0(VALU_DEP_2) | instskip(NEXT) | instid1(VALU_DEP_1)
	v_fmac_f64_e32 v[18:19], v[20:21], v[204:205]
	v_add_f64_e32 v[16:17], v[16:17], v[18:19]
.LBB191_175:                            ;   in Loop: Header=BB191_3 Depth=1
	s_or_b32 exec_lo, exec_lo, s47
	s_delay_alu instid0(VALU_DEP_2) | instskip(NEXT) | instid1(VALU_DEP_2)
	v_xor_b32_e32 v15, 0x80000000, v15
	v_xor_b32_e32 v17, 0x80000000, v17
.LBB191_176:                            ;   in Loop: Header=BB191_3 Depth=1
	s_or_b32 exec_lo, exec_lo, s46
	s_and_saveexec_b32 s46, s63
	s_cbranch_execz .LBB191_178
; %bb.177:                              ;   in Loop: Header=BB191_3 Depth=1
	ds_load_b128 v[18:21], v2 offset:7392
	s_wait_dscnt 0x0
	v_mul_f64_e32 v[4:5], v[16:17], v[20:21]
	v_mul_f64_e32 v[206:207], v[14:15], v[20:21]
	s_delay_alu instid0(VALU_DEP_2) | instskip(NEXT) | instid1(VALU_DEP_2)
	v_fma_f64 v[204:205], v[14:15], v[18:19], -v[4:5]
	v_fmac_f64_e32 v[206:207], v[16:17], v[18:19]
	s_delay_alu instid0(VALU_DEP_2) | instskip(NEXT) | instid1(VALU_DEP_2)
	v_mov_b64_e32 v[14:15], v[204:205]
	v_mov_b64_e32 v[16:17], v[206:207]
	ds_store_b128 v23, v[204:207]
.LBB191_178:                            ;   in Loop: Header=BB191_3 Depth=1
	s_or_b32 exec_lo, exec_lo, s46
	s_wait_dscnt 0x0
	s_barrier_signal -1
	s_barrier_wait -1
	s_and_saveexec_b32 s46, s64
	s_cbranch_execz .LBB191_180
; %bb.179:                              ;   in Loop: Header=BB191_3 Depth=1
	ds_load_b128 v[18:21], v23
	ds_load_b128 v[204:207], v2 offset:7408
	s_wait_dscnt 0x0
	v_mul_f64_e32 v[4:5], v[20:21], v[206:207]
	s_delay_alu instid0(VALU_DEP_1) | instskip(SKIP_1) | instid1(VALU_DEP_2)
	v_fma_f64 v[4:5], v[18:19], v[204:205], -v[4:5]
	v_mul_f64_e32 v[18:19], v[18:19], v[206:207]
	v_add_f64_e32 v[14:15], v[14:15], v[4:5]
	s_delay_alu instid0(VALU_DEP_2) | instskip(NEXT) | instid1(VALU_DEP_1)
	v_fmac_f64_e32 v[18:19], v[20:21], v[204:205]
	v_add_f64_e32 v[16:17], v[16:17], v[18:19]
.LBB191_180:                            ;   in Loop: Header=BB191_3 Depth=1
	s_or_b32 exec_lo, exec_lo, s46
	s_barrier_signal -1
	s_barrier_wait -1
	s_and_saveexec_b32 s46, s64
	s_cbranch_execz .LBB191_182
; %bb.181:                              ;   in Loop: Header=BB191_3 Depth=1
	ds_load_b128 v[18:21], v2 offset:7920
	s_wait_dscnt 0x0
	v_mul_f64_e32 v[4:5], v[16:17], v[20:21]
	v_mul_f64_e32 v[206:207], v[14:15], v[20:21]
	s_delay_alu instid0(VALU_DEP_2) | instskip(NEXT) | instid1(VALU_DEP_2)
	v_fma_f64 v[204:205], v[14:15], v[18:19], -v[4:5]
	v_fmac_f64_e32 v[206:207], v[16:17], v[18:19]
	s_delay_alu instid0(VALU_DEP_2) | instskip(NEXT) | instid1(VALU_DEP_2)
	v_mov_b64_e32 v[14:15], v[204:205]
	v_mov_b64_e32 v[16:17], v[206:207]
	ds_store_b128 v23, v[204:207]
.LBB191_182:                            ;   in Loop: Header=BB191_3 Depth=1
	s_or_b32 exec_lo, exec_lo, s46
	s_wait_dscnt 0x0
	s_barrier_signal -1
	s_barrier_wait -1
	s_barrier_signal -1
	s_barrier_wait -1
	s_and_saveexec_b32 s46, s3
; %bb.183:                              ;   in Loop: Header=BB191_3 Depth=1
	s_delay_alu instid0(VALU_DEP_3) | instskip(NEXT) | instid1(VALU_DEP_2)
	v_xor_b32_e32 v15, 0x80000000, v15
	v_xor_b32_e32 v17, 0x80000000, v17
	ds_store_b128 v43, v[14:17] offset:6368
; %bb.184:                              ;   in Loop: Header=BB191_3 Depth=1
	s_or_b32 exec_lo, exec_lo, s46
	s_wait_dscnt 0x0
	s_barrier_signal -1
	s_barrier_wait -1
	s_barrier_signal -1
	s_barrier_wait -1
	s_and_saveexec_b32 s46, s65
	s_cbranch_execz .LBB191_186
; %bb.185:                              ;   in Loop: Header=BB191_3 Depth=1
	ds_load_b128 v[14:17], v105
	s_wait_dscnt 0x0
	ds_store_b128 v109, v[14:17]
	ds_load_b128 v[14:17], v106
	s_wait_dscnt 0x0
	ds_store_b128 v110, v[14:17]
.LBB191_186:                            ;   in Loop: Header=BB191_3 Depth=1
	s_or_b32 exec_lo, exec_lo, s46
	s_wait_dscnt 0x0
	s_barrier_signal -1
	s_barrier_wait -1
	s_and_saveexec_b32 s46, s31
	s_cbranch_execz .LBB191_188
; %bb.187:                              ;   in Loop: Header=BB191_3 Depth=1
	ds_load_b128 v[14:17], v2 offset:7920
	ds_load_b128 v[18:21], v2 offset:7392
	s_wait_dscnt 0x0
	v_mul_f64_e32 v[4:5], v[14:15], v[20:21]
	v_mul_f64_e32 v[20:21], v[16:17], v[20:21]
	s_delay_alu instid0(VALU_DEP_2) | instskip(NEXT) | instid1(VALU_DEP_2)
	v_fmac_f64_e32 v[4:5], v[16:17], v[18:19]
	v_fma_f64 v[20:21], v[14:15], v[18:19], -v[20:21]
	ds_load_b128 v[14:17], v2 offset:7408
	s_wait_dscnt 0x0
	v_mul_f64_e32 v[40:41], v[4:5], v[16:17]
	v_mul_f64_e32 v[18:19], v[20:21], v[16:17]
	s_delay_alu instid0(VALU_DEP_2) | instskip(NEXT) | instid1(VALU_DEP_2)
	v_fma_f64 v[16:17], v[14:15], v[20:21], -v[40:41]
	v_fmac_f64_e32 v[18:19], v[14:15], v[4:5]
	ds_store_b128 v2, v[16:19] offset:7408
	ds_store_b128 v2, v[16:19] offset:7904
.LBB191_188:                            ;   in Loop: Header=BB191_3 Depth=1
	s_or_b32 exec_lo, exec_lo, s46
	v_mov_b64_e32 v[16:17], 0
	v_mov_b64_e32 v[14:15], 0
	s_wait_dscnt 0x0
	s_barrier_signal -1
	s_barrier_wait -1
	s_and_saveexec_b32 s46, s11
	s_cbranch_execz .LBB191_216
; %bb.189:                              ;   in Loop: Header=BB191_3 Depth=1
	v_add_nc_u32_e32 v3, v69, v168
	ds_load_b128 v[14:17], v3
	ds_load_b128 v[18:21], v174 offset:256
	s_wait_dscnt 0x0
	v_mul_f64_e32 v[4:5], v[16:17], v[20:21]
	v_mul_f64_e32 v[20:21], v[14:15], v[20:21]
	s_delay_alu instid0(VALU_DEP_2) | instskip(NEXT) | instid1(VALU_DEP_2)
	v_fma_f64 v[4:5], v[14:15], v[18:19], -v[4:5]
	v_fmac_f64_e32 v[20:21], v[16:17], v[18:19]
	s_delay_alu instid0(VALU_DEP_2) | instskip(NEXT) | instid1(VALU_DEP_2)
	v_add_f64_e32 v[14:15], 0, v[4:5]
	v_add_f64_e32 v[16:17], 0, v[20:21]
	s_mov_b32 s47, exec_lo
	v_readlane_b32 s93, v212, 17
	s_and_b32 s93, s47, s93
	s_delay_alu instid0(SALU_CYCLE_1)
	s_mov_b32 exec_lo, s93
	s_cbranch_execz .LBB191_191
; %bb.190:                              ;   in Loop: Header=BB191_3 Depth=1
	ds_load_b128 v[18:21], v3 offset:16
	ds_load_b128 v[204:207], v174 offset:768
	s_wait_dscnt 0x0
	v_mul_f64_e32 v[4:5], v[20:21], v[206:207]
	s_delay_alu instid0(VALU_DEP_1) | instskip(SKIP_1) | instid1(VALU_DEP_2)
	v_fma_f64 v[4:5], v[18:19], v[204:205], -v[4:5]
	v_mul_f64_e32 v[18:19], v[18:19], v[206:207]
	v_add_f64_e32 v[14:15], v[14:15], v[4:5]
	s_delay_alu instid0(VALU_DEP_2) | instskip(NEXT) | instid1(VALU_DEP_1)
	v_fmac_f64_e32 v[18:19], v[20:21], v[204:205]
	v_add_f64_e32 v[16:17], v[16:17], v[18:19]
.LBB191_191:                            ;   in Loop: Header=BB191_3 Depth=1
	s_or_b32 exec_lo, exec_lo, s47
	s_delay_alu instid0(SALU_CYCLE_1) | instskip(SKIP_2) | instid1(SALU_CYCLE_1)
	s_mov_b32 s47, exec_lo
	v_readlane_b32 s93, v212, 18
	s_and_b32 s93, s47, s93
	s_mov_b32 exec_lo, s93
	s_cbranch_execz .LBB191_193
; %bb.192:                              ;   in Loop: Header=BB191_3 Depth=1
	ds_load_b128 v[18:21], v3 offset:32
	ds_load_b128 v[204:207], v174 offset:1280
	s_wait_dscnt 0x0
	v_mul_f64_e32 v[4:5], v[20:21], v[206:207]
	s_delay_alu instid0(VALU_DEP_1) | instskip(SKIP_1) | instid1(VALU_DEP_2)
	v_fma_f64 v[4:5], v[18:19], v[204:205], -v[4:5]
	v_mul_f64_e32 v[18:19], v[18:19], v[206:207]
	v_add_f64_e32 v[14:15], v[14:15], v[4:5]
	s_delay_alu instid0(VALU_DEP_2) | instskip(NEXT) | instid1(VALU_DEP_1)
	v_fmac_f64_e32 v[18:19], v[20:21], v[204:205]
	v_add_f64_e32 v[16:17], v[16:17], v[18:19]
.LBB191_193:                            ;   in Loop: Header=BB191_3 Depth=1
	s_or_b32 exec_lo, exec_lo, s47
	s_delay_alu instid0(SALU_CYCLE_1) | instskip(SKIP_2) | instid1(SALU_CYCLE_1)
	s_mov_b32 s47, exec_lo
	v_readlane_b32 s93, v212, 19
	s_and_b32 s93, s47, s93
	;; [unrolled: 20-line block ×10, first 2 shown]
	s_mov_b32 exec_lo, s93
	s_cbranch_execnz .LBB191_560
; %bb.210:                              ;   in Loop: Header=BB191_3 Depth=1
	s_or_b32 exec_lo, exec_lo, s47
	s_and_saveexec_b32 s47, s9
	s_cbranch_execnz .LBB191_561
.LBB191_211:                            ;   in Loop: Header=BB191_3 Depth=1
	s_or_b32 exec_lo, exec_lo, s47
	s_and_saveexec_b32 s47, s16
	s_cbranch_execnz .LBB191_562
.LBB191_212:                            ;   in Loop: Header=BB191_3 Depth=1
	s_or_b32 exec_lo, exec_lo, s47
	s_and_saveexec_b32 s47, s18
	s_cbranch_execnz .LBB191_563
.LBB191_213:                            ;   in Loop: Header=BB191_3 Depth=1
	s_or_b32 exec_lo, exec_lo, s47
	s_and_saveexec_b32 s47, s6
	s_cbranch_execz .LBB191_215
.LBB191_214:                            ;   in Loop: Header=BB191_3 Depth=1
	ds_load_b128 v[18:21], v2 offset:240
	ds_load_b128 v[204:207], v45 offset:7936
	s_wait_dscnt 0x0
	v_mul_f64_e32 v[4:5], v[20:21], v[206:207]
	s_delay_alu instid0(VALU_DEP_1) | instskip(SKIP_1) | instid1(VALU_DEP_2)
	v_fma_f64 v[4:5], v[18:19], v[204:205], -v[4:5]
	v_mul_f64_e32 v[18:19], v[18:19], v[206:207]
	v_add_f64_e32 v[14:15], v[14:15], v[4:5]
	s_delay_alu instid0(VALU_DEP_2) | instskip(NEXT) | instid1(VALU_DEP_1)
	v_fmac_f64_e32 v[18:19], v[20:21], v[204:205]
	v_add_f64_e32 v[16:17], v[16:17], v[18:19]
.LBB191_215:                            ;   in Loop: Header=BB191_3 Depth=1
	s_or_b32 exec_lo, exec_lo, s47
	s_delay_alu instid0(VALU_DEP_3) | instskip(NEXT) | instid1(VALU_DEP_2)
	v_xor_b32_e32 v15, 0x80000000, v15
	v_xor_b32_e32 v17, 0x80000000, v17
.LBB191_216:                            ;   in Loop: Header=BB191_3 Depth=1
	s_or_b32 exec_lo, exec_lo, s46
	s_delay_alu instid0(SALU_CYCLE_1) | instskip(SKIP_2) | instid1(SALU_CYCLE_1)
	s_mov_b32 s46, exec_lo
	v_readlane_b32 s47, v212, 1
	s_and_b32 s47, s46, s47
	s_mov_b32 exec_lo, s47
	s_cbranch_execz .LBB191_218
; %bb.217:                              ;   in Loop: Header=BB191_3 Depth=1
	ds_load_b128 v[18:21], v2 offset:8448
	s_wait_dscnt 0x0
	v_mul_f64_e32 v[4:5], v[16:17], v[20:21]
	v_mul_f64_e32 v[206:207], v[14:15], v[20:21]
	s_delay_alu instid0(VALU_DEP_2) | instskip(NEXT) | instid1(VALU_DEP_2)
	v_fma_f64 v[204:205], v[14:15], v[18:19], -v[4:5]
	v_fmac_f64_e32 v[206:207], v[16:17], v[18:19]
	s_delay_alu instid0(VALU_DEP_2) | instskip(NEXT) | instid1(VALU_DEP_2)
	v_mov_b64_e32 v[14:15], v[204:205]
	v_mov_b64_e32 v[16:17], v[206:207]
	ds_store_b128 v173, v[204:207]
.LBB191_218:                            ;   in Loop: Header=BB191_3 Depth=1
	s_or_b32 exec_lo, exec_lo, s46
	s_wait_dscnt 0x0
	s_barrier_signal -1
	s_barrier_wait -1
	s_mov_b32 s46, exec_lo
	v_readlane_b32 s47, v212, 2
	s_and_b32 s47, s46, s47
	s_delay_alu instid0(SALU_CYCLE_1)
	s_mov_b32 exec_lo, s47
	s_cbranch_execz .LBB191_220
; %bb.219:                              ;   in Loop: Header=BB191_3 Depth=1
	ds_load_b128 v[18:21], v173
	ds_load_b128 v[204:207], v70 offset:8448
	s_wait_dscnt 0x0
	v_mul_f64_e32 v[4:5], v[20:21], v[206:207]
	s_delay_alu instid0(VALU_DEP_1) | instskip(SKIP_1) | instid1(VALU_DEP_2)
	v_fma_f64 v[4:5], v[18:19], v[204:205], -v[4:5]
	v_mul_f64_e32 v[18:19], v[18:19], v[206:207]
	v_add_f64_e32 v[14:15], v[14:15], v[4:5]
	s_delay_alu instid0(VALU_DEP_2) | instskip(NEXT) | instid1(VALU_DEP_1)
	v_fmac_f64_e32 v[18:19], v[20:21], v[204:205]
	v_add_f64_e32 v[16:17], v[16:17], v[18:19]
.LBB191_220:                            ;   in Loop: Header=BB191_3 Depth=1
	s_or_b32 exec_lo, exec_lo, s46
	s_barrier_signal -1
	s_barrier_wait -1
	s_mov_b32 s46, exec_lo
	v_readlane_b32 s47, v212, 3
	s_and_b32 s47, s46, s47
	s_delay_alu instid0(SALU_CYCLE_1)
	s_mov_b32 exec_lo, s47
	s_cbranch_execz .LBB191_222
; %bb.221:                              ;   in Loop: Header=BB191_3 Depth=1
	ds_load_b128 v[18:21], v2 offset:8976
	s_wait_dscnt 0x0
	v_mul_f64_e32 v[4:5], v[16:17], v[20:21]
	v_mul_f64_e32 v[206:207], v[14:15], v[20:21]
	s_delay_alu instid0(VALU_DEP_2) | instskip(NEXT) | instid1(VALU_DEP_2)
	v_fma_f64 v[204:205], v[14:15], v[18:19], -v[4:5]
	v_fmac_f64_e32 v[206:207], v[16:17], v[18:19]
	s_delay_alu instid0(VALU_DEP_2) | instskip(NEXT) | instid1(VALU_DEP_2)
	v_mov_b64_e32 v[14:15], v[204:205]
	v_mov_b64_e32 v[16:17], v[206:207]
	ds_store_b128 v173, v[204:207]
.LBB191_222:                            ;   in Loop: Header=BB191_3 Depth=1
	s_or_b32 exec_lo, exec_lo, s46
	s_wait_dscnt 0x0
	s_barrier_signal -1
	s_barrier_wait -1
	s_mov_b32 s46, exec_lo
	v_readlane_b32 s47, v212, 4
	s_and_b32 s47, s46, s47
	s_delay_alu instid0(SALU_CYCLE_1)
	s_mov_b32 exec_lo, s47
	s_cbranch_execz .LBB191_224
; %bb.223:                              ;   in Loop: Header=BB191_3 Depth=1
	ds_load_b128 v[18:21], v173
	ds_load_b128 v[204:207], v70 offset:8960
	s_wait_dscnt 0x0
	v_mul_f64_e32 v[4:5], v[20:21], v[206:207]
	s_delay_alu instid0(VALU_DEP_1) | instskip(SKIP_1) | instid1(VALU_DEP_2)
	v_fma_f64 v[4:5], v[18:19], v[204:205], -v[4:5]
	v_mul_f64_e32 v[18:19], v[18:19], v[206:207]
	v_add_f64_e32 v[14:15], v[14:15], v[4:5]
	s_delay_alu instid0(VALU_DEP_2) | instskip(NEXT) | instid1(VALU_DEP_1)
	v_fmac_f64_e32 v[18:19], v[20:21], v[204:205]
	v_add_f64_e32 v[16:17], v[16:17], v[18:19]
.LBB191_224:                            ;   in Loop: Header=BB191_3 Depth=1
	s_or_b32 exec_lo, exec_lo, s46
	s_barrier_signal -1
	s_barrier_wait -1
	s_mov_b32 s46, exec_lo
	v_readlane_b32 s47, v212, 5
	s_and_b32 s47, s46, s47
	s_delay_alu instid0(SALU_CYCLE_1)
	;; [unrolled: 45-line block ×5, first 2 shown]
	s_mov_b32 exec_lo, s47
	s_cbranch_execz .LBB191_238
; %bb.237:                              ;   in Loop: Header=BB191_3 Depth=1
	ds_load_b128 v[18:21], v2 offset:11088
	s_wait_dscnt 0x0
	v_mul_f64_e32 v[4:5], v[16:17], v[20:21]
	v_mul_f64_e32 v[206:207], v[14:15], v[20:21]
	s_delay_alu instid0(VALU_DEP_2) | instskip(NEXT) | instid1(VALU_DEP_2)
	v_fma_f64 v[204:205], v[14:15], v[18:19], -v[4:5]
	v_fmac_f64_e32 v[206:207], v[16:17], v[18:19]
	s_delay_alu instid0(VALU_DEP_2) | instskip(NEXT) | instid1(VALU_DEP_2)
	v_mov_b64_e32 v[14:15], v[204:205]
	v_mov_b64_e32 v[16:17], v[206:207]
	ds_store_b128 v173, v[204:207]
.LBB191_238:                            ;   in Loop: Header=BB191_3 Depth=1
	s_or_b32 exec_lo, exec_lo, s46
	s_wait_dscnt 0x0
	s_barrier_signal -1
	s_barrier_wait -1
	s_and_saveexec_b32 s46, s99
	s_cbranch_execz .LBB191_240
; %bb.239:                              ;   in Loop: Header=BB191_3 Depth=1
	ds_load_b128 v[18:21], v173
	ds_load_b128 v[204:207], v70 offset:11008
	s_wait_dscnt 0x0
	v_mul_f64_e32 v[4:5], v[20:21], v[206:207]
	s_delay_alu instid0(VALU_DEP_1) | instskip(SKIP_1) | instid1(VALU_DEP_2)
	v_fma_f64 v[4:5], v[18:19], v[204:205], -v[4:5]
	v_mul_f64_e32 v[18:19], v[18:19], v[206:207]
	v_add_f64_e32 v[14:15], v[14:15], v[4:5]
	s_delay_alu instid0(VALU_DEP_2) | instskip(NEXT) | instid1(VALU_DEP_1)
	v_fmac_f64_e32 v[18:19], v[20:21], v[204:205]
	v_add_f64_e32 v[16:17], v[16:17], v[18:19]
.LBB191_240:                            ;   in Loop: Header=BB191_3 Depth=1
	s_or_b32 exec_lo, exec_lo, s46
	s_barrier_signal -1
	s_barrier_wait -1
	s_and_saveexec_b32 s46, s100
	s_cbranch_execz .LBB191_242
; %bb.241:                              ;   in Loop: Header=BB191_3 Depth=1
	ds_load_b128 v[18:21], v2 offset:11616
	s_wait_dscnt 0x0
	v_mul_f64_e32 v[4:5], v[16:17], v[20:21]
	v_mul_f64_e32 v[206:207], v[14:15], v[20:21]
	s_delay_alu instid0(VALU_DEP_2) | instskip(NEXT) | instid1(VALU_DEP_2)
	v_fma_f64 v[204:205], v[14:15], v[18:19], -v[4:5]
	v_fmac_f64_e32 v[206:207], v[16:17], v[18:19]
	s_delay_alu instid0(VALU_DEP_2) | instskip(NEXT) | instid1(VALU_DEP_2)
	v_mov_b64_e32 v[14:15], v[204:205]
	v_mov_b64_e32 v[16:17], v[206:207]
	ds_store_b128 v173, v[204:207]
.LBB191_242:                            ;   in Loop: Header=BB191_3 Depth=1
	s_or_b32 exec_lo, exec_lo, s46
	s_wait_dscnt 0x0
	s_barrier_signal -1
	s_barrier_wait -1
	s_and_saveexec_b32 s46, s101
	s_cbranch_execz .LBB191_244
; %bb.243:                              ;   in Loop: Header=BB191_3 Depth=1
	ds_load_b128 v[18:21], v173
	ds_load_b128 v[204:207], v70 offset:11520
	s_wait_dscnt 0x0
	v_mul_f64_e32 v[4:5], v[20:21], v[206:207]
	s_delay_alu instid0(VALU_DEP_1) | instskip(SKIP_1) | instid1(VALU_DEP_2)
	v_fma_f64 v[4:5], v[18:19], v[204:205], -v[4:5]
	v_mul_f64_e32 v[18:19], v[18:19], v[206:207]
	v_add_f64_e32 v[14:15], v[14:15], v[4:5]
	s_delay_alu instid0(VALU_DEP_2) | instskip(NEXT) | instid1(VALU_DEP_1)
	v_fmac_f64_e32 v[18:19], v[20:21], v[204:205]
	v_add_f64_e32 v[16:17], v[16:17], v[18:19]
.LBB191_244:                            ;   in Loop: Header=BB191_3 Depth=1
	s_or_b32 exec_lo, exec_lo, s46
	s_barrier_signal -1
	s_barrier_wait -1
	s_and_saveexec_b32 s46, s102
	s_cbranch_execz .LBB191_246
; %bb.245:                              ;   in Loop: Header=BB191_3 Depth=1
	ds_load_b128 v[18:21], v2 offset:12144
	s_wait_dscnt 0x0
	v_mul_f64_e32 v[4:5], v[16:17], v[20:21]
	v_mul_f64_e32 v[206:207], v[14:15], v[20:21]
	s_delay_alu instid0(VALU_DEP_2) | instskip(NEXT) | instid1(VALU_DEP_2)
	v_fma_f64 v[204:205], v[14:15], v[18:19], -v[4:5]
	v_fmac_f64_e32 v[206:207], v[16:17], v[18:19]
	s_delay_alu instid0(VALU_DEP_2) | instskip(NEXT) | instid1(VALU_DEP_2)
	v_mov_b64_e32 v[14:15], v[204:205]
	v_mov_b64_e32 v[16:17], v[206:207]
	ds_store_b128 v173, v[204:207]
.LBB191_246:                            ;   in Loop: Header=BB191_3 Depth=1
	s_or_b32 exec_lo, exec_lo, s46
	s_wait_dscnt 0x0
	s_barrier_signal -1
	s_barrier_wait -1
	s_and_saveexec_b32 s46, s103
	s_cbranch_execz .LBB191_248
; %bb.247:                              ;   in Loop: Header=BB191_3 Depth=1
	ds_load_b128 v[18:21], v173
	ds_load_b128 v[204:207], v70 offset:12032
	s_wait_dscnt 0x0
	v_mul_f64_e32 v[4:5], v[20:21], v[206:207]
	s_delay_alu instid0(VALU_DEP_1) | instskip(SKIP_1) | instid1(VALU_DEP_2)
	v_fma_f64 v[4:5], v[18:19], v[204:205], -v[4:5]
	v_mul_f64_e32 v[18:19], v[18:19], v[206:207]
	v_add_f64_e32 v[14:15], v[14:15], v[4:5]
	s_delay_alu instid0(VALU_DEP_2) | instskip(NEXT) | instid1(VALU_DEP_1)
	v_fmac_f64_e32 v[18:19], v[20:21], v[204:205]
	v_add_f64_e32 v[16:17], v[16:17], v[18:19]
.LBB191_248:                            ;   in Loop: Header=BB191_3 Depth=1
	s_or_b32 exec_lo, exec_lo, s46
	s_barrier_signal -1
	s_barrier_wait -1
	s_and_saveexec_b32 s46, s104
	s_cbranch_execz .LBB191_250
; %bb.249:                              ;   in Loop: Header=BB191_3 Depth=1
	ds_load_b128 v[18:21], v2 offset:12672
	s_wait_dscnt 0x0
	v_mul_f64_e32 v[4:5], v[16:17], v[20:21]
	v_mul_f64_e32 v[206:207], v[14:15], v[20:21]
	s_delay_alu instid0(VALU_DEP_2) | instskip(NEXT) | instid1(VALU_DEP_2)
	v_fma_f64 v[204:205], v[14:15], v[18:19], -v[4:5]
	v_fmac_f64_e32 v[206:207], v[16:17], v[18:19]
	s_delay_alu instid0(VALU_DEP_2) | instskip(NEXT) | instid1(VALU_DEP_2)
	v_mov_b64_e32 v[14:15], v[204:205]
	v_mov_b64_e32 v[16:17], v[206:207]
	ds_store_b128 v173, v[204:207]
.LBB191_250:                            ;   in Loop: Header=BB191_3 Depth=1
	s_or_b32 exec_lo, exec_lo, s46
	s_wait_dscnt 0x0
	s_barrier_signal -1
	s_barrier_wait -1
	s_and_saveexec_b32 s46, vcc_hi
	s_cbranch_execz .LBB191_252
; %bb.251:                              ;   in Loop: Header=BB191_3 Depth=1
	ds_load_b128 v[18:21], v173
	ds_load_b128 v[204:207], v70 offset:12544
	s_wait_dscnt 0x0
	v_mul_f64_e32 v[4:5], v[20:21], v[206:207]
	s_delay_alu instid0(VALU_DEP_1) | instskip(SKIP_1) | instid1(VALU_DEP_2)
	v_fma_f64 v[4:5], v[18:19], v[204:205], -v[4:5]
	v_mul_f64_e32 v[18:19], v[18:19], v[206:207]
	v_add_f64_e32 v[14:15], v[14:15], v[4:5]
	s_delay_alu instid0(VALU_DEP_2) | instskip(NEXT) | instid1(VALU_DEP_1)
	v_fmac_f64_e32 v[18:19], v[20:21], v[204:205]
	v_add_f64_e32 v[16:17], v[16:17], v[18:19]
.LBB191_252:                            ;   in Loop: Header=BB191_3 Depth=1
	s_or_b32 exec_lo, exec_lo, s46
	s_barrier_signal -1
	s_barrier_wait -1
	s_and_saveexec_b32 s46, s22
	s_cbranch_execz .LBB191_254
; %bb.253:                              ;   in Loop: Header=BB191_3 Depth=1
	ds_load_b128 v[18:21], v2 offset:13200
	s_wait_dscnt 0x0
	v_mul_f64_e32 v[4:5], v[16:17], v[20:21]
	v_mul_f64_e32 v[206:207], v[14:15], v[20:21]
	s_delay_alu instid0(VALU_DEP_2) | instskip(NEXT) | instid1(VALU_DEP_2)
	v_fma_f64 v[204:205], v[14:15], v[18:19], -v[4:5]
	v_fmac_f64_e32 v[206:207], v[16:17], v[18:19]
	s_delay_alu instid0(VALU_DEP_2) | instskip(NEXT) | instid1(VALU_DEP_2)
	v_mov_b64_e32 v[14:15], v[204:205]
	v_mov_b64_e32 v[16:17], v[206:207]
	ds_store_b128 v173, v[204:207]
.LBB191_254:                            ;   in Loop: Header=BB191_3 Depth=1
	s_or_b32 exec_lo, exec_lo, s46
	s_wait_dscnt 0x0
	s_barrier_signal -1
	s_barrier_wait -1
	s_and_saveexec_b32 s46, s23
	s_cbranch_execz .LBB191_256
; %bb.255:                              ;   in Loop: Header=BB191_3 Depth=1
	ds_load_b128 v[18:21], v173
	ds_load_b128 v[204:207], v70 offset:13056
	s_wait_dscnt 0x0
	v_mul_f64_e32 v[4:5], v[20:21], v[206:207]
	s_delay_alu instid0(VALU_DEP_1) | instskip(SKIP_1) | instid1(VALU_DEP_2)
	v_fma_f64 v[4:5], v[18:19], v[204:205], -v[4:5]
	v_mul_f64_e32 v[18:19], v[18:19], v[206:207]
	v_add_f64_e32 v[14:15], v[14:15], v[4:5]
	s_delay_alu instid0(VALU_DEP_2) | instskip(NEXT) | instid1(VALU_DEP_1)
	v_fmac_f64_e32 v[18:19], v[20:21], v[204:205]
	v_add_f64_e32 v[16:17], v[16:17], v[18:19]
.LBB191_256:                            ;   in Loop: Header=BB191_3 Depth=1
	s_or_b32 exec_lo, exec_lo, s46
	s_barrier_signal -1
	s_barrier_wait -1
	s_and_saveexec_b32 s46, s24
	s_cbranch_execz .LBB191_258
; %bb.257:                              ;   in Loop: Header=BB191_3 Depth=1
	ds_load_b128 v[18:21], v2 offset:13728
	s_wait_dscnt 0x0
	v_mul_f64_e32 v[4:5], v[16:17], v[20:21]
	v_mul_f64_e32 v[206:207], v[14:15], v[20:21]
	s_delay_alu instid0(VALU_DEP_2) | instskip(NEXT) | instid1(VALU_DEP_2)
	v_fma_f64 v[204:205], v[14:15], v[18:19], -v[4:5]
	v_fmac_f64_e32 v[206:207], v[16:17], v[18:19]
	s_delay_alu instid0(VALU_DEP_2) | instskip(NEXT) | instid1(VALU_DEP_2)
	v_mov_b64_e32 v[14:15], v[204:205]
	v_mov_b64_e32 v[16:17], v[206:207]
	ds_store_b128 v173, v[204:207]
.LBB191_258:                            ;   in Loop: Header=BB191_3 Depth=1
	s_or_b32 exec_lo, exec_lo, s46
	s_wait_dscnt 0x0
	s_barrier_signal -1
	s_barrier_wait -1
	s_and_saveexec_b32 s46, s25
	;; [unrolled: 37-line block ×6, first 2 shown]
	s_cbranch_execz .LBB191_276
; %bb.275:                              ;   in Loop: Header=BB191_3 Depth=1
	ds_load_b128 v[18:21], v173
	ds_load_b128 v[204:207], v2 offset:15856
	s_wait_dscnt 0x0
	v_mul_f64_e32 v[4:5], v[20:21], v[206:207]
	s_delay_alu instid0(VALU_DEP_1) | instskip(SKIP_1) | instid1(VALU_DEP_2)
	v_fma_f64 v[4:5], v[18:19], v[204:205], -v[4:5]
	v_mul_f64_e32 v[18:19], v[18:19], v[206:207]
	v_add_f64_e32 v[14:15], v[14:15], v[4:5]
	s_delay_alu instid0(VALU_DEP_2) | instskip(NEXT) | instid1(VALU_DEP_1)
	v_fmac_f64_e32 v[18:19], v[20:21], v[204:205]
	v_add_f64_e32 v[16:17], v[16:17], v[18:19]
.LBB191_276:                            ;   in Loop: Header=BB191_3 Depth=1
	s_or_b32 exec_lo, exec_lo, s46
	s_barrier_signal -1
	s_barrier_wait -1
	s_and_saveexec_b32 s46, s10
	s_cbranch_execz .LBB191_278
; %bb.277:                              ;   in Loop: Header=BB191_3 Depth=1
	ds_load_b128 v[18:21], v2 offset:16368
	s_wait_dscnt 0x0
	v_mul_f64_e32 v[4:5], v[16:17], v[20:21]
	v_mul_f64_e32 v[206:207], v[14:15], v[20:21]
	s_delay_alu instid0(VALU_DEP_2) | instskip(NEXT) | instid1(VALU_DEP_2)
	v_fma_f64 v[204:205], v[14:15], v[18:19], -v[4:5]
	v_fmac_f64_e32 v[206:207], v[16:17], v[18:19]
	s_delay_alu instid0(VALU_DEP_2) | instskip(NEXT) | instid1(VALU_DEP_2)
	v_mov_b64_e32 v[14:15], v[204:205]
	v_mov_b64_e32 v[16:17], v[206:207]
	ds_store_b128 v173, v[204:207]
.LBB191_278:                            ;   in Loop: Header=BB191_3 Depth=1
	s_or_b32 exec_lo, exec_lo, s46
	s_wait_dscnt 0x0
	s_barrier_signal -1
	s_barrier_wait -1
	s_barrier_signal -1
	s_barrier_wait -1
	s_and_saveexec_b32 s46, s11
; %bb.279:                              ;   in Loop: Header=BB191_3 Depth=1
	s_delay_alu instid0(VALU_DEP_1) | instskip(NEXT) | instid1(VALU_DEP_4)
	v_xor_b32_e32 v17, 0x80000000, v17
	v_xor_b32_e32 v15, 0x80000000, v15
	ds_store_b128 v174, v[14:17] offset:256
; %bb.280:                              ;   in Loop: Header=BB191_3 Depth=1
	s_or_b32 exec_lo, exec_lo, s46
	s_wait_dscnt 0x0
	s_barrier_signal -1
	s_barrier_wait -1
	s_barrier_signal -1
	s_barrier_wait -1
	s_and_saveexec_b32 s46, s88
	s_cbranch_execz .LBB191_282
; %bb.281:                              ;   in Loop: Header=BB191_3 Depth=1
	ds_load_b128 v[14:17], v131
	s_wait_dscnt 0x0
	ds_store_b128 v113, v[14:17]
	ds_load_b128 v[14:17], v132
	s_wait_dscnt 0x0
	ds_store_b128 v114, v[14:17]
	;; [unrolled: 3-line block ×16, first 2 shown]
.LBB191_282:                            ;   in Loop: Header=BB191_3 Depth=1
	s_or_b32 exec_lo, exec_lo, s46
	s_wait_dscnt 0x0
	s_barrier_signal -1
	s_barrier_wait -1
	s_and_saveexec_b32 s46, s31
	s_cbranch_execz .LBB191_284
; %bb.283:                              ;   in Loop: Header=BB191_3 Depth=1
	ds_load_b128 v[14:17], v2 offset:8976
	ds_load_b128 v[18:21], v2 offset:8448
	s_wait_dscnt 0x0
	v_mul_f64_e32 v[4:5], v[14:15], v[20:21]
	v_mul_f64_e32 v[20:21], v[16:17], v[20:21]
	s_delay_alu instid0(VALU_DEP_2) | instskip(NEXT) | instid1(VALU_DEP_2)
	v_fmac_f64_e32 v[4:5], v[16:17], v[18:19]
	v_fma_f64 v[20:21], v[14:15], v[18:19], -v[20:21]
	ds_load_b128 v[14:17], v2 offset:8464
	s_wait_dscnt 0x0
	v_mul_f64_e32 v[40:41], v[4:5], v[16:17]
	v_mul_f64_e32 v[18:19], v[20:21], v[16:17]
	s_delay_alu instid0(VALU_DEP_2) | instskip(NEXT) | instid1(VALU_DEP_2)
	v_fma_f64 v[16:17], v[14:15], v[20:21], -v[40:41]
	v_fmac_f64_e32 v[18:19], v[14:15], v[4:5]
	ds_store_b128 v2, v[16:19] offset:8464
	ds_store_b128 v2, v[16:19] offset:8960
.LBB191_284:                            ;   in Loop: Header=BB191_3 Depth=1
	s_or_b32 exec_lo, exec_lo, s46
	v_mov_b64_e32 v[16:17], 0
	v_mov_b64_e32 v[14:15], 0
	s_wait_dscnt 0x0
	s_barrier_signal -1
	s_barrier_wait -1
	s_and_saveexec_b32 s46, s3
	s_cbranch_execz .LBB191_288
; %bb.285:                              ;   in Loop: Header=BB191_3 Depth=1
	ds_load_b128 v[14:17], v44 offset:8448
	ds_load_b128 v[18:21], v43 offset:8480
	s_wait_dscnt 0x0
	v_mul_f64_e32 v[4:5], v[16:17], v[20:21]
	v_mul_f64_e32 v[20:21], v[14:15], v[20:21]
	s_delay_alu instid0(VALU_DEP_2) | instskip(NEXT) | instid1(VALU_DEP_2)
	v_fma_f64 v[4:5], v[14:15], v[18:19], -v[4:5]
	v_fmac_f64_e32 v[20:21], v[16:17], v[18:19]
	s_delay_alu instid0(VALU_DEP_2) | instskip(NEXT) | instid1(VALU_DEP_2)
	v_add_f64_e32 v[14:15], 0, v[4:5]
	v_add_f64_e32 v[16:17], 0, v[20:21]
	s_and_saveexec_b32 s47, s4
	s_cbranch_execz .LBB191_287
; %bb.286:                              ;   in Loop: Header=BB191_3 Depth=1
	ds_load_b128 v[18:21], v2 offset:8464
	ds_load_b128 v[204:207], v45 offset:8992
	s_wait_dscnt 0x0
	v_mul_f64_e32 v[4:5], v[20:21], v[206:207]
	s_delay_alu instid0(VALU_DEP_1) | instskip(SKIP_1) | instid1(VALU_DEP_2)
	v_fma_f64 v[4:5], v[18:19], v[204:205], -v[4:5]
	v_mul_f64_e32 v[18:19], v[18:19], v[206:207]
	v_add_f64_e32 v[14:15], v[14:15], v[4:5]
	s_delay_alu instid0(VALU_DEP_2) | instskip(NEXT) | instid1(VALU_DEP_1)
	v_fmac_f64_e32 v[18:19], v[20:21], v[204:205]
	v_add_f64_e32 v[16:17], v[16:17], v[18:19]
.LBB191_287:                            ;   in Loop: Header=BB191_3 Depth=1
	s_or_b32 exec_lo, exec_lo, s47
	s_delay_alu instid0(VALU_DEP_2) | instskip(NEXT) | instid1(VALU_DEP_2)
	v_xor_b32_e32 v15, 0x80000000, v15
	v_xor_b32_e32 v17, 0x80000000, v17
.LBB191_288:                            ;   in Loop: Header=BB191_3 Depth=1
	s_or_b32 exec_lo, exec_lo, s46
	s_and_saveexec_b32 s46, s63
	s_cbranch_execz .LBB191_290
; %bb.289:                              ;   in Loop: Header=BB191_3 Depth=1
	ds_load_b128 v[18:21], v2 offset:9504
	s_wait_dscnt 0x0
	v_mul_f64_e32 v[4:5], v[16:17], v[20:21]
	v_mul_f64_e32 v[206:207], v[14:15], v[20:21]
	s_delay_alu instid0(VALU_DEP_2) | instskip(NEXT) | instid1(VALU_DEP_2)
	v_fma_f64 v[204:205], v[14:15], v[18:19], -v[4:5]
	v_fmac_f64_e32 v[206:207], v[16:17], v[18:19]
	s_delay_alu instid0(VALU_DEP_2) | instskip(NEXT) | instid1(VALU_DEP_2)
	v_mov_b64_e32 v[14:15], v[204:205]
	v_mov_b64_e32 v[16:17], v[206:207]
	ds_store_b128 v23, v[204:207]
.LBB191_290:                            ;   in Loop: Header=BB191_3 Depth=1
	s_or_b32 exec_lo, exec_lo, s46
	s_wait_dscnt 0x0
	s_barrier_signal -1
	s_barrier_wait -1
	s_and_saveexec_b32 s46, s64
	s_cbranch_execz .LBB191_292
; %bb.291:                              ;   in Loop: Header=BB191_3 Depth=1
	ds_load_b128 v[18:21], v23
	ds_load_b128 v[204:207], v2 offset:9520
	s_wait_dscnt 0x0
	v_mul_f64_e32 v[4:5], v[20:21], v[206:207]
	s_delay_alu instid0(VALU_DEP_1) | instskip(SKIP_1) | instid1(VALU_DEP_2)
	v_fma_f64 v[4:5], v[18:19], v[204:205], -v[4:5]
	v_mul_f64_e32 v[18:19], v[18:19], v[206:207]
	v_add_f64_e32 v[14:15], v[14:15], v[4:5]
	s_delay_alu instid0(VALU_DEP_2) | instskip(NEXT) | instid1(VALU_DEP_1)
	v_fmac_f64_e32 v[18:19], v[20:21], v[204:205]
	v_add_f64_e32 v[16:17], v[16:17], v[18:19]
.LBB191_292:                            ;   in Loop: Header=BB191_3 Depth=1
	s_or_b32 exec_lo, exec_lo, s46
	s_barrier_signal -1
	s_barrier_wait -1
	s_and_saveexec_b32 s46, s64
	s_cbranch_execz .LBB191_294
; %bb.293:                              ;   in Loop: Header=BB191_3 Depth=1
	ds_load_b128 v[18:21], v2 offset:10032
	s_wait_dscnt 0x0
	v_mul_f64_e32 v[4:5], v[16:17], v[20:21]
	v_mul_f64_e32 v[206:207], v[14:15], v[20:21]
	s_delay_alu instid0(VALU_DEP_2) | instskip(NEXT) | instid1(VALU_DEP_2)
	v_fma_f64 v[204:205], v[14:15], v[18:19], -v[4:5]
	v_fmac_f64_e32 v[206:207], v[16:17], v[18:19]
	s_delay_alu instid0(VALU_DEP_2) | instskip(NEXT) | instid1(VALU_DEP_2)
	v_mov_b64_e32 v[14:15], v[204:205]
	v_mov_b64_e32 v[16:17], v[206:207]
	ds_store_b128 v23, v[204:207]
.LBB191_294:                            ;   in Loop: Header=BB191_3 Depth=1
	s_or_b32 exec_lo, exec_lo, s46
	s_wait_dscnt 0x0
	s_barrier_signal -1
	s_barrier_wait -1
	s_barrier_signal -1
	s_barrier_wait -1
	s_and_saveexec_b32 s46, s3
; %bb.295:                              ;   in Loop: Header=BB191_3 Depth=1
	s_delay_alu instid0(VALU_DEP_3) | instskip(NEXT) | instid1(VALU_DEP_2)
	v_xor_b32_e32 v15, 0x80000000, v15
	v_xor_b32_e32 v17, 0x80000000, v17
	ds_store_b128 v43, v[14:17] offset:8480
; %bb.296:                              ;   in Loop: Header=BB191_3 Depth=1
	s_or_b32 exec_lo, exec_lo, s46
	s_wait_dscnt 0x0
	s_barrier_signal -1
	s_barrier_wait -1
	s_barrier_signal -1
	s_barrier_wait -1
	s_and_saveexec_b32 s46, s65
	s_cbranch_execz .LBB191_298
; %bb.297:                              ;   in Loop: Header=BB191_3 Depth=1
	ds_load_b128 v[14:17], v71
	s_wait_dscnt 0x0
	ds_store_b128 v175, v[14:17]
	ds_load_b128 v[14:17], v72
	s_wait_dscnt 0x0
	ds_store_b128 v176, v[14:17]
.LBB191_298:                            ;   in Loop: Header=BB191_3 Depth=1
	s_or_b32 exec_lo, exec_lo, s46
	s_wait_dscnt 0x0
	s_barrier_signal -1
	s_barrier_wait -1
	s_and_saveexec_b32 s46, s31
	s_cbranch_execz .LBB191_300
; %bb.299:                              ;   in Loop: Header=BB191_3 Depth=1
	ds_load_b128 v[14:17], v2 offset:10032
	ds_load_b128 v[18:21], v2 offset:9504
	s_wait_dscnt 0x0
	v_mul_f64_e32 v[4:5], v[14:15], v[20:21]
	v_mul_f64_e32 v[20:21], v[16:17], v[20:21]
	s_delay_alu instid0(VALU_DEP_2) | instskip(NEXT) | instid1(VALU_DEP_2)
	v_fmac_f64_e32 v[4:5], v[16:17], v[18:19]
	v_fma_f64 v[20:21], v[14:15], v[18:19], -v[20:21]
	ds_load_b128 v[14:17], v2 offset:9520
	s_wait_dscnt 0x0
	v_mul_f64_e32 v[40:41], v[4:5], v[16:17]
	v_mul_f64_e32 v[18:19], v[20:21], v[16:17]
	s_delay_alu instid0(VALU_DEP_2) | instskip(NEXT) | instid1(VALU_DEP_2)
	v_fma_f64 v[16:17], v[14:15], v[20:21], -v[40:41]
	v_fmac_f64_e32 v[18:19], v[14:15], v[4:5]
	ds_store_b128 v2, v[16:19] offset:9520
	ds_store_b128 v2, v[16:19] offset:10016
.LBB191_300:                            ;   in Loop: Header=BB191_3 Depth=1
	s_or_b32 exec_lo, exec_lo, s46
	v_mov_b64_e32 v[16:17], 0
	v_mov_b64_e32 v[14:15], 0
	s_wait_dscnt 0x0
	s_barrier_signal -1
	s_barrier_wait -1
	s_and_saveexec_b32 s46, s6
	s_cbranch_execz .LBB191_306
; %bb.301:                              ;   in Loop: Header=BB191_3 Depth=1
	ds_load_b128 v[14:17], v47 offset:8448
	ds_load_b128 v[18:21], v52 offset:8512
	s_wait_dscnt 0x0
	v_mul_f64_e32 v[4:5], v[16:17], v[20:21]
	v_mul_f64_e32 v[20:21], v[14:15], v[20:21]
	s_delay_alu instid0(VALU_DEP_2) | instskip(NEXT) | instid1(VALU_DEP_2)
	v_fma_f64 v[4:5], v[14:15], v[18:19], -v[4:5]
	v_fmac_f64_e32 v[20:21], v[16:17], v[18:19]
	s_delay_alu instid0(VALU_DEP_2) | instskip(NEXT) | instid1(VALU_DEP_2)
	v_add_f64_e32 v[14:15], 0, v[4:5]
	v_add_f64_e32 v[16:17], 0, v[20:21]
	s_and_saveexec_b32 s47, s7
	s_cbranch_execnz .LBB191_564
; %bb.302:                              ;   in Loop: Header=BB191_3 Depth=1
	s_or_b32 exec_lo, exec_lo, s47
	s_and_saveexec_b32 s47, s8
	s_cbranch_execnz .LBB191_565
.LBB191_303:                            ;   in Loop: Header=BB191_3 Depth=1
	s_or_b32 exec_lo, exec_lo, s47
	s_and_saveexec_b32 s47, s3
	s_cbranch_execz .LBB191_305
.LBB191_304:                            ;   in Loop: Header=BB191_3 Depth=1
	ds_load_b128 v[18:21], v2 offset:8496
	ds_load_b128 v[204:207], v50 offset:10048
	s_wait_dscnt 0x0
	v_mul_f64_e32 v[4:5], v[20:21], v[206:207]
	s_delay_alu instid0(VALU_DEP_1) | instskip(SKIP_1) | instid1(VALU_DEP_2)
	v_fma_f64 v[4:5], v[18:19], v[204:205], -v[4:5]
	v_mul_f64_e32 v[18:19], v[18:19], v[206:207]
	v_add_f64_e32 v[14:15], v[14:15], v[4:5]
	s_delay_alu instid0(VALU_DEP_2) | instskip(NEXT) | instid1(VALU_DEP_1)
	v_fmac_f64_e32 v[18:19], v[20:21], v[204:205]
	v_add_f64_e32 v[16:17], v[16:17], v[18:19]
.LBB191_305:                            ;   in Loop: Header=BB191_3 Depth=1
	s_or_b32 exec_lo, exec_lo, s47
	s_delay_alu instid0(VALU_DEP_2) | instskip(NEXT) | instid1(VALU_DEP_2)
	v_xor_b32_e32 v15, 0x80000000, v15
	v_xor_b32_e32 v17, 0x80000000, v17
.LBB191_306:                            ;   in Loop: Header=BB191_3 Depth=1
	s_or_b32 exec_lo, exec_lo, s46
	s_and_saveexec_b32 s46, s66
	s_cbranch_execz .LBB191_308
; %bb.307:                              ;   in Loop: Header=BB191_3 Depth=1
	ds_load_b128 v[18:21], v2 offset:10560
	s_wait_dscnt 0x0
	v_mul_f64_e32 v[4:5], v[16:17], v[20:21]
	v_mul_f64_e32 v[206:207], v[14:15], v[20:21]
	s_delay_alu instid0(VALU_DEP_2) | instskip(NEXT) | instid1(VALU_DEP_2)
	v_fma_f64 v[204:205], v[14:15], v[18:19], -v[4:5]
	v_fmac_f64_e32 v[206:207], v[16:17], v[18:19]
	s_delay_alu instid0(VALU_DEP_2) | instskip(NEXT) | instid1(VALU_DEP_2)
	v_mov_b64_e32 v[14:15], v[204:205]
	v_mov_b64_e32 v[16:17], v[206:207]
	ds_store_b128 v51, v[204:207]
.LBB191_308:                            ;   in Loop: Header=BB191_3 Depth=1
	s_or_b32 exec_lo, exec_lo, s46
	s_wait_dscnt 0x0
	s_barrier_signal -1
	s_barrier_wait -1
	s_and_saveexec_b32 s46, s67
	s_cbranch_execz .LBB191_310
; %bb.309:                              ;   in Loop: Header=BB191_3 Depth=1
	ds_load_b128 v[18:21], v51
	ds_load_b128 v[204:207], v49 offset:10560
	s_wait_dscnt 0x0
	v_mul_f64_e32 v[4:5], v[20:21], v[206:207]
	s_delay_alu instid0(VALU_DEP_1) | instskip(SKIP_1) | instid1(VALU_DEP_2)
	v_fma_f64 v[4:5], v[18:19], v[204:205], -v[4:5]
	v_mul_f64_e32 v[18:19], v[18:19], v[206:207]
	v_add_f64_e32 v[14:15], v[14:15], v[4:5]
	s_delay_alu instid0(VALU_DEP_2) | instskip(NEXT) | instid1(VALU_DEP_1)
	v_fmac_f64_e32 v[18:19], v[20:21], v[204:205]
	v_add_f64_e32 v[16:17], v[16:17], v[18:19]
.LBB191_310:                            ;   in Loop: Header=BB191_3 Depth=1
	s_or_b32 exec_lo, exec_lo, s46
	s_barrier_signal -1
	s_barrier_wait -1
	s_and_saveexec_b32 s46, s68
	s_cbranch_execz .LBB191_312
; %bb.311:                              ;   in Loop: Header=BB191_3 Depth=1
	ds_load_b128 v[18:21], v2 offset:11088
	s_wait_dscnt 0x0
	v_mul_f64_e32 v[4:5], v[16:17], v[20:21]
	v_mul_f64_e32 v[206:207], v[14:15], v[20:21]
	s_delay_alu instid0(VALU_DEP_2) | instskip(NEXT) | instid1(VALU_DEP_2)
	v_fma_f64 v[204:205], v[14:15], v[18:19], -v[4:5]
	v_fmac_f64_e32 v[206:207], v[16:17], v[18:19]
	s_delay_alu instid0(VALU_DEP_2) | instskip(NEXT) | instid1(VALU_DEP_2)
	v_mov_b64_e32 v[14:15], v[204:205]
	v_mov_b64_e32 v[16:17], v[206:207]
	ds_store_b128 v51, v[204:207]
.LBB191_312:                            ;   in Loop: Header=BB191_3 Depth=1
	s_or_b32 exec_lo, exec_lo, s46
	s_wait_dscnt 0x0
	s_barrier_signal -1
	s_barrier_wait -1
	s_and_saveexec_b32 s46, s69
	s_cbranch_execz .LBB191_314
; %bb.313:                              ;   in Loop: Header=BB191_3 Depth=1
	ds_load_b128 v[18:21], v51
	ds_load_b128 v[204:207], v49 offset:11072
	s_wait_dscnt 0x0
	v_mul_f64_e32 v[4:5], v[20:21], v[206:207]
	s_delay_alu instid0(VALU_DEP_1) | instskip(SKIP_1) | instid1(VALU_DEP_2)
	v_fma_f64 v[4:5], v[18:19], v[204:205], -v[4:5]
	v_mul_f64_e32 v[18:19], v[18:19], v[206:207]
	v_add_f64_e32 v[14:15], v[14:15], v[4:5]
	s_delay_alu instid0(VALU_DEP_2) | instskip(NEXT) | instid1(VALU_DEP_1)
	v_fmac_f64_e32 v[18:19], v[20:21], v[204:205]
	v_add_f64_e32 v[16:17], v[16:17], v[18:19]
.LBB191_314:                            ;   in Loop: Header=BB191_3 Depth=1
	s_or_b32 exec_lo, exec_lo, s46
	s_barrier_signal -1
	s_barrier_wait -1
	;; [unrolled: 37-line block ×3, first 2 shown]
	s_and_saveexec_b32 s46, s71
	s_cbranch_execz .LBB191_320
; %bb.319:                              ;   in Loop: Header=BB191_3 Depth=1
	ds_load_b128 v[18:21], v2 offset:12144
	s_wait_dscnt 0x0
	v_mul_f64_e32 v[4:5], v[16:17], v[20:21]
	v_mul_f64_e32 v[206:207], v[14:15], v[20:21]
	s_delay_alu instid0(VALU_DEP_2) | instskip(NEXT) | instid1(VALU_DEP_2)
	v_fma_f64 v[204:205], v[14:15], v[18:19], -v[4:5]
	v_fmac_f64_e32 v[206:207], v[16:17], v[18:19]
	s_delay_alu instid0(VALU_DEP_2) | instskip(NEXT) | instid1(VALU_DEP_2)
	v_mov_b64_e32 v[14:15], v[204:205]
	v_mov_b64_e32 v[16:17], v[206:207]
	ds_store_b128 v51, v[204:207]
.LBB191_320:                            ;   in Loop: Header=BB191_3 Depth=1
	s_or_b32 exec_lo, exec_lo, s46
	s_wait_dscnt 0x0
	s_barrier_signal -1
	s_barrier_wait -1
	s_barrier_signal -1
	s_barrier_wait -1
	s_and_saveexec_b32 s46, s6
; %bb.321:                              ;   in Loop: Header=BB191_3 Depth=1
	s_delay_alu instid0(VALU_DEP_1) | instskip(NEXT) | instid1(VALU_DEP_4)
	v_xor_b32_e32 v17, 0x80000000, v17
	v_xor_b32_e32 v15, 0x80000000, v15
	ds_store_b128 v52, v[14:17] offset:8512
; %bb.322:                              ;   in Loop: Header=BB191_3 Depth=1
	s_or_b32 exec_lo, exec_lo, s46
	s_wait_dscnt 0x0
	s_barrier_signal -1
	s_barrier_wait -1
	s_barrier_signal -1
	s_barrier_wait -1
	s_and_saveexec_b32 s46, s72
	s_cbranch_execz .LBB191_324
; %bb.323:                              ;   in Loop: Header=BB191_3 Depth=1
	ds_load_b128 v[14:17], v86
	s_wait_dscnt 0x0
	ds_store_b128 v177, v[14:17]
	ds_load_b128 v[14:17], v89
	s_wait_dscnt 0x0
	ds_store_b128 v180, v[14:17]
	;; [unrolled: 3-line block ×4, first 2 shown]
.LBB191_324:                            ;   in Loop: Header=BB191_3 Depth=1
	s_or_b32 exec_lo, exec_lo, s46
	s_wait_dscnt 0x0
	s_barrier_signal -1
	s_barrier_wait -1
	s_and_saveexec_b32 s46, s31
	s_cbranch_execz .LBB191_326
; %bb.325:                              ;   in Loop: Header=BB191_3 Depth=1
	ds_load_b128 v[14:17], v2 offset:11088
	ds_load_b128 v[18:21], v2 offset:10560
	s_wait_dscnt 0x0
	v_mul_f64_e32 v[4:5], v[14:15], v[20:21]
	v_mul_f64_e32 v[20:21], v[16:17], v[20:21]
	s_delay_alu instid0(VALU_DEP_2) | instskip(NEXT) | instid1(VALU_DEP_2)
	v_fmac_f64_e32 v[4:5], v[16:17], v[18:19]
	v_fma_f64 v[20:21], v[14:15], v[18:19], -v[20:21]
	ds_load_b128 v[14:17], v2 offset:10576
	s_wait_dscnt 0x0
	v_mul_f64_e32 v[40:41], v[4:5], v[16:17]
	v_mul_f64_e32 v[18:19], v[20:21], v[16:17]
	s_delay_alu instid0(VALU_DEP_2) | instskip(NEXT) | instid1(VALU_DEP_2)
	v_fma_f64 v[16:17], v[14:15], v[20:21], -v[40:41]
	v_fmac_f64_e32 v[18:19], v[14:15], v[4:5]
	ds_store_b128 v2, v[16:19] offset:10576
	ds_store_b128 v2, v[16:19] offset:11072
.LBB191_326:                            ;   in Loop: Header=BB191_3 Depth=1
	s_or_b32 exec_lo, exec_lo, s46
	v_mov_b64_e32 v[16:17], 0
	v_mov_b64_e32 v[14:15], 0
	s_wait_dscnt 0x0
	s_barrier_signal -1
	s_barrier_wait -1
	s_and_saveexec_b32 s46, s3
	s_cbranch_execz .LBB191_330
; %bb.327:                              ;   in Loop: Header=BB191_3 Depth=1
	ds_load_b128 v[14:17], v44 offset:10560
	ds_load_b128 v[18:21], v43 offset:10592
	s_wait_dscnt 0x0
	v_mul_f64_e32 v[4:5], v[16:17], v[20:21]
	v_mul_f64_e32 v[20:21], v[14:15], v[20:21]
	s_delay_alu instid0(VALU_DEP_2) | instskip(NEXT) | instid1(VALU_DEP_2)
	v_fma_f64 v[4:5], v[14:15], v[18:19], -v[4:5]
	v_fmac_f64_e32 v[20:21], v[16:17], v[18:19]
	s_delay_alu instid0(VALU_DEP_2) | instskip(NEXT) | instid1(VALU_DEP_2)
	v_add_f64_e32 v[14:15], 0, v[4:5]
	v_add_f64_e32 v[16:17], 0, v[20:21]
	s_and_saveexec_b32 s47, s4
	s_cbranch_execz .LBB191_329
; %bb.328:                              ;   in Loop: Header=BB191_3 Depth=1
	ds_load_b128 v[18:21], v2 offset:10576
	ds_load_b128 v[204:207], v83 offset:11104
	s_wait_dscnt 0x0
	v_mul_f64_e32 v[4:5], v[20:21], v[206:207]
	s_delay_alu instid0(VALU_DEP_1) | instskip(SKIP_1) | instid1(VALU_DEP_2)
	v_fma_f64 v[4:5], v[18:19], v[204:205], -v[4:5]
	v_mul_f64_e32 v[18:19], v[18:19], v[206:207]
	v_add_f64_e32 v[14:15], v[14:15], v[4:5]
	s_delay_alu instid0(VALU_DEP_2) | instskip(NEXT) | instid1(VALU_DEP_1)
	v_fmac_f64_e32 v[18:19], v[20:21], v[204:205]
	v_add_f64_e32 v[16:17], v[16:17], v[18:19]
.LBB191_329:                            ;   in Loop: Header=BB191_3 Depth=1
	s_or_b32 exec_lo, exec_lo, s47
	s_delay_alu instid0(VALU_DEP_2) | instskip(NEXT) | instid1(VALU_DEP_2)
	v_xor_b32_e32 v15, 0x80000000, v15
	v_xor_b32_e32 v17, 0x80000000, v17
.LBB191_330:                            ;   in Loop: Header=BB191_3 Depth=1
	s_or_b32 exec_lo, exec_lo, s46
	s_and_saveexec_b32 s46, s63
	s_cbranch_execz .LBB191_332
; %bb.331:                              ;   in Loop: Header=BB191_3 Depth=1
	ds_load_b128 v[18:21], v2 offset:11616
	s_wait_dscnt 0x0
	v_mul_f64_e32 v[4:5], v[16:17], v[20:21]
	v_mul_f64_e32 v[206:207], v[14:15], v[20:21]
	s_delay_alu instid0(VALU_DEP_2) | instskip(NEXT) | instid1(VALU_DEP_2)
	v_fma_f64 v[204:205], v[14:15], v[18:19], -v[4:5]
	v_fmac_f64_e32 v[206:207], v[16:17], v[18:19]
	s_delay_alu instid0(VALU_DEP_2) | instskip(NEXT) | instid1(VALU_DEP_2)
	v_mov_b64_e32 v[14:15], v[204:205]
	v_mov_b64_e32 v[16:17], v[206:207]
	ds_store_b128 v23, v[204:207]
.LBB191_332:                            ;   in Loop: Header=BB191_3 Depth=1
	s_or_b32 exec_lo, exec_lo, s46
	s_wait_dscnt 0x0
	s_barrier_signal -1
	s_barrier_wait -1
	s_and_saveexec_b32 s46, s64
	s_cbranch_execz .LBB191_334
; %bb.333:                              ;   in Loop: Header=BB191_3 Depth=1
	ds_load_b128 v[18:21], v23
	ds_load_b128 v[204:207], v2 offset:11632
	s_wait_dscnt 0x0
	v_mul_f64_e32 v[4:5], v[20:21], v[206:207]
	s_delay_alu instid0(VALU_DEP_1) | instskip(SKIP_1) | instid1(VALU_DEP_2)
	v_fma_f64 v[4:5], v[18:19], v[204:205], -v[4:5]
	v_mul_f64_e32 v[18:19], v[18:19], v[206:207]
	v_add_f64_e32 v[14:15], v[14:15], v[4:5]
	s_delay_alu instid0(VALU_DEP_2) | instskip(NEXT) | instid1(VALU_DEP_1)
	v_fmac_f64_e32 v[18:19], v[20:21], v[204:205]
	v_add_f64_e32 v[16:17], v[16:17], v[18:19]
.LBB191_334:                            ;   in Loop: Header=BB191_3 Depth=1
	s_or_b32 exec_lo, exec_lo, s46
	s_barrier_signal -1
	s_barrier_wait -1
	s_and_saveexec_b32 s46, s64
	s_cbranch_execz .LBB191_336
; %bb.335:                              ;   in Loop: Header=BB191_3 Depth=1
	ds_load_b128 v[18:21], v2 offset:12144
	s_wait_dscnt 0x0
	v_mul_f64_e32 v[4:5], v[16:17], v[20:21]
	v_mul_f64_e32 v[206:207], v[14:15], v[20:21]
	s_delay_alu instid0(VALU_DEP_2) | instskip(NEXT) | instid1(VALU_DEP_2)
	v_fma_f64 v[204:205], v[14:15], v[18:19], -v[4:5]
	v_fmac_f64_e32 v[206:207], v[16:17], v[18:19]
	s_delay_alu instid0(VALU_DEP_2) | instskip(NEXT) | instid1(VALU_DEP_2)
	v_mov_b64_e32 v[14:15], v[204:205]
	v_mov_b64_e32 v[16:17], v[206:207]
	ds_store_b128 v23, v[204:207]
.LBB191_336:                            ;   in Loop: Header=BB191_3 Depth=1
	s_or_b32 exec_lo, exec_lo, s46
	s_wait_dscnt 0x0
	s_barrier_signal -1
	s_barrier_wait -1
	s_barrier_signal -1
	s_barrier_wait -1
	s_and_saveexec_b32 s46, s3
; %bb.337:                              ;   in Loop: Header=BB191_3 Depth=1
	s_delay_alu instid0(VALU_DEP_3) | instskip(NEXT) | instid1(VALU_DEP_2)
	v_xor_b32_e32 v15, 0x80000000, v15
	v_xor_b32_e32 v17, 0x80000000, v17
	ds_store_b128 v43, v[14:17] offset:10592
; %bb.338:                              ;   in Loop: Header=BB191_3 Depth=1
	s_or_b32 exec_lo, exec_lo, s46
	s_wait_dscnt 0x0
	s_barrier_signal -1
	s_barrier_wait -1
	s_barrier_signal -1
	s_barrier_wait -1
	s_and_saveexec_b32 s46, s65
	s_cbranch_execz .LBB191_340
; %bb.339:                              ;   in Loop: Header=BB191_3 Depth=1
	ds_load_b128 v[14:17], v99
	s_wait_dscnt 0x0
	ds_store_b128 v181, v[14:17]
	ds_load_b128 v[14:17], v100
	s_wait_dscnt 0x0
	ds_store_b128 v182, v[14:17]
.LBB191_340:                            ;   in Loop: Header=BB191_3 Depth=1
	s_or_b32 exec_lo, exec_lo, s46
	s_wait_dscnt 0x0
	s_barrier_signal -1
	s_barrier_wait -1
	s_and_saveexec_b32 s46, s31
	s_cbranch_execz .LBB191_342
; %bb.341:                              ;   in Loop: Header=BB191_3 Depth=1
	ds_load_b128 v[14:17], v2 offset:12144
	ds_load_b128 v[18:21], v2 offset:11616
	s_wait_dscnt 0x0
	v_mul_f64_e32 v[4:5], v[14:15], v[20:21]
	v_mul_f64_e32 v[20:21], v[16:17], v[20:21]
	s_delay_alu instid0(VALU_DEP_2) | instskip(NEXT) | instid1(VALU_DEP_2)
	v_fmac_f64_e32 v[4:5], v[16:17], v[18:19]
	v_fma_f64 v[20:21], v[14:15], v[18:19], -v[20:21]
	ds_load_b128 v[14:17], v2 offset:11632
	s_wait_dscnt 0x0
	v_mul_f64_e32 v[40:41], v[4:5], v[16:17]
	v_mul_f64_e32 v[18:19], v[20:21], v[16:17]
	s_delay_alu instid0(VALU_DEP_2) | instskip(NEXT) | instid1(VALU_DEP_2)
	v_fma_f64 v[16:17], v[14:15], v[20:21], -v[40:41]
	v_fmac_f64_e32 v[18:19], v[14:15], v[4:5]
	ds_store_b128 v2, v[16:19] offset:11632
	ds_store_b128 v2, v[16:19] offset:12128
.LBB191_342:                            ;   in Loop: Header=BB191_3 Depth=1
	s_or_b32 exec_lo, exec_lo, s46
	v_mov_b64_e32 v[16:17], 0
	v_mov_b64_e32 v[14:15], 0
	s_wait_dscnt 0x0
	s_barrier_signal -1
	s_barrier_wait -1
	s_and_saveexec_b32 s46, s9
	s_cbranch_execz .LBB191_352
; %bb.343:                              ;   in Loop: Header=BB191_3 Depth=1
	ds_load_b128 v[14:17], v54 offset:8448
	ds_load_b128 v[18:21], v59 offset:8576
	s_wait_dscnt 0x0
	v_mul_f64_e32 v[4:5], v[16:17], v[20:21]
	v_mul_f64_e32 v[20:21], v[14:15], v[20:21]
	s_delay_alu instid0(VALU_DEP_2) | instskip(NEXT) | instid1(VALU_DEP_2)
	v_fma_f64 v[4:5], v[14:15], v[18:19], -v[4:5]
	v_fmac_f64_e32 v[20:21], v[16:17], v[18:19]
	s_delay_alu instid0(VALU_DEP_2) | instskip(NEXT) | instid1(VALU_DEP_2)
	v_add_f64_e32 v[14:15], 0, v[4:5]
	v_add_f64_e32 v[16:17], 0, v[20:21]
	s_mov_b32 s47, exec_lo
	v_readlane_b32 s93, v212, 0
	s_and_b32 s93, s47, s93
	s_delay_alu instid0(SALU_CYCLE_1)
	s_mov_b32 exec_lo, s93
	s_cbranch_execnz .LBB191_566
; %bb.344:                              ;   in Loop: Header=BB191_3 Depth=1
	s_or_b32 exec_lo, exec_lo, s47
	s_and_saveexec_b32 s47, s16
	s_cbranch_execnz .LBB191_567
.LBB191_345:                            ;   in Loop: Header=BB191_3 Depth=1
	s_or_b32 exec_lo, exec_lo, s47
	s_and_saveexec_b32 s47, s17
	s_cbranch_execnz .LBB191_568
.LBB191_346:                            ;   in Loop: Header=BB191_3 Depth=1
	s_or_b32 exec_lo, exec_lo, s47
	s_and_saveexec_b32 s47, s18
	s_cbranch_execnz .LBB191_569
.LBB191_347:                            ;   in Loop: Header=BB191_3 Depth=1
	s_or_b32 exec_lo, exec_lo, s47
	s_and_saveexec_b32 s47, s19
	s_cbranch_execnz .LBB191_570
.LBB191_348:                            ;   in Loop: Header=BB191_3 Depth=1
	s_or_b32 exec_lo, exec_lo, s47
	s_and_saveexec_b32 s47, s6
	s_cbranch_execnz .LBB191_571
.LBB191_349:                            ;   in Loop: Header=BB191_3 Depth=1
	s_or_b32 exec_lo, exec_lo, s47
	s_and_saveexec_b32 s47, s8
	s_cbranch_execz .LBB191_351
.LBB191_350:                            ;   in Loop: Header=BB191_3 Depth=1
	ds_load_b128 v[18:21], v2 offset:8560
	ds_load_b128 v[204:207], v45 offset:12160
	s_wait_dscnt 0x0
	v_mul_f64_e32 v[4:5], v[20:21], v[206:207]
	s_delay_alu instid0(VALU_DEP_1) | instskip(SKIP_1) | instid1(VALU_DEP_2)
	v_fma_f64 v[4:5], v[18:19], v[204:205], -v[4:5]
	v_mul_f64_e32 v[18:19], v[18:19], v[206:207]
	v_add_f64_e32 v[14:15], v[14:15], v[4:5]
	s_delay_alu instid0(VALU_DEP_2) | instskip(NEXT) | instid1(VALU_DEP_1)
	v_fmac_f64_e32 v[18:19], v[20:21], v[204:205]
	v_add_f64_e32 v[16:17], v[16:17], v[18:19]
.LBB191_351:                            ;   in Loop: Header=BB191_3 Depth=1
	s_or_b32 exec_lo, exec_lo, s47
	s_delay_alu instid0(VALU_DEP_3) | instskip(NEXT) | instid1(VALU_DEP_2)
	v_xor_b32_e32 v15, 0x80000000, v15
	v_xor_b32_e32 v17, 0x80000000, v17
.LBB191_352:                            ;   in Loop: Header=BB191_3 Depth=1
	s_or_b32 exec_lo, exec_lo, s46
	s_and_saveexec_b32 s46, s73
	s_cbranch_execz .LBB191_354
; %bb.353:                              ;   in Loop: Header=BB191_3 Depth=1
	ds_load_b128 v[18:21], v2 offset:12672
	s_wait_dscnt 0x0
	v_mul_f64_e32 v[4:5], v[16:17], v[20:21]
	v_mul_f64_e32 v[206:207], v[14:15], v[20:21]
	s_delay_alu instid0(VALU_DEP_2) | instskip(NEXT) | instid1(VALU_DEP_2)
	v_fma_f64 v[204:205], v[14:15], v[18:19], -v[4:5]
	v_fmac_f64_e32 v[206:207], v[16:17], v[18:19]
	s_delay_alu instid0(VALU_DEP_2) | instskip(NEXT) | instid1(VALU_DEP_2)
	v_mov_b64_e32 v[14:15], v[204:205]
	v_mov_b64_e32 v[16:17], v[206:207]
	ds_store_b128 v58, v[204:207]
.LBB191_354:                            ;   in Loop: Header=BB191_3 Depth=1
	s_or_b32 exec_lo, exec_lo, s46
	s_wait_dscnt 0x0
	s_barrier_signal -1
	s_barrier_wait -1
	s_and_saveexec_b32 s46, s74
	s_cbranch_execz .LBB191_356
; %bb.355:                              ;   in Loop: Header=BB191_3 Depth=1
	ds_load_b128 v[18:21], v58
	ds_load_b128 v[204:207], v56 offset:12672
	s_wait_dscnt 0x0
	v_mul_f64_e32 v[4:5], v[20:21], v[206:207]
	s_delay_alu instid0(VALU_DEP_1) | instskip(SKIP_1) | instid1(VALU_DEP_2)
	v_fma_f64 v[4:5], v[18:19], v[204:205], -v[4:5]
	v_mul_f64_e32 v[18:19], v[18:19], v[206:207]
	v_add_f64_e32 v[14:15], v[14:15], v[4:5]
	s_delay_alu instid0(VALU_DEP_2) | instskip(NEXT) | instid1(VALU_DEP_1)
	v_fmac_f64_e32 v[18:19], v[20:21], v[204:205]
	v_add_f64_e32 v[16:17], v[16:17], v[18:19]
.LBB191_356:                            ;   in Loop: Header=BB191_3 Depth=1
	s_or_b32 exec_lo, exec_lo, s46
	s_barrier_signal -1
	s_barrier_wait -1
	s_and_saveexec_b32 s46, s75
	s_cbranch_execz .LBB191_358
; %bb.357:                              ;   in Loop: Header=BB191_3 Depth=1
	ds_load_b128 v[18:21], v2 offset:13200
	s_wait_dscnt 0x0
	v_mul_f64_e32 v[4:5], v[16:17], v[20:21]
	v_mul_f64_e32 v[206:207], v[14:15], v[20:21]
	s_delay_alu instid0(VALU_DEP_2) | instskip(NEXT) | instid1(VALU_DEP_2)
	v_fma_f64 v[204:205], v[14:15], v[18:19], -v[4:5]
	v_fmac_f64_e32 v[206:207], v[16:17], v[18:19]
	s_delay_alu instid0(VALU_DEP_2) | instskip(NEXT) | instid1(VALU_DEP_2)
	v_mov_b64_e32 v[14:15], v[204:205]
	v_mov_b64_e32 v[16:17], v[206:207]
	ds_store_b128 v58, v[204:207]
.LBB191_358:                            ;   in Loop: Header=BB191_3 Depth=1
	s_or_b32 exec_lo, exec_lo, s46
	s_wait_dscnt 0x0
	s_barrier_signal -1
	s_barrier_wait -1
	s_and_saveexec_b32 s46, s76
	s_cbranch_execz .LBB191_360
; %bb.359:                              ;   in Loop: Header=BB191_3 Depth=1
	ds_load_b128 v[18:21], v58
	ds_load_b128 v[204:207], v56 offset:13184
	s_wait_dscnt 0x0
	v_mul_f64_e32 v[4:5], v[20:21], v[206:207]
	s_delay_alu instid0(VALU_DEP_1) | instskip(SKIP_1) | instid1(VALU_DEP_2)
	v_fma_f64 v[4:5], v[18:19], v[204:205], -v[4:5]
	v_mul_f64_e32 v[18:19], v[18:19], v[206:207]
	v_add_f64_e32 v[14:15], v[14:15], v[4:5]
	s_delay_alu instid0(VALU_DEP_2) | instskip(NEXT) | instid1(VALU_DEP_1)
	v_fmac_f64_e32 v[18:19], v[20:21], v[204:205]
	v_add_f64_e32 v[16:17], v[16:17], v[18:19]
.LBB191_360:                            ;   in Loop: Header=BB191_3 Depth=1
	s_or_b32 exec_lo, exec_lo, s46
	s_barrier_signal -1
	s_barrier_wait -1
	;; [unrolled: 37-line block ×7, first 2 shown]
	s_and_saveexec_b32 s46, s86
	s_cbranch_execz .LBB191_382
; %bb.381:                              ;   in Loop: Header=BB191_3 Depth=1
	ds_load_b128 v[18:21], v2 offset:16368
	s_wait_dscnt 0x0
	v_mul_f64_e32 v[4:5], v[16:17], v[20:21]
	v_mul_f64_e32 v[206:207], v[14:15], v[20:21]
	s_delay_alu instid0(VALU_DEP_2) | instskip(NEXT) | instid1(VALU_DEP_2)
	v_fma_f64 v[204:205], v[14:15], v[18:19], -v[4:5]
	v_fmac_f64_e32 v[206:207], v[16:17], v[18:19]
	s_delay_alu instid0(VALU_DEP_2) | instskip(NEXT) | instid1(VALU_DEP_2)
	v_mov_b64_e32 v[14:15], v[204:205]
	v_mov_b64_e32 v[16:17], v[206:207]
	ds_store_b128 v58, v[204:207]
.LBB191_382:                            ;   in Loop: Header=BB191_3 Depth=1
	s_or_b32 exec_lo, exec_lo, s46
	s_wait_dscnt 0x0
	s_barrier_signal -1
	s_barrier_wait -1
	s_barrier_signal -1
	s_barrier_wait -1
	s_and_saveexec_b32 s46, s9
; %bb.383:                              ;   in Loop: Header=BB191_3 Depth=1
	s_delay_alu instid0(VALU_DEP_3) | instskip(NEXT) | instid1(VALU_DEP_2)
	v_xor_b32_e32 v15, 0x80000000, v15
	v_xor_b32_e32 v17, 0x80000000, v17
	ds_store_b128 v59, v[14:17] offset:8576
; %bb.384:                              ;   in Loop: Header=BB191_3 Depth=1
	s_or_b32 exec_lo, exec_lo, s46
	s_wait_dscnt 0x0
	s_barrier_signal -1
	s_barrier_wait -1
	s_barrier_signal -1
	s_barrier_wait -1
	s_and_saveexec_b32 s46, s87
	s_cbranch_execz .LBB191_386
; %bb.385:                              ;   in Loop: Header=BB191_3 Depth=1
	ds_load_b128 v[14:17], v73
	s_wait_dscnt 0x0
	ds_store_b128 v183, v[14:17]
	ds_load_b128 v[14:17], v74
	s_wait_dscnt 0x0
	ds_store_b128 v184, v[14:17]
	ds_load_b128 v[14:17], v75
	s_wait_dscnt 0x0
	ds_store_b128 v185, v[14:17]
	ds_load_b128 v[14:17], v76
	s_wait_dscnt 0x0
	ds_store_b128 v186, v[14:17]
	ds_load_b128 v[14:17], v77
	s_wait_dscnt 0x0
	ds_store_b128 v187, v[14:17]
	ds_load_b128 v[14:17], v78
	s_wait_dscnt 0x0
	ds_store_b128 v188, v[14:17]
	ds_load_b128 v[14:17], v79
	s_wait_dscnt 0x0
	ds_store_b128 v189, v[14:17]
	ds_load_b128 v[14:17], v80
	s_wait_dscnt 0x0
	ds_store_b128 v190, v[14:17]
.LBB191_386:                            ;   in Loop: Header=BB191_3 Depth=1
	s_or_b32 exec_lo, exec_lo, s46
	s_wait_dscnt 0x0
	s_barrier_signal -1
	s_barrier_wait -1
	s_and_saveexec_b32 s46, s31
	s_cbranch_execz .LBB191_388
; %bb.387:                              ;   in Loop: Header=BB191_3 Depth=1
	ds_load_b128 v[14:17], v2 offset:13200
	ds_load_b128 v[18:21], v2 offset:12672
	s_wait_dscnt 0x0
	v_mul_f64_e32 v[4:5], v[14:15], v[20:21]
	v_mul_f64_e32 v[20:21], v[16:17], v[20:21]
	s_delay_alu instid0(VALU_DEP_2) | instskip(NEXT) | instid1(VALU_DEP_2)
	v_fmac_f64_e32 v[4:5], v[16:17], v[18:19]
	v_fma_f64 v[20:21], v[14:15], v[18:19], -v[20:21]
	ds_load_b128 v[14:17], v2 offset:12688
	s_wait_dscnt 0x0
	v_mul_f64_e32 v[40:41], v[4:5], v[16:17]
	v_mul_f64_e32 v[18:19], v[20:21], v[16:17]
	s_delay_alu instid0(VALU_DEP_2) | instskip(NEXT) | instid1(VALU_DEP_2)
	v_fma_f64 v[16:17], v[14:15], v[20:21], -v[40:41]
	v_fmac_f64_e32 v[18:19], v[14:15], v[4:5]
	ds_store_b128 v2, v[16:19] offset:12688
	ds_store_b128 v2, v[16:19] offset:13184
.LBB191_388:                            ;   in Loop: Header=BB191_3 Depth=1
	s_or_b32 exec_lo, exec_lo, s46
	v_mov_b64_e32 v[16:17], 0
	v_mov_b64_e32 v[14:15], 0
	s_wait_dscnt 0x0
	s_barrier_signal -1
	s_barrier_wait -1
	s_and_saveexec_b32 s46, s3
	s_cbranch_execz .LBB191_392
; %bb.389:                              ;   in Loop: Header=BB191_3 Depth=1
	ds_load_b128 v[14:17], v44 offset:12672
	ds_load_b128 v[18:21], v43 offset:12704
	s_wait_dscnt 0x0
	v_mul_f64_e32 v[4:5], v[16:17], v[20:21]
	v_mul_f64_e32 v[20:21], v[14:15], v[20:21]
	s_delay_alu instid0(VALU_DEP_2) | instskip(NEXT) | instid1(VALU_DEP_2)
	v_fma_f64 v[4:5], v[14:15], v[18:19], -v[4:5]
	v_fmac_f64_e32 v[20:21], v[16:17], v[18:19]
	s_delay_alu instid0(VALU_DEP_2) | instskip(NEXT) | instid1(VALU_DEP_2)
	v_add_f64_e32 v[14:15], 0, v[4:5]
	v_add_f64_e32 v[16:17], 0, v[20:21]
	s_and_saveexec_b32 s47, s4
	s_cbranch_execz .LBB191_391
; %bb.390:                              ;   in Loop: Header=BB191_3 Depth=1
	ds_load_b128 v[18:21], v2 offset:12688
	ds_load_b128 v[204:207], v50 offset:13216
	s_wait_dscnt 0x0
	v_mul_f64_e32 v[4:5], v[20:21], v[206:207]
	s_delay_alu instid0(VALU_DEP_1) | instskip(SKIP_1) | instid1(VALU_DEP_2)
	v_fma_f64 v[4:5], v[18:19], v[204:205], -v[4:5]
	v_mul_f64_e32 v[18:19], v[18:19], v[206:207]
	v_add_f64_e32 v[14:15], v[14:15], v[4:5]
	s_delay_alu instid0(VALU_DEP_2) | instskip(NEXT) | instid1(VALU_DEP_1)
	v_fmac_f64_e32 v[18:19], v[20:21], v[204:205]
	v_add_f64_e32 v[16:17], v[16:17], v[18:19]
.LBB191_391:                            ;   in Loop: Header=BB191_3 Depth=1
	s_or_b32 exec_lo, exec_lo, s47
	s_delay_alu instid0(VALU_DEP_2) | instskip(NEXT) | instid1(VALU_DEP_2)
	v_xor_b32_e32 v15, 0x80000000, v15
	v_xor_b32_e32 v17, 0x80000000, v17
.LBB191_392:                            ;   in Loop: Header=BB191_3 Depth=1
	s_or_b32 exec_lo, exec_lo, s46
	s_and_saveexec_b32 s46, s63
	s_cbranch_execz .LBB191_394
; %bb.393:                              ;   in Loop: Header=BB191_3 Depth=1
	ds_load_b128 v[18:21], v2 offset:13728
	s_wait_dscnt 0x0
	v_mul_f64_e32 v[4:5], v[16:17], v[20:21]
	v_mul_f64_e32 v[206:207], v[14:15], v[20:21]
	s_delay_alu instid0(VALU_DEP_2) | instskip(NEXT) | instid1(VALU_DEP_2)
	v_fma_f64 v[204:205], v[14:15], v[18:19], -v[4:5]
	v_fmac_f64_e32 v[206:207], v[16:17], v[18:19]
	s_delay_alu instid0(VALU_DEP_2) | instskip(NEXT) | instid1(VALU_DEP_2)
	v_mov_b64_e32 v[14:15], v[204:205]
	v_mov_b64_e32 v[16:17], v[206:207]
	ds_store_b128 v23, v[204:207]
.LBB191_394:                            ;   in Loop: Header=BB191_3 Depth=1
	s_or_b32 exec_lo, exec_lo, s46
	s_wait_dscnt 0x0
	s_barrier_signal -1
	s_barrier_wait -1
	s_and_saveexec_b32 s46, s64
	s_cbranch_execz .LBB191_396
; %bb.395:                              ;   in Loop: Header=BB191_3 Depth=1
	ds_load_b128 v[18:21], v23
	ds_load_b128 v[204:207], v2 offset:13744
	s_wait_dscnt 0x0
	v_mul_f64_e32 v[4:5], v[20:21], v[206:207]
	s_delay_alu instid0(VALU_DEP_1) | instskip(SKIP_1) | instid1(VALU_DEP_2)
	v_fma_f64 v[4:5], v[18:19], v[204:205], -v[4:5]
	v_mul_f64_e32 v[18:19], v[18:19], v[206:207]
	v_add_f64_e32 v[14:15], v[14:15], v[4:5]
	s_delay_alu instid0(VALU_DEP_2) | instskip(NEXT) | instid1(VALU_DEP_1)
	v_fmac_f64_e32 v[18:19], v[20:21], v[204:205]
	v_add_f64_e32 v[16:17], v[16:17], v[18:19]
.LBB191_396:                            ;   in Loop: Header=BB191_3 Depth=1
	s_or_b32 exec_lo, exec_lo, s46
	s_barrier_signal -1
	s_barrier_wait -1
	s_and_saveexec_b32 s46, s64
	s_cbranch_execz .LBB191_398
; %bb.397:                              ;   in Loop: Header=BB191_3 Depth=1
	ds_load_b128 v[18:21], v2 offset:14256
	s_wait_dscnt 0x0
	v_mul_f64_e32 v[4:5], v[16:17], v[20:21]
	v_mul_f64_e32 v[206:207], v[14:15], v[20:21]
	s_delay_alu instid0(VALU_DEP_2) | instskip(NEXT) | instid1(VALU_DEP_2)
	v_fma_f64 v[204:205], v[14:15], v[18:19], -v[4:5]
	v_fmac_f64_e32 v[206:207], v[16:17], v[18:19]
	s_delay_alu instid0(VALU_DEP_2) | instskip(NEXT) | instid1(VALU_DEP_2)
	v_mov_b64_e32 v[14:15], v[204:205]
	v_mov_b64_e32 v[16:17], v[206:207]
	ds_store_b128 v23, v[204:207]
.LBB191_398:                            ;   in Loop: Header=BB191_3 Depth=1
	s_or_b32 exec_lo, exec_lo, s46
	s_wait_dscnt 0x0
	s_barrier_signal -1
	s_barrier_wait -1
	s_barrier_signal -1
	s_barrier_wait -1
	s_and_saveexec_b32 s46, s3
; %bb.399:                              ;   in Loop: Header=BB191_3 Depth=1
	s_delay_alu instid0(VALU_DEP_3) | instskip(NEXT) | instid1(VALU_DEP_2)
	v_xor_b32_e32 v15, 0x80000000, v15
	v_xor_b32_e32 v17, 0x80000000, v17
	ds_store_b128 v43, v[14:17] offset:12704
; %bb.400:                              ;   in Loop: Header=BB191_3 Depth=1
	s_or_b32 exec_lo, exec_lo, s46
	s_wait_dscnt 0x0
	s_barrier_signal -1
	s_barrier_wait -1
	s_barrier_signal -1
	s_barrier_wait -1
	s_and_saveexec_b32 s46, s65
	s_cbranch_execz .LBB191_402
; %bb.401:                              ;   in Loop: Header=BB191_3 Depth=1
	ds_load_b128 v[14:17], v90
	s_wait_dscnt 0x0
	ds_store_b128 v191, v[14:17]
	ds_load_b128 v[14:17], v91
	s_wait_dscnt 0x0
	ds_store_b128 v192, v[14:17]
.LBB191_402:                            ;   in Loop: Header=BB191_3 Depth=1
	s_or_b32 exec_lo, exec_lo, s46
	s_wait_dscnt 0x0
	s_barrier_signal -1
	s_barrier_wait -1
	s_and_saveexec_b32 s46, s31
	s_cbranch_execz .LBB191_404
; %bb.403:                              ;   in Loop: Header=BB191_3 Depth=1
	ds_load_b128 v[14:17], v2 offset:14256
	ds_load_b128 v[18:21], v2 offset:13728
	s_wait_dscnt 0x0
	v_mul_f64_e32 v[4:5], v[14:15], v[20:21]
	v_mul_f64_e32 v[20:21], v[16:17], v[20:21]
	s_delay_alu instid0(VALU_DEP_2) | instskip(NEXT) | instid1(VALU_DEP_2)
	v_fmac_f64_e32 v[4:5], v[16:17], v[18:19]
	v_fma_f64 v[20:21], v[14:15], v[18:19], -v[20:21]
	ds_load_b128 v[14:17], v2 offset:13744
	s_wait_dscnt 0x0
	v_mul_f64_e32 v[40:41], v[4:5], v[16:17]
	v_mul_f64_e32 v[18:19], v[20:21], v[16:17]
	s_delay_alu instid0(VALU_DEP_2) | instskip(NEXT) | instid1(VALU_DEP_2)
	v_fma_f64 v[16:17], v[14:15], v[20:21], -v[40:41]
	v_fmac_f64_e32 v[18:19], v[14:15], v[4:5]
	ds_store_b128 v2, v[16:19] offset:13744
	ds_store_b128 v2, v[16:19] offset:14240
.LBB191_404:                            ;   in Loop: Header=BB191_3 Depth=1
	s_or_b32 exec_lo, exec_lo, s46
	v_mov_b64_e32 v[16:17], 0
	v_mov_b64_e32 v[14:15], 0
	s_wait_dscnt 0x0
	s_barrier_signal -1
	s_barrier_wait -1
	s_and_saveexec_b32 s46, s6
	s_cbranch_execz .LBB191_410
; %bb.405:                              ;   in Loop: Header=BB191_3 Depth=1
	ds_load_b128 v[14:17], v47 offset:12672
	ds_load_b128 v[18:21], v52 offset:12736
	s_wait_dscnt 0x0
	v_mul_f64_e32 v[4:5], v[16:17], v[20:21]
	v_mul_f64_e32 v[20:21], v[14:15], v[20:21]
	s_delay_alu instid0(VALU_DEP_2) | instskip(NEXT) | instid1(VALU_DEP_2)
	v_fma_f64 v[4:5], v[14:15], v[18:19], -v[4:5]
	v_fmac_f64_e32 v[20:21], v[16:17], v[18:19]
	s_delay_alu instid0(VALU_DEP_2) | instskip(NEXT) | instid1(VALU_DEP_2)
	v_add_f64_e32 v[14:15], 0, v[4:5]
	v_add_f64_e32 v[16:17], 0, v[20:21]
	s_and_saveexec_b32 s47, s7
	s_cbranch_execnz .LBB191_572
; %bb.406:                              ;   in Loop: Header=BB191_3 Depth=1
	s_or_b32 exec_lo, exec_lo, s47
	s_and_saveexec_b32 s47, s8
	s_cbranch_execnz .LBB191_573
.LBB191_407:                            ;   in Loop: Header=BB191_3 Depth=1
	s_or_b32 exec_lo, exec_lo, s47
	s_and_saveexec_b32 s47, s3
	s_cbranch_execz .LBB191_409
.LBB191_408:                            ;   in Loop: Header=BB191_3 Depth=1
	ds_load_b128 v[18:21], v2 offset:12720
	ds_load_b128 v[204:207], v83 offset:14272
	s_wait_dscnt 0x0
	v_mul_f64_e32 v[4:5], v[20:21], v[206:207]
	s_delay_alu instid0(VALU_DEP_1) | instskip(SKIP_1) | instid1(VALU_DEP_2)
	v_fma_f64 v[4:5], v[18:19], v[204:205], -v[4:5]
	v_mul_f64_e32 v[18:19], v[18:19], v[206:207]
	v_add_f64_e32 v[14:15], v[14:15], v[4:5]
	s_delay_alu instid0(VALU_DEP_2) | instskip(NEXT) | instid1(VALU_DEP_1)
	v_fmac_f64_e32 v[18:19], v[20:21], v[204:205]
	v_add_f64_e32 v[16:17], v[16:17], v[18:19]
.LBB191_409:                            ;   in Loop: Header=BB191_3 Depth=1
	s_or_b32 exec_lo, exec_lo, s47
	s_delay_alu instid0(VALU_DEP_2) | instskip(NEXT) | instid1(VALU_DEP_2)
	v_xor_b32_e32 v15, 0x80000000, v15
	v_xor_b32_e32 v17, 0x80000000, v17
.LBB191_410:                            ;   in Loop: Header=BB191_3 Depth=1
	s_or_b32 exec_lo, exec_lo, s46
	s_and_saveexec_b32 s46, s66
	s_cbranch_execz .LBB191_412
; %bb.411:                              ;   in Loop: Header=BB191_3 Depth=1
	ds_load_b128 v[18:21], v2 offset:14784
	s_wait_dscnt 0x0
	v_mul_f64_e32 v[4:5], v[16:17], v[20:21]
	v_mul_f64_e32 v[206:207], v[14:15], v[20:21]
	s_delay_alu instid0(VALU_DEP_2) | instskip(NEXT) | instid1(VALU_DEP_2)
	v_fma_f64 v[204:205], v[14:15], v[18:19], -v[4:5]
	v_fmac_f64_e32 v[206:207], v[16:17], v[18:19]
	s_delay_alu instid0(VALU_DEP_2) | instskip(NEXT) | instid1(VALU_DEP_2)
	v_mov_b64_e32 v[14:15], v[204:205]
	v_mov_b64_e32 v[16:17], v[206:207]
	ds_store_b128 v51, v[204:207]
.LBB191_412:                            ;   in Loop: Header=BB191_3 Depth=1
	s_or_b32 exec_lo, exec_lo, s46
	s_wait_dscnt 0x0
	s_barrier_signal -1
	s_barrier_wait -1
	s_and_saveexec_b32 s46, s67
	s_cbranch_execz .LBB191_414
; %bb.413:                              ;   in Loop: Header=BB191_3 Depth=1
	ds_load_b128 v[18:21], v51
	ds_load_b128 v[204:207], v49 offset:14784
	s_wait_dscnt 0x0
	v_mul_f64_e32 v[4:5], v[20:21], v[206:207]
	s_delay_alu instid0(VALU_DEP_1) | instskip(SKIP_1) | instid1(VALU_DEP_2)
	v_fma_f64 v[4:5], v[18:19], v[204:205], -v[4:5]
	v_mul_f64_e32 v[18:19], v[18:19], v[206:207]
	v_add_f64_e32 v[14:15], v[14:15], v[4:5]
	s_delay_alu instid0(VALU_DEP_2) | instskip(NEXT) | instid1(VALU_DEP_1)
	v_fmac_f64_e32 v[18:19], v[20:21], v[204:205]
	v_add_f64_e32 v[16:17], v[16:17], v[18:19]
.LBB191_414:                            ;   in Loop: Header=BB191_3 Depth=1
	s_or_b32 exec_lo, exec_lo, s46
	s_barrier_signal -1
	s_barrier_wait -1
	s_and_saveexec_b32 s46, s68
	s_cbranch_execz .LBB191_416
; %bb.415:                              ;   in Loop: Header=BB191_3 Depth=1
	ds_load_b128 v[18:21], v2 offset:15312
	s_wait_dscnt 0x0
	v_mul_f64_e32 v[4:5], v[16:17], v[20:21]
	v_mul_f64_e32 v[206:207], v[14:15], v[20:21]
	s_delay_alu instid0(VALU_DEP_2) | instskip(NEXT) | instid1(VALU_DEP_2)
	v_fma_f64 v[204:205], v[14:15], v[18:19], -v[4:5]
	v_fmac_f64_e32 v[206:207], v[16:17], v[18:19]
	s_delay_alu instid0(VALU_DEP_2) | instskip(NEXT) | instid1(VALU_DEP_2)
	v_mov_b64_e32 v[14:15], v[204:205]
	v_mov_b64_e32 v[16:17], v[206:207]
	ds_store_b128 v51, v[204:207]
.LBB191_416:                            ;   in Loop: Header=BB191_3 Depth=1
	s_or_b32 exec_lo, exec_lo, s46
	s_wait_dscnt 0x0
	s_barrier_signal -1
	s_barrier_wait -1
	s_and_saveexec_b32 s46, s69
	s_cbranch_execz .LBB191_418
; %bb.417:                              ;   in Loop: Header=BB191_3 Depth=1
	ds_load_b128 v[18:21], v51
	ds_load_b128 v[204:207], v49 offset:15296
	s_wait_dscnt 0x0
	v_mul_f64_e32 v[4:5], v[20:21], v[206:207]
	s_delay_alu instid0(VALU_DEP_1) | instskip(SKIP_1) | instid1(VALU_DEP_2)
	v_fma_f64 v[4:5], v[18:19], v[204:205], -v[4:5]
	v_mul_f64_e32 v[18:19], v[18:19], v[206:207]
	v_add_f64_e32 v[14:15], v[14:15], v[4:5]
	s_delay_alu instid0(VALU_DEP_2) | instskip(NEXT) | instid1(VALU_DEP_1)
	v_fmac_f64_e32 v[18:19], v[20:21], v[204:205]
	v_add_f64_e32 v[16:17], v[16:17], v[18:19]
.LBB191_418:                            ;   in Loop: Header=BB191_3 Depth=1
	s_or_b32 exec_lo, exec_lo, s46
	s_barrier_signal -1
	s_barrier_wait -1
	;; [unrolled: 37-line block ×3, first 2 shown]
	s_and_saveexec_b32 s46, s71
	s_cbranch_execz .LBB191_424
; %bb.423:                              ;   in Loop: Header=BB191_3 Depth=1
	ds_load_b128 v[18:21], v2 offset:16368
	s_wait_dscnt 0x0
	v_mul_f64_e32 v[4:5], v[16:17], v[20:21]
	v_mul_f64_e32 v[206:207], v[14:15], v[20:21]
	s_delay_alu instid0(VALU_DEP_2) | instskip(NEXT) | instid1(VALU_DEP_2)
	v_fma_f64 v[204:205], v[14:15], v[18:19], -v[4:5]
	v_fmac_f64_e32 v[206:207], v[16:17], v[18:19]
	s_delay_alu instid0(VALU_DEP_2) | instskip(NEXT) | instid1(VALU_DEP_2)
	v_mov_b64_e32 v[14:15], v[204:205]
	v_mov_b64_e32 v[16:17], v[206:207]
	ds_store_b128 v51, v[204:207]
.LBB191_424:                            ;   in Loop: Header=BB191_3 Depth=1
	s_or_b32 exec_lo, exec_lo, s46
	s_wait_dscnt 0x0
	s_barrier_signal -1
	s_barrier_wait -1
	s_barrier_signal -1
	s_barrier_wait -1
	s_and_saveexec_b32 s46, s6
; %bb.425:                              ;   in Loop: Header=BB191_3 Depth=1
	s_delay_alu instid0(VALU_DEP_1) | instskip(NEXT) | instid1(VALU_DEP_4)
	v_xor_b32_e32 v17, 0x80000000, v17
	v_xor_b32_e32 v15, 0x80000000, v15
	ds_store_b128 v52, v[14:17] offset:12736
; %bb.426:                              ;   in Loop: Header=BB191_3 Depth=1
	s_or_b32 exec_lo, exec_lo, s46
	s_wait_dscnt 0x0
	s_barrier_signal -1
	s_barrier_wait -1
	s_barrier_signal -1
	s_barrier_wait -1
	s_and_saveexec_b32 s46, s72
	s_cbranch_execz .LBB191_428
; %bb.427:                              ;   in Loop: Header=BB191_3 Depth=1
	ds_load_b128 v[14:17], v101
	s_wait_dscnt 0x0
	ds_store_b128 v193, v[14:17]
	ds_load_b128 v[14:17], v104
	s_wait_dscnt 0x0
	ds_store_b128 v196, v[14:17]
	;; [unrolled: 3-line block ×4, first 2 shown]
.LBB191_428:                            ;   in Loop: Header=BB191_3 Depth=1
	s_or_b32 exec_lo, exec_lo, s46
	s_wait_dscnt 0x0
	s_barrier_signal -1
	s_barrier_wait -1
	s_and_saveexec_b32 s46, s31
	s_cbranch_execz .LBB191_430
; %bb.429:                              ;   in Loop: Header=BB191_3 Depth=1
	ds_load_b128 v[14:17], v2 offset:15312
	ds_load_b128 v[18:21], v2 offset:14784
	s_wait_dscnt 0x0
	v_mul_f64_e32 v[4:5], v[14:15], v[20:21]
	v_mul_f64_e32 v[20:21], v[16:17], v[20:21]
	s_delay_alu instid0(VALU_DEP_2) | instskip(NEXT) | instid1(VALU_DEP_2)
	v_fmac_f64_e32 v[4:5], v[16:17], v[18:19]
	v_fma_f64 v[20:21], v[14:15], v[18:19], -v[20:21]
	ds_load_b128 v[14:17], v2 offset:14800
	s_wait_dscnt 0x0
	v_mul_f64_e32 v[40:41], v[4:5], v[16:17]
	v_mul_f64_e32 v[18:19], v[20:21], v[16:17]
	s_delay_alu instid0(VALU_DEP_2) | instskip(NEXT) | instid1(VALU_DEP_2)
	v_fma_f64 v[16:17], v[14:15], v[20:21], -v[40:41]
	v_fmac_f64_e32 v[18:19], v[14:15], v[4:5]
	ds_store_b128 v2, v[16:19] offset:14800
	ds_store_b128 v2, v[16:19] offset:15296
.LBB191_430:                            ;   in Loop: Header=BB191_3 Depth=1
	s_or_b32 exec_lo, exec_lo, s46
	v_mov_b64_e32 v[16:17], 0
	v_mov_b64_e32 v[14:15], 0
	s_wait_dscnt 0x0
	s_barrier_signal -1
	s_barrier_wait -1
	s_and_saveexec_b32 s46, s3
	s_cbranch_execz .LBB191_434
; %bb.431:                              ;   in Loop: Header=BB191_3 Depth=1
	ds_load_b128 v[14:17], v44 offset:14784
	ds_load_b128 v[18:21], v43 offset:14816
	s_wait_dscnt 0x0
	v_mul_f64_e32 v[4:5], v[16:17], v[20:21]
	v_mul_f64_e32 v[20:21], v[14:15], v[20:21]
	s_delay_alu instid0(VALU_DEP_2) | instskip(NEXT) | instid1(VALU_DEP_2)
	v_fma_f64 v[4:5], v[14:15], v[18:19], -v[4:5]
	v_fmac_f64_e32 v[20:21], v[16:17], v[18:19]
	s_delay_alu instid0(VALU_DEP_2) | instskip(NEXT) | instid1(VALU_DEP_2)
	v_add_f64_e32 v[14:15], 0, v[4:5]
	v_add_f64_e32 v[16:17], 0, v[20:21]
	s_and_saveexec_b32 s47, s4
	s_cbranch_execz .LBB191_433
; %bb.432:                              ;   in Loop: Header=BB191_3 Depth=1
	ds_load_b128 v[18:21], v2 offset:14800
	ds_load_b128 v[204:207], v94 offset:15328
	s_wait_dscnt 0x0
	v_mul_f64_e32 v[4:5], v[20:21], v[206:207]
	s_delay_alu instid0(VALU_DEP_1) | instskip(SKIP_1) | instid1(VALU_DEP_2)
	v_fma_f64 v[4:5], v[18:19], v[204:205], -v[4:5]
	v_mul_f64_e32 v[18:19], v[18:19], v[206:207]
	v_add_f64_e32 v[14:15], v[14:15], v[4:5]
	s_delay_alu instid0(VALU_DEP_2) | instskip(NEXT) | instid1(VALU_DEP_1)
	v_fmac_f64_e32 v[18:19], v[20:21], v[204:205]
	v_add_f64_e32 v[16:17], v[16:17], v[18:19]
.LBB191_433:                            ;   in Loop: Header=BB191_3 Depth=1
	s_or_b32 exec_lo, exec_lo, s47
	s_delay_alu instid0(VALU_DEP_2) | instskip(NEXT) | instid1(VALU_DEP_2)
	v_xor_b32_e32 v15, 0x80000000, v15
	v_xor_b32_e32 v17, 0x80000000, v17
.LBB191_434:                            ;   in Loop: Header=BB191_3 Depth=1
	s_or_b32 exec_lo, exec_lo, s46
	s_and_saveexec_b32 s46, s63
	s_cbranch_execz .LBB191_436
; %bb.435:                              ;   in Loop: Header=BB191_3 Depth=1
	ds_load_b128 v[18:21], v2 offset:15840
	s_wait_dscnt 0x0
	v_mul_f64_e32 v[4:5], v[16:17], v[20:21]
	v_mul_f64_e32 v[206:207], v[14:15], v[20:21]
	s_delay_alu instid0(VALU_DEP_2) | instskip(NEXT) | instid1(VALU_DEP_2)
	v_fma_f64 v[204:205], v[14:15], v[18:19], -v[4:5]
	v_fmac_f64_e32 v[206:207], v[16:17], v[18:19]
	s_delay_alu instid0(VALU_DEP_2) | instskip(NEXT) | instid1(VALU_DEP_2)
	v_mov_b64_e32 v[14:15], v[204:205]
	v_mov_b64_e32 v[16:17], v[206:207]
	ds_store_b128 v23, v[204:207]
.LBB191_436:                            ;   in Loop: Header=BB191_3 Depth=1
	s_or_b32 exec_lo, exec_lo, s46
	s_wait_dscnt 0x0
	s_barrier_signal -1
	s_barrier_wait -1
	s_and_saveexec_b32 s46, s64
	s_cbranch_execz .LBB191_438
; %bb.437:                              ;   in Loop: Header=BB191_3 Depth=1
	ds_load_b128 v[18:21], v23
	ds_load_b128 v[204:207], v2 offset:15856
	s_wait_dscnt 0x0
	v_mul_f64_e32 v[4:5], v[20:21], v[206:207]
	s_delay_alu instid0(VALU_DEP_1) | instskip(SKIP_1) | instid1(VALU_DEP_2)
	v_fma_f64 v[4:5], v[18:19], v[204:205], -v[4:5]
	v_mul_f64_e32 v[18:19], v[18:19], v[206:207]
	v_add_f64_e32 v[14:15], v[14:15], v[4:5]
	s_delay_alu instid0(VALU_DEP_2) | instskip(NEXT) | instid1(VALU_DEP_1)
	v_fmac_f64_e32 v[18:19], v[20:21], v[204:205]
	v_add_f64_e32 v[16:17], v[16:17], v[18:19]
.LBB191_438:                            ;   in Loop: Header=BB191_3 Depth=1
	s_or_b32 exec_lo, exec_lo, s46
	s_barrier_signal -1
	s_barrier_wait -1
	s_and_saveexec_b32 s46, s64
	s_cbranch_execz .LBB191_440
; %bb.439:                              ;   in Loop: Header=BB191_3 Depth=1
	ds_load_b128 v[18:21], v2 offset:16368
	s_wait_dscnt 0x0
	v_mul_f64_e32 v[4:5], v[16:17], v[20:21]
	v_mul_f64_e32 v[206:207], v[14:15], v[20:21]
	s_delay_alu instid0(VALU_DEP_2) | instskip(NEXT) | instid1(VALU_DEP_2)
	v_fma_f64 v[204:205], v[14:15], v[18:19], -v[4:5]
	v_fmac_f64_e32 v[206:207], v[16:17], v[18:19]
	s_delay_alu instid0(VALU_DEP_2) | instskip(NEXT) | instid1(VALU_DEP_2)
	v_mov_b64_e32 v[14:15], v[204:205]
	v_mov_b64_e32 v[16:17], v[206:207]
	ds_store_b128 v23, v[204:207]
.LBB191_440:                            ;   in Loop: Header=BB191_3 Depth=1
	s_or_b32 exec_lo, exec_lo, s46
	s_wait_dscnt 0x0
	s_barrier_signal -1
	s_barrier_wait -1
	s_barrier_signal -1
	s_barrier_wait -1
	s_and_saveexec_b32 s46, s3
; %bb.441:                              ;   in Loop: Header=BB191_3 Depth=1
	s_delay_alu instid0(VALU_DEP_3) | instskip(NEXT) | instid1(VALU_DEP_2)
	v_xor_b32_e32 v15, 0x80000000, v15
	v_xor_b32_e32 v17, 0x80000000, v17
	ds_store_b128 v43, v[14:17] offset:14816
; %bb.442:                              ;   in Loop: Header=BB191_3 Depth=1
	s_or_b32 exec_lo, exec_lo, s46
	s_wait_dscnt 0x0
	s_barrier_signal -1
	s_barrier_wait -1
	s_barrier_signal -1
	s_barrier_wait -1
	s_and_saveexec_b32 s46, s65
	s_cbranch_execz .LBB191_444
; %bb.443:                              ;   in Loop: Header=BB191_3 Depth=1
	ds_load_b128 v[14:17], v107
	s_wait_dscnt 0x0
	ds_store_b128 v111, v[14:17]
	ds_load_b128 v[14:17], v108
	s_wait_dscnt 0x0
	ds_store_b128 v112, v[14:17]
.LBB191_444:                            ;   in Loop: Header=BB191_3 Depth=1
	s_or_b32 exec_lo, exec_lo, s46
	s_wait_dscnt 0x0
	s_barrier_signal -1
	s_barrier_wait -1
	s_and_saveexec_b32 s46, s31
	s_cbranch_execz .LBB191_446
; %bb.445:                              ;   in Loop: Header=BB191_3 Depth=1
	ds_load_b128 v[14:17], v2 offset:16368
	ds_load_b128 v[18:21], v2 offset:15840
	s_wait_dscnt 0x0
	v_mul_f64_e32 v[4:5], v[14:15], v[20:21]
	v_mul_f64_e32 v[20:21], v[16:17], v[20:21]
	s_delay_alu instid0(VALU_DEP_2) | instskip(NEXT) | instid1(VALU_DEP_2)
	v_fmac_f64_e32 v[4:5], v[16:17], v[18:19]
	v_fma_f64 v[20:21], v[14:15], v[18:19], -v[20:21]
	ds_load_b128 v[14:17], v2 offset:15856
	s_wait_dscnt 0x0
	v_mul_f64_e32 v[40:41], v[4:5], v[16:17]
	v_mul_f64_e32 v[18:19], v[20:21], v[16:17]
	s_delay_alu instid0(VALU_DEP_2) | instskip(NEXT) | instid1(VALU_DEP_2)
	v_fma_f64 v[16:17], v[14:15], v[20:21], -v[40:41]
	v_fmac_f64_e32 v[18:19], v[14:15], v[4:5]
	ds_store_b128 v2, v[16:19] offset:15856
	ds_store_b128 v2, v[16:19] offset:16352
.LBB191_446:                            ;   in Loop: Header=BB191_3 Depth=1
	s_or_b32 exec_lo, exec_lo, s46
.LBB191_447:                            ;   in Loop: Header=BB191_3 Depth=1
	v_add_nc_u64_e32 v[38:39], s[0:1], v[38:39]
	v_mov_b64_e32 v[14:15], 0
	v_mov_b64_e32 v[16:17], 0
	s_wait_dscnt 0x0
	s_barrier_signal -1
	s_barrier_wait -1
	s_wait_xcnt 0x0
	s_and_saveexec_b32 s46, s90
	s_cbranch_execz .LBB191_449
; %bb.448:                              ;   in Loop: Header=BB191_3 Depth=1
	v_lshl_add_u64 v[4:5], v[28:29], 4, v[38:39]
	flat_load_b128 v[16:19], v[4:5]
	s_wait_loadcnt_dscnt 0x0
	v_mul_f64_e32 v[4:5], s[40:41], v[16:17]
	s_delay_alu instid0(VALU_DEP_1) | instskip(SKIP_1) | instid1(VALU_DEP_1)
	v_fma_f64 v[14:15], s[42:43], v[18:19], -v[4:5]
	v_mul_f64_e32 v[4:5], s[40:41], v[18:19]
	v_fma_f64 v[16:17], v[16:17], -s[42:43], -v[4:5]
.LBB191_449:                            ;   in Loop: Header=BB191_3 Depth=1
	s_or_b32 exec_lo, exec_lo, s46
	s_delay_alu instid0(SALU_CYCLE_1)
	s_and_not1_b32 vcc_lo, exec_lo, s91
	s_cbranch_vccnz .LBB191_472
; %bb.450:                              ;   in Loop: Header=BB191_3 Depth=1
	v_mov_b32_e32 v203, -1
	s_lshl_b64 s[46:47], s[38:39], 2
	s_mov_b32 s93, 0
	s_add_nc_u64 s[46:47], s[56:57], s[46:47]
	s_branch .LBB191_453
.LBB191_451:                            ;   in Loop: Header=BB191_453 Depth=2
	ds_load_b128 v[204:207], v129 offset:256
	s_wait_loadcnt_dscnt 0x0
	v_mul_f64_e32 v[4:5], v[20:21], v[206:207]
	s_delay_alu instid0(VALU_DEP_1) | instskip(SKIP_1) | instid1(VALU_DEP_2)
	v_fma_f64 v[4:5], v[18:19], v[204:205], -v[4:5]
	v_mul_f64_e32 v[18:19], v[18:19], v[206:207]
	v_add_f64_e32 v[14:15], v[14:15], v[4:5]
	s_delay_alu instid0(VALU_DEP_2) | instskip(NEXT) | instid1(VALU_DEP_1)
	v_fmac_f64_e32 v[18:19], v[20:21], v[204:205]
	v_add_f64_e32 v[16:17], v[16:17], v[18:19]
.LBB191_452:                            ;   in Loop: Header=BB191_453 Depth=2
	s_or_b32 exec_lo, exec_lo, s94
	s_add_co_i32 s93, s93, 1
	s_delay_alu instid0(SALU_CYCLE_1)
	s_cmp_eq_u32 s93, s58
	s_cbranch_scc1 .LBB191_472
.LBB191_453:                            ;   Parent Loop BB191_3 Depth=1
                                        ; =>  This Loop Header: Depth=2
                                        ;       Child Loop BB191_455 Depth 3
	v_cmp_gt_i32_e32 vcc_lo, s93, v203
	s_and_b32 s95, s35, vcc_lo
	s_delay_alu instid0(SALU_CYCLE_1)
	s_and_saveexec_b32 s94, s95
	s_cbranch_execz .LBB191_456
; %bb.454:                              ;   in Loop: Header=BB191_453 Depth=2
	global_load_b32 v203, v2, s[46:47]
	s_wait_loadcnt 0x0
	v_cmp_le_i32_e32 vcc_lo, s93, v203
	s_cbranch_vccnz .LBB191_456
.LBB191_455:                            ;   Parent Loop BB191_3 Depth=1
                                        ;     Parent Loop BB191_453 Depth=2
                                        ; =>    This Inner Loop Header: Depth=3
	global_wb scope:SCOPE_DEV
	s_wait_storecnt 0x0
	global_inv scope:SCOPE_DEV
	global_load_b32 v203, v2, s[46:47]
	s_wait_loadcnt 0x0
	v_cmp_gt_i32_e32 vcc_lo, s93, v203
	s_cbranch_vccnz .LBB191_455
.LBB191_456:                            ;   in Loop: Header=BB191_453 Depth=2
	s_or_b32 exec_lo, exec_lo, s94
	s_sub_co_i32 s94, s59, s93
	global_wb scope:SCOPE_DEV
	s_wait_storecnt 0x0
	global_inv scope:SCOPE_DEV
	s_lshl_b32 s95, s94, 5
	s_wait_loadcnt 0x0
	s_barrier_signal -1
	s_barrier_wait -1
	s_and_saveexec_b32 s96, s36
	s_cbranch_execz .LBB191_461
; %bb.457:                              ;   in Loop: Header=BB191_453 Depth=2
	s_ashr_i32 vcc_lo, s95, 31
	s_delay_alu instid0(SALU_CYCLE_1) | instskip(NEXT) | instid1(VALU_DEP_1)
	v_dual_mov_b32 v5, vcc_lo :: v_dual_bitop2_b32 v4, s95, v24 bitop3:0x54
	v_cmp_le_i64_e32 vcc_lo, s[52:53], v[4:5]
	s_and_saveexec_b32 s97, vcc_lo
	s_delay_alu instid0(SALU_CYCLE_1)
	s_xor_b32 vcc_lo, exec_lo, s97
; %bb.458:                              ;   in Loop: Header=BB191_453 Depth=2
	v_dual_mov_b32 v3, v2 :: v_dual_mov_b32 v4, v2
	v_mov_b32_e32 v5, v2
	ds_store_b128 v197, v[2:5]
                                        ; implicit-def: $vgpr4_vgpr5
; %bb.459:                              ;   in Loop: Header=BB191_453 Depth=2
	s_and_not1_saveexec_b32 s97, vcc_lo
	s_cbranch_execz .LBB191_461
; %bb.460:                              ;   in Loop: Header=BB191_453 Depth=2
	v_mul_u64_e32 v[4:5], s[54:55], v[4:5]
	s_delay_alu instid0(VALU_DEP_1)
	v_lshl_add_u64 v[4:5], v[4:5], 4, v[38:39]
	flat_load_b128 v[18:21], v[4:5]
	s_wait_loadcnt_dscnt 0x0
	ds_store_2addr_b64 v197, v[18:19], v[20:21] offset1:1
.LBB191_461:                            ;   in Loop: Header=BB191_453 Depth=2
	s_or_b32 exec_lo, exec_lo, s96
	v_add_nc_u32_e32 v18, s95, v42
	s_cmp_lg_u32 s94, s92
	s_wait_dscnt 0x0
	s_cselect_b32 s95, -1, 0
	s_barrier_signal -1
	v_ashrrev_i32_e32 v19, 31, v18
	v_cmp_gt_i32_e32 vcc_lo, s52, v18
	v_cndmask_b32_e64 v3, 0, 1, s95
	s_barrier_wait -1
	s_delay_alu instid0(VALU_DEP_3) | instskip(SKIP_1) | instid1(SALU_CYCLE_1)
	v_lshl_add_u64 v[4:5], v[18:19], 4, v[36:37]
	s_and_b32 s96, vcc_lo, s2
	s_and_saveexec_b32 s94, s96
	s_cbranch_execz .LBB191_467
; %bb.462:                              ;   in Loop: Header=BB191_453 Depth=2
	v_mov_b64_e32 v[20:21], v[6:7]
	s_and_not1_b32 vcc_lo, exec_lo, s95
	s_cbranch_vccnz .LBB191_464
; %bb.463:                              ;   in Loop: Header=BB191_453 Depth=2
	flat_load_b64 v[20:21], v[4:5]
.LBB191_464:                            ;   in Loop: Header=BB191_453 Depth=2
	v_cmp_ne_u32_e32 vcc_lo, 1, v3
	v_mov_b64_e32 v[40:41], v[8:9]
	s_cbranch_vccnz .LBB191_466
; %bb.465:                              ;   in Loop: Header=BB191_453 Depth=2
	flat_load_b64 v[40:41], v[4:5] offset:8
.LBB191_466:                            ;   in Loop: Header=BB191_453 Depth=2
	ds_load_b128 v[204:207], v129
	s_wait_loadcnt_dscnt 0x0
	v_mul_f64_e32 v[208:209], v[40:41], v[206:207]
	s_delay_alu instid0(VALU_DEP_1) | instskip(SKIP_1) | instid1(VALU_DEP_2)
	v_fma_f64 v[208:209], v[20:21], v[204:205], -v[208:209]
	v_mul_f64_e32 v[20:21], v[20:21], v[206:207]
	v_add_f64_e32 v[14:15], v[14:15], v[208:209]
	s_delay_alu instid0(VALU_DEP_2) | instskip(NEXT) | instid1(VALU_DEP_1)
	v_fmac_f64_e32 v[20:21], v[40:41], v[204:205]
	v_add_f64_e32 v[16:17], v[16:17], v[20:21]
.LBB191_467:                            ;   in Loop: Header=BB191_453 Depth=2
	s_or_b32 exec_lo, exec_lo, s94
	v_add_nc_u32_e32 v18, 16, v18
	s_delay_alu instid0(VALU_DEP_1) | instskip(SKIP_1) | instid1(SALU_CYCLE_1)
	v_cmp_gt_i32_e32 vcc_lo, s52, v18
	s_and_b32 s95, vcc_lo, s2
	s_and_saveexec_b32 s94, s95
	s_cbranch_execz .LBB191_452
; %bb.468:                              ;   in Loop: Header=BB191_453 Depth=2
	v_cmp_ne_u32_e32 vcc_lo, 1, v3
	v_mov_b64_e32 v[18:19], v[10:11]
	s_cbranch_vccnz .LBB191_470
; %bb.469:                              ;   in Loop: Header=BB191_453 Depth=2
	flat_load_b64 v[18:19], v[4:5] offset:256
.LBB191_470:                            ;   in Loop: Header=BB191_453 Depth=2
	v_cmp_ne_u32_e32 vcc_lo, 1, v3
	v_mov_b64_e32 v[20:21], v[12:13]
	s_cbranch_vccnz .LBB191_451
; %bb.471:                              ;   in Loop: Header=BB191_453 Depth=2
	flat_load_b64 v[20:21], v[4:5] offset:264
	s_branch .LBB191_451
.LBB191_472:                            ;   in Loop: Header=BB191_3 Depth=1
	ds_store_b128 v198, v[14:17]
	s_wait_dscnt 0x0
	s_barrier_signal -1
	s_barrier_wait -1
	s_and_saveexec_b32 s46, s5
	s_cbranch_execz .LBB191_474
; %bb.473:                              ;   in Loop: Header=BB191_3 Depth=1
	ds_load_b128 v[18:21], v199 offset:512
	s_wait_dscnt 0x0
	v_add_f64_e32 v[4:5], v[14:15], v[18:19]
	v_add_f64_e32 v[18:19], v[16:17], v[20:21]
	ds_load_b128 v[14:17], v199 offset:1024
	s_wait_dscnt 0x0
	v_add_f64_e32 v[4:5], v[4:5], v[14:15]
	v_add_f64_e32 v[18:19], v[18:19], v[16:17]
	;; [unrolled: 4-line block ×15, first 2 shown]
	s_delay_alu instid0(VALU_DEP_2) | instskip(NEXT) | instid1(VALU_DEP_2)
	v_xor_b32_e32 v3, 0x80000000, v5
	v_xor_b32_e32 v5, 0x80000000, v17
	s_delay_alu instid0(VALU_DEP_4) | instskip(NEXT) | instid1(VALU_DEP_4)
	v_cndmask_b32_e64 v14, v4, 0, s89
	v_cndmask_b32_e64 v16, v16, 0, s89
	s_delay_alu instid0(VALU_DEP_4) | instskip(NEXT) | instid1(VALU_DEP_4)
	v_cndmask_b32_e64 v15, v3, 0, s89
	v_cndmask_b32_e64 v17, v5, 0, s89
.LBB191_474:                            ;   in Loop: Header=BB191_3 Depth=1
	s_or_b32 exec_lo, exec_lo, s46
	s_delay_alu instid0(SALU_CYCLE_1)
	s_and_not1_b32 vcc_lo, exec_lo, s62
	s_cbranch_vccnz .LBB191_483
; %bb.475:                              ;   in Loop: Header=BB191_3 Depth=1
	s_and_saveexec_b32 s46, s5
; %bb.476:                              ;   in Loop: Header=BB191_3 Depth=1
	ds_store_b128 v200, v[14:17]
; %bb.477:                              ;   in Loop: Header=BB191_3 Depth=1
	s_or_b32 exec_lo, exec_lo, s46
	v_mov_b64_e32 v[18:19], 0
	v_mov_b64_e32 v[20:21], 0
	s_wait_dscnt 0x0
	s_barrier_signal -1
	s_barrier_wait -1
	s_and_saveexec_b32 s46, s12
	s_cbranch_execz .LBB191_479
; %bb.478:                              ;   in Loop: Header=BB191_3 Depth=1
	ds_load_b128 v[18:21], v129
	ds_load_b128 v[204:207], v128
	s_wait_dscnt 0x0
	v_mul_f64_e32 v[4:5], v[20:21], v[206:207]
	v_mul_f64_e32 v[36:37], v[18:19], v[206:207]
	s_delay_alu instid0(VALU_DEP_2) | instskip(NEXT) | instid1(VALU_DEP_2)
	v_fma_f64 v[4:5], v[18:19], v[204:205], -v[4:5]
	v_fmac_f64_e32 v[36:37], v[20:21], v[204:205]
	s_delay_alu instid0(VALU_DEP_2) | instskip(NEXT) | instid1(VALU_DEP_2)
	v_add_f64_e32 v[18:19], 0, v[4:5]
	v_add_f64_e32 v[20:21], 0, v[36:37]
.LBB191_479:                            ;   in Loop: Header=BB191_3 Depth=1
	s_or_b32 exec_lo, exec_lo, s46
	s_and_saveexec_b32 s46, s13
	s_cbranch_execz .LBB191_481
; %bb.480:                              ;   in Loop: Header=BB191_3 Depth=1
	ds_load_b128 v[204:207], v129 offset:256
	ds_load_b128 v[208:211], v128 offset:8192
	s_wait_dscnt 0x0
	v_mul_f64_e32 v[4:5], v[206:207], v[210:211]
	v_mul_f64_e32 v[36:37], v[204:205], v[210:211]
	s_delay_alu instid0(VALU_DEP_2) | instskip(NEXT) | instid1(VALU_DEP_2)
	v_fma_f64 v[4:5], v[204:205], v[208:209], -v[4:5]
	v_fmac_f64_e32 v[36:37], v[206:207], v[208:209]
	s_delay_alu instid0(VALU_DEP_2) | instskip(NEXT) | instid1(VALU_DEP_2)
	v_add_f64_e32 v[18:19], v[18:19], v[4:5]
	v_add_f64_e32 v[20:21], v[20:21], v[36:37]
.LBB191_481:                            ;   in Loop: Header=BB191_3 Depth=1
	s_or_b32 exec_lo, exec_lo, s46
	s_mov_b32 s47, 0
	s_mov_b32 s46, 0
	ds_store_b128 v198, v[18:21]
	s_wait_dscnt 0x0
	s_barrier_signal -1
	s_barrier_wait -1
                                        ; implicit-def: $vgpr4_vgpr5
                                        ; implicit-def: $vgpr36_vgpr37
	s_and_saveexec_b32 vcc_lo, s5
	s_cbranch_execz .LBB191_546
; %bb.482:                              ;   in Loop: Header=BB191_3 Depth=1
	ds_load_b128 v[204:207], v199 offset:512
	s_mov_b32 s46, exec_lo
	s_wait_dscnt 0x0
	v_add_f64_e32 v[4:5], v[18:19], v[204:205]
	v_add_f64_e32 v[36:37], v[20:21], v[206:207]
	ds_load_b128 v[18:21], v199 offset:1024
	s_wait_dscnt 0x0
	v_add_f64_e32 v[4:5], v[4:5], v[18:19]
	v_add_f64_e32 v[36:37], v[36:37], v[20:21]
	ds_load_b128 v[18:21], v199 offset:1536
	;; [unrolled: 4-line block ×14, first 2 shown]
	s_wait_dscnt 0x0
	v_add_f64_e32 v[36:37], v[4:5], v[18:19]
	v_add_f64_e32 v[4:5], v[40:41], v[20:21]
	s_or_b32 exec_lo, exec_lo, vcc_lo
	s_delay_alu instid0(SALU_CYCLE_1)
	s_and_b32 vcc_lo, exec_lo, s47
	s_cbranch_vccnz .LBB191_484
	s_branch .LBB191_547
.LBB191_483:                            ;   in Loop: Header=BB191_3 Depth=1
	s_mov_b32 s46, 0
                                        ; implicit-def: $vgpr4_vgpr5
                                        ; implicit-def: $vgpr36_vgpr37
	s_cbranch_execz .LBB191_547
.LBB191_484:                            ;   in Loop: Header=BB191_3 Depth=1
	v_mov_b32_e32 v3, v147
	s_mov_b32 s47, 31
	s_branch .LBB191_486
.LBB191_485:                            ;   in Loop: Header=BB191_486 Depth=2
	s_or_b32 exec_lo, exec_lo, s94
	v_add_nc_u32_e32 v3, 0xfffffc00, v3
	s_add_co_i32 s47, s47, -2
	s_cmp_lg_u32 s93, 0
	s_barrier_signal -1
	s_barrier_wait -1
	s_cbranch_scc0 .LBB191_494
.LBB191_486:                            ;   Parent Loop BB191_3 Depth=1
                                        ; =>  This Inner Loop Header: Depth=2
	s_delay_alu instid0(VALU_DEP_1) | instskip(SKIP_1) | instid1(SALU_CYCLE_1)
	v_cmp_eq_u32_e32 vcc_lo, 0xffffc200, v3
	s_and_b32 s94, s5, vcc_lo
	s_and_saveexec_b32 s93, s94
	s_cbranch_execz .LBB191_488
; %bb.487:                              ;   in Loop: Header=BB191_486 Depth=2
	ds_load_b128 v[18:21], v201
	s_wait_dscnt 0x0
	v_mul_f64_e32 v[4:5], v[16:17], v[20:21]
	v_mul_f64_e32 v[206:207], v[14:15], v[20:21]
	s_delay_alu instid0(VALU_DEP_2) | instskip(NEXT) | instid1(VALU_DEP_2)
	v_fma_f64 v[204:205], v[14:15], v[18:19], -v[4:5]
	v_fmac_f64_e32 v[206:207], v[16:17], v[18:19]
	s_delay_alu instid0(VALU_DEP_2) | instskip(NEXT) | instid1(VALU_DEP_2)
	v_mov_b64_e32 v[14:15], v[204:205]
	v_mov_b64_e32 v[16:17], v[206:207]
	ds_store_b128 v2, v[204:207] offset:25088
.LBB191_488:                            ;   in Loop: Header=BB191_486 Depth=2
	s_or_b32 exec_lo, exec_lo, s93
	v_cmp_gt_u32_e32 vcc_lo, s47, v22
	v_add_nc_u32_e32 v4, v202, v3
	s_wait_dscnt 0x0
	s_barrier_signal -1
	s_barrier_wait -1
	s_and_b32 s94, s5, vcc_lo
	s_delay_alu instid0(SALU_CYCLE_1)
	s_and_saveexec_b32 s93, s94
	s_cbranch_execz .LBB191_490
; %bb.489:                              ;   in Loop: Header=BB191_486 Depth=2
	ds_load_b128 v[18:21], v2 offset:25088
	ds_load_b128 v[204:207], v4 offset:512
	s_wait_dscnt 0x0
	v_mul_f64_e32 v[36:37], v[20:21], v[206:207]
	s_delay_alu instid0(VALU_DEP_1) | instskip(SKIP_1) | instid1(VALU_DEP_2)
	v_fma_f64 v[36:37], v[18:19], v[204:205], -v[36:37]
	v_mul_f64_e32 v[18:19], v[18:19], v[206:207]
	v_add_f64_e32 v[14:15], v[14:15], v[36:37]
	s_delay_alu instid0(VALU_DEP_2) | instskip(NEXT) | instid1(VALU_DEP_1)
	v_fmac_f64_e32 v[18:19], v[20:21], v[204:205]
	v_add_f64_e32 v[16:17], v[16:17], v[18:19]
.LBB191_490:                            ;   in Loop: Header=BB191_486 Depth=2
	s_or_b32 exec_lo, exec_lo, s93
	s_add_co_i32 s93, s47, -1
	s_delay_alu instid0(SALU_CYCLE_1) | instskip(SKIP_3) | instid1(SALU_CYCLE_1)
	v_cmp_eq_u32_e32 vcc_lo, s93, v22
	s_barrier_signal -1
	s_barrier_wait -1
	s_and_b32 s95, s5, vcc_lo
	s_and_saveexec_b32 s94, s95
	s_cbranch_execz .LBB191_492
; %bb.491:                              ;   in Loop: Header=BB191_486 Depth=2
	ds_load_b128 v[18:21], v201
	s_wait_dscnt 0x0
	v_mul_f64_e32 v[36:37], v[16:17], v[20:21]
	v_mul_f64_e32 v[206:207], v[14:15], v[20:21]
	s_delay_alu instid0(VALU_DEP_2) | instskip(NEXT) | instid1(VALU_DEP_2)
	v_fma_f64 v[204:205], v[14:15], v[18:19], -v[36:37]
	v_fmac_f64_e32 v[206:207], v[16:17], v[18:19]
	s_delay_alu instid0(VALU_DEP_2) | instskip(NEXT) | instid1(VALU_DEP_2)
	v_mov_b64_e32 v[14:15], v[204:205]
	v_mov_b64_e32 v[16:17], v[206:207]
	ds_store_b128 v2, v[204:207] offset:25088
.LBB191_492:                            ;   in Loop: Header=BB191_486 Depth=2
	s_or_b32 exec_lo, exec_lo, s94
	v_cmp_gt_u32_e32 vcc_lo, s93, v22
	s_wait_dscnt 0x0
	s_barrier_signal -1
	s_barrier_wait -1
	s_and_b32 s95, s5, vcc_lo
	s_delay_alu instid0(SALU_CYCLE_1)
	s_and_saveexec_b32 s94, s95
	s_cbranch_execz .LBB191_485
; %bb.493:                              ;   in Loop: Header=BB191_486 Depth=2
	ds_load_b128 v[18:21], v2 offset:25088
	ds_load_b128 v[204:207], v4
	s_wait_dscnt 0x0
	v_mul_f64_e32 v[4:5], v[20:21], v[206:207]
	s_delay_alu instid0(VALU_DEP_1) | instskip(SKIP_1) | instid1(VALU_DEP_2)
	v_fma_f64 v[4:5], v[18:19], v[204:205], -v[4:5]
	v_mul_f64_e32 v[18:19], v[18:19], v[206:207]
	v_add_f64_e32 v[14:15], v[14:15], v[4:5]
	s_delay_alu instid0(VALU_DEP_2) | instskip(NEXT) | instid1(VALU_DEP_1)
	v_fmac_f64_e32 v[18:19], v[20:21], v[204:205]
	v_add_f64_e32 v[16:17], v[16:17], v[18:19]
	s_branch .LBB191_485
.LBB191_494:                            ;   in Loop: Header=BB191_3 Depth=1
	s_and_b32 vcc_lo, exec_lo, s60
	s_mov_b32 s47, -1
	s_cbranch_vccnz .LBB191_548
; %bb.495:                              ;   in Loop: Header=BB191_3 Depth=1
	s_and_not1_b32 vcc_lo, exec_lo, s47
	s_cbranch_vccz .LBB191_549
.LBB191_496:                            ;   in Loop: Header=BB191_3 Depth=1
	s_and_saveexec_b32 s47, s46
	s_cbranch_execz .LBB191_498
.LBB191_497:                            ;   in Loop: Header=BB191_3 Depth=1
	v_lshl_add_u64 v[4:5], v[30:31], 4, v[38:39]
	flat_store_b128 v[4:5], v[14:17]
.LBB191_498:                            ;   in Loop: Header=BB191_3 Depth=1
	s_wait_xcnt 0x0
	s_or_b32 exec_lo, exec_lo, s47
	global_wb scope:SCOPE_DEV
	s_wait_storecnt_dscnt 0x0
	global_inv scope:SCOPE_DEV
	s_wait_loadcnt 0x0
	s_barrier_signal -1
	s_barrier_wait -1
	s_and_saveexec_b32 s46, s35
	s_cbranch_execz .LBB191_2
; %bb.499:                              ;   in Loop: Header=BB191_3 Depth=1
	s_lshl_b64 s[94:95], s[38:39], 2
	s_delay_alu instid0(SALU_CYCLE_1)
	s_add_nc_u64 s[94:95], s[56:57], s[94:95]
	global_load_b32 v3, v2, s[94:95]
	s_wait_loadcnt 0x0
	v_add_nc_u32_e32 v3, 1, v3
	global_store_b32 v2, v3, s[94:95]
	s_branch .LBB191_2
.LBB191_500:                            ;   in Loop: Header=BB191_3 Depth=1
	s_mov_b32 s47, exec_lo
	v_readlane_b32 s93, v212, 13
	s_and_b32 s93, s47, s93
	s_delay_alu instid0(SALU_CYCLE_1)
	s_xor_b32 s47, s93, s47
	s_mov_b32 exec_lo, s93
	s_cbranch_execz .LBB191_504
; %bb.501:                              ;   in Loop: Header=BB191_3 Depth=1
	s_mov_b32 s93, exec_lo
	v_readlane_b32 s94, v212, 28
	s_and_b32 s94, s93, s94
	s_delay_alu instid0(SALU_CYCLE_1)
	s_mov_b32 exec_lo, s94
; %bb.502:                              ;   in Loop: Header=BB191_3 Depth=1
	v_dual_mov_b32 v3, v2 :: v_dual_mov_b32 v4, v2
	v_mov_b32_e32 v5, v2
	ds_store_b128 v148, v[2:5]
; %bb.503:                              ;   in Loop: Header=BB191_3 Depth=1
	s_or_b32 exec_lo, exec_lo, s93
.LBB191_504:                            ;   in Loop: Header=BB191_3 Depth=1
	s_and_not1_saveexec_b32 s47, s47
	s_cbranch_execz .LBB191_510
; %bb.505:                              ;   in Loop: Header=BB191_3 Depth=1
	v_lshl_add_u64 v[4:5], v[32:33], 4, v[40:41]
                                        ; implicit-def: $vgpr18_vgpr19
	flat_load_b128 v[14:17], v[4:5]
	s_wait_loadcnt_dscnt 0x0
	v_cmp_ngt_f64_e64 s93, |v[14:15]|, |v[16:17]|
	s_and_saveexec_b32 s94, s93
	s_delay_alu instid0(SALU_CYCLE_1)
	s_xor_b32 s93, exec_lo, s94
	s_cbranch_execz .LBB191_507
; %bb.506:                              ;   in Loop: Header=BB191_3 Depth=1
	v_div_scale_f64 v[4:5], null, v[16:17], v[16:17], v[14:15]
	v_div_scale_f64 v[204:205], vcc_lo, v[14:15], v[16:17], v[14:15]
	s_delay_alu instid0(VALU_DEP_2) | instskip(SKIP_1) | instid1(TRANS32_DEP_1)
	v_rcp_f64_e32 v[18:19], v[4:5]
	v_nop
	v_fma_f64 v[20:21], -v[4:5], v[18:19], 1.0
	s_delay_alu instid0(VALU_DEP_1) | instskip(NEXT) | instid1(VALU_DEP_1)
	v_fmac_f64_e32 v[18:19], v[18:19], v[20:21]
	v_fma_f64 v[20:21], -v[4:5], v[18:19], 1.0
	s_delay_alu instid0(VALU_DEP_1) | instskip(NEXT) | instid1(VALU_DEP_1)
	v_fmac_f64_e32 v[18:19], v[18:19], v[20:21]
	v_mul_f64_e32 v[20:21], v[204:205], v[18:19]
	s_delay_alu instid0(VALU_DEP_1) | instskip(NEXT) | instid1(VALU_DEP_1)
	v_fma_f64 v[4:5], -v[4:5], v[20:21], v[204:205]
	v_div_fmas_f64 v[4:5], v[4:5], v[18:19], v[20:21]
	s_delay_alu instid0(VALU_DEP_1) | instskip(NEXT) | instid1(VALU_DEP_1)
	v_div_fixup_f64 v[4:5], v[4:5], v[16:17], v[14:15]
	v_fmac_f64_e32 v[16:17], v[14:15], v[4:5]
	s_delay_alu instid0(VALU_DEP_1) | instskip(NEXT) | instid1(VALU_DEP_1)
	v_div_scale_f64 v[14:15], null, v[16:17], v[16:17], 1.0
	v_rcp_f64_e32 v[18:19], v[14:15]
	v_nop
	s_delay_alu instid0(TRANS32_DEP_1) | instskip(NEXT) | instid1(VALU_DEP_1)
	v_fma_f64 v[20:21], -v[14:15], v[18:19], 1.0
	v_fmac_f64_e32 v[18:19], v[18:19], v[20:21]
	s_delay_alu instid0(VALU_DEP_1) | instskip(NEXT) | instid1(VALU_DEP_1)
	v_fma_f64 v[20:21], -v[14:15], v[18:19], 1.0
	v_fmac_f64_e32 v[18:19], v[18:19], v[20:21]
	v_div_scale_f64 v[20:21], vcc_lo, 1.0, v[16:17], 1.0
	s_delay_alu instid0(VALU_DEP_1) | instskip(NEXT) | instid1(VALU_DEP_1)
	v_mul_f64_e32 v[204:205], v[20:21], v[18:19]
	v_fma_f64 v[14:15], -v[14:15], v[204:205], v[20:21]
	s_delay_alu instid0(VALU_DEP_1) | instskip(NEXT) | instid1(VALU_DEP_1)
	v_div_fmas_f64 v[14:15], v[14:15], v[18:19], v[204:205]
	v_div_fixup_f64 v[20:21], v[14:15], v[16:17], 1.0
                                        ; implicit-def: $vgpr14_vgpr15
	s_delay_alu instid0(VALU_DEP_1)
	v_mul_f64_e32 v[18:19], v[4:5], v[20:21]
	v_xor_b32_e32 v21, 0x80000000, v21
.LBB191_507:                            ;   in Loop: Header=BB191_3 Depth=1
	s_and_not1_saveexec_b32 s93, s93
	s_cbranch_execz .LBB191_509
; %bb.508:                              ;   in Loop: Header=BB191_3 Depth=1
	v_div_scale_f64 v[4:5], null, v[14:15], v[14:15], v[16:17]
	v_div_scale_f64 v[204:205], vcc_lo, v[16:17], v[14:15], v[16:17]
	s_delay_alu instid0(VALU_DEP_2) | instskip(SKIP_1) | instid1(TRANS32_DEP_1)
	v_rcp_f64_e32 v[18:19], v[4:5]
	v_nop
	v_fma_f64 v[20:21], -v[4:5], v[18:19], 1.0
	s_delay_alu instid0(VALU_DEP_1) | instskip(NEXT) | instid1(VALU_DEP_1)
	v_fmac_f64_e32 v[18:19], v[18:19], v[20:21]
	v_fma_f64 v[20:21], -v[4:5], v[18:19], 1.0
	s_delay_alu instid0(VALU_DEP_1) | instskip(NEXT) | instid1(VALU_DEP_1)
	v_fmac_f64_e32 v[18:19], v[18:19], v[20:21]
	v_mul_f64_e32 v[20:21], v[204:205], v[18:19]
	s_delay_alu instid0(VALU_DEP_1) | instskip(NEXT) | instid1(VALU_DEP_1)
	v_fma_f64 v[4:5], -v[4:5], v[20:21], v[204:205]
	v_div_fmas_f64 v[4:5], v[4:5], v[18:19], v[20:21]
	s_delay_alu instid0(VALU_DEP_1) | instskip(NEXT) | instid1(VALU_DEP_1)
	v_div_fixup_f64 v[4:5], v[4:5], v[14:15], v[16:17]
	v_fmac_f64_e32 v[14:15], v[16:17], v[4:5]
	s_delay_alu instid0(VALU_DEP_1) | instskip(NEXT) | instid1(VALU_DEP_1)
	v_div_scale_f64 v[16:17], null, v[14:15], v[14:15], 1.0
	v_rcp_f64_e32 v[18:19], v[16:17]
	v_nop
	s_delay_alu instid0(TRANS32_DEP_1) | instskip(NEXT) | instid1(VALU_DEP_1)
	v_fma_f64 v[20:21], -v[16:17], v[18:19], 1.0
	v_fmac_f64_e32 v[18:19], v[18:19], v[20:21]
	s_delay_alu instid0(VALU_DEP_1) | instskip(NEXT) | instid1(VALU_DEP_1)
	v_fma_f64 v[20:21], -v[16:17], v[18:19], 1.0
	v_fmac_f64_e32 v[18:19], v[18:19], v[20:21]
	v_div_scale_f64 v[20:21], vcc_lo, 1.0, v[14:15], 1.0
	s_delay_alu instid0(VALU_DEP_1) | instskip(NEXT) | instid1(VALU_DEP_1)
	v_mul_f64_e32 v[204:205], v[20:21], v[18:19]
	v_fma_f64 v[16:17], -v[16:17], v[204:205], v[20:21]
	s_delay_alu instid0(VALU_DEP_1) | instskip(NEXT) | instid1(VALU_DEP_1)
	v_div_fmas_f64 v[16:17], v[16:17], v[18:19], v[204:205]
	v_div_fixup_f64 v[18:19], v[16:17], v[14:15], 1.0
	s_delay_alu instid0(VALU_DEP_1)
	v_mul_f64_e64 v[20:21], v[4:5], -v[18:19]
.LBB191_509:                            ;   in Loop: Header=BB191_3 Depth=1
	s_or_b32 exec_lo, exec_lo, s93
	ds_store_b128 v148, v[18:21]
.LBB191_510:                            ;   in Loop: Header=BB191_3 Depth=1
	s_or_b32 exec_lo, exec_lo, s47
	s_and_not1_saveexec_b32 s46, s46
	s_cbranch_execz .LBB191_12
.LBB191_511:                            ;   in Loop: Header=BB191_3 Depth=1
	v_lshl_add_u64 v[4:5], v[32:33], 4, v[40:41]
	flat_load_b128 v[14:17], v[4:5]
	s_wait_loadcnt_dscnt 0x0
	v_xor_b32_e32 v15, 0x80000000, v15
	v_xor_b32_e32 v17, 0x80000000, v17
	ds_store_b128 v148, v[14:17]
	s_or_b32 exec_lo, exec_lo, s46
	s_and_saveexec_b32 s46, s13
	s_delay_alu instid0(SALU_CYCLE_1)
	s_xor_b32 s46, exec_lo, s46
	s_cbranch_execz .LBB191_13
.LBB191_512:                            ;   in Loop: Header=BB191_3 Depth=1
	s_mov_b32 s47, exec_lo
	v_readlane_b32 s93, v212, 15
	s_and_b32 s93, s47, s93
	s_delay_alu instid0(SALU_CYCLE_1)
	s_xor_b32 s47, s93, s47
	s_mov_b32 exec_lo, s93
	s_cbranch_execz .LBB191_516
; %bb.513:                              ;   in Loop: Header=BB191_3 Depth=1
	s_mov_b32 s93, exec_lo
	v_readlane_b32 s94, v212, 29
	s_and_b32 s94, s93, s94
	s_delay_alu instid0(SALU_CYCLE_1)
	s_mov_b32 exec_lo, s94
; %bb.514:                              ;   in Loop: Header=BB191_3 Depth=1
	v_dual_mov_b32 v3, v2 :: v_dual_mov_b32 v4, v2
	v_mov_b32_e32 v5, v2
	ds_store_b128 v149, v[2:5]
; %bb.515:                              ;   in Loop: Header=BB191_3 Depth=1
	s_or_b32 exec_lo, exec_lo, s93
.LBB191_516:                            ;   in Loop: Header=BB191_3 Depth=1
	s_and_not1_saveexec_b32 s47, s47
	s_cbranch_execz .LBB191_522
; %bb.517:                              ;   in Loop: Header=BB191_3 Depth=1
	v_lshl_add_u64 v[4:5], v[34:35], 4, v[40:41]
                                        ; implicit-def: $vgpr18_vgpr19
	flat_load_b128 v[14:17], v[4:5]
	s_wait_loadcnt_dscnt 0x0
	v_cmp_ngt_f64_e64 s93, |v[14:15]|, |v[16:17]|
	s_and_saveexec_b32 s94, s93
	s_delay_alu instid0(SALU_CYCLE_1)
	s_xor_b32 s93, exec_lo, s94
	s_cbranch_execz .LBB191_519
; %bb.518:                              ;   in Loop: Header=BB191_3 Depth=1
	v_div_scale_f64 v[4:5], null, v[16:17], v[16:17], v[14:15]
	v_div_scale_f64 v[204:205], vcc_lo, v[14:15], v[16:17], v[14:15]
	s_delay_alu instid0(VALU_DEP_2) | instskip(SKIP_1) | instid1(TRANS32_DEP_1)
	v_rcp_f64_e32 v[18:19], v[4:5]
	v_nop
	v_fma_f64 v[20:21], -v[4:5], v[18:19], 1.0
	s_delay_alu instid0(VALU_DEP_1) | instskip(NEXT) | instid1(VALU_DEP_1)
	v_fmac_f64_e32 v[18:19], v[18:19], v[20:21]
	v_fma_f64 v[20:21], -v[4:5], v[18:19], 1.0
	s_delay_alu instid0(VALU_DEP_1) | instskip(NEXT) | instid1(VALU_DEP_1)
	v_fmac_f64_e32 v[18:19], v[18:19], v[20:21]
	v_mul_f64_e32 v[20:21], v[204:205], v[18:19]
	s_delay_alu instid0(VALU_DEP_1) | instskip(NEXT) | instid1(VALU_DEP_1)
	v_fma_f64 v[4:5], -v[4:5], v[20:21], v[204:205]
	v_div_fmas_f64 v[4:5], v[4:5], v[18:19], v[20:21]
	s_delay_alu instid0(VALU_DEP_1) | instskip(NEXT) | instid1(VALU_DEP_1)
	v_div_fixup_f64 v[4:5], v[4:5], v[16:17], v[14:15]
	v_fmac_f64_e32 v[16:17], v[14:15], v[4:5]
	s_delay_alu instid0(VALU_DEP_1) | instskip(NEXT) | instid1(VALU_DEP_1)
	v_div_scale_f64 v[14:15], null, v[16:17], v[16:17], 1.0
	v_rcp_f64_e32 v[18:19], v[14:15]
	v_nop
	s_delay_alu instid0(TRANS32_DEP_1) | instskip(NEXT) | instid1(VALU_DEP_1)
	v_fma_f64 v[20:21], -v[14:15], v[18:19], 1.0
	v_fmac_f64_e32 v[18:19], v[18:19], v[20:21]
	s_delay_alu instid0(VALU_DEP_1) | instskip(NEXT) | instid1(VALU_DEP_1)
	v_fma_f64 v[20:21], -v[14:15], v[18:19], 1.0
	v_fmac_f64_e32 v[18:19], v[18:19], v[20:21]
	v_div_scale_f64 v[20:21], vcc_lo, 1.0, v[16:17], 1.0
	s_delay_alu instid0(VALU_DEP_1) | instskip(NEXT) | instid1(VALU_DEP_1)
	v_mul_f64_e32 v[204:205], v[20:21], v[18:19]
	v_fma_f64 v[14:15], -v[14:15], v[204:205], v[20:21]
	s_delay_alu instid0(VALU_DEP_1) | instskip(NEXT) | instid1(VALU_DEP_1)
	v_div_fmas_f64 v[14:15], v[14:15], v[18:19], v[204:205]
	v_div_fixup_f64 v[20:21], v[14:15], v[16:17], 1.0
                                        ; implicit-def: $vgpr14_vgpr15
	s_delay_alu instid0(VALU_DEP_1)
	v_mul_f64_e32 v[18:19], v[4:5], v[20:21]
	v_xor_b32_e32 v21, 0x80000000, v21
.LBB191_519:                            ;   in Loop: Header=BB191_3 Depth=1
	s_and_not1_saveexec_b32 s93, s93
	s_cbranch_execz .LBB191_521
; %bb.520:                              ;   in Loop: Header=BB191_3 Depth=1
	v_div_scale_f64 v[4:5], null, v[14:15], v[14:15], v[16:17]
	v_div_scale_f64 v[204:205], vcc_lo, v[16:17], v[14:15], v[16:17]
	s_delay_alu instid0(VALU_DEP_2) | instskip(SKIP_1) | instid1(TRANS32_DEP_1)
	v_rcp_f64_e32 v[18:19], v[4:5]
	v_nop
	v_fma_f64 v[20:21], -v[4:5], v[18:19], 1.0
	s_delay_alu instid0(VALU_DEP_1) | instskip(NEXT) | instid1(VALU_DEP_1)
	v_fmac_f64_e32 v[18:19], v[18:19], v[20:21]
	v_fma_f64 v[20:21], -v[4:5], v[18:19], 1.0
	s_delay_alu instid0(VALU_DEP_1) | instskip(NEXT) | instid1(VALU_DEP_1)
	v_fmac_f64_e32 v[18:19], v[18:19], v[20:21]
	v_mul_f64_e32 v[20:21], v[204:205], v[18:19]
	s_delay_alu instid0(VALU_DEP_1) | instskip(NEXT) | instid1(VALU_DEP_1)
	v_fma_f64 v[4:5], -v[4:5], v[20:21], v[204:205]
	v_div_fmas_f64 v[4:5], v[4:5], v[18:19], v[20:21]
	s_delay_alu instid0(VALU_DEP_1) | instskip(NEXT) | instid1(VALU_DEP_1)
	v_div_fixup_f64 v[4:5], v[4:5], v[14:15], v[16:17]
	v_fmac_f64_e32 v[14:15], v[16:17], v[4:5]
	s_delay_alu instid0(VALU_DEP_1) | instskip(NEXT) | instid1(VALU_DEP_1)
	v_div_scale_f64 v[16:17], null, v[14:15], v[14:15], 1.0
	v_rcp_f64_e32 v[18:19], v[16:17]
	v_nop
	s_delay_alu instid0(TRANS32_DEP_1) | instskip(NEXT) | instid1(VALU_DEP_1)
	v_fma_f64 v[20:21], -v[16:17], v[18:19], 1.0
	v_fmac_f64_e32 v[18:19], v[18:19], v[20:21]
	s_delay_alu instid0(VALU_DEP_1) | instskip(NEXT) | instid1(VALU_DEP_1)
	v_fma_f64 v[20:21], -v[16:17], v[18:19], 1.0
	v_fmac_f64_e32 v[18:19], v[18:19], v[20:21]
	v_div_scale_f64 v[20:21], vcc_lo, 1.0, v[14:15], 1.0
	s_delay_alu instid0(VALU_DEP_1) | instskip(NEXT) | instid1(VALU_DEP_1)
	v_mul_f64_e32 v[204:205], v[20:21], v[18:19]
	v_fma_f64 v[16:17], -v[16:17], v[204:205], v[20:21]
	s_delay_alu instid0(VALU_DEP_1) | instskip(NEXT) | instid1(VALU_DEP_1)
	v_div_fmas_f64 v[16:17], v[16:17], v[18:19], v[204:205]
	v_div_fixup_f64 v[18:19], v[16:17], v[14:15], 1.0
	s_delay_alu instid0(VALU_DEP_1)
	v_mul_f64_e64 v[20:21], v[4:5], -v[18:19]
.LBB191_521:                            ;   in Loop: Header=BB191_3 Depth=1
	s_or_b32 exec_lo, exec_lo, s93
	ds_store_b128 v149, v[18:21]
.LBB191_522:                            ;   in Loop: Header=BB191_3 Depth=1
	s_or_b32 exec_lo, exec_lo, s47
	s_and_not1_saveexec_b32 s46, s46
	s_cbranch_execnz .LBB191_14
	s_branch .LBB191_15
.LBB191_523:                            ;   in Loop: Header=BB191_3 Depth=1
	s_mov_b32 s47, exec_lo
	v_readlane_b32 s93, v212, 14
	s_and_b32 s93, s47, s93
	s_delay_alu instid0(SALU_CYCLE_1)
	s_xor_b32 s47, s93, s47
	s_mov_b32 exec_lo, s93
	s_cbranch_execz .LBB191_527
; %bb.524:                              ;   in Loop: Header=BB191_3 Depth=1
	s_mov_b32 s93, exec_lo
	v_readlane_b32 s94, v212, 28
	s_and_b32 s94, s93, s94
	s_delay_alu instid0(SALU_CYCLE_1)
	s_mov_b32 exec_lo, s94
; %bb.525:                              ;   in Loop: Header=BB191_3 Depth=1
	v_dual_mov_b32 v3, v2 :: v_dual_mov_b32 v4, v2
	v_mov_b32_e32 v5, v2
	ds_store_b128 v130, v[2:5]
; %bb.526:                              ;   in Loop: Header=BB191_3 Depth=1
	s_or_b32 exec_lo, exec_lo, s93
.LBB191_527:                            ;   in Loop: Header=BB191_3 Depth=1
	s_and_not1_saveexec_b32 s47, s47
	s_cbranch_execz .LBB191_533
; %bb.528:                              ;   in Loop: Header=BB191_3 Depth=1
	v_lshl_add_u64 v[4:5], v[32:33], 4, v[40:41]
                                        ; implicit-def: $vgpr18_vgpr19
	flat_load_b128 v[14:17], v[4:5]
	s_wait_loadcnt_dscnt 0x0
	v_cmp_ngt_f64_e64 s93, |v[14:15]|, |v[16:17]|
	s_and_saveexec_b32 s94, s93
	s_delay_alu instid0(SALU_CYCLE_1)
	s_xor_b32 s93, exec_lo, s94
	s_cbranch_execz .LBB191_530
; %bb.529:                              ;   in Loop: Header=BB191_3 Depth=1
	v_div_scale_f64 v[4:5], null, v[16:17], v[16:17], v[14:15]
	v_div_scale_f64 v[204:205], vcc_lo, v[14:15], v[16:17], v[14:15]
	s_delay_alu instid0(VALU_DEP_2) | instskip(SKIP_1) | instid1(TRANS32_DEP_1)
	v_rcp_f64_e32 v[18:19], v[4:5]
	v_nop
	v_fma_f64 v[20:21], -v[4:5], v[18:19], 1.0
	s_delay_alu instid0(VALU_DEP_1) | instskip(NEXT) | instid1(VALU_DEP_1)
	v_fmac_f64_e32 v[18:19], v[18:19], v[20:21]
	v_fma_f64 v[20:21], -v[4:5], v[18:19], 1.0
	s_delay_alu instid0(VALU_DEP_1) | instskip(NEXT) | instid1(VALU_DEP_1)
	v_fmac_f64_e32 v[18:19], v[18:19], v[20:21]
	v_mul_f64_e32 v[20:21], v[204:205], v[18:19]
	s_delay_alu instid0(VALU_DEP_1) | instskip(NEXT) | instid1(VALU_DEP_1)
	v_fma_f64 v[4:5], -v[4:5], v[20:21], v[204:205]
	v_div_fmas_f64 v[4:5], v[4:5], v[18:19], v[20:21]
	s_delay_alu instid0(VALU_DEP_1) | instskip(NEXT) | instid1(VALU_DEP_1)
	v_div_fixup_f64 v[4:5], v[4:5], v[16:17], v[14:15]
	v_fmac_f64_e32 v[16:17], v[14:15], v[4:5]
	s_delay_alu instid0(VALU_DEP_1) | instskip(NEXT) | instid1(VALU_DEP_1)
	v_div_scale_f64 v[14:15], null, v[16:17], v[16:17], 1.0
	v_rcp_f64_e32 v[18:19], v[14:15]
	v_nop
	s_delay_alu instid0(TRANS32_DEP_1) | instskip(NEXT) | instid1(VALU_DEP_1)
	v_fma_f64 v[20:21], -v[14:15], v[18:19], 1.0
	v_fmac_f64_e32 v[18:19], v[18:19], v[20:21]
	s_delay_alu instid0(VALU_DEP_1) | instskip(NEXT) | instid1(VALU_DEP_1)
	v_fma_f64 v[20:21], -v[14:15], v[18:19], 1.0
	v_fmac_f64_e32 v[18:19], v[18:19], v[20:21]
	v_div_scale_f64 v[20:21], vcc_lo, 1.0, v[16:17], 1.0
	s_delay_alu instid0(VALU_DEP_1) | instskip(NEXT) | instid1(VALU_DEP_1)
	v_mul_f64_e32 v[204:205], v[20:21], v[18:19]
	v_fma_f64 v[14:15], -v[14:15], v[204:205], v[20:21]
	s_delay_alu instid0(VALU_DEP_1) | instskip(NEXT) | instid1(VALU_DEP_1)
	v_div_fmas_f64 v[14:15], v[14:15], v[18:19], v[204:205]
	v_div_fixup_f64 v[20:21], v[14:15], v[16:17], 1.0
                                        ; implicit-def: $vgpr14_vgpr15
	s_delay_alu instid0(VALU_DEP_1)
	v_mul_f64_e32 v[18:19], v[4:5], v[20:21]
	v_xor_b32_e32 v21, 0x80000000, v21
.LBB191_530:                            ;   in Loop: Header=BB191_3 Depth=1
	s_and_not1_saveexec_b32 s93, s93
	s_cbranch_execz .LBB191_532
; %bb.531:                              ;   in Loop: Header=BB191_3 Depth=1
	v_div_scale_f64 v[4:5], null, v[14:15], v[14:15], v[16:17]
	v_div_scale_f64 v[204:205], vcc_lo, v[16:17], v[14:15], v[16:17]
	s_delay_alu instid0(VALU_DEP_2) | instskip(SKIP_1) | instid1(TRANS32_DEP_1)
	v_rcp_f64_e32 v[18:19], v[4:5]
	v_nop
	v_fma_f64 v[20:21], -v[4:5], v[18:19], 1.0
	s_delay_alu instid0(VALU_DEP_1) | instskip(NEXT) | instid1(VALU_DEP_1)
	v_fmac_f64_e32 v[18:19], v[18:19], v[20:21]
	v_fma_f64 v[20:21], -v[4:5], v[18:19], 1.0
	s_delay_alu instid0(VALU_DEP_1) | instskip(NEXT) | instid1(VALU_DEP_1)
	v_fmac_f64_e32 v[18:19], v[18:19], v[20:21]
	v_mul_f64_e32 v[20:21], v[204:205], v[18:19]
	s_delay_alu instid0(VALU_DEP_1) | instskip(NEXT) | instid1(VALU_DEP_1)
	v_fma_f64 v[4:5], -v[4:5], v[20:21], v[204:205]
	v_div_fmas_f64 v[4:5], v[4:5], v[18:19], v[20:21]
	s_delay_alu instid0(VALU_DEP_1) | instskip(NEXT) | instid1(VALU_DEP_1)
	v_div_fixup_f64 v[4:5], v[4:5], v[14:15], v[16:17]
	v_fmac_f64_e32 v[14:15], v[16:17], v[4:5]
	s_delay_alu instid0(VALU_DEP_1) | instskip(NEXT) | instid1(VALU_DEP_1)
	v_div_scale_f64 v[16:17], null, v[14:15], v[14:15], 1.0
	v_rcp_f64_e32 v[18:19], v[16:17]
	v_nop
	s_delay_alu instid0(TRANS32_DEP_1) | instskip(NEXT) | instid1(VALU_DEP_1)
	v_fma_f64 v[20:21], -v[16:17], v[18:19], 1.0
	v_fmac_f64_e32 v[18:19], v[18:19], v[20:21]
	s_delay_alu instid0(VALU_DEP_1) | instskip(NEXT) | instid1(VALU_DEP_1)
	v_fma_f64 v[20:21], -v[16:17], v[18:19], 1.0
	v_fmac_f64_e32 v[18:19], v[18:19], v[20:21]
	v_div_scale_f64 v[20:21], vcc_lo, 1.0, v[14:15], 1.0
	s_delay_alu instid0(VALU_DEP_1) | instskip(NEXT) | instid1(VALU_DEP_1)
	v_mul_f64_e32 v[204:205], v[20:21], v[18:19]
	v_fma_f64 v[16:17], -v[16:17], v[204:205], v[20:21]
	s_delay_alu instid0(VALU_DEP_1) | instskip(NEXT) | instid1(VALU_DEP_1)
	v_div_fmas_f64 v[16:17], v[16:17], v[18:19], v[204:205]
	v_div_fixup_f64 v[18:19], v[16:17], v[14:15], 1.0
	s_delay_alu instid0(VALU_DEP_1)
	v_mul_f64_e64 v[20:21], v[4:5], -v[18:19]
.LBB191_532:                            ;   in Loop: Header=BB191_3 Depth=1
	s_or_b32 exec_lo, exec_lo, s93
	ds_store_b128 v130, v[18:21]
.LBB191_533:                            ;   in Loop: Header=BB191_3 Depth=1
	s_or_b32 exec_lo, exec_lo, s47
	s_and_not1_saveexec_b32 s46, s46
	s_cbranch_execz .LBB191_19
.LBB191_534:                            ;   in Loop: Header=BB191_3 Depth=1
	v_lshl_add_u64 v[4:5], v[32:33], 4, v[40:41]
	flat_load_b128 v[14:17], v[4:5]
	s_wait_loadcnt_dscnt 0x0
	v_xor_b32_e32 v15, 0x80000000, v15
	v_xor_b32_e32 v17, 0x80000000, v17
	ds_store_b128 v130, v[14:17]
	s_or_b32 exec_lo, exec_lo, s46
	s_and_saveexec_b32 s46, s15
	s_delay_alu instid0(SALU_CYCLE_1)
	s_xor_b32 s46, exec_lo, s46
	s_cbranch_execz .LBB191_20
.LBB191_535:                            ;   in Loop: Header=BB191_3 Depth=1
	s_mov_b32 s47, exec_lo
	v_readlane_b32 s93, v212, 16
	s_and_b32 s93, s47, s93
	s_delay_alu instid0(SALU_CYCLE_1)
	s_xor_b32 s47, s93, s47
	s_mov_b32 exec_lo, s93
	s_cbranch_execz .LBB191_539
; %bb.536:                              ;   in Loop: Header=BB191_3 Depth=1
	s_mov_b32 s93, exec_lo
	v_readlane_b32 s94, v212, 29
	s_and_b32 s94, s93, s94
	s_delay_alu instid0(SALU_CYCLE_1)
	s_mov_b32 exec_lo, s94
; %bb.537:                              ;   in Loop: Header=BB191_3 Depth=1
	v_dual_mov_b32 v3, v2 :: v_dual_mov_b32 v4, v2
	v_mov_b32_e32 v5, v2
	ds_store_b128 v149, v[2:5]
; %bb.538:                              ;   in Loop: Header=BB191_3 Depth=1
	s_or_b32 exec_lo, exec_lo, s93
                                        ; implicit-def: $vgpr40_vgpr41
.LBB191_539:                            ;   in Loop: Header=BB191_3 Depth=1
	s_and_not1_saveexec_b32 s47, s47
	s_cbranch_execz .LBB191_545
; %bb.540:                              ;   in Loop: Header=BB191_3 Depth=1
	v_lshl_add_u64 v[4:5], v[34:35], 4, v[40:41]
                                        ; implicit-def: $vgpr18_vgpr19
	flat_load_b128 v[14:17], v[4:5]
	s_wait_loadcnt_dscnt 0x0
	v_cmp_ngt_f64_e64 s93, |v[14:15]|, |v[16:17]|
	s_and_saveexec_b32 s94, s93
	s_delay_alu instid0(SALU_CYCLE_1)
	s_xor_b32 s93, exec_lo, s94
	s_cbranch_execz .LBB191_542
; %bb.541:                              ;   in Loop: Header=BB191_3 Depth=1
	v_div_scale_f64 v[4:5], null, v[16:17], v[16:17], v[14:15]
	v_div_scale_f64 v[40:41], vcc_lo, v[14:15], v[16:17], v[14:15]
	s_delay_alu instid0(VALU_DEP_2) | instskip(SKIP_1) | instid1(TRANS32_DEP_1)
	v_rcp_f64_e32 v[18:19], v[4:5]
	v_nop
	v_fma_f64 v[20:21], -v[4:5], v[18:19], 1.0
	s_delay_alu instid0(VALU_DEP_1) | instskip(NEXT) | instid1(VALU_DEP_1)
	v_fmac_f64_e32 v[18:19], v[18:19], v[20:21]
	v_fma_f64 v[20:21], -v[4:5], v[18:19], 1.0
	s_delay_alu instid0(VALU_DEP_1) | instskip(NEXT) | instid1(VALU_DEP_1)
	v_fmac_f64_e32 v[18:19], v[18:19], v[20:21]
	v_mul_f64_e32 v[20:21], v[40:41], v[18:19]
	s_delay_alu instid0(VALU_DEP_1) | instskip(NEXT) | instid1(VALU_DEP_1)
	v_fma_f64 v[4:5], -v[4:5], v[20:21], v[40:41]
	v_div_fmas_f64 v[4:5], v[4:5], v[18:19], v[20:21]
	s_delay_alu instid0(VALU_DEP_1) | instskip(NEXT) | instid1(VALU_DEP_1)
	v_div_fixup_f64 v[4:5], v[4:5], v[16:17], v[14:15]
	v_fmac_f64_e32 v[16:17], v[14:15], v[4:5]
	s_delay_alu instid0(VALU_DEP_1) | instskip(NEXT) | instid1(VALU_DEP_1)
	v_div_scale_f64 v[14:15], null, v[16:17], v[16:17], 1.0
	v_rcp_f64_e32 v[18:19], v[14:15]
	v_nop
	s_delay_alu instid0(TRANS32_DEP_1) | instskip(NEXT) | instid1(VALU_DEP_1)
	v_fma_f64 v[20:21], -v[14:15], v[18:19], 1.0
	v_fmac_f64_e32 v[18:19], v[18:19], v[20:21]
	s_delay_alu instid0(VALU_DEP_1) | instskip(NEXT) | instid1(VALU_DEP_1)
	v_fma_f64 v[20:21], -v[14:15], v[18:19], 1.0
	v_fmac_f64_e32 v[18:19], v[18:19], v[20:21]
	v_div_scale_f64 v[20:21], vcc_lo, 1.0, v[16:17], 1.0
	s_delay_alu instid0(VALU_DEP_1) | instskip(NEXT) | instid1(VALU_DEP_1)
	v_mul_f64_e32 v[40:41], v[20:21], v[18:19]
	v_fma_f64 v[14:15], -v[14:15], v[40:41], v[20:21]
	s_delay_alu instid0(VALU_DEP_1) | instskip(NEXT) | instid1(VALU_DEP_1)
	v_div_fmas_f64 v[14:15], v[14:15], v[18:19], v[40:41]
	v_div_fixup_f64 v[20:21], v[14:15], v[16:17], 1.0
                                        ; implicit-def: $vgpr14_vgpr15
	s_delay_alu instid0(VALU_DEP_1)
	v_mul_f64_e32 v[18:19], v[4:5], v[20:21]
	v_xor_b32_e32 v21, 0x80000000, v21
.LBB191_542:                            ;   in Loop: Header=BB191_3 Depth=1
	s_and_not1_saveexec_b32 s93, s93
	s_cbranch_execz .LBB191_544
; %bb.543:                              ;   in Loop: Header=BB191_3 Depth=1
	v_div_scale_f64 v[4:5], null, v[14:15], v[14:15], v[16:17]
	v_div_scale_f64 v[40:41], vcc_lo, v[16:17], v[14:15], v[16:17]
	s_delay_alu instid0(VALU_DEP_2) | instskip(SKIP_1) | instid1(TRANS32_DEP_1)
	v_rcp_f64_e32 v[18:19], v[4:5]
	v_nop
	v_fma_f64 v[20:21], -v[4:5], v[18:19], 1.0
	s_delay_alu instid0(VALU_DEP_1) | instskip(NEXT) | instid1(VALU_DEP_1)
	v_fmac_f64_e32 v[18:19], v[18:19], v[20:21]
	v_fma_f64 v[20:21], -v[4:5], v[18:19], 1.0
	s_delay_alu instid0(VALU_DEP_1) | instskip(NEXT) | instid1(VALU_DEP_1)
	v_fmac_f64_e32 v[18:19], v[18:19], v[20:21]
	v_mul_f64_e32 v[20:21], v[40:41], v[18:19]
	s_delay_alu instid0(VALU_DEP_1) | instskip(NEXT) | instid1(VALU_DEP_1)
	v_fma_f64 v[4:5], -v[4:5], v[20:21], v[40:41]
	v_div_fmas_f64 v[4:5], v[4:5], v[18:19], v[20:21]
	s_delay_alu instid0(VALU_DEP_1) | instskip(NEXT) | instid1(VALU_DEP_1)
	v_div_fixup_f64 v[4:5], v[4:5], v[14:15], v[16:17]
	v_fmac_f64_e32 v[14:15], v[16:17], v[4:5]
	s_delay_alu instid0(VALU_DEP_1) | instskip(NEXT) | instid1(VALU_DEP_1)
	v_div_scale_f64 v[16:17], null, v[14:15], v[14:15], 1.0
	v_rcp_f64_e32 v[18:19], v[16:17]
	v_nop
	s_delay_alu instid0(TRANS32_DEP_1) | instskip(NEXT) | instid1(VALU_DEP_1)
	v_fma_f64 v[20:21], -v[16:17], v[18:19], 1.0
	v_fmac_f64_e32 v[18:19], v[18:19], v[20:21]
	s_delay_alu instid0(VALU_DEP_1) | instskip(NEXT) | instid1(VALU_DEP_1)
	v_fma_f64 v[20:21], -v[16:17], v[18:19], 1.0
	v_fmac_f64_e32 v[18:19], v[18:19], v[20:21]
	v_div_scale_f64 v[20:21], vcc_lo, 1.0, v[14:15], 1.0
	s_delay_alu instid0(VALU_DEP_1) | instskip(NEXT) | instid1(VALU_DEP_1)
	v_mul_f64_e32 v[40:41], v[20:21], v[18:19]
	v_fma_f64 v[16:17], -v[16:17], v[40:41], v[20:21]
	s_delay_alu instid0(VALU_DEP_1) | instskip(NEXT) | instid1(VALU_DEP_1)
	v_div_fmas_f64 v[16:17], v[16:17], v[18:19], v[40:41]
	v_div_fixup_f64 v[18:19], v[16:17], v[14:15], 1.0
	s_delay_alu instid0(VALU_DEP_1)
	v_mul_f64_e64 v[20:21], v[4:5], -v[18:19]
.LBB191_544:                            ;   in Loop: Header=BB191_3 Depth=1
	s_or_b32 exec_lo, exec_lo, s93
	ds_store_b128 v149, v[18:21]
.LBB191_545:                            ;   in Loop: Header=BB191_3 Depth=1
	s_or_b32 exec_lo, exec_lo, s47
                                        ; implicit-def: $vgpr40_vgpr41
	s_and_not1_saveexec_b32 s46, s46
	s_cbranch_execnz .LBB191_21
	s_branch .LBB191_22
.LBB191_546:                            ;   in Loop: Header=BB191_3 Depth=1
	s_or_b32 exec_lo, exec_lo, vcc_lo
	s_delay_alu instid0(SALU_CYCLE_1)
	s_and_b32 vcc_lo, exec_lo, s47
	s_cbranch_vccnz .LBB191_484
.LBB191_547:                            ;   in Loop: Header=BB191_3 Depth=1
	s_delay_alu instid0(VALU_DEP_1) | instskip(NEXT) | instid1(VALU_DEP_3)
	v_mov_b64_e32 v[16:17], v[4:5]
	v_mov_b64_e32 v[14:15], v[36:37]
	s_and_saveexec_b32 s47, s46
	s_cbranch_execnz .LBB191_497
	s_branch .LBB191_498
.LBB191_548:                            ;   in Loop: Header=BB191_3 Depth=1
	s_and_not1_b32 s46, s46, exec_lo
	s_and_b32 s93, s5, exec_lo
	s_delay_alu instid0(SALU_CYCLE_1)
	s_or_b32 s46, s46, s93
	s_cbranch_execnz .LBB191_496
.LBB191_549:                            ;   in Loop: Header=BB191_3 Depth=1
	v_readlane_b32 s47, v212, 12
	s_and_not1_b32 s46, s46, exec_lo
	s_and_b32 s47, s47, exec_lo
	s_delay_alu instid0(SALU_CYCLE_1) | instskip(NEXT) | instid1(SALU_CYCLE_1)
	s_or_b32 s46, s46, s47
	s_and_saveexec_b32 s47, s46
	s_cbranch_execnz .LBB191_497
	s_branch .LBB191_498
.LBB191_550:                            ;   in Loop: Header=BB191_3 Depth=1
	ds_load_b128 v[18:21], v47 offset:16
	ds_load_b128 v[204:207], v53 offset:576
	s_wait_dscnt 0x0
	v_mul_f64_e32 v[4:5], v[20:21], v[206:207]
	s_delay_alu instid0(VALU_DEP_1) | instskip(SKIP_1) | instid1(VALU_DEP_2)
	v_fma_f64 v[4:5], v[18:19], v[204:205], -v[4:5]
	v_mul_f64_e32 v[18:19], v[18:19], v[206:207]
	v_add_f64_e32 v[14:15], v[14:15], v[4:5]
	s_delay_alu instid0(VALU_DEP_2) | instskip(NEXT) | instid1(VALU_DEP_1)
	v_fmac_f64_e32 v[18:19], v[20:21], v[204:205]
	v_add_f64_e32 v[16:17], v[16:17], v[18:19]
	s_or_b32 exec_lo, exec_lo, s47
	s_and_saveexec_b32 s47, s8
	s_cbranch_execz .LBB191_45
.LBB191_551:                            ;   in Loop: Header=BB191_3 Depth=1
	ds_load_b128 v[18:21], v47 offset:32
	ds_load_b128 v[204:207], v52 offset:1088
	s_wait_dscnt 0x0
	v_mul_f64_e32 v[4:5], v[20:21], v[206:207]
	s_delay_alu instid0(VALU_DEP_1) | instskip(SKIP_1) | instid1(VALU_DEP_2)
	v_fma_f64 v[4:5], v[18:19], v[204:205], -v[4:5]
	v_mul_f64_e32 v[18:19], v[18:19], v[206:207]
	v_add_f64_e32 v[14:15], v[14:15], v[4:5]
	s_delay_alu instid0(VALU_DEP_2) | instskip(NEXT) | instid1(VALU_DEP_1)
	v_fmac_f64_e32 v[18:19], v[20:21], v[204:205]
	v_add_f64_e32 v[16:17], v[16:17], v[18:19]
	s_or_b32 exec_lo, exec_lo, s47
	s_and_saveexec_b32 s47, s3
	s_cbranch_execnz .LBB191_46
	s_branch .LBB191_47
.LBB191_552:                            ;   in Loop: Header=BB191_3 Depth=1
	ds_load_b128 v[18:21], v54 offset:16
	ds_load_b128 v[204:207], v60 offset:640
	s_wait_dscnt 0x0
	v_mul_f64_e32 v[4:5], v[20:21], v[206:207]
	s_delay_alu instid0(VALU_DEP_1) | instskip(SKIP_1) | instid1(VALU_DEP_2)
	v_fma_f64 v[4:5], v[18:19], v[204:205], -v[4:5]
	v_mul_f64_e32 v[18:19], v[18:19], v[206:207]
	v_add_f64_e32 v[14:15], v[14:15], v[4:5]
	s_delay_alu instid0(VALU_DEP_2) | instskip(NEXT) | instid1(VALU_DEP_1)
	v_fmac_f64_e32 v[18:19], v[20:21], v[204:205]
	v_add_f64_e32 v[16:17], v[16:17], v[18:19]
	s_or_b32 exec_lo, exec_lo, s47
	s_and_saveexec_b32 s47, s16
	s_cbranch_execz .LBB191_87
.LBB191_553:                            ;   in Loop: Header=BB191_3 Depth=1
	ds_load_b128 v[18:21], v54 offset:32
	ds_load_b128 v[204:207], v60 offset:1152
	s_wait_dscnt 0x0
	v_mul_f64_e32 v[4:5], v[20:21], v[206:207]
	s_delay_alu instid0(VALU_DEP_1) | instskip(SKIP_1) | instid1(VALU_DEP_2)
	v_fma_f64 v[4:5], v[18:19], v[204:205], -v[4:5]
	v_mul_f64_e32 v[18:19], v[18:19], v[206:207]
	v_add_f64_e32 v[14:15], v[14:15], v[4:5]
	s_delay_alu instid0(VALU_DEP_2) | instskip(NEXT) | instid1(VALU_DEP_1)
	v_fmac_f64_e32 v[18:19], v[20:21], v[204:205]
	v_add_f64_e32 v[16:17], v[16:17], v[18:19]
	s_or_b32 exec_lo, exec_lo, s47
	s_and_saveexec_b32 s47, s17
	s_cbranch_execz .LBB191_88
.LBB191_554:                            ;   in Loop: Header=BB191_3 Depth=1
	ds_load_b128 v[18:21], v54 offset:48
	ds_load_b128 v[204:207], v60 offset:1664
	s_wait_dscnt 0x0
	v_mul_f64_e32 v[4:5], v[20:21], v[206:207]
	s_delay_alu instid0(VALU_DEP_1) | instskip(SKIP_1) | instid1(VALU_DEP_2)
	v_fma_f64 v[4:5], v[18:19], v[204:205], -v[4:5]
	v_mul_f64_e32 v[18:19], v[18:19], v[206:207]
	v_add_f64_e32 v[14:15], v[14:15], v[4:5]
	s_delay_alu instid0(VALU_DEP_2) | instskip(NEXT) | instid1(VALU_DEP_1)
	v_fmac_f64_e32 v[18:19], v[20:21], v[204:205]
	v_add_f64_e32 v[16:17], v[16:17], v[18:19]
	s_or_b32 exec_lo, exec_lo, s47
	s_and_saveexec_b32 s47, s18
	s_cbranch_execz .LBB191_89
.LBB191_555:                            ;   in Loop: Header=BB191_3 Depth=1
	ds_load_b128 v[18:21], v54 offset:64
	ds_load_b128 v[204:207], v59 offset:2176
	s_wait_dscnt 0x0
	v_mul_f64_e32 v[4:5], v[20:21], v[206:207]
	s_delay_alu instid0(VALU_DEP_1) | instskip(SKIP_1) | instid1(VALU_DEP_2)
	v_fma_f64 v[4:5], v[18:19], v[204:205], -v[4:5]
	v_mul_f64_e32 v[18:19], v[18:19], v[206:207]
	v_add_f64_e32 v[14:15], v[14:15], v[4:5]
	s_delay_alu instid0(VALU_DEP_2) | instskip(NEXT) | instid1(VALU_DEP_1)
	v_fmac_f64_e32 v[18:19], v[20:21], v[204:205]
	v_add_f64_e32 v[16:17], v[16:17], v[18:19]
	s_or_b32 exec_lo, exec_lo, s47
	s_and_saveexec_b32 s47, s19
	s_cbranch_execz .LBB191_90
.LBB191_556:                            ;   in Loop: Header=BB191_3 Depth=1
	ds_load_b128 v[18:21], v54 offset:80
	ds_load_b128 v[204:207], v60 offset:2688
	s_wait_dscnt 0x0
	v_mul_f64_e32 v[4:5], v[20:21], v[206:207]
	s_delay_alu instid0(VALU_DEP_1) | instskip(SKIP_1) | instid1(VALU_DEP_2)
	v_fma_f64 v[4:5], v[18:19], v[204:205], -v[4:5]
	v_mul_f64_e32 v[18:19], v[18:19], v[206:207]
	v_add_f64_e32 v[14:15], v[14:15], v[4:5]
	s_delay_alu instid0(VALU_DEP_2) | instskip(NEXT) | instid1(VALU_DEP_1)
	v_fmac_f64_e32 v[18:19], v[20:21], v[204:205]
	v_add_f64_e32 v[16:17], v[16:17], v[18:19]
	s_or_b32 exec_lo, exec_lo, s47
	s_and_saveexec_b32 s47, s6
	s_cbranch_execz .LBB191_91
.LBB191_557:                            ;   in Loop: Header=BB191_3 Depth=1
	ds_load_b128 v[18:21], v54 offset:96
	ds_load_b128 v[204:207], v59 offset:3200
	s_wait_dscnt 0x0
	v_mul_f64_e32 v[4:5], v[20:21], v[206:207]
	s_delay_alu instid0(VALU_DEP_1) | instskip(SKIP_1) | instid1(VALU_DEP_2)
	v_fma_f64 v[4:5], v[18:19], v[204:205], -v[4:5]
	v_mul_f64_e32 v[18:19], v[18:19], v[206:207]
	v_add_f64_e32 v[14:15], v[14:15], v[4:5]
	s_delay_alu instid0(VALU_DEP_2) | instskip(NEXT) | instid1(VALU_DEP_1)
	v_fmac_f64_e32 v[18:19], v[20:21], v[204:205]
	v_add_f64_e32 v[16:17], v[16:17], v[18:19]
	s_or_b32 exec_lo, exec_lo, s47
	s_and_saveexec_b32 s47, s8
	s_cbranch_execnz .LBB191_92
	s_branch .LBB191_93
.LBB191_558:                            ;   in Loop: Header=BB191_3 Depth=1
	ds_load_b128 v[18:21], v47 offset:4240
	ds_load_b128 v[204:207], v53 offset:4800
	s_wait_dscnt 0x0
	v_mul_f64_e32 v[4:5], v[20:21], v[206:207]
	s_delay_alu instid0(VALU_DEP_1) | instskip(SKIP_1) | instid1(VALU_DEP_2)
	v_fma_f64 v[4:5], v[18:19], v[204:205], -v[4:5]
	v_mul_f64_e32 v[18:19], v[18:19], v[206:207]
	v_add_f64_e32 v[14:15], v[14:15], v[4:5]
	s_delay_alu instid0(VALU_DEP_2) | instskip(NEXT) | instid1(VALU_DEP_1)
	v_fmac_f64_e32 v[18:19], v[20:21], v[204:205]
	v_add_f64_e32 v[16:17], v[16:17], v[18:19]
	s_or_b32 exec_lo, exec_lo, s47
	s_and_saveexec_b32 s47, s8
	s_cbranch_execz .LBB191_149
.LBB191_559:                            ;   in Loop: Header=BB191_3 Depth=1
	ds_load_b128 v[18:21], v47 offset:4256
	ds_load_b128 v[204:207], v52 offset:5312
	s_wait_dscnt 0x0
	v_mul_f64_e32 v[4:5], v[20:21], v[206:207]
	s_delay_alu instid0(VALU_DEP_1) | instskip(SKIP_1) | instid1(VALU_DEP_2)
	v_fma_f64 v[4:5], v[18:19], v[204:205], -v[4:5]
	v_mul_f64_e32 v[18:19], v[18:19], v[206:207]
	v_add_f64_e32 v[14:15], v[14:15], v[4:5]
	s_delay_alu instid0(VALU_DEP_2) | instskip(NEXT) | instid1(VALU_DEP_1)
	v_fmac_f64_e32 v[18:19], v[20:21], v[204:205]
	v_add_f64_e32 v[16:17], v[16:17], v[18:19]
	s_or_b32 exec_lo, exec_lo, s47
	s_and_saveexec_b32 s47, s3
	s_cbranch_execnz .LBB191_150
	s_branch .LBB191_151
.LBB191_560:                            ;   in Loop: Header=BB191_3 Depth=1
	ds_load_b128 v[18:21], v3 offset:176
	ds_load_b128 v[204:207], v174 offset:5888
	s_wait_dscnt 0x0
	v_mul_f64_e32 v[4:5], v[20:21], v[206:207]
	s_delay_alu instid0(VALU_DEP_1) | instskip(SKIP_1) | instid1(VALU_DEP_2)
	v_fma_f64 v[4:5], v[18:19], v[204:205], -v[4:5]
	v_mul_f64_e32 v[18:19], v[18:19], v[206:207]
	v_add_f64_e32 v[14:15], v[14:15], v[4:5]
	s_delay_alu instid0(VALU_DEP_2) | instskip(NEXT) | instid1(VALU_DEP_1)
	v_fmac_f64_e32 v[18:19], v[20:21], v[204:205]
	v_add_f64_e32 v[16:17], v[16:17], v[18:19]
	s_or_b32 exec_lo, exec_lo, s47
	s_and_saveexec_b32 s47, s9
	s_cbranch_execz .LBB191_211
.LBB191_561:                            ;   in Loop: Header=BB191_3 Depth=1
	ds_load_b128 v[18:21], v3 offset:192
	ds_load_b128 v[204:207], v174 offset:6400
	s_wait_dscnt 0x0
	v_mul_f64_e32 v[4:5], v[20:21], v[206:207]
	s_delay_alu instid0(VALU_DEP_1) | instskip(SKIP_1) | instid1(VALU_DEP_2)
	v_fma_f64 v[4:5], v[18:19], v[204:205], -v[4:5]
	v_mul_f64_e32 v[18:19], v[18:19], v[206:207]
	v_add_f64_e32 v[14:15], v[14:15], v[4:5]
	s_delay_alu instid0(VALU_DEP_2) | instskip(NEXT) | instid1(VALU_DEP_1)
	v_fmac_f64_e32 v[18:19], v[20:21], v[204:205]
	v_add_f64_e32 v[16:17], v[16:17], v[18:19]
	s_or_b32 exec_lo, exec_lo, s47
	s_and_saveexec_b32 s47, s16
	s_cbranch_execz .LBB191_212
.LBB191_562:                            ;   in Loop: Header=BB191_3 Depth=1
	ds_load_b128 v[18:21], v3 offset:208
	ds_load_b128 v[204:207], v174 offset:6912
	s_wait_dscnt 0x0
	v_mul_f64_e32 v[4:5], v[20:21], v[206:207]
	s_delay_alu instid0(VALU_DEP_1) | instskip(SKIP_1) | instid1(VALU_DEP_2)
	v_fma_f64 v[4:5], v[18:19], v[204:205], -v[4:5]
	v_mul_f64_e32 v[18:19], v[18:19], v[206:207]
	v_add_f64_e32 v[14:15], v[14:15], v[4:5]
	s_delay_alu instid0(VALU_DEP_2) | instskip(NEXT) | instid1(VALU_DEP_1)
	v_fmac_f64_e32 v[18:19], v[20:21], v[204:205]
	v_add_f64_e32 v[16:17], v[16:17], v[18:19]
	s_or_b32 exec_lo, exec_lo, s47
	s_and_saveexec_b32 s47, s18
	s_cbranch_execz .LBB191_213
.LBB191_563:                            ;   in Loop: Header=BB191_3 Depth=1
	ds_load_b128 v[18:21], v3 offset:224
	ds_load_b128 v[204:207], v174 offset:7424
	s_wait_dscnt 0x0
	v_mul_f64_e32 v[4:5], v[20:21], v[206:207]
	s_delay_alu instid0(VALU_DEP_1) | instskip(SKIP_1) | instid1(VALU_DEP_2)
	v_fma_f64 v[4:5], v[18:19], v[204:205], -v[4:5]
	v_mul_f64_e32 v[18:19], v[18:19], v[206:207]
	v_add_f64_e32 v[14:15], v[14:15], v[4:5]
	s_delay_alu instid0(VALU_DEP_2) | instskip(NEXT) | instid1(VALU_DEP_1)
	v_fmac_f64_e32 v[18:19], v[20:21], v[204:205]
	v_add_f64_e32 v[16:17], v[16:17], v[18:19]
	s_or_b32 exec_lo, exec_lo, s47
	s_and_saveexec_b32 s47, s6
	s_cbranch_execnz .LBB191_214
	s_branch .LBB191_215
.LBB191_564:                            ;   in Loop: Header=BB191_3 Depth=1
	ds_load_b128 v[18:21], v47 offset:8464
	ds_load_b128 v[204:207], v53 offset:9024
	s_wait_dscnt 0x0
	v_mul_f64_e32 v[4:5], v[20:21], v[206:207]
	s_delay_alu instid0(VALU_DEP_1) | instskip(SKIP_1) | instid1(VALU_DEP_2)
	v_fma_f64 v[4:5], v[18:19], v[204:205], -v[4:5]
	v_mul_f64_e32 v[18:19], v[18:19], v[206:207]
	v_add_f64_e32 v[14:15], v[14:15], v[4:5]
	s_delay_alu instid0(VALU_DEP_2) | instskip(NEXT) | instid1(VALU_DEP_1)
	v_fmac_f64_e32 v[18:19], v[20:21], v[204:205]
	v_add_f64_e32 v[16:17], v[16:17], v[18:19]
	s_or_b32 exec_lo, exec_lo, s47
	s_and_saveexec_b32 s47, s8
	s_cbranch_execz .LBB191_303
.LBB191_565:                            ;   in Loop: Header=BB191_3 Depth=1
	ds_load_b128 v[18:21], v47 offset:8480
	ds_load_b128 v[204:207], v52 offset:9536
	s_wait_dscnt 0x0
	v_mul_f64_e32 v[4:5], v[20:21], v[206:207]
	s_delay_alu instid0(VALU_DEP_1) | instskip(SKIP_1) | instid1(VALU_DEP_2)
	v_fma_f64 v[4:5], v[18:19], v[204:205], -v[4:5]
	v_mul_f64_e32 v[18:19], v[18:19], v[206:207]
	v_add_f64_e32 v[14:15], v[14:15], v[4:5]
	s_delay_alu instid0(VALU_DEP_2) | instskip(NEXT) | instid1(VALU_DEP_1)
	v_fmac_f64_e32 v[18:19], v[20:21], v[204:205]
	v_add_f64_e32 v[16:17], v[16:17], v[18:19]
	s_or_b32 exec_lo, exec_lo, s47
	s_and_saveexec_b32 s47, s3
	s_cbranch_execnz .LBB191_304
	s_branch .LBB191_305
.LBB191_566:                            ;   in Loop: Header=BB191_3 Depth=1
	ds_load_b128 v[18:21], v54 offset:8464
	ds_load_b128 v[204:207], v60 offset:9088
	s_wait_dscnt 0x0
	v_mul_f64_e32 v[4:5], v[20:21], v[206:207]
	s_delay_alu instid0(VALU_DEP_1) | instskip(SKIP_1) | instid1(VALU_DEP_2)
	v_fma_f64 v[4:5], v[18:19], v[204:205], -v[4:5]
	v_mul_f64_e32 v[18:19], v[18:19], v[206:207]
	v_add_f64_e32 v[14:15], v[14:15], v[4:5]
	s_delay_alu instid0(VALU_DEP_2) | instskip(NEXT) | instid1(VALU_DEP_1)
	v_fmac_f64_e32 v[18:19], v[20:21], v[204:205]
	v_add_f64_e32 v[16:17], v[16:17], v[18:19]
	s_or_b32 exec_lo, exec_lo, s47
	s_and_saveexec_b32 s47, s16
	s_cbranch_execz .LBB191_345
.LBB191_567:                            ;   in Loop: Header=BB191_3 Depth=1
	ds_load_b128 v[18:21], v54 offset:8480
	ds_load_b128 v[204:207], v60 offset:9600
	s_wait_dscnt 0x0
	v_mul_f64_e32 v[4:5], v[20:21], v[206:207]
	s_delay_alu instid0(VALU_DEP_1) | instskip(SKIP_1) | instid1(VALU_DEP_2)
	v_fma_f64 v[4:5], v[18:19], v[204:205], -v[4:5]
	v_mul_f64_e32 v[18:19], v[18:19], v[206:207]
	v_add_f64_e32 v[14:15], v[14:15], v[4:5]
	s_delay_alu instid0(VALU_DEP_2) | instskip(NEXT) | instid1(VALU_DEP_1)
	v_fmac_f64_e32 v[18:19], v[20:21], v[204:205]
	v_add_f64_e32 v[16:17], v[16:17], v[18:19]
	s_or_b32 exec_lo, exec_lo, s47
	s_and_saveexec_b32 s47, s17
	s_cbranch_execz .LBB191_346
.LBB191_568:                            ;   in Loop: Header=BB191_3 Depth=1
	ds_load_b128 v[18:21], v54 offset:8496
	ds_load_b128 v[204:207], v60 offset:10112
	s_wait_dscnt 0x0
	v_mul_f64_e32 v[4:5], v[20:21], v[206:207]
	s_delay_alu instid0(VALU_DEP_1) | instskip(SKIP_1) | instid1(VALU_DEP_2)
	v_fma_f64 v[4:5], v[18:19], v[204:205], -v[4:5]
	v_mul_f64_e32 v[18:19], v[18:19], v[206:207]
	v_add_f64_e32 v[14:15], v[14:15], v[4:5]
	s_delay_alu instid0(VALU_DEP_2) | instskip(NEXT) | instid1(VALU_DEP_1)
	v_fmac_f64_e32 v[18:19], v[20:21], v[204:205]
	v_add_f64_e32 v[16:17], v[16:17], v[18:19]
	s_or_b32 exec_lo, exec_lo, s47
	s_and_saveexec_b32 s47, s18
	s_cbranch_execz .LBB191_347
.LBB191_569:                            ;   in Loop: Header=BB191_3 Depth=1
	ds_load_b128 v[18:21], v54 offset:8512
	ds_load_b128 v[204:207], v59 offset:10624
	s_wait_dscnt 0x0
	v_mul_f64_e32 v[4:5], v[20:21], v[206:207]
	s_delay_alu instid0(VALU_DEP_1) | instskip(SKIP_1) | instid1(VALU_DEP_2)
	v_fma_f64 v[4:5], v[18:19], v[204:205], -v[4:5]
	v_mul_f64_e32 v[18:19], v[18:19], v[206:207]
	v_add_f64_e32 v[14:15], v[14:15], v[4:5]
	s_delay_alu instid0(VALU_DEP_2) | instskip(NEXT) | instid1(VALU_DEP_1)
	v_fmac_f64_e32 v[18:19], v[20:21], v[204:205]
	v_add_f64_e32 v[16:17], v[16:17], v[18:19]
	s_or_b32 exec_lo, exec_lo, s47
	s_and_saveexec_b32 s47, s19
	s_cbranch_execz .LBB191_348
.LBB191_570:                            ;   in Loop: Header=BB191_3 Depth=1
	ds_load_b128 v[18:21], v54 offset:8528
	ds_load_b128 v[204:207], v60 offset:11136
	s_wait_dscnt 0x0
	v_mul_f64_e32 v[4:5], v[20:21], v[206:207]
	s_delay_alu instid0(VALU_DEP_1) | instskip(SKIP_1) | instid1(VALU_DEP_2)
	v_fma_f64 v[4:5], v[18:19], v[204:205], -v[4:5]
	v_mul_f64_e32 v[18:19], v[18:19], v[206:207]
	v_add_f64_e32 v[14:15], v[14:15], v[4:5]
	s_delay_alu instid0(VALU_DEP_2) | instskip(NEXT) | instid1(VALU_DEP_1)
	v_fmac_f64_e32 v[18:19], v[20:21], v[204:205]
	v_add_f64_e32 v[16:17], v[16:17], v[18:19]
	s_or_b32 exec_lo, exec_lo, s47
	s_and_saveexec_b32 s47, s6
	s_cbranch_execz .LBB191_349
.LBB191_571:                            ;   in Loop: Header=BB191_3 Depth=1
	ds_load_b128 v[18:21], v54 offset:8544
	ds_load_b128 v[204:207], v59 offset:11648
	s_wait_dscnt 0x0
	v_mul_f64_e32 v[4:5], v[20:21], v[206:207]
	s_delay_alu instid0(VALU_DEP_1) | instskip(SKIP_1) | instid1(VALU_DEP_2)
	v_fma_f64 v[4:5], v[18:19], v[204:205], -v[4:5]
	v_mul_f64_e32 v[18:19], v[18:19], v[206:207]
	v_add_f64_e32 v[14:15], v[14:15], v[4:5]
	s_delay_alu instid0(VALU_DEP_2) | instskip(NEXT) | instid1(VALU_DEP_1)
	v_fmac_f64_e32 v[18:19], v[20:21], v[204:205]
	v_add_f64_e32 v[16:17], v[16:17], v[18:19]
	s_or_b32 exec_lo, exec_lo, s47
	s_and_saveexec_b32 s47, s8
	s_cbranch_execnz .LBB191_350
	s_branch .LBB191_351
.LBB191_572:                            ;   in Loop: Header=BB191_3 Depth=1
	ds_load_b128 v[18:21], v47 offset:12688
	ds_load_b128 v[204:207], v53 offset:13248
	s_wait_dscnt 0x0
	v_mul_f64_e32 v[4:5], v[20:21], v[206:207]
	s_delay_alu instid0(VALU_DEP_1) | instskip(SKIP_1) | instid1(VALU_DEP_2)
	v_fma_f64 v[4:5], v[18:19], v[204:205], -v[4:5]
	v_mul_f64_e32 v[18:19], v[18:19], v[206:207]
	v_add_f64_e32 v[14:15], v[14:15], v[4:5]
	s_delay_alu instid0(VALU_DEP_2) | instskip(NEXT) | instid1(VALU_DEP_1)
	v_fmac_f64_e32 v[18:19], v[20:21], v[204:205]
	v_add_f64_e32 v[16:17], v[16:17], v[18:19]
	s_or_b32 exec_lo, exec_lo, s47
	s_and_saveexec_b32 s47, s8
	s_cbranch_execz .LBB191_407
.LBB191_573:                            ;   in Loop: Header=BB191_3 Depth=1
	ds_load_b128 v[18:21], v47 offset:12704
	ds_load_b128 v[204:207], v52 offset:13760
	s_wait_dscnt 0x0
	v_mul_f64_e32 v[4:5], v[20:21], v[206:207]
	s_delay_alu instid0(VALU_DEP_1) | instskip(SKIP_1) | instid1(VALU_DEP_2)
	v_fma_f64 v[4:5], v[18:19], v[204:205], -v[4:5]
	v_mul_f64_e32 v[18:19], v[18:19], v[206:207]
	v_add_f64_e32 v[14:15], v[14:15], v[4:5]
	s_delay_alu instid0(VALU_DEP_2) | instskip(NEXT) | instid1(VALU_DEP_1)
	v_fmac_f64_e32 v[18:19], v[20:21], v[204:205]
	v_add_f64_e32 v[16:17], v[16:17], v[18:19]
	s_or_b32 exec_lo, exec_lo, s47
	s_and_saveexec_b32 s47, s3
	s_cbranch_execnz .LBB191_408
	s_branch .LBB191_409
.LBB191_574:
	s_endpgm
	.section	.rodata,"a",@progbits
	.p2align	6, 0x0
	.amdhsa_kernel _ZL19rocblas_trsv_deviceILi32ELi16ELb1ELb1ELb0ELb0E19rocblas_complex_numIdES1_PKPKS1_PKPS1_EviT7_lllT6_T8_lllPii
		.amdhsa_group_segment_fixed_size 25104
		.amdhsa_private_segment_fixed_size 0
		.amdhsa_kernarg_size 360
		.amdhsa_user_sgpr_count 2
		.amdhsa_user_sgpr_dispatch_ptr 0
		.amdhsa_user_sgpr_queue_ptr 0
		.amdhsa_user_sgpr_kernarg_segment_ptr 1
		.amdhsa_user_sgpr_dispatch_id 0
		.amdhsa_user_sgpr_kernarg_preload_length 0
		.amdhsa_user_sgpr_kernarg_preload_offset 0
		.amdhsa_user_sgpr_private_segment_size 0
		.amdhsa_wavefront_size32 1
		.amdhsa_uses_dynamic_stack 0
		.amdhsa_enable_private_segment 0
		.amdhsa_system_sgpr_workgroup_id_x 1
		.amdhsa_system_sgpr_workgroup_id_y 0
		.amdhsa_system_sgpr_workgroup_id_z 1
		.amdhsa_system_sgpr_workgroup_info 0
		.amdhsa_system_vgpr_workitem_id 1
		.amdhsa_next_free_vgpr 213
		.amdhsa_next_free_sgpr 105
		.amdhsa_named_barrier_count 0
		.amdhsa_reserve_vcc 1
		.amdhsa_float_round_mode_32 0
		.amdhsa_float_round_mode_16_64 0
		.amdhsa_float_denorm_mode_32 3
		.amdhsa_float_denorm_mode_16_64 3
		.amdhsa_fp16_overflow 0
		.amdhsa_memory_ordered 1
		.amdhsa_forward_progress 1
		.amdhsa_inst_pref_size 215
		.amdhsa_round_robin_scheduling 0
		.amdhsa_exception_fp_ieee_invalid_op 0
		.amdhsa_exception_fp_denorm_src 0
		.amdhsa_exception_fp_ieee_div_zero 0
		.amdhsa_exception_fp_ieee_overflow 0
		.amdhsa_exception_fp_ieee_underflow 0
		.amdhsa_exception_fp_ieee_inexact 0
		.amdhsa_exception_int_div_zero 0
	.end_amdhsa_kernel
	.section	.text._ZL19rocblas_trsv_deviceILi32ELi16ELb1ELb1ELb0ELb0E19rocblas_complex_numIdES1_PKPKS1_PKPS1_EviT7_lllT6_T8_lllPii,"axG",@progbits,_ZL19rocblas_trsv_deviceILi32ELi16ELb1ELb1ELb0ELb0E19rocblas_complex_numIdES1_PKPKS1_PKPS1_EviT7_lllT6_T8_lllPii,comdat
.Lfunc_end191:
	.size	_ZL19rocblas_trsv_deviceILi32ELi16ELb1ELb1ELb0ELb0E19rocblas_complex_numIdES1_PKPKS1_PKPS1_EviT7_lllT6_T8_lllPii, .Lfunc_end191-_ZL19rocblas_trsv_deviceILi32ELi16ELb1ELb1ELb0ELb0E19rocblas_complex_numIdES1_PKPKS1_PKPS1_EviT7_lllT6_T8_lllPii
                                        ; -- End function
	.set _ZL19rocblas_trsv_deviceILi32ELi16ELb1ELb1ELb0ELb0E19rocblas_complex_numIdES1_PKPKS1_PKPS1_EviT7_lllT6_T8_lllPii.num_vgpr, 213
	.set _ZL19rocblas_trsv_deviceILi32ELi16ELb1ELb1ELb0ELb0E19rocblas_complex_numIdES1_PKPKS1_PKPS1_EviT7_lllT6_T8_lllPii.num_agpr, 0
	.set _ZL19rocblas_trsv_deviceILi32ELi16ELb1ELb1ELb0ELb0E19rocblas_complex_numIdES1_PKPKS1_PKPS1_EviT7_lllT6_T8_lllPii.numbered_sgpr, 105
	.set _ZL19rocblas_trsv_deviceILi32ELi16ELb1ELb1ELb0ELb0E19rocblas_complex_numIdES1_PKPKS1_PKPS1_EviT7_lllT6_T8_lllPii.num_named_barrier, 0
	.set _ZL19rocblas_trsv_deviceILi32ELi16ELb1ELb1ELb0ELb0E19rocblas_complex_numIdES1_PKPKS1_PKPS1_EviT7_lllT6_T8_lllPii.private_seg_size, 0
	.set _ZL19rocblas_trsv_deviceILi32ELi16ELb1ELb1ELb0ELb0E19rocblas_complex_numIdES1_PKPKS1_PKPS1_EviT7_lllT6_T8_lllPii.uses_vcc, 1
	.set _ZL19rocblas_trsv_deviceILi32ELi16ELb1ELb1ELb0ELb0E19rocblas_complex_numIdES1_PKPKS1_PKPS1_EviT7_lllT6_T8_lllPii.uses_flat_scratch, 0
	.set _ZL19rocblas_trsv_deviceILi32ELi16ELb1ELb1ELb0ELb0E19rocblas_complex_numIdES1_PKPKS1_PKPS1_EviT7_lllT6_T8_lllPii.has_dyn_sized_stack, 0
	.set _ZL19rocblas_trsv_deviceILi32ELi16ELb1ELb1ELb0ELb0E19rocblas_complex_numIdES1_PKPKS1_PKPS1_EviT7_lllT6_T8_lllPii.has_recursion, 0
	.set _ZL19rocblas_trsv_deviceILi32ELi16ELb1ELb1ELb0ELb0E19rocblas_complex_numIdES1_PKPKS1_PKPS1_EviT7_lllT6_T8_lllPii.has_indirect_call, 0
	.section	.AMDGPU.csdata,"",@progbits
; Kernel info:
; codeLenInByte = 27508
; TotalNumSgprs: 107
; NumVgprs: 213
; ScratchSize: 0
; MemoryBound: 1
; FloatMode: 240
; IeeeMode: 1
; LDSByteSize: 25104 bytes/workgroup (compile time only)
; SGPRBlocks: 0
; VGPRBlocks: 13
; NumSGPRsForWavesPerEU: 107
; NumVGPRsForWavesPerEU: 213
; NamedBarCnt: 0
; Occupancy: 4
; WaveLimiterHint : 1
; COMPUTE_PGM_RSRC2:SCRATCH_EN: 0
; COMPUTE_PGM_RSRC2:USER_SGPR: 2
; COMPUTE_PGM_RSRC2:TRAP_HANDLER: 0
; COMPUTE_PGM_RSRC2:TGID_X_EN: 1
; COMPUTE_PGM_RSRC2:TGID_Y_EN: 0
; COMPUTE_PGM_RSRC2:TGID_Z_EN: 1
; COMPUTE_PGM_RSRC2:TIDIG_COMP_CNT: 1
	.section	.text._ZL19rocblas_trsv_deviceILi32ELi16ELb1ELb1ELb1ELb0E19rocblas_complex_numIdES1_PKPKS1_PKPS1_EviT7_lllT6_T8_lllPii,"axG",@progbits,_ZL19rocblas_trsv_deviceILi32ELi16ELb1ELb1ELb1ELb0E19rocblas_complex_numIdES1_PKPKS1_PKPS1_EviT7_lllT6_T8_lllPii,comdat
	.globl	_ZL19rocblas_trsv_deviceILi32ELi16ELb1ELb1ELb1ELb0E19rocblas_complex_numIdES1_PKPKS1_PKPS1_EviT7_lllT6_T8_lllPii ; -- Begin function _ZL19rocblas_trsv_deviceILi32ELi16ELb1ELb1ELb1ELb0E19rocblas_complex_numIdES1_PKPKS1_PKPS1_EviT7_lllT6_T8_lllPii
	.p2align	8
	.type	_ZL19rocblas_trsv_deviceILi32ELi16ELb1ELb1ELb1ELb0E19rocblas_complex_numIdES1_PKPKS1_PKPS1_EviT7_lllT6_T8_lllPii,@function
_ZL19rocblas_trsv_deviceILi32ELi16ELb1ELb1ELb1ELb0E19rocblas_complex_numIdES1_PKPKS1_PKPS1_EviT7_lllT6_T8_lllPii: ; @_ZL19rocblas_trsv_deviceILi32ELi16ELb1ELb1ELb1ELb0E19rocblas_complex_numIdES1_PKPKS1_PKPS1_EviT7_lllT6_T8_lllPii
; %bb.0:
	s_load_b32 s37, s[0:1], 0x60
	s_bfe_u32 s2, ttmp6, 0x40014
	s_lshr_b32 s3, ttmp7, 16
	s_add_co_i32 s2, s2, 1
	s_bfe_u32 s5, ttmp6, 0x40008
	s_mul_i32 s4, s3, s2
	s_getreg_b32 s2, hwreg(HW_REG_IB_STS2, 6, 4)
	s_add_co_i32 s5, s5, s4
	s_cmp_eq_u32 s2, 0
	s_mov_b32 s39, 0
	s_cselect_b32 s38, s3, s5
	s_wait_kmcnt 0x0
	s_cmp_ge_u32 s38, s37
	s_cbranch_scc1 .LBB192_574
; %bb.1:
	s_clause 0x2
	s_load_b32 s3, s[0:1], 0x74
	s_load_b32 s59, s[0:1], 0x68
	;; [unrolled: 1-line block ×3, first 2 shown]
	s_bfe_u32 s5, ttmp6, 0x4000c
	s_and_b32 s4, ttmp6, 15
	s_add_co_i32 s5, s5, 1
	s_clause 0x1
	s_load_b64 s[18:19], s[0:1], 0x18
	s_load_b128 s[48:51], s[0:1], 0x8
	s_mul_i32 s5, ttmp9, s5
	v_and_b32_e32 v22, 0x3ff, v0
	s_add_co_i32 s4, s4, s5
	s_cmp_eq_u32 s2, 0
	v_bfe_u32 v42, v0, 10, 10
	s_cselect_b32 s58, ttmp9, s4
	v_dual_mov_b32 v2, 0 :: v_dual_lshlrev_b32 v1, 5, v22
                                        ; implicit-def: $vgpr212 : SGPR spill to VGPR lane
	s_clause 0x1
	s_load_b64 s[54:55], s[0:1], 0x48
	s_load_b64 s[56:57], s[0:1], 0x58
	v_add_nc_u32_e32 v8, 16, v42
	v_lshl_add_u32 v3, v42, 5, v22
	v_dual_mov_b32 v25, v2 :: v_dual_mov_b32 v23, v2
	s_wait_kmcnt 0x0
	s_and_b32 s2, s3, 0xffff
	s_add_co_i32 s3, s52, -1
	s_ashr_i32 s53, s52, 31
	s_ashr_i32 s4, s3, 31
	s_lshr_b32 s5, s53, 27
	s_lshr_b32 s4, s4, 27
	s_add_co_i32 s5, s52, s5
	s_add_co_i32 s59, s59, -1
	s_add_co_i32 s3, s3, s4
	s_and_not1_b32 s5, s5, 31
	s_sub_co_i32 s92, s59, s58
	s_ashr_i32 s3, s3, 5
	s_sub_co_i32 s17, s52, s5
	s_cmp_eq_u32 s3, s92
	v_add_nc_u32_e32 v9, v42, v1
	s_cselect_b32 s3, -1, 0
	s_cmp_lg_u32 s17, 0
	v_lshl_add_u32 v11, v8, 5, v22
	s_cselect_b32 s4, -1, 0
	v_lshlrev_b32_e32 v45, 4, v22
	s_and_b32 s31, s4, s3
	s_add_nc_u64 s[4:5], s[18:19], 1
	s_xor_b32 s60, s31, -1
	s_cmp_lg_u32 s58, 0
	v_add_nc_u32_e32 v1, v8, v1
	s_cselect_b32 s61, -1, 0
	s_lshl_b32 s20, s92, 5
	s_cmp_lt_i32 s58, 5
	v_add_nc_u32_e32 v10, s20, v42
	s_cselect_b32 vcc_lo, -1, 0
	v_dual_cndmask_b32 v9, v3, v9 :: v_dual_add_nc_u32 v6, s20, v22
	s_or_b32 vcc_lo, vcc_lo, s31
	v_mad_nc_u64_u32 v[4:5], s4, s20, v[22:23]
	v_dual_cndmask_b32 v11, v11, v1 :: v_dual_add_nc_u32 v26, 32, v10
	s_delay_alu instid0(VALU_DEP_3) | instskip(SKIP_2) | instid1(VALU_DEP_3)
	v_dual_ashrrev_i32 v7, 31, v6 :: v_dual_bitop2_b32 v1, 1, v0 bitop3:0x40
	v_lshrrev_b32_e32 v13, 1, v3
	s_ashr_i32 s21, s20, 31
	v_dual_ashrrev_i32 v27, 31, v26 :: v_dual_lshrrev_b32 v12, 10, v0
	s_delay_alu instid0(VALU_DEP_3)
	v_lshlrev_b32_e32 v14, 4, v1
	s_mul_i32 s3, s4, s21
	s_mul_i32 s4, s5, s20
	v_lshl_add_u32 v23, v13, 4, 0x4000
	v_add3_u32 v5, s3, s4, v5
	v_cmp_gt_u32_e64 s3, 4, v3
	v_cmp_eq_u32_e64 s6, 1, v1
	v_lshl_or_b32 v43, v13, 9, v14
	v_mul_u32_u24_e32 v44, 0x210, v13
	v_lshrrev_b32_e32 v13, 2, v3
	v_mad_u32_u24 v1, 0x1f0, v22, v45
	v_and_b32_e32 v14, 3, v0
	s_xor_b32 s8, s6, -1
	s_and_b32 s64, s6, s3
	v_mul_u32_u24_e32 v47, 0x210, v13
	v_add_nc_u32_e32 v46, 32, v1
	v_dual_lshlrev_b32 v15, 4, v13 :: v_dual_lshlrev_b32 v49, 4, v14
	v_cmp_gt_u32_e64 s6, 16, v3
	v_cmp_eq_u32_e64 s9, 0, v14
	s_delay_alu instid0(VALU_DEP_3)
	v_dual_add_nc_u32 v48, 48, v1 :: v_dual_sub_nc_u32 v16, v47, v15
	v_cmp_eq_u32_e64 s5, 0, v42
	v_add_nc_u32_e32 v51, 0x4000, v15
	s_and_b32 s66, s9, s6
	v_cmp_eq_u32_e64 s9, 1, v14
	v_lshl_or_b32 v52, v13, 9, v49
	v_dual_add_nc_u32 v53, v16, v49 :: v_dual_lshrrev_b32 v13, 3, v3
	v_cmp_lt_u32_e64 s11, 1, v14
	v_cmp_eq_u32_e64 s12, 2, v14
	s_and_b32 s68, s9, s6
	v_cmp_gt_u32_e64 s9, 4, v22
	v_dual_lshlrev_b32 v16, 4, v13 :: v_dual_bitop2_b32 v15, 7, v0 bitop3:0x40
	s_and_b32 s69, s11, s6
	s_and_b32 s70, s12, s6
	;; [unrolled: 1-line block ×3, first 2 shown]
	v_cmp_gt_u32_e64 s9, 64, v3
	v_cmp_eq_u32_e64 s11, 0, v15
	v_cmp_ne_u32_e64 s12, 0, v15
	v_cmp_ne_u32_e64 s10, 0, v14
	v_cmp_eq_u32_e64 s13, 1, v15
	v_bitop3_b32 v12, v0, v12, 0x3ff bitop3:0xa8
	s_and_b32 s73, s11, s9
	s_and_b32 s74, s12, s9
	v_cmp_lt_u32_e64 s11, 2, v15
	v_cmp_eq_u32_e64 s12, 3, v15
	s_and_b32 s67, s10, s6
	v_cmp_eq_u32_e64 s10, 3, v14
	s_and_b32 s75, s13, s9
	v_cmp_lt_u32_e64 s13, 3, v15
	s_and_b32 s78, s11, s9
	s_and_b32 s79, s12, s9
	v_cmp_eq_u32_e64 s11, 5, v15
	v_cmp_lt_u32_e64 s12, 5, v15
	v_and_b32_e32 v0, 15, v0
	s_and_b32 s71, s10, s6
	v_cmp_gt_u32_e64 s10, 56, v3
	v_cmp_lt_u32_e64 s14, 1, v15
	s_and_b32 s80, s13, s9
	v_cmp_eq_u32_e64 s13, 6, v15
	s_and_b32 s83, s11, s9
	s_and_b32 s84, s12, s9
	v_cmp_gt_u32_e64 s11, 0x100, v3
	v_cmp_eq_u32_e64 s12, 0, v0
	v_writelane_b32 v212, s10, 0
	v_cmp_eq_u32_e64 s15, 2, v15
	s_and_b32 s76, s14, s9
	v_cmp_eq_u32_e64 s14, 4, v15
	s_and_b32 s85, s13, s9
	v_cmp_ne_u32_e64 s13, 0, v0
	s_and_b32 s10, s12, s11
	s_and_b32 s77, s15, s9
	v_writelane_b32 v212, s10, 1
	v_cmp_lt_u32_e64 s15, 4, v15
	s_and_b32 s81, s14, s9
	v_cmp_eq_u32_e64 s14, 7, v15
	v_cmp_eq_u32_e64 s12, 1, v0
	s_and_b32 s10, s13, s11
	s_and_b32 s82, s15, s9
	v_writelane_b32 v212, s10, 2
	v_cmp_gt_u32_e64 s15, 8, v22
	s_and_b32 s86, s14, s9
	v_cmp_lt_u32_e64 s14, 1, v0
	s_and_b32 s10, s12, s11
	v_cmp_lt_u32_e64 s16, 2, v0
	v_writelane_b32 v212, s10, 3
	s_and_b32 s87, s5, s15
	v_cmp_eq_u32_e64 s15, 2, v0
	s_and_b32 s10, s14, s11
	v_cmp_eq_u32_e64 s12, 3, v0
	v_writelane_b32 v212, s10, 4
	v_cmp_lt_u32_e64 s13, 3, v0
	s_and_b32 s10, s15, s11
	v_cmp_eq_u32_e64 s14, 4, v0
	v_cmp_lt_u32_e64 s15, 4, v0
	v_writelane_b32 v212, s10, 5
	s_and_b32 s10, s16, s11
	v_mad_i32_i24 v50, 0xfffffe10, v22, v1
	v_cmp_eq_u32_e64 s16, 5, v0
	v_mul_u32_u24_e32 v54, 0x210, v13
	v_writelane_b32 v212, s10, 6
	s_and_b32 s10, s12, s11
	v_cmp_lt_u32_e64 s12, 5, v0
	v_mad_u32_u24 v14, 0x1f0, v22, v50
	v_lshlrev_b32_e32 v56, 4, v15
	v_writelane_b32 v212, s10, 7
	s_and_b32 s10, s13, s11
	v_cmp_eq_u32_e64 s13, 6, v0
	s_and_b32 s99, s12, s11
	v_cmp_eq_u32_e64 s12, 8, v0
	v_writelane_b32 v212, s10, 8
	s_and_b32 s10, s14, s11
	v_cmp_lt_u32_e64 s14, 6, v0
	s_and_b32 s100, s13, s11
	v_cmp_lt_u32_e64 s13, 8, v0
	v_writelane_b32 v212, s10, 9
	s_and_b32 s10, s15, s11
	v_cmp_eq_u32_e64 s15, 7, v0
	s_and_b32 s101, s14, s11
	v_cmp_eq_u32_e64 s14, 9, v0
	v_writelane_b32 v212, s10, 10
	s_and_b32 s10, s16, s11
	v_cmp_lt_u32_e64 s16, 7, v0
	s_and_b32 s102, s15, s11
	v_cmp_lt_u32_e64 s15, 9, v0
	v_dual_add_nc_u32 v55, 64, v14 :: v_dual_sub_nc_u32 v17, v54, v16
	s_and_b32 s103, s16, s11
	v_cmp_eq_u32_e64 s16, 10, v0
	s_and_b32 s104, s12, s11
	s_and_b32 vcc_hi, s13, s11
	s_and_b32 s22, s14, s11
	s_and_b32 s23, s15, s11
	v_cmp_lt_u32_e64 s12, 10, v0
	v_cmp_eq_u32_e64 s13, 11, v0
	v_cmp_lt_u32_e64 s14, 11, v0
	v_cmp_eq_u32_e64 s15, 12, v0
	v_lshl_or_b32 v59, v13, 9, v56
	v_dual_lshlrev_b32 v13, 5, v3 :: v_dual_add_nc_u32 v60, v17, v56
	v_lshlrev_b32_e32 v70, 4, v0
	s_and_b32 s24, s16, s11
	v_cmp_lt_u32_e64 s16, 12, v0
	s_and_b32 s25, s12, s11
	s_and_b32 s26, s13, s11
	s_and_b32 s27, s14, s11
	s_and_b32 s28, s15, s11
	v_cmp_eq_u32_e64 s12, 13, v0
	v_cmp_lt_u32_e64 s13, 13, v0
	v_cmp_eq_u32_e64 s14, 14, v0
	v_cmp_eq_u32_e64 s15, 15, v0
	v_add_nc_u32_e32 v0, 48, v10
	v_mad_i32_i24 v83, 0xfffffe10, v22, v14
	s_and_b32 s29, s16, s11
	s_and_b32 s34, s14, s11
	v_cmp_gt_u32_e64 s16, 16, v22
	v_cmp_gt_i32_e64 s14, s52, v0
	v_mad_u32_u24 v0, 0x1f0, v22, v83
	v_add_nc_u32_e32 v61, 0x80, v1
	v_add_nc_u32_e32 v62, 0x90, v1
	s_and_b32 s88, s5, s16
	v_cmp_le_i32_e64 s16, s17, v22
	v_mad_i32_i24 v94, 0xfffffe10, v22, v0
	v_add_nc_u32_e32 v63, 0xa0, v1
	v_add_nc_u32_e32 v64, 0xb0, v1
	;; [unrolled: 1-line block ×16, first 2 shown]
	v_mad_u32_u24 v1, 0x1f0, v22, v94
	v_cmp_gt_u32_e64 s7, 2, v22
	s_and_b32 s89, s16, s31
	s_xor_b32 s62, vcc_lo, -1
	v_cmp_gt_i32_e32 vcc_lo, s17, v22
	s_and_b32 s30, s12, s11
	v_add_nc_u32_e32 v92, 0x860, v0
	v_add_nc_u32_e32 v93, 0x870, v0
	;; [unrolled: 1-line block ×12, first 2 shown]
	v_mad_i32_i24 v0, 0xfffffe10, v22, v1
	s_xor_b32 s12, s89, -1
	s_and_b32 s63, s8, s3
	s_and_b32 s65, s5, s7
	v_writelane_b32 v212, s10, 11
	s_and_b32 s33, s13, s11
	s_and_b32 s10, s15, s11
	;; [unrolled: 1-line block ×3, first 2 shown]
	s_cmp_gt_i32 s58, 0
	v_add_nc_u32_e32 v105, 0x18e0, v1
	v_add_nc_u32_e32 v106, 0x18f0, v1
	;; [unrolled: 1-line block ×8, first 2 shown]
	v_mul_u64_e32 v[0:1], s[18:19], v[6:7]
	s_cselect_b32 s91, -1, 0
	v_mad_nc_u64_u32 v[32:33], s18, v42, v[4:5]
	v_mad_nc_u64_u32 v[34:35], s18, v8, v[4:5]
	s_and_b32 s18, s5, vcc_lo
	v_mad_u32_u24 v24, v42, s2, v22
	v_writelane_b32 v212, s18, 12
	v_cmp_ne_u32_e64 s18, v22, v42
	v_cmp_gt_i32_e64 s2, s52, v6
	v_cmp_gt_i32_e64 s15, s52, v26
	v_cmp_le_i32_e32 vcc_lo, s17, v42
	v_cmp_le_i32_e64 s17, s17, v8
	v_writelane_b32 v212, s18, 13
	v_mul_u64_e32 v[28:29], s[54:55], v[6:7]
	v_add_nc_u64_e32 v[6:7], s[20:21], v[24:25]
	s_and_b32 s21, s15, s2
	s_or_b32 s15, s17, s16
	s_or_b32 s17, s16, s18
	v_mad_u32 v33, s19, v42, v33
	v_mad_u32 v35, s19, v8, v35
	v_cmp_ne_u32_e64 s19, v22, v8
	v_writelane_b32 v212, s17, 14
	s_and_b32 s20, s14, s2
	s_or_b32 s14, vcc_lo, s16
	v_cmp_gt_u32_e64 s31, 0xf0, v3
	s_or_b32 s16, s16, s19
	v_writelane_b32 v212, s19, 15
	v_mul_u64_e32 v[30:31], s[54:55], v[6:7]
	v_lshlrev_b32_e32 v10, 9, v22
	s_load_b256 s[40:47], s[0:1], 0x28
	v_and_b32_e32 v69, 0xfffffe00, v13
	v_writelane_b32 v212, s16, 16
	s_movk_i32 s35, 0x3c00
	v_mad_i32_i24 v13, 0xfffffe10, v22, v10
	v_dual_lshlrev_b32 v148, 4, v9 :: v_dual_bitop2_b32 v4, v8, v22 bitop3:0x54
	v_writelane_b32 v212, s31, 17
	v_cmp_gt_u32_e64 s31, 0xe0, v3
	s_delay_alu instid0(VALU_DEP_4)
	v_add_nc_u32_e32 v113, 0x2000, v13
	v_add_nc_u32_e32 v114, 0x2200, v13
	v_add_nc_u32_e32 v115, 0x2400, v13
	v_add_nc_u32_e32 v116, 0x2600, v13
	v_writelane_b32 v212, s31, 18
	v_cmp_gt_u32_e64 s31, 0xd0, v3
	v_add_nc_u32_e32 v117, 0x2800, v13
	v_add_nc_u32_e32 v118, 0x2a00, v13
	v_add_nc_u32_e32 v119, 0x2c00, v13
	v_add_nc_u32_e32 v120, 0x2e00, v13
	v_writelane_b32 v212, s31, 19
	v_cmp_gt_u32_e64 s31, 0xc0, v3
	;; [unrolled: 6-line block ×4, first 2 shown]
	v_lshl_add_u32 v128, v42, 9, v13
	v_lshlrev_b32_e32 v13, 4, v42
	v_mad_u32_u24 v202, 0x210, v22, s35
	v_cmp_gt_u32_e64 s35, 32, v12
	v_writelane_b32 v212, s31, 22
	v_cmp_gt_u32_e64 s31, 0x90, v3
	v_add_nc_u32_e32 v129, 0x6000, v13
	v_and_b32_e32 v168, -16, v3
	v_cmp_le_u32_e64 s12, v22, v42
	v_cmp_le_u32_e64 s13, v22, v8
	v_writelane_b32 v212, s31, 23
	v_cmp_gt_u32_e64 s31, 0x80, v3
	v_cmp_gt_u32_e64 s4, 2, v3
	;; [unrolled: 1-line block ×4, first 2 shown]
	v_add_nc_u32_e32 v57, 0x70, v14
	v_writelane_b32 v212, s31, 24
	v_cmp_gt_u32_e64 s31, 0x70, v3
	v_add_nc_u32_e32 v58, 0x4000, v16
	v_add_nc_u32_e32 v81, 0x60, v14
	v_add_nc_u32_e32 v82, 0x50, v14
	v_add_nc_u32_e32 v84, 0x10a0, v14
	v_writelane_b32 v212, s31, 25
	v_cmp_gt_u32_e64 s31, 0x60, v3
	v_add_nc_u32_e32 v85, 0x10b0, v14
	v_add_nc_u32_e32 v86, 0x2140, v14
	v_add_nc_u32_e32 v87, 0x2170, v14
	;; [unrolled: 6-line block ×3, first 2 shown]
	v_dual_add_nc_u32 v130, v10, v13 :: v_dual_sub_nc_u32 v147, 0, v10
	v_writelane_b32 v212, s31, 27
	v_or_b32_e32 v131, 0x100, v10
	v_or_b32_e32 v132, 0x110, v10
	v_or_b32_e32 v133, 0x120, v10
	v_or_b32_e32 v134, 0x130, v10
	v_writelane_b32 v212, s35, 28
	v_cmp_gt_u32_e64 s35, 32, v4
	v_or_b32_e32 v135, 0x140, v10
	v_or_b32_e32 v136, 0x150, v10
	;; [unrolled: 1-line block ×12, first 2 shown]
	v_dual_lshlrev_b32 v149, 4, v11 :: v_dual_bitop2_b32 v174, v69, v70 bitop3:0x54
	v_add_nc_u32_e32 v150, 0x400, v50
	v_add_nc_u32_e32 v151, 0x600, v50
	;; [unrolled: 1-line block ×44, first 2 shown]
	v_lshl_add_u32 v197, v24, 4, 0x6000
	v_lshl_add_u32 v198, v3, 4, 0x4000
	v_add_nc_u32_e32 v199, 0x4000, v45
	v_add_nc_u32_e32 v200, v129, v45
	;; [unrolled: 1-line block ×3, first 2 shown]
	v_mul_u32_u24_e32 v201, 0x210, v22
	v_cmp_gt_u32_e64 s16, 48, v3
	v_cmp_gt_u32_e64 s17, 40, v3
	;; [unrolled: 1-line block ×4, first 2 shown]
	v_cmp_eq_u32_e64 s31, 0, v12
	v_writelane_b32 v212, s35, 29
	v_cmp_eq_u32_e64 s35, 0, v24
	v_cmp_gt_u32_e64 s36, 32, v24
	s_add_co_i32 s92, s92, 1
	s_or_b32 s14, s14, s12
	s_or_b32 s15, s15, s13
	s_lshl_b64 s[50:51], s[50:51], 4
	s_wait_kmcnt 0x0
	s_lshl_b64 s[0:1], s[46:47], 4
                                        ; implicit-def: $vgpr6_vgpr7
                                        ; implicit-def: $vgpr10_vgpr11
	s_branch .LBB192_3
.LBB192_2:                              ;   in Loop: Header=BB192_3 Depth=1
	s_wait_xcnt 0x0
	s_or_b32 exec_lo, exec_lo, s46
	s_add_co_i32 s38, s38, 0x10000
	global_wb scope:SCOPE_DEV
	s_wait_storecnt 0x0
	global_inv scope:SCOPE_DEV
	s_cmp_lt_u32 s38, s37
	s_cbranch_scc0 .LBB192_574
.LBB192_3:                              ; =>This Loop Header: Depth=1
                                        ;     Child Loop BB192_453 Depth 2
                                        ;       Child Loop BB192_455 Depth 3
                                        ;     Child Loop BB192_486 Depth 2
	v_mov_b32_e32 v3, s38
	s_and_not1_b32 vcc_lo, exec_lo, s61
	s_clause 0x1
	global_load_b64 v[4:5], v3, s[48:49] scale_offset
	global_load_b64 v[38:39], v3, s[44:45] scale_offset
	s_wait_loadcnt 0x1
	v_add_nc_u64_e32 v[40:41], s[50:51], v[4:5]
	s_delay_alu instid0(VALU_DEP_1)
	v_lshl_add_u64 v[36:37], v[0:1], 4, v[40:41]
	s_cbranch_vccnz .LBB192_9
; %bb.4:                                ;   in Loop: Header=BB192_3 Depth=1
	v_mov_b64_e32 v[12:13], 0
	v_mov_b64_e32 v[6:7], 0
	v_mov_b64_e32 v[8:9], 0
	v_lshl_add_u64 v[4:5], v[26:27], 4, v[36:37]
	s_wait_loadcnt 0x0
	s_barrier_signal -1
	s_barrier_wait -1
	s_wait_xcnt 0x0
	s_and_saveexec_b32 s46, s21
	s_cbranch_execz .LBB192_6
; %bb.5:                                ;   in Loop: Header=BB192_3 Depth=1
	flat_load_b128 v[6:9], v[4:5]
.LBB192_6:                              ;   in Loop: Header=BB192_3 Depth=1
	s_wait_xcnt 0x0
	s_or_b32 exec_lo, exec_lo, s46
	v_mov_b64_e32 v[10:11], 0
	s_wait_loadcnt_dscnt 0x0
	s_barrier_signal -1
	s_barrier_wait -1
	s_and_saveexec_b32 s46, s20
	s_cbranch_execz .LBB192_8
; %bb.7:                                ;   in Loop: Header=BB192_3 Depth=1
	flat_load_b128 v[10:13], v[4:5] offset:256
.LBB192_8:                              ;   in Loop: Header=BB192_3 Depth=1
	s_wait_xcnt 0x0
	s_or_b32 exec_lo, exec_lo, s46
.LBB192_9:                              ;   in Loop: Header=BB192_3 Depth=1
	s_delay_alu instid0(SALU_CYCLE_1)
	s_and_not1_b32 vcc_lo, exec_lo, s60
	s_mov_b32 s46, -1
	s_cbranch_vccnz .LBB192_16
; %bb.10:                               ;   in Loop: Header=BB192_3 Depth=1
	s_wait_xcnt 0x0
	s_and_saveexec_b32 s46, s12
	s_delay_alu instid0(SALU_CYCLE_1)
	s_xor_b32 s46, exec_lo, s46
	s_cbranch_execnz .LBB192_500
; %bb.11:                               ;   in Loop: Header=BB192_3 Depth=1
	s_and_not1_saveexec_b32 s46, s46
	s_cbranch_execnz .LBB192_511
.LBB192_12:                             ;   in Loop: Header=BB192_3 Depth=1
	s_or_b32 exec_lo, exec_lo, s46
	s_and_saveexec_b32 s46, s13
	s_delay_alu instid0(SALU_CYCLE_1)
	s_xor_b32 s46, exec_lo, s46
	s_cbranch_execnz .LBB192_512
.LBB192_13:                             ;   in Loop: Header=BB192_3 Depth=1
	s_and_not1_saveexec_b32 s46, s46
	s_cbranch_execz .LBB192_15
.LBB192_14:                             ;   in Loop: Header=BB192_3 Depth=1
	v_lshl_add_u64 v[4:5], v[34:35], 4, v[40:41]
	flat_load_b128 v[14:17], v[4:5]
	s_wait_loadcnt_dscnt 0x0
	v_xor_b32_e32 v15, 0x80000000, v15
	ds_store_b128 v149, v[14:17]
.LBB192_15:                             ;   in Loop: Header=BB192_3 Depth=1
	s_or_b32 exec_lo, exec_lo, s46
	s_mov_b32 s46, 0
.LBB192_16:                             ;   in Loop: Header=BB192_3 Depth=1
	s_delay_alu instid0(SALU_CYCLE_1)
	s_and_b32 vcc_lo, exec_lo, s46
	s_cbranch_vccz .LBB192_23
; %bb.17:                               ;   in Loop: Header=BB192_3 Depth=1
	s_wait_xcnt 0x0
	s_and_saveexec_b32 s46, s14
	s_delay_alu instid0(SALU_CYCLE_1)
	s_xor_b32 s46, exec_lo, s46
	s_cbranch_execnz .LBB192_523
; %bb.18:                               ;   in Loop: Header=BB192_3 Depth=1
	s_and_not1_saveexec_b32 s46, s46
	s_cbranch_execnz .LBB192_534
.LBB192_19:                             ;   in Loop: Header=BB192_3 Depth=1
	s_or_b32 exec_lo, exec_lo, s46
	s_and_saveexec_b32 s46, s15
	s_delay_alu instid0(SALU_CYCLE_1)
	s_xor_b32 s46, exec_lo, s46
	s_cbranch_execnz .LBB192_535
.LBB192_20:                             ;   in Loop: Header=BB192_3 Depth=1
	s_and_not1_saveexec_b32 s46, s46
	s_cbranch_execz .LBB192_22
.LBB192_21:                             ;   in Loop: Header=BB192_3 Depth=1
	v_lshl_add_u64 v[4:5], v[34:35], 4, v[40:41]
	flat_load_b128 v[14:17], v[4:5]
	s_wait_loadcnt_dscnt 0x0
	v_xor_b32_e32 v15, 0x80000000, v15
	ds_store_b128 v149, v[14:17]
.LBB192_22:                             ;   in Loop: Header=BB192_3 Depth=1
	s_or_b32 exec_lo, exec_lo, s46
.LBB192_23:                             ;   in Loop: Header=BB192_3 Depth=1
	s_delay_alu instid0(SALU_CYCLE_1)
	s_and_not1_b32 vcc_lo, exec_lo, s62
	s_wait_loadcnt_dscnt 0x0
	s_barrier_signal -1
	s_barrier_wait -1
	s_cbranch_vccnz .LBB192_447
; %bb.24:                               ;   in Loop: Header=BB192_3 Depth=1
	s_wait_xcnt 0x0
	s_and_saveexec_b32 s46, s31
	s_cbranch_execz .LBB192_26
; %bb.25:                               ;   in Loop: Header=BB192_3 Depth=1
	ds_load_b128 v[14:17], v2 offset:528
	ds_load_b128 v[18:21], v2
	s_wait_dscnt 0x0
	v_mul_f64_e32 v[4:5], v[14:15], v[20:21]
	v_mul_f64_e32 v[20:21], v[16:17], v[20:21]
	s_delay_alu instid0(VALU_DEP_2) | instskip(NEXT) | instid1(VALU_DEP_2)
	v_fmac_f64_e32 v[4:5], v[16:17], v[18:19]
	v_fma_f64 v[20:21], v[14:15], v[18:19], -v[20:21]
	ds_load_b128 v[14:17], v2 offset:16
	s_wait_dscnt 0x0
	v_mul_f64_e32 v[40:41], v[4:5], v[16:17]
	v_mul_f64_e32 v[18:19], v[20:21], v[16:17]
	s_delay_alu instid0(VALU_DEP_2) | instskip(NEXT) | instid1(VALU_DEP_2)
	v_fma_f64 v[16:17], v[14:15], v[20:21], -v[40:41]
	v_fmac_f64_e32 v[18:19], v[14:15], v[4:5]
	ds_store_b128 v2, v[16:19] offset:16
	ds_store_b128 v2, v[16:19] offset:512
.LBB192_26:                             ;   in Loop: Header=BB192_3 Depth=1
	s_or_b32 exec_lo, exec_lo, s46
	v_mov_b64_e32 v[16:17], 0
	v_mov_b64_e32 v[14:15], 0
	s_wait_dscnt 0x0
	s_barrier_signal -1
	s_barrier_wait -1
	s_and_saveexec_b32 s46, s3
	s_cbranch_execz .LBB192_30
; %bb.27:                               ;   in Loop: Header=BB192_3 Depth=1
	ds_load_b128 v[14:17], v44
	ds_load_b128 v[18:21], v43 offset:32
	s_wait_dscnt 0x0
	v_mul_f64_e32 v[4:5], v[16:17], v[20:21]
	v_mul_f64_e32 v[20:21], v[14:15], v[20:21]
	s_delay_alu instid0(VALU_DEP_2) | instskip(NEXT) | instid1(VALU_DEP_2)
	v_fma_f64 v[4:5], v[14:15], v[18:19], -v[4:5]
	v_fmac_f64_e32 v[20:21], v[16:17], v[18:19]
	s_delay_alu instid0(VALU_DEP_2) | instskip(NEXT) | instid1(VALU_DEP_2)
	v_add_f64_e32 v[14:15], 0, v[4:5]
	v_add_f64_e32 v[16:17], 0, v[20:21]
	s_and_saveexec_b32 s47, s4
	s_cbranch_execz .LBB192_29
; %bb.28:                               ;   in Loop: Header=BB192_3 Depth=1
	ds_load_b128 v[18:21], v2 offset:16
	ds_load_b128 v[204:207], v45 offset:544
	s_wait_dscnt 0x0
	v_mul_f64_e32 v[4:5], v[20:21], v[206:207]
	s_delay_alu instid0(VALU_DEP_1) | instskip(SKIP_1) | instid1(VALU_DEP_2)
	v_fma_f64 v[4:5], v[18:19], v[204:205], -v[4:5]
	v_mul_f64_e32 v[18:19], v[18:19], v[206:207]
	v_add_f64_e32 v[14:15], v[14:15], v[4:5]
	s_delay_alu instid0(VALU_DEP_2) | instskip(NEXT) | instid1(VALU_DEP_1)
	v_fmac_f64_e32 v[18:19], v[20:21], v[204:205]
	v_add_f64_e32 v[16:17], v[16:17], v[18:19]
.LBB192_29:                             ;   in Loop: Header=BB192_3 Depth=1
	s_or_b32 exec_lo, exec_lo, s47
	s_delay_alu instid0(VALU_DEP_2) | instskip(NEXT) | instid1(VALU_DEP_2)
	v_xor_b32_e32 v15, 0x80000000, v15
	v_xor_b32_e32 v17, 0x80000000, v17
.LBB192_30:                             ;   in Loop: Header=BB192_3 Depth=1
	s_or_b32 exec_lo, exec_lo, s46
	s_and_saveexec_b32 s46, s63
	s_cbranch_execz .LBB192_32
; %bb.31:                               ;   in Loop: Header=BB192_3 Depth=1
	ds_load_b128 v[18:21], v2 offset:1056
	s_wait_dscnt 0x0
	v_mul_f64_e32 v[4:5], v[16:17], v[20:21]
	v_mul_f64_e32 v[206:207], v[14:15], v[20:21]
	s_delay_alu instid0(VALU_DEP_2) | instskip(NEXT) | instid1(VALU_DEP_2)
	v_fma_f64 v[204:205], v[14:15], v[18:19], -v[4:5]
	v_fmac_f64_e32 v[206:207], v[16:17], v[18:19]
	s_delay_alu instid0(VALU_DEP_2) | instskip(NEXT) | instid1(VALU_DEP_2)
	v_mov_b64_e32 v[14:15], v[204:205]
	v_mov_b64_e32 v[16:17], v[206:207]
	ds_store_b128 v23, v[204:207]
.LBB192_32:                             ;   in Loop: Header=BB192_3 Depth=1
	s_or_b32 exec_lo, exec_lo, s46
	s_wait_dscnt 0x0
	s_barrier_signal -1
	s_barrier_wait -1
	s_and_saveexec_b32 s46, s64
	s_cbranch_execz .LBB192_34
; %bb.33:                               ;   in Loop: Header=BB192_3 Depth=1
	ds_load_b128 v[18:21], v23
	ds_load_b128 v[204:207], v2 offset:1072
	s_wait_dscnt 0x0
	v_mul_f64_e32 v[4:5], v[20:21], v[206:207]
	s_delay_alu instid0(VALU_DEP_1) | instskip(SKIP_1) | instid1(VALU_DEP_2)
	v_fma_f64 v[4:5], v[18:19], v[204:205], -v[4:5]
	v_mul_f64_e32 v[18:19], v[18:19], v[206:207]
	v_add_f64_e32 v[14:15], v[14:15], v[4:5]
	s_delay_alu instid0(VALU_DEP_2) | instskip(NEXT) | instid1(VALU_DEP_1)
	v_fmac_f64_e32 v[18:19], v[20:21], v[204:205]
	v_add_f64_e32 v[16:17], v[16:17], v[18:19]
.LBB192_34:                             ;   in Loop: Header=BB192_3 Depth=1
	s_or_b32 exec_lo, exec_lo, s46
	s_barrier_signal -1
	s_barrier_wait -1
	s_and_saveexec_b32 s46, s64
	s_cbranch_execz .LBB192_36
; %bb.35:                               ;   in Loop: Header=BB192_3 Depth=1
	ds_load_b128 v[18:21], v2 offset:1584
	s_wait_dscnt 0x0
	v_mul_f64_e32 v[4:5], v[16:17], v[20:21]
	v_mul_f64_e32 v[206:207], v[14:15], v[20:21]
	s_delay_alu instid0(VALU_DEP_2) | instskip(NEXT) | instid1(VALU_DEP_2)
	v_fma_f64 v[204:205], v[14:15], v[18:19], -v[4:5]
	v_fmac_f64_e32 v[206:207], v[16:17], v[18:19]
	s_delay_alu instid0(VALU_DEP_2) | instskip(NEXT) | instid1(VALU_DEP_2)
	v_mov_b64_e32 v[14:15], v[204:205]
	v_mov_b64_e32 v[16:17], v[206:207]
	ds_store_b128 v23, v[204:207]
.LBB192_36:                             ;   in Loop: Header=BB192_3 Depth=1
	s_or_b32 exec_lo, exec_lo, s46
	s_wait_dscnt 0x0
	s_barrier_signal -1
	s_barrier_wait -1
	s_barrier_signal -1
	s_barrier_wait -1
	s_and_saveexec_b32 s46, s3
; %bb.37:                               ;   in Loop: Header=BB192_3 Depth=1
	s_delay_alu instid0(VALU_DEP_3) | instskip(NEXT) | instid1(VALU_DEP_2)
	v_xor_b32_e32 v15, 0x80000000, v15
	v_xor_b32_e32 v17, 0x80000000, v17
	ds_store_b128 v43, v[14:17] offset:32
; %bb.38:                               ;   in Loop: Header=BB192_3 Depth=1
	s_or_b32 exec_lo, exec_lo, s46
	s_wait_dscnt 0x0
	s_barrier_signal -1
	s_barrier_wait -1
	s_barrier_signal -1
	s_barrier_wait -1
	s_and_saveexec_b32 s46, s65
	s_cbranch_execz .LBB192_40
; %bb.39:                               ;   in Loop: Header=BB192_3 Depth=1
	ds_load_b128 v[14:17], v46
	s_wait_dscnt 0x0
	ds_store_b128 v150, v[14:17]
	ds_load_b128 v[14:17], v48
	s_wait_dscnt 0x0
	ds_store_b128 v151, v[14:17]
.LBB192_40:                             ;   in Loop: Header=BB192_3 Depth=1
	s_or_b32 exec_lo, exec_lo, s46
	s_wait_dscnt 0x0
	s_barrier_signal -1
	s_barrier_wait -1
	s_and_saveexec_b32 s46, s31
	s_cbranch_execz .LBB192_42
; %bb.41:                               ;   in Loop: Header=BB192_3 Depth=1
	ds_load_b128 v[14:17], v2 offset:1584
	ds_load_b128 v[18:21], v2 offset:1056
	s_wait_dscnt 0x0
	v_mul_f64_e32 v[4:5], v[14:15], v[20:21]
	v_mul_f64_e32 v[20:21], v[16:17], v[20:21]
	s_delay_alu instid0(VALU_DEP_2) | instskip(NEXT) | instid1(VALU_DEP_2)
	v_fmac_f64_e32 v[4:5], v[16:17], v[18:19]
	v_fma_f64 v[20:21], v[14:15], v[18:19], -v[20:21]
	ds_load_b128 v[14:17], v2 offset:1072
	s_wait_dscnt 0x0
	v_mul_f64_e32 v[40:41], v[4:5], v[16:17]
	v_mul_f64_e32 v[18:19], v[20:21], v[16:17]
	s_delay_alu instid0(VALU_DEP_2) | instskip(NEXT) | instid1(VALU_DEP_2)
	v_fma_f64 v[16:17], v[14:15], v[20:21], -v[40:41]
	v_fmac_f64_e32 v[18:19], v[14:15], v[4:5]
	ds_store_b128 v2, v[16:19] offset:1072
	ds_store_b128 v2, v[16:19] offset:1568
.LBB192_42:                             ;   in Loop: Header=BB192_3 Depth=1
	s_or_b32 exec_lo, exec_lo, s46
	v_mov_b64_e32 v[16:17], 0
	v_mov_b64_e32 v[14:15], 0
	s_wait_dscnt 0x0
	s_barrier_signal -1
	s_barrier_wait -1
	s_and_saveexec_b32 s46, s6
	s_cbranch_execz .LBB192_48
; %bb.43:                               ;   in Loop: Header=BB192_3 Depth=1
	ds_load_b128 v[14:17], v47
	ds_load_b128 v[18:21], v52 offset:64
	s_wait_dscnt 0x0
	v_mul_f64_e32 v[4:5], v[16:17], v[20:21]
	v_mul_f64_e32 v[20:21], v[14:15], v[20:21]
	s_delay_alu instid0(VALU_DEP_2) | instskip(NEXT) | instid1(VALU_DEP_2)
	v_fma_f64 v[4:5], v[14:15], v[18:19], -v[4:5]
	v_fmac_f64_e32 v[20:21], v[16:17], v[18:19]
	s_delay_alu instid0(VALU_DEP_2) | instskip(NEXT) | instid1(VALU_DEP_2)
	v_add_f64_e32 v[14:15], 0, v[4:5]
	v_add_f64_e32 v[16:17], 0, v[20:21]
	s_and_saveexec_b32 s47, s7
	s_cbranch_execnz .LBB192_550
; %bb.44:                               ;   in Loop: Header=BB192_3 Depth=1
	s_or_b32 exec_lo, exec_lo, s47
	s_and_saveexec_b32 s47, s8
	s_cbranch_execnz .LBB192_551
.LBB192_45:                             ;   in Loop: Header=BB192_3 Depth=1
	s_or_b32 exec_lo, exec_lo, s47
	s_and_saveexec_b32 s47, s3
	s_cbranch_execz .LBB192_47
.LBB192_46:                             ;   in Loop: Header=BB192_3 Depth=1
	ds_load_b128 v[18:21], v2 offset:48
	ds_load_b128 v[204:207], v50 offset:1600
	s_wait_dscnt 0x0
	v_mul_f64_e32 v[4:5], v[20:21], v[206:207]
	s_delay_alu instid0(VALU_DEP_1) | instskip(SKIP_1) | instid1(VALU_DEP_2)
	v_fma_f64 v[4:5], v[18:19], v[204:205], -v[4:5]
	v_mul_f64_e32 v[18:19], v[18:19], v[206:207]
	v_add_f64_e32 v[14:15], v[14:15], v[4:5]
	s_delay_alu instid0(VALU_DEP_2) | instskip(NEXT) | instid1(VALU_DEP_1)
	v_fmac_f64_e32 v[18:19], v[20:21], v[204:205]
	v_add_f64_e32 v[16:17], v[16:17], v[18:19]
.LBB192_47:                             ;   in Loop: Header=BB192_3 Depth=1
	s_or_b32 exec_lo, exec_lo, s47
	s_delay_alu instid0(VALU_DEP_2) | instskip(NEXT) | instid1(VALU_DEP_2)
	v_xor_b32_e32 v15, 0x80000000, v15
	v_xor_b32_e32 v17, 0x80000000, v17
.LBB192_48:                             ;   in Loop: Header=BB192_3 Depth=1
	s_or_b32 exec_lo, exec_lo, s46
	s_and_saveexec_b32 s46, s66
	s_cbranch_execz .LBB192_50
; %bb.49:                               ;   in Loop: Header=BB192_3 Depth=1
	ds_load_b128 v[18:21], v2 offset:2112
	s_wait_dscnt 0x0
	v_mul_f64_e32 v[4:5], v[16:17], v[20:21]
	v_mul_f64_e32 v[206:207], v[14:15], v[20:21]
	s_delay_alu instid0(VALU_DEP_2) | instskip(NEXT) | instid1(VALU_DEP_2)
	v_fma_f64 v[204:205], v[14:15], v[18:19], -v[4:5]
	v_fmac_f64_e32 v[206:207], v[16:17], v[18:19]
	s_delay_alu instid0(VALU_DEP_2) | instskip(NEXT) | instid1(VALU_DEP_2)
	v_mov_b64_e32 v[14:15], v[204:205]
	v_mov_b64_e32 v[16:17], v[206:207]
	ds_store_b128 v51, v[204:207]
.LBB192_50:                             ;   in Loop: Header=BB192_3 Depth=1
	s_or_b32 exec_lo, exec_lo, s46
	s_wait_dscnt 0x0
	s_barrier_signal -1
	s_barrier_wait -1
	s_and_saveexec_b32 s46, s67
	s_cbranch_execz .LBB192_52
; %bb.51:                               ;   in Loop: Header=BB192_3 Depth=1
	ds_load_b128 v[18:21], v51
	ds_load_b128 v[204:207], v49 offset:2112
	s_wait_dscnt 0x0
	v_mul_f64_e32 v[4:5], v[20:21], v[206:207]
	s_delay_alu instid0(VALU_DEP_1) | instskip(SKIP_1) | instid1(VALU_DEP_2)
	v_fma_f64 v[4:5], v[18:19], v[204:205], -v[4:5]
	v_mul_f64_e32 v[18:19], v[18:19], v[206:207]
	v_add_f64_e32 v[14:15], v[14:15], v[4:5]
	s_delay_alu instid0(VALU_DEP_2) | instskip(NEXT) | instid1(VALU_DEP_1)
	v_fmac_f64_e32 v[18:19], v[20:21], v[204:205]
	v_add_f64_e32 v[16:17], v[16:17], v[18:19]
.LBB192_52:                             ;   in Loop: Header=BB192_3 Depth=1
	s_or_b32 exec_lo, exec_lo, s46
	s_barrier_signal -1
	s_barrier_wait -1
	s_and_saveexec_b32 s46, s68
	s_cbranch_execz .LBB192_54
; %bb.53:                               ;   in Loop: Header=BB192_3 Depth=1
	ds_load_b128 v[18:21], v2 offset:2640
	s_wait_dscnt 0x0
	v_mul_f64_e32 v[4:5], v[16:17], v[20:21]
	v_mul_f64_e32 v[206:207], v[14:15], v[20:21]
	s_delay_alu instid0(VALU_DEP_2) | instskip(NEXT) | instid1(VALU_DEP_2)
	v_fma_f64 v[204:205], v[14:15], v[18:19], -v[4:5]
	v_fmac_f64_e32 v[206:207], v[16:17], v[18:19]
	s_delay_alu instid0(VALU_DEP_2) | instskip(NEXT) | instid1(VALU_DEP_2)
	v_mov_b64_e32 v[14:15], v[204:205]
	v_mov_b64_e32 v[16:17], v[206:207]
	ds_store_b128 v51, v[204:207]
.LBB192_54:                             ;   in Loop: Header=BB192_3 Depth=1
	s_or_b32 exec_lo, exec_lo, s46
	s_wait_dscnt 0x0
	s_barrier_signal -1
	s_barrier_wait -1
	s_and_saveexec_b32 s46, s69
	s_cbranch_execz .LBB192_56
; %bb.55:                               ;   in Loop: Header=BB192_3 Depth=1
	ds_load_b128 v[18:21], v51
	ds_load_b128 v[204:207], v49 offset:2624
	s_wait_dscnt 0x0
	v_mul_f64_e32 v[4:5], v[20:21], v[206:207]
	s_delay_alu instid0(VALU_DEP_1) | instskip(SKIP_1) | instid1(VALU_DEP_2)
	v_fma_f64 v[4:5], v[18:19], v[204:205], -v[4:5]
	v_mul_f64_e32 v[18:19], v[18:19], v[206:207]
	v_add_f64_e32 v[14:15], v[14:15], v[4:5]
	s_delay_alu instid0(VALU_DEP_2) | instskip(NEXT) | instid1(VALU_DEP_1)
	v_fmac_f64_e32 v[18:19], v[20:21], v[204:205]
	v_add_f64_e32 v[16:17], v[16:17], v[18:19]
.LBB192_56:                             ;   in Loop: Header=BB192_3 Depth=1
	s_or_b32 exec_lo, exec_lo, s46
	s_barrier_signal -1
	s_barrier_wait -1
	;; [unrolled: 37-line block ×3, first 2 shown]
	s_and_saveexec_b32 s46, s71
	s_cbranch_execz .LBB192_62
; %bb.61:                               ;   in Loop: Header=BB192_3 Depth=1
	ds_load_b128 v[18:21], v2 offset:3696
	s_wait_dscnt 0x0
	v_mul_f64_e32 v[4:5], v[16:17], v[20:21]
	v_mul_f64_e32 v[206:207], v[14:15], v[20:21]
	s_delay_alu instid0(VALU_DEP_2) | instskip(NEXT) | instid1(VALU_DEP_2)
	v_fma_f64 v[204:205], v[14:15], v[18:19], -v[4:5]
	v_fmac_f64_e32 v[206:207], v[16:17], v[18:19]
	s_delay_alu instid0(VALU_DEP_2) | instskip(NEXT) | instid1(VALU_DEP_2)
	v_mov_b64_e32 v[14:15], v[204:205]
	v_mov_b64_e32 v[16:17], v[206:207]
	ds_store_b128 v51, v[204:207]
.LBB192_62:                             ;   in Loop: Header=BB192_3 Depth=1
	s_or_b32 exec_lo, exec_lo, s46
	s_wait_dscnt 0x0
	s_barrier_signal -1
	s_barrier_wait -1
	s_barrier_signal -1
	s_barrier_wait -1
	s_and_saveexec_b32 s46, s6
; %bb.63:                               ;   in Loop: Header=BB192_3 Depth=1
	s_delay_alu instid0(VALU_DEP_1) | instskip(NEXT) | instid1(VALU_DEP_4)
	v_xor_b32_e32 v17, 0x80000000, v17
	v_xor_b32_e32 v15, 0x80000000, v15
	ds_store_b128 v52, v[14:17] offset:64
; %bb.64:                               ;   in Loop: Header=BB192_3 Depth=1
	s_or_b32 exec_lo, exec_lo, s46
	s_wait_dscnt 0x0
	s_barrier_signal -1
	s_barrier_wait -1
	s_barrier_signal -1
	s_barrier_wait -1
	s_and_saveexec_b32 s46, s72
	s_cbranch_execz .LBB192_66
; %bb.65:                               ;   in Loop: Header=BB192_3 Depth=1
	ds_load_b128 v[14:17], v55
	s_wait_dscnt 0x0
	ds_store_b128 v152, v[14:17]
	ds_load_b128 v[14:17], v82
	s_wait_dscnt 0x0
	ds_store_b128 v155, v[14:17]
	;; [unrolled: 3-line block ×4, first 2 shown]
.LBB192_66:                             ;   in Loop: Header=BB192_3 Depth=1
	s_or_b32 exec_lo, exec_lo, s46
	s_wait_dscnt 0x0
	s_barrier_signal -1
	s_barrier_wait -1
	s_and_saveexec_b32 s46, s31
	s_cbranch_execz .LBB192_68
; %bb.67:                               ;   in Loop: Header=BB192_3 Depth=1
	ds_load_b128 v[14:17], v2 offset:2640
	ds_load_b128 v[18:21], v2 offset:2112
	s_wait_dscnt 0x0
	v_mul_f64_e32 v[4:5], v[14:15], v[20:21]
	v_mul_f64_e32 v[20:21], v[16:17], v[20:21]
	s_delay_alu instid0(VALU_DEP_2) | instskip(NEXT) | instid1(VALU_DEP_2)
	v_fmac_f64_e32 v[4:5], v[16:17], v[18:19]
	v_fma_f64 v[20:21], v[14:15], v[18:19], -v[20:21]
	ds_load_b128 v[14:17], v2 offset:2128
	s_wait_dscnt 0x0
	v_mul_f64_e32 v[40:41], v[4:5], v[16:17]
	v_mul_f64_e32 v[18:19], v[20:21], v[16:17]
	s_delay_alu instid0(VALU_DEP_2) | instskip(NEXT) | instid1(VALU_DEP_2)
	v_fma_f64 v[16:17], v[14:15], v[20:21], -v[40:41]
	v_fmac_f64_e32 v[18:19], v[14:15], v[4:5]
	ds_store_b128 v2, v[16:19] offset:2128
	ds_store_b128 v2, v[16:19] offset:2624
.LBB192_68:                             ;   in Loop: Header=BB192_3 Depth=1
	s_or_b32 exec_lo, exec_lo, s46
	v_mov_b64_e32 v[16:17], 0
	v_mov_b64_e32 v[14:15], 0
	s_wait_dscnt 0x0
	s_barrier_signal -1
	s_barrier_wait -1
	s_and_saveexec_b32 s46, s3
	s_cbranch_execz .LBB192_72
; %bb.69:                               ;   in Loop: Header=BB192_3 Depth=1
	ds_load_b128 v[14:17], v44 offset:2112
	ds_load_b128 v[18:21], v43 offset:2144
	s_wait_dscnt 0x0
	v_mul_f64_e32 v[4:5], v[16:17], v[20:21]
	v_mul_f64_e32 v[20:21], v[14:15], v[20:21]
	s_delay_alu instid0(VALU_DEP_2) | instskip(NEXT) | instid1(VALU_DEP_2)
	v_fma_f64 v[4:5], v[14:15], v[18:19], -v[4:5]
	v_fmac_f64_e32 v[20:21], v[16:17], v[18:19]
	s_delay_alu instid0(VALU_DEP_2) | instskip(NEXT) | instid1(VALU_DEP_2)
	v_add_f64_e32 v[14:15], 0, v[4:5]
	v_add_f64_e32 v[16:17], 0, v[20:21]
	s_and_saveexec_b32 s47, s4
	s_cbranch_execz .LBB192_71
; %bb.70:                               ;   in Loop: Header=BB192_3 Depth=1
	ds_load_b128 v[18:21], v2 offset:2128
	ds_load_b128 v[204:207], v83 offset:2656
	s_wait_dscnt 0x0
	v_mul_f64_e32 v[4:5], v[20:21], v[206:207]
	s_delay_alu instid0(VALU_DEP_1) | instskip(SKIP_1) | instid1(VALU_DEP_2)
	v_fma_f64 v[4:5], v[18:19], v[204:205], -v[4:5]
	v_mul_f64_e32 v[18:19], v[18:19], v[206:207]
	v_add_f64_e32 v[14:15], v[14:15], v[4:5]
	s_delay_alu instid0(VALU_DEP_2) | instskip(NEXT) | instid1(VALU_DEP_1)
	v_fmac_f64_e32 v[18:19], v[20:21], v[204:205]
	v_add_f64_e32 v[16:17], v[16:17], v[18:19]
.LBB192_71:                             ;   in Loop: Header=BB192_3 Depth=1
	s_or_b32 exec_lo, exec_lo, s47
	s_delay_alu instid0(VALU_DEP_2) | instskip(NEXT) | instid1(VALU_DEP_2)
	v_xor_b32_e32 v15, 0x80000000, v15
	v_xor_b32_e32 v17, 0x80000000, v17
.LBB192_72:                             ;   in Loop: Header=BB192_3 Depth=1
	s_or_b32 exec_lo, exec_lo, s46
	s_and_saveexec_b32 s46, s63
	s_cbranch_execz .LBB192_74
; %bb.73:                               ;   in Loop: Header=BB192_3 Depth=1
	ds_load_b128 v[18:21], v2 offset:3168
	s_wait_dscnt 0x0
	v_mul_f64_e32 v[4:5], v[16:17], v[20:21]
	v_mul_f64_e32 v[206:207], v[14:15], v[20:21]
	s_delay_alu instid0(VALU_DEP_2) | instskip(NEXT) | instid1(VALU_DEP_2)
	v_fma_f64 v[204:205], v[14:15], v[18:19], -v[4:5]
	v_fmac_f64_e32 v[206:207], v[16:17], v[18:19]
	s_delay_alu instid0(VALU_DEP_2) | instskip(NEXT) | instid1(VALU_DEP_2)
	v_mov_b64_e32 v[14:15], v[204:205]
	v_mov_b64_e32 v[16:17], v[206:207]
	ds_store_b128 v23, v[204:207]
.LBB192_74:                             ;   in Loop: Header=BB192_3 Depth=1
	s_or_b32 exec_lo, exec_lo, s46
	s_wait_dscnt 0x0
	s_barrier_signal -1
	s_barrier_wait -1
	s_and_saveexec_b32 s46, s64
	s_cbranch_execz .LBB192_76
; %bb.75:                               ;   in Loop: Header=BB192_3 Depth=1
	ds_load_b128 v[18:21], v23
	ds_load_b128 v[204:207], v2 offset:3184
	s_wait_dscnt 0x0
	v_mul_f64_e32 v[4:5], v[20:21], v[206:207]
	s_delay_alu instid0(VALU_DEP_1) | instskip(SKIP_1) | instid1(VALU_DEP_2)
	v_fma_f64 v[4:5], v[18:19], v[204:205], -v[4:5]
	v_mul_f64_e32 v[18:19], v[18:19], v[206:207]
	v_add_f64_e32 v[14:15], v[14:15], v[4:5]
	s_delay_alu instid0(VALU_DEP_2) | instskip(NEXT) | instid1(VALU_DEP_1)
	v_fmac_f64_e32 v[18:19], v[20:21], v[204:205]
	v_add_f64_e32 v[16:17], v[16:17], v[18:19]
.LBB192_76:                             ;   in Loop: Header=BB192_3 Depth=1
	s_or_b32 exec_lo, exec_lo, s46
	s_barrier_signal -1
	s_barrier_wait -1
	s_and_saveexec_b32 s46, s64
	s_cbranch_execz .LBB192_78
; %bb.77:                               ;   in Loop: Header=BB192_3 Depth=1
	ds_load_b128 v[18:21], v2 offset:3696
	s_wait_dscnt 0x0
	v_mul_f64_e32 v[4:5], v[16:17], v[20:21]
	v_mul_f64_e32 v[206:207], v[14:15], v[20:21]
	s_delay_alu instid0(VALU_DEP_2) | instskip(NEXT) | instid1(VALU_DEP_2)
	v_fma_f64 v[204:205], v[14:15], v[18:19], -v[4:5]
	v_fmac_f64_e32 v[206:207], v[16:17], v[18:19]
	s_delay_alu instid0(VALU_DEP_2) | instskip(NEXT) | instid1(VALU_DEP_2)
	v_mov_b64_e32 v[14:15], v[204:205]
	v_mov_b64_e32 v[16:17], v[206:207]
	ds_store_b128 v23, v[204:207]
.LBB192_78:                             ;   in Loop: Header=BB192_3 Depth=1
	s_or_b32 exec_lo, exec_lo, s46
	s_wait_dscnt 0x0
	s_barrier_signal -1
	s_barrier_wait -1
	s_barrier_signal -1
	s_barrier_wait -1
	s_and_saveexec_b32 s46, s3
; %bb.79:                               ;   in Loop: Header=BB192_3 Depth=1
	s_delay_alu instid0(VALU_DEP_3) | instskip(NEXT) | instid1(VALU_DEP_2)
	v_xor_b32_e32 v15, 0x80000000, v15
	v_xor_b32_e32 v17, 0x80000000, v17
	ds_store_b128 v43, v[14:17] offset:2144
; %bb.80:                               ;   in Loop: Header=BB192_3 Depth=1
	s_or_b32 exec_lo, exec_lo, s46
	s_wait_dscnt 0x0
	s_barrier_signal -1
	s_barrier_wait -1
	s_barrier_signal -1
	s_barrier_wait -1
	s_and_saveexec_b32 s46, s65
	s_cbranch_execz .LBB192_82
; %bb.81:                               ;   in Loop: Header=BB192_3 Depth=1
	ds_load_b128 v[14:17], v92
	s_wait_dscnt 0x0
	ds_store_b128 v156, v[14:17]
	ds_load_b128 v[14:17], v93
	s_wait_dscnt 0x0
	ds_store_b128 v157, v[14:17]
.LBB192_82:                             ;   in Loop: Header=BB192_3 Depth=1
	s_or_b32 exec_lo, exec_lo, s46
	s_wait_dscnt 0x0
	s_barrier_signal -1
	s_barrier_wait -1
	s_and_saveexec_b32 s46, s31
	s_cbranch_execz .LBB192_84
; %bb.83:                               ;   in Loop: Header=BB192_3 Depth=1
	ds_load_b128 v[14:17], v2 offset:3696
	ds_load_b128 v[18:21], v2 offset:3168
	s_wait_dscnt 0x0
	v_mul_f64_e32 v[4:5], v[14:15], v[20:21]
	v_mul_f64_e32 v[20:21], v[16:17], v[20:21]
	s_delay_alu instid0(VALU_DEP_2) | instskip(NEXT) | instid1(VALU_DEP_2)
	v_fmac_f64_e32 v[4:5], v[16:17], v[18:19]
	v_fma_f64 v[20:21], v[14:15], v[18:19], -v[20:21]
	ds_load_b128 v[14:17], v2 offset:3184
	s_wait_dscnt 0x0
	v_mul_f64_e32 v[40:41], v[4:5], v[16:17]
	v_mul_f64_e32 v[18:19], v[20:21], v[16:17]
	s_delay_alu instid0(VALU_DEP_2) | instskip(NEXT) | instid1(VALU_DEP_2)
	v_fma_f64 v[16:17], v[14:15], v[20:21], -v[40:41]
	v_fmac_f64_e32 v[18:19], v[14:15], v[4:5]
	ds_store_b128 v2, v[16:19] offset:3184
	ds_store_b128 v2, v[16:19] offset:3680
.LBB192_84:                             ;   in Loop: Header=BB192_3 Depth=1
	s_or_b32 exec_lo, exec_lo, s46
	v_mov_b64_e32 v[16:17], 0
	v_mov_b64_e32 v[14:15], 0
	s_wait_dscnt 0x0
	s_barrier_signal -1
	s_barrier_wait -1
	s_and_saveexec_b32 s46, s9
	s_cbranch_execz .LBB192_94
; %bb.85:                               ;   in Loop: Header=BB192_3 Depth=1
	ds_load_b128 v[14:17], v54
	ds_load_b128 v[18:21], v59 offset:128
	s_wait_dscnt 0x0
	v_mul_f64_e32 v[4:5], v[16:17], v[20:21]
	v_mul_f64_e32 v[20:21], v[14:15], v[20:21]
	s_delay_alu instid0(VALU_DEP_2) | instskip(NEXT) | instid1(VALU_DEP_2)
	v_fma_f64 v[4:5], v[14:15], v[18:19], -v[4:5]
	v_fmac_f64_e32 v[20:21], v[16:17], v[18:19]
	s_delay_alu instid0(VALU_DEP_2) | instskip(NEXT) | instid1(VALU_DEP_2)
	v_add_f64_e32 v[14:15], 0, v[4:5]
	v_add_f64_e32 v[16:17], 0, v[20:21]
	s_mov_b32 s47, exec_lo
	v_readlane_b32 s93, v212, 0
	s_and_b32 s93, s47, s93
	s_delay_alu instid0(SALU_CYCLE_1)
	s_mov_b32 exec_lo, s93
	s_cbranch_execnz .LBB192_552
; %bb.86:                               ;   in Loop: Header=BB192_3 Depth=1
	s_or_b32 exec_lo, exec_lo, s47
	s_and_saveexec_b32 s47, s16
	s_cbranch_execnz .LBB192_553
.LBB192_87:                             ;   in Loop: Header=BB192_3 Depth=1
	s_or_b32 exec_lo, exec_lo, s47
	s_and_saveexec_b32 s47, s17
	s_cbranch_execnz .LBB192_554
.LBB192_88:                             ;   in Loop: Header=BB192_3 Depth=1
	s_or_b32 exec_lo, exec_lo, s47
	s_and_saveexec_b32 s47, s18
	s_cbranch_execnz .LBB192_555
.LBB192_89:                             ;   in Loop: Header=BB192_3 Depth=1
	s_or_b32 exec_lo, exec_lo, s47
	s_and_saveexec_b32 s47, s19
	s_cbranch_execnz .LBB192_556
.LBB192_90:                             ;   in Loop: Header=BB192_3 Depth=1
	s_or_b32 exec_lo, exec_lo, s47
	s_and_saveexec_b32 s47, s6
	s_cbranch_execnz .LBB192_557
.LBB192_91:                             ;   in Loop: Header=BB192_3 Depth=1
	s_or_b32 exec_lo, exec_lo, s47
	s_and_saveexec_b32 s47, s8
	s_cbranch_execz .LBB192_93
.LBB192_92:                             ;   in Loop: Header=BB192_3 Depth=1
	ds_load_b128 v[18:21], v2 offset:112
	ds_load_b128 v[204:207], v45 offset:3712
	s_wait_dscnt 0x0
	v_mul_f64_e32 v[4:5], v[20:21], v[206:207]
	s_delay_alu instid0(VALU_DEP_1) | instskip(SKIP_1) | instid1(VALU_DEP_2)
	v_fma_f64 v[4:5], v[18:19], v[204:205], -v[4:5]
	v_mul_f64_e32 v[18:19], v[18:19], v[206:207]
	v_add_f64_e32 v[14:15], v[14:15], v[4:5]
	s_delay_alu instid0(VALU_DEP_2) | instskip(NEXT) | instid1(VALU_DEP_1)
	v_fmac_f64_e32 v[18:19], v[20:21], v[204:205]
	v_add_f64_e32 v[16:17], v[16:17], v[18:19]
.LBB192_93:                             ;   in Loop: Header=BB192_3 Depth=1
	s_or_b32 exec_lo, exec_lo, s47
	s_delay_alu instid0(VALU_DEP_3) | instskip(NEXT) | instid1(VALU_DEP_2)
	v_xor_b32_e32 v15, 0x80000000, v15
	v_xor_b32_e32 v17, 0x80000000, v17
.LBB192_94:                             ;   in Loop: Header=BB192_3 Depth=1
	s_or_b32 exec_lo, exec_lo, s46
	s_and_saveexec_b32 s46, s73
	s_cbranch_execz .LBB192_96
; %bb.95:                               ;   in Loop: Header=BB192_3 Depth=1
	ds_load_b128 v[18:21], v2 offset:4224
	s_wait_dscnt 0x0
	v_mul_f64_e32 v[4:5], v[16:17], v[20:21]
	v_mul_f64_e32 v[206:207], v[14:15], v[20:21]
	s_delay_alu instid0(VALU_DEP_2) | instskip(NEXT) | instid1(VALU_DEP_2)
	v_fma_f64 v[204:205], v[14:15], v[18:19], -v[4:5]
	v_fmac_f64_e32 v[206:207], v[16:17], v[18:19]
	s_delay_alu instid0(VALU_DEP_2) | instskip(NEXT) | instid1(VALU_DEP_2)
	v_mov_b64_e32 v[14:15], v[204:205]
	v_mov_b64_e32 v[16:17], v[206:207]
	ds_store_b128 v58, v[204:207]
.LBB192_96:                             ;   in Loop: Header=BB192_3 Depth=1
	s_or_b32 exec_lo, exec_lo, s46
	s_wait_dscnt 0x0
	s_barrier_signal -1
	s_barrier_wait -1
	s_and_saveexec_b32 s46, s74
	s_cbranch_execz .LBB192_98
; %bb.97:                               ;   in Loop: Header=BB192_3 Depth=1
	ds_load_b128 v[18:21], v58
	ds_load_b128 v[204:207], v56 offset:4224
	s_wait_dscnt 0x0
	v_mul_f64_e32 v[4:5], v[20:21], v[206:207]
	s_delay_alu instid0(VALU_DEP_1) | instskip(SKIP_1) | instid1(VALU_DEP_2)
	v_fma_f64 v[4:5], v[18:19], v[204:205], -v[4:5]
	v_mul_f64_e32 v[18:19], v[18:19], v[206:207]
	v_add_f64_e32 v[14:15], v[14:15], v[4:5]
	s_delay_alu instid0(VALU_DEP_2) | instskip(NEXT) | instid1(VALU_DEP_1)
	v_fmac_f64_e32 v[18:19], v[20:21], v[204:205]
	v_add_f64_e32 v[16:17], v[16:17], v[18:19]
.LBB192_98:                             ;   in Loop: Header=BB192_3 Depth=1
	s_or_b32 exec_lo, exec_lo, s46
	s_barrier_signal -1
	s_barrier_wait -1
	s_and_saveexec_b32 s46, s75
	s_cbranch_execz .LBB192_100
; %bb.99:                               ;   in Loop: Header=BB192_3 Depth=1
	ds_load_b128 v[18:21], v2 offset:4752
	s_wait_dscnt 0x0
	v_mul_f64_e32 v[4:5], v[16:17], v[20:21]
	v_mul_f64_e32 v[206:207], v[14:15], v[20:21]
	s_delay_alu instid0(VALU_DEP_2) | instskip(NEXT) | instid1(VALU_DEP_2)
	v_fma_f64 v[204:205], v[14:15], v[18:19], -v[4:5]
	v_fmac_f64_e32 v[206:207], v[16:17], v[18:19]
	s_delay_alu instid0(VALU_DEP_2) | instskip(NEXT) | instid1(VALU_DEP_2)
	v_mov_b64_e32 v[14:15], v[204:205]
	v_mov_b64_e32 v[16:17], v[206:207]
	ds_store_b128 v58, v[204:207]
.LBB192_100:                            ;   in Loop: Header=BB192_3 Depth=1
	s_or_b32 exec_lo, exec_lo, s46
	s_wait_dscnt 0x0
	s_barrier_signal -1
	s_barrier_wait -1
	s_and_saveexec_b32 s46, s76
	s_cbranch_execz .LBB192_102
; %bb.101:                              ;   in Loop: Header=BB192_3 Depth=1
	ds_load_b128 v[18:21], v58
	ds_load_b128 v[204:207], v56 offset:4736
	s_wait_dscnt 0x0
	v_mul_f64_e32 v[4:5], v[20:21], v[206:207]
	s_delay_alu instid0(VALU_DEP_1) | instskip(SKIP_1) | instid1(VALU_DEP_2)
	v_fma_f64 v[4:5], v[18:19], v[204:205], -v[4:5]
	v_mul_f64_e32 v[18:19], v[18:19], v[206:207]
	v_add_f64_e32 v[14:15], v[14:15], v[4:5]
	s_delay_alu instid0(VALU_DEP_2) | instskip(NEXT) | instid1(VALU_DEP_1)
	v_fmac_f64_e32 v[18:19], v[20:21], v[204:205]
	v_add_f64_e32 v[16:17], v[16:17], v[18:19]
.LBB192_102:                            ;   in Loop: Header=BB192_3 Depth=1
	s_or_b32 exec_lo, exec_lo, s46
	s_barrier_signal -1
	s_barrier_wait -1
	s_and_saveexec_b32 s46, s77
	s_cbranch_execz .LBB192_104
; %bb.103:                              ;   in Loop: Header=BB192_3 Depth=1
	ds_load_b128 v[18:21], v2 offset:5280
	s_wait_dscnt 0x0
	v_mul_f64_e32 v[4:5], v[16:17], v[20:21]
	v_mul_f64_e32 v[206:207], v[14:15], v[20:21]
	s_delay_alu instid0(VALU_DEP_2) | instskip(NEXT) | instid1(VALU_DEP_2)
	v_fma_f64 v[204:205], v[14:15], v[18:19], -v[4:5]
	v_fmac_f64_e32 v[206:207], v[16:17], v[18:19]
	s_delay_alu instid0(VALU_DEP_2) | instskip(NEXT) | instid1(VALU_DEP_2)
	v_mov_b64_e32 v[14:15], v[204:205]
	v_mov_b64_e32 v[16:17], v[206:207]
	ds_store_b128 v58, v[204:207]
.LBB192_104:                            ;   in Loop: Header=BB192_3 Depth=1
	s_or_b32 exec_lo, exec_lo, s46
	s_wait_dscnt 0x0
	s_barrier_signal -1
	s_barrier_wait -1
	s_and_saveexec_b32 s46, s78
	s_cbranch_execz .LBB192_106
; %bb.105:                              ;   in Loop: Header=BB192_3 Depth=1
	ds_load_b128 v[18:21], v58
	ds_load_b128 v[204:207], v56 offset:5248
	s_wait_dscnt 0x0
	v_mul_f64_e32 v[4:5], v[20:21], v[206:207]
	s_delay_alu instid0(VALU_DEP_1) | instskip(SKIP_1) | instid1(VALU_DEP_2)
	v_fma_f64 v[4:5], v[18:19], v[204:205], -v[4:5]
	v_mul_f64_e32 v[18:19], v[18:19], v[206:207]
	v_add_f64_e32 v[14:15], v[14:15], v[4:5]
	s_delay_alu instid0(VALU_DEP_2) | instskip(NEXT) | instid1(VALU_DEP_1)
	v_fmac_f64_e32 v[18:19], v[20:21], v[204:205]
	v_add_f64_e32 v[16:17], v[16:17], v[18:19]
.LBB192_106:                            ;   in Loop: Header=BB192_3 Depth=1
	s_or_b32 exec_lo, exec_lo, s46
	s_barrier_signal -1
	s_barrier_wait -1
	s_and_saveexec_b32 s46, s79
	s_cbranch_execz .LBB192_108
; %bb.107:                              ;   in Loop: Header=BB192_3 Depth=1
	ds_load_b128 v[18:21], v2 offset:5808
	s_wait_dscnt 0x0
	v_mul_f64_e32 v[4:5], v[16:17], v[20:21]
	v_mul_f64_e32 v[206:207], v[14:15], v[20:21]
	s_delay_alu instid0(VALU_DEP_2) | instskip(NEXT) | instid1(VALU_DEP_2)
	v_fma_f64 v[204:205], v[14:15], v[18:19], -v[4:5]
	v_fmac_f64_e32 v[206:207], v[16:17], v[18:19]
	s_delay_alu instid0(VALU_DEP_2) | instskip(NEXT) | instid1(VALU_DEP_2)
	v_mov_b64_e32 v[14:15], v[204:205]
	v_mov_b64_e32 v[16:17], v[206:207]
	ds_store_b128 v58, v[204:207]
.LBB192_108:                            ;   in Loop: Header=BB192_3 Depth=1
	;; [unrolled: 37-line block ×6, first 2 shown]
	s_or_b32 exec_lo, exec_lo, s46
	s_wait_dscnt 0x0
	s_barrier_signal -1
	s_barrier_wait -1
	s_barrier_signal -1
	s_barrier_wait -1
	s_and_saveexec_b32 s46, s9
; %bb.125:                              ;   in Loop: Header=BB192_3 Depth=1
	s_delay_alu instid0(VALU_DEP_3) | instskip(NEXT) | instid1(VALU_DEP_2)
	v_xor_b32_e32 v15, 0x80000000, v15
	v_xor_b32_e32 v17, 0x80000000, v17
	ds_store_b128 v59, v[14:17] offset:128
; %bb.126:                              ;   in Loop: Header=BB192_3 Depth=1
	s_or_b32 exec_lo, exec_lo, s46
	s_wait_dscnt 0x0
	s_barrier_signal -1
	s_barrier_wait -1
	s_barrier_signal -1
	s_barrier_wait -1
	s_and_saveexec_b32 s46, s87
	s_cbranch_execz .LBB192_128
; %bb.127:                              ;   in Loop: Header=BB192_3 Depth=1
	ds_load_b128 v[14:17], v61
	s_wait_dscnt 0x0
	ds_store_b128 v158, v[14:17]
	ds_load_b128 v[14:17], v62
	s_wait_dscnt 0x0
	ds_store_b128 v159, v[14:17]
	;; [unrolled: 3-line block ×8, first 2 shown]
.LBB192_128:                            ;   in Loop: Header=BB192_3 Depth=1
	s_or_b32 exec_lo, exec_lo, s46
	s_wait_dscnt 0x0
	s_barrier_signal -1
	s_barrier_wait -1
	s_and_saveexec_b32 s46, s31
	s_cbranch_execz .LBB192_130
; %bb.129:                              ;   in Loop: Header=BB192_3 Depth=1
	ds_load_b128 v[14:17], v2 offset:4752
	ds_load_b128 v[18:21], v2 offset:4224
	s_wait_dscnt 0x0
	v_mul_f64_e32 v[4:5], v[14:15], v[20:21]
	v_mul_f64_e32 v[20:21], v[16:17], v[20:21]
	s_delay_alu instid0(VALU_DEP_2) | instskip(NEXT) | instid1(VALU_DEP_2)
	v_fmac_f64_e32 v[4:5], v[16:17], v[18:19]
	v_fma_f64 v[20:21], v[14:15], v[18:19], -v[20:21]
	ds_load_b128 v[14:17], v2 offset:4240
	s_wait_dscnt 0x0
	v_mul_f64_e32 v[40:41], v[4:5], v[16:17]
	v_mul_f64_e32 v[18:19], v[20:21], v[16:17]
	s_delay_alu instid0(VALU_DEP_2) | instskip(NEXT) | instid1(VALU_DEP_2)
	v_fma_f64 v[16:17], v[14:15], v[20:21], -v[40:41]
	v_fmac_f64_e32 v[18:19], v[14:15], v[4:5]
	ds_store_b128 v2, v[16:19] offset:4240
	ds_store_b128 v2, v[16:19] offset:4736
.LBB192_130:                            ;   in Loop: Header=BB192_3 Depth=1
	s_or_b32 exec_lo, exec_lo, s46
	v_mov_b64_e32 v[16:17], 0
	v_mov_b64_e32 v[14:15], 0
	s_wait_dscnt 0x0
	s_barrier_signal -1
	s_barrier_wait -1
	s_and_saveexec_b32 s46, s3
	s_cbranch_execz .LBB192_134
; %bb.131:                              ;   in Loop: Header=BB192_3 Depth=1
	ds_load_b128 v[14:17], v44 offset:4224
	ds_load_b128 v[18:21], v43 offset:4256
	s_wait_dscnt 0x0
	v_mul_f64_e32 v[4:5], v[16:17], v[20:21]
	v_mul_f64_e32 v[20:21], v[14:15], v[20:21]
	s_delay_alu instid0(VALU_DEP_2) | instskip(NEXT) | instid1(VALU_DEP_2)
	v_fma_f64 v[4:5], v[14:15], v[18:19], -v[4:5]
	v_fmac_f64_e32 v[20:21], v[16:17], v[18:19]
	s_delay_alu instid0(VALU_DEP_2) | instskip(NEXT) | instid1(VALU_DEP_2)
	v_add_f64_e32 v[14:15], 0, v[4:5]
	v_add_f64_e32 v[16:17], 0, v[20:21]
	s_and_saveexec_b32 s47, s4
	s_cbranch_execz .LBB192_133
; %bb.132:                              ;   in Loop: Header=BB192_3 Depth=1
	ds_load_b128 v[18:21], v2 offset:4240
	ds_load_b128 v[204:207], v50 offset:4768
	s_wait_dscnt 0x0
	v_mul_f64_e32 v[4:5], v[20:21], v[206:207]
	s_delay_alu instid0(VALU_DEP_1) | instskip(SKIP_1) | instid1(VALU_DEP_2)
	v_fma_f64 v[4:5], v[18:19], v[204:205], -v[4:5]
	v_mul_f64_e32 v[18:19], v[18:19], v[206:207]
	v_add_f64_e32 v[14:15], v[14:15], v[4:5]
	s_delay_alu instid0(VALU_DEP_2) | instskip(NEXT) | instid1(VALU_DEP_1)
	v_fmac_f64_e32 v[18:19], v[20:21], v[204:205]
	v_add_f64_e32 v[16:17], v[16:17], v[18:19]
.LBB192_133:                            ;   in Loop: Header=BB192_3 Depth=1
	s_or_b32 exec_lo, exec_lo, s47
	s_delay_alu instid0(VALU_DEP_2) | instskip(NEXT) | instid1(VALU_DEP_2)
	v_xor_b32_e32 v15, 0x80000000, v15
	v_xor_b32_e32 v17, 0x80000000, v17
.LBB192_134:                            ;   in Loop: Header=BB192_3 Depth=1
	s_or_b32 exec_lo, exec_lo, s46
	s_and_saveexec_b32 s46, s63
	s_cbranch_execz .LBB192_136
; %bb.135:                              ;   in Loop: Header=BB192_3 Depth=1
	ds_load_b128 v[18:21], v2 offset:5280
	s_wait_dscnt 0x0
	v_mul_f64_e32 v[4:5], v[16:17], v[20:21]
	v_mul_f64_e32 v[206:207], v[14:15], v[20:21]
	s_delay_alu instid0(VALU_DEP_2) | instskip(NEXT) | instid1(VALU_DEP_2)
	v_fma_f64 v[204:205], v[14:15], v[18:19], -v[4:5]
	v_fmac_f64_e32 v[206:207], v[16:17], v[18:19]
	s_delay_alu instid0(VALU_DEP_2) | instskip(NEXT) | instid1(VALU_DEP_2)
	v_mov_b64_e32 v[14:15], v[204:205]
	v_mov_b64_e32 v[16:17], v[206:207]
	ds_store_b128 v23, v[204:207]
.LBB192_136:                            ;   in Loop: Header=BB192_3 Depth=1
	s_or_b32 exec_lo, exec_lo, s46
	s_wait_dscnt 0x0
	s_barrier_signal -1
	s_barrier_wait -1
	s_and_saveexec_b32 s46, s64
	s_cbranch_execz .LBB192_138
; %bb.137:                              ;   in Loop: Header=BB192_3 Depth=1
	ds_load_b128 v[18:21], v23
	ds_load_b128 v[204:207], v2 offset:5296
	s_wait_dscnt 0x0
	v_mul_f64_e32 v[4:5], v[20:21], v[206:207]
	s_delay_alu instid0(VALU_DEP_1) | instskip(SKIP_1) | instid1(VALU_DEP_2)
	v_fma_f64 v[4:5], v[18:19], v[204:205], -v[4:5]
	v_mul_f64_e32 v[18:19], v[18:19], v[206:207]
	v_add_f64_e32 v[14:15], v[14:15], v[4:5]
	s_delay_alu instid0(VALU_DEP_2) | instskip(NEXT) | instid1(VALU_DEP_1)
	v_fmac_f64_e32 v[18:19], v[20:21], v[204:205]
	v_add_f64_e32 v[16:17], v[16:17], v[18:19]
.LBB192_138:                            ;   in Loop: Header=BB192_3 Depth=1
	s_or_b32 exec_lo, exec_lo, s46
	s_barrier_signal -1
	s_barrier_wait -1
	s_and_saveexec_b32 s46, s64
	s_cbranch_execz .LBB192_140
; %bb.139:                              ;   in Loop: Header=BB192_3 Depth=1
	ds_load_b128 v[18:21], v2 offset:5808
	s_wait_dscnt 0x0
	v_mul_f64_e32 v[4:5], v[16:17], v[20:21]
	v_mul_f64_e32 v[206:207], v[14:15], v[20:21]
	s_delay_alu instid0(VALU_DEP_2) | instskip(NEXT) | instid1(VALU_DEP_2)
	v_fma_f64 v[204:205], v[14:15], v[18:19], -v[4:5]
	v_fmac_f64_e32 v[206:207], v[16:17], v[18:19]
	s_delay_alu instid0(VALU_DEP_2) | instskip(NEXT) | instid1(VALU_DEP_2)
	v_mov_b64_e32 v[14:15], v[204:205]
	v_mov_b64_e32 v[16:17], v[206:207]
	ds_store_b128 v23, v[204:207]
.LBB192_140:                            ;   in Loop: Header=BB192_3 Depth=1
	s_or_b32 exec_lo, exec_lo, s46
	s_wait_dscnt 0x0
	s_barrier_signal -1
	s_barrier_wait -1
	s_barrier_signal -1
	s_barrier_wait -1
	s_and_saveexec_b32 s46, s3
; %bb.141:                              ;   in Loop: Header=BB192_3 Depth=1
	s_delay_alu instid0(VALU_DEP_3) | instskip(NEXT) | instid1(VALU_DEP_2)
	v_xor_b32_e32 v15, 0x80000000, v15
	v_xor_b32_e32 v17, 0x80000000, v17
	ds_store_b128 v43, v[14:17] offset:4256
; %bb.142:                              ;   in Loop: Header=BB192_3 Depth=1
	s_or_b32 exec_lo, exec_lo, s46
	s_wait_dscnt 0x0
	s_barrier_signal -1
	s_barrier_wait -1
	s_barrier_signal -1
	s_barrier_wait -1
	s_and_saveexec_b32 s46, s65
	s_cbranch_execz .LBB192_144
; %bb.143:                              ;   in Loop: Header=BB192_3 Depth=1
	ds_load_b128 v[14:17], v84
	s_wait_dscnt 0x0
	ds_store_b128 v166, v[14:17]
	ds_load_b128 v[14:17], v85
	s_wait_dscnt 0x0
	ds_store_b128 v167, v[14:17]
.LBB192_144:                            ;   in Loop: Header=BB192_3 Depth=1
	s_or_b32 exec_lo, exec_lo, s46
	s_wait_dscnt 0x0
	s_barrier_signal -1
	s_barrier_wait -1
	s_and_saveexec_b32 s46, s31
	s_cbranch_execz .LBB192_146
; %bb.145:                              ;   in Loop: Header=BB192_3 Depth=1
	ds_load_b128 v[14:17], v2 offset:5808
	ds_load_b128 v[18:21], v2 offset:5280
	s_wait_dscnt 0x0
	v_mul_f64_e32 v[4:5], v[14:15], v[20:21]
	v_mul_f64_e32 v[20:21], v[16:17], v[20:21]
	s_delay_alu instid0(VALU_DEP_2) | instskip(NEXT) | instid1(VALU_DEP_2)
	v_fmac_f64_e32 v[4:5], v[16:17], v[18:19]
	v_fma_f64 v[20:21], v[14:15], v[18:19], -v[20:21]
	ds_load_b128 v[14:17], v2 offset:5296
	s_wait_dscnt 0x0
	v_mul_f64_e32 v[40:41], v[4:5], v[16:17]
	v_mul_f64_e32 v[18:19], v[20:21], v[16:17]
	s_delay_alu instid0(VALU_DEP_2) | instskip(NEXT) | instid1(VALU_DEP_2)
	v_fma_f64 v[16:17], v[14:15], v[20:21], -v[40:41]
	v_fmac_f64_e32 v[18:19], v[14:15], v[4:5]
	ds_store_b128 v2, v[16:19] offset:5296
	ds_store_b128 v2, v[16:19] offset:5792
.LBB192_146:                            ;   in Loop: Header=BB192_3 Depth=1
	s_or_b32 exec_lo, exec_lo, s46
	v_mov_b64_e32 v[16:17], 0
	v_mov_b64_e32 v[14:15], 0
	s_wait_dscnt 0x0
	s_barrier_signal -1
	s_barrier_wait -1
	s_and_saveexec_b32 s46, s6
	s_cbranch_execz .LBB192_152
; %bb.147:                              ;   in Loop: Header=BB192_3 Depth=1
	ds_load_b128 v[14:17], v47 offset:4224
	ds_load_b128 v[18:21], v52 offset:4288
	s_wait_dscnt 0x0
	v_mul_f64_e32 v[4:5], v[16:17], v[20:21]
	v_mul_f64_e32 v[20:21], v[14:15], v[20:21]
	s_delay_alu instid0(VALU_DEP_2) | instskip(NEXT) | instid1(VALU_DEP_2)
	v_fma_f64 v[4:5], v[14:15], v[18:19], -v[4:5]
	v_fmac_f64_e32 v[20:21], v[16:17], v[18:19]
	s_delay_alu instid0(VALU_DEP_2) | instskip(NEXT) | instid1(VALU_DEP_2)
	v_add_f64_e32 v[14:15], 0, v[4:5]
	v_add_f64_e32 v[16:17], 0, v[20:21]
	s_and_saveexec_b32 s47, s7
	s_cbranch_execnz .LBB192_558
; %bb.148:                              ;   in Loop: Header=BB192_3 Depth=1
	s_or_b32 exec_lo, exec_lo, s47
	s_and_saveexec_b32 s47, s8
	s_cbranch_execnz .LBB192_559
.LBB192_149:                            ;   in Loop: Header=BB192_3 Depth=1
	s_or_b32 exec_lo, exec_lo, s47
	s_and_saveexec_b32 s47, s3
	s_cbranch_execz .LBB192_151
.LBB192_150:                            ;   in Loop: Header=BB192_3 Depth=1
	ds_load_b128 v[18:21], v2 offset:4272
	ds_load_b128 v[204:207], v83 offset:5824
	s_wait_dscnt 0x0
	v_mul_f64_e32 v[4:5], v[20:21], v[206:207]
	s_delay_alu instid0(VALU_DEP_1) | instskip(SKIP_1) | instid1(VALU_DEP_2)
	v_fma_f64 v[4:5], v[18:19], v[204:205], -v[4:5]
	v_mul_f64_e32 v[18:19], v[18:19], v[206:207]
	v_add_f64_e32 v[14:15], v[14:15], v[4:5]
	s_delay_alu instid0(VALU_DEP_2) | instskip(NEXT) | instid1(VALU_DEP_1)
	v_fmac_f64_e32 v[18:19], v[20:21], v[204:205]
	v_add_f64_e32 v[16:17], v[16:17], v[18:19]
.LBB192_151:                            ;   in Loop: Header=BB192_3 Depth=1
	s_or_b32 exec_lo, exec_lo, s47
	s_delay_alu instid0(VALU_DEP_2) | instskip(NEXT) | instid1(VALU_DEP_2)
	v_xor_b32_e32 v15, 0x80000000, v15
	v_xor_b32_e32 v17, 0x80000000, v17
.LBB192_152:                            ;   in Loop: Header=BB192_3 Depth=1
	s_or_b32 exec_lo, exec_lo, s46
	s_and_saveexec_b32 s46, s66
	s_cbranch_execz .LBB192_154
; %bb.153:                              ;   in Loop: Header=BB192_3 Depth=1
	ds_load_b128 v[18:21], v2 offset:6336
	s_wait_dscnt 0x0
	v_mul_f64_e32 v[4:5], v[16:17], v[20:21]
	v_mul_f64_e32 v[206:207], v[14:15], v[20:21]
	s_delay_alu instid0(VALU_DEP_2) | instskip(NEXT) | instid1(VALU_DEP_2)
	v_fma_f64 v[204:205], v[14:15], v[18:19], -v[4:5]
	v_fmac_f64_e32 v[206:207], v[16:17], v[18:19]
	s_delay_alu instid0(VALU_DEP_2) | instskip(NEXT) | instid1(VALU_DEP_2)
	v_mov_b64_e32 v[14:15], v[204:205]
	v_mov_b64_e32 v[16:17], v[206:207]
	ds_store_b128 v51, v[204:207]
.LBB192_154:                            ;   in Loop: Header=BB192_3 Depth=1
	s_or_b32 exec_lo, exec_lo, s46
	s_wait_dscnt 0x0
	s_barrier_signal -1
	s_barrier_wait -1
	s_and_saveexec_b32 s46, s67
	s_cbranch_execz .LBB192_156
; %bb.155:                              ;   in Loop: Header=BB192_3 Depth=1
	ds_load_b128 v[18:21], v51
	ds_load_b128 v[204:207], v49 offset:6336
	s_wait_dscnt 0x0
	v_mul_f64_e32 v[4:5], v[20:21], v[206:207]
	s_delay_alu instid0(VALU_DEP_1) | instskip(SKIP_1) | instid1(VALU_DEP_2)
	v_fma_f64 v[4:5], v[18:19], v[204:205], -v[4:5]
	v_mul_f64_e32 v[18:19], v[18:19], v[206:207]
	v_add_f64_e32 v[14:15], v[14:15], v[4:5]
	s_delay_alu instid0(VALU_DEP_2) | instskip(NEXT) | instid1(VALU_DEP_1)
	v_fmac_f64_e32 v[18:19], v[20:21], v[204:205]
	v_add_f64_e32 v[16:17], v[16:17], v[18:19]
.LBB192_156:                            ;   in Loop: Header=BB192_3 Depth=1
	s_or_b32 exec_lo, exec_lo, s46
	s_barrier_signal -1
	s_barrier_wait -1
	s_and_saveexec_b32 s46, s68
	s_cbranch_execz .LBB192_158
; %bb.157:                              ;   in Loop: Header=BB192_3 Depth=1
	ds_load_b128 v[18:21], v2 offset:6864
	s_wait_dscnt 0x0
	v_mul_f64_e32 v[4:5], v[16:17], v[20:21]
	v_mul_f64_e32 v[206:207], v[14:15], v[20:21]
	s_delay_alu instid0(VALU_DEP_2) | instskip(NEXT) | instid1(VALU_DEP_2)
	v_fma_f64 v[204:205], v[14:15], v[18:19], -v[4:5]
	v_fmac_f64_e32 v[206:207], v[16:17], v[18:19]
	s_delay_alu instid0(VALU_DEP_2) | instskip(NEXT) | instid1(VALU_DEP_2)
	v_mov_b64_e32 v[14:15], v[204:205]
	v_mov_b64_e32 v[16:17], v[206:207]
	ds_store_b128 v51, v[204:207]
.LBB192_158:                            ;   in Loop: Header=BB192_3 Depth=1
	s_or_b32 exec_lo, exec_lo, s46
	s_wait_dscnt 0x0
	s_barrier_signal -1
	s_barrier_wait -1
	s_and_saveexec_b32 s46, s69
	s_cbranch_execz .LBB192_160
; %bb.159:                              ;   in Loop: Header=BB192_3 Depth=1
	ds_load_b128 v[18:21], v51
	ds_load_b128 v[204:207], v49 offset:6848
	s_wait_dscnt 0x0
	v_mul_f64_e32 v[4:5], v[20:21], v[206:207]
	s_delay_alu instid0(VALU_DEP_1) | instskip(SKIP_1) | instid1(VALU_DEP_2)
	v_fma_f64 v[4:5], v[18:19], v[204:205], -v[4:5]
	v_mul_f64_e32 v[18:19], v[18:19], v[206:207]
	v_add_f64_e32 v[14:15], v[14:15], v[4:5]
	s_delay_alu instid0(VALU_DEP_2) | instskip(NEXT) | instid1(VALU_DEP_1)
	v_fmac_f64_e32 v[18:19], v[20:21], v[204:205]
	v_add_f64_e32 v[16:17], v[16:17], v[18:19]
.LBB192_160:                            ;   in Loop: Header=BB192_3 Depth=1
	s_or_b32 exec_lo, exec_lo, s46
	s_barrier_signal -1
	s_barrier_wait -1
	;; [unrolled: 37-line block ×3, first 2 shown]
	s_and_saveexec_b32 s46, s71
	s_cbranch_execz .LBB192_166
; %bb.165:                              ;   in Loop: Header=BB192_3 Depth=1
	ds_load_b128 v[18:21], v2 offset:7920
	s_wait_dscnt 0x0
	v_mul_f64_e32 v[4:5], v[16:17], v[20:21]
	v_mul_f64_e32 v[206:207], v[14:15], v[20:21]
	s_delay_alu instid0(VALU_DEP_2) | instskip(NEXT) | instid1(VALU_DEP_2)
	v_fma_f64 v[204:205], v[14:15], v[18:19], -v[4:5]
	v_fmac_f64_e32 v[206:207], v[16:17], v[18:19]
	s_delay_alu instid0(VALU_DEP_2) | instskip(NEXT) | instid1(VALU_DEP_2)
	v_mov_b64_e32 v[14:15], v[204:205]
	v_mov_b64_e32 v[16:17], v[206:207]
	ds_store_b128 v51, v[204:207]
.LBB192_166:                            ;   in Loop: Header=BB192_3 Depth=1
	s_or_b32 exec_lo, exec_lo, s46
	s_wait_dscnt 0x0
	s_barrier_signal -1
	s_barrier_wait -1
	s_barrier_signal -1
	s_barrier_wait -1
	s_and_saveexec_b32 s46, s6
; %bb.167:                              ;   in Loop: Header=BB192_3 Depth=1
	s_delay_alu instid0(VALU_DEP_1) | instskip(NEXT) | instid1(VALU_DEP_4)
	v_xor_b32_e32 v17, 0x80000000, v17
	v_xor_b32_e32 v15, 0x80000000, v15
	ds_store_b128 v52, v[14:17] offset:4288
; %bb.168:                              ;   in Loop: Header=BB192_3 Depth=1
	s_or_b32 exec_lo, exec_lo, s46
	s_wait_dscnt 0x0
	s_barrier_signal -1
	s_barrier_wait -1
	s_barrier_signal -1
	s_barrier_wait -1
	s_and_saveexec_b32 s46, s72
	s_cbranch_execz .LBB192_170
; %bb.169:                              ;   in Loop: Header=BB192_3 Depth=1
	ds_load_b128 v[14:17], v95
	s_wait_dscnt 0x0
	ds_store_b128 v169, v[14:17]
	ds_load_b128 v[14:17], v98
	s_wait_dscnt 0x0
	ds_store_b128 v172, v[14:17]
	ds_load_b128 v[14:17], v97
	s_wait_dscnt 0x0
	ds_store_b128 v171, v[14:17]
	ds_load_b128 v[14:17], v96
	s_wait_dscnt 0x0
	ds_store_b128 v170, v[14:17]
.LBB192_170:                            ;   in Loop: Header=BB192_3 Depth=1
	s_or_b32 exec_lo, exec_lo, s46
	s_wait_dscnt 0x0
	s_barrier_signal -1
	s_barrier_wait -1
	s_and_saveexec_b32 s46, s31
	s_cbranch_execz .LBB192_172
; %bb.171:                              ;   in Loop: Header=BB192_3 Depth=1
	ds_load_b128 v[14:17], v2 offset:6864
	ds_load_b128 v[18:21], v2 offset:6336
	s_wait_dscnt 0x0
	v_mul_f64_e32 v[4:5], v[14:15], v[20:21]
	v_mul_f64_e32 v[20:21], v[16:17], v[20:21]
	s_delay_alu instid0(VALU_DEP_2) | instskip(NEXT) | instid1(VALU_DEP_2)
	v_fmac_f64_e32 v[4:5], v[16:17], v[18:19]
	v_fma_f64 v[20:21], v[14:15], v[18:19], -v[20:21]
	ds_load_b128 v[14:17], v2 offset:6352
	s_wait_dscnt 0x0
	v_mul_f64_e32 v[40:41], v[4:5], v[16:17]
	v_mul_f64_e32 v[18:19], v[20:21], v[16:17]
	s_delay_alu instid0(VALU_DEP_2) | instskip(NEXT) | instid1(VALU_DEP_2)
	v_fma_f64 v[16:17], v[14:15], v[20:21], -v[40:41]
	v_fmac_f64_e32 v[18:19], v[14:15], v[4:5]
	ds_store_b128 v2, v[16:19] offset:6352
	ds_store_b128 v2, v[16:19] offset:6848
.LBB192_172:                            ;   in Loop: Header=BB192_3 Depth=1
	s_or_b32 exec_lo, exec_lo, s46
	v_mov_b64_e32 v[16:17], 0
	v_mov_b64_e32 v[14:15], 0
	s_wait_dscnt 0x0
	s_barrier_signal -1
	s_barrier_wait -1
	s_and_saveexec_b32 s46, s3
	s_cbranch_execz .LBB192_176
; %bb.173:                              ;   in Loop: Header=BB192_3 Depth=1
	ds_load_b128 v[14:17], v44 offset:6336
	ds_load_b128 v[18:21], v43 offset:6368
	s_wait_dscnt 0x0
	v_mul_f64_e32 v[4:5], v[16:17], v[20:21]
	v_mul_f64_e32 v[20:21], v[14:15], v[20:21]
	s_delay_alu instid0(VALU_DEP_2) | instskip(NEXT) | instid1(VALU_DEP_2)
	v_fma_f64 v[4:5], v[14:15], v[18:19], -v[4:5]
	v_fmac_f64_e32 v[20:21], v[16:17], v[18:19]
	s_delay_alu instid0(VALU_DEP_2) | instskip(NEXT) | instid1(VALU_DEP_2)
	v_add_f64_e32 v[14:15], 0, v[4:5]
	v_add_f64_e32 v[16:17], 0, v[20:21]
	s_and_saveexec_b32 s47, s4
	s_cbranch_execz .LBB192_175
; %bb.174:                              ;   in Loop: Header=BB192_3 Depth=1
	ds_load_b128 v[18:21], v2 offset:6352
	ds_load_b128 v[204:207], v94 offset:6880
	s_wait_dscnt 0x0
	v_mul_f64_e32 v[4:5], v[20:21], v[206:207]
	s_delay_alu instid0(VALU_DEP_1) | instskip(SKIP_1) | instid1(VALU_DEP_2)
	v_fma_f64 v[4:5], v[18:19], v[204:205], -v[4:5]
	v_mul_f64_e32 v[18:19], v[18:19], v[206:207]
	v_add_f64_e32 v[14:15], v[14:15], v[4:5]
	s_delay_alu instid0(VALU_DEP_2) | instskip(NEXT) | instid1(VALU_DEP_1)
	v_fmac_f64_e32 v[18:19], v[20:21], v[204:205]
	v_add_f64_e32 v[16:17], v[16:17], v[18:19]
.LBB192_175:                            ;   in Loop: Header=BB192_3 Depth=1
	s_or_b32 exec_lo, exec_lo, s47
	s_delay_alu instid0(VALU_DEP_2) | instskip(NEXT) | instid1(VALU_DEP_2)
	v_xor_b32_e32 v15, 0x80000000, v15
	v_xor_b32_e32 v17, 0x80000000, v17
.LBB192_176:                            ;   in Loop: Header=BB192_3 Depth=1
	s_or_b32 exec_lo, exec_lo, s46
	s_and_saveexec_b32 s46, s63
	s_cbranch_execz .LBB192_178
; %bb.177:                              ;   in Loop: Header=BB192_3 Depth=1
	ds_load_b128 v[18:21], v2 offset:7392
	s_wait_dscnt 0x0
	v_mul_f64_e32 v[4:5], v[16:17], v[20:21]
	v_mul_f64_e32 v[206:207], v[14:15], v[20:21]
	s_delay_alu instid0(VALU_DEP_2) | instskip(NEXT) | instid1(VALU_DEP_2)
	v_fma_f64 v[204:205], v[14:15], v[18:19], -v[4:5]
	v_fmac_f64_e32 v[206:207], v[16:17], v[18:19]
	s_delay_alu instid0(VALU_DEP_2) | instskip(NEXT) | instid1(VALU_DEP_2)
	v_mov_b64_e32 v[14:15], v[204:205]
	v_mov_b64_e32 v[16:17], v[206:207]
	ds_store_b128 v23, v[204:207]
.LBB192_178:                            ;   in Loop: Header=BB192_3 Depth=1
	s_or_b32 exec_lo, exec_lo, s46
	s_wait_dscnt 0x0
	s_barrier_signal -1
	s_barrier_wait -1
	s_and_saveexec_b32 s46, s64
	s_cbranch_execz .LBB192_180
; %bb.179:                              ;   in Loop: Header=BB192_3 Depth=1
	ds_load_b128 v[18:21], v23
	ds_load_b128 v[204:207], v2 offset:7408
	s_wait_dscnt 0x0
	v_mul_f64_e32 v[4:5], v[20:21], v[206:207]
	s_delay_alu instid0(VALU_DEP_1) | instskip(SKIP_1) | instid1(VALU_DEP_2)
	v_fma_f64 v[4:5], v[18:19], v[204:205], -v[4:5]
	v_mul_f64_e32 v[18:19], v[18:19], v[206:207]
	v_add_f64_e32 v[14:15], v[14:15], v[4:5]
	s_delay_alu instid0(VALU_DEP_2) | instskip(NEXT) | instid1(VALU_DEP_1)
	v_fmac_f64_e32 v[18:19], v[20:21], v[204:205]
	v_add_f64_e32 v[16:17], v[16:17], v[18:19]
.LBB192_180:                            ;   in Loop: Header=BB192_3 Depth=1
	s_or_b32 exec_lo, exec_lo, s46
	s_barrier_signal -1
	s_barrier_wait -1
	s_and_saveexec_b32 s46, s64
	s_cbranch_execz .LBB192_182
; %bb.181:                              ;   in Loop: Header=BB192_3 Depth=1
	ds_load_b128 v[18:21], v2 offset:7920
	s_wait_dscnt 0x0
	v_mul_f64_e32 v[4:5], v[16:17], v[20:21]
	v_mul_f64_e32 v[206:207], v[14:15], v[20:21]
	s_delay_alu instid0(VALU_DEP_2) | instskip(NEXT) | instid1(VALU_DEP_2)
	v_fma_f64 v[204:205], v[14:15], v[18:19], -v[4:5]
	v_fmac_f64_e32 v[206:207], v[16:17], v[18:19]
	s_delay_alu instid0(VALU_DEP_2) | instskip(NEXT) | instid1(VALU_DEP_2)
	v_mov_b64_e32 v[14:15], v[204:205]
	v_mov_b64_e32 v[16:17], v[206:207]
	ds_store_b128 v23, v[204:207]
.LBB192_182:                            ;   in Loop: Header=BB192_3 Depth=1
	s_or_b32 exec_lo, exec_lo, s46
	s_wait_dscnt 0x0
	s_barrier_signal -1
	s_barrier_wait -1
	s_barrier_signal -1
	s_barrier_wait -1
	s_and_saveexec_b32 s46, s3
; %bb.183:                              ;   in Loop: Header=BB192_3 Depth=1
	s_delay_alu instid0(VALU_DEP_3) | instskip(NEXT) | instid1(VALU_DEP_2)
	v_xor_b32_e32 v15, 0x80000000, v15
	v_xor_b32_e32 v17, 0x80000000, v17
	ds_store_b128 v43, v[14:17] offset:6368
; %bb.184:                              ;   in Loop: Header=BB192_3 Depth=1
	s_or_b32 exec_lo, exec_lo, s46
	s_wait_dscnt 0x0
	s_barrier_signal -1
	s_barrier_wait -1
	s_barrier_signal -1
	s_barrier_wait -1
	s_and_saveexec_b32 s46, s65
	s_cbranch_execz .LBB192_186
; %bb.185:                              ;   in Loop: Header=BB192_3 Depth=1
	ds_load_b128 v[14:17], v105
	s_wait_dscnt 0x0
	ds_store_b128 v109, v[14:17]
	ds_load_b128 v[14:17], v106
	s_wait_dscnt 0x0
	ds_store_b128 v110, v[14:17]
.LBB192_186:                            ;   in Loop: Header=BB192_3 Depth=1
	s_or_b32 exec_lo, exec_lo, s46
	s_wait_dscnt 0x0
	s_barrier_signal -1
	s_barrier_wait -1
	s_and_saveexec_b32 s46, s31
	s_cbranch_execz .LBB192_188
; %bb.187:                              ;   in Loop: Header=BB192_3 Depth=1
	ds_load_b128 v[14:17], v2 offset:7920
	ds_load_b128 v[18:21], v2 offset:7392
	s_wait_dscnt 0x0
	v_mul_f64_e32 v[4:5], v[14:15], v[20:21]
	v_mul_f64_e32 v[20:21], v[16:17], v[20:21]
	s_delay_alu instid0(VALU_DEP_2) | instskip(NEXT) | instid1(VALU_DEP_2)
	v_fmac_f64_e32 v[4:5], v[16:17], v[18:19]
	v_fma_f64 v[20:21], v[14:15], v[18:19], -v[20:21]
	ds_load_b128 v[14:17], v2 offset:7408
	s_wait_dscnt 0x0
	v_mul_f64_e32 v[40:41], v[4:5], v[16:17]
	v_mul_f64_e32 v[18:19], v[20:21], v[16:17]
	s_delay_alu instid0(VALU_DEP_2) | instskip(NEXT) | instid1(VALU_DEP_2)
	v_fma_f64 v[16:17], v[14:15], v[20:21], -v[40:41]
	v_fmac_f64_e32 v[18:19], v[14:15], v[4:5]
	ds_store_b128 v2, v[16:19] offset:7408
	ds_store_b128 v2, v[16:19] offset:7904
.LBB192_188:                            ;   in Loop: Header=BB192_3 Depth=1
	s_or_b32 exec_lo, exec_lo, s46
	v_mov_b64_e32 v[16:17], 0
	v_mov_b64_e32 v[14:15], 0
	s_wait_dscnt 0x0
	s_barrier_signal -1
	s_barrier_wait -1
	s_and_saveexec_b32 s46, s11
	s_cbranch_execz .LBB192_216
; %bb.189:                              ;   in Loop: Header=BB192_3 Depth=1
	v_add_nc_u32_e32 v3, v69, v168
	ds_load_b128 v[14:17], v3
	ds_load_b128 v[18:21], v174 offset:256
	s_wait_dscnt 0x0
	v_mul_f64_e32 v[4:5], v[16:17], v[20:21]
	v_mul_f64_e32 v[20:21], v[14:15], v[20:21]
	s_delay_alu instid0(VALU_DEP_2) | instskip(NEXT) | instid1(VALU_DEP_2)
	v_fma_f64 v[4:5], v[14:15], v[18:19], -v[4:5]
	v_fmac_f64_e32 v[20:21], v[16:17], v[18:19]
	s_delay_alu instid0(VALU_DEP_2) | instskip(NEXT) | instid1(VALU_DEP_2)
	v_add_f64_e32 v[14:15], 0, v[4:5]
	v_add_f64_e32 v[16:17], 0, v[20:21]
	s_mov_b32 s47, exec_lo
	v_readlane_b32 s93, v212, 17
	s_and_b32 s93, s47, s93
	s_delay_alu instid0(SALU_CYCLE_1)
	s_mov_b32 exec_lo, s93
	s_cbranch_execz .LBB192_191
; %bb.190:                              ;   in Loop: Header=BB192_3 Depth=1
	ds_load_b128 v[18:21], v3 offset:16
	ds_load_b128 v[204:207], v174 offset:768
	s_wait_dscnt 0x0
	v_mul_f64_e32 v[4:5], v[20:21], v[206:207]
	s_delay_alu instid0(VALU_DEP_1) | instskip(SKIP_1) | instid1(VALU_DEP_2)
	v_fma_f64 v[4:5], v[18:19], v[204:205], -v[4:5]
	v_mul_f64_e32 v[18:19], v[18:19], v[206:207]
	v_add_f64_e32 v[14:15], v[14:15], v[4:5]
	s_delay_alu instid0(VALU_DEP_2) | instskip(NEXT) | instid1(VALU_DEP_1)
	v_fmac_f64_e32 v[18:19], v[20:21], v[204:205]
	v_add_f64_e32 v[16:17], v[16:17], v[18:19]
.LBB192_191:                            ;   in Loop: Header=BB192_3 Depth=1
	s_or_b32 exec_lo, exec_lo, s47
	s_delay_alu instid0(SALU_CYCLE_1) | instskip(SKIP_2) | instid1(SALU_CYCLE_1)
	s_mov_b32 s47, exec_lo
	v_readlane_b32 s93, v212, 18
	s_and_b32 s93, s47, s93
	s_mov_b32 exec_lo, s93
	s_cbranch_execz .LBB192_193
; %bb.192:                              ;   in Loop: Header=BB192_3 Depth=1
	ds_load_b128 v[18:21], v3 offset:32
	ds_load_b128 v[204:207], v174 offset:1280
	s_wait_dscnt 0x0
	v_mul_f64_e32 v[4:5], v[20:21], v[206:207]
	s_delay_alu instid0(VALU_DEP_1) | instskip(SKIP_1) | instid1(VALU_DEP_2)
	v_fma_f64 v[4:5], v[18:19], v[204:205], -v[4:5]
	v_mul_f64_e32 v[18:19], v[18:19], v[206:207]
	v_add_f64_e32 v[14:15], v[14:15], v[4:5]
	s_delay_alu instid0(VALU_DEP_2) | instskip(NEXT) | instid1(VALU_DEP_1)
	v_fmac_f64_e32 v[18:19], v[20:21], v[204:205]
	v_add_f64_e32 v[16:17], v[16:17], v[18:19]
.LBB192_193:                            ;   in Loop: Header=BB192_3 Depth=1
	s_or_b32 exec_lo, exec_lo, s47
	s_delay_alu instid0(SALU_CYCLE_1) | instskip(SKIP_2) | instid1(SALU_CYCLE_1)
	s_mov_b32 s47, exec_lo
	v_readlane_b32 s93, v212, 19
	s_and_b32 s93, s47, s93
	;; [unrolled: 20-line block ×10, first 2 shown]
	s_mov_b32 exec_lo, s93
	s_cbranch_execnz .LBB192_560
; %bb.210:                              ;   in Loop: Header=BB192_3 Depth=1
	s_or_b32 exec_lo, exec_lo, s47
	s_and_saveexec_b32 s47, s9
	s_cbranch_execnz .LBB192_561
.LBB192_211:                            ;   in Loop: Header=BB192_3 Depth=1
	s_or_b32 exec_lo, exec_lo, s47
	s_and_saveexec_b32 s47, s16
	s_cbranch_execnz .LBB192_562
.LBB192_212:                            ;   in Loop: Header=BB192_3 Depth=1
	s_or_b32 exec_lo, exec_lo, s47
	s_and_saveexec_b32 s47, s18
	s_cbranch_execnz .LBB192_563
.LBB192_213:                            ;   in Loop: Header=BB192_3 Depth=1
	s_or_b32 exec_lo, exec_lo, s47
	s_and_saveexec_b32 s47, s6
	s_cbranch_execz .LBB192_215
.LBB192_214:                            ;   in Loop: Header=BB192_3 Depth=1
	ds_load_b128 v[18:21], v2 offset:240
	ds_load_b128 v[204:207], v45 offset:7936
	s_wait_dscnt 0x0
	v_mul_f64_e32 v[4:5], v[20:21], v[206:207]
	s_delay_alu instid0(VALU_DEP_1) | instskip(SKIP_1) | instid1(VALU_DEP_2)
	v_fma_f64 v[4:5], v[18:19], v[204:205], -v[4:5]
	v_mul_f64_e32 v[18:19], v[18:19], v[206:207]
	v_add_f64_e32 v[14:15], v[14:15], v[4:5]
	s_delay_alu instid0(VALU_DEP_2) | instskip(NEXT) | instid1(VALU_DEP_1)
	v_fmac_f64_e32 v[18:19], v[20:21], v[204:205]
	v_add_f64_e32 v[16:17], v[16:17], v[18:19]
.LBB192_215:                            ;   in Loop: Header=BB192_3 Depth=1
	s_or_b32 exec_lo, exec_lo, s47
	s_delay_alu instid0(VALU_DEP_3) | instskip(NEXT) | instid1(VALU_DEP_2)
	v_xor_b32_e32 v15, 0x80000000, v15
	v_xor_b32_e32 v17, 0x80000000, v17
.LBB192_216:                            ;   in Loop: Header=BB192_3 Depth=1
	s_or_b32 exec_lo, exec_lo, s46
	s_delay_alu instid0(SALU_CYCLE_1) | instskip(SKIP_2) | instid1(SALU_CYCLE_1)
	s_mov_b32 s46, exec_lo
	v_readlane_b32 s47, v212, 1
	s_and_b32 s47, s46, s47
	s_mov_b32 exec_lo, s47
	s_cbranch_execz .LBB192_218
; %bb.217:                              ;   in Loop: Header=BB192_3 Depth=1
	ds_load_b128 v[18:21], v2 offset:8448
	s_wait_dscnt 0x0
	v_mul_f64_e32 v[4:5], v[16:17], v[20:21]
	v_mul_f64_e32 v[206:207], v[14:15], v[20:21]
	s_delay_alu instid0(VALU_DEP_2) | instskip(NEXT) | instid1(VALU_DEP_2)
	v_fma_f64 v[204:205], v[14:15], v[18:19], -v[4:5]
	v_fmac_f64_e32 v[206:207], v[16:17], v[18:19]
	s_delay_alu instid0(VALU_DEP_2) | instskip(NEXT) | instid1(VALU_DEP_2)
	v_mov_b64_e32 v[14:15], v[204:205]
	v_mov_b64_e32 v[16:17], v[206:207]
	ds_store_b128 v173, v[204:207]
.LBB192_218:                            ;   in Loop: Header=BB192_3 Depth=1
	s_or_b32 exec_lo, exec_lo, s46
	s_wait_dscnt 0x0
	s_barrier_signal -1
	s_barrier_wait -1
	s_mov_b32 s46, exec_lo
	v_readlane_b32 s47, v212, 2
	s_and_b32 s47, s46, s47
	s_delay_alu instid0(SALU_CYCLE_1)
	s_mov_b32 exec_lo, s47
	s_cbranch_execz .LBB192_220
; %bb.219:                              ;   in Loop: Header=BB192_3 Depth=1
	ds_load_b128 v[18:21], v173
	ds_load_b128 v[204:207], v70 offset:8448
	s_wait_dscnt 0x0
	v_mul_f64_e32 v[4:5], v[20:21], v[206:207]
	s_delay_alu instid0(VALU_DEP_1) | instskip(SKIP_1) | instid1(VALU_DEP_2)
	v_fma_f64 v[4:5], v[18:19], v[204:205], -v[4:5]
	v_mul_f64_e32 v[18:19], v[18:19], v[206:207]
	v_add_f64_e32 v[14:15], v[14:15], v[4:5]
	s_delay_alu instid0(VALU_DEP_2) | instskip(NEXT) | instid1(VALU_DEP_1)
	v_fmac_f64_e32 v[18:19], v[20:21], v[204:205]
	v_add_f64_e32 v[16:17], v[16:17], v[18:19]
.LBB192_220:                            ;   in Loop: Header=BB192_3 Depth=1
	s_or_b32 exec_lo, exec_lo, s46
	s_barrier_signal -1
	s_barrier_wait -1
	s_mov_b32 s46, exec_lo
	v_readlane_b32 s47, v212, 3
	s_and_b32 s47, s46, s47
	s_delay_alu instid0(SALU_CYCLE_1)
	s_mov_b32 exec_lo, s47
	s_cbranch_execz .LBB192_222
; %bb.221:                              ;   in Loop: Header=BB192_3 Depth=1
	ds_load_b128 v[18:21], v2 offset:8976
	s_wait_dscnt 0x0
	v_mul_f64_e32 v[4:5], v[16:17], v[20:21]
	v_mul_f64_e32 v[206:207], v[14:15], v[20:21]
	s_delay_alu instid0(VALU_DEP_2) | instskip(NEXT) | instid1(VALU_DEP_2)
	v_fma_f64 v[204:205], v[14:15], v[18:19], -v[4:5]
	v_fmac_f64_e32 v[206:207], v[16:17], v[18:19]
	s_delay_alu instid0(VALU_DEP_2) | instskip(NEXT) | instid1(VALU_DEP_2)
	v_mov_b64_e32 v[14:15], v[204:205]
	v_mov_b64_e32 v[16:17], v[206:207]
	ds_store_b128 v173, v[204:207]
.LBB192_222:                            ;   in Loop: Header=BB192_3 Depth=1
	s_or_b32 exec_lo, exec_lo, s46
	s_wait_dscnt 0x0
	s_barrier_signal -1
	s_barrier_wait -1
	s_mov_b32 s46, exec_lo
	v_readlane_b32 s47, v212, 4
	s_and_b32 s47, s46, s47
	s_delay_alu instid0(SALU_CYCLE_1)
	s_mov_b32 exec_lo, s47
	s_cbranch_execz .LBB192_224
; %bb.223:                              ;   in Loop: Header=BB192_3 Depth=1
	ds_load_b128 v[18:21], v173
	ds_load_b128 v[204:207], v70 offset:8960
	s_wait_dscnt 0x0
	v_mul_f64_e32 v[4:5], v[20:21], v[206:207]
	s_delay_alu instid0(VALU_DEP_1) | instskip(SKIP_1) | instid1(VALU_DEP_2)
	v_fma_f64 v[4:5], v[18:19], v[204:205], -v[4:5]
	v_mul_f64_e32 v[18:19], v[18:19], v[206:207]
	v_add_f64_e32 v[14:15], v[14:15], v[4:5]
	s_delay_alu instid0(VALU_DEP_2) | instskip(NEXT) | instid1(VALU_DEP_1)
	v_fmac_f64_e32 v[18:19], v[20:21], v[204:205]
	v_add_f64_e32 v[16:17], v[16:17], v[18:19]
.LBB192_224:                            ;   in Loop: Header=BB192_3 Depth=1
	s_or_b32 exec_lo, exec_lo, s46
	s_barrier_signal -1
	s_barrier_wait -1
	s_mov_b32 s46, exec_lo
	v_readlane_b32 s47, v212, 5
	s_and_b32 s47, s46, s47
	s_delay_alu instid0(SALU_CYCLE_1)
	;; [unrolled: 45-line block ×5, first 2 shown]
	s_mov_b32 exec_lo, s47
	s_cbranch_execz .LBB192_238
; %bb.237:                              ;   in Loop: Header=BB192_3 Depth=1
	ds_load_b128 v[18:21], v2 offset:11088
	s_wait_dscnt 0x0
	v_mul_f64_e32 v[4:5], v[16:17], v[20:21]
	v_mul_f64_e32 v[206:207], v[14:15], v[20:21]
	s_delay_alu instid0(VALU_DEP_2) | instskip(NEXT) | instid1(VALU_DEP_2)
	v_fma_f64 v[204:205], v[14:15], v[18:19], -v[4:5]
	v_fmac_f64_e32 v[206:207], v[16:17], v[18:19]
	s_delay_alu instid0(VALU_DEP_2) | instskip(NEXT) | instid1(VALU_DEP_2)
	v_mov_b64_e32 v[14:15], v[204:205]
	v_mov_b64_e32 v[16:17], v[206:207]
	ds_store_b128 v173, v[204:207]
.LBB192_238:                            ;   in Loop: Header=BB192_3 Depth=1
	s_or_b32 exec_lo, exec_lo, s46
	s_wait_dscnt 0x0
	s_barrier_signal -1
	s_barrier_wait -1
	s_and_saveexec_b32 s46, s99
	s_cbranch_execz .LBB192_240
; %bb.239:                              ;   in Loop: Header=BB192_3 Depth=1
	ds_load_b128 v[18:21], v173
	ds_load_b128 v[204:207], v70 offset:11008
	s_wait_dscnt 0x0
	v_mul_f64_e32 v[4:5], v[20:21], v[206:207]
	s_delay_alu instid0(VALU_DEP_1) | instskip(SKIP_1) | instid1(VALU_DEP_2)
	v_fma_f64 v[4:5], v[18:19], v[204:205], -v[4:5]
	v_mul_f64_e32 v[18:19], v[18:19], v[206:207]
	v_add_f64_e32 v[14:15], v[14:15], v[4:5]
	s_delay_alu instid0(VALU_DEP_2) | instskip(NEXT) | instid1(VALU_DEP_1)
	v_fmac_f64_e32 v[18:19], v[20:21], v[204:205]
	v_add_f64_e32 v[16:17], v[16:17], v[18:19]
.LBB192_240:                            ;   in Loop: Header=BB192_3 Depth=1
	s_or_b32 exec_lo, exec_lo, s46
	s_barrier_signal -1
	s_barrier_wait -1
	s_and_saveexec_b32 s46, s100
	s_cbranch_execz .LBB192_242
; %bb.241:                              ;   in Loop: Header=BB192_3 Depth=1
	ds_load_b128 v[18:21], v2 offset:11616
	s_wait_dscnt 0x0
	v_mul_f64_e32 v[4:5], v[16:17], v[20:21]
	v_mul_f64_e32 v[206:207], v[14:15], v[20:21]
	s_delay_alu instid0(VALU_DEP_2) | instskip(NEXT) | instid1(VALU_DEP_2)
	v_fma_f64 v[204:205], v[14:15], v[18:19], -v[4:5]
	v_fmac_f64_e32 v[206:207], v[16:17], v[18:19]
	s_delay_alu instid0(VALU_DEP_2) | instskip(NEXT) | instid1(VALU_DEP_2)
	v_mov_b64_e32 v[14:15], v[204:205]
	v_mov_b64_e32 v[16:17], v[206:207]
	ds_store_b128 v173, v[204:207]
.LBB192_242:                            ;   in Loop: Header=BB192_3 Depth=1
	s_or_b32 exec_lo, exec_lo, s46
	s_wait_dscnt 0x0
	s_barrier_signal -1
	s_barrier_wait -1
	s_and_saveexec_b32 s46, s101
	s_cbranch_execz .LBB192_244
; %bb.243:                              ;   in Loop: Header=BB192_3 Depth=1
	ds_load_b128 v[18:21], v173
	ds_load_b128 v[204:207], v70 offset:11520
	s_wait_dscnt 0x0
	v_mul_f64_e32 v[4:5], v[20:21], v[206:207]
	s_delay_alu instid0(VALU_DEP_1) | instskip(SKIP_1) | instid1(VALU_DEP_2)
	v_fma_f64 v[4:5], v[18:19], v[204:205], -v[4:5]
	v_mul_f64_e32 v[18:19], v[18:19], v[206:207]
	v_add_f64_e32 v[14:15], v[14:15], v[4:5]
	s_delay_alu instid0(VALU_DEP_2) | instskip(NEXT) | instid1(VALU_DEP_1)
	v_fmac_f64_e32 v[18:19], v[20:21], v[204:205]
	v_add_f64_e32 v[16:17], v[16:17], v[18:19]
.LBB192_244:                            ;   in Loop: Header=BB192_3 Depth=1
	s_or_b32 exec_lo, exec_lo, s46
	s_barrier_signal -1
	s_barrier_wait -1
	s_and_saveexec_b32 s46, s102
	;; [unrolled: 37-line block ×3, first 2 shown]
	s_cbranch_execz .LBB192_250
; %bb.249:                              ;   in Loop: Header=BB192_3 Depth=1
	ds_load_b128 v[18:21], v2 offset:12672
	s_wait_dscnt 0x0
	v_mul_f64_e32 v[4:5], v[16:17], v[20:21]
	v_mul_f64_e32 v[206:207], v[14:15], v[20:21]
	s_delay_alu instid0(VALU_DEP_2) | instskip(NEXT) | instid1(VALU_DEP_2)
	v_fma_f64 v[204:205], v[14:15], v[18:19], -v[4:5]
	v_fmac_f64_e32 v[206:207], v[16:17], v[18:19]
	s_delay_alu instid0(VALU_DEP_2) | instskip(NEXT) | instid1(VALU_DEP_2)
	v_mov_b64_e32 v[14:15], v[204:205]
	v_mov_b64_e32 v[16:17], v[206:207]
	ds_store_b128 v173, v[204:207]
.LBB192_250:                            ;   in Loop: Header=BB192_3 Depth=1
	s_or_b32 exec_lo, exec_lo, s46
	s_wait_dscnt 0x0
	s_barrier_signal -1
	s_barrier_wait -1
	s_and_saveexec_b32 s46, vcc_hi
	s_cbranch_execz .LBB192_252
; %bb.251:                              ;   in Loop: Header=BB192_3 Depth=1
	ds_load_b128 v[18:21], v173
	ds_load_b128 v[204:207], v70 offset:12544
	s_wait_dscnt 0x0
	v_mul_f64_e32 v[4:5], v[20:21], v[206:207]
	s_delay_alu instid0(VALU_DEP_1) | instskip(SKIP_1) | instid1(VALU_DEP_2)
	v_fma_f64 v[4:5], v[18:19], v[204:205], -v[4:5]
	v_mul_f64_e32 v[18:19], v[18:19], v[206:207]
	v_add_f64_e32 v[14:15], v[14:15], v[4:5]
	s_delay_alu instid0(VALU_DEP_2) | instskip(NEXT) | instid1(VALU_DEP_1)
	v_fmac_f64_e32 v[18:19], v[20:21], v[204:205]
	v_add_f64_e32 v[16:17], v[16:17], v[18:19]
.LBB192_252:                            ;   in Loop: Header=BB192_3 Depth=1
	s_or_b32 exec_lo, exec_lo, s46
	s_barrier_signal -1
	s_barrier_wait -1
	s_and_saveexec_b32 s46, s22
	s_cbranch_execz .LBB192_254
; %bb.253:                              ;   in Loop: Header=BB192_3 Depth=1
	ds_load_b128 v[18:21], v2 offset:13200
	s_wait_dscnt 0x0
	v_mul_f64_e32 v[4:5], v[16:17], v[20:21]
	v_mul_f64_e32 v[206:207], v[14:15], v[20:21]
	s_delay_alu instid0(VALU_DEP_2) | instskip(NEXT) | instid1(VALU_DEP_2)
	v_fma_f64 v[204:205], v[14:15], v[18:19], -v[4:5]
	v_fmac_f64_e32 v[206:207], v[16:17], v[18:19]
	s_delay_alu instid0(VALU_DEP_2) | instskip(NEXT) | instid1(VALU_DEP_2)
	v_mov_b64_e32 v[14:15], v[204:205]
	v_mov_b64_e32 v[16:17], v[206:207]
	ds_store_b128 v173, v[204:207]
.LBB192_254:                            ;   in Loop: Header=BB192_3 Depth=1
	s_or_b32 exec_lo, exec_lo, s46
	s_wait_dscnt 0x0
	s_barrier_signal -1
	s_barrier_wait -1
	s_and_saveexec_b32 s46, s23
	s_cbranch_execz .LBB192_256
; %bb.255:                              ;   in Loop: Header=BB192_3 Depth=1
	ds_load_b128 v[18:21], v173
	ds_load_b128 v[204:207], v70 offset:13056
	s_wait_dscnt 0x0
	v_mul_f64_e32 v[4:5], v[20:21], v[206:207]
	s_delay_alu instid0(VALU_DEP_1) | instskip(SKIP_1) | instid1(VALU_DEP_2)
	v_fma_f64 v[4:5], v[18:19], v[204:205], -v[4:5]
	v_mul_f64_e32 v[18:19], v[18:19], v[206:207]
	v_add_f64_e32 v[14:15], v[14:15], v[4:5]
	s_delay_alu instid0(VALU_DEP_2) | instskip(NEXT) | instid1(VALU_DEP_1)
	v_fmac_f64_e32 v[18:19], v[20:21], v[204:205]
	v_add_f64_e32 v[16:17], v[16:17], v[18:19]
.LBB192_256:                            ;   in Loop: Header=BB192_3 Depth=1
	s_or_b32 exec_lo, exec_lo, s46
	s_barrier_signal -1
	s_barrier_wait -1
	s_and_saveexec_b32 s46, s24
	s_cbranch_execz .LBB192_258
; %bb.257:                              ;   in Loop: Header=BB192_3 Depth=1
	ds_load_b128 v[18:21], v2 offset:13728
	s_wait_dscnt 0x0
	v_mul_f64_e32 v[4:5], v[16:17], v[20:21]
	v_mul_f64_e32 v[206:207], v[14:15], v[20:21]
	s_delay_alu instid0(VALU_DEP_2) | instskip(NEXT) | instid1(VALU_DEP_2)
	v_fma_f64 v[204:205], v[14:15], v[18:19], -v[4:5]
	v_fmac_f64_e32 v[206:207], v[16:17], v[18:19]
	s_delay_alu instid0(VALU_DEP_2) | instskip(NEXT) | instid1(VALU_DEP_2)
	v_mov_b64_e32 v[14:15], v[204:205]
	v_mov_b64_e32 v[16:17], v[206:207]
	ds_store_b128 v173, v[204:207]
.LBB192_258:                            ;   in Loop: Header=BB192_3 Depth=1
	s_or_b32 exec_lo, exec_lo, s46
	s_wait_dscnt 0x0
	s_barrier_signal -1
	s_barrier_wait -1
	s_and_saveexec_b32 s46, s25
	;; [unrolled: 37-line block ×6, first 2 shown]
	s_cbranch_execz .LBB192_276
; %bb.275:                              ;   in Loop: Header=BB192_3 Depth=1
	ds_load_b128 v[18:21], v173
	ds_load_b128 v[204:207], v2 offset:15856
	s_wait_dscnt 0x0
	v_mul_f64_e32 v[4:5], v[20:21], v[206:207]
	s_delay_alu instid0(VALU_DEP_1) | instskip(SKIP_1) | instid1(VALU_DEP_2)
	v_fma_f64 v[4:5], v[18:19], v[204:205], -v[4:5]
	v_mul_f64_e32 v[18:19], v[18:19], v[206:207]
	v_add_f64_e32 v[14:15], v[14:15], v[4:5]
	s_delay_alu instid0(VALU_DEP_2) | instskip(NEXT) | instid1(VALU_DEP_1)
	v_fmac_f64_e32 v[18:19], v[20:21], v[204:205]
	v_add_f64_e32 v[16:17], v[16:17], v[18:19]
.LBB192_276:                            ;   in Loop: Header=BB192_3 Depth=1
	s_or_b32 exec_lo, exec_lo, s46
	s_barrier_signal -1
	s_barrier_wait -1
	s_and_saveexec_b32 s46, s10
	s_cbranch_execz .LBB192_278
; %bb.277:                              ;   in Loop: Header=BB192_3 Depth=1
	ds_load_b128 v[18:21], v2 offset:16368
	s_wait_dscnt 0x0
	v_mul_f64_e32 v[4:5], v[16:17], v[20:21]
	v_mul_f64_e32 v[206:207], v[14:15], v[20:21]
	s_delay_alu instid0(VALU_DEP_2) | instskip(NEXT) | instid1(VALU_DEP_2)
	v_fma_f64 v[204:205], v[14:15], v[18:19], -v[4:5]
	v_fmac_f64_e32 v[206:207], v[16:17], v[18:19]
	s_delay_alu instid0(VALU_DEP_2) | instskip(NEXT) | instid1(VALU_DEP_2)
	v_mov_b64_e32 v[14:15], v[204:205]
	v_mov_b64_e32 v[16:17], v[206:207]
	ds_store_b128 v173, v[204:207]
.LBB192_278:                            ;   in Loop: Header=BB192_3 Depth=1
	s_or_b32 exec_lo, exec_lo, s46
	s_wait_dscnt 0x0
	s_barrier_signal -1
	s_barrier_wait -1
	s_barrier_signal -1
	s_barrier_wait -1
	s_and_saveexec_b32 s46, s11
; %bb.279:                              ;   in Loop: Header=BB192_3 Depth=1
	s_delay_alu instid0(VALU_DEP_1) | instskip(NEXT) | instid1(VALU_DEP_4)
	v_xor_b32_e32 v17, 0x80000000, v17
	v_xor_b32_e32 v15, 0x80000000, v15
	ds_store_b128 v174, v[14:17] offset:256
; %bb.280:                              ;   in Loop: Header=BB192_3 Depth=1
	s_or_b32 exec_lo, exec_lo, s46
	s_wait_dscnt 0x0
	s_barrier_signal -1
	s_barrier_wait -1
	s_barrier_signal -1
	s_barrier_wait -1
	s_and_saveexec_b32 s46, s88
	s_cbranch_execz .LBB192_282
; %bb.281:                              ;   in Loop: Header=BB192_3 Depth=1
	ds_load_b128 v[14:17], v131
	s_wait_dscnt 0x0
	ds_store_b128 v113, v[14:17]
	ds_load_b128 v[14:17], v132
	s_wait_dscnt 0x0
	ds_store_b128 v114, v[14:17]
	;; [unrolled: 3-line block ×16, first 2 shown]
.LBB192_282:                            ;   in Loop: Header=BB192_3 Depth=1
	s_or_b32 exec_lo, exec_lo, s46
	s_wait_dscnt 0x0
	s_barrier_signal -1
	s_barrier_wait -1
	s_and_saveexec_b32 s46, s31
	s_cbranch_execz .LBB192_284
; %bb.283:                              ;   in Loop: Header=BB192_3 Depth=1
	ds_load_b128 v[14:17], v2 offset:8976
	ds_load_b128 v[18:21], v2 offset:8448
	s_wait_dscnt 0x0
	v_mul_f64_e32 v[4:5], v[14:15], v[20:21]
	v_mul_f64_e32 v[20:21], v[16:17], v[20:21]
	s_delay_alu instid0(VALU_DEP_2) | instskip(NEXT) | instid1(VALU_DEP_2)
	v_fmac_f64_e32 v[4:5], v[16:17], v[18:19]
	v_fma_f64 v[20:21], v[14:15], v[18:19], -v[20:21]
	ds_load_b128 v[14:17], v2 offset:8464
	s_wait_dscnt 0x0
	v_mul_f64_e32 v[40:41], v[4:5], v[16:17]
	v_mul_f64_e32 v[18:19], v[20:21], v[16:17]
	s_delay_alu instid0(VALU_DEP_2) | instskip(NEXT) | instid1(VALU_DEP_2)
	v_fma_f64 v[16:17], v[14:15], v[20:21], -v[40:41]
	v_fmac_f64_e32 v[18:19], v[14:15], v[4:5]
	ds_store_b128 v2, v[16:19] offset:8464
	ds_store_b128 v2, v[16:19] offset:8960
.LBB192_284:                            ;   in Loop: Header=BB192_3 Depth=1
	s_or_b32 exec_lo, exec_lo, s46
	v_mov_b64_e32 v[16:17], 0
	v_mov_b64_e32 v[14:15], 0
	s_wait_dscnt 0x0
	s_barrier_signal -1
	s_barrier_wait -1
	s_and_saveexec_b32 s46, s3
	s_cbranch_execz .LBB192_288
; %bb.285:                              ;   in Loop: Header=BB192_3 Depth=1
	ds_load_b128 v[14:17], v44 offset:8448
	ds_load_b128 v[18:21], v43 offset:8480
	s_wait_dscnt 0x0
	v_mul_f64_e32 v[4:5], v[16:17], v[20:21]
	v_mul_f64_e32 v[20:21], v[14:15], v[20:21]
	s_delay_alu instid0(VALU_DEP_2) | instskip(NEXT) | instid1(VALU_DEP_2)
	v_fma_f64 v[4:5], v[14:15], v[18:19], -v[4:5]
	v_fmac_f64_e32 v[20:21], v[16:17], v[18:19]
	s_delay_alu instid0(VALU_DEP_2) | instskip(NEXT) | instid1(VALU_DEP_2)
	v_add_f64_e32 v[14:15], 0, v[4:5]
	v_add_f64_e32 v[16:17], 0, v[20:21]
	s_and_saveexec_b32 s47, s4
	s_cbranch_execz .LBB192_287
; %bb.286:                              ;   in Loop: Header=BB192_3 Depth=1
	ds_load_b128 v[18:21], v2 offset:8464
	ds_load_b128 v[204:207], v45 offset:8992
	s_wait_dscnt 0x0
	v_mul_f64_e32 v[4:5], v[20:21], v[206:207]
	s_delay_alu instid0(VALU_DEP_1) | instskip(SKIP_1) | instid1(VALU_DEP_2)
	v_fma_f64 v[4:5], v[18:19], v[204:205], -v[4:5]
	v_mul_f64_e32 v[18:19], v[18:19], v[206:207]
	v_add_f64_e32 v[14:15], v[14:15], v[4:5]
	s_delay_alu instid0(VALU_DEP_2) | instskip(NEXT) | instid1(VALU_DEP_1)
	v_fmac_f64_e32 v[18:19], v[20:21], v[204:205]
	v_add_f64_e32 v[16:17], v[16:17], v[18:19]
.LBB192_287:                            ;   in Loop: Header=BB192_3 Depth=1
	s_or_b32 exec_lo, exec_lo, s47
	s_delay_alu instid0(VALU_DEP_2) | instskip(NEXT) | instid1(VALU_DEP_2)
	v_xor_b32_e32 v15, 0x80000000, v15
	v_xor_b32_e32 v17, 0x80000000, v17
.LBB192_288:                            ;   in Loop: Header=BB192_3 Depth=1
	s_or_b32 exec_lo, exec_lo, s46
	s_and_saveexec_b32 s46, s63
	s_cbranch_execz .LBB192_290
; %bb.289:                              ;   in Loop: Header=BB192_3 Depth=1
	ds_load_b128 v[18:21], v2 offset:9504
	s_wait_dscnt 0x0
	v_mul_f64_e32 v[4:5], v[16:17], v[20:21]
	v_mul_f64_e32 v[206:207], v[14:15], v[20:21]
	s_delay_alu instid0(VALU_DEP_2) | instskip(NEXT) | instid1(VALU_DEP_2)
	v_fma_f64 v[204:205], v[14:15], v[18:19], -v[4:5]
	v_fmac_f64_e32 v[206:207], v[16:17], v[18:19]
	s_delay_alu instid0(VALU_DEP_2) | instskip(NEXT) | instid1(VALU_DEP_2)
	v_mov_b64_e32 v[14:15], v[204:205]
	v_mov_b64_e32 v[16:17], v[206:207]
	ds_store_b128 v23, v[204:207]
.LBB192_290:                            ;   in Loop: Header=BB192_3 Depth=1
	s_or_b32 exec_lo, exec_lo, s46
	s_wait_dscnt 0x0
	s_barrier_signal -1
	s_barrier_wait -1
	s_and_saveexec_b32 s46, s64
	s_cbranch_execz .LBB192_292
; %bb.291:                              ;   in Loop: Header=BB192_3 Depth=1
	ds_load_b128 v[18:21], v23
	ds_load_b128 v[204:207], v2 offset:9520
	s_wait_dscnt 0x0
	v_mul_f64_e32 v[4:5], v[20:21], v[206:207]
	s_delay_alu instid0(VALU_DEP_1) | instskip(SKIP_1) | instid1(VALU_DEP_2)
	v_fma_f64 v[4:5], v[18:19], v[204:205], -v[4:5]
	v_mul_f64_e32 v[18:19], v[18:19], v[206:207]
	v_add_f64_e32 v[14:15], v[14:15], v[4:5]
	s_delay_alu instid0(VALU_DEP_2) | instskip(NEXT) | instid1(VALU_DEP_1)
	v_fmac_f64_e32 v[18:19], v[20:21], v[204:205]
	v_add_f64_e32 v[16:17], v[16:17], v[18:19]
.LBB192_292:                            ;   in Loop: Header=BB192_3 Depth=1
	s_or_b32 exec_lo, exec_lo, s46
	s_barrier_signal -1
	s_barrier_wait -1
	s_and_saveexec_b32 s46, s64
	s_cbranch_execz .LBB192_294
; %bb.293:                              ;   in Loop: Header=BB192_3 Depth=1
	ds_load_b128 v[18:21], v2 offset:10032
	s_wait_dscnt 0x0
	v_mul_f64_e32 v[4:5], v[16:17], v[20:21]
	v_mul_f64_e32 v[206:207], v[14:15], v[20:21]
	s_delay_alu instid0(VALU_DEP_2) | instskip(NEXT) | instid1(VALU_DEP_2)
	v_fma_f64 v[204:205], v[14:15], v[18:19], -v[4:5]
	v_fmac_f64_e32 v[206:207], v[16:17], v[18:19]
	s_delay_alu instid0(VALU_DEP_2) | instskip(NEXT) | instid1(VALU_DEP_2)
	v_mov_b64_e32 v[14:15], v[204:205]
	v_mov_b64_e32 v[16:17], v[206:207]
	ds_store_b128 v23, v[204:207]
.LBB192_294:                            ;   in Loop: Header=BB192_3 Depth=1
	s_or_b32 exec_lo, exec_lo, s46
	s_wait_dscnt 0x0
	s_barrier_signal -1
	s_barrier_wait -1
	s_barrier_signal -1
	s_barrier_wait -1
	s_and_saveexec_b32 s46, s3
; %bb.295:                              ;   in Loop: Header=BB192_3 Depth=1
	s_delay_alu instid0(VALU_DEP_3) | instskip(NEXT) | instid1(VALU_DEP_2)
	v_xor_b32_e32 v15, 0x80000000, v15
	v_xor_b32_e32 v17, 0x80000000, v17
	ds_store_b128 v43, v[14:17] offset:8480
; %bb.296:                              ;   in Loop: Header=BB192_3 Depth=1
	s_or_b32 exec_lo, exec_lo, s46
	s_wait_dscnt 0x0
	s_barrier_signal -1
	s_barrier_wait -1
	s_barrier_signal -1
	s_barrier_wait -1
	s_and_saveexec_b32 s46, s65
	s_cbranch_execz .LBB192_298
; %bb.297:                              ;   in Loop: Header=BB192_3 Depth=1
	ds_load_b128 v[14:17], v71
	s_wait_dscnt 0x0
	ds_store_b128 v175, v[14:17]
	ds_load_b128 v[14:17], v72
	s_wait_dscnt 0x0
	ds_store_b128 v176, v[14:17]
.LBB192_298:                            ;   in Loop: Header=BB192_3 Depth=1
	s_or_b32 exec_lo, exec_lo, s46
	s_wait_dscnt 0x0
	s_barrier_signal -1
	s_barrier_wait -1
	s_and_saveexec_b32 s46, s31
	s_cbranch_execz .LBB192_300
; %bb.299:                              ;   in Loop: Header=BB192_3 Depth=1
	ds_load_b128 v[14:17], v2 offset:10032
	ds_load_b128 v[18:21], v2 offset:9504
	s_wait_dscnt 0x0
	v_mul_f64_e32 v[4:5], v[14:15], v[20:21]
	v_mul_f64_e32 v[20:21], v[16:17], v[20:21]
	s_delay_alu instid0(VALU_DEP_2) | instskip(NEXT) | instid1(VALU_DEP_2)
	v_fmac_f64_e32 v[4:5], v[16:17], v[18:19]
	v_fma_f64 v[20:21], v[14:15], v[18:19], -v[20:21]
	ds_load_b128 v[14:17], v2 offset:9520
	s_wait_dscnt 0x0
	v_mul_f64_e32 v[40:41], v[4:5], v[16:17]
	v_mul_f64_e32 v[18:19], v[20:21], v[16:17]
	s_delay_alu instid0(VALU_DEP_2) | instskip(NEXT) | instid1(VALU_DEP_2)
	v_fma_f64 v[16:17], v[14:15], v[20:21], -v[40:41]
	v_fmac_f64_e32 v[18:19], v[14:15], v[4:5]
	ds_store_b128 v2, v[16:19] offset:9520
	ds_store_b128 v2, v[16:19] offset:10016
.LBB192_300:                            ;   in Loop: Header=BB192_3 Depth=1
	s_or_b32 exec_lo, exec_lo, s46
	v_mov_b64_e32 v[16:17], 0
	v_mov_b64_e32 v[14:15], 0
	s_wait_dscnt 0x0
	s_barrier_signal -1
	s_barrier_wait -1
	s_and_saveexec_b32 s46, s6
	s_cbranch_execz .LBB192_306
; %bb.301:                              ;   in Loop: Header=BB192_3 Depth=1
	ds_load_b128 v[14:17], v47 offset:8448
	ds_load_b128 v[18:21], v52 offset:8512
	s_wait_dscnt 0x0
	v_mul_f64_e32 v[4:5], v[16:17], v[20:21]
	v_mul_f64_e32 v[20:21], v[14:15], v[20:21]
	s_delay_alu instid0(VALU_DEP_2) | instskip(NEXT) | instid1(VALU_DEP_2)
	v_fma_f64 v[4:5], v[14:15], v[18:19], -v[4:5]
	v_fmac_f64_e32 v[20:21], v[16:17], v[18:19]
	s_delay_alu instid0(VALU_DEP_2) | instskip(NEXT) | instid1(VALU_DEP_2)
	v_add_f64_e32 v[14:15], 0, v[4:5]
	v_add_f64_e32 v[16:17], 0, v[20:21]
	s_and_saveexec_b32 s47, s7
	s_cbranch_execnz .LBB192_564
; %bb.302:                              ;   in Loop: Header=BB192_3 Depth=1
	s_or_b32 exec_lo, exec_lo, s47
	s_and_saveexec_b32 s47, s8
	s_cbranch_execnz .LBB192_565
.LBB192_303:                            ;   in Loop: Header=BB192_3 Depth=1
	s_or_b32 exec_lo, exec_lo, s47
	s_and_saveexec_b32 s47, s3
	s_cbranch_execz .LBB192_305
.LBB192_304:                            ;   in Loop: Header=BB192_3 Depth=1
	ds_load_b128 v[18:21], v2 offset:8496
	ds_load_b128 v[204:207], v50 offset:10048
	s_wait_dscnt 0x0
	v_mul_f64_e32 v[4:5], v[20:21], v[206:207]
	s_delay_alu instid0(VALU_DEP_1) | instskip(SKIP_1) | instid1(VALU_DEP_2)
	v_fma_f64 v[4:5], v[18:19], v[204:205], -v[4:5]
	v_mul_f64_e32 v[18:19], v[18:19], v[206:207]
	v_add_f64_e32 v[14:15], v[14:15], v[4:5]
	s_delay_alu instid0(VALU_DEP_2) | instskip(NEXT) | instid1(VALU_DEP_1)
	v_fmac_f64_e32 v[18:19], v[20:21], v[204:205]
	v_add_f64_e32 v[16:17], v[16:17], v[18:19]
.LBB192_305:                            ;   in Loop: Header=BB192_3 Depth=1
	s_or_b32 exec_lo, exec_lo, s47
	s_delay_alu instid0(VALU_DEP_2) | instskip(NEXT) | instid1(VALU_DEP_2)
	v_xor_b32_e32 v15, 0x80000000, v15
	v_xor_b32_e32 v17, 0x80000000, v17
.LBB192_306:                            ;   in Loop: Header=BB192_3 Depth=1
	s_or_b32 exec_lo, exec_lo, s46
	s_and_saveexec_b32 s46, s66
	s_cbranch_execz .LBB192_308
; %bb.307:                              ;   in Loop: Header=BB192_3 Depth=1
	ds_load_b128 v[18:21], v2 offset:10560
	s_wait_dscnt 0x0
	v_mul_f64_e32 v[4:5], v[16:17], v[20:21]
	v_mul_f64_e32 v[206:207], v[14:15], v[20:21]
	s_delay_alu instid0(VALU_DEP_2) | instskip(NEXT) | instid1(VALU_DEP_2)
	v_fma_f64 v[204:205], v[14:15], v[18:19], -v[4:5]
	v_fmac_f64_e32 v[206:207], v[16:17], v[18:19]
	s_delay_alu instid0(VALU_DEP_2) | instskip(NEXT) | instid1(VALU_DEP_2)
	v_mov_b64_e32 v[14:15], v[204:205]
	v_mov_b64_e32 v[16:17], v[206:207]
	ds_store_b128 v51, v[204:207]
.LBB192_308:                            ;   in Loop: Header=BB192_3 Depth=1
	s_or_b32 exec_lo, exec_lo, s46
	s_wait_dscnt 0x0
	s_barrier_signal -1
	s_barrier_wait -1
	s_and_saveexec_b32 s46, s67
	s_cbranch_execz .LBB192_310
; %bb.309:                              ;   in Loop: Header=BB192_3 Depth=1
	ds_load_b128 v[18:21], v51
	ds_load_b128 v[204:207], v49 offset:10560
	s_wait_dscnt 0x0
	v_mul_f64_e32 v[4:5], v[20:21], v[206:207]
	s_delay_alu instid0(VALU_DEP_1) | instskip(SKIP_1) | instid1(VALU_DEP_2)
	v_fma_f64 v[4:5], v[18:19], v[204:205], -v[4:5]
	v_mul_f64_e32 v[18:19], v[18:19], v[206:207]
	v_add_f64_e32 v[14:15], v[14:15], v[4:5]
	s_delay_alu instid0(VALU_DEP_2) | instskip(NEXT) | instid1(VALU_DEP_1)
	v_fmac_f64_e32 v[18:19], v[20:21], v[204:205]
	v_add_f64_e32 v[16:17], v[16:17], v[18:19]
.LBB192_310:                            ;   in Loop: Header=BB192_3 Depth=1
	s_or_b32 exec_lo, exec_lo, s46
	s_barrier_signal -1
	s_barrier_wait -1
	s_and_saveexec_b32 s46, s68
	s_cbranch_execz .LBB192_312
; %bb.311:                              ;   in Loop: Header=BB192_3 Depth=1
	ds_load_b128 v[18:21], v2 offset:11088
	s_wait_dscnt 0x0
	v_mul_f64_e32 v[4:5], v[16:17], v[20:21]
	v_mul_f64_e32 v[206:207], v[14:15], v[20:21]
	s_delay_alu instid0(VALU_DEP_2) | instskip(NEXT) | instid1(VALU_DEP_2)
	v_fma_f64 v[204:205], v[14:15], v[18:19], -v[4:5]
	v_fmac_f64_e32 v[206:207], v[16:17], v[18:19]
	s_delay_alu instid0(VALU_DEP_2) | instskip(NEXT) | instid1(VALU_DEP_2)
	v_mov_b64_e32 v[14:15], v[204:205]
	v_mov_b64_e32 v[16:17], v[206:207]
	ds_store_b128 v51, v[204:207]
.LBB192_312:                            ;   in Loop: Header=BB192_3 Depth=1
	s_or_b32 exec_lo, exec_lo, s46
	s_wait_dscnt 0x0
	s_barrier_signal -1
	s_barrier_wait -1
	s_and_saveexec_b32 s46, s69
	s_cbranch_execz .LBB192_314
; %bb.313:                              ;   in Loop: Header=BB192_3 Depth=1
	ds_load_b128 v[18:21], v51
	ds_load_b128 v[204:207], v49 offset:11072
	s_wait_dscnt 0x0
	v_mul_f64_e32 v[4:5], v[20:21], v[206:207]
	s_delay_alu instid0(VALU_DEP_1) | instskip(SKIP_1) | instid1(VALU_DEP_2)
	v_fma_f64 v[4:5], v[18:19], v[204:205], -v[4:5]
	v_mul_f64_e32 v[18:19], v[18:19], v[206:207]
	v_add_f64_e32 v[14:15], v[14:15], v[4:5]
	s_delay_alu instid0(VALU_DEP_2) | instskip(NEXT) | instid1(VALU_DEP_1)
	v_fmac_f64_e32 v[18:19], v[20:21], v[204:205]
	v_add_f64_e32 v[16:17], v[16:17], v[18:19]
.LBB192_314:                            ;   in Loop: Header=BB192_3 Depth=1
	s_or_b32 exec_lo, exec_lo, s46
	s_barrier_signal -1
	s_barrier_wait -1
	;; [unrolled: 37-line block ×3, first 2 shown]
	s_and_saveexec_b32 s46, s71
	s_cbranch_execz .LBB192_320
; %bb.319:                              ;   in Loop: Header=BB192_3 Depth=1
	ds_load_b128 v[18:21], v2 offset:12144
	s_wait_dscnt 0x0
	v_mul_f64_e32 v[4:5], v[16:17], v[20:21]
	v_mul_f64_e32 v[206:207], v[14:15], v[20:21]
	s_delay_alu instid0(VALU_DEP_2) | instskip(NEXT) | instid1(VALU_DEP_2)
	v_fma_f64 v[204:205], v[14:15], v[18:19], -v[4:5]
	v_fmac_f64_e32 v[206:207], v[16:17], v[18:19]
	s_delay_alu instid0(VALU_DEP_2) | instskip(NEXT) | instid1(VALU_DEP_2)
	v_mov_b64_e32 v[14:15], v[204:205]
	v_mov_b64_e32 v[16:17], v[206:207]
	ds_store_b128 v51, v[204:207]
.LBB192_320:                            ;   in Loop: Header=BB192_3 Depth=1
	s_or_b32 exec_lo, exec_lo, s46
	s_wait_dscnt 0x0
	s_barrier_signal -1
	s_barrier_wait -1
	s_barrier_signal -1
	s_barrier_wait -1
	s_and_saveexec_b32 s46, s6
; %bb.321:                              ;   in Loop: Header=BB192_3 Depth=1
	s_delay_alu instid0(VALU_DEP_1) | instskip(NEXT) | instid1(VALU_DEP_4)
	v_xor_b32_e32 v17, 0x80000000, v17
	v_xor_b32_e32 v15, 0x80000000, v15
	ds_store_b128 v52, v[14:17] offset:8512
; %bb.322:                              ;   in Loop: Header=BB192_3 Depth=1
	s_or_b32 exec_lo, exec_lo, s46
	s_wait_dscnt 0x0
	s_barrier_signal -1
	s_barrier_wait -1
	s_barrier_signal -1
	s_barrier_wait -1
	s_and_saveexec_b32 s46, s72
	s_cbranch_execz .LBB192_324
; %bb.323:                              ;   in Loop: Header=BB192_3 Depth=1
	ds_load_b128 v[14:17], v86
	s_wait_dscnt 0x0
	ds_store_b128 v177, v[14:17]
	ds_load_b128 v[14:17], v89
	s_wait_dscnt 0x0
	ds_store_b128 v180, v[14:17]
	;; [unrolled: 3-line block ×4, first 2 shown]
.LBB192_324:                            ;   in Loop: Header=BB192_3 Depth=1
	s_or_b32 exec_lo, exec_lo, s46
	s_wait_dscnt 0x0
	s_barrier_signal -1
	s_barrier_wait -1
	s_and_saveexec_b32 s46, s31
	s_cbranch_execz .LBB192_326
; %bb.325:                              ;   in Loop: Header=BB192_3 Depth=1
	ds_load_b128 v[14:17], v2 offset:11088
	ds_load_b128 v[18:21], v2 offset:10560
	s_wait_dscnt 0x0
	v_mul_f64_e32 v[4:5], v[14:15], v[20:21]
	v_mul_f64_e32 v[20:21], v[16:17], v[20:21]
	s_delay_alu instid0(VALU_DEP_2) | instskip(NEXT) | instid1(VALU_DEP_2)
	v_fmac_f64_e32 v[4:5], v[16:17], v[18:19]
	v_fma_f64 v[20:21], v[14:15], v[18:19], -v[20:21]
	ds_load_b128 v[14:17], v2 offset:10576
	s_wait_dscnt 0x0
	v_mul_f64_e32 v[40:41], v[4:5], v[16:17]
	v_mul_f64_e32 v[18:19], v[20:21], v[16:17]
	s_delay_alu instid0(VALU_DEP_2) | instskip(NEXT) | instid1(VALU_DEP_2)
	v_fma_f64 v[16:17], v[14:15], v[20:21], -v[40:41]
	v_fmac_f64_e32 v[18:19], v[14:15], v[4:5]
	ds_store_b128 v2, v[16:19] offset:10576
	ds_store_b128 v2, v[16:19] offset:11072
.LBB192_326:                            ;   in Loop: Header=BB192_3 Depth=1
	s_or_b32 exec_lo, exec_lo, s46
	v_mov_b64_e32 v[16:17], 0
	v_mov_b64_e32 v[14:15], 0
	s_wait_dscnt 0x0
	s_barrier_signal -1
	s_barrier_wait -1
	s_and_saveexec_b32 s46, s3
	s_cbranch_execz .LBB192_330
; %bb.327:                              ;   in Loop: Header=BB192_3 Depth=1
	ds_load_b128 v[14:17], v44 offset:10560
	ds_load_b128 v[18:21], v43 offset:10592
	s_wait_dscnt 0x0
	v_mul_f64_e32 v[4:5], v[16:17], v[20:21]
	v_mul_f64_e32 v[20:21], v[14:15], v[20:21]
	s_delay_alu instid0(VALU_DEP_2) | instskip(NEXT) | instid1(VALU_DEP_2)
	v_fma_f64 v[4:5], v[14:15], v[18:19], -v[4:5]
	v_fmac_f64_e32 v[20:21], v[16:17], v[18:19]
	s_delay_alu instid0(VALU_DEP_2) | instskip(NEXT) | instid1(VALU_DEP_2)
	v_add_f64_e32 v[14:15], 0, v[4:5]
	v_add_f64_e32 v[16:17], 0, v[20:21]
	s_and_saveexec_b32 s47, s4
	s_cbranch_execz .LBB192_329
; %bb.328:                              ;   in Loop: Header=BB192_3 Depth=1
	ds_load_b128 v[18:21], v2 offset:10576
	ds_load_b128 v[204:207], v83 offset:11104
	s_wait_dscnt 0x0
	v_mul_f64_e32 v[4:5], v[20:21], v[206:207]
	s_delay_alu instid0(VALU_DEP_1) | instskip(SKIP_1) | instid1(VALU_DEP_2)
	v_fma_f64 v[4:5], v[18:19], v[204:205], -v[4:5]
	v_mul_f64_e32 v[18:19], v[18:19], v[206:207]
	v_add_f64_e32 v[14:15], v[14:15], v[4:5]
	s_delay_alu instid0(VALU_DEP_2) | instskip(NEXT) | instid1(VALU_DEP_1)
	v_fmac_f64_e32 v[18:19], v[20:21], v[204:205]
	v_add_f64_e32 v[16:17], v[16:17], v[18:19]
.LBB192_329:                            ;   in Loop: Header=BB192_3 Depth=1
	s_or_b32 exec_lo, exec_lo, s47
	s_delay_alu instid0(VALU_DEP_2) | instskip(NEXT) | instid1(VALU_DEP_2)
	v_xor_b32_e32 v15, 0x80000000, v15
	v_xor_b32_e32 v17, 0x80000000, v17
.LBB192_330:                            ;   in Loop: Header=BB192_3 Depth=1
	s_or_b32 exec_lo, exec_lo, s46
	s_and_saveexec_b32 s46, s63
	s_cbranch_execz .LBB192_332
; %bb.331:                              ;   in Loop: Header=BB192_3 Depth=1
	ds_load_b128 v[18:21], v2 offset:11616
	s_wait_dscnt 0x0
	v_mul_f64_e32 v[4:5], v[16:17], v[20:21]
	v_mul_f64_e32 v[206:207], v[14:15], v[20:21]
	s_delay_alu instid0(VALU_DEP_2) | instskip(NEXT) | instid1(VALU_DEP_2)
	v_fma_f64 v[204:205], v[14:15], v[18:19], -v[4:5]
	v_fmac_f64_e32 v[206:207], v[16:17], v[18:19]
	s_delay_alu instid0(VALU_DEP_2) | instskip(NEXT) | instid1(VALU_DEP_2)
	v_mov_b64_e32 v[14:15], v[204:205]
	v_mov_b64_e32 v[16:17], v[206:207]
	ds_store_b128 v23, v[204:207]
.LBB192_332:                            ;   in Loop: Header=BB192_3 Depth=1
	s_or_b32 exec_lo, exec_lo, s46
	s_wait_dscnt 0x0
	s_barrier_signal -1
	s_barrier_wait -1
	s_and_saveexec_b32 s46, s64
	s_cbranch_execz .LBB192_334
; %bb.333:                              ;   in Loop: Header=BB192_3 Depth=1
	ds_load_b128 v[18:21], v23
	ds_load_b128 v[204:207], v2 offset:11632
	s_wait_dscnt 0x0
	v_mul_f64_e32 v[4:5], v[20:21], v[206:207]
	s_delay_alu instid0(VALU_DEP_1) | instskip(SKIP_1) | instid1(VALU_DEP_2)
	v_fma_f64 v[4:5], v[18:19], v[204:205], -v[4:5]
	v_mul_f64_e32 v[18:19], v[18:19], v[206:207]
	v_add_f64_e32 v[14:15], v[14:15], v[4:5]
	s_delay_alu instid0(VALU_DEP_2) | instskip(NEXT) | instid1(VALU_DEP_1)
	v_fmac_f64_e32 v[18:19], v[20:21], v[204:205]
	v_add_f64_e32 v[16:17], v[16:17], v[18:19]
.LBB192_334:                            ;   in Loop: Header=BB192_3 Depth=1
	s_or_b32 exec_lo, exec_lo, s46
	s_barrier_signal -1
	s_barrier_wait -1
	s_and_saveexec_b32 s46, s64
	s_cbranch_execz .LBB192_336
; %bb.335:                              ;   in Loop: Header=BB192_3 Depth=1
	ds_load_b128 v[18:21], v2 offset:12144
	s_wait_dscnt 0x0
	v_mul_f64_e32 v[4:5], v[16:17], v[20:21]
	v_mul_f64_e32 v[206:207], v[14:15], v[20:21]
	s_delay_alu instid0(VALU_DEP_2) | instskip(NEXT) | instid1(VALU_DEP_2)
	v_fma_f64 v[204:205], v[14:15], v[18:19], -v[4:5]
	v_fmac_f64_e32 v[206:207], v[16:17], v[18:19]
	s_delay_alu instid0(VALU_DEP_2) | instskip(NEXT) | instid1(VALU_DEP_2)
	v_mov_b64_e32 v[14:15], v[204:205]
	v_mov_b64_e32 v[16:17], v[206:207]
	ds_store_b128 v23, v[204:207]
.LBB192_336:                            ;   in Loop: Header=BB192_3 Depth=1
	s_or_b32 exec_lo, exec_lo, s46
	s_wait_dscnt 0x0
	s_barrier_signal -1
	s_barrier_wait -1
	s_barrier_signal -1
	s_barrier_wait -1
	s_and_saveexec_b32 s46, s3
; %bb.337:                              ;   in Loop: Header=BB192_3 Depth=1
	s_delay_alu instid0(VALU_DEP_3) | instskip(NEXT) | instid1(VALU_DEP_2)
	v_xor_b32_e32 v15, 0x80000000, v15
	v_xor_b32_e32 v17, 0x80000000, v17
	ds_store_b128 v43, v[14:17] offset:10592
; %bb.338:                              ;   in Loop: Header=BB192_3 Depth=1
	s_or_b32 exec_lo, exec_lo, s46
	s_wait_dscnt 0x0
	s_barrier_signal -1
	s_barrier_wait -1
	s_barrier_signal -1
	s_barrier_wait -1
	s_and_saveexec_b32 s46, s65
	s_cbranch_execz .LBB192_340
; %bb.339:                              ;   in Loop: Header=BB192_3 Depth=1
	ds_load_b128 v[14:17], v99
	s_wait_dscnt 0x0
	ds_store_b128 v181, v[14:17]
	ds_load_b128 v[14:17], v100
	s_wait_dscnt 0x0
	ds_store_b128 v182, v[14:17]
.LBB192_340:                            ;   in Loop: Header=BB192_3 Depth=1
	s_or_b32 exec_lo, exec_lo, s46
	s_wait_dscnt 0x0
	s_barrier_signal -1
	s_barrier_wait -1
	s_and_saveexec_b32 s46, s31
	s_cbranch_execz .LBB192_342
; %bb.341:                              ;   in Loop: Header=BB192_3 Depth=1
	ds_load_b128 v[14:17], v2 offset:12144
	ds_load_b128 v[18:21], v2 offset:11616
	s_wait_dscnt 0x0
	v_mul_f64_e32 v[4:5], v[14:15], v[20:21]
	v_mul_f64_e32 v[20:21], v[16:17], v[20:21]
	s_delay_alu instid0(VALU_DEP_2) | instskip(NEXT) | instid1(VALU_DEP_2)
	v_fmac_f64_e32 v[4:5], v[16:17], v[18:19]
	v_fma_f64 v[20:21], v[14:15], v[18:19], -v[20:21]
	ds_load_b128 v[14:17], v2 offset:11632
	s_wait_dscnt 0x0
	v_mul_f64_e32 v[40:41], v[4:5], v[16:17]
	v_mul_f64_e32 v[18:19], v[20:21], v[16:17]
	s_delay_alu instid0(VALU_DEP_2) | instskip(NEXT) | instid1(VALU_DEP_2)
	v_fma_f64 v[16:17], v[14:15], v[20:21], -v[40:41]
	v_fmac_f64_e32 v[18:19], v[14:15], v[4:5]
	ds_store_b128 v2, v[16:19] offset:11632
	ds_store_b128 v2, v[16:19] offset:12128
.LBB192_342:                            ;   in Loop: Header=BB192_3 Depth=1
	s_or_b32 exec_lo, exec_lo, s46
	v_mov_b64_e32 v[16:17], 0
	v_mov_b64_e32 v[14:15], 0
	s_wait_dscnt 0x0
	s_barrier_signal -1
	s_barrier_wait -1
	s_and_saveexec_b32 s46, s9
	s_cbranch_execz .LBB192_352
; %bb.343:                              ;   in Loop: Header=BB192_3 Depth=1
	ds_load_b128 v[14:17], v54 offset:8448
	ds_load_b128 v[18:21], v59 offset:8576
	s_wait_dscnt 0x0
	v_mul_f64_e32 v[4:5], v[16:17], v[20:21]
	v_mul_f64_e32 v[20:21], v[14:15], v[20:21]
	s_delay_alu instid0(VALU_DEP_2) | instskip(NEXT) | instid1(VALU_DEP_2)
	v_fma_f64 v[4:5], v[14:15], v[18:19], -v[4:5]
	v_fmac_f64_e32 v[20:21], v[16:17], v[18:19]
	s_delay_alu instid0(VALU_DEP_2) | instskip(NEXT) | instid1(VALU_DEP_2)
	v_add_f64_e32 v[14:15], 0, v[4:5]
	v_add_f64_e32 v[16:17], 0, v[20:21]
	s_mov_b32 s47, exec_lo
	v_readlane_b32 s93, v212, 0
	s_and_b32 s93, s47, s93
	s_delay_alu instid0(SALU_CYCLE_1)
	s_mov_b32 exec_lo, s93
	s_cbranch_execnz .LBB192_566
; %bb.344:                              ;   in Loop: Header=BB192_3 Depth=1
	s_or_b32 exec_lo, exec_lo, s47
	s_and_saveexec_b32 s47, s16
	s_cbranch_execnz .LBB192_567
.LBB192_345:                            ;   in Loop: Header=BB192_3 Depth=1
	s_or_b32 exec_lo, exec_lo, s47
	s_and_saveexec_b32 s47, s17
	s_cbranch_execnz .LBB192_568
.LBB192_346:                            ;   in Loop: Header=BB192_3 Depth=1
	s_or_b32 exec_lo, exec_lo, s47
	s_and_saveexec_b32 s47, s18
	s_cbranch_execnz .LBB192_569
.LBB192_347:                            ;   in Loop: Header=BB192_3 Depth=1
	s_or_b32 exec_lo, exec_lo, s47
	s_and_saveexec_b32 s47, s19
	s_cbranch_execnz .LBB192_570
.LBB192_348:                            ;   in Loop: Header=BB192_3 Depth=1
	s_or_b32 exec_lo, exec_lo, s47
	s_and_saveexec_b32 s47, s6
	s_cbranch_execnz .LBB192_571
.LBB192_349:                            ;   in Loop: Header=BB192_3 Depth=1
	s_or_b32 exec_lo, exec_lo, s47
	s_and_saveexec_b32 s47, s8
	s_cbranch_execz .LBB192_351
.LBB192_350:                            ;   in Loop: Header=BB192_3 Depth=1
	ds_load_b128 v[18:21], v2 offset:8560
	ds_load_b128 v[204:207], v45 offset:12160
	s_wait_dscnt 0x0
	v_mul_f64_e32 v[4:5], v[20:21], v[206:207]
	s_delay_alu instid0(VALU_DEP_1) | instskip(SKIP_1) | instid1(VALU_DEP_2)
	v_fma_f64 v[4:5], v[18:19], v[204:205], -v[4:5]
	v_mul_f64_e32 v[18:19], v[18:19], v[206:207]
	v_add_f64_e32 v[14:15], v[14:15], v[4:5]
	s_delay_alu instid0(VALU_DEP_2) | instskip(NEXT) | instid1(VALU_DEP_1)
	v_fmac_f64_e32 v[18:19], v[20:21], v[204:205]
	v_add_f64_e32 v[16:17], v[16:17], v[18:19]
.LBB192_351:                            ;   in Loop: Header=BB192_3 Depth=1
	s_or_b32 exec_lo, exec_lo, s47
	s_delay_alu instid0(VALU_DEP_3) | instskip(NEXT) | instid1(VALU_DEP_2)
	v_xor_b32_e32 v15, 0x80000000, v15
	v_xor_b32_e32 v17, 0x80000000, v17
.LBB192_352:                            ;   in Loop: Header=BB192_3 Depth=1
	s_or_b32 exec_lo, exec_lo, s46
	s_and_saveexec_b32 s46, s73
	s_cbranch_execz .LBB192_354
; %bb.353:                              ;   in Loop: Header=BB192_3 Depth=1
	ds_load_b128 v[18:21], v2 offset:12672
	s_wait_dscnt 0x0
	v_mul_f64_e32 v[4:5], v[16:17], v[20:21]
	v_mul_f64_e32 v[206:207], v[14:15], v[20:21]
	s_delay_alu instid0(VALU_DEP_2) | instskip(NEXT) | instid1(VALU_DEP_2)
	v_fma_f64 v[204:205], v[14:15], v[18:19], -v[4:5]
	v_fmac_f64_e32 v[206:207], v[16:17], v[18:19]
	s_delay_alu instid0(VALU_DEP_2) | instskip(NEXT) | instid1(VALU_DEP_2)
	v_mov_b64_e32 v[14:15], v[204:205]
	v_mov_b64_e32 v[16:17], v[206:207]
	ds_store_b128 v58, v[204:207]
.LBB192_354:                            ;   in Loop: Header=BB192_3 Depth=1
	s_or_b32 exec_lo, exec_lo, s46
	s_wait_dscnt 0x0
	s_barrier_signal -1
	s_barrier_wait -1
	s_and_saveexec_b32 s46, s74
	s_cbranch_execz .LBB192_356
; %bb.355:                              ;   in Loop: Header=BB192_3 Depth=1
	ds_load_b128 v[18:21], v58
	ds_load_b128 v[204:207], v56 offset:12672
	s_wait_dscnt 0x0
	v_mul_f64_e32 v[4:5], v[20:21], v[206:207]
	s_delay_alu instid0(VALU_DEP_1) | instskip(SKIP_1) | instid1(VALU_DEP_2)
	v_fma_f64 v[4:5], v[18:19], v[204:205], -v[4:5]
	v_mul_f64_e32 v[18:19], v[18:19], v[206:207]
	v_add_f64_e32 v[14:15], v[14:15], v[4:5]
	s_delay_alu instid0(VALU_DEP_2) | instskip(NEXT) | instid1(VALU_DEP_1)
	v_fmac_f64_e32 v[18:19], v[20:21], v[204:205]
	v_add_f64_e32 v[16:17], v[16:17], v[18:19]
.LBB192_356:                            ;   in Loop: Header=BB192_3 Depth=1
	s_or_b32 exec_lo, exec_lo, s46
	s_barrier_signal -1
	s_barrier_wait -1
	s_and_saveexec_b32 s46, s75
	s_cbranch_execz .LBB192_358
; %bb.357:                              ;   in Loop: Header=BB192_3 Depth=1
	ds_load_b128 v[18:21], v2 offset:13200
	s_wait_dscnt 0x0
	v_mul_f64_e32 v[4:5], v[16:17], v[20:21]
	v_mul_f64_e32 v[206:207], v[14:15], v[20:21]
	s_delay_alu instid0(VALU_DEP_2) | instskip(NEXT) | instid1(VALU_DEP_2)
	v_fma_f64 v[204:205], v[14:15], v[18:19], -v[4:5]
	v_fmac_f64_e32 v[206:207], v[16:17], v[18:19]
	s_delay_alu instid0(VALU_DEP_2) | instskip(NEXT) | instid1(VALU_DEP_2)
	v_mov_b64_e32 v[14:15], v[204:205]
	v_mov_b64_e32 v[16:17], v[206:207]
	ds_store_b128 v58, v[204:207]
.LBB192_358:                            ;   in Loop: Header=BB192_3 Depth=1
	s_or_b32 exec_lo, exec_lo, s46
	s_wait_dscnt 0x0
	s_barrier_signal -1
	s_barrier_wait -1
	s_and_saveexec_b32 s46, s76
	s_cbranch_execz .LBB192_360
; %bb.359:                              ;   in Loop: Header=BB192_3 Depth=1
	ds_load_b128 v[18:21], v58
	ds_load_b128 v[204:207], v56 offset:13184
	s_wait_dscnt 0x0
	v_mul_f64_e32 v[4:5], v[20:21], v[206:207]
	s_delay_alu instid0(VALU_DEP_1) | instskip(SKIP_1) | instid1(VALU_DEP_2)
	v_fma_f64 v[4:5], v[18:19], v[204:205], -v[4:5]
	v_mul_f64_e32 v[18:19], v[18:19], v[206:207]
	v_add_f64_e32 v[14:15], v[14:15], v[4:5]
	s_delay_alu instid0(VALU_DEP_2) | instskip(NEXT) | instid1(VALU_DEP_1)
	v_fmac_f64_e32 v[18:19], v[20:21], v[204:205]
	v_add_f64_e32 v[16:17], v[16:17], v[18:19]
.LBB192_360:                            ;   in Loop: Header=BB192_3 Depth=1
	s_or_b32 exec_lo, exec_lo, s46
	s_barrier_signal -1
	s_barrier_wait -1
	;; [unrolled: 37-line block ×7, first 2 shown]
	s_and_saveexec_b32 s46, s86
	s_cbranch_execz .LBB192_382
; %bb.381:                              ;   in Loop: Header=BB192_3 Depth=1
	ds_load_b128 v[18:21], v2 offset:16368
	s_wait_dscnt 0x0
	v_mul_f64_e32 v[4:5], v[16:17], v[20:21]
	v_mul_f64_e32 v[206:207], v[14:15], v[20:21]
	s_delay_alu instid0(VALU_DEP_2) | instskip(NEXT) | instid1(VALU_DEP_2)
	v_fma_f64 v[204:205], v[14:15], v[18:19], -v[4:5]
	v_fmac_f64_e32 v[206:207], v[16:17], v[18:19]
	s_delay_alu instid0(VALU_DEP_2) | instskip(NEXT) | instid1(VALU_DEP_2)
	v_mov_b64_e32 v[14:15], v[204:205]
	v_mov_b64_e32 v[16:17], v[206:207]
	ds_store_b128 v58, v[204:207]
.LBB192_382:                            ;   in Loop: Header=BB192_3 Depth=1
	s_or_b32 exec_lo, exec_lo, s46
	s_wait_dscnt 0x0
	s_barrier_signal -1
	s_barrier_wait -1
	s_barrier_signal -1
	s_barrier_wait -1
	s_and_saveexec_b32 s46, s9
; %bb.383:                              ;   in Loop: Header=BB192_3 Depth=1
	s_delay_alu instid0(VALU_DEP_3) | instskip(NEXT) | instid1(VALU_DEP_2)
	v_xor_b32_e32 v15, 0x80000000, v15
	v_xor_b32_e32 v17, 0x80000000, v17
	ds_store_b128 v59, v[14:17] offset:8576
; %bb.384:                              ;   in Loop: Header=BB192_3 Depth=1
	s_or_b32 exec_lo, exec_lo, s46
	s_wait_dscnt 0x0
	s_barrier_signal -1
	s_barrier_wait -1
	s_barrier_signal -1
	s_barrier_wait -1
	s_and_saveexec_b32 s46, s87
	s_cbranch_execz .LBB192_386
; %bb.385:                              ;   in Loop: Header=BB192_3 Depth=1
	ds_load_b128 v[14:17], v73
	s_wait_dscnt 0x0
	ds_store_b128 v183, v[14:17]
	ds_load_b128 v[14:17], v74
	s_wait_dscnt 0x0
	ds_store_b128 v184, v[14:17]
	;; [unrolled: 3-line block ×8, first 2 shown]
.LBB192_386:                            ;   in Loop: Header=BB192_3 Depth=1
	s_or_b32 exec_lo, exec_lo, s46
	s_wait_dscnt 0x0
	s_barrier_signal -1
	s_barrier_wait -1
	s_and_saveexec_b32 s46, s31
	s_cbranch_execz .LBB192_388
; %bb.387:                              ;   in Loop: Header=BB192_3 Depth=1
	ds_load_b128 v[14:17], v2 offset:13200
	ds_load_b128 v[18:21], v2 offset:12672
	s_wait_dscnt 0x0
	v_mul_f64_e32 v[4:5], v[14:15], v[20:21]
	v_mul_f64_e32 v[20:21], v[16:17], v[20:21]
	s_delay_alu instid0(VALU_DEP_2) | instskip(NEXT) | instid1(VALU_DEP_2)
	v_fmac_f64_e32 v[4:5], v[16:17], v[18:19]
	v_fma_f64 v[20:21], v[14:15], v[18:19], -v[20:21]
	ds_load_b128 v[14:17], v2 offset:12688
	s_wait_dscnt 0x0
	v_mul_f64_e32 v[40:41], v[4:5], v[16:17]
	v_mul_f64_e32 v[18:19], v[20:21], v[16:17]
	s_delay_alu instid0(VALU_DEP_2) | instskip(NEXT) | instid1(VALU_DEP_2)
	v_fma_f64 v[16:17], v[14:15], v[20:21], -v[40:41]
	v_fmac_f64_e32 v[18:19], v[14:15], v[4:5]
	ds_store_b128 v2, v[16:19] offset:12688
	ds_store_b128 v2, v[16:19] offset:13184
.LBB192_388:                            ;   in Loop: Header=BB192_3 Depth=1
	s_or_b32 exec_lo, exec_lo, s46
	v_mov_b64_e32 v[16:17], 0
	v_mov_b64_e32 v[14:15], 0
	s_wait_dscnt 0x0
	s_barrier_signal -1
	s_barrier_wait -1
	s_and_saveexec_b32 s46, s3
	s_cbranch_execz .LBB192_392
; %bb.389:                              ;   in Loop: Header=BB192_3 Depth=1
	ds_load_b128 v[14:17], v44 offset:12672
	ds_load_b128 v[18:21], v43 offset:12704
	s_wait_dscnt 0x0
	v_mul_f64_e32 v[4:5], v[16:17], v[20:21]
	v_mul_f64_e32 v[20:21], v[14:15], v[20:21]
	s_delay_alu instid0(VALU_DEP_2) | instskip(NEXT) | instid1(VALU_DEP_2)
	v_fma_f64 v[4:5], v[14:15], v[18:19], -v[4:5]
	v_fmac_f64_e32 v[20:21], v[16:17], v[18:19]
	s_delay_alu instid0(VALU_DEP_2) | instskip(NEXT) | instid1(VALU_DEP_2)
	v_add_f64_e32 v[14:15], 0, v[4:5]
	v_add_f64_e32 v[16:17], 0, v[20:21]
	s_and_saveexec_b32 s47, s4
	s_cbranch_execz .LBB192_391
; %bb.390:                              ;   in Loop: Header=BB192_3 Depth=1
	ds_load_b128 v[18:21], v2 offset:12688
	ds_load_b128 v[204:207], v50 offset:13216
	s_wait_dscnt 0x0
	v_mul_f64_e32 v[4:5], v[20:21], v[206:207]
	s_delay_alu instid0(VALU_DEP_1) | instskip(SKIP_1) | instid1(VALU_DEP_2)
	v_fma_f64 v[4:5], v[18:19], v[204:205], -v[4:5]
	v_mul_f64_e32 v[18:19], v[18:19], v[206:207]
	v_add_f64_e32 v[14:15], v[14:15], v[4:5]
	s_delay_alu instid0(VALU_DEP_2) | instskip(NEXT) | instid1(VALU_DEP_1)
	v_fmac_f64_e32 v[18:19], v[20:21], v[204:205]
	v_add_f64_e32 v[16:17], v[16:17], v[18:19]
.LBB192_391:                            ;   in Loop: Header=BB192_3 Depth=1
	s_or_b32 exec_lo, exec_lo, s47
	s_delay_alu instid0(VALU_DEP_2) | instskip(NEXT) | instid1(VALU_DEP_2)
	v_xor_b32_e32 v15, 0x80000000, v15
	v_xor_b32_e32 v17, 0x80000000, v17
.LBB192_392:                            ;   in Loop: Header=BB192_3 Depth=1
	s_or_b32 exec_lo, exec_lo, s46
	s_and_saveexec_b32 s46, s63
	s_cbranch_execz .LBB192_394
; %bb.393:                              ;   in Loop: Header=BB192_3 Depth=1
	ds_load_b128 v[18:21], v2 offset:13728
	s_wait_dscnt 0x0
	v_mul_f64_e32 v[4:5], v[16:17], v[20:21]
	v_mul_f64_e32 v[206:207], v[14:15], v[20:21]
	s_delay_alu instid0(VALU_DEP_2) | instskip(NEXT) | instid1(VALU_DEP_2)
	v_fma_f64 v[204:205], v[14:15], v[18:19], -v[4:5]
	v_fmac_f64_e32 v[206:207], v[16:17], v[18:19]
	s_delay_alu instid0(VALU_DEP_2) | instskip(NEXT) | instid1(VALU_DEP_2)
	v_mov_b64_e32 v[14:15], v[204:205]
	v_mov_b64_e32 v[16:17], v[206:207]
	ds_store_b128 v23, v[204:207]
.LBB192_394:                            ;   in Loop: Header=BB192_3 Depth=1
	s_or_b32 exec_lo, exec_lo, s46
	s_wait_dscnt 0x0
	s_barrier_signal -1
	s_barrier_wait -1
	s_and_saveexec_b32 s46, s64
	s_cbranch_execz .LBB192_396
; %bb.395:                              ;   in Loop: Header=BB192_3 Depth=1
	ds_load_b128 v[18:21], v23
	ds_load_b128 v[204:207], v2 offset:13744
	s_wait_dscnt 0x0
	v_mul_f64_e32 v[4:5], v[20:21], v[206:207]
	s_delay_alu instid0(VALU_DEP_1) | instskip(SKIP_1) | instid1(VALU_DEP_2)
	v_fma_f64 v[4:5], v[18:19], v[204:205], -v[4:5]
	v_mul_f64_e32 v[18:19], v[18:19], v[206:207]
	v_add_f64_e32 v[14:15], v[14:15], v[4:5]
	s_delay_alu instid0(VALU_DEP_2) | instskip(NEXT) | instid1(VALU_DEP_1)
	v_fmac_f64_e32 v[18:19], v[20:21], v[204:205]
	v_add_f64_e32 v[16:17], v[16:17], v[18:19]
.LBB192_396:                            ;   in Loop: Header=BB192_3 Depth=1
	s_or_b32 exec_lo, exec_lo, s46
	s_barrier_signal -1
	s_barrier_wait -1
	s_and_saveexec_b32 s46, s64
	s_cbranch_execz .LBB192_398
; %bb.397:                              ;   in Loop: Header=BB192_3 Depth=1
	ds_load_b128 v[18:21], v2 offset:14256
	s_wait_dscnt 0x0
	v_mul_f64_e32 v[4:5], v[16:17], v[20:21]
	v_mul_f64_e32 v[206:207], v[14:15], v[20:21]
	s_delay_alu instid0(VALU_DEP_2) | instskip(NEXT) | instid1(VALU_DEP_2)
	v_fma_f64 v[204:205], v[14:15], v[18:19], -v[4:5]
	v_fmac_f64_e32 v[206:207], v[16:17], v[18:19]
	s_delay_alu instid0(VALU_DEP_2) | instskip(NEXT) | instid1(VALU_DEP_2)
	v_mov_b64_e32 v[14:15], v[204:205]
	v_mov_b64_e32 v[16:17], v[206:207]
	ds_store_b128 v23, v[204:207]
.LBB192_398:                            ;   in Loop: Header=BB192_3 Depth=1
	s_or_b32 exec_lo, exec_lo, s46
	s_wait_dscnt 0x0
	s_barrier_signal -1
	s_barrier_wait -1
	s_barrier_signal -1
	s_barrier_wait -1
	s_and_saveexec_b32 s46, s3
; %bb.399:                              ;   in Loop: Header=BB192_3 Depth=1
	s_delay_alu instid0(VALU_DEP_3) | instskip(NEXT) | instid1(VALU_DEP_2)
	v_xor_b32_e32 v15, 0x80000000, v15
	v_xor_b32_e32 v17, 0x80000000, v17
	ds_store_b128 v43, v[14:17] offset:12704
; %bb.400:                              ;   in Loop: Header=BB192_3 Depth=1
	s_or_b32 exec_lo, exec_lo, s46
	s_wait_dscnt 0x0
	s_barrier_signal -1
	s_barrier_wait -1
	s_barrier_signal -1
	s_barrier_wait -1
	s_and_saveexec_b32 s46, s65
	s_cbranch_execz .LBB192_402
; %bb.401:                              ;   in Loop: Header=BB192_3 Depth=1
	ds_load_b128 v[14:17], v90
	s_wait_dscnt 0x0
	ds_store_b128 v191, v[14:17]
	ds_load_b128 v[14:17], v91
	s_wait_dscnt 0x0
	ds_store_b128 v192, v[14:17]
.LBB192_402:                            ;   in Loop: Header=BB192_3 Depth=1
	s_or_b32 exec_lo, exec_lo, s46
	s_wait_dscnt 0x0
	s_barrier_signal -1
	s_barrier_wait -1
	s_and_saveexec_b32 s46, s31
	s_cbranch_execz .LBB192_404
; %bb.403:                              ;   in Loop: Header=BB192_3 Depth=1
	ds_load_b128 v[14:17], v2 offset:14256
	ds_load_b128 v[18:21], v2 offset:13728
	s_wait_dscnt 0x0
	v_mul_f64_e32 v[4:5], v[14:15], v[20:21]
	v_mul_f64_e32 v[20:21], v[16:17], v[20:21]
	s_delay_alu instid0(VALU_DEP_2) | instskip(NEXT) | instid1(VALU_DEP_2)
	v_fmac_f64_e32 v[4:5], v[16:17], v[18:19]
	v_fma_f64 v[20:21], v[14:15], v[18:19], -v[20:21]
	ds_load_b128 v[14:17], v2 offset:13744
	s_wait_dscnt 0x0
	v_mul_f64_e32 v[40:41], v[4:5], v[16:17]
	v_mul_f64_e32 v[18:19], v[20:21], v[16:17]
	s_delay_alu instid0(VALU_DEP_2) | instskip(NEXT) | instid1(VALU_DEP_2)
	v_fma_f64 v[16:17], v[14:15], v[20:21], -v[40:41]
	v_fmac_f64_e32 v[18:19], v[14:15], v[4:5]
	ds_store_b128 v2, v[16:19] offset:13744
	ds_store_b128 v2, v[16:19] offset:14240
.LBB192_404:                            ;   in Loop: Header=BB192_3 Depth=1
	s_or_b32 exec_lo, exec_lo, s46
	v_mov_b64_e32 v[16:17], 0
	v_mov_b64_e32 v[14:15], 0
	s_wait_dscnt 0x0
	s_barrier_signal -1
	s_barrier_wait -1
	s_and_saveexec_b32 s46, s6
	s_cbranch_execz .LBB192_410
; %bb.405:                              ;   in Loop: Header=BB192_3 Depth=1
	ds_load_b128 v[14:17], v47 offset:12672
	ds_load_b128 v[18:21], v52 offset:12736
	s_wait_dscnt 0x0
	v_mul_f64_e32 v[4:5], v[16:17], v[20:21]
	v_mul_f64_e32 v[20:21], v[14:15], v[20:21]
	s_delay_alu instid0(VALU_DEP_2) | instskip(NEXT) | instid1(VALU_DEP_2)
	v_fma_f64 v[4:5], v[14:15], v[18:19], -v[4:5]
	v_fmac_f64_e32 v[20:21], v[16:17], v[18:19]
	s_delay_alu instid0(VALU_DEP_2) | instskip(NEXT) | instid1(VALU_DEP_2)
	v_add_f64_e32 v[14:15], 0, v[4:5]
	v_add_f64_e32 v[16:17], 0, v[20:21]
	s_and_saveexec_b32 s47, s7
	s_cbranch_execnz .LBB192_572
; %bb.406:                              ;   in Loop: Header=BB192_3 Depth=1
	s_or_b32 exec_lo, exec_lo, s47
	s_and_saveexec_b32 s47, s8
	s_cbranch_execnz .LBB192_573
.LBB192_407:                            ;   in Loop: Header=BB192_3 Depth=1
	s_or_b32 exec_lo, exec_lo, s47
	s_and_saveexec_b32 s47, s3
	s_cbranch_execz .LBB192_409
.LBB192_408:                            ;   in Loop: Header=BB192_3 Depth=1
	ds_load_b128 v[18:21], v2 offset:12720
	ds_load_b128 v[204:207], v83 offset:14272
	s_wait_dscnt 0x0
	v_mul_f64_e32 v[4:5], v[20:21], v[206:207]
	s_delay_alu instid0(VALU_DEP_1) | instskip(SKIP_1) | instid1(VALU_DEP_2)
	v_fma_f64 v[4:5], v[18:19], v[204:205], -v[4:5]
	v_mul_f64_e32 v[18:19], v[18:19], v[206:207]
	v_add_f64_e32 v[14:15], v[14:15], v[4:5]
	s_delay_alu instid0(VALU_DEP_2) | instskip(NEXT) | instid1(VALU_DEP_1)
	v_fmac_f64_e32 v[18:19], v[20:21], v[204:205]
	v_add_f64_e32 v[16:17], v[16:17], v[18:19]
.LBB192_409:                            ;   in Loop: Header=BB192_3 Depth=1
	s_or_b32 exec_lo, exec_lo, s47
	s_delay_alu instid0(VALU_DEP_2) | instskip(NEXT) | instid1(VALU_DEP_2)
	v_xor_b32_e32 v15, 0x80000000, v15
	v_xor_b32_e32 v17, 0x80000000, v17
.LBB192_410:                            ;   in Loop: Header=BB192_3 Depth=1
	s_or_b32 exec_lo, exec_lo, s46
	s_and_saveexec_b32 s46, s66
	s_cbranch_execz .LBB192_412
; %bb.411:                              ;   in Loop: Header=BB192_3 Depth=1
	ds_load_b128 v[18:21], v2 offset:14784
	s_wait_dscnt 0x0
	v_mul_f64_e32 v[4:5], v[16:17], v[20:21]
	v_mul_f64_e32 v[206:207], v[14:15], v[20:21]
	s_delay_alu instid0(VALU_DEP_2) | instskip(NEXT) | instid1(VALU_DEP_2)
	v_fma_f64 v[204:205], v[14:15], v[18:19], -v[4:5]
	v_fmac_f64_e32 v[206:207], v[16:17], v[18:19]
	s_delay_alu instid0(VALU_DEP_2) | instskip(NEXT) | instid1(VALU_DEP_2)
	v_mov_b64_e32 v[14:15], v[204:205]
	v_mov_b64_e32 v[16:17], v[206:207]
	ds_store_b128 v51, v[204:207]
.LBB192_412:                            ;   in Loop: Header=BB192_3 Depth=1
	s_or_b32 exec_lo, exec_lo, s46
	s_wait_dscnt 0x0
	s_barrier_signal -1
	s_barrier_wait -1
	s_and_saveexec_b32 s46, s67
	s_cbranch_execz .LBB192_414
; %bb.413:                              ;   in Loop: Header=BB192_3 Depth=1
	ds_load_b128 v[18:21], v51
	ds_load_b128 v[204:207], v49 offset:14784
	s_wait_dscnt 0x0
	v_mul_f64_e32 v[4:5], v[20:21], v[206:207]
	s_delay_alu instid0(VALU_DEP_1) | instskip(SKIP_1) | instid1(VALU_DEP_2)
	v_fma_f64 v[4:5], v[18:19], v[204:205], -v[4:5]
	v_mul_f64_e32 v[18:19], v[18:19], v[206:207]
	v_add_f64_e32 v[14:15], v[14:15], v[4:5]
	s_delay_alu instid0(VALU_DEP_2) | instskip(NEXT) | instid1(VALU_DEP_1)
	v_fmac_f64_e32 v[18:19], v[20:21], v[204:205]
	v_add_f64_e32 v[16:17], v[16:17], v[18:19]
.LBB192_414:                            ;   in Loop: Header=BB192_3 Depth=1
	s_or_b32 exec_lo, exec_lo, s46
	s_barrier_signal -1
	s_barrier_wait -1
	s_and_saveexec_b32 s46, s68
	s_cbranch_execz .LBB192_416
; %bb.415:                              ;   in Loop: Header=BB192_3 Depth=1
	ds_load_b128 v[18:21], v2 offset:15312
	s_wait_dscnt 0x0
	v_mul_f64_e32 v[4:5], v[16:17], v[20:21]
	v_mul_f64_e32 v[206:207], v[14:15], v[20:21]
	s_delay_alu instid0(VALU_DEP_2) | instskip(NEXT) | instid1(VALU_DEP_2)
	v_fma_f64 v[204:205], v[14:15], v[18:19], -v[4:5]
	v_fmac_f64_e32 v[206:207], v[16:17], v[18:19]
	s_delay_alu instid0(VALU_DEP_2) | instskip(NEXT) | instid1(VALU_DEP_2)
	v_mov_b64_e32 v[14:15], v[204:205]
	v_mov_b64_e32 v[16:17], v[206:207]
	ds_store_b128 v51, v[204:207]
.LBB192_416:                            ;   in Loop: Header=BB192_3 Depth=1
	s_or_b32 exec_lo, exec_lo, s46
	s_wait_dscnt 0x0
	s_barrier_signal -1
	s_barrier_wait -1
	s_and_saveexec_b32 s46, s69
	s_cbranch_execz .LBB192_418
; %bb.417:                              ;   in Loop: Header=BB192_3 Depth=1
	ds_load_b128 v[18:21], v51
	ds_load_b128 v[204:207], v49 offset:15296
	s_wait_dscnt 0x0
	v_mul_f64_e32 v[4:5], v[20:21], v[206:207]
	s_delay_alu instid0(VALU_DEP_1) | instskip(SKIP_1) | instid1(VALU_DEP_2)
	v_fma_f64 v[4:5], v[18:19], v[204:205], -v[4:5]
	v_mul_f64_e32 v[18:19], v[18:19], v[206:207]
	v_add_f64_e32 v[14:15], v[14:15], v[4:5]
	s_delay_alu instid0(VALU_DEP_2) | instskip(NEXT) | instid1(VALU_DEP_1)
	v_fmac_f64_e32 v[18:19], v[20:21], v[204:205]
	v_add_f64_e32 v[16:17], v[16:17], v[18:19]
.LBB192_418:                            ;   in Loop: Header=BB192_3 Depth=1
	s_or_b32 exec_lo, exec_lo, s46
	s_barrier_signal -1
	s_barrier_wait -1
	s_and_saveexec_b32 s46, s70
	s_cbranch_execz .LBB192_420
; %bb.419:                              ;   in Loop: Header=BB192_3 Depth=1
	ds_load_b128 v[18:21], v2 offset:15840
	s_wait_dscnt 0x0
	v_mul_f64_e32 v[4:5], v[16:17], v[20:21]
	v_mul_f64_e32 v[206:207], v[14:15], v[20:21]
	s_delay_alu instid0(VALU_DEP_2) | instskip(NEXT) | instid1(VALU_DEP_2)
	v_fma_f64 v[204:205], v[14:15], v[18:19], -v[4:5]
	v_fmac_f64_e32 v[206:207], v[16:17], v[18:19]
	s_delay_alu instid0(VALU_DEP_2) | instskip(NEXT) | instid1(VALU_DEP_2)
	v_mov_b64_e32 v[14:15], v[204:205]
	v_mov_b64_e32 v[16:17], v[206:207]
	ds_store_b128 v51, v[204:207]
.LBB192_420:                            ;   in Loop: Header=BB192_3 Depth=1
	s_or_b32 exec_lo, exec_lo, s46
	s_wait_dscnt 0x0
	s_barrier_signal -1
	s_barrier_wait -1
	s_and_saveexec_b32 s46, s71
	s_cbranch_execz .LBB192_422
; %bb.421:                              ;   in Loop: Header=BB192_3 Depth=1
	ds_load_b128 v[18:21], v51
	ds_load_b128 v[204:207], v2 offset:15856
	s_wait_dscnt 0x0
	v_mul_f64_e32 v[4:5], v[20:21], v[206:207]
	s_delay_alu instid0(VALU_DEP_1) | instskip(SKIP_1) | instid1(VALU_DEP_2)
	v_fma_f64 v[4:5], v[18:19], v[204:205], -v[4:5]
	v_mul_f64_e32 v[18:19], v[18:19], v[206:207]
	v_add_f64_e32 v[14:15], v[14:15], v[4:5]
	s_delay_alu instid0(VALU_DEP_2) | instskip(NEXT) | instid1(VALU_DEP_1)
	v_fmac_f64_e32 v[18:19], v[20:21], v[204:205]
	v_add_f64_e32 v[16:17], v[16:17], v[18:19]
.LBB192_422:                            ;   in Loop: Header=BB192_3 Depth=1
	s_or_b32 exec_lo, exec_lo, s46
	s_barrier_signal -1
	s_barrier_wait -1
	s_and_saveexec_b32 s46, s71
	s_cbranch_execz .LBB192_424
; %bb.423:                              ;   in Loop: Header=BB192_3 Depth=1
	ds_load_b128 v[18:21], v2 offset:16368
	s_wait_dscnt 0x0
	v_mul_f64_e32 v[4:5], v[16:17], v[20:21]
	v_mul_f64_e32 v[206:207], v[14:15], v[20:21]
	s_delay_alu instid0(VALU_DEP_2) | instskip(NEXT) | instid1(VALU_DEP_2)
	v_fma_f64 v[204:205], v[14:15], v[18:19], -v[4:5]
	v_fmac_f64_e32 v[206:207], v[16:17], v[18:19]
	s_delay_alu instid0(VALU_DEP_2) | instskip(NEXT) | instid1(VALU_DEP_2)
	v_mov_b64_e32 v[14:15], v[204:205]
	v_mov_b64_e32 v[16:17], v[206:207]
	ds_store_b128 v51, v[204:207]
.LBB192_424:                            ;   in Loop: Header=BB192_3 Depth=1
	s_or_b32 exec_lo, exec_lo, s46
	s_wait_dscnt 0x0
	s_barrier_signal -1
	s_barrier_wait -1
	s_barrier_signal -1
	s_barrier_wait -1
	s_and_saveexec_b32 s46, s6
; %bb.425:                              ;   in Loop: Header=BB192_3 Depth=1
	s_delay_alu instid0(VALU_DEP_1) | instskip(NEXT) | instid1(VALU_DEP_4)
	v_xor_b32_e32 v17, 0x80000000, v17
	v_xor_b32_e32 v15, 0x80000000, v15
	ds_store_b128 v52, v[14:17] offset:12736
; %bb.426:                              ;   in Loop: Header=BB192_3 Depth=1
	s_or_b32 exec_lo, exec_lo, s46
	s_wait_dscnt 0x0
	s_barrier_signal -1
	s_barrier_wait -1
	s_barrier_signal -1
	s_barrier_wait -1
	s_and_saveexec_b32 s46, s72
	s_cbranch_execz .LBB192_428
; %bb.427:                              ;   in Loop: Header=BB192_3 Depth=1
	ds_load_b128 v[14:17], v101
	s_wait_dscnt 0x0
	ds_store_b128 v193, v[14:17]
	ds_load_b128 v[14:17], v104
	s_wait_dscnt 0x0
	ds_store_b128 v196, v[14:17]
	;; [unrolled: 3-line block ×4, first 2 shown]
.LBB192_428:                            ;   in Loop: Header=BB192_3 Depth=1
	s_or_b32 exec_lo, exec_lo, s46
	s_wait_dscnt 0x0
	s_barrier_signal -1
	s_barrier_wait -1
	s_and_saveexec_b32 s46, s31
	s_cbranch_execz .LBB192_430
; %bb.429:                              ;   in Loop: Header=BB192_3 Depth=1
	ds_load_b128 v[14:17], v2 offset:15312
	ds_load_b128 v[18:21], v2 offset:14784
	s_wait_dscnt 0x0
	v_mul_f64_e32 v[4:5], v[14:15], v[20:21]
	v_mul_f64_e32 v[20:21], v[16:17], v[20:21]
	s_delay_alu instid0(VALU_DEP_2) | instskip(NEXT) | instid1(VALU_DEP_2)
	v_fmac_f64_e32 v[4:5], v[16:17], v[18:19]
	v_fma_f64 v[20:21], v[14:15], v[18:19], -v[20:21]
	ds_load_b128 v[14:17], v2 offset:14800
	s_wait_dscnt 0x0
	v_mul_f64_e32 v[40:41], v[4:5], v[16:17]
	v_mul_f64_e32 v[18:19], v[20:21], v[16:17]
	s_delay_alu instid0(VALU_DEP_2) | instskip(NEXT) | instid1(VALU_DEP_2)
	v_fma_f64 v[16:17], v[14:15], v[20:21], -v[40:41]
	v_fmac_f64_e32 v[18:19], v[14:15], v[4:5]
	ds_store_b128 v2, v[16:19] offset:14800
	ds_store_b128 v2, v[16:19] offset:15296
.LBB192_430:                            ;   in Loop: Header=BB192_3 Depth=1
	s_or_b32 exec_lo, exec_lo, s46
	v_mov_b64_e32 v[16:17], 0
	v_mov_b64_e32 v[14:15], 0
	s_wait_dscnt 0x0
	s_barrier_signal -1
	s_barrier_wait -1
	s_and_saveexec_b32 s46, s3
	s_cbranch_execz .LBB192_434
; %bb.431:                              ;   in Loop: Header=BB192_3 Depth=1
	ds_load_b128 v[14:17], v44 offset:14784
	ds_load_b128 v[18:21], v43 offset:14816
	s_wait_dscnt 0x0
	v_mul_f64_e32 v[4:5], v[16:17], v[20:21]
	v_mul_f64_e32 v[20:21], v[14:15], v[20:21]
	s_delay_alu instid0(VALU_DEP_2) | instskip(NEXT) | instid1(VALU_DEP_2)
	v_fma_f64 v[4:5], v[14:15], v[18:19], -v[4:5]
	v_fmac_f64_e32 v[20:21], v[16:17], v[18:19]
	s_delay_alu instid0(VALU_DEP_2) | instskip(NEXT) | instid1(VALU_DEP_2)
	v_add_f64_e32 v[14:15], 0, v[4:5]
	v_add_f64_e32 v[16:17], 0, v[20:21]
	s_and_saveexec_b32 s47, s4
	s_cbranch_execz .LBB192_433
; %bb.432:                              ;   in Loop: Header=BB192_3 Depth=1
	ds_load_b128 v[18:21], v2 offset:14800
	ds_load_b128 v[204:207], v94 offset:15328
	s_wait_dscnt 0x0
	v_mul_f64_e32 v[4:5], v[20:21], v[206:207]
	s_delay_alu instid0(VALU_DEP_1) | instskip(SKIP_1) | instid1(VALU_DEP_2)
	v_fma_f64 v[4:5], v[18:19], v[204:205], -v[4:5]
	v_mul_f64_e32 v[18:19], v[18:19], v[206:207]
	v_add_f64_e32 v[14:15], v[14:15], v[4:5]
	s_delay_alu instid0(VALU_DEP_2) | instskip(NEXT) | instid1(VALU_DEP_1)
	v_fmac_f64_e32 v[18:19], v[20:21], v[204:205]
	v_add_f64_e32 v[16:17], v[16:17], v[18:19]
.LBB192_433:                            ;   in Loop: Header=BB192_3 Depth=1
	s_or_b32 exec_lo, exec_lo, s47
	s_delay_alu instid0(VALU_DEP_2) | instskip(NEXT) | instid1(VALU_DEP_2)
	v_xor_b32_e32 v15, 0x80000000, v15
	v_xor_b32_e32 v17, 0x80000000, v17
.LBB192_434:                            ;   in Loop: Header=BB192_3 Depth=1
	s_or_b32 exec_lo, exec_lo, s46
	s_and_saveexec_b32 s46, s63
	s_cbranch_execz .LBB192_436
; %bb.435:                              ;   in Loop: Header=BB192_3 Depth=1
	ds_load_b128 v[18:21], v2 offset:15840
	s_wait_dscnt 0x0
	v_mul_f64_e32 v[4:5], v[16:17], v[20:21]
	v_mul_f64_e32 v[206:207], v[14:15], v[20:21]
	s_delay_alu instid0(VALU_DEP_2) | instskip(NEXT) | instid1(VALU_DEP_2)
	v_fma_f64 v[204:205], v[14:15], v[18:19], -v[4:5]
	v_fmac_f64_e32 v[206:207], v[16:17], v[18:19]
	s_delay_alu instid0(VALU_DEP_2) | instskip(NEXT) | instid1(VALU_DEP_2)
	v_mov_b64_e32 v[14:15], v[204:205]
	v_mov_b64_e32 v[16:17], v[206:207]
	ds_store_b128 v23, v[204:207]
.LBB192_436:                            ;   in Loop: Header=BB192_3 Depth=1
	s_or_b32 exec_lo, exec_lo, s46
	s_wait_dscnt 0x0
	s_barrier_signal -1
	s_barrier_wait -1
	s_and_saveexec_b32 s46, s64
	s_cbranch_execz .LBB192_438
; %bb.437:                              ;   in Loop: Header=BB192_3 Depth=1
	ds_load_b128 v[18:21], v23
	ds_load_b128 v[204:207], v2 offset:15856
	s_wait_dscnt 0x0
	v_mul_f64_e32 v[4:5], v[20:21], v[206:207]
	s_delay_alu instid0(VALU_DEP_1) | instskip(SKIP_1) | instid1(VALU_DEP_2)
	v_fma_f64 v[4:5], v[18:19], v[204:205], -v[4:5]
	v_mul_f64_e32 v[18:19], v[18:19], v[206:207]
	v_add_f64_e32 v[14:15], v[14:15], v[4:5]
	s_delay_alu instid0(VALU_DEP_2) | instskip(NEXT) | instid1(VALU_DEP_1)
	v_fmac_f64_e32 v[18:19], v[20:21], v[204:205]
	v_add_f64_e32 v[16:17], v[16:17], v[18:19]
.LBB192_438:                            ;   in Loop: Header=BB192_3 Depth=1
	s_or_b32 exec_lo, exec_lo, s46
	s_barrier_signal -1
	s_barrier_wait -1
	s_and_saveexec_b32 s46, s64
	s_cbranch_execz .LBB192_440
; %bb.439:                              ;   in Loop: Header=BB192_3 Depth=1
	ds_load_b128 v[18:21], v2 offset:16368
	s_wait_dscnt 0x0
	v_mul_f64_e32 v[4:5], v[16:17], v[20:21]
	v_mul_f64_e32 v[206:207], v[14:15], v[20:21]
	s_delay_alu instid0(VALU_DEP_2) | instskip(NEXT) | instid1(VALU_DEP_2)
	v_fma_f64 v[204:205], v[14:15], v[18:19], -v[4:5]
	v_fmac_f64_e32 v[206:207], v[16:17], v[18:19]
	s_delay_alu instid0(VALU_DEP_2) | instskip(NEXT) | instid1(VALU_DEP_2)
	v_mov_b64_e32 v[14:15], v[204:205]
	v_mov_b64_e32 v[16:17], v[206:207]
	ds_store_b128 v23, v[204:207]
.LBB192_440:                            ;   in Loop: Header=BB192_3 Depth=1
	s_or_b32 exec_lo, exec_lo, s46
	s_wait_dscnt 0x0
	s_barrier_signal -1
	s_barrier_wait -1
	s_barrier_signal -1
	s_barrier_wait -1
	s_and_saveexec_b32 s46, s3
; %bb.441:                              ;   in Loop: Header=BB192_3 Depth=1
	s_delay_alu instid0(VALU_DEP_3) | instskip(NEXT) | instid1(VALU_DEP_2)
	v_xor_b32_e32 v15, 0x80000000, v15
	v_xor_b32_e32 v17, 0x80000000, v17
	ds_store_b128 v43, v[14:17] offset:14816
; %bb.442:                              ;   in Loop: Header=BB192_3 Depth=1
	s_or_b32 exec_lo, exec_lo, s46
	s_wait_dscnt 0x0
	s_barrier_signal -1
	s_barrier_wait -1
	s_barrier_signal -1
	s_barrier_wait -1
	s_and_saveexec_b32 s46, s65
	s_cbranch_execz .LBB192_444
; %bb.443:                              ;   in Loop: Header=BB192_3 Depth=1
	ds_load_b128 v[14:17], v107
	s_wait_dscnt 0x0
	ds_store_b128 v111, v[14:17]
	ds_load_b128 v[14:17], v108
	s_wait_dscnt 0x0
	ds_store_b128 v112, v[14:17]
.LBB192_444:                            ;   in Loop: Header=BB192_3 Depth=1
	s_or_b32 exec_lo, exec_lo, s46
	s_wait_dscnt 0x0
	s_barrier_signal -1
	s_barrier_wait -1
	s_and_saveexec_b32 s46, s31
	s_cbranch_execz .LBB192_446
; %bb.445:                              ;   in Loop: Header=BB192_3 Depth=1
	ds_load_b128 v[14:17], v2 offset:16368
	ds_load_b128 v[18:21], v2 offset:15840
	s_wait_dscnt 0x0
	v_mul_f64_e32 v[4:5], v[14:15], v[20:21]
	v_mul_f64_e32 v[20:21], v[16:17], v[20:21]
	s_delay_alu instid0(VALU_DEP_2) | instskip(NEXT) | instid1(VALU_DEP_2)
	v_fmac_f64_e32 v[4:5], v[16:17], v[18:19]
	v_fma_f64 v[20:21], v[14:15], v[18:19], -v[20:21]
	ds_load_b128 v[14:17], v2 offset:15856
	s_wait_dscnt 0x0
	v_mul_f64_e32 v[40:41], v[4:5], v[16:17]
	v_mul_f64_e32 v[18:19], v[20:21], v[16:17]
	s_delay_alu instid0(VALU_DEP_2) | instskip(NEXT) | instid1(VALU_DEP_2)
	v_fma_f64 v[16:17], v[14:15], v[20:21], -v[40:41]
	v_fmac_f64_e32 v[18:19], v[14:15], v[4:5]
	ds_store_b128 v2, v[16:19] offset:15856
	ds_store_b128 v2, v[16:19] offset:16352
.LBB192_446:                            ;   in Loop: Header=BB192_3 Depth=1
	s_or_b32 exec_lo, exec_lo, s46
.LBB192_447:                            ;   in Loop: Header=BB192_3 Depth=1
	v_add_nc_u64_e32 v[38:39], s[0:1], v[38:39]
	v_mov_b64_e32 v[14:15], 0
	v_mov_b64_e32 v[16:17], 0
	s_wait_dscnt 0x0
	s_barrier_signal -1
	s_barrier_wait -1
	s_wait_xcnt 0x0
	s_and_saveexec_b32 s46, s90
	s_cbranch_execz .LBB192_449
; %bb.448:                              ;   in Loop: Header=BB192_3 Depth=1
	v_lshl_add_u64 v[4:5], v[28:29], 4, v[38:39]
	flat_load_b128 v[16:19], v[4:5]
	s_wait_loadcnt_dscnt 0x0
	v_mul_f64_e32 v[4:5], s[40:41], v[16:17]
	s_delay_alu instid0(VALU_DEP_1) | instskip(SKIP_1) | instid1(VALU_DEP_1)
	v_fma_f64 v[14:15], s[42:43], v[18:19], -v[4:5]
	v_mul_f64_e32 v[4:5], s[40:41], v[18:19]
	v_fma_f64 v[16:17], v[16:17], -s[42:43], -v[4:5]
.LBB192_449:                            ;   in Loop: Header=BB192_3 Depth=1
	s_or_b32 exec_lo, exec_lo, s46
	s_delay_alu instid0(SALU_CYCLE_1)
	s_and_not1_b32 vcc_lo, exec_lo, s91
	s_cbranch_vccnz .LBB192_472
; %bb.450:                              ;   in Loop: Header=BB192_3 Depth=1
	v_mov_b32_e32 v203, -1
	s_lshl_b64 s[46:47], s[38:39], 2
	s_mov_b32 s93, 0
	s_add_nc_u64 s[46:47], s[56:57], s[46:47]
	s_branch .LBB192_453
.LBB192_451:                            ;   in Loop: Header=BB192_453 Depth=2
	ds_load_b128 v[204:207], v129 offset:256
	s_wait_loadcnt_dscnt 0x0
	v_mul_f64_e32 v[4:5], v[20:21], v[206:207]
	v_mul_f64_e32 v[20:21], v[20:21], v[204:205]
	s_delay_alu instid0(VALU_DEP_2) | instskip(NEXT) | instid1(VALU_DEP_2)
	v_fmac_f64_e32 v[4:5], v[18:19], v[204:205]
	v_fma_f64 v[18:19], v[18:19], v[206:207], -v[20:21]
	s_delay_alu instid0(VALU_DEP_2) | instskip(NEXT) | instid1(VALU_DEP_2)
	v_add_f64_e32 v[14:15], v[14:15], v[4:5]
	v_add_f64_e32 v[16:17], v[16:17], v[18:19]
.LBB192_452:                            ;   in Loop: Header=BB192_453 Depth=2
	s_or_b32 exec_lo, exec_lo, s94
	s_add_co_i32 s93, s93, 1
	s_delay_alu instid0(SALU_CYCLE_1)
	s_cmp_eq_u32 s93, s58
	s_cbranch_scc1 .LBB192_472
.LBB192_453:                            ;   Parent Loop BB192_3 Depth=1
                                        ; =>  This Loop Header: Depth=2
                                        ;       Child Loop BB192_455 Depth 3
	v_cmp_gt_i32_e32 vcc_lo, s93, v203
	s_and_b32 s95, s35, vcc_lo
	s_delay_alu instid0(SALU_CYCLE_1)
	s_and_saveexec_b32 s94, s95
	s_cbranch_execz .LBB192_456
; %bb.454:                              ;   in Loop: Header=BB192_453 Depth=2
	global_load_b32 v203, v2, s[46:47]
	s_wait_loadcnt 0x0
	v_cmp_le_i32_e32 vcc_lo, s93, v203
	s_cbranch_vccnz .LBB192_456
.LBB192_455:                            ;   Parent Loop BB192_3 Depth=1
                                        ;     Parent Loop BB192_453 Depth=2
                                        ; =>    This Inner Loop Header: Depth=3
	global_wb scope:SCOPE_DEV
	s_wait_storecnt 0x0
	global_inv scope:SCOPE_DEV
	global_load_b32 v203, v2, s[46:47]
	s_wait_loadcnt 0x0
	v_cmp_gt_i32_e32 vcc_lo, s93, v203
	s_cbranch_vccnz .LBB192_455
.LBB192_456:                            ;   in Loop: Header=BB192_453 Depth=2
	s_or_b32 exec_lo, exec_lo, s94
	s_sub_co_i32 s94, s59, s93
	global_wb scope:SCOPE_DEV
	s_wait_storecnt 0x0
	global_inv scope:SCOPE_DEV
	s_lshl_b32 s95, s94, 5
	s_wait_loadcnt 0x0
	s_barrier_signal -1
	s_barrier_wait -1
	s_and_saveexec_b32 s96, s36
	s_cbranch_execz .LBB192_461
; %bb.457:                              ;   in Loop: Header=BB192_453 Depth=2
	s_ashr_i32 vcc_lo, s95, 31
	s_delay_alu instid0(SALU_CYCLE_1) | instskip(NEXT) | instid1(VALU_DEP_1)
	v_dual_mov_b32 v5, vcc_lo :: v_dual_bitop2_b32 v4, s95, v24 bitop3:0x54
	v_cmp_le_i64_e32 vcc_lo, s[52:53], v[4:5]
	s_and_saveexec_b32 s97, vcc_lo
	s_delay_alu instid0(SALU_CYCLE_1)
	s_xor_b32 vcc_lo, exec_lo, s97
; %bb.458:                              ;   in Loop: Header=BB192_453 Depth=2
	v_dual_mov_b32 v3, v2 :: v_dual_mov_b32 v4, v2
	v_mov_b32_e32 v5, v2
	ds_store_b128 v197, v[2:5]
                                        ; implicit-def: $vgpr4_vgpr5
; %bb.459:                              ;   in Loop: Header=BB192_453 Depth=2
	s_and_not1_saveexec_b32 s97, vcc_lo
	s_cbranch_execz .LBB192_461
; %bb.460:                              ;   in Loop: Header=BB192_453 Depth=2
	v_mul_u64_e32 v[4:5], s[54:55], v[4:5]
	s_delay_alu instid0(VALU_DEP_1)
	v_lshl_add_u64 v[4:5], v[4:5], 4, v[38:39]
	flat_load_b128 v[18:21], v[4:5]
	s_wait_loadcnt_dscnt 0x0
	ds_store_2addr_b64 v197, v[18:19], v[20:21] offset1:1
.LBB192_461:                            ;   in Loop: Header=BB192_453 Depth=2
	s_or_b32 exec_lo, exec_lo, s96
	v_add_nc_u32_e32 v18, s95, v42
	s_cmp_lg_u32 s94, s92
	s_wait_dscnt 0x0
	s_cselect_b32 s95, -1, 0
	s_barrier_signal -1
	v_ashrrev_i32_e32 v19, 31, v18
	v_cmp_gt_i32_e32 vcc_lo, s52, v18
	v_cndmask_b32_e64 v3, 0, 1, s95
	s_barrier_wait -1
	s_delay_alu instid0(VALU_DEP_3) | instskip(SKIP_1) | instid1(SALU_CYCLE_1)
	v_lshl_add_u64 v[4:5], v[18:19], 4, v[36:37]
	s_and_b32 s96, vcc_lo, s2
	s_and_saveexec_b32 s94, s96
	s_cbranch_execz .LBB192_467
; %bb.462:                              ;   in Loop: Header=BB192_453 Depth=2
	v_mov_b64_e32 v[20:21], v[6:7]
	s_and_not1_b32 vcc_lo, exec_lo, s95
	s_cbranch_vccnz .LBB192_464
; %bb.463:                              ;   in Loop: Header=BB192_453 Depth=2
	flat_load_b64 v[20:21], v[4:5]
.LBB192_464:                            ;   in Loop: Header=BB192_453 Depth=2
	v_cmp_ne_u32_e32 vcc_lo, 1, v3
	v_mov_b64_e32 v[40:41], v[8:9]
	s_cbranch_vccnz .LBB192_466
; %bb.465:                              ;   in Loop: Header=BB192_453 Depth=2
	flat_load_b64 v[40:41], v[4:5] offset:8
.LBB192_466:                            ;   in Loop: Header=BB192_453 Depth=2
	ds_load_b128 v[204:207], v129
	s_wait_loadcnt_dscnt 0x0
	v_mul_f64_e32 v[208:209], v[40:41], v[206:207]
	v_mul_f64_e32 v[40:41], v[40:41], v[204:205]
	s_delay_alu instid0(VALU_DEP_2) | instskip(NEXT) | instid1(VALU_DEP_2)
	v_fmac_f64_e32 v[208:209], v[20:21], v[204:205]
	v_fma_f64 v[20:21], v[20:21], v[206:207], -v[40:41]
	s_delay_alu instid0(VALU_DEP_2) | instskip(NEXT) | instid1(VALU_DEP_2)
	v_add_f64_e32 v[14:15], v[14:15], v[208:209]
	v_add_f64_e32 v[16:17], v[16:17], v[20:21]
.LBB192_467:                            ;   in Loop: Header=BB192_453 Depth=2
	s_or_b32 exec_lo, exec_lo, s94
	v_add_nc_u32_e32 v18, 16, v18
	s_delay_alu instid0(VALU_DEP_1) | instskip(SKIP_1) | instid1(SALU_CYCLE_1)
	v_cmp_gt_i32_e32 vcc_lo, s52, v18
	s_and_b32 s95, vcc_lo, s2
	s_and_saveexec_b32 s94, s95
	s_cbranch_execz .LBB192_452
; %bb.468:                              ;   in Loop: Header=BB192_453 Depth=2
	v_cmp_ne_u32_e32 vcc_lo, 1, v3
	v_mov_b64_e32 v[18:19], v[10:11]
	s_cbranch_vccnz .LBB192_470
; %bb.469:                              ;   in Loop: Header=BB192_453 Depth=2
	flat_load_b64 v[18:19], v[4:5] offset:256
.LBB192_470:                            ;   in Loop: Header=BB192_453 Depth=2
	v_cmp_ne_u32_e32 vcc_lo, 1, v3
	v_mov_b64_e32 v[20:21], v[12:13]
	s_cbranch_vccnz .LBB192_451
; %bb.471:                              ;   in Loop: Header=BB192_453 Depth=2
	flat_load_b64 v[20:21], v[4:5] offset:264
	s_branch .LBB192_451
.LBB192_472:                            ;   in Loop: Header=BB192_3 Depth=1
	ds_store_b128 v198, v[14:17]
	s_wait_dscnt 0x0
	s_barrier_signal -1
	s_barrier_wait -1
	s_and_saveexec_b32 s46, s5
	s_cbranch_execz .LBB192_474
; %bb.473:                              ;   in Loop: Header=BB192_3 Depth=1
	ds_load_b128 v[18:21], v199 offset:512
	s_wait_dscnt 0x0
	v_add_f64_e32 v[4:5], v[14:15], v[18:19]
	v_add_f64_e32 v[18:19], v[16:17], v[20:21]
	ds_load_b128 v[14:17], v199 offset:1024
	s_wait_dscnt 0x0
	v_add_f64_e32 v[4:5], v[4:5], v[14:15]
	v_add_f64_e32 v[18:19], v[18:19], v[16:17]
	;; [unrolled: 4-line block ×15, first 2 shown]
	s_delay_alu instid0(VALU_DEP_2) | instskip(NEXT) | instid1(VALU_DEP_2)
	v_xor_b32_e32 v3, 0x80000000, v5
	v_xor_b32_e32 v5, 0x80000000, v17
	s_delay_alu instid0(VALU_DEP_4) | instskip(NEXT) | instid1(VALU_DEP_4)
	v_cndmask_b32_e64 v14, v4, 0, s89
	v_cndmask_b32_e64 v16, v16, 0, s89
	s_delay_alu instid0(VALU_DEP_4) | instskip(NEXT) | instid1(VALU_DEP_4)
	v_cndmask_b32_e64 v15, v3, 0, s89
	v_cndmask_b32_e64 v17, v5, 0, s89
.LBB192_474:                            ;   in Loop: Header=BB192_3 Depth=1
	s_or_b32 exec_lo, exec_lo, s46
	s_delay_alu instid0(SALU_CYCLE_1)
	s_and_not1_b32 vcc_lo, exec_lo, s62
	s_cbranch_vccnz .LBB192_483
; %bb.475:                              ;   in Loop: Header=BB192_3 Depth=1
	s_and_saveexec_b32 s46, s5
; %bb.476:                              ;   in Loop: Header=BB192_3 Depth=1
	ds_store_b128 v200, v[14:17]
; %bb.477:                              ;   in Loop: Header=BB192_3 Depth=1
	s_or_b32 exec_lo, exec_lo, s46
	v_mov_b64_e32 v[18:19], 0
	v_mov_b64_e32 v[20:21], 0
	s_wait_dscnt 0x0
	s_barrier_signal -1
	s_barrier_wait -1
	s_and_saveexec_b32 s46, s12
	s_cbranch_execz .LBB192_479
; %bb.478:                              ;   in Loop: Header=BB192_3 Depth=1
	ds_load_b128 v[18:21], v129
	ds_load_b128 v[204:207], v128
	s_wait_dscnt 0x0
	v_mul_f64_e32 v[4:5], v[20:21], v[206:207]
	v_mul_f64_e32 v[36:37], v[18:19], v[206:207]
	s_delay_alu instid0(VALU_DEP_2) | instskip(NEXT) | instid1(VALU_DEP_2)
	v_fma_f64 v[4:5], v[18:19], v[204:205], -v[4:5]
	v_fmac_f64_e32 v[36:37], v[20:21], v[204:205]
	s_delay_alu instid0(VALU_DEP_2) | instskip(NEXT) | instid1(VALU_DEP_2)
	v_add_f64_e32 v[18:19], 0, v[4:5]
	v_add_f64_e32 v[20:21], 0, v[36:37]
.LBB192_479:                            ;   in Loop: Header=BB192_3 Depth=1
	s_or_b32 exec_lo, exec_lo, s46
	s_and_saveexec_b32 s46, s13
	s_cbranch_execz .LBB192_481
; %bb.480:                              ;   in Loop: Header=BB192_3 Depth=1
	ds_load_b128 v[204:207], v129 offset:256
	ds_load_b128 v[208:211], v128 offset:8192
	s_wait_dscnt 0x0
	v_mul_f64_e32 v[4:5], v[206:207], v[210:211]
	v_mul_f64_e32 v[36:37], v[204:205], v[210:211]
	s_delay_alu instid0(VALU_DEP_2) | instskip(NEXT) | instid1(VALU_DEP_2)
	v_fma_f64 v[4:5], v[204:205], v[208:209], -v[4:5]
	v_fmac_f64_e32 v[36:37], v[206:207], v[208:209]
	s_delay_alu instid0(VALU_DEP_2) | instskip(NEXT) | instid1(VALU_DEP_2)
	v_add_f64_e32 v[18:19], v[18:19], v[4:5]
	v_add_f64_e32 v[20:21], v[20:21], v[36:37]
.LBB192_481:                            ;   in Loop: Header=BB192_3 Depth=1
	s_or_b32 exec_lo, exec_lo, s46
	s_mov_b32 s47, 0
	s_mov_b32 s46, 0
	ds_store_b128 v198, v[18:21]
	s_wait_dscnt 0x0
	s_barrier_signal -1
	s_barrier_wait -1
                                        ; implicit-def: $vgpr4_vgpr5
                                        ; implicit-def: $vgpr36_vgpr37
	s_and_saveexec_b32 vcc_lo, s5
	s_cbranch_execz .LBB192_546
; %bb.482:                              ;   in Loop: Header=BB192_3 Depth=1
	ds_load_b128 v[204:207], v199 offset:512
	s_mov_b32 s46, exec_lo
	s_wait_dscnt 0x0
	v_add_f64_e32 v[4:5], v[18:19], v[204:205]
	v_add_f64_e32 v[36:37], v[20:21], v[206:207]
	ds_load_b128 v[18:21], v199 offset:1024
	s_wait_dscnt 0x0
	v_add_f64_e32 v[4:5], v[4:5], v[18:19]
	v_add_f64_e32 v[36:37], v[36:37], v[20:21]
	ds_load_b128 v[18:21], v199 offset:1536
	;; [unrolled: 4-line block ×14, first 2 shown]
	s_wait_dscnt 0x0
	v_add_f64_e32 v[36:37], v[4:5], v[18:19]
	v_add_f64_e32 v[4:5], v[40:41], v[20:21]
	s_or_b32 exec_lo, exec_lo, vcc_lo
	s_delay_alu instid0(SALU_CYCLE_1)
	s_and_b32 vcc_lo, exec_lo, s47
	s_cbranch_vccnz .LBB192_484
	s_branch .LBB192_547
.LBB192_483:                            ;   in Loop: Header=BB192_3 Depth=1
	s_mov_b32 s46, 0
                                        ; implicit-def: $vgpr4_vgpr5
                                        ; implicit-def: $vgpr36_vgpr37
	s_cbranch_execz .LBB192_547
.LBB192_484:                            ;   in Loop: Header=BB192_3 Depth=1
	v_mov_b32_e32 v3, v147
	s_mov_b32 s47, 31
	s_branch .LBB192_486
.LBB192_485:                            ;   in Loop: Header=BB192_486 Depth=2
	s_or_b32 exec_lo, exec_lo, s94
	v_add_nc_u32_e32 v3, 0xfffffc00, v3
	s_add_co_i32 s47, s47, -2
	s_cmp_lg_u32 s93, 0
	s_barrier_signal -1
	s_barrier_wait -1
	s_cbranch_scc0 .LBB192_494
.LBB192_486:                            ;   Parent Loop BB192_3 Depth=1
                                        ; =>  This Inner Loop Header: Depth=2
	s_delay_alu instid0(VALU_DEP_1) | instskip(SKIP_1) | instid1(SALU_CYCLE_1)
	v_cmp_eq_u32_e32 vcc_lo, 0xffffc200, v3
	s_and_b32 s94, s5, vcc_lo
	s_and_saveexec_b32 s93, s94
	s_cbranch_execz .LBB192_488
; %bb.487:                              ;   in Loop: Header=BB192_486 Depth=2
	ds_load_b128 v[18:21], v201
	s_wait_dscnt 0x0
	v_mul_f64_e32 v[4:5], v[16:17], v[20:21]
	v_mul_f64_e32 v[206:207], v[14:15], v[20:21]
	s_delay_alu instid0(VALU_DEP_2) | instskip(NEXT) | instid1(VALU_DEP_2)
	v_fma_f64 v[204:205], v[14:15], v[18:19], -v[4:5]
	v_fmac_f64_e32 v[206:207], v[16:17], v[18:19]
	s_delay_alu instid0(VALU_DEP_2) | instskip(NEXT) | instid1(VALU_DEP_2)
	v_mov_b64_e32 v[14:15], v[204:205]
	v_mov_b64_e32 v[16:17], v[206:207]
	ds_store_b128 v2, v[204:207] offset:25088
.LBB192_488:                            ;   in Loop: Header=BB192_486 Depth=2
	s_or_b32 exec_lo, exec_lo, s93
	v_cmp_gt_u32_e32 vcc_lo, s47, v22
	v_add_nc_u32_e32 v4, v202, v3
	s_wait_dscnt 0x0
	s_barrier_signal -1
	s_barrier_wait -1
	s_and_b32 s94, s5, vcc_lo
	s_delay_alu instid0(SALU_CYCLE_1)
	s_and_saveexec_b32 s93, s94
	s_cbranch_execz .LBB192_490
; %bb.489:                              ;   in Loop: Header=BB192_486 Depth=2
	ds_load_b128 v[18:21], v2 offset:25088
	ds_load_b128 v[204:207], v4 offset:512
	s_wait_dscnt 0x0
	v_mul_f64_e32 v[36:37], v[20:21], v[206:207]
	s_delay_alu instid0(VALU_DEP_1) | instskip(SKIP_1) | instid1(VALU_DEP_2)
	v_fma_f64 v[36:37], v[18:19], v[204:205], -v[36:37]
	v_mul_f64_e32 v[18:19], v[18:19], v[206:207]
	v_add_f64_e32 v[14:15], v[14:15], v[36:37]
	s_delay_alu instid0(VALU_DEP_2) | instskip(NEXT) | instid1(VALU_DEP_1)
	v_fmac_f64_e32 v[18:19], v[20:21], v[204:205]
	v_add_f64_e32 v[16:17], v[16:17], v[18:19]
.LBB192_490:                            ;   in Loop: Header=BB192_486 Depth=2
	s_or_b32 exec_lo, exec_lo, s93
	s_add_co_i32 s93, s47, -1
	s_delay_alu instid0(SALU_CYCLE_1) | instskip(SKIP_3) | instid1(SALU_CYCLE_1)
	v_cmp_eq_u32_e32 vcc_lo, s93, v22
	s_barrier_signal -1
	s_barrier_wait -1
	s_and_b32 s95, s5, vcc_lo
	s_and_saveexec_b32 s94, s95
	s_cbranch_execz .LBB192_492
; %bb.491:                              ;   in Loop: Header=BB192_486 Depth=2
	ds_load_b128 v[18:21], v201
	s_wait_dscnt 0x0
	v_mul_f64_e32 v[36:37], v[16:17], v[20:21]
	v_mul_f64_e32 v[206:207], v[14:15], v[20:21]
	s_delay_alu instid0(VALU_DEP_2) | instskip(NEXT) | instid1(VALU_DEP_2)
	v_fma_f64 v[204:205], v[14:15], v[18:19], -v[36:37]
	v_fmac_f64_e32 v[206:207], v[16:17], v[18:19]
	s_delay_alu instid0(VALU_DEP_2) | instskip(NEXT) | instid1(VALU_DEP_2)
	v_mov_b64_e32 v[14:15], v[204:205]
	v_mov_b64_e32 v[16:17], v[206:207]
	ds_store_b128 v2, v[204:207] offset:25088
.LBB192_492:                            ;   in Loop: Header=BB192_486 Depth=2
	s_or_b32 exec_lo, exec_lo, s94
	v_cmp_gt_u32_e32 vcc_lo, s93, v22
	s_wait_dscnt 0x0
	s_barrier_signal -1
	s_barrier_wait -1
	s_and_b32 s95, s5, vcc_lo
	s_delay_alu instid0(SALU_CYCLE_1)
	s_and_saveexec_b32 s94, s95
	s_cbranch_execz .LBB192_485
; %bb.493:                              ;   in Loop: Header=BB192_486 Depth=2
	ds_load_b128 v[18:21], v2 offset:25088
	ds_load_b128 v[204:207], v4
	s_wait_dscnt 0x0
	v_mul_f64_e32 v[4:5], v[20:21], v[206:207]
	s_delay_alu instid0(VALU_DEP_1) | instskip(SKIP_1) | instid1(VALU_DEP_2)
	v_fma_f64 v[4:5], v[18:19], v[204:205], -v[4:5]
	v_mul_f64_e32 v[18:19], v[18:19], v[206:207]
	v_add_f64_e32 v[14:15], v[14:15], v[4:5]
	s_delay_alu instid0(VALU_DEP_2) | instskip(NEXT) | instid1(VALU_DEP_1)
	v_fmac_f64_e32 v[18:19], v[20:21], v[204:205]
	v_add_f64_e32 v[16:17], v[16:17], v[18:19]
	s_branch .LBB192_485
.LBB192_494:                            ;   in Loop: Header=BB192_3 Depth=1
	s_and_b32 vcc_lo, exec_lo, s60
	s_mov_b32 s47, -1
	s_cbranch_vccnz .LBB192_548
; %bb.495:                              ;   in Loop: Header=BB192_3 Depth=1
	s_and_not1_b32 vcc_lo, exec_lo, s47
	s_cbranch_vccz .LBB192_549
.LBB192_496:                            ;   in Loop: Header=BB192_3 Depth=1
	s_and_saveexec_b32 s47, s46
	s_cbranch_execz .LBB192_498
.LBB192_497:                            ;   in Loop: Header=BB192_3 Depth=1
	v_lshl_add_u64 v[4:5], v[30:31], 4, v[38:39]
	flat_store_b128 v[4:5], v[14:17]
.LBB192_498:                            ;   in Loop: Header=BB192_3 Depth=1
	s_wait_xcnt 0x0
	s_or_b32 exec_lo, exec_lo, s47
	global_wb scope:SCOPE_DEV
	s_wait_storecnt_dscnt 0x0
	global_inv scope:SCOPE_DEV
	s_wait_loadcnt 0x0
	s_barrier_signal -1
	s_barrier_wait -1
	s_and_saveexec_b32 s46, s35
	s_cbranch_execz .LBB192_2
; %bb.499:                              ;   in Loop: Header=BB192_3 Depth=1
	s_lshl_b64 s[94:95], s[38:39], 2
	s_delay_alu instid0(SALU_CYCLE_1)
	s_add_nc_u64 s[94:95], s[56:57], s[94:95]
	global_load_b32 v3, v2, s[94:95]
	s_wait_loadcnt 0x0
	v_add_nc_u32_e32 v3, 1, v3
	global_store_b32 v2, v3, s[94:95]
	s_branch .LBB192_2
.LBB192_500:                            ;   in Loop: Header=BB192_3 Depth=1
	s_mov_b32 s47, exec_lo
	v_readlane_b32 s93, v212, 13
	s_and_b32 s93, s47, s93
	s_delay_alu instid0(SALU_CYCLE_1)
	s_xor_b32 s47, s93, s47
	s_mov_b32 exec_lo, s93
	s_cbranch_execz .LBB192_504
; %bb.501:                              ;   in Loop: Header=BB192_3 Depth=1
	s_mov_b32 s93, exec_lo
	v_readlane_b32 s94, v212, 28
	s_and_b32 s94, s93, s94
	s_delay_alu instid0(SALU_CYCLE_1)
	s_mov_b32 exec_lo, s94
; %bb.502:                              ;   in Loop: Header=BB192_3 Depth=1
	v_dual_mov_b32 v3, v2 :: v_dual_mov_b32 v4, v2
	v_mov_b32_e32 v5, v2
	ds_store_b128 v148, v[2:5]
; %bb.503:                              ;   in Loop: Header=BB192_3 Depth=1
	s_or_b32 exec_lo, exec_lo, s93
.LBB192_504:                            ;   in Loop: Header=BB192_3 Depth=1
	s_and_not1_saveexec_b32 s47, s47
	s_cbranch_execz .LBB192_510
; %bb.505:                              ;   in Loop: Header=BB192_3 Depth=1
	v_lshl_add_u64 v[4:5], v[32:33], 4, v[40:41]
                                        ; implicit-def: $vgpr18_vgpr19
	flat_load_b128 v[14:17], v[4:5]
	s_wait_loadcnt_dscnt 0x0
	v_cmp_ngt_f64_e64 s93, |v[14:15]|, |v[16:17]|
	s_and_saveexec_b32 s94, s93
	s_delay_alu instid0(SALU_CYCLE_1)
	s_xor_b32 s93, exec_lo, s94
	s_cbranch_execz .LBB192_507
; %bb.506:                              ;   in Loop: Header=BB192_3 Depth=1
	v_div_scale_f64 v[4:5], null, -v[16:17], -v[16:17], v[14:15]
	v_div_scale_f64 v[204:205], vcc_lo, v[14:15], -v[16:17], v[14:15]
	s_delay_alu instid0(VALU_DEP_2) | instskip(SKIP_1) | instid1(TRANS32_DEP_1)
	v_rcp_f64_e32 v[18:19], v[4:5]
	v_nop
	v_fma_f64 v[20:21], -v[4:5], v[18:19], 1.0
	s_delay_alu instid0(VALU_DEP_1) | instskip(NEXT) | instid1(VALU_DEP_1)
	v_fmac_f64_e32 v[18:19], v[18:19], v[20:21]
	v_fma_f64 v[20:21], -v[4:5], v[18:19], 1.0
	s_delay_alu instid0(VALU_DEP_1) | instskip(NEXT) | instid1(VALU_DEP_1)
	v_fmac_f64_e32 v[18:19], v[18:19], v[20:21]
	v_mul_f64_e32 v[20:21], v[204:205], v[18:19]
	s_delay_alu instid0(VALU_DEP_1) | instskip(NEXT) | instid1(VALU_DEP_1)
	v_fma_f64 v[4:5], -v[4:5], v[20:21], v[204:205]
	v_div_fmas_f64 v[4:5], v[4:5], v[18:19], v[20:21]
	s_delay_alu instid0(VALU_DEP_1) | instskip(NEXT) | instid1(VALU_DEP_1)
	v_div_fixup_f64 v[4:5], v[4:5], -v[16:17], v[14:15]
	v_fma_f64 v[14:15], v[14:15], v[4:5], -v[16:17]
	s_delay_alu instid0(VALU_DEP_1) | instskip(NEXT) | instid1(VALU_DEP_1)
	v_div_scale_f64 v[16:17], null, v[14:15], v[14:15], 1.0
	v_rcp_f64_e32 v[18:19], v[16:17]
	v_nop
	s_delay_alu instid0(TRANS32_DEP_1) | instskip(NEXT) | instid1(VALU_DEP_1)
	v_fma_f64 v[20:21], -v[16:17], v[18:19], 1.0
	v_fmac_f64_e32 v[18:19], v[18:19], v[20:21]
	s_delay_alu instid0(VALU_DEP_1) | instskip(NEXT) | instid1(VALU_DEP_1)
	v_fma_f64 v[20:21], -v[16:17], v[18:19], 1.0
	v_fmac_f64_e32 v[18:19], v[18:19], v[20:21]
	v_div_scale_f64 v[20:21], vcc_lo, 1.0, v[14:15], 1.0
	s_delay_alu instid0(VALU_DEP_1) | instskip(NEXT) | instid1(VALU_DEP_1)
	v_mul_f64_e32 v[204:205], v[20:21], v[18:19]
	v_fma_f64 v[16:17], -v[16:17], v[204:205], v[20:21]
	s_delay_alu instid0(VALU_DEP_1) | instskip(NEXT) | instid1(VALU_DEP_1)
	v_div_fmas_f64 v[16:17], v[16:17], v[18:19], v[204:205]
	v_div_fixup_f64 v[20:21], v[16:17], v[14:15], 1.0
                                        ; implicit-def: $vgpr14_vgpr15
	s_delay_alu instid0(VALU_DEP_1)
	v_mul_f64_e32 v[18:19], v[4:5], v[20:21]
	v_xor_b32_e32 v21, 0x80000000, v21
.LBB192_507:                            ;   in Loop: Header=BB192_3 Depth=1
	s_and_not1_saveexec_b32 s93, s93
	s_cbranch_execz .LBB192_509
; %bb.508:                              ;   in Loop: Header=BB192_3 Depth=1
	v_div_scale_f64 v[4:5], null, v[14:15], v[14:15], -v[16:17]
	v_div_scale_f64 v[204:205], vcc_lo, -v[16:17], v[14:15], -v[16:17]
	s_delay_alu instid0(VALU_DEP_2) | instskip(SKIP_1) | instid1(TRANS32_DEP_1)
	v_rcp_f64_e32 v[18:19], v[4:5]
	v_nop
	v_fma_f64 v[20:21], -v[4:5], v[18:19], 1.0
	s_delay_alu instid0(VALU_DEP_1) | instskip(NEXT) | instid1(VALU_DEP_1)
	v_fmac_f64_e32 v[18:19], v[18:19], v[20:21]
	v_fma_f64 v[20:21], -v[4:5], v[18:19], 1.0
	s_delay_alu instid0(VALU_DEP_1) | instskip(NEXT) | instid1(VALU_DEP_1)
	v_fmac_f64_e32 v[18:19], v[18:19], v[20:21]
	v_mul_f64_e32 v[20:21], v[204:205], v[18:19]
	s_delay_alu instid0(VALU_DEP_1) | instskip(NEXT) | instid1(VALU_DEP_1)
	v_fma_f64 v[4:5], -v[4:5], v[20:21], v[204:205]
	v_div_fmas_f64 v[4:5], v[4:5], v[18:19], v[20:21]
	s_delay_alu instid0(VALU_DEP_1) | instskip(NEXT) | instid1(VALU_DEP_1)
	v_div_fixup_f64 v[4:5], v[4:5], v[14:15], -v[16:17]
	v_fma_f64 v[14:15], -v[16:17], v[4:5], v[14:15]
	s_delay_alu instid0(VALU_DEP_1) | instskip(NEXT) | instid1(VALU_DEP_1)
	v_div_scale_f64 v[16:17], null, v[14:15], v[14:15], 1.0
	v_rcp_f64_e32 v[18:19], v[16:17]
	v_nop
	s_delay_alu instid0(TRANS32_DEP_1) | instskip(NEXT) | instid1(VALU_DEP_1)
	v_fma_f64 v[20:21], -v[16:17], v[18:19], 1.0
	v_fmac_f64_e32 v[18:19], v[18:19], v[20:21]
	s_delay_alu instid0(VALU_DEP_1) | instskip(NEXT) | instid1(VALU_DEP_1)
	v_fma_f64 v[20:21], -v[16:17], v[18:19], 1.0
	v_fmac_f64_e32 v[18:19], v[18:19], v[20:21]
	v_div_scale_f64 v[20:21], vcc_lo, 1.0, v[14:15], 1.0
	s_delay_alu instid0(VALU_DEP_1) | instskip(NEXT) | instid1(VALU_DEP_1)
	v_mul_f64_e32 v[204:205], v[20:21], v[18:19]
	v_fma_f64 v[16:17], -v[16:17], v[204:205], v[20:21]
	s_delay_alu instid0(VALU_DEP_1) | instskip(NEXT) | instid1(VALU_DEP_1)
	v_div_fmas_f64 v[16:17], v[16:17], v[18:19], v[204:205]
	v_div_fixup_f64 v[18:19], v[16:17], v[14:15], 1.0
	s_delay_alu instid0(VALU_DEP_1)
	v_mul_f64_e64 v[20:21], v[4:5], -v[18:19]
.LBB192_509:                            ;   in Loop: Header=BB192_3 Depth=1
	s_or_b32 exec_lo, exec_lo, s93
	ds_store_b128 v148, v[18:21]
.LBB192_510:                            ;   in Loop: Header=BB192_3 Depth=1
	s_or_b32 exec_lo, exec_lo, s47
	s_and_not1_saveexec_b32 s46, s46
	s_cbranch_execz .LBB192_12
.LBB192_511:                            ;   in Loop: Header=BB192_3 Depth=1
	v_lshl_add_u64 v[4:5], v[32:33], 4, v[40:41]
	flat_load_b128 v[14:17], v[4:5]
	s_wait_loadcnt_dscnt 0x0
	v_xor_b32_e32 v15, 0x80000000, v15
	ds_store_b128 v148, v[14:17]
	s_or_b32 exec_lo, exec_lo, s46
	s_and_saveexec_b32 s46, s13
	s_delay_alu instid0(SALU_CYCLE_1)
	s_xor_b32 s46, exec_lo, s46
	s_cbranch_execz .LBB192_13
.LBB192_512:                            ;   in Loop: Header=BB192_3 Depth=1
	s_mov_b32 s47, exec_lo
	v_readlane_b32 s93, v212, 15
	s_and_b32 s93, s47, s93
	s_delay_alu instid0(SALU_CYCLE_1)
	s_xor_b32 s47, s93, s47
	s_mov_b32 exec_lo, s93
	s_cbranch_execz .LBB192_516
; %bb.513:                              ;   in Loop: Header=BB192_3 Depth=1
	s_mov_b32 s93, exec_lo
	v_readlane_b32 s94, v212, 29
	s_and_b32 s94, s93, s94
	s_delay_alu instid0(SALU_CYCLE_1)
	s_mov_b32 exec_lo, s94
; %bb.514:                              ;   in Loop: Header=BB192_3 Depth=1
	v_dual_mov_b32 v3, v2 :: v_dual_mov_b32 v4, v2
	v_mov_b32_e32 v5, v2
	ds_store_b128 v149, v[2:5]
; %bb.515:                              ;   in Loop: Header=BB192_3 Depth=1
	s_or_b32 exec_lo, exec_lo, s93
.LBB192_516:                            ;   in Loop: Header=BB192_3 Depth=1
	s_and_not1_saveexec_b32 s47, s47
	s_cbranch_execz .LBB192_522
; %bb.517:                              ;   in Loop: Header=BB192_3 Depth=1
	v_lshl_add_u64 v[4:5], v[34:35], 4, v[40:41]
                                        ; implicit-def: $vgpr18_vgpr19
	flat_load_b128 v[14:17], v[4:5]
	s_wait_loadcnt_dscnt 0x0
	v_cmp_ngt_f64_e64 s93, |v[14:15]|, |v[16:17]|
	s_and_saveexec_b32 s94, s93
	s_delay_alu instid0(SALU_CYCLE_1)
	s_xor_b32 s93, exec_lo, s94
	s_cbranch_execz .LBB192_519
; %bb.518:                              ;   in Loop: Header=BB192_3 Depth=1
	v_div_scale_f64 v[4:5], null, -v[16:17], -v[16:17], v[14:15]
	v_div_scale_f64 v[204:205], vcc_lo, v[14:15], -v[16:17], v[14:15]
	s_delay_alu instid0(VALU_DEP_2) | instskip(SKIP_1) | instid1(TRANS32_DEP_1)
	v_rcp_f64_e32 v[18:19], v[4:5]
	v_nop
	v_fma_f64 v[20:21], -v[4:5], v[18:19], 1.0
	s_delay_alu instid0(VALU_DEP_1) | instskip(NEXT) | instid1(VALU_DEP_1)
	v_fmac_f64_e32 v[18:19], v[18:19], v[20:21]
	v_fma_f64 v[20:21], -v[4:5], v[18:19], 1.0
	s_delay_alu instid0(VALU_DEP_1) | instskip(NEXT) | instid1(VALU_DEP_1)
	v_fmac_f64_e32 v[18:19], v[18:19], v[20:21]
	v_mul_f64_e32 v[20:21], v[204:205], v[18:19]
	s_delay_alu instid0(VALU_DEP_1) | instskip(NEXT) | instid1(VALU_DEP_1)
	v_fma_f64 v[4:5], -v[4:5], v[20:21], v[204:205]
	v_div_fmas_f64 v[4:5], v[4:5], v[18:19], v[20:21]
	s_delay_alu instid0(VALU_DEP_1) | instskip(NEXT) | instid1(VALU_DEP_1)
	v_div_fixup_f64 v[4:5], v[4:5], -v[16:17], v[14:15]
	v_fma_f64 v[14:15], v[14:15], v[4:5], -v[16:17]
	s_delay_alu instid0(VALU_DEP_1) | instskip(NEXT) | instid1(VALU_DEP_1)
	v_div_scale_f64 v[16:17], null, v[14:15], v[14:15], 1.0
	v_rcp_f64_e32 v[18:19], v[16:17]
	v_nop
	s_delay_alu instid0(TRANS32_DEP_1) | instskip(NEXT) | instid1(VALU_DEP_1)
	v_fma_f64 v[20:21], -v[16:17], v[18:19], 1.0
	v_fmac_f64_e32 v[18:19], v[18:19], v[20:21]
	s_delay_alu instid0(VALU_DEP_1) | instskip(NEXT) | instid1(VALU_DEP_1)
	v_fma_f64 v[20:21], -v[16:17], v[18:19], 1.0
	v_fmac_f64_e32 v[18:19], v[18:19], v[20:21]
	v_div_scale_f64 v[20:21], vcc_lo, 1.0, v[14:15], 1.0
	s_delay_alu instid0(VALU_DEP_1) | instskip(NEXT) | instid1(VALU_DEP_1)
	v_mul_f64_e32 v[204:205], v[20:21], v[18:19]
	v_fma_f64 v[16:17], -v[16:17], v[204:205], v[20:21]
	s_delay_alu instid0(VALU_DEP_1) | instskip(NEXT) | instid1(VALU_DEP_1)
	v_div_fmas_f64 v[16:17], v[16:17], v[18:19], v[204:205]
	v_div_fixup_f64 v[20:21], v[16:17], v[14:15], 1.0
                                        ; implicit-def: $vgpr14_vgpr15
	s_delay_alu instid0(VALU_DEP_1)
	v_mul_f64_e32 v[18:19], v[4:5], v[20:21]
	v_xor_b32_e32 v21, 0x80000000, v21
.LBB192_519:                            ;   in Loop: Header=BB192_3 Depth=1
	s_and_not1_saveexec_b32 s93, s93
	s_cbranch_execz .LBB192_521
; %bb.520:                              ;   in Loop: Header=BB192_3 Depth=1
	v_div_scale_f64 v[4:5], null, v[14:15], v[14:15], -v[16:17]
	v_div_scale_f64 v[204:205], vcc_lo, -v[16:17], v[14:15], -v[16:17]
	s_delay_alu instid0(VALU_DEP_2) | instskip(SKIP_1) | instid1(TRANS32_DEP_1)
	v_rcp_f64_e32 v[18:19], v[4:5]
	v_nop
	v_fma_f64 v[20:21], -v[4:5], v[18:19], 1.0
	s_delay_alu instid0(VALU_DEP_1) | instskip(NEXT) | instid1(VALU_DEP_1)
	v_fmac_f64_e32 v[18:19], v[18:19], v[20:21]
	v_fma_f64 v[20:21], -v[4:5], v[18:19], 1.0
	s_delay_alu instid0(VALU_DEP_1) | instskip(NEXT) | instid1(VALU_DEP_1)
	v_fmac_f64_e32 v[18:19], v[18:19], v[20:21]
	v_mul_f64_e32 v[20:21], v[204:205], v[18:19]
	s_delay_alu instid0(VALU_DEP_1) | instskip(NEXT) | instid1(VALU_DEP_1)
	v_fma_f64 v[4:5], -v[4:5], v[20:21], v[204:205]
	v_div_fmas_f64 v[4:5], v[4:5], v[18:19], v[20:21]
	s_delay_alu instid0(VALU_DEP_1) | instskip(NEXT) | instid1(VALU_DEP_1)
	v_div_fixup_f64 v[4:5], v[4:5], v[14:15], -v[16:17]
	v_fma_f64 v[14:15], -v[16:17], v[4:5], v[14:15]
	s_delay_alu instid0(VALU_DEP_1) | instskip(NEXT) | instid1(VALU_DEP_1)
	v_div_scale_f64 v[16:17], null, v[14:15], v[14:15], 1.0
	v_rcp_f64_e32 v[18:19], v[16:17]
	v_nop
	s_delay_alu instid0(TRANS32_DEP_1) | instskip(NEXT) | instid1(VALU_DEP_1)
	v_fma_f64 v[20:21], -v[16:17], v[18:19], 1.0
	v_fmac_f64_e32 v[18:19], v[18:19], v[20:21]
	s_delay_alu instid0(VALU_DEP_1) | instskip(NEXT) | instid1(VALU_DEP_1)
	v_fma_f64 v[20:21], -v[16:17], v[18:19], 1.0
	v_fmac_f64_e32 v[18:19], v[18:19], v[20:21]
	v_div_scale_f64 v[20:21], vcc_lo, 1.0, v[14:15], 1.0
	s_delay_alu instid0(VALU_DEP_1) | instskip(NEXT) | instid1(VALU_DEP_1)
	v_mul_f64_e32 v[204:205], v[20:21], v[18:19]
	v_fma_f64 v[16:17], -v[16:17], v[204:205], v[20:21]
	s_delay_alu instid0(VALU_DEP_1) | instskip(NEXT) | instid1(VALU_DEP_1)
	v_div_fmas_f64 v[16:17], v[16:17], v[18:19], v[204:205]
	v_div_fixup_f64 v[18:19], v[16:17], v[14:15], 1.0
	s_delay_alu instid0(VALU_DEP_1)
	v_mul_f64_e64 v[20:21], v[4:5], -v[18:19]
.LBB192_521:                            ;   in Loop: Header=BB192_3 Depth=1
	s_or_b32 exec_lo, exec_lo, s93
	ds_store_b128 v149, v[18:21]
.LBB192_522:                            ;   in Loop: Header=BB192_3 Depth=1
	s_or_b32 exec_lo, exec_lo, s47
	s_and_not1_saveexec_b32 s46, s46
	s_cbranch_execnz .LBB192_14
	s_branch .LBB192_15
.LBB192_523:                            ;   in Loop: Header=BB192_3 Depth=1
	s_mov_b32 s47, exec_lo
	v_readlane_b32 s93, v212, 14
	s_and_b32 s93, s47, s93
	s_delay_alu instid0(SALU_CYCLE_1)
	s_xor_b32 s47, s93, s47
	s_mov_b32 exec_lo, s93
	s_cbranch_execz .LBB192_527
; %bb.524:                              ;   in Loop: Header=BB192_3 Depth=1
	s_mov_b32 s93, exec_lo
	v_readlane_b32 s94, v212, 28
	s_and_b32 s94, s93, s94
	s_delay_alu instid0(SALU_CYCLE_1)
	s_mov_b32 exec_lo, s94
; %bb.525:                              ;   in Loop: Header=BB192_3 Depth=1
	v_dual_mov_b32 v3, v2 :: v_dual_mov_b32 v4, v2
	v_mov_b32_e32 v5, v2
	ds_store_b128 v130, v[2:5]
; %bb.526:                              ;   in Loop: Header=BB192_3 Depth=1
	s_or_b32 exec_lo, exec_lo, s93
.LBB192_527:                            ;   in Loop: Header=BB192_3 Depth=1
	s_and_not1_saveexec_b32 s47, s47
	s_cbranch_execz .LBB192_533
; %bb.528:                              ;   in Loop: Header=BB192_3 Depth=1
	v_lshl_add_u64 v[4:5], v[32:33], 4, v[40:41]
                                        ; implicit-def: $vgpr18_vgpr19
	flat_load_b128 v[14:17], v[4:5]
	s_wait_loadcnt_dscnt 0x0
	v_cmp_ngt_f64_e64 s93, |v[14:15]|, |v[16:17]|
	s_and_saveexec_b32 s94, s93
	s_delay_alu instid0(SALU_CYCLE_1)
	s_xor_b32 s93, exec_lo, s94
	s_cbranch_execz .LBB192_530
; %bb.529:                              ;   in Loop: Header=BB192_3 Depth=1
	v_div_scale_f64 v[4:5], null, -v[16:17], -v[16:17], v[14:15]
	v_div_scale_f64 v[204:205], vcc_lo, v[14:15], -v[16:17], v[14:15]
	s_delay_alu instid0(VALU_DEP_2) | instskip(SKIP_1) | instid1(TRANS32_DEP_1)
	v_rcp_f64_e32 v[18:19], v[4:5]
	v_nop
	v_fma_f64 v[20:21], -v[4:5], v[18:19], 1.0
	s_delay_alu instid0(VALU_DEP_1) | instskip(NEXT) | instid1(VALU_DEP_1)
	v_fmac_f64_e32 v[18:19], v[18:19], v[20:21]
	v_fma_f64 v[20:21], -v[4:5], v[18:19], 1.0
	s_delay_alu instid0(VALU_DEP_1) | instskip(NEXT) | instid1(VALU_DEP_1)
	v_fmac_f64_e32 v[18:19], v[18:19], v[20:21]
	v_mul_f64_e32 v[20:21], v[204:205], v[18:19]
	s_delay_alu instid0(VALU_DEP_1) | instskip(NEXT) | instid1(VALU_DEP_1)
	v_fma_f64 v[4:5], -v[4:5], v[20:21], v[204:205]
	v_div_fmas_f64 v[4:5], v[4:5], v[18:19], v[20:21]
	s_delay_alu instid0(VALU_DEP_1) | instskip(NEXT) | instid1(VALU_DEP_1)
	v_div_fixup_f64 v[4:5], v[4:5], -v[16:17], v[14:15]
	v_fma_f64 v[14:15], v[14:15], v[4:5], -v[16:17]
	s_delay_alu instid0(VALU_DEP_1) | instskip(NEXT) | instid1(VALU_DEP_1)
	v_div_scale_f64 v[16:17], null, v[14:15], v[14:15], 1.0
	v_rcp_f64_e32 v[18:19], v[16:17]
	v_nop
	s_delay_alu instid0(TRANS32_DEP_1) | instskip(NEXT) | instid1(VALU_DEP_1)
	v_fma_f64 v[20:21], -v[16:17], v[18:19], 1.0
	v_fmac_f64_e32 v[18:19], v[18:19], v[20:21]
	s_delay_alu instid0(VALU_DEP_1) | instskip(NEXT) | instid1(VALU_DEP_1)
	v_fma_f64 v[20:21], -v[16:17], v[18:19], 1.0
	v_fmac_f64_e32 v[18:19], v[18:19], v[20:21]
	v_div_scale_f64 v[20:21], vcc_lo, 1.0, v[14:15], 1.0
	s_delay_alu instid0(VALU_DEP_1) | instskip(NEXT) | instid1(VALU_DEP_1)
	v_mul_f64_e32 v[204:205], v[20:21], v[18:19]
	v_fma_f64 v[16:17], -v[16:17], v[204:205], v[20:21]
	s_delay_alu instid0(VALU_DEP_1) | instskip(NEXT) | instid1(VALU_DEP_1)
	v_div_fmas_f64 v[16:17], v[16:17], v[18:19], v[204:205]
	v_div_fixup_f64 v[20:21], v[16:17], v[14:15], 1.0
                                        ; implicit-def: $vgpr14_vgpr15
	s_delay_alu instid0(VALU_DEP_1)
	v_mul_f64_e32 v[18:19], v[4:5], v[20:21]
	v_xor_b32_e32 v21, 0x80000000, v21
.LBB192_530:                            ;   in Loop: Header=BB192_3 Depth=1
	s_and_not1_saveexec_b32 s93, s93
	s_cbranch_execz .LBB192_532
; %bb.531:                              ;   in Loop: Header=BB192_3 Depth=1
	v_div_scale_f64 v[4:5], null, v[14:15], v[14:15], -v[16:17]
	v_div_scale_f64 v[204:205], vcc_lo, -v[16:17], v[14:15], -v[16:17]
	s_delay_alu instid0(VALU_DEP_2) | instskip(SKIP_1) | instid1(TRANS32_DEP_1)
	v_rcp_f64_e32 v[18:19], v[4:5]
	v_nop
	v_fma_f64 v[20:21], -v[4:5], v[18:19], 1.0
	s_delay_alu instid0(VALU_DEP_1) | instskip(NEXT) | instid1(VALU_DEP_1)
	v_fmac_f64_e32 v[18:19], v[18:19], v[20:21]
	v_fma_f64 v[20:21], -v[4:5], v[18:19], 1.0
	s_delay_alu instid0(VALU_DEP_1) | instskip(NEXT) | instid1(VALU_DEP_1)
	v_fmac_f64_e32 v[18:19], v[18:19], v[20:21]
	v_mul_f64_e32 v[20:21], v[204:205], v[18:19]
	s_delay_alu instid0(VALU_DEP_1) | instskip(NEXT) | instid1(VALU_DEP_1)
	v_fma_f64 v[4:5], -v[4:5], v[20:21], v[204:205]
	v_div_fmas_f64 v[4:5], v[4:5], v[18:19], v[20:21]
	s_delay_alu instid0(VALU_DEP_1) | instskip(NEXT) | instid1(VALU_DEP_1)
	v_div_fixup_f64 v[4:5], v[4:5], v[14:15], -v[16:17]
	v_fma_f64 v[14:15], -v[16:17], v[4:5], v[14:15]
	s_delay_alu instid0(VALU_DEP_1) | instskip(NEXT) | instid1(VALU_DEP_1)
	v_div_scale_f64 v[16:17], null, v[14:15], v[14:15], 1.0
	v_rcp_f64_e32 v[18:19], v[16:17]
	v_nop
	s_delay_alu instid0(TRANS32_DEP_1) | instskip(NEXT) | instid1(VALU_DEP_1)
	v_fma_f64 v[20:21], -v[16:17], v[18:19], 1.0
	v_fmac_f64_e32 v[18:19], v[18:19], v[20:21]
	s_delay_alu instid0(VALU_DEP_1) | instskip(NEXT) | instid1(VALU_DEP_1)
	v_fma_f64 v[20:21], -v[16:17], v[18:19], 1.0
	v_fmac_f64_e32 v[18:19], v[18:19], v[20:21]
	v_div_scale_f64 v[20:21], vcc_lo, 1.0, v[14:15], 1.0
	s_delay_alu instid0(VALU_DEP_1) | instskip(NEXT) | instid1(VALU_DEP_1)
	v_mul_f64_e32 v[204:205], v[20:21], v[18:19]
	v_fma_f64 v[16:17], -v[16:17], v[204:205], v[20:21]
	s_delay_alu instid0(VALU_DEP_1) | instskip(NEXT) | instid1(VALU_DEP_1)
	v_div_fmas_f64 v[16:17], v[16:17], v[18:19], v[204:205]
	v_div_fixup_f64 v[18:19], v[16:17], v[14:15], 1.0
	s_delay_alu instid0(VALU_DEP_1)
	v_mul_f64_e64 v[20:21], v[4:5], -v[18:19]
.LBB192_532:                            ;   in Loop: Header=BB192_3 Depth=1
	s_or_b32 exec_lo, exec_lo, s93
	ds_store_b128 v130, v[18:21]
.LBB192_533:                            ;   in Loop: Header=BB192_3 Depth=1
	s_or_b32 exec_lo, exec_lo, s47
	s_and_not1_saveexec_b32 s46, s46
	s_cbranch_execz .LBB192_19
.LBB192_534:                            ;   in Loop: Header=BB192_3 Depth=1
	v_lshl_add_u64 v[4:5], v[32:33], 4, v[40:41]
	flat_load_b128 v[14:17], v[4:5]
	s_wait_loadcnt_dscnt 0x0
	v_xor_b32_e32 v15, 0x80000000, v15
	ds_store_b128 v130, v[14:17]
	s_or_b32 exec_lo, exec_lo, s46
	s_and_saveexec_b32 s46, s15
	s_delay_alu instid0(SALU_CYCLE_1)
	s_xor_b32 s46, exec_lo, s46
	s_cbranch_execz .LBB192_20
.LBB192_535:                            ;   in Loop: Header=BB192_3 Depth=1
	s_mov_b32 s47, exec_lo
	v_readlane_b32 s93, v212, 16
	s_and_b32 s93, s47, s93
	s_delay_alu instid0(SALU_CYCLE_1)
	s_xor_b32 s47, s93, s47
	s_mov_b32 exec_lo, s93
	s_cbranch_execz .LBB192_539
; %bb.536:                              ;   in Loop: Header=BB192_3 Depth=1
	s_mov_b32 s93, exec_lo
	v_readlane_b32 s94, v212, 29
	s_and_b32 s94, s93, s94
	s_delay_alu instid0(SALU_CYCLE_1)
	s_mov_b32 exec_lo, s94
; %bb.537:                              ;   in Loop: Header=BB192_3 Depth=1
	v_dual_mov_b32 v3, v2 :: v_dual_mov_b32 v4, v2
	v_mov_b32_e32 v5, v2
	ds_store_b128 v149, v[2:5]
; %bb.538:                              ;   in Loop: Header=BB192_3 Depth=1
	s_or_b32 exec_lo, exec_lo, s93
                                        ; implicit-def: $vgpr40_vgpr41
.LBB192_539:                            ;   in Loop: Header=BB192_3 Depth=1
	s_and_not1_saveexec_b32 s47, s47
	s_cbranch_execz .LBB192_545
; %bb.540:                              ;   in Loop: Header=BB192_3 Depth=1
	v_lshl_add_u64 v[4:5], v[34:35], 4, v[40:41]
                                        ; implicit-def: $vgpr18_vgpr19
	flat_load_b128 v[14:17], v[4:5]
	s_wait_loadcnt_dscnt 0x0
	v_cmp_ngt_f64_e64 s93, |v[14:15]|, |v[16:17]|
	s_and_saveexec_b32 s94, s93
	s_delay_alu instid0(SALU_CYCLE_1)
	s_xor_b32 s93, exec_lo, s94
	s_cbranch_execz .LBB192_542
; %bb.541:                              ;   in Loop: Header=BB192_3 Depth=1
	v_div_scale_f64 v[4:5], null, -v[16:17], -v[16:17], v[14:15]
	v_div_scale_f64 v[40:41], vcc_lo, v[14:15], -v[16:17], v[14:15]
	s_delay_alu instid0(VALU_DEP_2) | instskip(SKIP_1) | instid1(TRANS32_DEP_1)
	v_rcp_f64_e32 v[18:19], v[4:5]
	v_nop
	v_fma_f64 v[20:21], -v[4:5], v[18:19], 1.0
	s_delay_alu instid0(VALU_DEP_1) | instskip(NEXT) | instid1(VALU_DEP_1)
	v_fmac_f64_e32 v[18:19], v[18:19], v[20:21]
	v_fma_f64 v[20:21], -v[4:5], v[18:19], 1.0
	s_delay_alu instid0(VALU_DEP_1) | instskip(NEXT) | instid1(VALU_DEP_1)
	v_fmac_f64_e32 v[18:19], v[18:19], v[20:21]
	v_mul_f64_e32 v[20:21], v[40:41], v[18:19]
	s_delay_alu instid0(VALU_DEP_1) | instskip(NEXT) | instid1(VALU_DEP_1)
	v_fma_f64 v[4:5], -v[4:5], v[20:21], v[40:41]
	v_div_fmas_f64 v[4:5], v[4:5], v[18:19], v[20:21]
	s_delay_alu instid0(VALU_DEP_1) | instskip(NEXT) | instid1(VALU_DEP_1)
	v_div_fixup_f64 v[4:5], v[4:5], -v[16:17], v[14:15]
	v_fma_f64 v[14:15], v[14:15], v[4:5], -v[16:17]
	s_delay_alu instid0(VALU_DEP_1) | instskip(NEXT) | instid1(VALU_DEP_1)
	v_div_scale_f64 v[16:17], null, v[14:15], v[14:15], 1.0
	v_rcp_f64_e32 v[18:19], v[16:17]
	v_nop
	s_delay_alu instid0(TRANS32_DEP_1) | instskip(NEXT) | instid1(VALU_DEP_1)
	v_fma_f64 v[20:21], -v[16:17], v[18:19], 1.0
	v_fmac_f64_e32 v[18:19], v[18:19], v[20:21]
	s_delay_alu instid0(VALU_DEP_1) | instskip(NEXT) | instid1(VALU_DEP_1)
	v_fma_f64 v[20:21], -v[16:17], v[18:19], 1.0
	v_fmac_f64_e32 v[18:19], v[18:19], v[20:21]
	v_div_scale_f64 v[20:21], vcc_lo, 1.0, v[14:15], 1.0
	s_delay_alu instid0(VALU_DEP_1) | instskip(NEXT) | instid1(VALU_DEP_1)
	v_mul_f64_e32 v[40:41], v[20:21], v[18:19]
	v_fma_f64 v[16:17], -v[16:17], v[40:41], v[20:21]
	s_delay_alu instid0(VALU_DEP_1) | instskip(NEXT) | instid1(VALU_DEP_1)
	v_div_fmas_f64 v[16:17], v[16:17], v[18:19], v[40:41]
	v_div_fixup_f64 v[20:21], v[16:17], v[14:15], 1.0
                                        ; implicit-def: $vgpr14_vgpr15
	s_delay_alu instid0(VALU_DEP_1)
	v_mul_f64_e32 v[18:19], v[4:5], v[20:21]
	v_xor_b32_e32 v21, 0x80000000, v21
.LBB192_542:                            ;   in Loop: Header=BB192_3 Depth=1
	s_and_not1_saveexec_b32 s93, s93
	s_cbranch_execz .LBB192_544
; %bb.543:                              ;   in Loop: Header=BB192_3 Depth=1
	v_div_scale_f64 v[4:5], null, v[14:15], v[14:15], -v[16:17]
	v_div_scale_f64 v[40:41], vcc_lo, -v[16:17], v[14:15], -v[16:17]
	s_delay_alu instid0(VALU_DEP_2) | instskip(SKIP_1) | instid1(TRANS32_DEP_1)
	v_rcp_f64_e32 v[18:19], v[4:5]
	v_nop
	v_fma_f64 v[20:21], -v[4:5], v[18:19], 1.0
	s_delay_alu instid0(VALU_DEP_1) | instskip(NEXT) | instid1(VALU_DEP_1)
	v_fmac_f64_e32 v[18:19], v[18:19], v[20:21]
	v_fma_f64 v[20:21], -v[4:5], v[18:19], 1.0
	s_delay_alu instid0(VALU_DEP_1) | instskip(NEXT) | instid1(VALU_DEP_1)
	v_fmac_f64_e32 v[18:19], v[18:19], v[20:21]
	v_mul_f64_e32 v[20:21], v[40:41], v[18:19]
	s_delay_alu instid0(VALU_DEP_1) | instskip(NEXT) | instid1(VALU_DEP_1)
	v_fma_f64 v[4:5], -v[4:5], v[20:21], v[40:41]
	v_div_fmas_f64 v[4:5], v[4:5], v[18:19], v[20:21]
	s_delay_alu instid0(VALU_DEP_1) | instskip(NEXT) | instid1(VALU_DEP_1)
	v_div_fixup_f64 v[4:5], v[4:5], v[14:15], -v[16:17]
	v_fma_f64 v[14:15], -v[16:17], v[4:5], v[14:15]
	s_delay_alu instid0(VALU_DEP_1) | instskip(NEXT) | instid1(VALU_DEP_1)
	v_div_scale_f64 v[16:17], null, v[14:15], v[14:15], 1.0
	v_rcp_f64_e32 v[18:19], v[16:17]
	v_nop
	s_delay_alu instid0(TRANS32_DEP_1) | instskip(NEXT) | instid1(VALU_DEP_1)
	v_fma_f64 v[20:21], -v[16:17], v[18:19], 1.0
	v_fmac_f64_e32 v[18:19], v[18:19], v[20:21]
	s_delay_alu instid0(VALU_DEP_1) | instskip(NEXT) | instid1(VALU_DEP_1)
	v_fma_f64 v[20:21], -v[16:17], v[18:19], 1.0
	v_fmac_f64_e32 v[18:19], v[18:19], v[20:21]
	v_div_scale_f64 v[20:21], vcc_lo, 1.0, v[14:15], 1.0
	s_delay_alu instid0(VALU_DEP_1) | instskip(NEXT) | instid1(VALU_DEP_1)
	v_mul_f64_e32 v[40:41], v[20:21], v[18:19]
	v_fma_f64 v[16:17], -v[16:17], v[40:41], v[20:21]
	s_delay_alu instid0(VALU_DEP_1) | instskip(NEXT) | instid1(VALU_DEP_1)
	v_div_fmas_f64 v[16:17], v[16:17], v[18:19], v[40:41]
	v_div_fixup_f64 v[18:19], v[16:17], v[14:15], 1.0
	s_delay_alu instid0(VALU_DEP_1)
	v_mul_f64_e64 v[20:21], v[4:5], -v[18:19]
.LBB192_544:                            ;   in Loop: Header=BB192_3 Depth=1
	s_or_b32 exec_lo, exec_lo, s93
	ds_store_b128 v149, v[18:21]
.LBB192_545:                            ;   in Loop: Header=BB192_3 Depth=1
	s_or_b32 exec_lo, exec_lo, s47
                                        ; implicit-def: $vgpr40_vgpr41
	s_and_not1_saveexec_b32 s46, s46
	s_cbranch_execnz .LBB192_21
	s_branch .LBB192_22
.LBB192_546:                            ;   in Loop: Header=BB192_3 Depth=1
	s_or_b32 exec_lo, exec_lo, vcc_lo
	s_delay_alu instid0(SALU_CYCLE_1)
	s_and_b32 vcc_lo, exec_lo, s47
	s_cbranch_vccnz .LBB192_484
.LBB192_547:                            ;   in Loop: Header=BB192_3 Depth=1
	s_delay_alu instid0(VALU_DEP_1) | instskip(NEXT) | instid1(VALU_DEP_3)
	v_mov_b64_e32 v[16:17], v[4:5]
	v_mov_b64_e32 v[14:15], v[36:37]
	s_and_saveexec_b32 s47, s46
	s_cbranch_execnz .LBB192_497
	s_branch .LBB192_498
.LBB192_548:                            ;   in Loop: Header=BB192_3 Depth=1
	s_and_not1_b32 s46, s46, exec_lo
	s_and_b32 s93, s5, exec_lo
	s_delay_alu instid0(SALU_CYCLE_1)
	s_or_b32 s46, s46, s93
	s_cbranch_execnz .LBB192_496
.LBB192_549:                            ;   in Loop: Header=BB192_3 Depth=1
	v_readlane_b32 s47, v212, 12
	s_and_not1_b32 s46, s46, exec_lo
	s_and_b32 s47, s47, exec_lo
	s_delay_alu instid0(SALU_CYCLE_1) | instskip(NEXT) | instid1(SALU_CYCLE_1)
	s_or_b32 s46, s46, s47
	s_and_saveexec_b32 s47, s46
	s_cbranch_execnz .LBB192_497
	s_branch .LBB192_498
.LBB192_550:                            ;   in Loop: Header=BB192_3 Depth=1
	ds_load_b128 v[18:21], v47 offset:16
	ds_load_b128 v[204:207], v53 offset:576
	s_wait_dscnt 0x0
	v_mul_f64_e32 v[4:5], v[20:21], v[206:207]
	s_delay_alu instid0(VALU_DEP_1) | instskip(SKIP_1) | instid1(VALU_DEP_2)
	v_fma_f64 v[4:5], v[18:19], v[204:205], -v[4:5]
	v_mul_f64_e32 v[18:19], v[18:19], v[206:207]
	v_add_f64_e32 v[14:15], v[14:15], v[4:5]
	s_delay_alu instid0(VALU_DEP_2) | instskip(NEXT) | instid1(VALU_DEP_1)
	v_fmac_f64_e32 v[18:19], v[20:21], v[204:205]
	v_add_f64_e32 v[16:17], v[16:17], v[18:19]
	s_or_b32 exec_lo, exec_lo, s47
	s_and_saveexec_b32 s47, s8
	s_cbranch_execz .LBB192_45
.LBB192_551:                            ;   in Loop: Header=BB192_3 Depth=1
	ds_load_b128 v[18:21], v47 offset:32
	ds_load_b128 v[204:207], v52 offset:1088
	s_wait_dscnt 0x0
	v_mul_f64_e32 v[4:5], v[20:21], v[206:207]
	s_delay_alu instid0(VALU_DEP_1) | instskip(SKIP_1) | instid1(VALU_DEP_2)
	v_fma_f64 v[4:5], v[18:19], v[204:205], -v[4:5]
	v_mul_f64_e32 v[18:19], v[18:19], v[206:207]
	v_add_f64_e32 v[14:15], v[14:15], v[4:5]
	s_delay_alu instid0(VALU_DEP_2) | instskip(NEXT) | instid1(VALU_DEP_1)
	v_fmac_f64_e32 v[18:19], v[20:21], v[204:205]
	v_add_f64_e32 v[16:17], v[16:17], v[18:19]
	s_or_b32 exec_lo, exec_lo, s47
	s_and_saveexec_b32 s47, s3
	s_cbranch_execnz .LBB192_46
	s_branch .LBB192_47
.LBB192_552:                            ;   in Loop: Header=BB192_3 Depth=1
	ds_load_b128 v[18:21], v54 offset:16
	ds_load_b128 v[204:207], v60 offset:640
	s_wait_dscnt 0x0
	v_mul_f64_e32 v[4:5], v[20:21], v[206:207]
	s_delay_alu instid0(VALU_DEP_1) | instskip(SKIP_1) | instid1(VALU_DEP_2)
	v_fma_f64 v[4:5], v[18:19], v[204:205], -v[4:5]
	v_mul_f64_e32 v[18:19], v[18:19], v[206:207]
	v_add_f64_e32 v[14:15], v[14:15], v[4:5]
	s_delay_alu instid0(VALU_DEP_2) | instskip(NEXT) | instid1(VALU_DEP_1)
	v_fmac_f64_e32 v[18:19], v[20:21], v[204:205]
	v_add_f64_e32 v[16:17], v[16:17], v[18:19]
	s_or_b32 exec_lo, exec_lo, s47
	s_and_saveexec_b32 s47, s16
	s_cbranch_execz .LBB192_87
.LBB192_553:                            ;   in Loop: Header=BB192_3 Depth=1
	ds_load_b128 v[18:21], v54 offset:32
	ds_load_b128 v[204:207], v60 offset:1152
	s_wait_dscnt 0x0
	v_mul_f64_e32 v[4:5], v[20:21], v[206:207]
	s_delay_alu instid0(VALU_DEP_1) | instskip(SKIP_1) | instid1(VALU_DEP_2)
	v_fma_f64 v[4:5], v[18:19], v[204:205], -v[4:5]
	v_mul_f64_e32 v[18:19], v[18:19], v[206:207]
	v_add_f64_e32 v[14:15], v[14:15], v[4:5]
	s_delay_alu instid0(VALU_DEP_2) | instskip(NEXT) | instid1(VALU_DEP_1)
	v_fmac_f64_e32 v[18:19], v[20:21], v[204:205]
	v_add_f64_e32 v[16:17], v[16:17], v[18:19]
	s_or_b32 exec_lo, exec_lo, s47
	s_and_saveexec_b32 s47, s17
	s_cbranch_execz .LBB192_88
.LBB192_554:                            ;   in Loop: Header=BB192_3 Depth=1
	ds_load_b128 v[18:21], v54 offset:48
	ds_load_b128 v[204:207], v60 offset:1664
	s_wait_dscnt 0x0
	v_mul_f64_e32 v[4:5], v[20:21], v[206:207]
	s_delay_alu instid0(VALU_DEP_1) | instskip(SKIP_1) | instid1(VALU_DEP_2)
	v_fma_f64 v[4:5], v[18:19], v[204:205], -v[4:5]
	v_mul_f64_e32 v[18:19], v[18:19], v[206:207]
	v_add_f64_e32 v[14:15], v[14:15], v[4:5]
	s_delay_alu instid0(VALU_DEP_2) | instskip(NEXT) | instid1(VALU_DEP_1)
	v_fmac_f64_e32 v[18:19], v[20:21], v[204:205]
	v_add_f64_e32 v[16:17], v[16:17], v[18:19]
	s_or_b32 exec_lo, exec_lo, s47
	s_and_saveexec_b32 s47, s18
	s_cbranch_execz .LBB192_89
.LBB192_555:                            ;   in Loop: Header=BB192_3 Depth=1
	ds_load_b128 v[18:21], v54 offset:64
	ds_load_b128 v[204:207], v59 offset:2176
	s_wait_dscnt 0x0
	v_mul_f64_e32 v[4:5], v[20:21], v[206:207]
	s_delay_alu instid0(VALU_DEP_1) | instskip(SKIP_1) | instid1(VALU_DEP_2)
	v_fma_f64 v[4:5], v[18:19], v[204:205], -v[4:5]
	v_mul_f64_e32 v[18:19], v[18:19], v[206:207]
	v_add_f64_e32 v[14:15], v[14:15], v[4:5]
	s_delay_alu instid0(VALU_DEP_2) | instskip(NEXT) | instid1(VALU_DEP_1)
	v_fmac_f64_e32 v[18:19], v[20:21], v[204:205]
	v_add_f64_e32 v[16:17], v[16:17], v[18:19]
	s_or_b32 exec_lo, exec_lo, s47
	s_and_saveexec_b32 s47, s19
	s_cbranch_execz .LBB192_90
.LBB192_556:                            ;   in Loop: Header=BB192_3 Depth=1
	ds_load_b128 v[18:21], v54 offset:80
	ds_load_b128 v[204:207], v60 offset:2688
	s_wait_dscnt 0x0
	v_mul_f64_e32 v[4:5], v[20:21], v[206:207]
	s_delay_alu instid0(VALU_DEP_1) | instskip(SKIP_1) | instid1(VALU_DEP_2)
	v_fma_f64 v[4:5], v[18:19], v[204:205], -v[4:5]
	v_mul_f64_e32 v[18:19], v[18:19], v[206:207]
	v_add_f64_e32 v[14:15], v[14:15], v[4:5]
	s_delay_alu instid0(VALU_DEP_2) | instskip(NEXT) | instid1(VALU_DEP_1)
	v_fmac_f64_e32 v[18:19], v[20:21], v[204:205]
	v_add_f64_e32 v[16:17], v[16:17], v[18:19]
	s_or_b32 exec_lo, exec_lo, s47
	s_and_saveexec_b32 s47, s6
	s_cbranch_execz .LBB192_91
.LBB192_557:                            ;   in Loop: Header=BB192_3 Depth=1
	ds_load_b128 v[18:21], v54 offset:96
	ds_load_b128 v[204:207], v59 offset:3200
	s_wait_dscnt 0x0
	v_mul_f64_e32 v[4:5], v[20:21], v[206:207]
	s_delay_alu instid0(VALU_DEP_1) | instskip(SKIP_1) | instid1(VALU_DEP_2)
	v_fma_f64 v[4:5], v[18:19], v[204:205], -v[4:5]
	v_mul_f64_e32 v[18:19], v[18:19], v[206:207]
	v_add_f64_e32 v[14:15], v[14:15], v[4:5]
	s_delay_alu instid0(VALU_DEP_2) | instskip(NEXT) | instid1(VALU_DEP_1)
	v_fmac_f64_e32 v[18:19], v[20:21], v[204:205]
	v_add_f64_e32 v[16:17], v[16:17], v[18:19]
	s_or_b32 exec_lo, exec_lo, s47
	s_and_saveexec_b32 s47, s8
	s_cbranch_execnz .LBB192_92
	s_branch .LBB192_93
.LBB192_558:                            ;   in Loop: Header=BB192_3 Depth=1
	ds_load_b128 v[18:21], v47 offset:4240
	ds_load_b128 v[204:207], v53 offset:4800
	s_wait_dscnt 0x0
	v_mul_f64_e32 v[4:5], v[20:21], v[206:207]
	s_delay_alu instid0(VALU_DEP_1) | instskip(SKIP_1) | instid1(VALU_DEP_2)
	v_fma_f64 v[4:5], v[18:19], v[204:205], -v[4:5]
	v_mul_f64_e32 v[18:19], v[18:19], v[206:207]
	v_add_f64_e32 v[14:15], v[14:15], v[4:5]
	s_delay_alu instid0(VALU_DEP_2) | instskip(NEXT) | instid1(VALU_DEP_1)
	v_fmac_f64_e32 v[18:19], v[20:21], v[204:205]
	v_add_f64_e32 v[16:17], v[16:17], v[18:19]
	s_or_b32 exec_lo, exec_lo, s47
	s_and_saveexec_b32 s47, s8
	s_cbranch_execz .LBB192_149
.LBB192_559:                            ;   in Loop: Header=BB192_3 Depth=1
	ds_load_b128 v[18:21], v47 offset:4256
	ds_load_b128 v[204:207], v52 offset:5312
	s_wait_dscnt 0x0
	v_mul_f64_e32 v[4:5], v[20:21], v[206:207]
	s_delay_alu instid0(VALU_DEP_1) | instskip(SKIP_1) | instid1(VALU_DEP_2)
	v_fma_f64 v[4:5], v[18:19], v[204:205], -v[4:5]
	v_mul_f64_e32 v[18:19], v[18:19], v[206:207]
	v_add_f64_e32 v[14:15], v[14:15], v[4:5]
	s_delay_alu instid0(VALU_DEP_2) | instskip(NEXT) | instid1(VALU_DEP_1)
	v_fmac_f64_e32 v[18:19], v[20:21], v[204:205]
	v_add_f64_e32 v[16:17], v[16:17], v[18:19]
	s_or_b32 exec_lo, exec_lo, s47
	s_and_saveexec_b32 s47, s3
	s_cbranch_execnz .LBB192_150
	s_branch .LBB192_151
.LBB192_560:                            ;   in Loop: Header=BB192_3 Depth=1
	ds_load_b128 v[18:21], v3 offset:176
	ds_load_b128 v[204:207], v174 offset:5888
	s_wait_dscnt 0x0
	v_mul_f64_e32 v[4:5], v[20:21], v[206:207]
	s_delay_alu instid0(VALU_DEP_1) | instskip(SKIP_1) | instid1(VALU_DEP_2)
	v_fma_f64 v[4:5], v[18:19], v[204:205], -v[4:5]
	v_mul_f64_e32 v[18:19], v[18:19], v[206:207]
	v_add_f64_e32 v[14:15], v[14:15], v[4:5]
	s_delay_alu instid0(VALU_DEP_2) | instskip(NEXT) | instid1(VALU_DEP_1)
	v_fmac_f64_e32 v[18:19], v[20:21], v[204:205]
	v_add_f64_e32 v[16:17], v[16:17], v[18:19]
	s_or_b32 exec_lo, exec_lo, s47
	s_and_saveexec_b32 s47, s9
	s_cbranch_execz .LBB192_211
.LBB192_561:                            ;   in Loop: Header=BB192_3 Depth=1
	ds_load_b128 v[18:21], v3 offset:192
	ds_load_b128 v[204:207], v174 offset:6400
	s_wait_dscnt 0x0
	v_mul_f64_e32 v[4:5], v[20:21], v[206:207]
	s_delay_alu instid0(VALU_DEP_1) | instskip(SKIP_1) | instid1(VALU_DEP_2)
	v_fma_f64 v[4:5], v[18:19], v[204:205], -v[4:5]
	v_mul_f64_e32 v[18:19], v[18:19], v[206:207]
	v_add_f64_e32 v[14:15], v[14:15], v[4:5]
	s_delay_alu instid0(VALU_DEP_2) | instskip(NEXT) | instid1(VALU_DEP_1)
	v_fmac_f64_e32 v[18:19], v[20:21], v[204:205]
	v_add_f64_e32 v[16:17], v[16:17], v[18:19]
	s_or_b32 exec_lo, exec_lo, s47
	s_and_saveexec_b32 s47, s16
	s_cbranch_execz .LBB192_212
.LBB192_562:                            ;   in Loop: Header=BB192_3 Depth=1
	ds_load_b128 v[18:21], v3 offset:208
	ds_load_b128 v[204:207], v174 offset:6912
	s_wait_dscnt 0x0
	v_mul_f64_e32 v[4:5], v[20:21], v[206:207]
	s_delay_alu instid0(VALU_DEP_1) | instskip(SKIP_1) | instid1(VALU_DEP_2)
	v_fma_f64 v[4:5], v[18:19], v[204:205], -v[4:5]
	v_mul_f64_e32 v[18:19], v[18:19], v[206:207]
	v_add_f64_e32 v[14:15], v[14:15], v[4:5]
	s_delay_alu instid0(VALU_DEP_2) | instskip(NEXT) | instid1(VALU_DEP_1)
	v_fmac_f64_e32 v[18:19], v[20:21], v[204:205]
	v_add_f64_e32 v[16:17], v[16:17], v[18:19]
	s_or_b32 exec_lo, exec_lo, s47
	s_and_saveexec_b32 s47, s18
	s_cbranch_execz .LBB192_213
.LBB192_563:                            ;   in Loop: Header=BB192_3 Depth=1
	ds_load_b128 v[18:21], v3 offset:224
	ds_load_b128 v[204:207], v174 offset:7424
	s_wait_dscnt 0x0
	v_mul_f64_e32 v[4:5], v[20:21], v[206:207]
	s_delay_alu instid0(VALU_DEP_1) | instskip(SKIP_1) | instid1(VALU_DEP_2)
	v_fma_f64 v[4:5], v[18:19], v[204:205], -v[4:5]
	v_mul_f64_e32 v[18:19], v[18:19], v[206:207]
	v_add_f64_e32 v[14:15], v[14:15], v[4:5]
	s_delay_alu instid0(VALU_DEP_2) | instskip(NEXT) | instid1(VALU_DEP_1)
	v_fmac_f64_e32 v[18:19], v[20:21], v[204:205]
	v_add_f64_e32 v[16:17], v[16:17], v[18:19]
	s_or_b32 exec_lo, exec_lo, s47
	s_and_saveexec_b32 s47, s6
	s_cbranch_execnz .LBB192_214
	s_branch .LBB192_215
.LBB192_564:                            ;   in Loop: Header=BB192_3 Depth=1
	ds_load_b128 v[18:21], v47 offset:8464
	ds_load_b128 v[204:207], v53 offset:9024
	s_wait_dscnt 0x0
	v_mul_f64_e32 v[4:5], v[20:21], v[206:207]
	s_delay_alu instid0(VALU_DEP_1) | instskip(SKIP_1) | instid1(VALU_DEP_2)
	v_fma_f64 v[4:5], v[18:19], v[204:205], -v[4:5]
	v_mul_f64_e32 v[18:19], v[18:19], v[206:207]
	v_add_f64_e32 v[14:15], v[14:15], v[4:5]
	s_delay_alu instid0(VALU_DEP_2) | instskip(NEXT) | instid1(VALU_DEP_1)
	v_fmac_f64_e32 v[18:19], v[20:21], v[204:205]
	v_add_f64_e32 v[16:17], v[16:17], v[18:19]
	s_or_b32 exec_lo, exec_lo, s47
	s_and_saveexec_b32 s47, s8
	s_cbranch_execz .LBB192_303
.LBB192_565:                            ;   in Loop: Header=BB192_3 Depth=1
	ds_load_b128 v[18:21], v47 offset:8480
	ds_load_b128 v[204:207], v52 offset:9536
	s_wait_dscnt 0x0
	v_mul_f64_e32 v[4:5], v[20:21], v[206:207]
	s_delay_alu instid0(VALU_DEP_1) | instskip(SKIP_1) | instid1(VALU_DEP_2)
	v_fma_f64 v[4:5], v[18:19], v[204:205], -v[4:5]
	v_mul_f64_e32 v[18:19], v[18:19], v[206:207]
	v_add_f64_e32 v[14:15], v[14:15], v[4:5]
	s_delay_alu instid0(VALU_DEP_2) | instskip(NEXT) | instid1(VALU_DEP_1)
	v_fmac_f64_e32 v[18:19], v[20:21], v[204:205]
	v_add_f64_e32 v[16:17], v[16:17], v[18:19]
	s_or_b32 exec_lo, exec_lo, s47
	s_and_saveexec_b32 s47, s3
	s_cbranch_execnz .LBB192_304
	s_branch .LBB192_305
.LBB192_566:                            ;   in Loop: Header=BB192_3 Depth=1
	ds_load_b128 v[18:21], v54 offset:8464
	ds_load_b128 v[204:207], v60 offset:9088
	s_wait_dscnt 0x0
	v_mul_f64_e32 v[4:5], v[20:21], v[206:207]
	s_delay_alu instid0(VALU_DEP_1) | instskip(SKIP_1) | instid1(VALU_DEP_2)
	v_fma_f64 v[4:5], v[18:19], v[204:205], -v[4:5]
	v_mul_f64_e32 v[18:19], v[18:19], v[206:207]
	v_add_f64_e32 v[14:15], v[14:15], v[4:5]
	s_delay_alu instid0(VALU_DEP_2) | instskip(NEXT) | instid1(VALU_DEP_1)
	v_fmac_f64_e32 v[18:19], v[20:21], v[204:205]
	v_add_f64_e32 v[16:17], v[16:17], v[18:19]
	s_or_b32 exec_lo, exec_lo, s47
	s_and_saveexec_b32 s47, s16
	s_cbranch_execz .LBB192_345
.LBB192_567:                            ;   in Loop: Header=BB192_3 Depth=1
	ds_load_b128 v[18:21], v54 offset:8480
	ds_load_b128 v[204:207], v60 offset:9600
	s_wait_dscnt 0x0
	v_mul_f64_e32 v[4:5], v[20:21], v[206:207]
	s_delay_alu instid0(VALU_DEP_1) | instskip(SKIP_1) | instid1(VALU_DEP_2)
	v_fma_f64 v[4:5], v[18:19], v[204:205], -v[4:5]
	v_mul_f64_e32 v[18:19], v[18:19], v[206:207]
	v_add_f64_e32 v[14:15], v[14:15], v[4:5]
	s_delay_alu instid0(VALU_DEP_2) | instskip(NEXT) | instid1(VALU_DEP_1)
	v_fmac_f64_e32 v[18:19], v[20:21], v[204:205]
	v_add_f64_e32 v[16:17], v[16:17], v[18:19]
	s_or_b32 exec_lo, exec_lo, s47
	s_and_saveexec_b32 s47, s17
	s_cbranch_execz .LBB192_346
.LBB192_568:                            ;   in Loop: Header=BB192_3 Depth=1
	ds_load_b128 v[18:21], v54 offset:8496
	ds_load_b128 v[204:207], v60 offset:10112
	s_wait_dscnt 0x0
	v_mul_f64_e32 v[4:5], v[20:21], v[206:207]
	s_delay_alu instid0(VALU_DEP_1) | instskip(SKIP_1) | instid1(VALU_DEP_2)
	v_fma_f64 v[4:5], v[18:19], v[204:205], -v[4:5]
	v_mul_f64_e32 v[18:19], v[18:19], v[206:207]
	v_add_f64_e32 v[14:15], v[14:15], v[4:5]
	s_delay_alu instid0(VALU_DEP_2) | instskip(NEXT) | instid1(VALU_DEP_1)
	v_fmac_f64_e32 v[18:19], v[20:21], v[204:205]
	v_add_f64_e32 v[16:17], v[16:17], v[18:19]
	s_or_b32 exec_lo, exec_lo, s47
	s_and_saveexec_b32 s47, s18
	s_cbranch_execz .LBB192_347
.LBB192_569:                            ;   in Loop: Header=BB192_3 Depth=1
	ds_load_b128 v[18:21], v54 offset:8512
	ds_load_b128 v[204:207], v59 offset:10624
	s_wait_dscnt 0x0
	v_mul_f64_e32 v[4:5], v[20:21], v[206:207]
	s_delay_alu instid0(VALU_DEP_1) | instskip(SKIP_1) | instid1(VALU_DEP_2)
	v_fma_f64 v[4:5], v[18:19], v[204:205], -v[4:5]
	v_mul_f64_e32 v[18:19], v[18:19], v[206:207]
	v_add_f64_e32 v[14:15], v[14:15], v[4:5]
	s_delay_alu instid0(VALU_DEP_2) | instskip(NEXT) | instid1(VALU_DEP_1)
	v_fmac_f64_e32 v[18:19], v[20:21], v[204:205]
	v_add_f64_e32 v[16:17], v[16:17], v[18:19]
	s_or_b32 exec_lo, exec_lo, s47
	s_and_saveexec_b32 s47, s19
	s_cbranch_execz .LBB192_348
.LBB192_570:                            ;   in Loop: Header=BB192_3 Depth=1
	ds_load_b128 v[18:21], v54 offset:8528
	ds_load_b128 v[204:207], v60 offset:11136
	s_wait_dscnt 0x0
	v_mul_f64_e32 v[4:5], v[20:21], v[206:207]
	s_delay_alu instid0(VALU_DEP_1) | instskip(SKIP_1) | instid1(VALU_DEP_2)
	v_fma_f64 v[4:5], v[18:19], v[204:205], -v[4:5]
	v_mul_f64_e32 v[18:19], v[18:19], v[206:207]
	v_add_f64_e32 v[14:15], v[14:15], v[4:5]
	s_delay_alu instid0(VALU_DEP_2) | instskip(NEXT) | instid1(VALU_DEP_1)
	v_fmac_f64_e32 v[18:19], v[20:21], v[204:205]
	v_add_f64_e32 v[16:17], v[16:17], v[18:19]
	s_or_b32 exec_lo, exec_lo, s47
	s_and_saveexec_b32 s47, s6
	s_cbranch_execz .LBB192_349
.LBB192_571:                            ;   in Loop: Header=BB192_3 Depth=1
	ds_load_b128 v[18:21], v54 offset:8544
	ds_load_b128 v[204:207], v59 offset:11648
	s_wait_dscnt 0x0
	v_mul_f64_e32 v[4:5], v[20:21], v[206:207]
	s_delay_alu instid0(VALU_DEP_1) | instskip(SKIP_1) | instid1(VALU_DEP_2)
	v_fma_f64 v[4:5], v[18:19], v[204:205], -v[4:5]
	v_mul_f64_e32 v[18:19], v[18:19], v[206:207]
	v_add_f64_e32 v[14:15], v[14:15], v[4:5]
	s_delay_alu instid0(VALU_DEP_2) | instskip(NEXT) | instid1(VALU_DEP_1)
	v_fmac_f64_e32 v[18:19], v[20:21], v[204:205]
	v_add_f64_e32 v[16:17], v[16:17], v[18:19]
	s_or_b32 exec_lo, exec_lo, s47
	s_and_saveexec_b32 s47, s8
	s_cbranch_execnz .LBB192_350
	s_branch .LBB192_351
.LBB192_572:                            ;   in Loop: Header=BB192_3 Depth=1
	ds_load_b128 v[18:21], v47 offset:12688
	ds_load_b128 v[204:207], v53 offset:13248
	s_wait_dscnt 0x0
	v_mul_f64_e32 v[4:5], v[20:21], v[206:207]
	s_delay_alu instid0(VALU_DEP_1) | instskip(SKIP_1) | instid1(VALU_DEP_2)
	v_fma_f64 v[4:5], v[18:19], v[204:205], -v[4:5]
	v_mul_f64_e32 v[18:19], v[18:19], v[206:207]
	v_add_f64_e32 v[14:15], v[14:15], v[4:5]
	s_delay_alu instid0(VALU_DEP_2) | instskip(NEXT) | instid1(VALU_DEP_1)
	v_fmac_f64_e32 v[18:19], v[20:21], v[204:205]
	v_add_f64_e32 v[16:17], v[16:17], v[18:19]
	s_or_b32 exec_lo, exec_lo, s47
	s_and_saveexec_b32 s47, s8
	s_cbranch_execz .LBB192_407
.LBB192_573:                            ;   in Loop: Header=BB192_3 Depth=1
	ds_load_b128 v[18:21], v47 offset:12704
	ds_load_b128 v[204:207], v52 offset:13760
	s_wait_dscnt 0x0
	v_mul_f64_e32 v[4:5], v[20:21], v[206:207]
	s_delay_alu instid0(VALU_DEP_1) | instskip(SKIP_1) | instid1(VALU_DEP_2)
	v_fma_f64 v[4:5], v[18:19], v[204:205], -v[4:5]
	v_mul_f64_e32 v[18:19], v[18:19], v[206:207]
	v_add_f64_e32 v[14:15], v[14:15], v[4:5]
	s_delay_alu instid0(VALU_DEP_2) | instskip(NEXT) | instid1(VALU_DEP_1)
	v_fmac_f64_e32 v[18:19], v[20:21], v[204:205]
	v_add_f64_e32 v[16:17], v[16:17], v[18:19]
	s_or_b32 exec_lo, exec_lo, s47
	s_and_saveexec_b32 s47, s3
	s_cbranch_execnz .LBB192_408
	s_branch .LBB192_409
.LBB192_574:
	s_endpgm
	.section	.rodata,"a",@progbits
	.p2align	6, 0x0
	.amdhsa_kernel _ZL19rocblas_trsv_deviceILi32ELi16ELb1ELb1ELb1ELb0E19rocblas_complex_numIdES1_PKPKS1_PKPS1_EviT7_lllT6_T8_lllPii
		.amdhsa_group_segment_fixed_size 25104
		.amdhsa_private_segment_fixed_size 0
		.amdhsa_kernarg_size 360
		.amdhsa_user_sgpr_count 2
		.amdhsa_user_sgpr_dispatch_ptr 0
		.amdhsa_user_sgpr_queue_ptr 0
		.amdhsa_user_sgpr_kernarg_segment_ptr 1
		.amdhsa_user_sgpr_dispatch_id 0
		.amdhsa_user_sgpr_kernarg_preload_length 0
		.amdhsa_user_sgpr_kernarg_preload_offset 0
		.amdhsa_user_sgpr_private_segment_size 0
		.amdhsa_wavefront_size32 1
		.amdhsa_uses_dynamic_stack 0
		.amdhsa_enable_private_segment 0
		.amdhsa_system_sgpr_workgroup_id_x 1
		.amdhsa_system_sgpr_workgroup_id_y 0
		.amdhsa_system_sgpr_workgroup_id_z 1
		.amdhsa_system_sgpr_workgroup_info 0
		.amdhsa_system_vgpr_workitem_id 1
		.amdhsa_next_free_vgpr 213
		.amdhsa_next_free_sgpr 105
		.amdhsa_named_barrier_count 0
		.amdhsa_reserve_vcc 1
		.amdhsa_float_round_mode_32 0
		.amdhsa_float_round_mode_16_64 0
		.amdhsa_float_denorm_mode_32 3
		.amdhsa_float_denorm_mode_16_64 3
		.amdhsa_fp16_overflow 0
		.amdhsa_memory_ordered 1
		.amdhsa_forward_progress 1
		.amdhsa_inst_pref_size 215
		.amdhsa_round_robin_scheduling 0
		.amdhsa_exception_fp_ieee_invalid_op 0
		.amdhsa_exception_fp_denorm_src 0
		.amdhsa_exception_fp_ieee_div_zero 0
		.amdhsa_exception_fp_ieee_overflow 0
		.amdhsa_exception_fp_ieee_underflow 0
		.amdhsa_exception_fp_ieee_inexact 0
		.amdhsa_exception_int_div_zero 0
	.end_amdhsa_kernel
	.section	.text._ZL19rocblas_trsv_deviceILi32ELi16ELb1ELb1ELb1ELb0E19rocblas_complex_numIdES1_PKPKS1_PKPS1_EviT7_lllT6_T8_lllPii,"axG",@progbits,_ZL19rocblas_trsv_deviceILi32ELi16ELb1ELb1ELb1ELb0E19rocblas_complex_numIdES1_PKPKS1_PKPS1_EviT7_lllT6_T8_lllPii,comdat
.Lfunc_end192:
	.size	_ZL19rocblas_trsv_deviceILi32ELi16ELb1ELb1ELb1ELb0E19rocblas_complex_numIdES1_PKPKS1_PKPS1_EviT7_lllT6_T8_lllPii, .Lfunc_end192-_ZL19rocblas_trsv_deviceILi32ELi16ELb1ELb1ELb1ELb0E19rocblas_complex_numIdES1_PKPKS1_PKPS1_EviT7_lllT6_T8_lllPii
                                        ; -- End function
	.set _ZL19rocblas_trsv_deviceILi32ELi16ELb1ELb1ELb1ELb0E19rocblas_complex_numIdES1_PKPKS1_PKPS1_EviT7_lllT6_T8_lllPii.num_vgpr, 213
	.set _ZL19rocblas_trsv_deviceILi32ELi16ELb1ELb1ELb1ELb0E19rocblas_complex_numIdES1_PKPKS1_PKPS1_EviT7_lllT6_T8_lllPii.num_agpr, 0
	.set _ZL19rocblas_trsv_deviceILi32ELi16ELb1ELb1ELb1ELb0E19rocblas_complex_numIdES1_PKPKS1_PKPS1_EviT7_lllT6_T8_lllPii.numbered_sgpr, 105
	.set _ZL19rocblas_trsv_deviceILi32ELi16ELb1ELb1ELb1ELb0E19rocblas_complex_numIdES1_PKPKS1_PKPS1_EviT7_lllT6_T8_lllPii.num_named_barrier, 0
	.set _ZL19rocblas_trsv_deviceILi32ELi16ELb1ELb1ELb1ELb0E19rocblas_complex_numIdES1_PKPKS1_PKPS1_EviT7_lllT6_T8_lllPii.private_seg_size, 0
	.set _ZL19rocblas_trsv_deviceILi32ELi16ELb1ELb1ELb1ELb0E19rocblas_complex_numIdES1_PKPKS1_PKPS1_EviT7_lllT6_T8_lllPii.uses_vcc, 1
	.set _ZL19rocblas_trsv_deviceILi32ELi16ELb1ELb1ELb1ELb0E19rocblas_complex_numIdES1_PKPKS1_PKPS1_EviT7_lllT6_T8_lllPii.uses_flat_scratch, 0
	.set _ZL19rocblas_trsv_deviceILi32ELi16ELb1ELb1ELb1ELb0E19rocblas_complex_numIdES1_PKPKS1_PKPS1_EviT7_lllT6_T8_lllPii.has_dyn_sized_stack, 0
	.set _ZL19rocblas_trsv_deviceILi32ELi16ELb1ELb1ELb1ELb0E19rocblas_complex_numIdES1_PKPKS1_PKPS1_EviT7_lllT6_T8_lllPii.has_recursion, 0
	.set _ZL19rocblas_trsv_deviceILi32ELi16ELb1ELb1ELb1ELb0E19rocblas_complex_numIdES1_PKPKS1_PKPS1_EviT7_lllT6_T8_lllPii.has_indirect_call, 0
	.section	.AMDGPU.csdata,"",@progbits
; Kernel info:
; codeLenInByte = 27508
; TotalNumSgprs: 107
; NumVgprs: 213
; ScratchSize: 0
; MemoryBound: 1
; FloatMode: 240
; IeeeMode: 1
; LDSByteSize: 25104 bytes/workgroup (compile time only)
; SGPRBlocks: 0
; VGPRBlocks: 13
; NumSGPRsForWavesPerEU: 107
; NumVGPRsForWavesPerEU: 213
; NamedBarCnt: 0
; Occupancy: 4
; WaveLimiterHint : 1
; COMPUTE_PGM_RSRC2:SCRATCH_EN: 0
; COMPUTE_PGM_RSRC2:USER_SGPR: 2
; COMPUTE_PGM_RSRC2:TRAP_HANDLER: 0
; COMPUTE_PGM_RSRC2:TGID_X_EN: 1
; COMPUTE_PGM_RSRC2:TGID_Y_EN: 0
; COMPUTE_PGM_RSRC2:TGID_Z_EN: 1
; COMPUTE_PGM_RSRC2:TIDIG_COMP_CNT: 1
	.section	.AMDGPU.gpr_maximums,"",@progbits
	.set amdgpu.max_num_vgpr, 0
	.set amdgpu.max_num_agpr, 0
	.set amdgpu.max_num_sgpr, 0
	.section	.AMDGPU.csdata,"",@progbits
	.type	__hip_cuid_18d1123f5a188629,@object ; @__hip_cuid_18d1123f5a188629
	.section	.bss,"aw",@nobits
	.globl	__hip_cuid_18d1123f5a188629
__hip_cuid_18d1123f5a188629:
	.byte	0                               ; 0x0
	.size	__hip_cuid_18d1123f5a188629, 1

	.ident	"AMD clang version 22.0.0git (https://github.com/RadeonOpenCompute/llvm-project roc-7.2.4 26084 f58b06dce1f9c15707c5f808fd002e18c2accf7e)"
	.section	".note.GNU-stack","",@progbits
	.addrsig
	.addrsig_sym __hip_cuid_18d1123f5a188629
	.amdgpu_metadata
---
amdhsa.kernels:
  - .args:
      - .address_space:  global
        .offset:         0
        .size:           8
        .value_kind:     global_buffer
    .group_segment_fixed_size: 0
    .kernarg_segment_align: 8
    .kernarg_segment_size: 8
    .language:       OpenCL C
    .language_version:
      - 2
      - 0
    .max_flat_workgroup_size: 1
    .name:           _ZL17rocblas_trsv_initPi
    .private_segment_fixed_size: 0
    .sgpr_count:     5
    .sgpr_spill_count: 0
    .symbol:         _ZL17rocblas_trsv_initPi.kd
    .uniform_work_group_size: 1
    .uses_dynamic_stack: false
    .vgpr_count:     2
    .vgpr_spill_count: 0
    .wavefront_size: 32
  - .args:
      - .offset:         0
        .size:           4
        .value_kind:     by_value
      - .address_space:  global
        .offset:         8
        .size:           8
        .value_kind:     global_buffer
      - .offset:         16
        .size:           8
        .value_kind:     by_value
      - .offset:         24
        .size:           8
        .value_kind:     by_value
      - .offset:         32
        .size:           8
        .value_kind:     by_value
      - .address_space:  global
        .offset:         40
        .size:           8
        .value_kind:     global_buffer
      - .address_space:  global
        .offset:         48
        .size:           8
        .value_kind:     global_buffer
      - .offset:         56
        .size:           8
        .value_kind:     by_value
      - .offset:         64
        .size:           8
        .value_kind:     by_value
      - .offset:         72
        .size:           8
        .value_kind:     by_value
      - .address_space:  global
        .offset:         80
        .size:           8
        .value_kind:     global_buffer
      - .offset:         88
        .size:           4
        .value_kind:     by_value
      - .offset:         96
        .size:           4
        .value_kind:     hidden_block_count_x
      - .offset:         100
        .size:           4
        .value_kind:     hidden_block_count_y
      - .offset:         104
        .size:           4
        .value_kind:     hidden_block_count_z
      - .offset:         108
        .size:           2
        .value_kind:     hidden_group_size_x
      - .offset:         110
        .size:           2
        .value_kind:     hidden_group_size_y
      - .offset:         112
        .size:           2
        .value_kind:     hidden_group_size_z
      - .offset:         114
        .size:           2
        .value_kind:     hidden_remainder_x
      - .offset:         116
        .size:           2
        .value_kind:     hidden_remainder_y
      - .offset:         118
        .size:           2
        .value_kind:     hidden_remainder_z
      - .offset:         136
        .size:           8
        .value_kind:     hidden_global_offset_x
      - .offset:         144
        .size:           8
        .value_kind:     hidden_global_offset_y
      - .offset:         152
        .size:           8
        .value_kind:     hidden_global_offset_z
      - .offset:         160
        .size:           2
        .value_kind:     hidden_grid_dims
    .group_segment_fixed_size: 20740
    .kernarg_segment_align: 8
    .kernarg_segment_size: 352
    .language:       OpenCL C
    .language_version:
      - 2
      - 0
    .max_flat_workgroup_size: 1024
    .name:           _ZL19rocblas_trsv_deviceILi64ELi16ELb0ELb0ELb0ELb1EfPKfS1_PfEviT7_lllT6_T8_lllPii
    .private_segment_fixed_size: 0
    .sgpr_count:     107
    .sgpr_spill_count: 131
    .symbol:         _ZL19rocblas_trsv_deviceILi64ELi16ELb0ELb0ELb0ELb1EfPKfS1_PfEviT7_lllT6_T8_lllPii.kd
    .uniform_work_group_size: 1
    .uses_dynamic_stack: false
    .vgpr_count:     77
    .vgpr_spill_count: 0
    .wavefront_size: 32
  - .args:
      - .offset:         0
        .size:           4
        .value_kind:     by_value
      - .address_space:  global
        .offset:         8
        .size:           8
        .value_kind:     global_buffer
      - .offset:         16
        .size:           8
        .value_kind:     by_value
      - .offset:         24
        .size:           8
        .value_kind:     by_value
      - .offset:         32
        .size:           8
        .value_kind:     by_value
      - .address_space:  global
        .offset:         40
        .size:           8
        .value_kind:     global_buffer
      - .address_space:  global
        .offset:         48
        .size:           8
        .value_kind:     global_buffer
      - .offset:         56
        .size:           8
        .value_kind:     by_value
      - .offset:         64
        .size:           8
        .value_kind:     by_value
      - .offset:         72
        .size:           8
        .value_kind:     by_value
      - .address_space:  global
        .offset:         80
        .size:           8
        .value_kind:     global_buffer
      - .offset:         88
        .size:           4
        .value_kind:     by_value
      - .offset:         96
        .size:           4
        .value_kind:     hidden_block_count_x
      - .offset:         100
        .size:           4
        .value_kind:     hidden_block_count_y
      - .offset:         104
        .size:           4
        .value_kind:     hidden_block_count_z
      - .offset:         108
        .size:           2
        .value_kind:     hidden_group_size_x
      - .offset:         110
        .size:           2
        .value_kind:     hidden_group_size_y
      - .offset:         112
        .size:           2
        .value_kind:     hidden_group_size_z
      - .offset:         114
        .size:           2
        .value_kind:     hidden_remainder_x
      - .offset:         116
        .size:           2
        .value_kind:     hidden_remainder_y
      - .offset:         118
        .size:           2
        .value_kind:     hidden_remainder_z
      - .offset:         136
        .size:           8
        .value_kind:     hidden_global_offset_x
      - .offset:         144
        .size:           8
        .value_kind:     hidden_global_offset_y
      - .offset:         152
        .size:           8
        .value_kind:     hidden_global_offset_z
      - .offset:         160
        .size:           2
        .value_kind:     hidden_grid_dims
    .group_segment_fixed_size: 20740
    .kernarg_segment_align: 8
    .kernarg_segment_size: 352
    .language:       OpenCL C
    .language_version:
      - 2
      - 0
    .max_flat_workgroup_size: 1024
    .name:           _ZL19rocblas_trsv_deviceILi64ELi16ELb0ELb1ELb0ELb1EfPKfS1_PfEviT7_lllT6_T8_lllPii
    .private_segment_fixed_size: 0
    .sgpr_count:     107
    .sgpr_spill_count: 118
    .symbol:         _ZL19rocblas_trsv_deviceILi64ELi16ELb0ELb1ELb0ELb1EfPKfS1_PfEviT7_lllT6_T8_lllPii.kd
    .uniform_work_group_size: 1
    .uses_dynamic_stack: false
    .vgpr_count:     90
    .vgpr_spill_count: 0
    .wavefront_size: 32
  - .args:
      - .offset:         0
        .size:           4
        .value_kind:     by_value
      - .address_space:  global
        .offset:         8
        .size:           8
        .value_kind:     global_buffer
      - .offset:         16
        .size:           8
        .value_kind:     by_value
      - .offset:         24
        .size:           8
        .value_kind:     by_value
      - .offset:         32
        .size:           8
        .value_kind:     by_value
      - .address_space:  global
        .offset:         40
        .size:           8
        .value_kind:     global_buffer
      - .address_space:  global
        .offset:         48
        .size:           8
        .value_kind:     global_buffer
      - .offset:         56
        .size:           8
        .value_kind:     by_value
      - .offset:         64
        .size:           8
        .value_kind:     by_value
      - .offset:         72
        .size:           8
        .value_kind:     by_value
      - .address_space:  global
        .offset:         80
        .size:           8
        .value_kind:     global_buffer
      - .offset:         88
        .size:           4
        .value_kind:     by_value
      - .offset:         96
        .size:           4
        .value_kind:     hidden_block_count_x
      - .offset:         100
        .size:           4
        .value_kind:     hidden_block_count_y
      - .offset:         104
        .size:           4
        .value_kind:     hidden_block_count_z
      - .offset:         108
        .size:           2
        .value_kind:     hidden_group_size_x
      - .offset:         110
        .size:           2
        .value_kind:     hidden_group_size_y
      - .offset:         112
        .size:           2
        .value_kind:     hidden_group_size_z
      - .offset:         114
        .size:           2
        .value_kind:     hidden_remainder_x
      - .offset:         116
        .size:           2
        .value_kind:     hidden_remainder_y
      - .offset:         118
        .size:           2
        .value_kind:     hidden_remainder_z
      - .offset:         136
        .size:           8
        .value_kind:     hidden_global_offset_x
      - .offset:         144
        .size:           8
        .value_kind:     hidden_global_offset_y
      - .offset:         152
        .size:           8
        .value_kind:     hidden_global_offset_z
      - .offset:         160
        .size:           2
        .value_kind:     hidden_grid_dims
    .group_segment_fixed_size: 20740
    .kernarg_segment_align: 8
    .kernarg_segment_size: 352
    .language:       OpenCL C
    .language_version:
      - 2
      - 0
    .max_flat_workgroup_size: 1024
    .name:           _ZL19rocblas_trsv_deviceILi64ELi16ELb0ELb1ELb1ELb1EfPKfS1_PfEviT7_lllT6_T8_lllPii
    .private_segment_fixed_size: 0
    .sgpr_count:     107
    .sgpr_spill_count: 118
    .symbol:         _ZL19rocblas_trsv_deviceILi64ELi16ELb0ELb1ELb1ELb1EfPKfS1_PfEviT7_lllT6_T8_lllPii.kd
    .uniform_work_group_size: 1
    .uses_dynamic_stack: false
    .vgpr_count:     90
    .vgpr_spill_count: 0
    .wavefront_size: 32
  - .args:
      - .offset:         0
        .size:           4
        .value_kind:     by_value
      - .address_space:  global
        .offset:         8
        .size:           8
        .value_kind:     global_buffer
      - .offset:         16
        .size:           8
        .value_kind:     by_value
      - .offset:         24
        .size:           8
        .value_kind:     by_value
      - .offset:         32
        .size:           8
        .value_kind:     by_value
      - .address_space:  global
        .offset:         40
        .size:           8
        .value_kind:     global_buffer
      - .address_space:  global
        .offset:         48
        .size:           8
        .value_kind:     global_buffer
      - .offset:         56
        .size:           8
        .value_kind:     by_value
      - .offset:         64
        .size:           8
        .value_kind:     by_value
      - .offset:         72
        .size:           8
        .value_kind:     by_value
      - .address_space:  global
        .offset:         80
        .size:           8
        .value_kind:     global_buffer
      - .offset:         88
        .size:           4
        .value_kind:     by_value
      - .offset:         96
        .size:           4
        .value_kind:     hidden_block_count_x
      - .offset:         100
        .size:           4
        .value_kind:     hidden_block_count_y
      - .offset:         104
        .size:           4
        .value_kind:     hidden_block_count_z
      - .offset:         108
        .size:           2
        .value_kind:     hidden_group_size_x
      - .offset:         110
        .size:           2
        .value_kind:     hidden_group_size_y
      - .offset:         112
        .size:           2
        .value_kind:     hidden_group_size_z
      - .offset:         114
        .size:           2
        .value_kind:     hidden_remainder_x
      - .offset:         116
        .size:           2
        .value_kind:     hidden_remainder_y
      - .offset:         118
        .size:           2
        .value_kind:     hidden_remainder_z
      - .offset:         136
        .size:           8
        .value_kind:     hidden_global_offset_x
      - .offset:         144
        .size:           8
        .value_kind:     hidden_global_offset_y
      - .offset:         152
        .size:           8
        .value_kind:     hidden_global_offset_z
      - .offset:         160
        .size:           2
        .value_kind:     hidden_grid_dims
    .group_segment_fixed_size: 20740
    .kernarg_segment_align: 8
    .kernarg_segment_size: 352
    .language:       OpenCL C
    .language_version:
      - 2
      - 0
    .max_flat_workgroup_size: 1024
    .name:           _ZL19rocblas_trsv_deviceILi64ELi16ELb0ELb0ELb0ELb0EfPKfS1_PfEviT7_lllT6_T8_lllPii
    .private_segment_fixed_size: 0
    .sgpr_count:     107
    .sgpr_spill_count: 135
    .symbol:         _ZL19rocblas_trsv_deviceILi64ELi16ELb0ELb0ELb0ELb0EfPKfS1_PfEviT7_lllT6_T8_lllPii.kd
    .uniform_work_group_size: 1
    .uses_dynamic_stack: false
    .vgpr_count:     73
    .vgpr_spill_count: 0
    .wavefront_size: 32
  - .args:
      - .offset:         0
        .size:           4
        .value_kind:     by_value
      - .address_space:  global
        .offset:         8
        .size:           8
        .value_kind:     global_buffer
      - .offset:         16
        .size:           8
        .value_kind:     by_value
      - .offset:         24
        .size:           8
        .value_kind:     by_value
      - .offset:         32
        .size:           8
        .value_kind:     by_value
      - .address_space:  global
        .offset:         40
        .size:           8
        .value_kind:     global_buffer
      - .address_space:  global
        .offset:         48
        .size:           8
        .value_kind:     global_buffer
      - .offset:         56
        .size:           8
        .value_kind:     by_value
      - .offset:         64
        .size:           8
        .value_kind:     by_value
      - .offset:         72
        .size:           8
        .value_kind:     by_value
      - .address_space:  global
        .offset:         80
        .size:           8
        .value_kind:     global_buffer
      - .offset:         88
        .size:           4
        .value_kind:     by_value
      - .offset:         96
        .size:           4
        .value_kind:     hidden_block_count_x
      - .offset:         100
        .size:           4
        .value_kind:     hidden_block_count_y
      - .offset:         104
        .size:           4
        .value_kind:     hidden_block_count_z
      - .offset:         108
        .size:           2
        .value_kind:     hidden_group_size_x
      - .offset:         110
        .size:           2
        .value_kind:     hidden_group_size_y
      - .offset:         112
        .size:           2
        .value_kind:     hidden_group_size_z
      - .offset:         114
        .size:           2
        .value_kind:     hidden_remainder_x
      - .offset:         116
        .size:           2
        .value_kind:     hidden_remainder_y
      - .offset:         118
        .size:           2
        .value_kind:     hidden_remainder_z
      - .offset:         136
        .size:           8
        .value_kind:     hidden_global_offset_x
      - .offset:         144
        .size:           8
        .value_kind:     hidden_global_offset_y
      - .offset:         152
        .size:           8
        .value_kind:     hidden_global_offset_z
      - .offset:         160
        .size:           2
        .value_kind:     hidden_grid_dims
    .group_segment_fixed_size: 20740
    .kernarg_segment_align: 8
    .kernarg_segment_size: 352
    .language:       OpenCL C
    .language_version:
      - 2
      - 0
    .max_flat_workgroup_size: 1024
    .name:           _ZL19rocblas_trsv_deviceILi64ELi16ELb0ELb1ELb0ELb0EfPKfS1_PfEviT7_lllT6_T8_lllPii
    .private_segment_fixed_size: 0
    .sgpr_count:     107
    .sgpr_spill_count: 124
    .symbol:         _ZL19rocblas_trsv_deviceILi64ELi16ELb0ELb1ELb0ELb0EfPKfS1_PfEviT7_lllT6_T8_lllPii.kd
    .uniform_work_group_size: 1
    .uses_dynamic_stack: false
    .vgpr_count:     88
    .vgpr_spill_count: 0
    .wavefront_size: 32
  - .args:
      - .offset:         0
        .size:           4
        .value_kind:     by_value
      - .address_space:  global
        .offset:         8
        .size:           8
        .value_kind:     global_buffer
      - .offset:         16
        .size:           8
        .value_kind:     by_value
      - .offset:         24
        .size:           8
        .value_kind:     by_value
      - .offset:         32
        .size:           8
        .value_kind:     by_value
      - .address_space:  global
        .offset:         40
        .size:           8
        .value_kind:     global_buffer
      - .address_space:  global
        .offset:         48
        .size:           8
        .value_kind:     global_buffer
      - .offset:         56
        .size:           8
        .value_kind:     by_value
      - .offset:         64
        .size:           8
        .value_kind:     by_value
      - .offset:         72
        .size:           8
        .value_kind:     by_value
      - .address_space:  global
        .offset:         80
        .size:           8
        .value_kind:     global_buffer
      - .offset:         88
        .size:           4
        .value_kind:     by_value
      - .offset:         96
        .size:           4
        .value_kind:     hidden_block_count_x
      - .offset:         100
        .size:           4
        .value_kind:     hidden_block_count_y
      - .offset:         104
        .size:           4
        .value_kind:     hidden_block_count_z
      - .offset:         108
        .size:           2
        .value_kind:     hidden_group_size_x
      - .offset:         110
        .size:           2
        .value_kind:     hidden_group_size_y
      - .offset:         112
        .size:           2
        .value_kind:     hidden_group_size_z
      - .offset:         114
        .size:           2
        .value_kind:     hidden_remainder_x
      - .offset:         116
        .size:           2
        .value_kind:     hidden_remainder_y
      - .offset:         118
        .size:           2
        .value_kind:     hidden_remainder_z
      - .offset:         136
        .size:           8
        .value_kind:     hidden_global_offset_x
      - .offset:         144
        .size:           8
        .value_kind:     hidden_global_offset_y
      - .offset:         152
        .size:           8
        .value_kind:     hidden_global_offset_z
      - .offset:         160
        .size:           2
        .value_kind:     hidden_grid_dims
    .group_segment_fixed_size: 20740
    .kernarg_segment_align: 8
    .kernarg_segment_size: 352
    .language:       OpenCL C
    .language_version:
      - 2
      - 0
    .max_flat_workgroup_size: 1024
    .name:           _ZL19rocblas_trsv_deviceILi64ELi16ELb0ELb1ELb1ELb0EfPKfS1_PfEviT7_lllT6_T8_lllPii
    .private_segment_fixed_size: 0
    .sgpr_count:     107
    .sgpr_spill_count: 124
    .symbol:         _ZL19rocblas_trsv_deviceILi64ELi16ELb0ELb1ELb1ELb0EfPKfS1_PfEviT7_lllT6_T8_lllPii.kd
    .uniform_work_group_size: 1
    .uses_dynamic_stack: false
    .vgpr_count:     88
    .vgpr_spill_count: 0
    .wavefront_size: 32
  - .args:
      - .offset:         0
        .size:           4
        .value_kind:     by_value
      - .address_space:  global
        .offset:         8
        .size:           8
        .value_kind:     global_buffer
      - .offset:         16
        .size:           8
        .value_kind:     by_value
      - .offset:         24
        .size:           8
        .value_kind:     by_value
      - .offset:         32
        .size:           8
        .value_kind:     by_value
      - .address_space:  global
        .offset:         40
        .size:           8
        .value_kind:     global_buffer
      - .address_space:  global
        .offset:         48
        .size:           8
        .value_kind:     global_buffer
      - .offset:         56
        .size:           8
        .value_kind:     by_value
      - .offset:         64
        .size:           8
        .value_kind:     by_value
      - .offset:         72
        .size:           8
        .value_kind:     by_value
      - .address_space:  global
        .offset:         80
        .size:           8
        .value_kind:     global_buffer
      - .offset:         88
        .size:           4
        .value_kind:     by_value
      - .offset:         96
        .size:           4
        .value_kind:     hidden_block_count_x
      - .offset:         100
        .size:           4
        .value_kind:     hidden_block_count_y
      - .offset:         104
        .size:           4
        .value_kind:     hidden_block_count_z
      - .offset:         108
        .size:           2
        .value_kind:     hidden_group_size_x
      - .offset:         110
        .size:           2
        .value_kind:     hidden_group_size_y
      - .offset:         112
        .size:           2
        .value_kind:     hidden_group_size_z
      - .offset:         114
        .size:           2
        .value_kind:     hidden_remainder_x
      - .offset:         116
        .size:           2
        .value_kind:     hidden_remainder_y
      - .offset:         118
        .size:           2
        .value_kind:     hidden_remainder_z
      - .offset:         136
        .size:           8
        .value_kind:     hidden_global_offset_x
      - .offset:         144
        .size:           8
        .value_kind:     hidden_global_offset_y
      - .offset:         152
        .size:           8
        .value_kind:     hidden_global_offset_z
      - .offset:         160
        .size:           2
        .value_kind:     hidden_grid_dims
    .group_segment_fixed_size: 20740
    .kernarg_segment_align: 8
    .kernarg_segment_size: 352
    .language:       OpenCL C
    .language_version:
      - 2
      - 0
    .max_flat_workgroup_size: 1024
    .name:           _ZL19rocblas_trsv_deviceILi64ELi16ELb1ELb0ELb0ELb1EfPKfS1_PfEviT7_lllT6_T8_lllPii
    .private_segment_fixed_size: 0
    .sgpr_count:     107
    .sgpr_spill_count: 125
    .symbol:         _ZL19rocblas_trsv_deviceILi64ELi16ELb1ELb0ELb0ELb1EfPKfS1_PfEviT7_lllT6_T8_lllPii.kd
    .uniform_work_group_size: 1
    .uses_dynamic_stack: false
    .vgpr_count:     78
    .vgpr_spill_count: 0
    .wavefront_size: 32
  - .args:
      - .offset:         0
        .size:           4
        .value_kind:     by_value
      - .address_space:  global
        .offset:         8
        .size:           8
        .value_kind:     global_buffer
      - .offset:         16
        .size:           8
        .value_kind:     by_value
      - .offset:         24
        .size:           8
        .value_kind:     by_value
      - .offset:         32
        .size:           8
        .value_kind:     by_value
      - .address_space:  global
        .offset:         40
        .size:           8
        .value_kind:     global_buffer
      - .address_space:  global
        .offset:         48
        .size:           8
        .value_kind:     global_buffer
      - .offset:         56
        .size:           8
        .value_kind:     by_value
      - .offset:         64
        .size:           8
        .value_kind:     by_value
      - .offset:         72
        .size:           8
        .value_kind:     by_value
      - .address_space:  global
        .offset:         80
        .size:           8
        .value_kind:     global_buffer
      - .offset:         88
        .size:           4
        .value_kind:     by_value
      - .offset:         96
        .size:           4
        .value_kind:     hidden_block_count_x
      - .offset:         100
        .size:           4
        .value_kind:     hidden_block_count_y
      - .offset:         104
        .size:           4
        .value_kind:     hidden_block_count_z
      - .offset:         108
        .size:           2
        .value_kind:     hidden_group_size_x
      - .offset:         110
        .size:           2
        .value_kind:     hidden_group_size_y
      - .offset:         112
        .size:           2
        .value_kind:     hidden_group_size_z
      - .offset:         114
        .size:           2
        .value_kind:     hidden_remainder_x
      - .offset:         116
        .size:           2
        .value_kind:     hidden_remainder_y
      - .offset:         118
        .size:           2
        .value_kind:     hidden_remainder_z
      - .offset:         136
        .size:           8
        .value_kind:     hidden_global_offset_x
      - .offset:         144
        .size:           8
        .value_kind:     hidden_global_offset_y
      - .offset:         152
        .size:           8
        .value_kind:     hidden_global_offset_z
      - .offset:         160
        .size:           2
        .value_kind:     hidden_grid_dims
    .group_segment_fixed_size: 20740
    .kernarg_segment_align: 8
    .kernarg_segment_size: 352
    .language:       OpenCL C
    .language_version:
      - 2
      - 0
    .max_flat_workgroup_size: 1024
    .name:           _ZL19rocblas_trsv_deviceILi64ELi16ELb1ELb1ELb0ELb1EfPKfS1_PfEviT7_lllT6_T8_lllPii
    .private_segment_fixed_size: 0
    .sgpr_count:     107
    .sgpr_spill_count: 122
    .symbol:         _ZL19rocblas_trsv_deviceILi64ELi16ELb1ELb1ELb0ELb1EfPKfS1_PfEviT7_lllT6_T8_lllPii.kd
    .uniform_work_group_size: 1
    .uses_dynamic_stack: false
    .vgpr_count:     94
    .vgpr_spill_count: 0
    .wavefront_size: 32
  - .args:
      - .offset:         0
        .size:           4
        .value_kind:     by_value
      - .address_space:  global
        .offset:         8
        .size:           8
        .value_kind:     global_buffer
      - .offset:         16
        .size:           8
        .value_kind:     by_value
      - .offset:         24
        .size:           8
        .value_kind:     by_value
      - .offset:         32
        .size:           8
        .value_kind:     by_value
      - .address_space:  global
        .offset:         40
        .size:           8
        .value_kind:     global_buffer
      - .address_space:  global
        .offset:         48
        .size:           8
        .value_kind:     global_buffer
      - .offset:         56
        .size:           8
        .value_kind:     by_value
      - .offset:         64
        .size:           8
        .value_kind:     by_value
      - .offset:         72
        .size:           8
        .value_kind:     by_value
      - .address_space:  global
        .offset:         80
        .size:           8
        .value_kind:     global_buffer
      - .offset:         88
        .size:           4
        .value_kind:     by_value
      - .offset:         96
        .size:           4
        .value_kind:     hidden_block_count_x
      - .offset:         100
        .size:           4
        .value_kind:     hidden_block_count_y
      - .offset:         104
        .size:           4
        .value_kind:     hidden_block_count_z
      - .offset:         108
        .size:           2
        .value_kind:     hidden_group_size_x
      - .offset:         110
        .size:           2
        .value_kind:     hidden_group_size_y
      - .offset:         112
        .size:           2
        .value_kind:     hidden_group_size_z
      - .offset:         114
        .size:           2
        .value_kind:     hidden_remainder_x
      - .offset:         116
        .size:           2
        .value_kind:     hidden_remainder_y
      - .offset:         118
        .size:           2
        .value_kind:     hidden_remainder_z
      - .offset:         136
        .size:           8
        .value_kind:     hidden_global_offset_x
      - .offset:         144
        .size:           8
        .value_kind:     hidden_global_offset_y
      - .offset:         152
        .size:           8
        .value_kind:     hidden_global_offset_z
      - .offset:         160
        .size:           2
        .value_kind:     hidden_grid_dims
    .group_segment_fixed_size: 20740
    .kernarg_segment_align: 8
    .kernarg_segment_size: 352
    .language:       OpenCL C
    .language_version:
      - 2
      - 0
    .max_flat_workgroup_size: 1024
    .name:           _ZL19rocblas_trsv_deviceILi64ELi16ELb1ELb1ELb1ELb1EfPKfS1_PfEviT7_lllT6_T8_lllPii
    .private_segment_fixed_size: 0
    .sgpr_count:     107
    .sgpr_spill_count: 122
    .symbol:         _ZL19rocblas_trsv_deviceILi64ELi16ELb1ELb1ELb1ELb1EfPKfS1_PfEviT7_lllT6_T8_lllPii.kd
    .uniform_work_group_size: 1
    .uses_dynamic_stack: false
    .vgpr_count:     94
    .vgpr_spill_count: 0
    .wavefront_size: 32
  - .args:
      - .offset:         0
        .size:           4
        .value_kind:     by_value
      - .address_space:  global
        .offset:         8
        .size:           8
        .value_kind:     global_buffer
      - .offset:         16
        .size:           8
        .value_kind:     by_value
      - .offset:         24
        .size:           8
        .value_kind:     by_value
      - .offset:         32
        .size:           8
        .value_kind:     by_value
      - .address_space:  global
        .offset:         40
        .size:           8
        .value_kind:     global_buffer
      - .address_space:  global
        .offset:         48
        .size:           8
        .value_kind:     global_buffer
      - .offset:         56
        .size:           8
        .value_kind:     by_value
      - .offset:         64
        .size:           8
        .value_kind:     by_value
      - .offset:         72
        .size:           8
        .value_kind:     by_value
      - .address_space:  global
        .offset:         80
        .size:           8
        .value_kind:     global_buffer
      - .offset:         88
        .size:           4
        .value_kind:     by_value
      - .offset:         96
        .size:           4
        .value_kind:     hidden_block_count_x
      - .offset:         100
        .size:           4
        .value_kind:     hidden_block_count_y
      - .offset:         104
        .size:           4
        .value_kind:     hidden_block_count_z
      - .offset:         108
        .size:           2
        .value_kind:     hidden_group_size_x
      - .offset:         110
        .size:           2
        .value_kind:     hidden_group_size_y
      - .offset:         112
        .size:           2
        .value_kind:     hidden_group_size_z
      - .offset:         114
        .size:           2
        .value_kind:     hidden_remainder_x
      - .offset:         116
        .size:           2
        .value_kind:     hidden_remainder_y
      - .offset:         118
        .size:           2
        .value_kind:     hidden_remainder_z
      - .offset:         136
        .size:           8
        .value_kind:     hidden_global_offset_x
      - .offset:         144
        .size:           8
        .value_kind:     hidden_global_offset_y
      - .offset:         152
        .size:           8
        .value_kind:     hidden_global_offset_z
      - .offset:         160
        .size:           2
        .value_kind:     hidden_grid_dims
    .group_segment_fixed_size: 20740
    .kernarg_segment_align: 8
    .kernarg_segment_size: 352
    .language:       OpenCL C
    .language_version:
      - 2
      - 0
    .max_flat_workgroup_size: 1024
    .name:           _ZL19rocblas_trsv_deviceILi64ELi16ELb1ELb0ELb0ELb0EfPKfS1_PfEviT7_lllT6_T8_lllPii
    .private_segment_fixed_size: 0
    .sgpr_count:     107
    .sgpr_spill_count: 131
    .symbol:         _ZL19rocblas_trsv_deviceILi64ELi16ELb1ELb0ELb0ELb0EfPKfS1_PfEviT7_lllT6_T8_lllPii.kd
    .uniform_work_group_size: 1
    .uses_dynamic_stack: false
    .vgpr_count:     77
    .vgpr_spill_count: 0
    .wavefront_size: 32
  - .args:
      - .offset:         0
        .size:           4
        .value_kind:     by_value
      - .address_space:  global
        .offset:         8
        .size:           8
        .value_kind:     global_buffer
      - .offset:         16
        .size:           8
        .value_kind:     by_value
      - .offset:         24
        .size:           8
        .value_kind:     by_value
      - .offset:         32
        .size:           8
        .value_kind:     by_value
      - .address_space:  global
        .offset:         40
        .size:           8
        .value_kind:     global_buffer
      - .address_space:  global
        .offset:         48
        .size:           8
        .value_kind:     global_buffer
      - .offset:         56
        .size:           8
        .value_kind:     by_value
      - .offset:         64
        .size:           8
        .value_kind:     by_value
      - .offset:         72
        .size:           8
        .value_kind:     by_value
      - .address_space:  global
        .offset:         80
        .size:           8
        .value_kind:     global_buffer
      - .offset:         88
        .size:           4
        .value_kind:     by_value
      - .offset:         96
        .size:           4
        .value_kind:     hidden_block_count_x
      - .offset:         100
        .size:           4
        .value_kind:     hidden_block_count_y
      - .offset:         104
        .size:           4
        .value_kind:     hidden_block_count_z
      - .offset:         108
        .size:           2
        .value_kind:     hidden_group_size_x
      - .offset:         110
        .size:           2
        .value_kind:     hidden_group_size_y
      - .offset:         112
        .size:           2
        .value_kind:     hidden_group_size_z
      - .offset:         114
        .size:           2
        .value_kind:     hidden_remainder_x
      - .offset:         116
        .size:           2
        .value_kind:     hidden_remainder_y
      - .offset:         118
        .size:           2
        .value_kind:     hidden_remainder_z
      - .offset:         136
        .size:           8
        .value_kind:     hidden_global_offset_x
      - .offset:         144
        .size:           8
        .value_kind:     hidden_global_offset_y
      - .offset:         152
        .size:           8
        .value_kind:     hidden_global_offset_z
      - .offset:         160
        .size:           2
        .value_kind:     hidden_grid_dims
    .group_segment_fixed_size: 20740
    .kernarg_segment_align: 8
    .kernarg_segment_size: 352
    .language:       OpenCL C
    .language_version:
      - 2
      - 0
    .max_flat_workgroup_size: 1024
    .name:           _ZL19rocblas_trsv_deviceILi64ELi16ELb1ELb1ELb0ELb0EfPKfS1_PfEviT7_lllT6_T8_lllPii
    .private_segment_fixed_size: 0
    .sgpr_count:     107
    .sgpr_spill_count: 128
    .symbol:         _ZL19rocblas_trsv_deviceILi64ELi16ELb1ELb1ELb0ELb0EfPKfS1_PfEviT7_lllT6_T8_lllPii.kd
    .uniform_work_group_size: 1
    .uses_dynamic_stack: false
    .vgpr_count:     92
    .vgpr_spill_count: 0
    .wavefront_size: 32
  - .args:
      - .offset:         0
        .size:           4
        .value_kind:     by_value
      - .address_space:  global
        .offset:         8
        .size:           8
        .value_kind:     global_buffer
      - .offset:         16
        .size:           8
        .value_kind:     by_value
      - .offset:         24
        .size:           8
        .value_kind:     by_value
      - .offset:         32
        .size:           8
        .value_kind:     by_value
      - .address_space:  global
        .offset:         40
        .size:           8
        .value_kind:     global_buffer
      - .address_space:  global
        .offset:         48
        .size:           8
        .value_kind:     global_buffer
      - .offset:         56
        .size:           8
        .value_kind:     by_value
      - .offset:         64
        .size:           8
        .value_kind:     by_value
      - .offset:         72
        .size:           8
        .value_kind:     by_value
      - .address_space:  global
        .offset:         80
        .size:           8
        .value_kind:     global_buffer
      - .offset:         88
        .size:           4
        .value_kind:     by_value
      - .offset:         96
        .size:           4
        .value_kind:     hidden_block_count_x
      - .offset:         100
        .size:           4
        .value_kind:     hidden_block_count_y
      - .offset:         104
        .size:           4
        .value_kind:     hidden_block_count_z
      - .offset:         108
        .size:           2
        .value_kind:     hidden_group_size_x
      - .offset:         110
        .size:           2
        .value_kind:     hidden_group_size_y
      - .offset:         112
        .size:           2
        .value_kind:     hidden_group_size_z
      - .offset:         114
        .size:           2
        .value_kind:     hidden_remainder_x
      - .offset:         116
        .size:           2
        .value_kind:     hidden_remainder_y
      - .offset:         118
        .size:           2
        .value_kind:     hidden_remainder_z
      - .offset:         136
        .size:           8
        .value_kind:     hidden_global_offset_x
      - .offset:         144
        .size:           8
        .value_kind:     hidden_global_offset_y
      - .offset:         152
        .size:           8
        .value_kind:     hidden_global_offset_z
      - .offset:         160
        .size:           2
        .value_kind:     hidden_grid_dims
    .group_segment_fixed_size: 20740
    .kernarg_segment_align: 8
    .kernarg_segment_size: 352
    .language:       OpenCL C
    .language_version:
      - 2
      - 0
    .max_flat_workgroup_size: 1024
    .name:           _ZL19rocblas_trsv_deviceILi64ELi16ELb1ELb1ELb1ELb0EfPKfS1_PfEviT7_lllT6_T8_lllPii
    .private_segment_fixed_size: 0
    .sgpr_count:     107
    .sgpr_spill_count: 128
    .symbol:         _ZL19rocblas_trsv_deviceILi64ELi16ELb1ELb1ELb1ELb0EfPKfS1_PfEviT7_lllT6_T8_lllPii.kd
    .uniform_work_group_size: 1
    .uses_dynamic_stack: false
    .vgpr_count:     92
    .vgpr_spill_count: 0
    .wavefront_size: 32
  - .args:
      - .offset:         0
        .size:           4
        .value_kind:     by_value
      - .address_space:  global
        .offset:         8
        .size:           8
        .value_kind:     global_buffer
      - .offset:         16
        .size:           8
        .value_kind:     by_value
      - .offset:         24
        .size:           8
        .value_kind:     by_value
      - .offset:         32
        .size:           8
        .value_kind:     by_value
      - .offset:         40
        .size:           4
        .value_kind:     by_value
      - .address_space:  global
        .offset:         48
        .size:           8
        .value_kind:     global_buffer
      - .offset:         56
        .size:           8
        .value_kind:     by_value
      - .offset:         64
        .size:           8
        .value_kind:     by_value
      - .offset:         72
        .size:           8
        .value_kind:     by_value
      - .address_space:  global
        .offset:         80
        .size:           8
        .value_kind:     global_buffer
      - .offset:         88
        .size:           4
        .value_kind:     by_value
      - .offset:         96
        .size:           4
        .value_kind:     hidden_block_count_x
      - .offset:         100
        .size:           4
        .value_kind:     hidden_block_count_y
      - .offset:         104
        .size:           4
        .value_kind:     hidden_block_count_z
      - .offset:         108
        .size:           2
        .value_kind:     hidden_group_size_x
      - .offset:         110
        .size:           2
        .value_kind:     hidden_group_size_y
      - .offset:         112
        .size:           2
        .value_kind:     hidden_group_size_z
      - .offset:         114
        .size:           2
        .value_kind:     hidden_remainder_x
      - .offset:         116
        .size:           2
        .value_kind:     hidden_remainder_y
      - .offset:         118
        .size:           2
        .value_kind:     hidden_remainder_z
      - .offset:         136
        .size:           8
        .value_kind:     hidden_global_offset_x
      - .offset:         144
        .size:           8
        .value_kind:     hidden_global_offset_y
      - .offset:         152
        .size:           8
        .value_kind:     hidden_global_offset_z
      - .offset:         160
        .size:           2
        .value_kind:     hidden_grid_dims
    .group_segment_fixed_size: 20740
    .kernarg_segment_align: 8
    .kernarg_segment_size: 352
    .language:       OpenCL C
    .language_version:
      - 2
      - 0
    .max_flat_workgroup_size: 1024
    .name:           _ZL19rocblas_trsv_deviceILi64ELi16ELb0ELb0ELb0ELb1EffPKfPfEviT7_lllT6_T8_lllPii
    .private_segment_fixed_size: 0
    .sgpr_count:     107
    .sgpr_spill_count: 130
    .symbol:         _ZL19rocblas_trsv_deviceILi64ELi16ELb0ELb0ELb0ELb1EffPKfPfEviT7_lllT6_T8_lllPii.kd
    .uniform_work_group_size: 1
    .uses_dynamic_stack: false
    .vgpr_count:     77
    .vgpr_spill_count: 0
    .wavefront_size: 32
  - .args:
      - .offset:         0
        .size:           4
        .value_kind:     by_value
      - .address_space:  global
        .offset:         8
        .size:           8
        .value_kind:     global_buffer
      - .offset:         16
        .size:           8
        .value_kind:     by_value
      - .offset:         24
        .size:           8
        .value_kind:     by_value
      - .offset:         32
        .size:           8
        .value_kind:     by_value
      - .offset:         40
        .size:           4
        .value_kind:     by_value
      - .address_space:  global
        .offset:         48
        .size:           8
        .value_kind:     global_buffer
      - .offset:         56
        .size:           8
        .value_kind:     by_value
      - .offset:         64
        .size:           8
        .value_kind:     by_value
      - .offset:         72
        .size:           8
        .value_kind:     by_value
      - .address_space:  global
        .offset:         80
        .size:           8
        .value_kind:     global_buffer
      - .offset:         88
        .size:           4
        .value_kind:     by_value
      - .offset:         96
        .size:           4
        .value_kind:     hidden_block_count_x
      - .offset:         100
        .size:           4
        .value_kind:     hidden_block_count_y
      - .offset:         104
        .size:           4
        .value_kind:     hidden_block_count_z
      - .offset:         108
        .size:           2
        .value_kind:     hidden_group_size_x
      - .offset:         110
        .size:           2
        .value_kind:     hidden_group_size_y
      - .offset:         112
        .size:           2
        .value_kind:     hidden_group_size_z
      - .offset:         114
        .size:           2
        .value_kind:     hidden_remainder_x
      - .offset:         116
        .size:           2
        .value_kind:     hidden_remainder_y
      - .offset:         118
        .size:           2
        .value_kind:     hidden_remainder_z
      - .offset:         136
        .size:           8
        .value_kind:     hidden_global_offset_x
      - .offset:         144
        .size:           8
        .value_kind:     hidden_global_offset_y
      - .offset:         152
        .size:           8
        .value_kind:     hidden_global_offset_z
      - .offset:         160
        .size:           2
        .value_kind:     hidden_grid_dims
    .group_segment_fixed_size: 20740
    .kernarg_segment_align: 8
    .kernarg_segment_size: 352
    .language:       OpenCL C
    .language_version:
      - 2
      - 0
    .max_flat_workgroup_size: 1024
    .name:           _ZL19rocblas_trsv_deviceILi64ELi16ELb0ELb1ELb0ELb1EffPKfPfEviT7_lllT6_T8_lllPii
    .private_segment_fixed_size: 0
    .sgpr_count:     107
    .sgpr_spill_count: 117
    .symbol:         _ZL19rocblas_trsv_deviceILi64ELi16ELb0ELb1ELb0ELb1EffPKfPfEviT7_lllT6_T8_lllPii.kd
    .uniform_work_group_size: 1
    .uses_dynamic_stack: false
    .vgpr_count:     90
    .vgpr_spill_count: 0
    .wavefront_size: 32
  - .args:
      - .offset:         0
        .size:           4
        .value_kind:     by_value
      - .address_space:  global
        .offset:         8
        .size:           8
        .value_kind:     global_buffer
      - .offset:         16
        .size:           8
        .value_kind:     by_value
      - .offset:         24
        .size:           8
        .value_kind:     by_value
      - .offset:         32
        .size:           8
        .value_kind:     by_value
      - .offset:         40
        .size:           4
        .value_kind:     by_value
      - .address_space:  global
        .offset:         48
        .size:           8
        .value_kind:     global_buffer
      - .offset:         56
        .size:           8
        .value_kind:     by_value
      - .offset:         64
        .size:           8
        .value_kind:     by_value
      - .offset:         72
        .size:           8
        .value_kind:     by_value
      - .address_space:  global
        .offset:         80
        .size:           8
        .value_kind:     global_buffer
      - .offset:         88
        .size:           4
        .value_kind:     by_value
      - .offset:         96
        .size:           4
        .value_kind:     hidden_block_count_x
      - .offset:         100
        .size:           4
        .value_kind:     hidden_block_count_y
      - .offset:         104
        .size:           4
        .value_kind:     hidden_block_count_z
      - .offset:         108
        .size:           2
        .value_kind:     hidden_group_size_x
      - .offset:         110
        .size:           2
        .value_kind:     hidden_group_size_y
      - .offset:         112
        .size:           2
        .value_kind:     hidden_group_size_z
      - .offset:         114
        .size:           2
        .value_kind:     hidden_remainder_x
      - .offset:         116
        .size:           2
        .value_kind:     hidden_remainder_y
      - .offset:         118
        .size:           2
        .value_kind:     hidden_remainder_z
      - .offset:         136
        .size:           8
        .value_kind:     hidden_global_offset_x
      - .offset:         144
        .size:           8
        .value_kind:     hidden_global_offset_y
      - .offset:         152
        .size:           8
        .value_kind:     hidden_global_offset_z
      - .offset:         160
        .size:           2
        .value_kind:     hidden_grid_dims
    .group_segment_fixed_size: 20740
    .kernarg_segment_align: 8
    .kernarg_segment_size: 352
    .language:       OpenCL C
    .language_version:
      - 2
      - 0
    .max_flat_workgroup_size: 1024
    .name:           _ZL19rocblas_trsv_deviceILi64ELi16ELb0ELb1ELb1ELb1EffPKfPfEviT7_lllT6_T8_lllPii
    .private_segment_fixed_size: 0
    .sgpr_count:     107
    .sgpr_spill_count: 117
    .symbol:         _ZL19rocblas_trsv_deviceILi64ELi16ELb0ELb1ELb1ELb1EffPKfPfEviT7_lllT6_T8_lllPii.kd
    .uniform_work_group_size: 1
    .uses_dynamic_stack: false
    .vgpr_count:     90
    .vgpr_spill_count: 0
    .wavefront_size: 32
  - .args:
      - .offset:         0
        .size:           4
        .value_kind:     by_value
      - .address_space:  global
        .offset:         8
        .size:           8
        .value_kind:     global_buffer
      - .offset:         16
        .size:           8
        .value_kind:     by_value
      - .offset:         24
        .size:           8
        .value_kind:     by_value
      - .offset:         32
        .size:           8
        .value_kind:     by_value
      - .offset:         40
        .size:           4
        .value_kind:     by_value
      - .address_space:  global
        .offset:         48
        .size:           8
        .value_kind:     global_buffer
      - .offset:         56
        .size:           8
        .value_kind:     by_value
      - .offset:         64
        .size:           8
        .value_kind:     by_value
      - .offset:         72
        .size:           8
        .value_kind:     by_value
      - .address_space:  global
        .offset:         80
        .size:           8
        .value_kind:     global_buffer
      - .offset:         88
        .size:           4
        .value_kind:     by_value
      - .offset:         96
        .size:           4
        .value_kind:     hidden_block_count_x
      - .offset:         100
        .size:           4
        .value_kind:     hidden_block_count_y
      - .offset:         104
        .size:           4
        .value_kind:     hidden_block_count_z
      - .offset:         108
        .size:           2
        .value_kind:     hidden_group_size_x
      - .offset:         110
        .size:           2
        .value_kind:     hidden_group_size_y
      - .offset:         112
        .size:           2
        .value_kind:     hidden_group_size_z
      - .offset:         114
        .size:           2
        .value_kind:     hidden_remainder_x
      - .offset:         116
        .size:           2
        .value_kind:     hidden_remainder_y
      - .offset:         118
        .size:           2
        .value_kind:     hidden_remainder_z
      - .offset:         136
        .size:           8
        .value_kind:     hidden_global_offset_x
      - .offset:         144
        .size:           8
        .value_kind:     hidden_global_offset_y
      - .offset:         152
        .size:           8
        .value_kind:     hidden_global_offset_z
      - .offset:         160
        .size:           2
        .value_kind:     hidden_grid_dims
    .group_segment_fixed_size: 20740
    .kernarg_segment_align: 8
    .kernarg_segment_size: 352
    .language:       OpenCL C
    .language_version:
      - 2
      - 0
    .max_flat_workgroup_size: 1024
    .name:           _ZL19rocblas_trsv_deviceILi64ELi16ELb0ELb0ELb0ELb0EffPKfPfEviT7_lllT6_T8_lllPii
    .private_segment_fixed_size: 0
    .sgpr_count:     107
    .sgpr_spill_count: 134
    .symbol:         _ZL19rocblas_trsv_deviceILi64ELi16ELb0ELb0ELb0ELb0EffPKfPfEviT7_lllT6_T8_lllPii.kd
    .uniform_work_group_size: 1
    .uses_dynamic_stack: false
    .vgpr_count:     73
    .vgpr_spill_count: 0
    .wavefront_size: 32
  - .args:
      - .offset:         0
        .size:           4
        .value_kind:     by_value
      - .address_space:  global
        .offset:         8
        .size:           8
        .value_kind:     global_buffer
      - .offset:         16
        .size:           8
        .value_kind:     by_value
      - .offset:         24
        .size:           8
        .value_kind:     by_value
      - .offset:         32
        .size:           8
        .value_kind:     by_value
      - .offset:         40
        .size:           4
        .value_kind:     by_value
      - .address_space:  global
        .offset:         48
        .size:           8
        .value_kind:     global_buffer
      - .offset:         56
        .size:           8
        .value_kind:     by_value
      - .offset:         64
        .size:           8
        .value_kind:     by_value
      - .offset:         72
        .size:           8
        .value_kind:     by_value
      - .address_space:  global
        .offset:         80
        .size:           8
        .value_kind:     global_buffer
      - .offset:         88
        .size:           4
        .value_kind:     by_value
      - .offset:         96
        .size:           4
        .value_kind:     hidden_block_count_x
      - .offset:         100
        .size:           4
        .value_kind:     hidden_block_count_y
      - .offset:         104
        .size:           4
        .value_kind:     hidden_block_count_z
      - .offset:         108
        .size:           2
        .value_kind:     hidden_group_size_x
      - .offset:         110
        .size:           2
        .value_kind:     hidden_group_size_y
      - .offset:         112
        .size:           2
        .value_kind:     hidden_group_size_z
      - .offset:         114
        .size:           2
        .value_kind:     hidden_remainder_x
      - .offset:         116
        .size:           2
        .value_kind:     hidden_remainder_y
      - .offset:         118
        .size:           2
        .value_kind:     hidden_remainder_z
      - .offset:         136
        .size:           8
        .value_kind:     hidden_global_offset_x
      - .offset:         144
        .size:           8
        .value_kind:     hidden_global_offset_y
      - .offset:         152
        .size:           8
        .value_kind:     hidden_global_offset_z
      - .offset:         160
        .size:           2
        .value_kind:     hidden_grid_dims
    .group_segment_fixed_size: 20740
    .kernarg_segment_align: 8
    .kernarg_segment_size: 352
    .language:       OpenCL C
    .language_version:
      - 2
      - 0
    .max_flat_workgroup_size: 1024
    .name:           _ZL19rocblas_trsv_deviceILi64ELi16ELb0ELb1ELb0ELb0EffPKfPfEviT7_lllT6_T8_lllPii
    .private_segment_fixed_size: 0
    .sgpr_count:     107
    .sgpr_spill_count: 123
    .symbol:         _ZL19rocblas_trsv_deviceILi64ELi16ELb0ELb1ELb0ELb0EffPKfPfEviT7_lllT6_T8_lllPii.kd
    .uniform_work_group_size: 1
    .uses_dynamic_stack: false
    .vgpr_count:     88
    .vgpr_spill_count: 0
    .wavefront_size: 32
  - .args:
      - .offset:         0
        .size:           4
        .value_kind:     by_value
      - .address_space:  global
        .offset:         8
        .size:           8
        .value_kind:     global_buffer
      - .offset:         16
        .size:           8
        .value_kind:     by_value
      - .offset:         24
        .size:           8
        .value_kind:     by_value
      - .offset:         32
        .size:           8
        .value_kind:     by_value
      - .offset:         40
        .size:           4
        .value_kind:     by_value
      - .address_space:  global
        .offset:         48
        .size:           8
        .value_kind:     global_buffer
      - .offset:         56
        .size:           8
        .value_kind:     by_value
      - .offset:         64
        .size:           8
        .value_kind:     by_value
      - .offset:         72
        .size:           8
        .value_kind:     by_value
      - .address_space:  global
        .offset:         80
        .size:           8
        .value_kind:     global_buffer
      - .offset:         88
        .size:           4
        .value_kind:     by_value
      - .offset:         96
        .size:           4
        .value_kind:     hidden_block_count_x
      - .offset:         100
        .size:           4
        .value_kind:     hidden_block_count_y
      - .offset:         104
        .size:           4
        .value_kind:     hidden_block_count_z
      - .offset:         108
        .size:           2
        .value_kind:     hidden_group_size_x
      - .offset:         110
        .size:           2
        .value_kind:     hidden_group_size_y
      - .offset:         112
        .size:           2
        .value_kind:     hidden_group_size_z
      - .offset:         114
        .size:           2
        .value_kind:     hidden_remainder_x
      - .offset:         116
        .size:           2
        .value_kind:     hidden_remainder_y
      - .offset:         118
        .size:           2
        .value_kind:     hidden_remainder_z
      - .offset:         136
        .size:           8
        .value_kind:     hidden_global_offset_x
      - .offset:         144
        .size:           8
        .value_kind:     hidden_global_offset_y
      - .offset:         152
        .size:           8
        .value_kind:     hidden_global_offset_z
      - .offset:         160
        .size:           2
        .value_kind:     hidden_grid_dims
    .group_segment_fixed_size: 20740
    .kernarg_segment_align: 8
    .kernarg_segment_size: 352
    .language:       OpenCL C
    .language_version:
      - 2
      - 0
    .max_flat_workgroup_size: 1024
    .name:           _ZL19rocblas_trsv_deviceILi64ELi16ELb0ELb1ELb1ELb0EffPKfPfEviT7_lllT6_T8_lllPii
    .private_segment_fixed_size: 0
    .sgpr_count:     107
    .sgpr_spill_count: 123
    .symbol:         _ZL19rocblas_trsv_deviceILi64ELi16ELb0ELb1ELb1ELb0EffPKfPfEviT7_lllT6_T8_lllPii.kd
    .uniform_work_group_size: 1
    .uses_dynamic_stack: false
    .vgpr_count:     88
    .vgpr_spill_count: 0
    .wavefront_size: 32
  - .args:
      - .offset:         0
        .size:           4
        .value_kind:     by_value
      - .address_space:  global
        .offset:         8
        .size:           8
        .value_kind:     global_buffer
      - .offset:         16
        .size:           8
        .value_kind:     by_value
      - .offset:         24
        .size:           8
        .value_kind:     by_value
      - .offset:         32
        .size:           8
        .value_kind:     by_value
      - .offset:         40
        .size:           4
        .value_kind:     by_value
      - .address_space:  global
        .offset:         48
        .size:           8
        .value_kind:     global_buffer
      - .offset:         56
        .size:           8
        .value_kind:     by_value
      - .offset:         64
        .size:           8
        .value_kind:     by_value
      - .offset:         72
        .size:           8
        .value_kind:     by_value
      - .address_space:  global
        .offset:         80
        .size:           8
        .value_kind:     global_buffer
      - .offset:         88
        .size:           4
        .value_kind:     by_value
      - .offset:         96
        .size:           4
        .value_kind:     hidden_block_count_x
      - .offset:         100
        .size:           4
        .value_kind:     hidden_block_count_y
      - .offset:         104
        .size:           4
        .value_kind:     hidden_block_count_z
      - .offset:         108
        .size:           2
        .value_kind:     hidden_group_size_x
      - .offset:         110
        .size:           2
        .value_kind:     hidden_group_size_y
      - .offset:         112
        .size:           2
        .value_kind:     hidden_group_size_z
      - .offset:         114
        .size:           2
        .value_kind:     hidden_remainder_x
      - .offset:         116
        .size:           2
        .value_kind:     hidden_remainder_y
      - .offset:         118
        .size:           2
        .value_kind:     hidden_remainder_z
      - .offset:         136
        .size:           8
        .value_kind:     hidden_global_offset_x
      - .offset:         144
        .size:           8
        .value_kind:     hidden_global_offset_y
      - .offset:         152
        .size:           8
        .value_kind:     hidden_global_offset_z
      - .offset:         160
        .size:           2
        .value_kind:     hidden_grid_dims
    .group_segment_fixed_size: 20740
    .kernarg_segment_align: 8
    .kernarg_segment_size: 352
    .language:       OpenCL C
    .language_version:
      - 2
      - 0
    .max_flat_workgroup_size: 1024
    .name:           _ZL19rocblas_trsv_deviceILi64ELi16ELb1ELb0ELb0ELb1EffPKfPfEviT7_lllT6_T8_lllPii
    .private_segment_fixed_size: 0
    .sgpr_count:     107
    .sgpr_spill_count: 124
    .symbol:         _ZL19rocblas_trsv_deviceILi64ELi16ELb1ELb0ELb0ELb1EffPKfPfEviT7_lllT6_T8_lllPii.kd
    .uniform_work_group_size: 1
    .uses_dynamic_stack: false
    .vgpr_count:     78
    .vgpr_spill_count: 0
    .wavefront_size: 32
  - .args:
      - .offset:         0
        .size:           4
        .value_kind:     by_value
      - .address_space:  global
        .offset:         8
        .size:           8
        .value_kind:     global_buffer
      - .offset:         16
        .size:           8
        .value_kind:     by_value
      - .offset:         24
        .size:           8
        .value_kind:     by_value
      - .offset:         32
        .size:           8
        .value_kind:     by_value
      - .offset:         40
        .size:           4
        .value_kind:     by_value
      - .address_space:  global
        .offset:         48
        .size:           8
        .value_kind:     global_buffer
      - .offset:         56
        .size:           8
        .value_kind:     by_value
      - .offset:         64
        .size:           8
        .value_kind:     by_value
      - .offset:         72
        .size:           8
        .value_kind:     by_value
      - .address_space:  global
        .offset:         80
        .size:           8
        .value_kind:     global_buffer
      - .offset:         88
        .size:           4
        .value_kind:     by_value
      - .offset:         96
        .size:           4
        .value_kind:     hidden_block_count_x
      - .offset:         100
        .size:           4
        .value_kind:     hidden_block_count_y
      - .offset:         104
        .size:           4
        .value_kind:     hidden_block_count_z
      - .offset:         108
        .size:           2
        .value_kind:     hidden_group_size_x
      - .offset:         110
        .size:           2
        .value_kind:     hidden_group_size_y
      - .offset:         112
        .size:           2
        .value_kind:     hidden_group_size_z
      - .offset:         114
        .size:           2
        .value_kind:     hidden_remainder_x
      - .offset:         116
        .size:           2
        .value_kind:     hidden_remainder_y
      - .offset:         118
        .size:           2
        .value_kind:     hidden_remainder_z
      - .offset:         136
        .size:           8
        .value_kind:     hidden_global_offset_x
      - .offset:         144
        .size:           8
        .value_kind:     hidden_global_offset_y
      - .offset:         152
        .size:           8
        .value_kind:     hidden_global_offset_z
      - .offset:         160
        .size:           2
        .value_kind:     hidden_grid_dims
    .group_segment_fixed_size: 20740
    .kernarg_segment_align: 8
    .kernarg_segment_size: 352
    .language:       OpenCL C
    .language_version:
      - 2
      - 0
    .max_flat_workgroup_size: 1024
    .name:           _ZL19rocblas_trsv_deviceILi64ELi16ELb1ELb1ELb0ELb1EffPKfPfEviT7_lllT6_T8_lllPii
    .private_segment_fixed_size: 0
    .sgpr_count:     107
    .sgpr_spill_count: 121
    .symbol:         _ZL19rocblas_trsv_deviceILi64ELi16ELb1ELb1ELb0ELb1EffPKfPfEviT7_lllT6_T8_lllPii.kd
    .uniform_work_group_size: 1
    .uses_dynamic_stack: false
    .vgpr_count:     94
    .vgpr_spill_count: 0
    .wavefront_size: 32
  - .args:
      - .offset:         0
        .size:           4
        .value_kind:     by_value
      - .address_space:  global
        .offset:         8
        .size:           8
        .value_kind:     global_buffer
      - .offset:         16
        .size:           8
        .value_kind:     by_value
      - .offset:         24
        .size:           8
        .value_kind:     by_value
      - .offset:         32
        .size:           8
        .value_kind:     by_value
      - .offset:         40
        .size:           4
        .value_kind:     by_value
      - .address_space:  global
        .offset:         48
        .size:           8
        .value_kind:     global_buffer
      - .offset:         56
        .size:           8
        .value_kind:     by_value
      - .offset:         64
        .size:           8
        .value_kind:     by_value
      - .offset:         72
        .size:           8
        .value_kind:     by_value
      - .address_space:  global
        .offset:         80
        .size:           8
        .value_kind:     global_buffer
      - .offset:         88
        .size:           4
        .value_kind:     by_value
      - .offset:         96
        .size:           4
        .value_kind:     hidden_block_count_x
      - .offset:         100
        .size:           4
        .value_kind:     hidden_block_count_y
      - .offset:         104
        .size:           4
        .value_kind:     hidden_block_count_z
      - .offset:         108
        .size:           2
        .value_kind:     hidden_group_size_x
      - .offset:         110
        .size:           2
        .value_kind:     hidden_group_size_y
      - .offset:         112
        .size:           2
        .value_kind:     hidden_group_size_z
      - .offset:         114
        .size:           2
        .value_kind:     hidden_remainder_x
      - .offset:         116
        .size:           2
        .value_kind:     hidden_remainder_y
      - .offset:         118
        .size:           2
        .value_kind:     hidden_remainder_z
      - .offset:         136
        .size:           8
        .value_kind:     hidden_global_offset_x
      - .offset:         144
        .size:           8
        .value_kind:     hidden_global_offset_y
      - .offset:         152
        .size:           8
        .value_kind:     hidden_global_offset_z
      - .offset:         160
        .size:           2
        .value_kind:     hidden_grid_dims
    .group_segment_fixed_size: 20740
    .kernarg_segment_align: 8
    .kernarg_segment_size: 352
    .language:       OpenCL C
    .language_version:
      - 2
      - 0
    .max_flat_workgroup_size: 1024
    .name:           _ZL19rocblas_trsv_deviceILi64ELi16ELb1ELb1ELb1ELb1EffPKfPfEviT7_lllT6_T8_lllPii
    .private_segment_fixed_size: 0
    .sgpr_count:     107
    .sgpr_spill_count: 121
    .symbol:         _ZL19rocblas_trsv_deviceILi64ELi16ELb1ELb1ELb1ELb1EffPKfPfEviT7_lllT6_T8_lllPii.kd
    .uniform_work_group_size: 1
    .uses_dynamic_stack: false
    .vgpr_count:     94
    .vgpr_spill_count: 0
    .wavefront_size: 32
  - .args:
      - .offset:         0
        .size:           4
        .value_kind:     by_value
      - .address_space:  global
        .offset:         8
        .size:           8
        .value_kind:     global_buffer
      - .offset:         16
        .size:           8
        .value_kind:     by_value
      - .offset:         24
        .size:           8
        .value_kind:     by_value
      - .offset:         32
        .size:           8
        .value_kind:     by_value
      - .offset:         40
        .size:           4
        .value_kind:     by_value
      - .address_space:  global
        .offset:         48
        .size:           8
        .value_kind:     global_buffer
      - .offset:         56
        .size:           8
        .value_kind:     by_value
      - .offset:         64
        .size:           8
        .value_kind:     by_value
      - .offset:         72
        .size:           8
        .value_kind:     by_value
      - .address_space:  global
        .offset:         80
        .size:           8
        .value_kind:     global_buffer
      - .offset:         88
        .size:           4
        .value_kind:     by_value
      - .offset:         96
        .size:           4
        .value_kind:     hidden_block_count_x
      - .offset:         100
        .size:           4
        .value_kind:     hidden_block_count_y
      - .offset:         104
        .size:           4
        .value_kind:     hidden_block_count_z
      - .offset:         108
        .size:           2
        .value_kind:     hidden_group_size_x
      - .offset:         110
        .size:           2
        .value_kind:     hidden_group_size_y
      - .offset:         112
        .size:           2
        .value_kind:     hidden_group_size_z
      - .offset:         114
        .size:           2
        .value_kind:     hidden_remainder_x
      - .offset:         116
        .size:           2
        .value_kind:     hidden_remainder_y
      - .offset:         118
        .size:           2
        .value_kind:     hidden_remainder_z
      - .offset:         136
        .size:           8
        .value_kind:     hidden_global_offset_x
      - .offset:         144
        .size:           8
        .value_kind:     hidden_global_offset_y
      - .offset:         152
        .size:           8
        .value_kind:     hidden_global_offset_z
      - .offset:         160
        .size:           2
        .value_kind:     hidden_grid_dims
    .group_segment_fixed_size: 20740
    .kernarg_segment_align: 8
    .kernarg_segment_size: 352
    .language:       OpenCL C
    .language_version:
      - 2
      - 0
    .max_flat_workgroup_size: 1024
    .name:           _ZL19rocblas_trsv_deviceILi64ELi16ELb1ELb0ELb0ELb0EffPKfPfEviT7_lllT6_T8_lllPii
    .private_segment_fixed_size: 0
    .sgpr_count:     107
    .sgpr_spill_count: 130
    .symbol:         _ZL19rocblas_trsv_deviceILi64ELi16ELb1ELb0ELb0ELb0EffPKfPfEviT7_lllT6_T8_lllPii.kd
    .uniform_work_group_size: 1
    .uses_dynamic_stack: false
    .vgpr_count:     77
    .vgpr_spill_count: 0
    .wavefront_size: 32
  - .args:
      - .offset:         0
        .size:           4
        .value_kind:     by_value
      - .address_space:  global
        .offset:         8
        .size:           8
        .value_kind:     global_buffer
      - .offset:         16
        .size:           8
        .value_kind:     by_value
      - .offset:         24
        .size:           8
        .value_kind:     by_value
      - .offset:         32
        .size:           8
        .value_kind:     by_value
      - .offset:         40
        .size:           4
        .value_kind:     by_value
      - .address_space:  global
        .offset:         48
        .size:           8
        .value_kind:     global_buffer
      - .offset:         56
        .size:           8
        .value_kind:     by_value
      - .offset:         64
        .size:           8
        .value_kind:     by_value
      - .offset:         72
        .size:           8
        .value_kind:     by_value
      - .address_space:  global
        .offset:         80
        .size:           8
        .value_kind:     global_buffer
      - .offset:         88
        .size:           4
        .value_kind:     by_value
      - .offset:         96
        .size:           4
        .value_kind:     hidden_block_count_x
      - .offset:         100
        .size:           4
        .value_kind:     hidden_block_count_y
      - .offset:         104
        .size:           4
        .value_kind:     hidden_block_count_z
      - .offset:         108
        .size:           2
        .value_kind:     hidden_group_size_x
      - .offset:         110
        .size:           2
        .value_kind:     hidden_group_size_y
      - .offset:         112
        .size:           2
        .value_kind:     hidden_group_size_z
      - .offset:         114
        .size:           2
        .value_kind:     hidden_remainder_x
      - .offset:         116
        .size:           2
        .value_kind:     hidden_remainder_y
      - .offset:         118
        .size:           2
        .value_kind:     hidden_remainder_z
      - .offset:         136
        .size:           8
        .value_kind:     hidden_global_offset_x
      - .offset:         144
        .size:           8
        .value_kind:     hidden_global_offset_y
      - .offset:         152
        .size:           8
        .value_kind:     hidden_global_offset_z
      - .offset:         160
        .size:           2
        .value_kind:     hidden_grid_dims
    .group_segment_fixed_size: 20740
    .kernarg_segment_align: 8
    .kernarg_segment_size: 352
    .language:       OpenCL C
    .language_version:
      - 2
      - 0
    .max_flat_workgroup_size: 1024
    .name:           _ZL19rocblas_trsv_deviceILi64ELi16ELb1ELb1ELb0ELb0EffPKfPfEviT7_lllT6_T8_lllPii
    .private_segment_fixed_size: 0
    .sgpr_count:     107
    .sgpr_spill_count: 127
    .symbol:         _ZL19rocblas_trsv_deviceILi64ELi16ELb1ELb1ELb0ELb0EffPKfPfEviT7_lllT6_T8_lllPii.kd
    .uniform_work_group_size: 1
    .uses_dynamic_stack: false
    .vgpr_count:     92
    .vgpr_spill_count: 0
    .wavefront_size: 32
  - .args:
      - .offset:         0
        .size:           4
        .value_kind:     by_value
      - .address_space:  global
        .offset:         8
        .size:           8
        .value_kind:     global_buffer
      - .offset:         16
        .size:           8
        .value_kind:     by_value
      - .offset:         24
        .size:           8
        .value_kind:     by_value
      - .offset:         32
        .size:           8
        .value_kind:     by_value
      - .offset:         40
        .size:           4
        .value_kind:     by_value
      - .address_space:  global
        .offset:         48
        .size:           8
        .value_kind:     global_buffer
      - .offset:         56
        .size:           8
        .value_kind:     by_value
      - .offset:         64
        .size:           8
        .value_kind:     by_value
      - .offset:         72
        .size:           8
        .value_kind:     by_value
      - .address_space:  global
        .offset:         80
        .size:           8
        .value_kind:     global_buffer
      - .offset:         88
        .size:           4
        .value_kind:     by_value
      - .offset:         96
        .size:           4
        .value_kind:     hidden_block_count_x
      - .offset:         100
        .size:           4
        .value_kind:     hidden_block_count_y
      - .offset:         104
        .size:           4
        .value_kind:     hidden_block_count_z
      - .offset:         108
        .size:           2
        .value_kind:     hidden_group_size_x
      - .offset:         110
        .size:           2
        .value_kind:     hidden_group_size_y
      - .offset:         112
        .size:           2
        .value_kind:     hidden_group_size_z
      - .offset:         114
        .size:           2
        .value_kind:     hidden_remainder_x
      - .offset:         116
        .size:           2
        .value_kind:     hidden_remainder_y
      - .offset:         118
        .size:           2
        .value_kind:     hidden_remainder_z
      - .offset:         136
        .size:           8
        .value_kind:     hidden_global_offset_x
      - .offset:         144
        .size:           8
        .value_kind:     hidden_global_offset_y
      - .offset:         152
        .size:           8
        .value_kind:     hidden_global_offset_z
      - .offset:         160
        .size:           2
        .value_kind:     hidden_grid_dims
    .group_segment_fixed_size: 20740
    .kernarg_segment_align: 8
    .kernarg_segment_size: 352
    .language:       OpenCL C
    .language_version:
      - 2
      - 0
    .max_flat_workgroup_size: 1024
    .name:           _ZL19rocblas_trsv_deviceILi64ELi16ELb1ELb1ELb1ELb0EffPKfPfEviT7_lllT6_T8_lllPii
    .private_segment_fixed_size: 0
    .sgpr_count:     107
    .sgpr_spill_count: 127
    .symbol:         _ZL19rocblas_trsv_deviceILi64ELi16ELb1ELb1ELb1ELb0EffPKfPfEviT7_lllT6_T8_lllPii.kd
    .uniform_work_group_size: 1
    .uses_dynamic_stack: false
    .vgpr_count:     92
    .vgpr_spill_count: 0
    .wavefront_size: 32
  - .args:
      - .offset:         0
        .size:           4
        .value_kind:     by_value
      - .address_space:  global
        .offset:         8
        .size:           8
        .value_kind:     global_buffer
      - .offset:         16
        .size:           8
        .value_kind:     by_value
      - .offset:         24
        .size:           8
        .value_kind:     by_value
      - .offset:         32
        .size:           8
        .value_kind:     by_value
      - .address_space:  global
        .offset:         40
        .size:           8
        .value_kind:     global_buffer
      - .address_space:  global
        .offset:         48
        .size:           8
        .value_kind:     global_buffer
      - .offset:         56
        .size:           8
        .value_kind:     by_value
      - .offset:         64
        .size:           8
        .value_kind:     by_value
      - .offset:         72
        .size:           8
        .value_kind:     by_value
      - .address_space:  global
        .offset:         80
        .size:           8
        .value_kind:     global_buffer
      - .offset:         88
        .size:           4
        .value_kind:     by_value
      - .offset:         96
        .size:           4
        .value_kind:     hidden_block_count_x
      - .offset:         100
        .size:           4
        .value_kind:     hidden_block_count_y
      - .offset:         104
        .size:           4
        .value_kind:     hidden_block_count_z
      - .offset:         108
        .size:           2
        .value_kind:     hidden_group_size_x
      - .offset:         110
        .size:           2
        .value_kind:     hidden_group_size_y
      - .offset:         112
        .size:           2
        .value_kind:     hidden_group_size_z
      - .offset:         114
        .size:           2
        .value_kind:     hidden_remainder_x
      - .offset:         116
        .size:           2
        .value_kind:     hidden_remainder_y
      - .offset:         118
        .size:           2
        .value_kind:     hidden_remainder_z
      - .offset:         136
        .size:           8
        .value_kind:     hidden_global_offset_x
      - .offset:         144
        .size:           8
        .value_kind:     hidden_global_offset_y
      - .offset:         152
        .size:           8
        .value_kind:     hidden_global_offset_z
      - .offset:         160
        .size:           2
        .value_kind:     hidden_grid_dims
    .group_segment_fixed_size: 41480
    .kernarg_segment_align: 8
    .kernarg_segment_size: 352
    .language:       OpenCL C
    .language_version:
      - 2
      - 0
    .max_flat_workgroup_size: 1024
    .name:           _ZL19rocblas_trsv_deviceILi64ELi16ELb0ELb0ELb0ELb1EdPKdS1_PdEviT7_lllT6_T8_lllPii
    .private_segment_fixed_size: 0
    .sgpr_count:     107
    .sgpr_spill_count: 69
    .symbol:         _ZL19rocblas_trsv_deviceILi64ELi16ELb0ELb0ELb0ELb1EdPKdS1_PdEviT7_lllT6_T8_lllPii.kd
    .uniform_work_group_size: 1
    .uses_dynamic_stack: false
    .vgpr_count:     87
    .vgpr_spill_count: 0
    .wavefront_size: 32
  - .args:
      - .offset:         0
        .size:           4
        .value_kind:     by_value
      - .address_space:  global
        .offset:         8
        .size:           8
        .value_kind:     global_buffer
      - .offset:         16
        .size:           8
        .value_kind:     by_value
      - .offset:         24
        .size:           8
        .value_kind:     by_value
      - .offset:         32
        .size:           8
        .value_kind:     by_value
      - .address_space:  global
        .offset:         40
        .size:           8
        .value_kind:     global_buffer
      - .address_space:  global
        .offset:         48
        .size:           8
        .value_kind:     global_buffer
      - .offset:         56
        .size:           8
        .value_kind:     by_value
      - .offset:         64
        .size:           8
        .value_kind:     by_value
      - .offset:         72
        .size:           8
        .value_kind:     by_value
      - .address_space:  global
        .offset:         80
        .size:           8
        .value_kind:     global_buffer
      - .offset:         88
        .size:           4
        .value_kind:     by_value
      - .offset:         96
        .size:           4
        .value_kind:     hidden_block_count_x
      - .offset:         100
        .size:           4
        .value_kind:     hidden_block_count_y
      - .offset:         104
        .size:           4
        .value_kind:     hidden_block_count_z
      - .offset:         108
        .size:           2
        .value_kind:     hidden_group_size_x
      - .offset:         110
        .size:           2
        .value_kind:     hidden_group_size_y
      - .offset:         112
        .size:           2
        .value_kind:     hidden_group_size_z
      - .offset:         114
        .size:           2
        .value_kind:     hidden_remainder_x
      - .offset:         116
        .size:           2
        .value_kind:     hidden_remainder_y
      - .offset:         118
        .size:           2
        .value_kind:     hidden_remainder_z
      - .offset:         136
        .size:           8
        .value_kind:     hidden_global_offset_x
      - .offset:         144
        .size:           8
        .value_kind:     hidden_global_offset_y
      - .offset:         152
        .size:           8
        .value_kind:     hidden_global_offset_z
      - .offset:         160
        .size:           2
        .value_kind:     hidden_grid_dims
    .group_segment_fixed_size: 41480
    .kernarg_segment_align: 8
    .kernarg_segment_size: 352
    .language:       OpenCL C
    .language_version:
      - 2
      - 0
    .max_flat_workgroup_size: 1024
    .name:           _ZL19rocblas_trsv_deviceILi64ELi16ELb0ELb1ELb0ELb1EdPKdS1_PdEviT7_lllT6_T8_lllPii
    .private_segment_fixed_size: 0
    .sgpr_count:     107
    .sgpr_spill_count: 57
    .symbol:         _ZL19rocblas_trsv_deviceILi64ELi16ELb0ELb1ELb0ELb1EdPKdS1_PdEviT7_lllT6_T8_lllPii.kd
    .uniform_work_group_size: 1
    .uses_dynamic_stack: false
    .vgpr_count:     104
    .vgpr_spill_count: 0
    .wavefront_size: 32
  - .args:
      - .offset:         0
        .size:           4
        .value_kind:     by_value
      - .address_space:  global
        .offset:         8
        .size:           8
        .value_kind:     global_buffer
      - .offset:         16
        .size:           8
        .value_kind:     by_value
      - .offset:         24
        .size:           8
        .value_kind:     by_value
      - .offset:         32
        .size:           8
        .value_kind:     by_value
      - .address_space:  global
        .offset:         40
        .size:           8
        .value_kind:     global_buffer
      - .address_space:  global
        .offset:         48
        .size:           8
        .value_kind:     global_buffer
      - .offset:         56
        .size:           8
        .value_kind:     by_value
      - .offset:         64
        .size:           8
        .value_kind:     by_value
      - .offset:         72
        .size:           8
        .value_kind:     by_value
      - .address_space:  global
        .offset:         80
        .size:           8
        .value_kind:     global_buffer
      - .offset:         88
        .size:           4
        .value_kind:     by_value
      - .offset:         96
        .size:           4
        .value_kind:     hidden_block_count_x
      - .offset:         100
        .size:           4
        .value_kind:     hidden_block_count_y
      - .offset:         104
        .size:           4
        .value_kind:     hidden_block_count_z
      - .offset:         108
        .size:           2
        .value_kind:     hidden_group_size_x
      - .offset:         110
        .size:           2
        .value_kind:     hidden_group_size_y
      - .offset:         112
        .size:           2
        .value_kind:     hidden_group_size_z
      - .offset:         114
        .size:           2
        .value_kind:     hidden_remainder_x
      - .offset:         116
        .size:           2
        .value_kind:     hidden_remainder_y
      - .offset:         118
        .size:           2
        .value_kind:     hidden_remainder_z
      - .offset:         136
        .size:           8
        .value_kind:     hidden_global_offset_x
      - .offset:         144
        .size:           8
        .value_kind:     hidden_global_offset_y
      - .offset:         152
        .size:           8
        .value_kind:     hidden_global_offset_z
      - .offset:         160
        .size:           2
        .value_kind:     hidden_grid_dims
    .group_segment_fixed_size: 41480
    .kernarg_segment_align: 8
    .kernarg_segment_size: 352
    .language:       OpenCL C
    .language_version:
      - 2
      - 0
    .max_flat_workgroup_size: 1024
    .name:           _ZL19rocblas_trsv_deviceILi64ELi16ELb0ELb1ELb1ELb1EdPKdS1_PdEviT7_lllT6_T8_lllPii
    .private_segment_fixed_size: 0
    .sgpr_count:     107
    .sgpr_spill_count: 57
    .symbol:         _ZL19rocblas_trsv_deviceILi64ELi16ELb0ELb1ELb1ELb1EdPKdS1_PdEviT7_lllT6_T8_lllPii.kd
    .uniform_work_group_size: 1
    .uses_dynamic_stack: false
    .vgpr_count:     104
    .vgpr_spill_count: 0
    .wavefront_size: 32
  - .args:
      - .offset:         0
        .size:           4
        .value_kind:     by_value
      - .address_space:  global
        .offset:         8
        .size:           8
        .value_kind:     global_buffer
      - .offset:         16
        .size:           8
        .value_kind:     by_value
      - .offset:         24
        .size:           8
        .value_kind:     by_value
      - .offset:         32
        .size:           8
        .value_kind:     by_value
      - .address_space:  global
        .offset:         40
        .size:           8
        .value_kind:     global_buffer
      - .address_space:  global
        .offset:         48
        .size:           8
        .value_kind:     global_buffer
      - .offset:         56
        .size:           8
        .value_kind:     by_value
      - .offset:         64
        .size:           8
        .value_kind:     by_value
      - .offset:         72
        .size:           8
        .value_kind:     by_value
      - .address_space:  global
        .offset:         80
        .size:           8
        .value_kind:     global_buffer
      - .offset:         88
        .size:           4
        .value_kind:     by_value
      - .offset:         96
        .size:           4
        .value_kind:     hidden_block_count_x
      - .offset:         100
        .size:           4
        .value_kind:     hidden_block_count_y
      - .offset:         104
        .size:           4
        .value_kind:     hidden_block_count_z
      - .offset:         108
        .size:           2
        .value_kind:     hidden_group_size_x
      - .offset:         110
        .size:           2
        .value_kind:     hidden_group_size_y
      - .offset:         112
        .size:           2
        .value_kind:     hidden_group_size_z
      - .offset:         114
        .size:           2
        .value_kind:     hidden_remainder_x
      - .offset:         116
        .size:           2
        .value_kind:     hidden_remainder_y
      - .offset:         118
        .size:           2
        .value_kind:     hidden_remainder_z
      - .offset:         136
        .size:           8
        .value_kind:     hidden_global_offset_x
      - .offset:         144
        .size:           8
        .value_kind:     hidden_global_offset_y
      - .offset:         152
        .size:           8
        .value_kind:     hidden_global_offset_z
      - .offset:         160
        .size:           2
        .value_kind:     hidden_grid_dims
    .group_segment_fixed_size: 41480
    .kernarg_segment_align: 8
    .kernarg_segment_size: 352
    .language:       OpenCL C
    .language_version:
      - 2
      - 0
    .max_flat_workgroup_size: 1024
    .name:           _ZL19rocblas_trsv_deviceILi64ELi16ELb0ELb0ELb0ELb0EdPKdS1_PdEviT7_lllT6_T8_lllPii
    .private_segment_fixed_size: 0
    .sgpr_count:     107
    .sgpr_spill_count: 74
    .symbol:         _ZL19rocblas_trsv_deviceILi64ELi16ELb0ELb0ELb0ELb0EdPKdS1_PdEviT7_lllT6_T8_lllPii.kd
    .uniform_work_group_size: 1
    .uses_dynamic_stack: false
    .vgpr_count:     85
    .vgpr_spill_count: 0
    .wavefront_size: 32
  - .args:
      - .offset:         0
        .size:           4
        .value_kind:     by_value
      - .address_space:  global
        .offset:         8
        .size:           8
        .value_kind:     global_buffer
      - .offset:         16
        .size:           8
        .value_kind:     by_value
      - .offset:         24
        .size:           8
        .value_kind:     by_value
      - .offset:         32
        .size:           8
        .value_kind:     by_value
      - .address_space:  global
        .offset:         40
        .size:           8
        .value_kind:     global_buffer
      - .address_space:  global
        .offset:         48
        .size:           8
        .value_kind:     global_buffer
      - .offset:         56
        .size:           8
        .value_kind:     by_value
      - .offset:         64
        .size:           8
        .value_kind:     by_value
      - .offset:         72
        .size:           8
        .value_kind:     by_value
      - .address_space:  global
        .offset:         80
        .size:           8
        .value_kind:     global_buffer
      - .offset:         88
        .size:           4
        .value_kind:     by_value
      - .offset:         96
        .size:           4
        .value_kind:     hidden_block_count_x
      - .offset:         100
        .size:           4
        .value_kind:     hidden_block_count_y
      - .offset:         104
        .size:           4
        .value_kind:     hidden_block_count_z
      - .offset:         108
        .size:           2
        .value_kind:     hidden_group_size_x
      - .offset:         110
        .size:           2
        .value_kind:     hidden_group_size_y
      - .offset:         112
        .size:           2
        .value_kind:     hidden_group_size_z
      - .offset:         114
        .size:           2
        .value_kind:     hidden_remainder_x
      - .offset:         116
        .size:           2
        .value_kind:     hidden_remainder_y
      - .offset:         118
        .size:           2
        .value_kind:     hidden_remainder_z
      - .offset:         136
        .size:           8
        .value_kind:     hidden_global_offset_x
      - .offset:         144
        .size:           8
        .value_kind:     hidden_global_offset_y
      - .offset:         152
        .size:           8
        .value_kind:     hidden_global_offset_z
      - .offset:         160
        .size:           2
        .value_kind:     hidden_grid_dims
    .group_segment_fixed_size: 41480
    .kernarg_segment_align: 8
    .kernarg_segment_size: 352
    .language:       OpenCL C
    .language_version:
      - 2
      - 0
    .max_flat_workgroup_size: 1024
    .name:           _ZL19rocblas_trsv_deviceILi64ELi16ELb0ELb1ELb0ELb0EdPKdS1_PdEviT7_lllT6_T8_lllPii
    .private_segment_fixed_size: 0
    .sgpr_count:     107
    .sgpr_spill_count: 63
    .symbol:         _ZL19rocblas_trsv_deviceILi64ELi16ELb0ELb1ELb0ELb0EdPKdS1_PdEviT7_lllT6_T8_lllPii.kd
    .uniform_work_group_size: 1
    .uses_dynamic_stack: false
    .vgpr_count:     102
    .vgpr_spill_count: 0
    .wavefront_size: 32
  - .args:
      - .offset:         0
        .size:           4
        .value_kind:     by_value
      - .address_space:  global
        .offset:         8
        .size:           8
        .value_kind:     global_buffer
      - .offset:         16
        .size:           8
        .value_kind:     by_value
      - .offset:         24
        .size:           8
        .value_kind:     by_value
      - .offset:         32
        .size:           8
        .value_kind:     by_value
      - .address_space:  global
        .offset:         40
        .size:           8
        .value_kind:     global_buffer
      - .address_space:  global
        .offset:         48
        .size:           8
        .value_kind:     global_buffer
      - .offset:         56
        .size:           8
        .value_kind:     by_value
      - .offset:         64
        .size:           8
        .value_kind:     by_value
      - .offset:         72
        .size:           8
        .value_kind:     by_value
      - .address_space:  global
        .offset:         80
        .size:           8
        .value_kind:     global_buffer
      - .offset:         88
        .size:           4
        .value_kind:     by_value
      - .offset:         96
        .size:           4
        .value_kind:     hidden_block_count_x
      - .offset:         100
        .size:           4
        .value_kind:     hidden_block_count_y
      - .offset:         104
        .size:           4
        .value_kind:     hidden_block_count_z
      - .offset:         108
        .size:           2
        .value_kind:     hidden_group_size_x
      - .offset:         110
        .size:           2
        .value_kind:     hidden_group_size_y
      - .offset:         112
        .size:           2
        .value_kind:     hidden_group_size_z
      - .offset:         114
        .size:           2
        .value_kind:     hidden_remainder_x
      - .offset:         116
        .size:           2
        .value_kind:     hidden_remainder_y
      - .offset:         118
        .size:           2
        .value_kind:     hidden_remainder_z
      - .offset:         136
        .size:           8
        .value_kind:     hidden_global_offset_x
      - .offset:         144
        .size:           8
        .value_kind:     hidden_global_offset_y
      - .offset:         152
        .size:           8
        .value_kind:     hidden_global_offset_z
      - .offset:         160
        .size:           2
        .value_kind:     hidden_grid_dims
    .group_segment_fixed_size: 41480
    .kernarg_segment_align: 8
    .kernarg_segment_size: 352
    .language:       OpenCL C
    .language_version:
      - 2
      - 0
    .max_flat_workgroup_size: 1024
    .name:           _ZL19rocblas_trsv_deviceILi64ELi16ELb0ELb1ELb1ELb0EdPKdS1_PdEviT7_lllT6_T8_lllPii
    .private_segment_fixed_size: 0
    .sgpr_count:     107
    .sgpr_spill_count: 63
    .symbol:         _ZL19rocblas_trsv_deviceILi64ELi16ELb0ELb1ELb1ELb0EdPKdS1_PdEviT7_lllT6_T8_lllPii.kd
    .uniform_work_group_size: 1
    .uses_dynamic_stack: false
    .vgpr_count:     102
    .vgpr_spill_count: 0
    .wavefront_size: 32
  - .args:
      - .offset:         0
        .size:           4
        .value_kind:     by_value
      - .address_space:  global
        .offset:         8
        .size:           8
        .value_kind:     global_buffer
      - .offset:         16
        .size:           8
        .value_kind:     by_value
      - .offset:         24
        .size:           8
        .value_kind:     by_value
      - .offset:         32
        .size:           8
        .value_kind:     by_value
      - .address_space:  global
        .offset:         40
        .size:           8
        .value_kind:     global_buffer
      - .address_space:  global
        .offset:         48
        .size:           8
        .value_kind:     global_buffer
      - .offset:         56
        .size:           8
        .value_kind:     by_value
      - .offset:         64
        .size:           8
        .value_kind:     by_value
      - .offset:         72
        .size:           8
        .value_kind:     by_value
      - .address_space:  global
        .offset:         80
        .size:           8
        .value_kind:     global_buffer
      - .offset:         88
        .size:           4
        .value_kind:     by_value
      - .offset:         96
        .size:           4
        .value_kind:     hidden_block_count_x
      - .offset:         100
        .size:           4
        .value_kind:     hidden_block_count_y
      - .offset:         104
        .size:           4
        .value_kind:     hidden_block_count_z
      - .offset:         108
        .size:           2
        .value_kind:     hidden_group_size_x
      - .offset:         110
        .size:           2
        .value_kind:     hidden_group_size_y
      - .offset:         112
        .size:           2
        .value_kind:     hidden_group_size_z
      - .offset:         114
        .size:           2
        .value_kind:     hidden_remainder_x
      - .offset:         116
        .size:           2
        .value_kind:     hidden_remainder_y
      - .offset:         118
        .size:           2
        .value_kind:     hidden_remainder_z
      - .offset:         136
        .size:           8
        .value_kind:     hidden_global_offset_x
      - .offset:         144
        .size:           8
        .value_kind:     hidden_global_offset_y
      - .offset:         152
        .size:           8
        .value_kind:     hidden_global_offset_z
      - .offset:         160
        .size:           2
        .value_kind:     hidden_grid_dims
    .group_segment_fixed_size: 41480
    .kernarg_segment_align: 8
    .kernarg_segment_size: 352
    .language:       OpenCL C
    .language_version:
      - 2
      - 0
    .max_flat_workgroup_size: 1024
    .name:           _ZL19rocblas_trsv_deviceILi64ELi16ELb1ELb0ELb0ELb1EdPKdS1_PdEviT7_lllT6_T8_lllPii
    .private_segment_fixed_size: 0
    .sgpr_count:     107
    .sgpr_spill_count: 64
    .symbol:         _ZL19rocblas_trsv_deviceILi64ELi16ELb1ELb0ELb0ELb1EdPKdS1_PdEviT7_lllT6_T8_lllPii.kd
    .uniform_work_group_size: 1
    .uses_dynamic_stack: false
    .vgpr_count:     86
    .vgpr_spill_count: 0
    .wavefront_size: 32
  - .args:
      - .offset:         0
        .size:           4
        .value_kind:     by_value
      - .address_space:  global
        .offset:         8
        .size:           8
        .value_kind:     global_buffer
      - .offset:         16
        .size:           8
        .value_kind:     by_value
      - .offset:         24
        .size:           8
        .value_kind:     by_value
      - .offset:         32
        .size:           8
        .value_kind:     by_value
      - .address_space:  global
        .offset:         40
        .size:           8
        .value_kind:     global_buffer
      - .address_space:  global
        .offset:         48
        .size:           8
        .value_kind:     global_buffer
      - .offset:         56
        .size:           8
        .value_kind:     by_value
      - .offset:         64
        .size:           8
        .value_kind:     by_value
      - .offset:         72
        .size:           8
        .value_kind:     by_value
      - .address_space:  global
        .offset:         80
        .size:           8
        .value_kind:     global_buffer
      - .offset:         88
        .size:           4
        .value_kind:     by_value
      - .offset:         96
        .size:           4
        .value_kind:     hidden_block_count_x
      - .offset:         100
        .size:           4
        .value_kind:     hidden_block_count_y
      - .offset:         104
        .size:           4
        .value_kind:     hidden_block_count_z
      - .offset:         108
        .size:           2
        .value_kind:     hidden_group_size_x
      - .offset:         110
        .size:           2
        .value_kind:     hidden_group_size_y
      - .offset:         112
        .size:           2
        .value_kind:     hidden_group_size_z
      - .offset:         114
        .size:           2
        .value_kind:     hidden_remainder_x
      - .offset:         116
        .size:           2
        .value_kind:     hidden_remainder_y
      - .offset:         118
        .size:           2
        .value_kind:     hidden_remainder_z
      - .offset:         136
        .size:           8
        .value_kind:     hidden_global_offset_x
      - .offset:         144
        .size:           8
        .value_kind:     hidden_global_offset_y
      - .offset:         152
        .size:           8
        .value_kind:     hidden_global_offset_z
      - .offset:         160
        .size:           2
        .value_kind:     hidden_grid_dims
    .group_segment_fixed_size: 41480
    .kernarg_segment_align: 8
    .kernarg_segment_size: 352
    .language:       OpenCL C
    .language_version:
      - 2
      - 0
    .max_flat_workgroup_size: 1024
    .name:           _ZL19rocblas_trsv_deviceILi64ELi16ELb1ELb1ELb0ELb1EdPKdS1_PdEviT7_lllT6_T8_lllPii
    .private_segment_fixed_size: 0
    .sgpr_count:     107
    .sgpr_spill_count: 61
    .symbol:         _ZL19rocblas_trsv_deviceILi64ELi16ELb1ELb1ELb0ELb1EdPKdS1_PdEviT7_lllT6_T8_lllPii.kd
    .uniform_work_group_size: 1
    .uses_dynamic_stack: false
    .vgpr_count:     103
    .vgpr_spill_count: 0
    .wavefront_size: 32
  - .args:
      - .offset:         0
        .size:           4
        .value_kind:     by_value
      - .address_space:  global
        .offset:         8
        .size:           8
        .value_kind:     global_buffer
      - .offset:         16
        .size:           8
        .value_kind:     by_value
      - .offset:         24
        .size:           8
        .value_kind:     by_value
      - .offset:         32
        .size:           8
        .value_kind:     by_value
      - .address_space:  global
        .offset:         40
        .size:           8
        .value_kind:     global_buffer
      - .address_space:  global
        .offset:         48
        .size:           8
        .value_kind:     global_buffer
      - .offset:         56
        .size:           8
        .value_kind:     by_value
      - .offset:         64
        .size:           8
        .value_kind:     by_value
      - .offset:         72
        .size:           8
        .value_kind:     by_value
      - .address_space:  global
        .offset:         80
        .size:           8
        .value_kind:     global_buffer
      - .offset:         88
        .size:           4
        .value_kind:     by_value
      - .offset:         96
        .size:           4
        .value_kind:     hidden_block_count_x
      - .offset:         100
        .size:           4
        .value_kind:     hidden_block_count_y
      - .offset:         104
        .size:           4
        .value_kind:     hidden_block_count_z
      - .offset:         108
        .size:           2
        .value_kind:     hidden_group_size_x
      - .offset:         110
        .size:           2
        .value_kind:     hidden_group_size_y
      - .offset:         112
        .size:           2
        .value_kind:     hidden_group_size_z
      - .offset:         114
        .size:           2
        .value_kind:     hidden_remainder_x
      - .offset:         116
        .size:           2
        .value_kind:     hidden_remainder_y
      - .offset:         118
        .size:           2
        .value_kind:     hidden_remainder_z
      - .offset:         136
        .size:           8
        .value_kind:     hidden_global_offset_x
      - .offset:         144
        .size:           8
        .value_kind:     hidden_global_offset_y
      - .offset:         152
        .size:           8
        .value_kind:     hidden_global_offset_z
      - .offset:         160
        .size:           2
        .value_kind:     hidden_grid_dims
    .group_segment_fixed_size: 41480
    .kernarg_segment_align: 8
    .kernarg_segment_size: 352
    .language:       OpenCL C
    .language_version:
      - 2
      - 0
    .max_flat_workgroup_size: 1024
    .name:           _ZL19rocblas_trsv_deviceILi64ELi16ELb1ELb1ELb1ELb1EdPKdS1_PdEviT7_lllT6_T8_lllPii
    .private_segment_fixed_size: 0
    .sgpr_count:     107
    .sgpr_spill_count: 61
    .symbol:         _ZL19rocblas_trsv_deviceILi64ELi16ELb1ELb1ELb1ELb1EdPKdS1_PdEviT7_lllT6_T8_lllPii.kd
    .uniform_work_group_size: 1
    .uses_dynamic_stack: false
    .vgpr_count:     103
    .vgpr_spill_count: 0
    .wavefront_size: 32
  - .args:
      - .offset:         0
        .size:           4
        .value_kind:     by_value
      - .address_space:  global
        .offset:         8
        .size:           8
        .value_kind:     global_buffer
      - .offset:         16
        .size:           8
        .value_kind:     by_value
      - .offset:         24
        .size:           8
        .value_kind:     by_value
      - .offset:         32
        .size:           8
        .value_kind:     by_value
      - .address_space:  global
        .offset:         40
        .size:           8
        .value_kind:     global_buffer
      - .address_space:  global
        .offset:         48
        .size:           8
        .value_kind:     global_buffer
      - .offset:         56
        .size:           8
        .value_kind:     by_value
      - .offset:         64
        .size:           8
        .value_kind:     by_value
      - .offset:         72
        .size:           8
        .value_kind:     by_value
      - .address_space:  global
        .offset:         80
        .size:           8
        .value_kind:     global_buffer
      - .offset:         88
        .size:           4
        .value_kind:     by_value
      - .offset:         96
        .size:           4
        .value_kind:     hidden_block_count_x
      - .offset:         100
        .size:           4
        .value_kind:     hidden_block_count_y
      - .offset:         104
        .size:           4
        .value_kind:     hidden_block_count_z
      - .offset:         108
        .size:           2
        .value_kind:     hidden_group_size_x
      - .offset:         110
        .size:           2
        .value_kind:     hidden_group_size_y
      - .offset:         112
        .size:           2
        .value_kind:     hidden_group_size_z
      - .offset:         114
        .size:           2
        .value_kind:     hidden_remainder_x
      - .offset:         116
        .size:           2
        .value_kind:     hidden_remainder_y
      - .offset:         118
        .size:           2
        .value_kind:     hidden_remainder_z
      - .offset:         136
        .size:           8
        .value_kind:     hidden_global_offset_x
      - .offset:         144
        .size:           8
        .value_kind:     hidden_global_offset_y
      - .offset:         152
        .size:           8
        .value_kind:     hidden_global_offset_z
      - .offset:         160
        .size:           2
        .value_kind:     hidden_grid_dims
    .group_segment_fixed_size: 41480
    .kernarg_segment_align: 8
    .kernarg_segment_size: 352
    .language:       OpenCL C
    .language_version:
      - 2
      - 0
    .max_flat_workgroup_size: 1024
    .name:           _ZL19rocblas_trsv_deviceILi64ELi16ELb1ELb0ELb0ELb0EdPKdS1_PdEviT7_lllT6_T8_lllPii
    .private_segment_fixed_size: 0
    .sgpr_count:     107
    .sgpr_spill_count: 70
    .symbol:         _ZL19rocblas_trsv_deviceILi64ELi16ELb1ELb0ELb0ELb0EdPKdS1_PdEviT7_lllT6_T8_lllPii.kd
    .uniform_work_group_size: 1
    .uses_dynamic_stack: false
    .vgpr_count:     85
    .vgpr_spill_count: 0
    .wavefront_size: 32
  - .args:
      - .offset:         0
        .size:           4
        .value_kind:     by_value
      - .address_space:  global
        .offset:         8
        .size:           8
        .value_kind:     global_buffer
      - .offset:         16
        .size:           8
        .value_kind:     by_value
      - .offset:         24
        .size:           8
        .value_kind:     by_value
      - .offset:         32
        .size:           8
        .value_kind:     by_value
      - .address_space:  global
        .offset:         40
        .size:           8
        .value_kind:     global_buffer
      - .address_space:  global
        .offset:         48
        .size:           8
        .value_kind:     global_buffer
      - .offset:         56
        .size:           8
        .value_kind:     by_value
      - .offset:         64
        .size:           8
        .value_kind:     by_value
      - .offset:         72
        .size:           8
        .value_kind:     by_value
      - .address_space:  global
        .offset:         80
        .size:           8
        .value_kind:     global_buffer
      - .offset:         88
        .size:           4
        .value_kind:     by_value
      - .offset:         96
        .size:           4
        .value_kind:     hidden_block_count_x
      - .offset:         100
        .size:           4
        .value_kind:     hidden_block_count_y
      - .offset:         104
        .size:           4
        .value_kind:     hidden_block_count_z
      - .offset:         108
        .size:           2
        .value_kind:     hidden_group_size_x
      - .offset:         110
        .size:           2
        .value_kind:     hidden_group_size_y
      - .offset:         112
        .size:           2
        .value_kind:     hidden_group_size_z
      - .offset:         114
        .size:           2
        .value_kind:     hidden_remainder_x
      - .offset:         116
        .size:           2
        .value_kind:     hidden_remainder_y
      - .offset:         118
        .size:           2
        .value_kind:     hidden_remainder_z
      - .offset:         136
        .size:           8
        .value_kind:     hidden_global_offset_x
      - .offset:         144
        .size:           8
        .value_kind:     hidden_global_offset_y
      - .offset:         152
        .size:           8
        .value_kind:     hidden_global_offset_z
      - .offset:         160
        .size:           2
        .value_kind:     hidden_grid_dims
    .group_segment_fixed_size: 41480
    .kernarg_segment_align: 8
    .kernarg_segment_size: 352
    .language:       OpenCL C
    .language_version:
      - 2
      - 0
    .max_flat_workgroup_size: 1024
    .name:           _ZL19rocblas_trsv_deviceILi64ELi16ELb1ELb1ELb0ELb0EdPKdS1_PdEviT7_lllT6_T8_lllPii
    .private_segment_fixed_size: 0
    .sgpr_count:     107
    .sgpr_spill_count: 67
    .symbol:         _ZL19rocblas_trsv_deviceILi64ELi16ELb1ELb1ELb0ELb0EdPKdS1_PdEviT7_lllT6_T8_lllPii.kd
    .uniform_work_group_size: 1
    .uses_dynamic_stack: false
    .vgpr_count:     99
    .vgpr_spill_count: 0
    .wavefront_size: 32
  - .args:
      - .offset:         0
        .size:           4
        .value_kind:     by_value
      - .address_space:  global
        .offset:         8
        .size:           8
        .value_kind:     global_buffer
      - .offset:         16
        .size:           8
        .value_kind:     by_value
      - .offset:         24
        .size:           8
        .value_kind:     by_value
      - .offset:         32
        .size:           8
        .value_kind:     by_value
      - .address_space:  global
        .offset:         40
        .size:           8
        .value_kind:     global_buffer
      - .address_space:  global
        .offset:         48
        .size:           8
        .value_kind:     global_buffer
      - .offset:         56
        .size:           8
        .value_kind:     by_value
      - .offset:         64
        .size:           8
        .value_kind:     by_value
      - .offset:         72
        .size:           8
        .value_kind:     by_value
      - .address_space:  global
        .offset:         80
        .size:           8
        .value_kind:     global_buffer
      - .offset:         88
        .size:           4
        .value_kind:     by_value
      - .offset:         96
        .size:           4
        .value_kind:     hidden_block_count_x
      - .offset:         100
        .size:           4
        .value_kind:     hidden_block_count_y
      - .offset:         104
        .size:           4
        .value_kind:     hidden_block_count_z
      - .offset:         108
        .size:           2
        .value_kind:     hidden_group_size_x
      - .offset:         110
        .size:           2
        .value_kind:     hidden_group_size_y
      - .offset:         112
        .size:           2
        .value_kind:     hidden_group_size_z
      - .offset:         114
        .size:           2
        .value_kind:     hidden_remainder_x
      - .offset:         116
        .size:           2
        .value_kind:     hidden_remainder_y
      - .offset:         118
        .size:           2
        .value_kind:     hidden_remainder_z
      - .offset:         136
        .size:           8
        .value_kind:     hidden_global_offset_x
      - .offset:         144
        .size:           8
        .value_kind:     hidden_global_offset_y
      - .offset:         152
        .size:           8
        .value_kind:     hidden_global_offset_z
      - .offset:         160
        .size:           2
        .value_kind:     hidden_grid_dims
    .group_segment_fixed_size: 41480
    .kernarg_segment_align: 8
    .kernarg_segment_size: 352
    .language:       OpenCL C
    .language_version:
      - 2
      - 0
    .max_flat_workgroup_size: 1024
    .name:           _ZL19rocblas_trsv_deviceILi64ELi16ELb1ELb1ELb1ELb0EdPKdS1_PdEviT7_lllT6_T8_lllPii
    .private_segment_fixed_size: 0
    .sgpr_count:     107
    .sgpr_spill_count: 67
    .symbol:         _ZL19rocblas_trsv_deviceILi64ELi16ELb1ELb1ELb1ELb0EdPKdS1_PdEviT7_lllT6_T8_lllPii.kd
    .uniform_work_group_size: 1
    .uses_dynamic_stack: false
    .vgpr_count:     99
    .vgpr_spill_count: 0
    .wavefront_size: 32
  - .args:
      - .offset:         0
        .size:           4
        .value_kind:     by_value
      - .address_space:  global
        .offset:         8
        .size:           8
        .value_kind:     global_buffer
      - .offset:         16
        .size:           8
        .value_kind:     by_value
      - .offset:         24
        .size:           8
        .value_kind:     by_value
      - .offset:         32
        .size:           8
        .value_kind:     by_value
      - .offset:         40
        .size:           8
        .value_kind:     by_value
      - .address_space:  global
        .offset:         48
        .size:           8
        .value_kind:     global_buffer
      - .offset:         56
        .size:           8
        .value_kind:     by_value
      - .offset:         64
        .size:           8
        .value_kind:     by_value
      - .offset:         72
        .size:           8
        .value_kind:     by_value
      - .address_space:  global
        .offset:         80
        .size:           8
        .value_kind:     global_buffer
      - .offset:         88
        .size:           4
        .value_kind:     by_value
      - .offset:         96
        .size:           4
        .value_kind:     hidden_block_count_x
      - .offset:         100
        .size:           4
        .value_kind:     hidden_block_count_y
      - .offset:         104
        .size:           4
        .value_kind:     hidden_block_count_z
      - .offset:         108
        .size:           2
        .value_kind:     hidden_group_size_x
      - .offset:         110
        .size:           2
        .value_kind:     hidden_group_size_y
      - .offset:         112
        .size:           2
        .value_kind:     hidden_group_size_z
      - .offset:         114
        .size:           2
        .value_kind:     hidden_remainder_x
      - .offset:         116
        .size:           2
        .value_kind:     hidden_remainder_y
      - .offset:         118
        .size:           2
        .value_kind:     hidden_remainder_z
      - .offset:         136
        .size:           8
        .value_kind:     hidden_global_offset_x
      - .offset:         144
        .size:           8
        .value_kind:     hidden_global_offset_y
      - .offset:         152
        .size:           8
        .value_kind:     hidden_global_offset_z
      - .offset:         160
        .size:           2
        .value_kind:     hidden_grid_dims
    .group_segment_fixed_size: 41480
    .kernarg_segment_align: 8
    .kernarg_segment_size: 352
    .language:       OpenCL C
    .language_version:
      - 2
      - 0
    .max_flat_workgroup_size: 1024
    .name:           _ZL19rocblas_trsv_deviceILi64ELi16ELb0ELb0ELb0ELb1EddPKdPdEviT7_lllT6_T8_lllPii
    .private_segment_fixed_size: 0
    .sgpr_count:     107
    .sgpr_spill_count: 69
    .symbol:         _ZL19rocblas_trsv_deviceILi64ELi16ELb0ELb0ELb0ELb1EddPKdPdEviT7_lllT6_T8_lllPii.kd
    .uniform_work_group_size: 1
    .uses_dynamic_stack: false
    .vgpr_count:     87
    .vgpr_spill_count: 0
    .wavefront_size: 32
  - .args:
      - .offset:         0
        .size:           4
        .value_kind:     by_value
      - .address_space:  global
        .offset:         8
        .size:           8
        .value_kind:     global_buffer
      - .offset:         16
        .size:           8
        .value_kind:     by_value
      - .offset:         24
        .size:           8
        .value_kind:     by_value
      - .offset:         32
        .size:           8
        .value_kind:     by_value
      - .offset:         40
        .size:           8
        .value_kind:     by_value
      - .address_space:  global
        .offset:         48
        .size:           8
        .value_kind:     global_buffer
      - .offset:         56
        .size:           8
        .value_kind:     by_value
      - .offset:         64
        .size:           8
        .value_kind:     by_value
      - .offset:         72
        .size:           8
        .value_kind:     by_value
      - .address_space:  global
        .offset:         80
        .size:           8
        .value_kind:     global_buffer
      - .offset:         88
        .size:           4
        .value_kind:     by_value
      - .offset:         96
        .size:           4
        .value_kind:     hidden_block_count_x
      - .offset:         100
        .size:           4
        .value_kind:     hidden_block_count_y
      - .offset:         104
        .size:           4
        .value_kind:     hidden_block_count_z
      - .offset:         108
        .size:           2
        .value_kind:     hidden_group_size_x
      - .offset:         110
        .size:           2
        .value_kind:     hidden_group_size_y
      - .offset:         112
        .size:           2
        .value_kind:     hidden_group_size_z
      - .offset:         114
        .size:           2
        .value_kind:     hidden_remainder_x
      - .offset:         116
        .size:           2
        .value_kind:     hidden_remainder_y
      - .offset:         118
        .size:           2
        .value_kind:     hidden_remainder_z
      - .offset:         136
        .size:           8
        .value_kind:     hidden_global_offset_x
      - .offset:         144
        .size:           8
        .value_kind:     hidden_global_offset_y
      - .offset:         152
        .size:           8
        .value_kind:     hidden_global_offset_z
      - .offset:         160
        .size:           2
        .value_kind:     hidden_grid_dims
    .group_segment_fixed_size: 41480
    .kernarg_segment_align: 8
    .kernarg_segment_size: 352
    .language:       OpenCL C
    .language_version:
      - 2
      - 0
    .max_flat_workgroup_size: 1024
    .name:           _ZL19rocblas_trsv_deviceILi64ELi16ELb0ELb1ELb0ELb1EddPKdPdEviT7_lllT6_T8_lllPii
    .private_segment_fixed_size: 0
    .sgpr_count:     107
    .sgpr_spill_count: 57
    .symbol:         _ZL19rocblas_trsv_deviceILi64ELi16ELb0ELb1ELb0ELb1EddPKdPdEviT7_lllT6_T8_lllPii.kd
    .uniform_work_group_size: 1
    .uses_dynamic_stack: false
    .vgpr_count:     104
    .vgpr_spill_count: 0
    .wavefront_size: 32
  - .args:
      - .offset:         0
        .size:           4
        .value_kind:     by_value
      - .address_space:  global
        .offset:         8
        .size:           8
        .value_kind:     global_buffer
      - .offset:         16
        .size:           8
        .value_kind:     by_value
      - .offset:         24
        .size:           8
        .value_kind:     by_value
      - .offset:         32
        .size:           8
        .value_kind:     by_value
      - .offset:         40
        .size:           8
        .value_kind:     by_value
      - .address_space:  global
        .offset:         48
        .size:           8
        .value_kind:     global_buffer
      - .offset:         56
        .size:           8
        .value_kind:     by_value
      - .offset:         64
        .size:           8
        .value_kind:     by_value
      - .offset:         72
        .size:           8
        .value_kind:     by_value
      - .address_space:  global
        .offset:         80
        .size:           8
        .value_kind:     global_buffer
      - .offset:         88
        .size:           4
        .value_kind:     by_value
      - .offset:         96
        .size:           4
        .value_kind:     hidden_block_count_x
      - .offset:         100
        .size:           4
        .value_kind:     hidden_block_count_y
      - .offset:         104
        .size:           4
        .value_kind:     hidden_block_count_z
      - .offset:         108
        .size:           2
        .value_kind:     hidden_group_size_x
      - .offset:         110
        .size:           2
        .value_kind:     hidden_group_size_y
      - .offset:         112
        .size:           2
        .value_kind:     hidden_group_size_z
      - .offset:         114
        .size:           2
        .value_kind:     hidden_remainder_x
      - .offset:         116
        .size:           2
        .value_kind:     hidden_remainder_y
      - .offset:         118
        .size:           2
        .value_kind:     hidden_remainder_z
      - .offset:         136
        .size:           8
        .value_kind:     hidden_global_offset_x
      - .offset:         144
        .size:           8
        .value_kind:     hidden_global_offset_y
      - .offset:         152
        .size:           8
        .value_kind:     hidden_global_offset_z
      - .offset:         160
        .size:           2
        .value_kind:     hidden_grid_dims
    .group_segment_fixed_size: 41480
    .kernarg_segment_align: 8
    .kernarg_segment_size: 352
    .language:       OpenCL C
    .language_version:
      - 2
      - 0
    .max_flat_workgroup_size: 1024
    .name:           _ZL19rocblas_trsv_deviceILi64ELi16ELb0ELb1ELb1ELb1EddPKdPdEviT7_lllT6_T8_lllPii
    .private_segment_fixed_size: 0
    .sgpr_count:     107
    .sgpr_spill_count: 57
    .symbol:         _ZL19rocblas_trsv_deviceILi64ELi16ELb0ELb1ELb1ELb1EddPKdPdEviT7_lllT6_T8_lllPii.kd
    .uniform_work_group_size: 1
    .uses_dynamic_stack: false
    .vgpr_count:     104
    .vgpr_spill_count: 0
    .wavefront_size: 32
  - .args:
      - .offset:         0
        .size:           4
        .value_kind:     by_value
      - .address_space:  global
        .offset:         8
        .size:           8
        .value_kind:     global_buffer
      - .offset:         16
        .size:           8
        .value_kind:     by_value
      - .offset:         24
        .size:           8
        .value_kind:     by_value
      - .offset:         32
        .size:           8
        .value_kind:     by_value
      - .offset:         40
        .size:           8
        .value_kind:     by_value
      - .address_space:  global
        .offset:         48
        .size:           8
        .value_kind:     global_buffer
      - .offset:         56
        .size:           8
        .value_kind:     by_value
      - .offset:         64
        .size:           8
        .value_kind:     by_value
      - .offset:         72
        .size:           8
        .value_kind:     by_value
      - .address_space:  global
        .offset:         80
        .size:           8
        .value_kind:     global_buffer
      - .offset:         88
        .size:           4
        .value_kind:     by_value
      - .offset:         96
        .size:           4
        .value_kind:     hidden_block_count_x
      - .offset:         100
        .size:           4
        .value_kind:     hidden_block_count_y
      - .offset:         104
        .size:           4
        .value_kind:     hidden_block_count_z
      - .offset:         108
        .size:           2
        .value_kind:     hidden_group_size_x
      - .offset:         110
        .size:           2
        .value_kind:     hidden_group_size_y
      - .offset:         112
        .size:           2
        .value_kind:     hidden_group_size_z
      - .offset:         114
        .size:           2
        .value_kind:     hidden_remainder_x
      - .offset:         116
        .size:           2
        .value_kind:     hidden_remainder_y
      - .offset:         118
        .size:           2
        .value_kind:     hidden_remainder_z
      - .offset:         136
        .size:           8
        .value_kind:     hidden_global_offset_x
      - .offset:         144
        .size:           8
        .value_kind:     hidden_global_offset_y
      - .offset:         152
        .size:           8
        .value_kind:     hidden_global_offset_z
      - .offset:         160
        .size:           2
        .value_kind:     hidden_grid_dims
    .group_segment_fixed_size: 41480
    .kernarg_segment_align: 8
    .kernarg_segment_size: 352
    .language:       OpenCL C
    .language_version:
      - 2
      - 0
    .max_flat_workgroup_size: 1024
    .name:           _ZL19rocblas_trsv_deviceILi64ELi16ELb0ELb0ELb0ELb0EddPKdPdEviT7_lllT6_T8_lllPii
    .private_segment_fixed_size: 0
    .sgpr_count:     107
    .sgpr_spill_count: 74
    .symbol:         _ZL19rocblas_trsv_deviceILi64ELi16ELb0ELb0ELb0ELb0EddPKdPdEviT7_lllT6_T8_lllPii.kd
    .uniform_work_group_size: 1
    .uses_dynamic_stack: false
    .vgpr_count:     85
    .vgpr_spill_count: 0
    .wavefront_size: 32
  - .args:
      - .offset:         0
        .size:           4
        .value_kind:     by_value
      - .address_space:  global
        .offset:         8
        .size:           8
        .value_kind:     global_buffer
      - .offset:         16
        .size:           8
        .value_kind:     by_value
      - .offset:         24
        .size:           8
        .value_kind:     by_value
      - .offset:         32
        .size:           8
        .value_kind:     by_value
      - .offset:         40
        .size:           8
        .value_kind:     by_value
      - .address_space:  global
        .offset:         48
        .size:           8
        .value_kind:     global_buffer
      - .offset:         56
        .size:           8
        .value_kind:     by_value
      - .offset:         64
        .size:           8
        .value_kind:     by_value
      - .offset:         72
        .size:           8
        .value_kind:     by_value
      - .address_space:  global
        .offset:         80
        .size:           8
        .value_kind:     global_buffer
      - .offset:         88
        .size:           4
        .value_kind:     by_value
      - .offset:         96
        .size:           4
        .value_kind:     hidden_block_count_x
      - .offset:         100
        .size:           4
        .value_kind:     hidden_block_count_y
      - .offset:         104
        .size:           4
        .value_kind:     hidden_block_count_z
      - .offset:         108
        .size:           2
        .value_kind:     hidden_group_size_x
      - .offset:         110
        .size:           2
        .value_kind:     hidden_group_size_y
      - .offset:         112
        .size:           2
        .value_kind:     hidden_group_size_z
      - .offset:         114
        .size:           2
        .value_kind:     hidden_remainder_x
      - .offset:         116
        .size:           2
        .value_kind:     hidden_remainder_y
      - .offset:         118
        .size:           2
        .value_kind:     hidden_remainder_z
      - .offset:         136
        .size:           8
        .value_kind:     hidden_global_offset_x
      - .offset:         144
        .size:           8
        .value_kind:     hidden_global_offset_y
      - .offset:         152
        .size:           8
        .value_kind:     hidden_global_offset_z
      - .offset:         160
        .size:           2
        .value_kind:     hidden_grid_dims
    .group_segment_fixed_size: 41480
    .kernarg_segment_align: 8
    .kernarg_segment_size: 352
    .language:       OpenCL C
    .language_version:
      - 2
      - 0
    .max_flat_workgroup_size: 1024
    .name:           _ZL19rocblas_trsv_deviceILi64ELi16ELb0ELb1ELb0ELb0EddPKdPdEviT7_lllT6_T8_lllPii
    .private_segment_fixed_size: 0
    .sgpr_count:     107
    .sgpr_spill_count: 63
    .symbol:         _ZL19rocblas_trsv_deviceILi64ELi16ELb0ELb1ELb0ELb0EddPKdPdEviT7_lllT6_T8_lllPii.kd
    .uniform_work_group_size: 1
    .uses_dynamic_stack: false
    .vgpr_count:     98
    .vgpr_spill_count: 0
    .wavefront_size: 32
  - .args:
      - .offset:         0
        .size:           4
        .value_kind:     by_value
      - .address_space:  global
        .offset:         8
        .size:           8
        .value_kind:     global_buffer
      - .offset:         16
        .size:           8
        .value_kind:     by_value
      - .offset:         24
        .size:           8
        .value_kind:     by_value
      - .offset:         32
        .size:           8
        .value_kind:     by_value
      - .offset:         40
        .size:           8
        .value_kind:     by_value
      - .address_space:  global
        .offset:         48
        .size:           8
        .value_kind:     global_buffer
      - .offset:         56
        .size:           8
        .value_kind:     by_value
      - .offset:         64
        .size:           8
        .value_kind:     by_value
      - .offset:         72
        .size:           8
        .value_kind:     by_value
      - .address_space:  global
        .offset:         80
        .size:           8
        .value_kind:     global_buffer
      - .offset:         88
        .size:           4
        .value_kind:     by_value
      - .offset:         96
        .size:           4
        .value_kind:     hidden_block_count_x
      - .offset:         100
        .size:           4
        .value_kind:     hidden_block_count_y
      - .offset:         104
        .size:           4
        .value_kind:     hidden_block_count_z
      - .offset:         108
        .size:           2
        .value_kind:     hidden_group_size_x
      - .offset:         110
        .size:           2
        .value_kind:     hidden_group_size_y
      - .offset:         112
        .size:           2
        .value_kind:     hidden_group_size_z
      - .offset:         114
        .size:           2
        .value_kind:     hidden_remainder_x
      - .offset:         116
        .size:           2
        .value_kind:     hidden_remainder_y
      - .offset:         118
        .size:           2
        .value_kind:     hidden_remainder_z
      - .offset:         136
        .size:           8
        .value_kind:     hidden_global_offset_x
      - .offset:         144
        .size:           8
        .value_kind:     hidden_global_offset_y
      - .offset:         152
        .size:           8
        .value_kind:     hidden_global_offset_z
      - .offset:         160
        .size:           2
        .value_kind:     hidden_grid_dims
    .group_segment_fixed_size: 41480
    .kernarg_segment_align: 8
    .kernarg_segment_size: 352
    .language:       OpenCL C
    .language_version:
      - 2
      - 0
    .max_flat_workgroup_size: 1024
    .name:           _ZL19rocblas_trsv_deviceILi64ELi16ELb0ELb1ELb1ELb0EddPKdPdEviT7_lllT6_T8_lllPii
    .private_segment_fixed_size: 0
    .sgpr_count:     107
    .sgpr_spill_count: 63
    .symbol:         _ZL19rocblas_trsv_deviceILi64ELi16ELb0ELb1ELb1ELb0EddPKdPdEviT7_lllT6_T8_lllPii.kd
    .uniform_work_group_size: 1
    .uses_dynamic_stack: false
    .vgpr_count:     98
    .vgpr_spill_count: 0
    .wavefront_size: 32
  - .args:
      - .offset:         0
        .size:           4
        .value_kind:     by_value
      - .address_space:  global
        .offset:         8
        .size:           8
        .value_kind:     global_buffer
      - .offset:         16
        .size:           8
        .value_kind:     by_value
      - .offset:         24
        .size:           8
        .value_kind:     by_value
      - .offset:         32
        .size:           8
        .value_kind:     by_value
      - .offset:         40
        .size:           8
        .value_kind:     by_value
      - .address_space:  global
        .offset:         48
        .size:           8
        .value_kind:     global_buffer
      - .offset:         56
        .size:           8
        .value_kind:     by_value
      - .offset:         64
        .size:           8
        .value_kind:     by_value
      - .offset:         72
        .size:           8
        .value_kind:     by_value
      - .address_space:  global
        .offset:         80
        .size:           8
        .value_kind:     global_buffer
      - .offset:         88
        .size:           4
        .value_kind:     by_value
      - .offset:         96
        .size:           4
        .value_kind:     hidden_block_count_x
      - .offset:         100
        .size:           4
        .value_kind:     hidden_block_count_y
      - .offset:         104
        .size:           4
        .value_kind:     hidden_block_count_z
      - .offset:         108
        .size:           2
        .value_kind:     hidden_group_size_x
      - .offset:         110
        .size:           2
        .value_kind:     hidden_group_size_y
      - .offset:         112
        .size:           2
        .value_kind:     hidden_group_size_z
      - .offset:         114
        .size:           2
        .value_kind:     hidden_remainder_x
      - .offset:         116
        .size:           2
        .value_kind:     hidden_remainder_y
      - .offset:         118
        .size:           2
        .value_kind:     hidden_remainder_z
      - .offset:         136
        .size:           8
        .value_kind:     hidden_global_offset_x
      - .offset:         144
        .size:           8
        .value_kind:     hidden_global_offset_y
      - .offset:         152
        .size:           8
        .value_kind:     hidden_global_offset_z
      - .offset:         160
        .size:           2
        .value_kind:     hidden_grid_dims
    .group_segment_fixed_size: 41480
    .kernarg_segment_align: 8
    .kernarg_segment_size: 352
    .language:       OpenCL C
    .language_version:
      - 2
      - 0
    .max_flat_workgroup_size: 1024
    .name:           _ZL19rocblas_trsv_deviceILi64ELi16ELb1ELb0ELb0ELb1EddPKdPdEviT7_lllT6_T8_lllPii
    .private_segment_fixed_size: 0
    .sgpr_count:     107
    .sgpr_spill_count: 64
    .symbol:         _ZL19rocblas_trsv_deviceILi64ELi16ELb1ELb0ELb0ELb1EddPKdPdEviT7_lllT6_T8_lllPii.kd
    .uniform_work_group_size: 1
    .uses_dynamic_stack: false
    .vgpr_count:     86
    .vgpr_spill_count: 0
    .wavefront_size: 32
  - .args:
      - .offset:         0
        .size:           4
        .value_kind:     by_value
      - .address_space:  global
        .offset:         8
        .size:           8
        .value_kind:     global_buffer
      - .offset:         16
        .size:           8
        .value_kind:     by_value
      - .offset:         24
        .size:           8
        .value_kind:     by_value
      - .offset:         32
        .size:           8
        .value_kind:     by_value
      - .offset:         40
        .size:           8
        .value_kind:     by_value
      - .address_space:  global
        .offset:         48
        .size:           8
        .value_kind:     global_buffer
      - .offset:         56
        .size:           8
        .value_kind:     by_value
      - .offset:         64
        .size:           8
        .value_kind:     by_value
      - .offset:         72
        .size:           8
        .value_kind:     by_value
      - .address_space:  global
        .offset:         80
        .size:           8
        .value_kind:     global_buffer
      - .offset:         88
        .size:           4
        .value_kind:     by_value
      - .offset:         96
        .size:           4
        .value_kind:     hidden_block_count_x
      - .offset:         100
        .size:           4
        .value_kind:     hidden_block_count_y
      - .offset:         104
        .size:           4
        .value_kind:     hidden_block_count_z
      - .offset:         108
        .size:           2
        .value_kind:     hidden_group_size_x
      - .offset:         110
        .size:           2
        .value_kind:     hidden_group_size_y
      - .offset:         112
        .size:           2
        .value_kind:     hidden_group_size_z
      - .offset:         114
        .size:           2
        .value_kind:     hidden_remainder_x
      - .offset:         116
        .size:           2
        .value_kind:     hidden_remainder_y
      - .offset:         118
        .size:           2
        .value_kind:     hidden_remainder_z
      - .offset:         136
        .size:           8
        .value_kind:     hidden_global_offset_x
      - .offset:         144
        .size:           8
        .value_kind:     hidden_global_offset_y
      - .offset:         152
        .size:           8
        .value_kind:     hidden_global_offset_z
      - .offset:         160
        .size:           2
        .value_kind:     hidden_grid_dims
    .group_segment_fixed_size: 41480
    .kernarg_segment_align: 8
    .kernarg_segment_size: 352
    .language:       OpenCL C
    .language_version:
      - 2
      - 0
    .max_flat_workgroup_size: 1024
    .name:           _ZL19rocblas_trsv_deviceILi64ELi16ELb1ELb1ELb0ELb1EddPKdPdEviT7_lllT6_T8_lllPii
    .private_segment_fixed_size: 0
    .sgpr_count:     107
    .sgpr_spill_count: 61
    .symbol:         _ZL19rocblas_trsv_deviceILi64ELi16ELb1ELb1ELb0ELb1EddPKdPdEviT7_lllT6_T8_lllPii.kd
    .uniform_work_group_size: 1
    .uses_dynamic_stack: false
    .vgpr_count:     103
    .vgpr_spill_count: 0
    .wavefront_size: 32
  - .args:
      - .offset:         0
        .size:           4
        .value_kind:     by_value
      - .address_space:  global
        .offset:         8
        .size:           8
        .value_kind:     global_buffer
      - .offset:         16
        .size:           8
        .value_kind:     by_value
      - .offset:         24
        .size:           8
        .value_kind:     by_value
      - .offset:         32
        .size:           8
        .value_kind:     by_value
      - .offset:         40
        .size:           8
        .value_kind:     by_value
      - .address_space:  global
        .offset:         48
        .size:           8
        .value_kind:     global_buffer
      - .offset:         56
        .size:           8
        .value_kind:     by_value
      - .offset:         64
        .size:           8
        .value_kind:     by_value
      - .offset:         72
        .size:           8
        .value_kind:     by_value
      - .address_space:  global
        .offset:         80
        .size:           8
        .value_kind:     global_buffer
      - .offset:         88
        .size:           4
        .value_kind:     by_value
      - .offset:         96
        .size:           4
        .value_kind:     hidden_block_count_x
      - .offset:         100
        .size:           4
        .value_kind:     hidden_block_count_y
      - .offset:         104
        .size:           4
        .value_kind:     hidden_block_count_z
      - .offset:         108
        .size:           2
        .value_kind:     hidden_group_size_x
      - .offset:         110
        .size:           2
        .value_kind:     hidden_group_size_y
      - .offset:         112
        .size:           2
        .value_kind:     hidden_group_size_z
      - .offset:         114
        .size:           2
        .value_kind:     hidden_remainder_x
      - .offset:         116
        .size:           2
        .value_kind:     hidden_remainder_y
      - .offset:         118
        .size:           2
        .value_kind:     hidden_remainder_z
      - .offset:         136
        .size:           8
        .value_kind:     hidden_global_offset_x
      - .offset:         144
        .size:           8
        .value_kind:     hidden_global_offset_y
      - .offset:         152
        .size:           8
        .value_kind:     hidden_global_offset_z
      - .offset:         160
        .size:           2
        .value_kind:     hidden_grid_dims
    .group_segment_fixed_size: 41480
    .kernarg_segment_align: 8
    .kernarg_segment_size: 352
    .language:       OpenCL C
    .language_version:
      - 2
      - 0
    .max_flat_workgroup_size: 1024
    .name:           _ZL19rocblas_trsv_deviceILi64ELi16ELb1ELb1ELb1ELb1EddPKdPdEviT7_lllT6_T8_lllPii
    .private_segment_fixed_size: 0
    .sgpr_count:     107
    .sgpr_spill_count: 61
    .symbol:         _ZL19rocblas_trsv_deviceILi64ELi16ELb1ELb1ELb1ELb1EddPKdPdEviT7_lllT6_T8_lllPii.kd
    .uniform_work_group_size: 1
    .uses_dynamic_stack: false
    .vgpr_count:     103
    .vgpr_spill_count: 0
    .wavefront_size: 32
  - .args:
      - .offset:         0
        .size:           4
        .value_kind:     by_value
      - .address_space:  global
        .offset:         8
        .size:           8
        .value_kind:     global_buffer
      - .offset:         16
        .size:           8
        .value_kind:     by_value
      - .offset:         24
        .size:           8
        .value_kind:     by_value
      - .offset:         32
        .size:           8
        .value_kind:     by_value
      - .offset:         40
        .size:           8
        .value_kind:     by_value
      - .address_space:  global
        .offset:         48
        .size:           8
        .value_kind:     global_buffer
      - .offset:         56
        .size:           8
        .value_kind:     by_value
      - .offset:         64
        .size:           8
        .value_kind:     by_value
      - .offset:         72
        .size:           8
        .value_kind:     by_value
      - .address_space:  global
        .offset:         80
        .size:           8
        .value_kind:     global_buffer
      - .offset:         88
        .size:           4
        .value_kind:     by_value
      - .offset:         96
        .size:           4
        .value_kind:     hidden_block_count_x
      - .offset:         100
        .size:           4
        .value_kind:     hidden_block_count_y
      - .offset:         104
        .size:           4
        .value_kind:     hidden_block_count_z
      - .offset:         108
        .size:           2
        .value_kind:     hidden_group_size_x
      - .offset:         110
        .size:           2
        .value_kind:     hidden_group_size_y
      - .offset:         112
        .size:           2
        .value_kind:     hidden_group_size_z
      - .offset:         114
        .size:           2
        .value_kind:     hidden_remainder_x
      - .offset:         116
        .size:           2
        .value_kind:     hidden_remainder_y
      - .offset:         118
        .size:           2
        .value_kind:     hidden_remainder_z
      - .offset:         136
        .size:           8
        .value_kind:     hidden_global_offset_x
      - .offset:         144
        .size:           8
        .value_kind:     hidden_global_offset_y
      - .offset:         152
        .size:           8
        .value_kind:     hidden_global_offset_z
      - .offset:         160
        .size:           2
        .value_kind:     hidden_grid_dims
    .group_segment_fixed_size: 41480
    .kernarg_segment_align: 8
    .kernarg_segment_size: 352
    .language:       OpenCL C
    .language_version:
      - 2
      - 0
    .max_flat_workgroup_size: 1024
    .name:           _ZL19rocblas_trsv_deviceILi64ELi16ELb1ELb0ELb0ELb0EddPKdPdEviT7_lllT6_T8_lllPii
    .private_segment_fixed_size: 0
    .sgpr_count:     107
    .sgpr_spill_count: 70
    .symbol:         _ZL19rocblas_trsv_deviceILi64ELi16ELb1ELb0ELb0ELb0EddPKdPdEviT7_lllT6_T8_lllPii.kd
    .uniform_work_group_size: 1
    .uses_dynamic_stack: false
    .vgpr_count:     85
    .vgpr_spill_count: 0
    .wavefront_size: 32
  - .args:
      - .offset:         0
        .size:           4
        .value_kind:     by_value
      - .address_space:  global
        .offset:         8
        .size:           8
        .value_kind:     global_buffer
      - .offset:         16
        .size:           8
        .value_kind:     by_value
      - .offset:         24
        .size:           8
        .value_kind:     by_value
      - .offset:         32
        .size:           8
        .value_kind:     by_value
      - .offset:         40
        .size:           8
        .value_kind:     by_value
      - .address_space:  global
        .offset:         48
        .size:           8
        .value_kind:     global_buffer
      - .offset:         56
        .size:           8
        .value_kind:     by_value
      - .offset:         64
        .size:           8
        .value_kind:     by_value
      - .offset:         72
        .size:           8
        .value_kind:     by_value
      - .address_space:  global
        .offset:         80
        .size:           8
        .value_kind:     global_buffer
      - .offset:         88
        .size:           4
        .value_kind:     by_value
      - .offset:         96
        .size:           4
        .value_kind:     hidden_block_count_x
      - .offset:         100
        .size:           4
        .value_kind:     hidden_block_count_y
      - .offset:         104
        .size:           4
        .value_kind:     hidden_block_count_z
      - .offset:         108
        .size:           2
        .value_kind:     hidden_group_size_x
      - .offset:         110
        .size:           2
        .value_kind:     hidden_group_size_y
      - .offset:         112
        .size:           2
        .value_kind:     hidden_group_size_z
      - .offset:         114
        .size:           2
        .value_kind:     hidden_remainder_x
      - .offset:         116
        .size:           2
        .value_kind:     hidden_remainder_y
      - .offset:         118
        .size:           2
        .value_kind:     hidden_remainder_z
      - .offset:         136
        .size:           8
        .value_kind:     hidden_global_offset_x
      - .offset:         144
        .size:           8
        .value_kind:     hidden_global_offset_y
      - .offset:         152
        .size:           8
        .value_kind:     hidden_global_offset_z
      - .offset:         160
        .size:           2
        .value_kind:     hidden_grid_dims
    .group_segment_fixed_size: 41480
    .kernarg_segment_align: 8
    .kernarg_segment_size: 352
    .language:       OpenCL C
    .language_version:
      - 2
      - 0
    .max_flat_workgroup_size: 1024
    .name:           _ZL19rocblas_trsv_deviceILi64ELi16ELb1ELb1ELb0ELb0EddPKdPdEviT7_lllT6_T8_lllPii
    .private_segment_fixed_size: 0
    .sgpr_count:     107
    .sgpr_spill_count: 67
    .symbol:         _ZL19rocblas_trsv_deviceILi64ELi16ELb1ELb1ELb0ELb0EddPKdPdEviT7_lllT6_T8_lllPii.kd
    .uniform_work_group_size: 1
    .uses_dynamic_stack: false
    .vgpr_count:     99
    .vgpr_spill_count: 0
    .wavefront_size: 32
  - .args:
      - .offset:         0
        .size:           4
        .value_kind:     by_value
      - .address_space:  global
        .offset:         8
        .size:           8
        .value_kind:     global_buffer
      - .offset:         16
        .size:           8
        .value_kind:     by_value
      - .offset:         24
        .size:           8
        .value_kind:     by_value
      - .offset:         32
        .size:           8
        .value_kind:     by_value
      - .offset:         40
        .size:           8
        .value_kind:     by_value
      - .address_space:  global
        .offset:         48
        .size:           8
        .value_kind:     global_buffer
      - .offset:         56
        .size:           8
        .value_kind:     by_value
      - .offset:         64
        .size:           8
        .value_kind:     by_value
      - .offset:         72
        .size:           8
        .value_kind:     by_value
      - .address_space:  global
        .offset:         80
        .size:           8
        .value_kind:     global_buffer
      - .offset:         88
        .size:           4
        .value_kind:     by_value
      - .offset:         96
        .size:           4
        .value_kind:     hidden_block_count_x
      - .offset:         100
        .size:           4
        .value_kind:     hidden_block_count_y
      - .offset:         104
        .size:           4
        .value_kind:     hidden_block_count_z
      - .offset:         108
        .size:           2
        .value_kind:     hidden_group_size_x
      - .offset:         110
        .size:           2
        .value_kind:     hidden_group_size_y
      - .offset:         112
        .size:           2
        .value_kind:     hidden_group_size_z
      - .offset:         114
        .size:           2
        .value_kind:     hidden_remainder_x
      - .offset:         116
        .size:           2
        .value_kind:     hidden_remainder_y
      - .offset:         118
        .size:           2
        .value_kind:     hidden_remainder_z
      - .offset:         136
        .size:           8
        .value_kind:     hidden_global_offset_x
      - .offset:         144
        .size:           8
        .value_kind:     hidden_global_offset_y
      - .offset:         152
        .size:           8
        .value_kind:     hidden_global_offset_z
      - .offset:         160
        .size:           2
        .value_kind:     hidden_grid_dims
    .group_segment_fixed_size: 41480
    .kernarg_segment_align: 8
    .kernarg_segment_size: 352
    .language:       OpenCL C
    .language_version:
      - 2
      - 0
    .max_flat_workgroup_size: 1024
    .name:           _ZL19rocblas_trsv_deviceILi64ELi16ELb1ELb1ELb1ELb0EddPKdPdEviT7_lllT6_T8_lllPii
    .private_segment_fixed_size: 0
    .sgpr_count:     107
    .sgpr_spill_count: 67
    .symbol:         _ZL19rocblas_trsv_deviceILi64ELi16ELb1ELb1ELb1ELb0EddPKdPdEviT7_lllT6_T8_lllPii.kd
    .uniform_work_group_size: 1
    .uses_dynamic_stack: false
    .vgpr_count:     99
    .vgpr_spill_count: 0
    .wavefront_size: 32
  - .args:
      - .offset:         0
        .size:           4
        .value_kind:     by_value
      - .address_space:  global
        .offset:         8
        .size:           8
        .value_kind:     global_buffer
      - .offset:         16
        .size:           8
        .value_kind:     by_value
      - .offset:         24
        .size:           8
        .value_kind:     by_value
      - .offset:         32
        .size:           8
        .value_kind:     by_value
      - .address_space:  global
        .offset:         40
        .size:           8
        .value_kind:     global_buffer
      - .address_space:  global
        .offset:         48
        .size:           8
        .value_kind:     global_buffer
      - .offset:         56
        .size:           8
        .value_kind:     by_value
      - .offset:         64
        .size:           8
        .value_kind:     by_value
      - .offset:         72
        .size:           8
        .value_kind:     by_value
      - .address_space:  global
        .offset:         80
        .size:           8
        .value_kind:     global_buffer
      - .offset:         88
        .size:           4
        .value_kind:     by_value
      - .offset:         96
        .size:           4
        .value_kind:     hidden_block_count_x
      - .offset:         100
        .size:           4
        .value_kind:     hidden_block_count_y
      - .offset:         104
        .size:           4
        .value_kind:     hidden_block_count_z
      - .offset:         108
        .size:           2
        .value_kind:     hidden_group_size_x
      - .offset:         110
        .size:           2
        .value_kind:     hidden_group_size_y
      - .offset:         112
        .size:           2
        .value_kind:     hidden_group_size_z
      - .offset:         114
        .size:           2
        .value_kind:     hidden_remainder_x
      - .offset:         116
        .size:           2
        .value_kind:     hidden_remainder_y
      - .offset:         118
        .size:           2
        .value_kind:     hidden_remainder_z
      - .offset:         136
        .size:           8
        .value_kind:     hidden_global_offset_x
      - .offset:         144
        .size:           8
        .value_kind:     hidden_global_offset_y
      - .offset:         152
        .size:           8
        .value_kind:     hidden_global_offset_z
      - .offset:         160
        .size:           2
        .value_kind:     hidden_grid_dims
    .group_segment_fixed_size: 41480
    .kernarg_segment_align: 8
    .kernarg_segment_size: 352
    .language:       OpenCL C
    .language_version:
      - 2
      - 0
    .max_flat_workgroup_size: 1024
    .name:           _ZL19rocblas_trsv_deviceILi64ELi16ELb0ELb0ELb0ELb1E19rocblas_complex_numIfEPKS1_S3_PS1_EviT7_lllT6_T8_lllPii
    .private_segment_fixed_size: 48
    .sgpr_count:     107
    .sgpr_spill_count: 69
    .symbol:         _ZL19rocblas_trsv_deviceILi64ELi16ELb0ELb0ELb0ELb1E19rocblas_complex_numIfEPKS1_S3_PS1_EviT7_lllT6_T8_lllPii.kd
    .uniform_work_group_size: 1
    .uses_dynamic_stack: false
    .vgpr_count:     89
    .vgpr_spill_count: 0
    .wavefront_size: 32
  - .args:
      - .offset:         0
        .size:           4
        .value_kind:     by_value
      - .address_space:  global
        .offset:         8
        .size:           8
        .value_kind:     global_buffer
      - .offset:         16
        .size:           8
        .value_kind:     by_value
      - .offset:         24
        .size:           8
        .value_kind:     by_value
      - .offset:         32
        .size:           8
        .value_kind:     by_value
      - .address_space:  global
        .offset:         40
        .size:           8
        .value_kind:     global_buffer
      - .address_space:  global
        .offset:         48
        .size:           8
        .value_kind:     global_buffer
      - .offset:         56
        .size:           8
        .value_kind:     by_value
      - .offset:         64
        .size:           8
        .value_kind:     by_value
      - .offset:         72
        .size:           8
        .value_kind:     by_value
      - .address_space:  global
        .offset:         80
        .size:           8
        .value_kind:     global_buffer
      - .offset:         88
        .size:           4
        .value_kind:     by_value
      - .offset:         96
        .size:           4
        .value_kind:     hidden_block_count_x
      - .offset:         100
        .size:           4
        .value_kind:     hidden_block_count_y
      - .offset:         104
        .size:           4
        .value_kind:     hidden_block_count_z
      - .offset:         108
        .size:           2
        .value_kind:     hidden_group_size_x
      - .offset:         110
        .size:           2
        .value_kind:     hidden_group_size_y
      - .offset:         112
        .size:           2
        .value_kind:     hidden_group_size_z
      - .offset:         114
        .size:           2
        .value_kind:     hidden_remainder_x
      - .offset:         116
        .size:           2
        .value_kind:     hidden_remainder_y
      - .offset:         118
        .size:           2
        .value_kind:     hidden_remainder_z
      - .offset:         136
        .size:           8
        .value_kind:     hidden_global_offset_x
      - .offset:         144
        .size:           8
        .value_kind:     hidden_global_offset_y
      - .offset:         152
        .size:           8
        .value_kind:     hidden_global_offset_z
      - .offset:         160
        .size:           2
        .value_kind:     hidden_grid_dims
    .group_segment_fixed_size: 41480
    .kernarg_segment_align: 8
    .kernarg_segment_size: 352
    .language:       OpenCL C
    .language_version:
      - 2
      - 0
    .max_flat_workgroup_size: 1024
    .name:           _ZL19rocblas_trsv_deviceILi64ELi16ELb0ELb1ELb0ELb1E19rocblas_complex_numIfEPKS1_S3_PS1_EviT7_lllT6_T8_lllPii
    .private_segment_fixed_size: 48
    .sgpr_count:     107
    .sgpr_spill_count: 58
    .symbol:         _ZL19rocblas_trsv_deviceILi64ELi16ELb0ELb1ELb0ELb1E19rocblas_complex_numIfEPKS1_S3_PS1_EviT7_lllT6_T8_lllPii.kd
    .uniform_work_group_size: 1
    .uses_dynamic_stack: false
    .vgpr_count:     108
    .vgpr_spill_count: 0
    .wavefront_size: 32
  - .args:
      - .offset:         0
        .size:           4
        .value_kind:     by_value
      - .address_space:  global
        .offset:         8
        .size:           8
        .value_kind:     global_buffer
      - .offset:         16
        .size:           8
        .value_kind:     by_value
      - .offset:         24
        .size:           8
        .value_kind:     by_value
      - .offset:         32
        .size:           8
        .value_kind:     by_value
      - .address_space:  global
        .offset:         40
        .size:           8
        .value_kind:     global_buffer
      - .address_space:  global
        .offset:         48
        .size:           8
        .value_kind:     global_buffer
      - .offset:         56
        .size:           8
        .value_kind:     by_value
      - .offset:         64
        .size:           8
        .value_kind:     by_value
      - .offset:         72
        .size:           8
        .value_kind:     by_value
      - .address_space:  global
        .offset:         80
        .size:           8
        .value_kind:     global_buffer
      - .offset:         88
        .size:           4
        .value_kind:     by_value
      - .offset:         96
        .size:           4
        .value_kind:     hidden_block_count_x
      - .offset:         100
        .size:           4
        .value_kind:     hidden_block_count_y
      - .offset:         104
        .size:           4
        .value_kind:     hidden_block_count_z
      - .offset:         108
        .size:           2
        .value_kind:     hidden_group_size_x
      - .offset:         110
        .size:           2
        .value_kind:     hidden_group_size_y
      - .offset:         112
        .size:           2
        .value_kind:     hidden_group_size_z
      - .offset:         114
        .size:           2
        .value_kind:     hidden_remainder_x
      - .offset:         116
        .size:           2
        .value_kind:     hidden_remainder_y
      - .offset:         118
        .size:           2
        .value_kind:     hidden_remainder_z
      - .offset:         136
        .size:           8
        .value_kind:     hidden_global_offset_x
      - .offset:         144
        .size:           8
        .value_kind:     hidden_global_offset_y
      - .offset:         152
        .size:           8
        .value_kind:     hidden_global_offset_z
      - .offset:         160
        .size:           2
        .value_kind:     hidden_grid_dims
    .group_segment_fixed_size: 41480
    .kernarg_segment_align: 8
    .kernarg_segment_size: 352
    .language:       OpenCL C
    .language_version:
      - 2
      - 0
    .max_flat_workgroup_size: 1024
    .name:           _ZL19rocblas_trsv_deviceILi64ELi16ELb0ELb1ELb1ELb1E19rocblas_complex_numIfEPKS1_S3_PS1_EviT7_lllT6_T8_lllPii
    .private_segment_fixed_size: 0
    .sgpr_count:     107
    .sgpr_spill_count: 58
    .symbol:         _ZL19rocblas_trsv_deviceILi64ELi16ELb0ELb1ELb1ELb1E19rocblas_complex_numIfEPKS1_S3_PS1_EviT7_lllT6_T8_lllPii.kd
    .uniform_work_group_size: 1
    .uses_dynamic_stack: false
    .vgpr_count:     112
    .vgpr_spill_count: 0
    .wavefront_size: 32
  - .args:
      - .offset:         0
        .size:           4
        .value_kind:     by_value
      - .address_space:  global
        .offset:         8
        .size:           8
        .value_kind:     global_buffer
      - .offset:         16
        .size:           8
        .value_kind:     by_value
      - .offset:         24
        .size:           8
        .value_kind:     by_value
      - .offset:         32
        .size:           8
        .value_kind:     by_value
      - .address_space:  global
        .offset:         40
        .size:           8
        .value_kind:     global_buffer
      - .address_space:  global
        .offset:         48
        .size:           8
        .value_kind:     global_buffer
      - .offset:         56
        .size:           8
        .value_kind:     by_value
      - .offset:         64
        .size:           8
        .value_kind:     by_value
      - .offset:         72
        .size:           8
        .value_kind:     by_value
      - .address_space:  global
        .offset:         80
        .size:           8
        .value_kind:     global_buffer
      - .offset:         88
        .size:           4
        .value_kind:     by_value
      - .offset:         96
        .size:           4
        .value_kind:     hidden_block_count_x
      - .offset:         100
        .size:           4
        .value_kind:     hidden_block_count_y
      - .offset:         104
        .size:           4
        .value_kind:     hidden_block_count_z
      - .offset:         108
        .size:           2
        .value_kind:     hidden_group_size_x
      - .offset:         110
        .size:           2
        .value_kind:     hidden_group_size_y
      - .offset:         112
        .size:           2
        .value_kind:     hidden_group_size_z
      - .offset:         114
        .size:           2
        .value_kind:     hidden_remainder_x
      - .offset:         116
        .size:           2
        .value_kind:     hidden_remainder_y
      - .offset:         118
        .size:           2
        .value_kind:     hidden_remainder_z
      - .offset:         136
        .size:           8
        .value_kind:     hidden_global_offset_x
      - .offset:         144
        .size:           8
        .value_kind:     hidden_global_offset_y
      - .offset:         152
        .size:           8
        .value_kind:     hidden_global_offset_z
      - .offset:         160
        .size:           2
        .value_kind:     hidden_grid_dims
    .group_segment_fixed_size: 41480
    .kernarg_segment_align: 8
    .kernarg_segment_size: 352
    .language:       OpenCL C
    .language_version:
      - 2
      - 0
    .max_flat_workgroup_size: 1024
    .name:           _ZL19rocblas_trsv_deviceILi64ELi16ELb0ELb0ELb0ELb0E19rocblas_complex_numIfEPKS1_S3_PS1_EviT7_lllT6_T8_lllPii
    .private_segment_fixed_size: 48
    .sgpr_count:     107
    .sgpr_spill_count: 75
    .symbol:         _ZL19rocblas_trsv_deviceILi64ELi16ELb0ELb0ELb0ELb0E19rocblas_complex_numIfEPKS1_S3_PS1_EviT7_lllT6_T8_lllPii.kd
    .uniform_work_group_size: 1
    .uses_dynamic_stack: false
    .vgpr_count:     87
    .vgpr_spill_count: 0
    .wavefront_size: 32
  - .args:
      - .offset:         0
        .size:           4
        .value_kind:     by_value
      - .address_space:  global
        .offset:         8
        .size:           8
        .value_kind:     global_buffer
      - .offset:         16
        .size:           8
        .value_kind:     by_value
      - .offset:         24
        .size:           8
        .value_kind:     by_value
      - .offset:         32
        .size:           8
        .value_kind:     by_value
      - .address_space:  global
        .offset:         40
        .size:           8
        .value_kind:     global_buffer
      - .address_space:  global
        .offset:         48
        .size:           8
        .value_kind:     global_buffer
      - .offset:         56
        .size:           8
        .value_kind:     by_value
      - .offset:         64
        .size:           8
        .value_kind:     by_value
      - .offset:         72
        .size:           8
        .value_kind:     by_value
      - .address_space:  global
        .offset:         80
        .size:           8
        .value_kind:     global_buffer
      - .offset:         88
        .size:           4
        .value_kind:     by_value
      - .offset:         96
        .size:           4
        .value_kind:     hidden_block_count_x
      - .offset:         100
        .size:           4
        .value_kind:     hidden_block_count_y
      - .offset:         104
        .size:           4
        .value_kind:     hidden_block_count_z
      - .offset:         108
        .size:           2
        .value_kind:     hidden_group_size_x
      - .offset:         110
        .size:           2
        .value_kind:     hidden_group_size_y
      - .offset:         112
        .size:           2
        .value_kind:     hidden_group_size_z
      - .offset:         114
        .size:           2
        .value_kind:     hidden_remainder_x
      - .offset:         116
        .size:           2
        .value_kind:     hidden_remainder_y
      - .offset:         118
        .size:           2
        .value_kind:     hidden_remainder_z
      - .offset:         136
        .size:           8
        .value_kind:     hidden_global_offset_x
      - .offset:         144
        .size:           8
        .value_kind:     hidden_global_offset_y
      - .offset:         152
        .size:           8
        .value_kind:     hidden_global_offset_z
      - .offset:         160
        .size:           2
        .value_kind:     hidden_grid_dims
    .group_segment_fixed_size: 41480
    .kernarg_segment_align: 8
    .kernarg_segment_size: 352
    .language:       OpenCL C
    .language_version:
      - 2
      - 0
    .max_flat_workgroup_size: 1024
    .name:           _ZL19rocblas_trsv_deviceILi64ELi16ELb0ELb1ELb0ELb0E19rocblas_complex_numIfEPKS1_S3_PS1_EviT7_lllT6_T8_lllPii
    .private_segment_fixed_size: 48
    .sgpr_count:     107
    .sgpr_spill_count: 64
    .symbol:         _ZL19rocblas_trsv_deviceILi64ELi16ELb0ELb1ELb0ELb0E19rocblas_complex_numIfEPKS1_S3_PS1_EviT7_lllT6_T8_lllPii.kd
    .uniform_work_group_size: 1
    .uses_dynamic_stack: false
    .vgpr_count:     106
    .vgpr_spill_count: 0
    .wavefront_size: 32
  - .args:
      - .offset:         0
        .size:           4
        .value_kind:     by_value
      - .address_space:  global
        .offset:         8
        .size:           8
        .value_kind:     global_buffer
      - .offset:         16
        .size:           8
        .value_kind:     by_value
      - .offset:         24
        .size:           8
        .value_kind:     by_value
      - .offset:         32
        .size:           8
        .value_kind:     by_value
      - .address_space:  global
        .offset:         40
        .size:           8
        .value_kind:     global_buffer
      - .address_space:  global
        .offset:         48
        .size:           8
        .value_kind:     global_buffer
      - .offset:         56
        .size:           8
        .value_kind:     by_value
      - .offset:         64
        .size:           8
        .value_kind:     by_value
      - .offset:         72
        .size:           8
        .value_kind:     by_value
      - .address_space:  global
        .offset:         80
        .size:           8
        .value_kind:     global_buffer
      - .offset:         88
        .size:           4
        .value_kind:     by_value
      - .offset:         96
        .size:           4
        .value_kind:     hidden_block_count_x
      - .offset:         100
        .size:           4
        .value_kind:     hidden_block_count_y
      - .offset:         104
        .size:           4
        .value_kind:     hidden_block_count_z
      - .offset:         108
        .size:           2
        .value_kind:     hidden_group_size_x
      - .offset:         110
        .size:           2
        .value_kind:     hidden_group_size_y
      - .offset:         112
        .size:           2
        .value_kind:     hidden_group_size_z
      - .offset:         114
        .size:           2
        .value_kind:     hidden_remainder_x
      - .offset:         116
        .size:           2
        .value_kind:     hidden_remainder_y
      - .offset:         118
        .size:           2
        .value_kind:     hidden_remainder_z
      - .offset:         136
        .size:           8
        .value_kind:     hidden_global_offset_x
      - .offset:         144
        .size:           8
        .value_kind:     hidden_global_offset_y
      - .offset:         152
        .size:           8
        .value_kind:     hidden_global_offset_z
      - .offset:         160
        .size:           2
        .value_kind:     hidden_grid_dims
    .group_segment_fixed_size: 41480
    .kernarg_segment_align: 8
    .kernarg_segment_size: 352
    .language:       OpenCL C
    .language_version:
      - 2
      - 0
    .max_flat_workgroup_size: 1024
    .name:           _ZL19rocblas_trsv_deviceILi64ELi16ELb0ELb1ELb1ELb0E19rocblas_complex_numIfEPKS1_S3_PS1_EviT7_lllT6_T8_lllPii
    .private_segment_fixed_size: 0
    .sgpr_count:     107
    .sgpr_spill_count: 64
    .symbol:         _ZL19rocblas_trsv_deviceILi64ELi16ELb0ELb1ELb1ELb0E19rocblas_complex_numIfEPKS1_S3_PS1_EviT7_lllT6_T8_lllPii.kd
    .uniform_work_group_size: 1
    .uses_dynamic_stack: false
    .vgpr_count:     108
    .vgpr_spill_count: 0
    .wavefront_size: 32
  - .args:
      - .offset:         0
        .size:           4
        .value_kind:     by_value
      - .address_space:  global
        .offset:         8
        .size:           8
        .value_kind:     global_buffer
      - .offset:         16
        .size:           8
        .value_kind:     by_value
      - .offset:         24
        .size:           8
        .value_kind:     by_value
      - .offset:         32
        .size:           8
        .value_kind:     by_value
      - .address_space:  global
        .offset:         40
        .size:           8
        .value_kind:     global_buffer
      - .address_space:  global
        .offset:         48
        .size:           8
        .value_kind:     global_buffer
      - .offset:         56
        .size:           8
        .value_kind:     by_value
      - .offset:         64
        .size:           8
        .value_kind:     by_value
      - .offset:         72
        .size:           8
        .value_kind:     by_value
      - .address_space:  global
        .offset:         80
        .size:           8
        .value_kind:     global_buffer
      - .offset:         88
        .size:           4
        .value_kind:     by_value
      - .offset:         96
        .size:           4
        .value_kind:     hidden_block_count_x
      - .offset:         100
        .size:           4
        .value_kind:     hidden_block_count_y
      - .offset:         104
        .size:           4
        .value_kind:     hidden_block_count_z
      - .offset:         108
        .size:           2
        .value_kind:     hidden_group_size_x
      - .offset:         110
        .size:           2
        .value_kind:     hidden_group_size_y
      - .offset:         112
        .size:           2
        .value_kind:     hidden_group_size_z
      - .offset:         114
        .size:           2
        .value_kind:     hidden_remainder_x
      - .offset:         116
        .size:           2
        .value_kind:     hidden_remainder_y
      - .offset:         118
        .size:           2
        .value_kind:     hidden_remainder_z
      - .offset:         136
        .size:           8
        .value_kind:     hidden_global_offset_x
      - .offset:         144
        .size:           8
        .value_kind:     hidden_global_offset_y
      - .offset:         152
        .size:           8
        .value_kind:     hidden_global_offset_z
      - .offset:         160
        .size:           2
        .value_kind:     hidden_grid_dims
    .group_segment_fixed_size: 41480
    .kernarg_segment_align: 8
    .kernarg_segment_size: 352
    .language:       OpenCL C
    .language_version:
      - 2
      - 0
    .max_flat_workgroup_size: 1024
    .name:           _ZL19rocblas_trsv_deviceILi64ELi16ELb1ELb0ELb0ELb1E19rocblas_complex_numIfEPKS1_S3_PS1_EviT7_lllT6_T8_lllPii
    .private_segment_fixed_size: 48
    .sgpr_count:     107
    .sgpr_spill_count: 65
    .symbol:         _ZL19rocblas_trsv_deviceILi64ELi16ELb1ELb0ELb0ELb1E19rocblas_complex_numIfEPKS1_S3_PS1_EviT7_lllT6_T8_lllPii.kd
    .uniform_work_group_size: 1
    .uses_dynamic_stack: false
    .vgpr_count:     93
    .vgpr_spill_count: 0
    .wavefront_size: 32
  - .args:
      - .offset:         0
        .size:           4
        .value_kind:     by_value
      - .address_space:  global
        .offset:         8
        .size:           8
        .value_kind:     global_buffer
      - .offset:         16
        .size:           8
        .value_kind:     by_value
      - .offset:         24
        .size:           8
        .value_kind:     by_value
      - .offset:         32
        .size:           8
        .value_kind:     by_value
      - .address_space:  global
        .offset:         40
        .size:           8
        .value_kind:     global_buffer
      - .address_space:  global
        .offset:         48
        .size:           8
        .value_kind:     global_buffer
      - .offset:         56
        .size:           8
        .value_kind:     by_value
      - .offset:         64
        .size:           8
        .value_kind:     by_value
      - .offset:         72
        .size:           8
        .value_kind:     by_value
      - .address_space:  global
        .offset:         80
        .size:           8
        .value_kind:     global_buffer
      - .offset:         88
        .size:           4
        .value_kind:     by_value
      - .offset:         96
        .size:           4
        .value_kind:     hidden_block_count_x
      - .offset:         100
        .size:           4
        .value_kind:     hidden_block_count_y
      - .offset:         104
        .size:           4
        .value_kind:     hidden_block_count_z
      - .offset:         108
        .size:           2
        .value_kind:     hidden_group_size_x
      - .offset:         110
        .size:           2
        .value_kind:     hidden_group_size_y
      - .offset:         112
        .size:           2
        .value_kind:     hidden_group_size_z
      - .offset:         114
        .size:           2
        .value_kind:     hidden_remainder_x
      - .offset:         116
        .size:           2
        .value_kind:     hidden_remainder_y
      - .offset:         118
        .size:           2
        .value_kind:     hidden_remainder_z
      - .offset:         136
        .size:           8
        .value_kind:     hidden_global_offset_x
      - .offset:         144
        .size:           8
        .value_kind:     hidden_global_offset_y
      - .offset:         152
        .size:           8
        .value_kind:     hidden_global_offset_z
      - .offset:         160
        .size:           2
        .value_kind:     hidden_grid_dims
    .group_segment_fixed_size: 41480
    .kernarg_segment_align: 8
    .kernarg_segment_size: 352
    .language:       OpenCL C
    .language_version:
      - 2
      - 0
    .max_flat_workgroup_size: 1024
    .name:           _ZL19rocblas_trsv_deviceILi64ELi16ELb1ELb1ELb0ELb1E19rocblas_complex_numIfEPKS1_S3_PS1_EviT7_lllT6_T8_lllPii
    .private_segment_fixed_size: 48
    .sgpr_count:     107
    .sgpr_spill_count: 62
    .symbol:         _ZL19rocblas_trsv_deviceILi64ELi16ELb1ELb1ELb0ELb1E19rocblas_complex_numIfEPKS1_S3_PS1_EviT7_lllT6_T8_lllPii.kd
    .uniform_work_group_size: 1
    .uses_dynamic_stack: false
    .vgpr_count:     106
    .vgpr_spill_count: 0
    .wavefront_size: 32
  - .args:
      - .offset:         0
        .size:           4
        .value_kind:     by_value
      - .address_space:  global
        .offset:         8
        .size:           8
        .value_kind:     global_buffer
      - .offset:         16
        .size:           8
        .value_kind:     by_value
      - .offset:         24
        .size:           8
        .value_kind:     by_value
      - .offset:         32
        .size:           8
        .value_kind:     by_value
      - .address_space:  global
        .offset:         40
        .size:           8
        .value_kind:     global_buffer
      - .address_space:  global
        .offset:         48
        .size:           8
        .value_kind:     global_buffer
      - .offset:         56
        .size:           8
        .value_kind:     by_value
      - .offset:         64
        .size:           8
        .value_kind:     by_value
      - .offset:         72
        .size:           8
        .value_kind:     by_value
      - .address_space:  global
        .offset:         80
        .size:           8
        .value_kind:     global_buffer
      - .offset:         88
        .size:           4
        .value_kind:     by_value
      - .offset:         96
        .size:           4
        .value_kind:     hidden_block_count_x
      - .offset:         100
        .size:           4
        .value_kind:     hidden_block_count_y
      - .offset:         104
        .size:           4
        .value_kind:     hidden_block_count_z
      - .offset:         108
        .size:           2
        .value_kind:     hidden_group_size_x
      - .offset:         110
        .size:           2
        .value_kind:     hidden_group_size_y
      - .offset:         112
        .size:           2
        .value_kind:     hidden_group_size_z
      - .offset:         114
        .size:           2
        .value_kind:     hidden_remainder_x
      - .offset:         116
        .size:           2
        .value_kind:     hidden_remainder_y
      - .offset:         118
        .size:           2
        .value_kind:     hidden_remainder_z
      - .offset:         136
        .size:           8
        .value_kind:     hidden_global_offset_x
      - .offset:         144
        .size:           8
        .value_kind:     hidden_global_offset_y
      - .offset:         152
        .size:           8
        .value_kind:     hidden_global_offset_z
      - .offset:         160
        .size:           2
        .value_kind:     hidden_grid_dims
    .group_segment_fixed_size: 41480
    .kernarg_segment_align: 8
    .kernarg_segment_size: 352
    .language:       OpenCL C
    .language_version:
      - 2
      - 0
    .max_flat_workgroup_size: 1024
    .name:           _ZL19rocblas_trsv_deviceILi64ELi16ELb1ELb1ELb1ELb1E19rocblas_complex_numIfEPKS1_S3_PS1_EviT7_lllT6_T8_lllPii
    .private_segment_fixed_size: 0
    .sgpr_count:     107
    .sgpr_spill_count: 62
    .symbol:         _ZL19rocblas_trsv_deviceILi64ELi16ELb1ELb1ELb1ELb1E19rocblas_complex_numIfEPKS1_S3_PS1_EviT7_lllT6_T8_lllPii.kd
    .uniform_work_group_size: 1
    .uses_dynamic_stack: false
    .vgpr_count:     107
    .vgpr_spill_count: 0
    .wavefront_size: 32
  - .args:
      - .offset:         0
        .size:           4
        .value_kind:     by_value
      - .address_space:  global
        .offset:         8
        .size:           8
        .value_kind:     global_buffer
      - .offset:         16
        .size:           8
        .value_kind:     by_value
      - .offset:         24
        .size:           8
        .value_kind:     by_value
      - .offset:         32
        .size:           8
        .value_kind:     by_value
      - .address_space:  global
        .offset:         40
        .size:           8
        .value_kind:     global_buffer
      - .address_space:  global
        .offset:         48
        .size:           8
        .value_kind:     global_buffer
      - .offset:         56
        .size:           8
        .value_kind:     by_value
      - .offset:         64
        .size:           8
        .value_kind:     by_value
      - .offset:         72
        .size:           8
        .value_kind:     by_value
      - .address_space:  global
        .offset:         80
        .size:           8
        .value_kind:     global_buffer
      - .offset:         88
        .size:           4
        .value_kind:     by_value
      - .offset:         96
        .size:           4
        .value_kind:     hidden_block_count_x
      - .offset:         100
        .size:           4
        .value_kind:     hidden_block_count_y
      - .offset:         104
        .size:           4
        .value_kind:     hidden_block_count_z
      - .offset:         108
        .size:           2
        .value_kind:     hidden_group_size_x
      - .offset:         110
        .size:           2
        .value_kind:     hidden_group_size_y
      - .offset:         112
        .size:           2
        .value_kind:     hidden_group_size_z
      - .offset:         114
        .size:           2
        .value_kind:     hidden_remainder_x
      - .offset:         116
        .size:           2
        .value_kind:     hidden_remainder_y
      - .offset:         118
        .size:           2
        .value_kind:     hidden_remainder_z
      - .offset:         136
        .size:           8
        .value_kind:     hidden_global_offset_x
      - .offset:         144
        .size:           8
        .value_kind:     hidden_global_offset_y
      - .offset:         152
        .size:           8
        .value_kind:     hidden_global_offset_z
      - .offset:         160
        .size:           2
        .value_kind:     hidden_grid_dims
    .group_segment_fixed_size: 41480
    .kernarg_segment_align: 8
    .kernarg_segment_size: 352
    .language:       OpenCL C
    .language_version:
      - 2
      - 0
    .max_flat_workgroup_size: 1024
    .name:           _ZL19rocblas_trsv_deviceILi64ELi16ELb1ELb0ELb0ELb0E19rocblas_complex_numIfEPKS1_S3_PS1_EviT7_lllT6_T8_lllPii
    .private_segment_fixed_size: 48
    .sgpr_count:     107
    .sgpr_spill_count: 71
    .symbol:         _ZL19rocblas_trsv_deviceILi64ELi16ELb1ELb0ELb0ELb0E19rocblas_complex_numIfEPKS1_S3_PS1_EviT7_lllT6_T8_lllPii.kd
    .uniform_work_group_size: 1
    .uses_dynamic_stack: false
    .vgpr_count:     91
    .vgpr_spill_count: 0
    .wavefront_size: 32
  - .args:
      - .offset:         0
        .size:           4
        .value_kind:     by_value
      - .address_space:  global
        .offset:         8
        .size:           8
        .value_kind:     global_buffer
      - .offset:         16
        .size:           8
        .value_kind:     by_value
      - .offset:         24
        .size:           8
        .value_kind:     by_value
      - .offset:         32
        .size:           8
        .value_kind:     by_value
      - .address_space:  global
        .offset:         40
        .size:           8
        .value_kind:     global_buffer
      - .address_space:  global
        .offset:         48
        .size:           8
        .value_kind:     global_buffer
      - .offset:         56
        .size:           8
        .value_kind:     by_value
      - .offset:         64
        .size:           8
        .value_kind:     by_value
      - .offset:         72
        .size:           8
        .value_kind:     by_value
      - .address_space:  global
        .offset:         80
        .size:           8
        .value_kind:     global_buffer
      - .offset:         88
        .size:           4
        .value_kind:     by_value
      - .offset:         96
        .size:           4
        .value_kind:     hidden_block_count_x
      - .offset:         100
        .size:           4
        .value_kind:     hidden_block_count_y
      - .offset:         104
        .size:           4
        .value_kind:     hidden_block_count_z
      - .offset:         108
        .size:           2
        .value_kind:     hidden_group_size_x
      - .offset:         110
        .size:           2
        .value_kind:     hidden_group_size_y
      - .offset:         112
        .size:           2
        .value_kind:     hidden_group_size_z
      - .offset:         114
        .size:           2
        .value_kind:     hidden_remainder_x
      - .offset:         116
        .size:           2
        .value_kind:     hidden_remainder_y
      - .offset:         118
        .size:           2
        .value_kind:     hidden_remainder_z
      - .offset:         136
        .size:           8
        .value_kind:     hidden_global_offset_x
      - .offset:         144
        .size:           8
        .value_kind:     hidden_global_offset_y
      - .offset:         152
        .size:           8
        .value_kind:     hidden_global_offset_z
      - .offset:         160
        .size:           2
        .value_kind:     hidden_grid_dims
    .group_segment_fixed_size: 41480
    .kernarg_segment_align: 8
    .kernarg_segment_size: 352
    .language:       OpenCL C
    .language_version:
      - 2
      - 0
    .max_flat_workgroup_size: 1024
    .name:           _ZL19rocblas_trsv_deviceILi64ELi16ELb1ELb1ELb0ELb0E19rocblas_complex_numIfEPKS1_S3_PS1_EviT7_lllT6_T8_lllPii
    .private_segment_fixed_size: 48
    .sgpr_count:     107
    .sgpr_spill_count: 68
    .symbol:         _ZL19rocblas_trsv_deviceILi64ELi16ELb1ELb1ELb0ELb0E19rocblas_complex_numIfEPKS1_S3_PS1_EviT7_lllT6_T8_lllPii.kd
    .uniform_work_group_size: 1
    .uses_dynamic_stack: false
    .vgpr_count:     105
    .vgpr_spill_count: 0
    .wavefront_size: 32
  - .args:
      - .offset:         0
        .size:           4
        .value_kind:     by_value
      - .address_space:  global
        .offset:         8
        .size:           8
        .value_kind:     global_buffer
      - .offset:         16
        .size:           8
        .value_kind:     by_value
      - .offset:         24
        .size:           8
        .value_kind:     by_value
      - .offset:         32
        .size:           8
        .value_kind:     by_value
      - .address_space:  global
        .offset:         40
        .size:           8
        .value_kind:     global_buffer
      - .address_space:  global
        .offset:         48
        .size:           8
        .value_kind:     global_buffer
      - .offset:         56
        .size:           8
        .value_kind:     by_value
      - .offset:         64
        .size:           8
        .value_kind:     by_value
      - .offset:         72
        .size:           8
        .value_kind:     by_value
      - .address_space:  global
        .offset:         80
        .size:           8
        .value_kind:     global_buffer
      - .offset:         88
        .size:           4
        .value_kind:     by_value
      - .offset:         96
        .size:           4
        .value_kind:     hidden_block_count_x
      - .offset:         100
        .size:           4
        .value_kind:     hidden_block_count_y
      - .offset:         104
        .size:           4
        .value_kind:     hidden_block_count_z
      - .offset:         108
        .size:           2
        .value_kind:     hidden_group_size_x
      - .offset:         110
        .size:           2
        .value_kind:     hidden_group_size_y
      - .offset:         112
        .size:           2
        .value_kind:     hidden_group_size_z
      - .offset:         114
        .size:           2
        .value_kind:     hidden_remainder_x
      - .offset:         116
        .size:           2
        .value_kind:     hidden_remainder_y
      - .offset:         118
        .size:           2
        .value_kind:     hidden_remainder_z
      - .offset:         136
        .size:           8
        .value_kind:     hidden_global_offset_x
      - .offset:         144
        .size:           8
        .value_kind:     hidden_global_offset_y
      - .offset:         152
        .size:           8
        .value_kind:     hidden_global_offset_z
      - .offset:         160
        .size:           2
        .value_kind:     hidden_grid_dims
    .group_segment_fixed_size: 41480
    .kernarg_segment_align: 8
    .kernarg_segment_size: 352
    .language:       OpenCL C
    .language_version:
      - 2
      - 0
    .max_flat_workgroup_size: 1024
    .name:           _ZL19rocblas_trsv_deviceILi64ELi16ELb1ELb1ELb1ELb0E19rocblas_complex_numIfEPKS1_S3_PS1_EviT7_lllT6_T8_lllPii
    .private_segment_fixed_size: 0
    .sgpr_count:     107
    .sgpr_spill_count: 68
    .symbol:         _ZL19rocblas_trsv_deviceILi64ELi16ELb1ELb1ELb1ELb0E19rocblas_complex_numIfEPKS1_S3_PS1_EviT7_lllT6_T8_lllPii.kd
    .uniform_work_group_size: 1
    .uses_dynamic_stack: false
    .vgpr_count:     107
    .vgpr_spill_count: 0
    .wavefront_size: 32
  - .args:
      - .offset:         0
        .size:           4
        .value_kind:     by_value
      - .address_space:  global
        .offset:         8
        .size:           8
        .value_kind:     global_buffer
      - .offset:         16
        .size:           8
        .value_kind:     by_value
      - .offset:         24
        .size:           8
        .value_kind:     by_value
      - .offset:         32
        .size:           8
        .value_kind:     by_value
      - .offset:         40
        .size:           8
        .value_kind:     by_value
      - .address_space:  global
        .offset:         48
        .size:           8
        .value_kind:     global_buffer
      - .offset:         56
        .size:           8
        .value_kind:     by_value
      - .offset:         64
        .size:           8
        .value_kind:     by_value
      - .offset:         72
        .size:           8
        .value_kind:     by_value
      - .address_space:  global
        .offset:         80
        .size:           8
        .value_kind:     global_buffer
      - .offset:         88
        .size:           4
        .value_kind:     by_value
      - .offset:         96
        .size:           4
        .value_kind:     hidden_block_count_x
      - .offset:         100
        .size:           4
        .value_kind:     hidden_block_count_y
      - .offset:         104
        .size:           4
        .value_kind:     hidden_block_count_z
      - .offset:         108
        .size:           2
        .value_kind:     hidden_group_size_x
      - .offset:         110
        .size:           2
        .value_kind:     hidden_group_size_y
      - .offset:         112
        .size:           2
        .value_kind:     hidden_group_size_z
      - .offset:         114
        .size:           2
        .value_kind:     hidden_remainder_x
      - .offset:         116
        .size:           2
        .value_kind:     hidden_remainder_y
      - .offset:         118
        .size:           2
        .value_kind:     hidden_remainder_z
      - .offset:         136
        .size:           8
        .value_kind:     hidden_global_offset_x
      - .offset:         144
        .size:           8
        .value_kind:     hidden_global_offset_y
      - .offset:         152
        .size:           8
        .value_kind:     hidden_global_offset_z
      - .offset:         160
        .size:           2
        .value_kind:     hidden_grid_dims
    .group_segment_fixed_size: 41480
    .kernarg_segment_align: 8
    .kernarg_segment_size: 352
    .language:       OpenCL C
    .language_version:
      - 2
      - 0
    .max_flat_workgroup_size: 1024
    .name:           _ZL19rocblas_trsv_deviceILi64ELi16ELb0ELb0ELb0ELb1E19rocblas_complex_numIfES1_PKS1_PS1_EviT7_lllT6_T8_lllPii
    .private_segment_fixed_size: 48
    .sgpr_count:     107
    .sgpr_spill_count: 71
    .symbol:         _ZL19rocblas_trsv_deviceILi64ELi16ELb0ELb0ELb0ELb1E19rocblas_complex_numIfES1_PKS1_PS1_EviT7_lllT6_T8_lllPii.kd
    .uniform_work_group_size: 1
    .uses_dynamic_stack: false
    .vgpr_count:     89
    .vgpr_spill_count: 0
    .wavefront_size: 32
  - .args:
      - .offset:         0
        .size:           4
        .value_kind:     by_value
      - .address_space:  global
        .offset:         8
        .size:           8
        .value_kind:     global_buffer
      - .offset:         16
        .size:           8
        .value_kind:     by_value
      - .offset:         24
        .size:           8
        .value_kind:     by_value
      - .offset:         32
        .size:           8
        .value_kind:     by_value
      - .offset:         40
        .size:           8
        .value_kind:     by_value
      - .address_space:  global
        .offset:         48
        .size:           8
        .value_kind:     global_buffer
      - .offset:         56
        .size:           8
        .value_kind:     by_value
      - .offset:         64
        .size:           8
        .value_kind:     by_value
      - .offset:         72
        .size:           8
        .value_kind:     by_value
      - .address_space:  global
        .offset:         80
        .size:           8
        .value_kind:     global_buffer
      - .offset:         88
        .size:           4
        .value_kind:     by_value
      - .offset:         96
        .size:           4
        .value_kind:     hidden_block_count_x
      - .offset:         100
        .size:           4
        .value_kind:     hidden_block_count_y
      - .offset:         104
        .size:           4
        .value_kind:     hidden_block_count_z
      - .offset:         108
        .size:           2
        .value_kind:     hidden_group_size_x
      - .offset:         110
        .size:           2
        .value_kind:     hidden_group_size_y
      - .offset:         112
        .size:           2
        .value_kind:     hidden_group_size_z
      - .offset:         114
        .size:           2
        .value_kind:     hidden_remainder_x
      - .offset:         116
        .size:           2
        .value_kind:     hidden_remainder_y
      - .offset:         118
        .size:           2
        .value_kind:     hidden_remainder_z
      - .offset:         136
        .size:           8
        .value_kind:     hidden_global_offset_x
      - .offset:         144
        .size:           8
        .value_kind:     hidden_global_offset_y
      - .offset:         152
        .size:           8
        .value_kind:     hidden_global_offset_z
      - .offset:         160
        .size:           2
        .value_kind:     hidden_grid_dims
    .group_segment_fixed_size: 41480
    .kernarg_segment_align: 8
    .kernarg_segment_size: 352
    .language:       OpenCL C
    .language_version:
      - 2
      - 0
    .max_flat_workgroup_size: 1024
    .name:           _ZL19rocblas_trsv_deviceILi64ELi16ELb0ELb1ELb0ELb1E19rocblas_complex_numIfES1_PKS1_PS1_EviT7_lllT6_T8_lllPii
    .private_segment_fixed_size: 48
    .sgpr_count:     107
    .sgpr_spill_count: 60
    .symbol:         _ZL19rocblas_trsv_deviceILi64ELi16ELb0ELb1ELb0ELb1E19rocblas_complex_numIfES1_PKS1_PS1_EviT7_lllT6_T8_lllPii.kd
    .uniform_work_group_size: 1
    .uses_dynamic_stack: false
    .vgpr_count:     107
    .vgpr_spill_count: 0
    .wavefront_size: 32
  - .args:
      - .offset:         0
        .size:           4
        .value_kind:     by_value
      - .address_space:  global
        .offset:         8
        .size:           8
        .value_kind:     global_buffer
      - .offset:         16
        .size:           8
        .value_kind:     by_value
      - .offset:         24
        .size:           8
        .value_kind:     by_value
      - .offset:         32
        .size:           8
        .value_kind:     by_value
      - .offset:         40
        .size:           8
        .value_kind:     by_value
      - .address_space:  global
        .offset:         48
        .size:           8
        .value_kind:     global_buffer
      - .offset:         56
        .size:           8
        .value_kind:     by_value
      - .offset:         64
        .size:           8
        .value_kind:     by_value
      - .offset:         72
        .size:           8
        .value_kind:     by_value
      - .address_space:  global
        .offset:         80
        .size:           8
        .value_kind:     global_buffer
      - .offset:         88
        .size:           4
        .value_kind:     by_value
      - .offset:         96
        .size:           4
        .value_kind:     hidden_block_count_x
      - .offset:         100
        .size:           4
        .value_kind:     hidden_block_count_y
      - .offset:         104
        .size:           4
        .value_kind:     hidden_block_count_z
      - .offset:         108
        .size:           2
        .value_kind:     hidden_group_size_x
      - .offset:         110
        .size:           2
        .value_kind:     hidden_group_size_y
      - .offset:         112
        .size:           2
        .value_kind:     hidden_group_size_z
      - .offset:         114
        .size:           2
        .value_kind:     hidden_remainder_x
      - .offset:         116
        .size:           2
        .value_kind:     hidden_remainder_y
      - .offset:         118
        .size:           2
        .value_kind:     hidden_remainder_z
      - .offset:         136
        .size:           8
        .value_kind:     hidden_global_offset_x
      - .offset:         144
        .size:           8
        .value_kind:     hidden_global_offset_y
      - .offset:         152
        .size:           8
        .value_kind:     hidden_global_offset_z
      - .offset:         160
        .size:           2
        .value_kind:     hidden_grid_dims
    .group_segment_fixed_size: 41480
    .kernarg_segment_align: 8
    .kernarg_segment_size: 352
    .language:       OpenCL C
    .language_version:
      - 2
      - 0
    .max_flat_workgroup_size: 1024
    .name:           _ZL19rocblas_trsv_deviceILi64ELi16ELb0ELb1ELb1ELb1E19rocblas_complex_numIfES1_PKS1_PS1_EviT7_lllT6_T8_lllPii
    .private_segment_fixed_size: 0
    .sgpr_count:     107
    .sgpr_spill_count: 60
    .symbol:         _ZL19rocblas_trsv_deviceILi64ELi16ELb0ELb1ELb1ELb1E19rocblas_complex_numIfES1_PKS1_PS1_EviT7_lllT6_T8_lllPii.kd
    .uniform_work_group_size: 1
    .uses_dynamic_stack: false
    .vgpr_count:     108
    .vgpr_spill_count: 0
    .wavefront_size: 32
  - .args:
      - .offset:         0
        .size:           4
        .value_kind:     by_value
      - .address_space:  global
        .offset:         8
        .size:           8
        .value_kind:     global_buffer
      - .offset:         16
        .size:           8
        .value_kind:     by_value
      - .offset:         24
        .size:           8
        .value_kind:     by_value
      - .offset:         32
        .size:           8
        .value_kind:     by_value
      - .offset:         40
        .size:           8
        .value_kind:     by_value
      - .address_space:  global
        .offset:         48
        .size:           8
        .value_kind:     global_buffer
      - .offset:         56
        .size:           8
        .value_kind:     by_value
      - .offset:         64
        .size:           8
        .value_kind:     by_value
      - .offset:         72
        .size:           8
        .value_kind:     by_value
      - .address_space:  global
        .offset:         80
        .size:           8
        .value_kind:     global_buffer
      - .offset:         88
        .size:           4
        .value_kind:     by_value
      - .offset:         96
        .size:           4
        .value_kind:     hidden_block_count_x
      - .offset:         100
        .size:           4
        .value_kind:     hidden_block_count_y
      - .offset:         104
        .size:           4
        .value_kind:     hidden_block_count_z
      - .offset:         108
        .size:           2
        .value_kind:     hidden_group_size_x
      - .offset:         110
        .size:           2
        .value_kind:     hidden_group_size_y
      - .offset:         112
        .size:           2
        .value_kind:     hidden_group_size_z
      - .offset:         114
        .size:           2
        .value_kind:     hidden_remainder_x
      - .offset:         116
        .size:           2
        .value_kind:     hidden_remainder_y
      - .offset:         118
        .size:           2
        .value_kind:     hidden_remainder_z
      - .offset:         136
        .size:           8
        .value_kind:     hidden_global_offset_x
      - .offset:         144
        .size:           8
        .value_kind:     hidden_global_offset_y
      - .offset:         152
        .size:           8
        .value_kind:     hidden_global_offset_z
      - .offset:         160
        .size:           2
        .value_kind:     hidden_grid_dims
    .group_segment_fixed_size: 41480
    .kernarg_segment_align: 8
    .kernarg_segment_size: 352
    .language:       OpenCL C
    .language_version:
      - 2
      - 0
    .max_flat_workgroup_size: 1024
    .name:           _ZL19rocblas_trsv_deviceILi64ELi16ELb0ELb0ELb0ELb0E19rocblas_complex_numIfES1_PKS1_PS1_EviT7_lllT6_T8_lllPii
    .private_segment_fixed_size: 48
    .sgpr_count:     107
    .sgpr_spill_count: 77
    .symbol:         _ZL19rocblas_trsv_deviceILi64ELi16ELb0ELb0ELb0ELb0E19rocblas_complex_numIfES1_PKS1_PS1_EviT7_lllT6_T8_lllPii.kd
    .uniform_work_group_size: 1
    .uses_dynamic_stack: false
    .vgpr_count:     87
    .vgpr_spill_count: 0
    .wavefront_size: 32
  - .args:
      - .offset:         0
        .size:           4
        .value_kind:     by_value
      - .address_space:  global
        .offset:         8
        .size:           8
        .value_kind:     global_buffer
      - .offset:         16
        .size:           8
        .value_kind:     by_value
      - .offset:         24
        .size:           8
        .value_kind:     by_value
      - .offset:         32
        .size:           8
        .value_kind:     by_value
      - .offset:         40
        .size:           8
        .value_kind:     by_value
      - .address_space:  global
        .offset:         48
        .size:           8
        .value_kind:     global_buffer
      - .offset:         56
        .size:           8
        .value_kind:     by_value
      - .offset:         64
        .size:           8
        .value_kind:     by_value
      - .offset:         72
        .size:           8
        .value_kind:     by_value
      - .address_space:  global
        .offset:         80
        .size:           8
        .value_kind:     global_buffer
      - .offset:         88
        .size:           4
        .value_kind:     by_value
      - .offset:         96
        .size:           4
        .value_kind:     hidden_block_count_x
      - .offset:         100
        .size:           4
        .value_kind:     hidden_block_count_y
      - .offset:         104
        .size:           4
        .value_kind:     hidden_block_count_z
      - .offset:         108
        .size:           2
        .value_kind:     hidden_group_size_x
      - .offset:         110
        .size:           2
        .value_kind:     hidden_group_size_y
      - .offset:         112
        .size:           2
        .value_kind:     hidden_group_size_z
      - .offset:         114
        .size:           2
        .value_kind:     hidden_remainder_x
      - .offset:         116
        .size:           2
        .value_kind:     hidden_remainder_y
      - .offset:         118
        .size:           2
        .value_kind:     hidden_remainder_z
      - .offset:         136
        .size:           8
        .value_kind:     hidden_global_offset_x
      - .offset:         144
        .size:           8
        .value_kind:     hidden_global_offset_y
      - .offset:         152
        .size:           8
        .value_kind:     hidden_global_offset_z
      - .offset:         160
        .size:           2
        .value_kind:     hidden_grid_dims
    .group_segment_fixed_size: 41480
    .kernarg_segment_align: 8
    .kernarg_segment_size: 352
    .language:       OpenCL C
    .language_version:
      - 2
      - 0
    .max_flat_workgroup_size: 1024
    .name:           _ZL19rocblas_trsv_deviceILi64ELi16ELb0ELb1ELb0ELb0E19rocblas_complex_numIfES1_PKS1_PS1_EviT7_lllT6_T8_lllPii
    .private_segment_fixed_size: 48
    .sgpr_count:     107
    .sgpr_spill_count: 66
    .symbol:         _ZL19rocblas_trsv_deviceILi64ELi16ELb0ELb1ELb0ELb0E19rocblas_complex_numIfES1_PKS1_PS1_EviT7_lllT6_T8_lllPii.kd
    .uniform_work_group_size: 1
    .uses_dynamic_stack: false
    .vgpr_count:     105
    .vgpr_spill_count: 0
    .wavefront_size: 32
  - .args:
      - .offset:         0
        .size:           4
        .value_kind:     by_value
      - .address_space:  global
        .offset:         8
        .size:           8
        .value_kind:     global_buffer
      - .offset:         16
        .size:           8
        .value_kind:     by_value
      - .offset:         24
        .size:           8
        .value_kind:     by_value
      - .offset:         32
        .size:           8
        .value_kind:     by_value
      - .offset:         40
        .size:           8
        .value_kind:     by_value
      - .address_space:  global
        .offset:         48
        .size:           8
        .value_kind:     global_buffer
      - .offset:         56
        .size:           8
        .value_kind:     by_value
      - .offset:         64
        .size:           8
        .value_kind:     by_value
      - .offset:         72
        .size:           8
        .value_kind:     by_value
      - .address_space:  global
        .offset:         80
        .size:           8
        .value_kind:     global_buffer
      - .offset:         88
        .size:           4
        .value_kind:     by_value
      - .offset:         96
        .size:           4
        .value_kind:     hidden_block_count_x
      - .offset:         100
        .size:           4
        .value_kind:     hidden_block_count_y
      - .offset:         104
        .size:           4
        .value_kind:     hidden_block_count_z
      - .offset:         108
        .size:           2
        .value_kind:     hidden_group_size_x
      - .offset:         110
        .size:           2
        .value_kind:     hidden_group_size_y
      - .offset:         112
        .size:           2
        .value_kind:     hidden_group_size_z
      - .offset:         114
        .size:           2
        .value_kind:     hidden_remainder_x
      - .offset:         116
        .size:           2
        .value_kind:     hidden_remainder_y
      - .offset:         118
        .size:           2
        .value_kind:     hidden_remainder_z
      - .offset:         136
        .size:           8
        .value_kind:     hidden_global_offset_x
      - .offset:         144
        .size:           8
        .value_kind:     hidden_global_offset_y
      - .offset:         152
        .size:           8
        .value_kind:     hidden_global_offset_z
      - .offset:         160
        .size:           2
        .value_kind:     hidden_grid_dims
    .group_segment_fixed_size: 41480
    .kernarg_segment_align: 8
    .kernarg_segment_size: 352
    .language:       OpenCL C
    .language_version:
      - 2
      - 0
    .max_flat_workgroup_size: 1024
    .name:           _ZL19rocblas_trsv_deviceILi64ELi16ELb0ELb1ELb1ELb0E19rocblas_complex_numIfES1_PKS1_PS1_EviT7_lllT6_T8_lllPii
    .private_segment_fixed_size: 0
    .sgpr_count:     107
    .sgpr_spill_count: 66
    .symbol:         _ZL19rocblas_trsv_deviceILi64ELi16ELb0ELb1ELb1ELb0E19rocblas_complex_numIfES1_PKS1_PS1_EviT7_lllT6_T8_lllPii.kd
    .uniform_work_group_size: 1
    .uses_dynamic_stack: false
    .vgpr_count:     105
    .vgpr_spill_count: 0
    .wavefront_size: 32
  - .args:
      - .offset:         0
        .size:           4
        .value_kind:     by_value
      - .address_space:  global
        .offset:         8
        .size:           8
        .value_kind:     global_buffer
      - .offset:         16
        .size:           8
        .value_kind:     by_value
      - .offset:         24
        .size:           8
        .value_kind:     by_value
      - .offset:         32
        .size:           8
        .value_kind:     by_value
      - .offset:         40
        .size:           8
        .value_kind:     by_value
      - .address_space:  global
        .offset:         48
        .size:           8
        .value_kind:     global_buffer
      - .offset:         56
        .size:           8
        .value_kind:     by_value
      - .offset:         64
        .size:           8
        .value_kind:     by_value
      - .offset:         72
        .size:           8
        .value_kind:     by_value
      - .address_space:  global
        .offset:         80
        .size:           8
        .value_kind:     global_buffer
      - .offset:         88
        .size:           4
        .value_kind:     by_value
      - .offset:         96
        .size:           4
        .value_kind:     hidden_block_count_x
      - .offset:         100
        .size:           4
        .value_kind:     hidden_block_count_y
      - .offset:         104
        .size:           4
        .value_kind:     hidden_block_count_z
      - .offset:         108
        .size:           2
        .value_kind:     hidden_group_size_x
      - .offset:         110
        .size:           2
        .value_kind:     hidden_group_size_y
      - .offset:         112
        .size:           2
        .value_kind:     hidden_group_size_z
      - .offset:         114
        .size:           2
        .value_kind:     hidden_remainder_x
      - .offset:         116
        .size:           2
        .value_kind:     hidden_remainder_y
      - .offset:         118
        .size:           2
        .value_kind:     hidden_remainder_z
      - .offset:         136
        .size:           8
        .value_kind:     hidden_global_offset_x
      - .offset:         144
        .size:           8
        .value_kind:     hidden_global_offset_y
      - .offset:         152
        .size:           8
        .value_kind:     hidden_global_offset_z
      - .offset:         160
        .size:           2
        .value_kind:     hidden_grid_dims
    .group_segment_fixed_size: 41480
    .kernarg_segment_align: 8
    .kernarg_segment_size: 352
    .language:       OpenCL C
    .language_version:
      - 2
      - 0
    .max_flat_workgroup_size: 1024
    .name:           _ZL19rocblas_trsv_deviceILi64ELi16ELb1ELb0ELb0ELb1E19rocblas_complex_numIfES1_PKS1_PS1_EviT7_lllT6_T8_lllPii
    .private_segment_fixed_size: 48
    .sgpr_count:     107
    .sgpr_spill_count: 67
    .symbol:         _ZL19rocblas_trsv_deviceILi64ELi16ELb1ELb0ELb0ELb1E19rocblas_complex_numIfES1_PKS1_PS1_EviT7_lllT6_T8_lllPii.kd
    .uniform_work_group_size: 1
    .uses_dynamic_stack: false
    .vgpr_count:     95
    .vgpr_spill_count: 0
    .wavefront_size: 32
  - .args:
      - .offset:         0
        .size:           4
        .value_kind:     by_value
      - .address_space:  global
        .offset:         8
        .size:           8
        .value_kind:     global_buffer
      - .offset:         16
        .size:           8
        .value_kind:     by_value
      - .offset:         24
        .size:           8
        .value_kind:     by_value
      - .offset:         32
        .size:           8
        .value_kind:     by_value
      - .offset:         40
        .size:           8
        .value_kind:     by_value
      - .address_space:  global
        .offset:         48
        .size:           8
        .value_kind:     global_buffer
      - .offset:         56
        .size:           8
        .value_kind:     by_value
      - .offset:         64
        .size:           8
        .value_kind:     by_value
      - .offset:         72
        .size:           8
        .value_kind:     by_value
      - .address_space:  global
        .offset:         80
        .size:           8
        .value_kind:     global_buffer
      - .offset:         88
        .size:           4
        .value_kind:     by_value
      - .offset:         96
        .size:           4
        .value_kind:     hidden_block_count_x
      - .offset:         100
        .size:           4
        .value_kind:     hidden_block_count_y
      - .offset:         104
        .size:           4
        .value_kind:     hidden_block_count_z
      - .offset:         108
        .size:           2
        .value_kind:     hidden_group_size_x
      - .offset:         110
        .size:           2
        .value_kind:     hidden_group_size_y
      - .offset:         112
        .size:           2
        .value_kind:     hidden_group_size_z
      - .offset:         114
        .size:           2
        .value_kind:     hidden_remainder_x
      - .offset:         116
        .size:           2
        .value_kind:     hidden_remainder_y
      - .offset:         118
        .size:           2
        .value_kind:     hidden_remainder_z
      - .offset:         136
        .size:           8
        .value_kind:     hidden_global_offset_x
      - .offset:         144
        .size:           8
        .value_kind:     hidden_global_offset_y
      - .offset:         152
        .size:           8
        .value_kind:     hidden_global_offset_z
      - .offset:         160
        .size:           2
        .value_kind:     hidden_grid_dims
    .group_segment_fixed_size: 41480
    .kernarg_segment_align: 8
    .kernarg_segment_size: 352
    .language:       OpenCL C
    .language_version:
      - 2
      - 0
    .max_flat_workgroup_size: 1024
    .name:           _ZL19rocblas_trsv_deviceILi64ELi16ELb1ELb1ELb0ELb1E19rocblas_complex_numIfES1_PKS1_PS1_EviT7_lllT6_T8_lllPii
    .private_segment_fixed_size: 48
    .sgpr_count:     107
    .sgpr_spill_count: 64
    .symbol:         _ZL19rocblas_trsv_deviceILi64ELi16ELb1ELb1ELb0ELb1E19rocblas_complex_numIfES1_PKS1_PS1_EviT7_lllT6_T8_lllPii.kd
    .uniform_work_group_size: 1
    .uses_dynamic_stack: false
    .vgpr_count:     104
    .vgpr_spill_count: 0
    .wavefront_size: 32
  - .args:
      - .offset:         0
        .size:           4
        .value_kind:     by_value
      - .address_space:  global
        .offset:         8
        .size:           8
        .value_kind:     global_buffer
      - .offset:         16
        .size:           8
        .value_kind:     by_value
      - .offset:         24
        .size:           8
        .value_kind:     by_value
      - .offset:         32
        .size:           8
        .value_kind:     by_value
      - .offset:         40
        .size:           8
        .value_kind:     by_value
      - .address_space:  global
        .offset:         48
        .size:           8
        .value_kind:     global_buffer
      - .offset:         56
        .size:           8
        .value_kind:     by_value
      - .offset:         64
        .size:           8
        .value_kind:     by_value
      - .offset:         72
        .size:           8
        .value_kind:     by_value
      - .address_space:  global
        .offset:         80
        .size:           8
        .value_kind:     global_buffer
      - .offset:         88
        .size:           4
        .value_kind:     by_value
      - .offset:         96
        .size:           4
        .value_kind:     hidden_block_count_x
      - .offset:         100
        .size:           4
        .value_kind:     hidden_block_count_y
      - .offset:         104
        .size:           4
        .value_kind:     hidden_block_count_z
      - .offset:         108
        .size:           2
        .value_kind:     hidden_group_size_x
      - .offset:         110
        .size:           2
        .value_kind:     hidden_group_size_y
      - .offset:         112
        .size:           2
        .value_kind:     hidden_group_size_z
      - .offset:         114
        .size:           2
        .value_kind:     hidden_remainder_x
      - .offset:         116
        .size:           2
        .value_kind:     hidden_remainder_y
      - .offset:         118
        .size:           2
        .value_kind:     hidden_remainder_z
      - .offset:         136
        .size:           8
        .value_kind:     hidden_global_offset_x
      - .offset:         144
        .size:           8
        .value_kind:     hidden_global_offset_y
      - .offset:         152
        .size:           8
        .value_kind:     hidden_global_offset_z
      - .offset:         160
        .size:           2
        .value_kind:     hidden_grid_dims
    .group_segment_fixed_size: 41480
    .kernarg_segment_align: 8
    .kernarg_segment_size: 352
    .language:       OpenCL C
    .language_version:
      - 2
      - 0
    .max_flat_workgroup_size: 1024
    .name:           _ZL19rocblas_trsv_deviceILi64ELi16ELb1ELb1ELb1ELb1E19rocblas_complex_numIfES1_PKS1_PS1_EviT7_lllT6_T8_lllPii
    .private_segment_fixed_size: 0
    .sgpr_count:     107
    .sgpr_spill_count: 64
    .symbol:         _ZL19rocblas_trsv_deviceILi64ELi16ELb1ELb1ELb1ELb1E19rocblas_complex_numIfES1_PKS1_PS1_EviT7_lllT6_T8_lllPii.kd
    .uniform_work_group_size: 1
    .uses_dynamic_stack: false
    .vgpr_count:     107
    .vgpr_spill_count: 0
    .wavefront_size: 32
  - .args:
      - .offset:         0
        .size:           4
        .value_kind:     by_value
      - .address_space:  global
        .offset:         8
        .size:           8
        .value_kind:     global_buffer
      - .offset:         16
        .size:           8
        .value_kind:     by_value
      - .offset:         24
        .size:           8
        .value_kind:     by_value
      - .offset:         32
        .size:           8
        .value_kind:     by_value
      - .offset:         40
        .size:           8
        .value_kind:     by_value
      - .address_space:  global
        .offset:         48
        .size:           8
        .value_kind:     global_buffer
      - .offset:         56
        .size:           8
        .value_kind:     by_value
      - .offset:         64
        .size:           8
        .value_kind:     by_value
      - .offset:         72
        .size:           8
        .value_kind:     by_value
      - .address_space:  global
        .offset:         80
        .size:           8
        .value_kind:     global_buffer
      - .offset:         88
        .size:           4
        .value_kind:     by_value
      - .offset:         96
        .size:           4
        .value_kind:     hidden_block_count_x
      - .offset:         100
        .size:           4
        .value_kind:     hidden_block_count_y
      - .offset:         104
        .size:           4
        .value_kind:     hidden_block_count_z
      - .offset:         108
        .size:           2
        .value_kind:     hidden_group_size_x
      - .offset:         110
        .size:           2
        .value_kind:     hidden_group_size_y
      - .offset:         112
        .size:           2
        .value_kind:     hidden_group_size_z
      - .offset:         114
        .size:           2
        .value_kind:     hidden_remainder_x
      - .offset:         116
        .size:           2
        .value_kind:     hidden_remainder_y
      - .offset:         118
        .size:           2
        .value_kind:     hidden_remainder_z
      - .offset:         136
        .size:           8
        .value_kind:     hidden_global_offset_x
      - .offset:         144
        .size:           8
        .value_kind:     hidden_global_offset_y
      - .offset:         152
        .size:           8
        .value_kind:     hidden_global_offset_z
      - .offset:         160
        .size:           2
        .value_kind:     hidden_grid_dims
    .group_segment_fixed_size: 41480
    .kernarg_segment_align: 8
    .kernarg_segment_size: 352
    .language:       OpenCL C
    .language_version:
      - 2
      - 0
    .max_flat_workgroup_size: 1024
    .name:           _ZL19rocblas_trsv_deviceILi64ELi16ELb1ELb0ELb0ELb0E19rocblas_complex_numIfES1_PKS1_PS1_EviT7_lllT6_T8_lllPii
    .private_segment_fixed_size: 48
    .sgpr_count:     107
    .sgpr_spill_count: 73
    .symbol:         _ZL19rocblas_trsv_deviceILi64ELi16ELb1ELb0ELb0ELb0E19rocblas_complex_numIfES1_PKS1_PS1_EviT7_lllT6_T8_lllPii.kd
    .uniform_work_group_size: 1
    .uses_dynamic_stack: false
    .vgpr_count:     93
    .vgpr_spill_count: 0
    .wavefront_size: 32
  - .args:
      - .offset:         0
        .size:           4
        .value_kind:     by_value
      - .address_space:  global
        .offset:         8
        .size:           8
        .value_kind:     global_buffer
      - .offset:         16
        .size:           8
        .value_kind:     by_value
      - .offset:         24
        .size:           8
        .value_kind:     by_value
      - .offset:         32
        .size:           8
        .value_kind:     by_value
      - .offset:         40
        .size:           8
        .value_kind:     by_value
      - .address_space:  global
        .offset:         48
        .size:           8
        .value_kind:     global_buffer
      - .offset:         56
        .size:           8
        .value_kind:     by_value
      - .offset:         64
        .size:           8
        .value_kind:     by_value
      - .offset:         72
        .size:           8
        .value_kind:     by_value
      - .address_space:  global
        .offset:         80
        .size:           8
        .value_kind:     global_buffer
      - .offset:         88
        .size:           4
        .value_kind:     by_value
      - .offset:         96
        .size:           4
        .value_kind:     hidden_block_count_x
      - .offset:         100
        .size:           4
        .value_kind:     hidden_block_count_y
      - .offset:         104
        .size:           4
        .value_kind:     hidden_block_count_z
      - .offset:         108
        .size:           2
        .value_kind:     hidden_group_size_x
      - .offset:         110
        .size:           2
        .value_kind:     hidden_group_size_y
      - .offset:         112
        .size:           2
        .value_kind:     hidden_group_size_z
      - .offset:         114
        .size:           2
        .value_kind:     hidden_remainder_x
      - .offset:         116
        .size:           2
        .value_kind:     hidden_remainder_y
      - .offset:         118
        .size:           2
        .value_kind:     hidden_remainder_z
      - .offset:         136
        .size:           8
        .value_kind:     hidden_global_offset_x
      - .offset:         144
        .size:           8
        .value_kind:     hidden_global_offset_y
      - .offset:         152
        .size:           8
        .value_kind:     hidden_global_offset_z
      - .offset:         160
        .size:           2
        .value_kind:     hidden_grid_dims
    .group_segment_fixed_size: 41480
    .kernarg_segment_align: 8
    .kernarg_segment_size: 352
    .language:       OpenCL C
    .language_version:
      - 2
      - 0
    .max_flat_workgroup_size: 1024
    .name:           _ZL19rocblas_trsv_deviceILi64ELi16ELb1ELb1ELb0ELb0E19rocblas_complex_numIfES1_PKS1_PS1_EviT7_lllT6_T8_lllPii
    .private_segment_fixed_size: 48
    .sgpr_count:     107
    .sgpr_spill_count: 70
    .symbol:         _ZL19rocblas_trsv_deviceILi64ELi16ELb1ELb1ELb0ELb0E19rocblas_complex_numIfES1_PKS1_PS1_EviT7_lllT6_T8_lllPii.kd
    .uniform_work_group_size: 1
    .uses_dynamic_stack: false
    .vgpr_count:     103
    .vgpr_spill_count: 0
    .wavefront_size: 32
  - .args:
      - .offset:         0
        .size:           4
        .value_kind:     by_value
      - .address_space:  global
        .offset:         8
        .size:           8
        .value_kind:     global_buffer
      - .offset:         16
        .size:           8
        .value_kind:     by_value
      - .offset:         24
        .size:           8
        .value_kind:     by_value
      - .offset:         32
        .size:           8
        .value_kind:     by_value
      - .offset:         40
        .size:           8
        .value_kind:     by_value
      - .address_space:  global
        .offset:         48
        .size:           8
        .value_kind:     global_buffer
      - .offset:         56
        .size:           8
        .value_kind:     by_value
      - .offset:         64
        .size:           8
        .value_kind:     by_value
      - .offset:         72
        .size:           8
        .value_kind:     by_value
      - .address_space:  global
        .offset:         80
        .size:           8
        .value_kind:     global_buffer
      - .offset:         88
        .size:           4
        .value_kind:     by_value
      - .offset:         96
        .size:           4
        .value_kind:     hidden_block_count_x
      - .offset:         100
        .size:           4
        .value_kind:     hidden_block_count_y
      - .offset:         104
        .size:           4
        .value_kind:     hidden_block_count_z
      - .offset:         108
        .size:           2
        .value_kind:     hidden_group_size_x
      - .offset:         110
        .size:           2
        .value_kind:     hidden_group_size_y
      - .offset:         112
        .size:           2
        .value_kind:     hidden_group_size_z
      - .offset:         114
        .size:           2
        .value_kind:     hidden_remainder_x
      - .offset:         116
        .size:           2
        .value_kind:     hidden_remainder_y
      - .offset:         118
        .size:           2
        .value_kind:     hidden_remainder_z
      - .offset:         136
        .size:           8
        .value_kind:     hidden_global_offset_x
      - .offset:         144
        .size:           8
        .value_kind:     hidden_global_offset_y
      - .offset:         152
        .size:           8
        .value_kind:     hidden_global_offset_z
      - .offset:         160
        .size:           2
        .value_kind:     hidden_grid_dims
    .group_segment_fixed_size: 41480
    .kernarg_segment_align: 8
    .kernarg_segment_size: 352
    .language:       OpenCL C
    .language_version:
      - 2
      - 0
    .max_flat_workgroup_size: 1024
    .name:           _ZL19rocblas_trsv_deviceILi64ELi16ELb1ELb1ELb1ELb0E19rocblas_complex_numIfES1_PKS1_PS1_EviT7_lllT6_T8_lllPii
    .private_segment_fixed_size: 0
    .sgpr_count:     107
    .sgpr_spill_count: 70
    .symbol:         _ZL19rocblas_trsv_deviceILi64ELi16ELb1ELb1ELb1ELb0E19rocblas_complex_numIfES1_PKS1_PS1_EviT7_lllT6_T8_lllPii.kd
    .uniform_work_group_size: 1
    .uses_dynamic_stack: false
    .vgpr_count:     107
    .vgpr_spill_count: 0
    .wavefront_size: 32
  - .args:
      - .offset:         0
        .size:           4
        .value_kind:     by_value
      - .address_space:  global
        .offset:         8
        .size:           8
        .value_kind:     global_buffer
      - .offset:         16
        .size:           8
        .value_kind:     by_value
      - .offset:         24
        .size:           8
        .value_kind:     by_value
      - .offset:         32
        .size:           8
        .value_kind:     by_value
      - .address_space:  global
        .offset:         40
        .size:           8
        .value_kind:     global_buffer
      - .address_space:  global
        .offset:         48
        .size:           8
        .value_kind:     global_buffer
      - .offset:         56
        .size:           8
        .value_kind:     by_value
      - .offset:         64
        .size:           8
        .value_kind:     by_value
      - .offset:         72
        .size:           8
        .value_kind:     by_value
      - .address_space:  global
        .offset:         80
        .size:           8
        .value_kind:     global_buffer
      - .offset:         88
        .size:           4
        .value_kind:     by_value
      - .offset:         96
        .size:           4
        .value_kind:     hidden_block_count_x
      - .offset:         100
        .size:           4
        .value_kind:     hidden_block_count_y
      - .offset:         104
        .size:           4
        .value_kind:     hidden_block_count_z
      - .offset:         108
        .size:           2
        .value_kind:     hidden_group_size_x
      - .offset:         110
        .size:           2
        .value_kind:     hidden_group_size_y
      - .offset:         112
        .size:           2
        .value_kind:     hidden_group_size_z
      - .offset:         114
        .size:           2
        .value_kind:     hidden_remainder_x
      - .offset:         116
        .size:           2
        .value_kind:     hidden_remainder_y
      - .offset:         118
        .size:           2
        .value_kind:     hidden_remainder_z
      - .offset:         136
        .size:           8
        .value_kind:     hidden_global_offset_x
      - .offset:         144
        .size:           8
        .value_kind:     hidden_global_offset_y
      - .offset:         152
        .size:           8
        .value_kind:     hidden_global_offset_z
      - .offset:         160
        .size:           2
        .value_kind:     hidden_grid_dims
    .group_segment_fixed_size: 25104
    .kernarg_segment_align: 8
    .kernarg_segment_size: 352
    .language:       OpenCL C
    .language_version:
      - 2
      - 0
    .max_flat_workgroup_size: 512
    .name:           _ZL19rocblas_trsv_deviceILi32ELi16ELb0ELb0ELb0ELb1E19rocblas_complex_numIdEPKS1_S3_PS1_EviT7_lllT6_T8_lllPii
    .private_segment_fixed_size: 0
    .sgpr_count:     107
    .sgpr_spill_count: 31
    .symbol:         _ZL19rocblas_trsv_deviceILi32ELi16ELb0ELb0ELb0ELb1E19rocblas_complex_numIdEPKS1_S3_PS1_EviT7_lllT6_T8_lllPii.kd
    .uniform_work_group_size: 1
    .uses_dynamic_stack: false
    .vgpr_count:     75
    .vgpr_spill_count: 0
    .wavefront_size: 32
  - .args:
      - .offset:         0
        .size:           4
        .value_kind:     by_value
      - .address_space:  global
        .offset:         8
        .size:           8
        .value_kind:     global_buffer
      - .offset:         16
        .size:           8
        .value_kind:     by_value
      - .offset:         24
        .size:           8
        .value_kind:     by_value
      - .offset:         32
        .size:           8
        .value_kind:     by_value
      - .address_space:  global
        .offset:         40
        .size:           8
        .value_kind:     global_buffer
      - .address_space:  global
        .offset:         48
        .size:           8
        .value_kind:     global_buffer
      - .offset:         56
        .size:           8
        .value_kind:     by_value
      - .offset:         64
        .size:           8
        .value_kind:     by_value
      - .offset:         72
        .size:           8
        .value_kind:     by_value
      - .address_space:  global
        .offset:         80
        .size:           8
        .value_kind:     global_buffer
      - .offset:         88
        .size:           4
        .value_kind:     by_value
      - .offset:         96
        .size:           4
        .value_kind:     hidden_block_count_x
      - .offset:         100
        .size:           4
        .value_kind:     hidden_block_count_y
      - .offset:         104
        .size:           4
        .value_kind:     hidden_block_count_z
      - .offset:         108
        .size:           2
        .value_kind:     hidden_group_size_x
      - .offset:         110
        .size:           2
        .value_kind:     hidden_group_size_y
      - .offset:         112
        .size:           2
        .value_kind:     hidden_group_size_z
      - .offset:         114
        .size:           2
        .value_kind:     hidden_remainder_x
      - .offset:         116
        .size:           2
        .value_kind:     hidden_remainder_y
      - .offset:         118
        .size:           2
        .value_kind:     hidden_remainder_z
      - .offset:         136
        .size:           8
        .value_kind:     hidden_global_offset_x
      - .offset:         144
        .size:           8
        .value_kind:     hidden_global_offset_y
      - .offset:         152
        .size:           8
        .value_kind:     hidden_global_offset_z
      - .offset:         160
        .size:           2
        .value_kind:     hidden_grid_dims
    .group_segment_fixed_size: 25104
    .kernarg_segment_align: 8
    .kernarg_segment_size: 352
    .language:       OpenCL C
    .language_version:
      - 2
      - 0
    .max_flat_workgroup_size: 512
    .name:           _ZL19rocblas_trsv_deviceILi32ELi16ELb0ELb1ELb0ELb1E19rocblas_complex_numIdEPKS1_S3_PS1_EviT7_lllT6_T8_lllPii
    .private_segment_fixed_size: 0
    .sgpr_count:     107
    .sgpr_spill_count: 25
    .symbol:         _ZL19rocblas_trsv_deviceILi32ELi16ELb0ELb1ELb0ELb1E19rocblas_complex_numIdEPKS1_S3_PS1_EviT7_lllT6_T8_lllPii.kd
    .uniform_work_group_size: 1
    .uses_dynamic_stack: false
    .vgpr_count:     209
    .vgpr_spill_count: 0
    .wavefront_size: 32
  - .args:
      - .offset:         0
        .size:           4
        .value_kind:     by_value
      - .address_space:  global
        .offset:         8
        .size:           8
        .value_kind:     global_buffer
      - .offset:         16
        .size:           8
        .value_kind:     by_value
      - .offset:         24
        .size:           8
        .value_kind:     by_value
      - .offset:         32
        .size:           8
        .value_kind:     by_value
      - .address_space:  global
        .offset:         40
        .size:           8
        .value_kind:     global_buffer
      - .address_space:  global
        .offset:         48
        .size:           8
        .value_kind:     global_buffer
      - .offset:         56
        .size:           8
        .value_kind:     by_value
      - .offset:         64
        .size:           8
        .value_kind:     by_value
      - .offset:         72
        .size:           8
        .value_kind:     by_value
      - .address_space:  global
        .offset:         80
        .size:           8
        .value_kind:     global_buffer
      - .offset:         88
        .size:           4
        .value_kind:     by_value
      - .offset:         96
        .size:           4
        .value_kind:     hidden_block_count_x
      - .offset:         100
        .size:           4
        .value_kind:     hidden_block_count_y
      - .offset:         104
        .size:           4
        .value_kind:     hidden_block_count_z
      - .offset:         108
        .size:           2
        .value_kind:     hidden_group_size_x
      - .offset:         110
        .size:           2
        .value_kind:     hidden_group_size_y
      - .offset:         112
        .size:           2
        .value_kind:     hidden_group_size_z
      - .offset:         114
        .size:           2
        .value_kind:     hidden_remainder_x
      - .offset:         116
        .size:           2
        .value_kind:     hidden_remainder_y
      - .offset:         118
        .size:           2
        .value_kind:     hidden_remainder_z
      - .offset:         136
        .size:           8
        .value_kind:     hidden_global_offset_x
      - .offset:         144
        .size:           8
        .value_kind:     hidden_global_offset_y
      - .offset:         152
        .size:           8
        .value_kind:     hidden_global_offset_z
      - .offset:         160
        .size:           2
        .value_kind:     hidden_grid_dims
    .group_segment_fixed_size: 25104
    .kernarg_segment_align: 8
    .kernarg_segment_size: 352
    .language:       OpenCL C
    .language_version:
      - 2
      - 0
    .max_flat_workgroup_size: 512
    .name:           _ZL19rocblas_trsv_deviceILi32ELi16ELb0ELb1ELb1ELb1E19rocblas_complex_numIdEPKS1_S3_PS1_EviT7_lllT6_T8_lllPii
    .private_segment_fixed_size: 0
    .sgpr_count:     107
    .sgpr_spill_count: 25
    .symbol:         _ZL19rocblas_trsv_deviceILi32ELi16ELb0ELb1ELb1ELb1E19rocblas_complex_numIdEPKS1_S3_PS1_EviT7_lllT6_T8_lllPii.kd
    .uniform_work_group_size: 1
    .uses_dynamic_stack: false
    .vgpr_count:     209
    .vgpr_spill_count: 0
    .wavefront_size: 32
  - .args:
      - .offset:         0
        .size:           4
        .value_kind:     by_value
      - .address_space:  global
        .offset:         8
        .size:           8
        .value_kind:     global_buffer
      - .offset:         16
        .size:           8
        .value_kind:     by_value
      - .offset:         24
        .size:           8
        .value_kind:     by_value
      - .offset:         32
        .size:           8
        .value_kind:     by_value
      - .address_space:  global
        .offset:         40
        .size:           8
        .value_kind:     global_buffer
      - .address_space:  global
        .offset:         48
        .size:           8
        .value_kind:     global_buffer
      - .offset:         56
        .size:           8
        .value_kind:     by_value
      - .offset:         64
        .size:           8
        .value_kind:     by_value
      - .offset:         72
        .size:           8
        .value_kind:     by_value
      - .address_space:  global
        .offset:         80
        .size:           8
        .value_kind:     global_buffer
      - .offset:         88
        .size:           4
        .value_kind:     by_value
      - .offset:         96
        .size:           4
        .value_kind:     hidden_block_count_x
      - .offset:         100
        .size:           4
        .value_kind:     hidden_block_count_y
      - .offset:         104
        .size:           4
        .value_kind:     hidden_block_count_z
      - .offset:         108
        .size:           2
        .value_kind:     hidden_group_size_x
      - .offset:         110
        .size:           2
        .value_kind:     hidden_group_size_y
      - .offset:         112
        .size:           2
        .value_kind:     hidden_group_size_z
      - .offset:         114
        .size:           2
        .value_kind:     hidden_remainder_x
      - .offset:         116
        .size:           2
        .value_kind:     hidden_remainder_y
      - .offset:         118
        .size:           2
        .value_kind:     hidden_remainder_z
      - .offset:         136
        .size:           8
        .value_kind:     hidden_global_offset_x
      - .offset:         144
        .size:           8
        .value_kind:     hidden_global_offset_y
      - .offset:         152
        .size:           8
        .value_kind:     hidden_global_offset_z
      - .offset:         160
        .size:           2
        .value_kind:     hidden_grid_dims
    .group_segment_fixed_size: 25104
    .kernarg_segment_align: 8
    .kernarg_segment_size: 352
    .language:       OpenCL C
    .language_version:
      - 2
      - 0
    .max_flat_workgroup_size: 512
    .name:           _ZL19rocblas_trsv_deviceILi32ELi16ELb0ELb0ELb0ELb0E19rocblas_complex_numIdEPKS1_S3_PS1_EviT7_lllT6_T8_lllPii
    .private_segment_fixed_size: 0
    .sgpr_count:     106
    .sgpr_spill_count: 32
    .symbol:         _ZL19rocblas_trsv_deviceILi32ELi16ELb0ELb0ELb0ELb0E19rocblas_complex_numIdEPKS1_S3_PS1_EviT7_lllT6_T8_lllPii.kd
    .uniform_work_group_size: 1
    .uses_dynamic_stack: false
    .vgpr_count:     75
    .vgpr_spill_count: 0
    .wavefront_size: 32
  - .args:
      - .offset:         0
        .size:           4
        .value_kind:     by_value
      - .address_space:  global
        .offset:         8
        .size:           8
        .value_kind:     global_buffer
      - .offset:         16
        .size:           8
        .value_kind:     by_value
      - .offset:         24
        .size:           8
        .value_kind:     by_value
      - .offset:         32
        .size:           8
        .value_kind:     by_value
      - .address_space:  global
        .offset:         40
        .size:           8
        .value_kind:     global_buffer
      - .address_space:  global
        .offset:         48
        .size:           8
        .value_kind:     global_buffer
      - .offset:         56
        .size:           8
        .value_kind:     by_value
      - .offset:         64
        .size:           8
        .value_kind:     by_value
      - .offset:         72
        .size:           8
        .value_kind:     by_value
      - .address_space:  global
        .offset:         80
        .size:           8
        .value_kind:     global_buffer
      - .offset:         88
        .size:           4
        .value_kind:     by_value
      - .offset:         96
        .size:           4
        .value_kind:     hidden_block_count_x
      - .offset:         100
        .size:           4
        .value_kind:     hidden_block_count_y
      - .offset:         104
        .size:           4
        .value_kind:     hidden_block_count_z
      - .offset:         108
        .size:           2
        .value_kind:     hidden_group_size_x
      - .offset:         110
        .size:           2
        .value_kind:     hidden_group_size_y
      - .offset:         112
        .size:           2
        .value_kind:     hidden_group_size_z
      - .offset:         114
        .size:           2
        .value_kind:     hidden_remainder_x
      - .offset:         116
        .size:           2
        .value_kind:     hidden_remainder_y
      - .offset:         118
        .size:           2
        .value_kind:     hidden_remainder_z
      - .offset:         136
        .size:           8
        .value_kind:     hidden_global_offset_x
      - .offset:         144
        .size:           8
        .value_kind:     hidden_global_offset_y
      - .offset:         152
        .size:           8
        .value_kind:     hidden_global_offset_z
      - .offset:         160
        .size:           2
        .value_kind:     hidden_grid_dims
    .group_segment_fixed_size: 25104
    .kernarg_segment_align: 8
    .kernarg_segment_size: 352
    .language:       OpenCL C
    .language_version:
      - 2
      - 0
    .max_flat_workgroup_size: 512
    .name:           _ZL19rocblas_trsv_deviceILi32ELi16ELb0ELb1ELb0ELb0E19rocblas_complex_numIdEPKS1_S3_PS1_EviT7_lllT6_T8_lllPii
    .private_segment_fixed_size: 0
    .sgpr_count:     107
    .sgpr_spill_count: 26
    .symbol:         _ZL19rocblas_trsv_deviceILi32ELi16ELb0ELb1ELb0ELb0E19rocblas_complex_numIdEPKS1_S3_PS1_EviT7_lllT6_T8_lllPii.kd
    .uniform_work_group_size: 1
    .uses_dynamic_stack: false
    .vgpr_count:     208
    .vgpr_spill_count: 0
    .wavefront_size: 32
  - .args:
      - .offset:         0
        .size:           4
        .value_kind:     by_value
      - .address_space:  global
        .offset:         8
        .size:           8
        .value_kind:     global_buffer
      - .offset:         16
        .size:           8
        .value_kind:     by_value
      - .offset:         24
        .size:           8
        .value_kind:     by_value
      - .offset:         32
        .size:           8
        .value_kind:     by_value
      - .address_space:  global
        .offset:         40
        .size:           8
        .value_kind:     global_buffer
      - .address_space:  global
        .offset:         48
        .size:           8
        .value_kind:     global_buffer
      - .offset:         56
        .size:           8
        .value_kind:     by_value
      - .offset:         64
        .size:           8
        .value_kind:     by_value
      - .offset:         72
        .size:           8
        .value_kind:     by_value
      - .address_space:  global
        .offset:         80
        .size:           8
        .value_kind:     global_buffer
      - .offset:         88
        .size:           4
        .value_kind:     by_value
      - .offset:         96
        .size:           4
        .value_kind:     hidden_block_count_x
      - .offset:         100
        .size:           4
        .value_kind:     hidden_block_count_y
      - .offset:         104
        .size:           4
        .value_kind:     hidden_block_count_z
      - .offset:         108
        .size:           2
        .value_kind:     hidden_group_size_x
      - .offset:         110
        .size:           2
        .value_kind:     hidden_group_size_y
      - .offset:         112
        .size:           2
        .value_kind:     hidden_group_size_z
      - .offset:         114
        .size:           2
        .value_kind:     hidden_remainder_x
      - .offset:         116
        .size:           2
        .value_kind:     hidden_remainder_y
      - .offset:         118
        .size:           2
        .value_kind:     hidden_remainder_z
      - .offset:         136
        .size:           8
        .value_kind:     hidden_global_offset_x
      - .offset:         144
        .size:           8
        .value_kind:     hidden_global_offset_y
      - .offset:         152
        .size:           8
        .value_kind:     hidden_global_offset_z
      - .offset:         160
        .size:           2
        .value_kind:     hidden_grid_dims
    .group_segment_fixed_size: 25104
    .kernarg_segment_align: 8
    .kernarg_segment_size: 352
    .language:       OpenCL C
    .language_version:
      - 2
      - 0
    .max_flat_workgroup_size: 512
    .name:           _ZL19rocblas_trsv_deviceILi32ELi16ELb0ELb1ELb1ELb0E19rocblas_complex_numIdEPKS1_S3_PS1_EviT7_lllT6_T8_lllPii
    .private_segment_fixed_size: 0
    .sgpr_count:     107
    .sgpr_spill_count: 26
    .symbol:         _ZL19rocblas_trsv_deviceILi32ELi16ELb0ELb1ELb1ELb0E19rocblas_complex_numIdEPKS1_S3_PS1_EviT7_lllT6_T8_lllPii.kd
    .uniform_work_group_size: 1
    .uses_dynamic_stack: false
    .vgpr_count:     208
    .vgpr_spill_count: 0
    .wavefront_size: 32
  - .args:
      - .offset:         0
        .size:           4
        .value_kind:     by_value
      - .address_space:  global
        .offset:         8
        .size:           8
        .value_kind:     global_buffer
      - .offset:         16
        .size:           8
        .value_kind:     by_value
      - .offset:         24
        .size:           8
        .value_kind:     by_value
      - .offset:         32
        .size:           8
        .value_kind:     by_value
      - .address_space:  global
        .offset:         40
        .size:           8
        .value_kind:     global_buffer
      - .address_space:  global
        .offset:         48
        .size:           8
        .value_kind:     global_buffer
      - .offset:         56
        .size:           8
        .value_kind:     by_value
      - .offset:         64
        .size:           8
        .value_kind:     by_value
      - .offset:         72
        .size:           8
        .value_kind:     by_value
      - .address_space:  global
        .offset:         80
        .size:           8
        .value_kind:     global_buffer
      - .offset:         88
        .size:           4
        .value_kind:     by_value
      - .offset:         96
        .size:           4
        .value_kind:     hidden_block_count_x
      - .offset:         100
        .size:           4
        .value_kind:     hidden_block_count_y
      - .offset:         104
        .size:           4
        .value_kind:     hidden_block_count_z
      - .offset:         108
        .size:           2
        .value_kind:     hidden_group_size_x
      - .offset:         110
        .size:           2
        .value_kind:     hidden_group_size_y
      - .offset:         112
        .size:           2
        .value_kind:     hidden_group_size_z
      - .offset:         114
        .size:           2
        .value_kind:     hidden_remainder_x
      - .offset:         116
        .size:           2
        .value_kind:     hidden_remainder_y
      - .offset:         118
        .size:           2
        .value_kind:     hidden_remainder_z
      - .offset:         136
        .size:           8
        .value_kind:     hidden_global_offset_x
      - .offset:         144
        .size:           8
        .value_kind:     hidden_global_offset_y
      - .offset:         152
        .size:           8
        .value_kind:     hidden_global_offset_z
      - .offset:         160
        .size:           2
        .value_kind:     hidden_grid_dims
    .group_segment_fixed_size: 25104
    .kernarg_segment_align: 8
    .kernarg_segment_size: 352
    .language:       OpenCL C
    .language_version:
      - 2
      - 0
    .max_flat_workgroup_size: 512
    .name:           _ZL19rocblas_trsv_deviceILi32ELi16ELb1ELb0ELb0ELb1E19rocblas_complex_numIdEPKS1_S3_PS1_EviT7_lllT6_T8_lllPii
    .private_segment_fixed_size: 0
    .sgpr_count:     107
    .sgpr_spill_count: 27
    .symbol:         _ZL19rocblas_trsv_deviceILi32ELi16ELb1ELb0ELb0ELb1E19rocblas_complex_numIdEPKS1_S3_PS1_EviT7_lllT6_T8_lllPii.kd
    .uniform_work_group_size: 1
    .uses_dynamic_stack: false
    .vgpr_count:     77
    .vgpr_spill_count: 0
    .wavefront_size: 32
  - .args:
      - .offset:         0
        .size:           4
        .value_kind:     by_value
      - .address_space:  global
        .offset:         8
        .size:           8
        .value_kind:     global_buffer
      - .offset:         16
        .size:           8
        .value_kind:     by_value
      - .offset:         24
        .size:           8
        .value_kind:     by_value
      - .offset:         32
        .size:           8
        .value_kind:     by_value
      - .address_space:  global
        .offset:         40
        .size:           8
        .value_kind:     global_buffer
      - .address_space:  global
        .offset:         48
        .size:           8
        .value_kind:     global_buffer
      - .offset:         56
        .size:           8
        .value_kind:     by_value
      - .offset:         64
        .size:           8
        .value_kind:     by_value
      - .offset:         72
        .size:           8
        .value_kind:     by_value
      - .address_space:  global
        .offset:         80
        .size:           8
        .value_kind:     global_buffer
      - .offset:         88
        .size:           4
        .value_kind:     by_value
      - .offset:         96
        .size:           4
        .value_kind:     hidden_block_count_x
      - .offset:         100
        .size:           4
        .value_kind:     hidden_block_count_y
      - .offset:         104
        .size:           4
        .value_kind:     hidden_block_count_z
      - .offset:         108
        .size:           2
        .value_kind:     hidden_group_size_x
      - .offset:         110
        .size:           2
        .value_kind:     hidden_group_size_y
      - .offset:         112
        .size:           2
        .value_kind:     hidden_group_size_z
      - .offset:         114
        .size:           2
        .value_kind:     hidden_remainder_x
      - .offset:         116
        .size:           2
        .value_kind:     hidden_remainder_y
      - .offset:         118
        .size:           2
        .value_kind:     hidden_remainder_z
      - .offset:         136
        .size:           8
        .value_kind:     hidden_global_offset_x
      - .offset:         144
        .size:           8
        .value_kind:     hidden_global_offset_y
      - .offset:         152
        .size:           8
        .value_kind:     hidden_global_offset_z
      - .offset:         160
        .size:           2
        .value_kind:     hidden_grid_dims
    .group_segment_fixed_size: 25104
    .kernarg_segment_align: 8
    .kernarg_segment_size: 352
    .language:       OpenCL C
    .language_version:
      - 2
      - 0
    .max_flat_workgroup_size: 512
    .name:           _ZL19rocblas_trsv_deviceILi32ELi16ELb1ELb1ELb0ELb1E19rocblas_complex_numIdEPKS1_S3_PS1_EviT7_lllT6_T8_lllPii
    .private_segment_fixed_size: 0
    .sgpr_count:     107
    .sgpr_spill_count: 29
    .symbol:         _ZL19rocblas_trsv_deviceILi32ELi16ELb1ELb1ELb0ELb1E19rocblas_complex_numIdEPKS1_S3_PS1_EviT7_lllT6_T8_lllPii.kd
    .uniform_work_group_size: 1
    .uses_dynamic_stack: false
    .vgpr_count:     212
    .vgpr_spill_count: 0
    .wavefront_size: 32
  - .args:
      - .offset:         0
        .size:           4
        .value_kind:     by_value
      - .address_space:  global
        .offset:         8
        .size:           8
        .value_kind:     global_buffer
      - .offset:         16
        .size:           8
        .value_kind:     by_value
      - .offset:         24
        .size:           8
        .value_kind:     by_value
      - .offset:         32
        .size:           8
        .value_kind:     by_value
      - .address_space:  global
        .offset:         40
        .size:           8
        .value_kind:     global_buffer
      - .address_space:  global
        .offset:         48
        .size:           8
        .value_kind:     global_buffer
      - .offset:         56
        .size:           8
        .value_kind:     by_value
      - .offset:         64
        .size:           8
        .value_kind:     by_value
      - .offset:         72
        .size:           8
        .value_kind:     by_value
      - .address_space:  global
        .offset:         80
        .size:           8
        .value_kind:     global_buffer
      - .offset:         88
        .size:           4
        .value_kind:     by_value
      - .offset:         96
        .size:           4
        .value_kind:     hidden_block_count_x
      - .offset:         100
        .size:           4
        .value_kind:     hidden_block_count_y
      - .offset:         104
        .size:           4
        .value_kind:     hidden_block_count_z
      - .offset:         108
        .size:           2
        .value_kind:     hidden_group_size_x
      - .offset:         110
        .size:           2
        .value_kind:     hidden_group_size_y
      - .offset:         112
        .size:           2
        .value_kind:     hidden_group_size_z
      - .offset:         114
        .size:           2
        .value_kind:     hidden_remainder_x
      - .offset:         116
        .size:           2
        .value_kind:     hidden_remainder_y
      - .offset:         118
        .size:           2
        .value_kind:     hidden_remainder_z
      - .offset:         136
        .size:           8
        .value_kind:     hidden_global_offset_x
      - .offset:         144
        .size:           8
        .value_kind:     hidden_global_offset_y
      - .offset:         152
        .size:           8
        .value_kind:     hidden_global_offset_z
      - .offset:         160
        .size:           2
        .value_kind:     hidden_grid_dims
    .group_segment_fixed_size: 25104
    .kernarg_segment_align: 8
    .kernarg_segment_size: 352
    .language:       OpenCL C
    .language_version:
      - 2
      - 0
    .max_flat_workgroup_size: 512
    .name:           _ZL19rocblas_trsv_deviceILi32ELi16ELb1ELb1ELb1ELb1E19rocblas_complex_numIdEPKS1_S3_PS1_EviT7_lllT6_T8_lllPii
    .private_segment_fixed_size: 0
    .sgpr_count:     107
    .sgpr_spill_count: 29
    .symbol:         _ZL19rocblas_trsv_deviceILi32ELi16ELb1ELb1ELb1ELb1E19rocblas_complex_numIdEPKS1_S3_PS1_EviT7_lllT6_T8_lllPii.kd
    .uniform_work_group_size: 1
    .uses_dynamic_stack: false
    .vgpr_count:     212
    .vgpr_spill_count: 0
    .wavefront_size: 32
  - .args:
      - .offset:         0
        .size:           4
        .value_kind:     by_value
      - .address_space:  global
        .offset:         8
        .size:           8
        .value_kind:     global_buffer
      - .offset:         16
        .size:           8
        .value_kind:     by_value
      - .offset:         24
        .size:           8
        .value_kind:     by_value
      - .offset:         32
        .size:           8
        .value_kind:     by_value
      - .address_space:  global
        .offset:         40
        .size:           8
        .value_kind:     global_buffer
      - .address_space:  global
        .offset:         48
        .size:           8
        .value_kind:     global_buffer
      - .offset:         56
        .size:           8
        .value_kind:     by_value
      - .offset:         64
        .size:           8
        .value_kind:     by_value
      - .offset:         72
        .size:           8
        .value_kind:     by_value
      - .address_space:  global
        .offset:         80
        .size:           8
        .value_kind:     global_buffer
      - .offset:         88
        .size:           4
        .value_kind:     by_value
      - .offset:         96
        .size:           4
        .value_kind:     hidden_block_count_x
      - .offset:         100
        .size:           4
        .value_kind:     hidden_block_count_y
      - .offset:         104
        .size:           4
        .value_kind:     hidden_block_count_z
      - .offset:         108
        .size:           2
        .value_kind:     hidden_group_size_x
      - .offset:         110
        .size:           2
        .value_kind:     hidden_group_size_y
      - .offset:         112
        .size:           2
        .value_kind:     hidden_group_size_z
      - .offset:         114
        .size:           2
        .value_kind:     hidden_remainder_x
      - .offset:         116
        .size:           2
        .value_kind:     hidden_remainder_y
      - .offset:         118
        .size:           2
        .value_kind:     hidden_remainder_z
      - .offset:         136
        .size:           8
        .value_kind:     hidden_global_offset_x
      - .offset:         144
        .size:           8
        .value_kind:     hidden_global_offset_y
      - .offset:         152
        .size:           8
        .value_kind:     hidden_global_offset_z
      - .offset:         160
        .size:           2
        .value_kind:     hidden_grid_dims
    .group_segment_fixed_size: 25104
    .kernarg_segment_align: 8
    .kernarg_segment_size: 352
    .language:       OpenCL C
    .language_version:
      - 2
      - 0
    .max_flat_workgroup_size: 512
    .name:           _ZL19rocblas_trsv_deviceILi32ELi16ELb1ELb0ELb0ELb0E19rocblas_complex_numIdEPKS1_S3_PS1_EviT7_lllT6_T8_lllPii
    .private_segment_fixed_size: 0
    .sgpr_count:     107
    .sgpr_spill_count: 28
    .symbol:         _ZL19rocblas_trsv_deviceILi32ELi16ELb1ELb0ELb0ELb0E19rocblas_complex_numIdEPKS1_S3_PS1_EviT7_lllT6_T8_lllPii.kd
    .uniform_work_group_size: 1
    .uses_dynamic_stack: false
    .vgpr_count:     77
    .vgpr_spill_count: 0
    .wavefront_size: 32
  - .args:
      - .offset:         0
        .size:           4
        .value_kind:     by_value
      - .address_space:  global
        .offset:         8
        .size:           8
        .value_kind:     global_buffer
      - .offset:         16
        .size:           8
        .value_kind:     by_value
      - .offset:         24
        .size:           8
        .value_kind:     by_value
      - .offset:         32
        .size:           8
        .value_kind:     by_value
      - .address_space:  global
        .offset:         40
        .size:           8
        .value_kind:     global_buffer
      - .address_space:  global
        .offset:         48
        .size:           8
        .value_kind:     global_buffer
      - .offset:         56
        .size:           8
        .value_kind:     by_value
      - .offset:         64
        .size:           8
        .value_kind:     by_value
      - .offset:         72
        .size:           8
        .value_kind:     by_value
      - .address_space:  global
        .offset:         80
        .size:           8
        .value_kind:     global_buffer
      - .offset:         88
        .size:           4
        .value_kind:     by_value
      - .offset:         96
        .size:           4
        .value_kind:     hidden_block_count_x
      - .offset:         100
        .size:           4
        .value_kind:     hidden_block_count_y
      - .offset:         104
        .size:           4
        .value_kind:     hidden_block_count_z
      - .offset:         108
        .size:           2
        .value_kind:     hidden_group_size_x
      - .offset:         110
        .size:           2
        .value_kind:     hidden_group_size_y
      - .offset:         112
        .size:           2
        .value_kind:     hidden_group_size_z
      - .offset:         114
        .size:           2
        .value_kind:     hidden_remainder_x
      - .offset:         116
        .size:           2
        .value_kind:     hidden_remainder_y
      - .offset:         118
        .size:           2
        .value_kind:     hidden_remainder_z
      - .offset:         136
        .size:           8
        .value_kind:     hidden_global_offset_x
      - .offset:         144
        .size:           8
        .value_kind:     hidden_global_offset_y
      - .offset:         152
        .size:           8
        .value_kind:     hidden_global_offset_z
      - .offset:         160
        .size:           2
        .value_kind:     hidden_grid_dims
    .group_segment_fixed_size: 25104
    .kernarg_segment_align: 8
    .kernarg_segment_size: 352
    .language:       OpenCL C
    .language_version:
      - 2
      - 0
    .max_flat_workgroup_size: 512
    .name:           _ZL19rocblas_trsv_deviceILi32ELi16ELb1ELb1ELb0ELb0E19rocblas_complex_numIdEPKS1_S3_PS1_EviT7_lllT6_T8_lllPii
    .private_segment_fixed_size: 0
    .sgpr_count:     107
    .sgpr_spill_count: 30
    .symbol:         _ZL19rocblas_trsv_deviceILi32ELi16ELb1ELb1ELb0ELb0E19rocblas_complex_numIdEPKS1_S3_PS1_EviT7_lllT6_T8_lllPii.kd
    .uniform_work_group_size: 1
    .uses_dynamic_stack: false
    .vgpr_count:     210
    .vgpr_spill_count: 0
    .wavefront_size: 32
  - .args:
      - .offset:         0
        .size:           4
        .value_kind:     by_value
      - .address_space:  global
        .offset:         8
        .size:           8
        .value_kind:     global_buffer
      - .offset:         16
        .size:           8
        .value_kind:     by_value
      - .offset:         24
        .size:           8
        .value_kind:     by_value
      - .offset:         32
        .size:           8
        .value_kind:     by_value
      - .address_space:  global
        .offset:         40
        .size:           8
        .value_kind:     global_buffer
      - .address_space:  global
        .offset:         48
        .size:           8
        .value_kind:     global_buffer
      - .offset:         56
        .size:           8
        .value_kind:     by_value
      - .offset:         64
        .size:           8
        .value_kind:     by_value
      - .offset:         72
        .size:           8
        .value_kind:     by_value
      - .address_space:  global
        .offset:         80
        .size:           8
        .value_kind:     global_buffer
      - .offset:         88
        .size:           4
        .value_kind:     by_value
      - .offset:         96
        .size:           4
        .value_kind:     hidden_block_count_x
      - .offset:         100
        .size:           4
        .value_kind:     hidden_block_count_y
      - .offset:         104
        .size:           4
        .value_kind:     hidden_block_count_z
      - .offset:         108
        .size:           2
        .value_kind:     hidden_group_size_x
      - .offset:         110
        .size:           2
        .value_kind:     hidden_group_size_y
      - .offset:         112
        .size:           2
        .value_kind:     hidden_group_size_z
      - .offset:         114
        .size:           2
        .value_kind:     hidden_remainder_x
      - .offset:         116
        .size:           2
        .value_kind:     hidden_remainder_y
      - .offset:         118
        .size:           2
        .value_kind:     hidden_remainder_z
      - .offset:         136
        .size:           8
        .value_kind:     hidden_global_offset_x
      - .offset:         144
        .size:           8
        .value_kind:     hidden_global_offset_y
      - .offset:         152
        .size:           8
        .value_kind:     hidden_global_offset_z
      - .offset:         160
        .size:           2
        .value_kind:     hidden_grid_dims
    .group_segment_fixed_size: 25104
    .kernarg_segment_align: 8
    .kernarg_segment_size: 352
    .language:       OpenCL C
    .language_version:
      - 2
      - 0
    .max_flat_workgroup_size: 512
    .name:           _ZL19rocblas_trsv_deviceILi32ELi16ELb1ELb1ELb1ELb0E19rocblas_complex_numIdEPKS1_S3_PS1_EviT7_lllT6_T8_lllPii
    .private_segment_fixed_size: 0
    .sgpr_count:     107
    .sgpr_spill_count: 30
    .symbol:         _ZL19rocblas_trsv_deviceILi32ELi16ELb1ELb1ELb1ELb0E19rocblas_complex_numIdEPKS1_S3_PS1_EviT7_lllT6_T8_lllPii.kd
    .uniform_work_group_size: 1
    .uses_dynamic_stack: false
    .vgpr_count:     210
    .vgpr_spill_count: 0
    .wavefront_size: 32
  - .args:
      - .offset:         0
        .size:           4
        .value_kind:     by_value
      - .address_space:  global
        .offset:         8
        .size:           8
        .value_kind:     global_buffer
      - .offset:         16
        .size:           8
        .value_kind:     by_value
      - .offset:         24
        .size:           8
        .value_kind:     by_value
      - .offset:         32
        .size:           8
        .value_kind:     by_value
      - .offset:         40
        .size:           16
        .value_kind:     by_value
      - .address_space:  global
        .offset:         56
        .size:           8
        .value_kind:     global_buffer
      - .offset:         64
        .size:           8
        .value_kind:     by_value
      - .offset:         72
        .size:           8
        .value_kind:     by_value
      - .offset:         80
        .size:           8
        .value_kind:     by_value
      - .address_space:  global
        .offset:         88
        .size:           8
        .value_kind:     global_buffer
      - .offset:         96
        .size:           4
        .value_kind:     by_value
      - .offset:         104
        .size:           4
        .value_kind:     hidden_block_count_x
      - .offset:         108
        .size:           4
        .value_kind:     hidden_block_count_y
      - .offset:         112
        .size:           4
        .value_kind:     hidden_block_count_z
      - .offset:         116
        .size:           2
        .value_kind:     hidden_group_size_x
      - .offset:         118
        .size:           2
        .value_kind:     hidden_group_size_y
      - .offset:         120
        .size:           2
        .value_kind:     hidden_group_size_z
      - .offset:         122
        .size:           2
        .value_kind:     hidden_remainder_x
      - .offset:         124
        .size:           2
        .value_kind:     hidden_remainder_y
      - .offset:         126
        .size:           2
        .value_kind:     hidden_remainder_z
      - .offset:         144
        .size:           8
        .value_kind:     hidden_global_offset_x
      - .offset:         152
        .size:           8
        .value_kind:     hidden_global_offset_y
      - .offset:         160
        .size:           8
        .value_kind:     hidden_global_offset_z
      - .offset:         168
        .size:           2
        .value_kind:     hidden_grid_dims
    .group_segment_fixed_size: 25104
    .kernarg_segment_align: 8
    .kernarg_segment_size: 360
    .language:       OpenCL C
    .language_version:
      - 2
      - 0
    .max_flat_workgroup_size: 512
    .name:           _ZL19rocblas_trsv_deviceILi32ELi16ELb0ELb0ELb0ELb1E19rocblas_complex_numIdES1_PKS1_PS1_EviT7_lllT6_T8_lllPii
    .private_segment_fixed_size: 0
    .sgpr_count:     107
    .sgpr_spill_count: 33
    .symbol:         _ZL19rocblas_trsv_deviceILi32ELi16ELb0ELb0ELb0ELb1E19rocblas_complex_numIdES1_PKS1_PS1_EviT7_lllT6_T8_lllPii.kd
    .uniform_work_group_size: 1
    .uses_dynamic_stack: false
    .vgpr_count:     76
    .vgpr_spill_count: 0
    .wavefront_size: 32
  - .args:
      - .offset:         0
        .size:           4
        .value_kind:     by_value
      - .address_space:  global
        .offset:         8
        .size:           8
        .value_kind:     global_buffer
      - .offset:         16
        .size:           8
        .value_kind:     by_value
      - .offset:         24
        .size:           8
        .value_kind:     by_value
      - .offset:         32
        .size:           8
        .value_kind:     by_value
      - .offset:         40
        .size:           16
        .value_kind:     by_value
      - .address_space:  global
        .offset:         56
        .size:           8
        .value_kind:     global_buffer
      - .offset:         64
        .size:           8
        .value_kind:     by_value
      - .offset:         72
        .size:           8
        .value_kind:     by_value
      - .offset:         80
        .size:           8
        .value_kind:     by_value
      - .address_space:  global
        .offset:         88
        .size:           8
        .value_kind:     global_buffer
      - .offset:         96
        .size:           4
        .value_kind:     by_value
      - .offset:         104
        .size:           4
        .value_kind:     hidden_block_count_x
      - .offset:         108
        .size:           4
        .value_kind:     hidden_block_count_y
      - .offset:         112
        .size:           4
        .value_kind:     hidden_block_count_z
      - .offset:         116
        .size:           2
        .value_kind:     hidden_group_size_x
      - .offset:         118
        .size:           2
        .value_kind:     hidden_group_size_y
      - .offset:         120
        .size:           2
        .value_kind:     hidden_group_size_z
      - .offset:         122
        .size:           2
        .value_kind:     hidden_remainder_x
      - .offset:         124
        .size:           2
        .value_kind:     hidden_remainder_y
      - .offset:         126
        .size:           2
        .value_kind:     hidden_remainder_z
      - .offset:         144
        .size:           8
        .value_kind:     hidden_global_offset_x
      - .offset:         152
        .size:           8
        .value_kind:     hidden_global_offset_y
      - .offset:         160
        .size:           8
        .value_kind:     hidden_global_offset_z
      - .offset:         168
        .size:           2
        .value_kind:     hidden_grid_dims
    .group_segment_fixed_size: 25104
    .kernarg_segment_align: 8
    .kernarg_segment_size: 360
    .language:       OpenCL C
    .language_version:
      - 2
      - 0
    .max_flat_workgroup_size: 512
    .name:           _ZL19rocblas_trsv_deviceILi32ELi16ELb0ELb1ELb0ELb1E19rocblas_complex_numIdES1_PKS1_PS1_EviT7_lllT6_T8_lllPii
    .private_segment_fixed_size: 0
    .sgpr_count:     107
    .sgpr_spill_count: 27
    .symbol:         _ZL19rocblas_trsv_deviceILi32ELi16ELb0ELb1ELb0ELb1E19rocblas_complex_numIdES1_PKS1_PS1_EviT7_lllT6_T8_lllPii.kd
    .uniform_work_group_size: 1
    .uses_dynamic_stack: false
    .vgpr_count:     209
    .vgpr_spill_count: 0
    .wavefront_size: 32
  - .args:
      - .offset:         0
        .size:           4
        .value_kind:     by_value
      - .address_space:  global
        .offset:         8
        .size:           8
        .value_kind:     global_buffer
      - .offset:         16
        .size:           8
        .value_kind:     by_value
      - .offset:         24
        .size:           8
        .value_kind:     by_value
      - .offset:         32
        .size:           8
        .value_kind:     by_value
      - .offset:         40
        .size:           16
        .value_kind:     by_value
      - .address_space:  global
        .offset:         56
        .size:           8
        .value_kind:     global_buffer
      - .offset:         64
        .size:           8
        .value_kind:     by_value
      - .offset:         72
        .size:           8
        .value_kind:     by_value
      - .offset:         80
        .size:           8
        .value_kind:     by_value
      - .address_space:  global
        .offset:         88
        .size:           8
        .value_kind:     global_buffer
      - .offset:         96
        .size:           4
        .value_kind:     by_value
      - .offset:         104
        .size:           4
        .value_kind:     hidden_block_count_x
      - .offset:         108
        .size:           4
        .value_kind:     hidden_block_count_y
      - .offset:         112
        .size:           4
        .value_kind:     hidden_block_count_z
      - .offset:         116
        .size:           2
        .value_kind:     hidden_group_size_x
      - .offset:         118
        .size:           2
        .value_kind:     hidden_group_size_y
      - .offset:         120
        .size:           2
        .value_kind:     hidden_group_size_z
      - .offset:         122
        .size:           2
        .value_kind:     hidden_remainder_x
      - .offset:         124
        .size:           2
        .value_kind:     hidden_remainder_y
      - .offset:         126
        .size:           2
        .value_kind:     hidden_remainder_z
      - .offset:         144
        .size:           8
        .value_kind:     hidden_global_offset_x
      - .offset:         152
        .size:           8
        .value_kind:     hidden_global_offset_y
      - .offset:         160
        .size:           8
        .value_kind:     hidden_global_offset_z
      - .offset:         168
        .size:           2
        .value_kind:     hidden_grid_dims
    .group_segment_fixed_size: 25104
    .kernarg_segment_align: 8
    .kernarg_segment_size: 360
    .language:       OpenCL C
    .language_version:
      - 2
      - 0
    .max_flat_workgroup_size: 512
    .name:           _ZL19rocblas_trsv_deviceILi32ELi16ELb0ELb1ELb1ELb1E19rocblas_complex_numIdES1_PKS1_PS1_EviT7_lllT6_T8_lllPii
    .private_segment_fixed_size: 0
    .sgpr_count:     107
    .sgpr_spill_count: 27
    .symbol:         _ZL19rocblas_trsv_deviceILi32ELi16ELb0ELb1ELb1ELb1E19rocblas_complex_numIdES1_PKS1_PS1_EviT7_lllT6_T8_lllPii.kd
    .uniform_work_group_size: 1
    .uses_dynamic_stack: false
    .vgpr_count:     209
    .vgpr_spill_count: 0
    .wavefront_size: 32
  - .args:
      - .offset:         0
        .size:           4
        .value_kind:     by_value
      - .address_space:  global
        .offset:         8
        .size:           8
        .value_kind:     global_buffer
      - .offset:         16
        .size:           8
        .value_kind:     by_value
      - .offset:         24
        .size:           8
        .value_kind:     by_value
      - .offset:         32
        .size:           8
        .value_kind:     by_value
      - .offset:         40
        .size:           16
        .value_kind:     by_value
      - .address_space:  global
        .offset:         56
        .size:           8
        .value_kind:     global_buffer
      - .offset:         64
        .size:           8
        .value_kind:     by_value
      - .offset:         72
        .size:           8
        .value_kind:     by_value
      - .offset:         80
        .size:           8
        .value_kind:     by_value
      - .address_space:  global
        .offset:         88
        .size:           8
        .value_kind:     global_buffer
      - .offset:         96
        .size:           4
        .value_kind:     by_value
      - .offset:         104
        .size:           4
        .value_kind:     hidden_block_count_x
      - .offset:         108
        .size:           4
        .value_kind:     hidden_block_count_y
      - .offset:         112
        .size:           4
        .value_kind:     hidden_block_count_z
      - .offset:         116
        .size:           2
        .value_kind:     hidden_group_size_x
      - .offset:         118
        .size:           2
        .value_kind:     hidden_group_size_y
      - .offset:         120
        .size:           2
        .value_kind:     hidden_group_size_z
      - .offset:         122
        .size:           2
        .value_kind:     hidden_remainder_x
      - .offset:         124
        .size:           2
        .value_kind:     hidden_remainder_y
      - .offset:         126
        .size:           2
        .value_kind:     hidden_remainder_z
      - .offset:         144
        .size:           8
        .value_kind:     hidden_global_offset_x
      - .offset:         152
        .size:           8
        .value_kind:     hidden_global_offset_y
      - .offset:         160
        .size:           8
        .value_kind:     hidden_global_offset_z
      - .offset:         168
        .size:           2
        .value_kind:     hidden_grid_dims
    .group_segment_fixed_size: 25104
    .kernarg_segment_align: 8
    .kernarg_segment_size: 360
    .language:       OpenCL C
    .language_version:
      - 2
      - 0
    .max_flat_workgroup_size: 512
    .name:           _ZL19rocblas_trsv_deviceILi32ELi16ELb0ELb0ELb0ELb0E19rocblas_complex_numIdES1_PKS1_PS1_EviT7_lllT6_T8_lllPii
    .private_segment_fixed_size: 0
    .sgpr_count:     107
    .sgpr_spill_count: 34
    .symbol:         _ZL19rocblas_trsv_deviceILi32ELi16ELb0ELb0ELb0ELb0E19rocblas_complex_numIdES1_PKS1_PS1_EviT7_lllT6_T8_lllPii.kd
    .uniform_work_group_size: 1
    .uses_dynamic_stack: false
    .vgpr_count:     76
    .vgpr_spill_count: 0
    .wavefront_size: 32
  - .args:
      - .offset:         0
        .size:           4
        .value_kind:     by_value
      - .address_space:  global
        .offset:         8
        .size:           8
        .value_kind:     global_buffer
      - .offset:         16
        .size:           8
        .value_kind:     by_value
      - .offset:         24
        .size:           8
        .value_kind:     by_value
      - .offset:         32
        .size:           8
        .value_kind:     by_value
      - .offset:         40
        .size:           16
        .value_kind:     by_value
      - .address_space:  global
        .offset:         56
        .size:           8
        .value_kind:     global_buffer
      - .offset:         64
        .size:           8
        .value_kind:     by_value
      - .offset:         72
        .size:           8
        .value_kind:     by_value
      - .offset:         80
        .size:           8
        .value_kind:     by_value
      - .address_space:  global
        .offset:         88
        .size:           8
        .value_kind:     global_buffer
      - .offset:         96
        .size:           4
        .value_kind:     by_value
      - .offset:         104
        .size:           4
        .value_kind:     hidden_block_count_x
      - .offset:         108
        .size:           4
        .value_kind:     hidden_block_count_y
      - .offset:         112
        .size:           4
        .value_kind:     hidden_block_count_z
      - .offset:         116
        .size:           2
        .value_kind:     hidden_group_size_x
      - .offset:         118
        .size:           2
        .value_kind:     hidden_group_size_y
      - .offset:         120
        .size:           2
        .value_kind:     hidden_group_size_z
      - .offset:         122
        .size:           2
        .value_kind:     hidden_remainder_x
      - .offset:         124
        .size:           2
        .value_kind:     hidden_remainder_y
      - .offset:         126
        .size:           2
        .value_kind:     hidden_remainder_z
      - .offset:         144
        .size:           8
        .value_kind:     hidden_global_offset_x
      - .offset:         152
        .size:           8
        .value_kind:     hidden_global_offset_y
      - .offset:         160
        .size:           8
        .value_kind:     hidden_global_offset_z
      - .offset:         168
        .size:           2
        .value_kind:     hidden_grid_dims
    .group_segment_fixed_size: 25104
    .kernarg_segment_align: 8
    .kernarg_segment_size: 360
    .language:       OpenCL C
    .language_version:
      - 2
      - 0
    .max_flat_workgroup_size: 512
    .name:           _ZL19rocblas_trsv_deviceILi32ELi16ELb0ELb1ELb0ELb0E19rocblas_complex_numIdES1_PKS1_PS1_EviT7_lllT6_T8_lllPii
    .private_segment_fixed_size: 0
    .sgpr_count:     107
    .sgpr_spill_count: 28
    .symbol:         _ZL19rocblas_trsv_deviceILi32ELi16ELb0ELb1ELb0ELb0E19rocblas_complex_numIdES1_PKS1_PS1_EviT7_lllT6_T8_lllPii.kd
    .uniform_work_group_size: 1
    .uses_dynamic_stack: false
    .vgpr_count:     209
    .vgpr_spill_count: 0
    .wavefront_size: 32
  - .args:
      - .offset:         0
        .size:           4
        .value_kind:     by_value
      - .address_space:  global
        .offset:         8
        .size:           8
        .value_kind:     global_buffer
      - .offset:         16
        .size:           8
        .value_kind:     by_value
      - .offset:         24
        .size:           8
        .value_kind:     by_value
      - .offset:         32
        .size:           8
        .value_kind:     by_value
      - .offset:         40
        .size:           16
        .value_kind:     by_value
      - .address_space:  global
        .offset:         56
        .size:           8
        .value_kind:     global_buffer
      - .offset:         64
        .size:           8
        .value_kind:     by_value
      - .offset:         72
        .size:           8
        .value_kind:     by_value
      - .offset:         80
        .size:           8
        .value_kind:     by_value
      - .address_space:  global
        .offset:         88
        .size:           8
        .value_kind:     global_buffer
      - .offset:         96
        .size:           4
        .value_kind:     by_value
      - .offset:         104
        .size:           4
        .value_kind:     hidden_block_count_x
      - .offset:         108
        .size:           4
        .value_kind:     hidden_block_count_y
      - .offset:         112
        .size:           4
        .value_kind:     hidden_block_count_z
      - .offset:         116
        .size:           2
        .value_kind:     hidden_group_size_x
      - .offset:         118
        .size:           2
        .value_kind:     hidden_group_size_y
      - .offset:         120
        .size:           2
        .value_kind:     hidden_group_size_z
      - .offset:         122
        .size:           2
        .value_kind:     hidden_remainder_x
      - .offset:         124
        .size:           2
        .value_kind:     hidden_remainder_y
      - .offset:         126
        .size:           2
        .value_kind:     hidden_remainder_z
      - .offset:         144
        .size:           8
        .value_kind:     hidden_global_offset_x
      - .offset:         152
        .size:           8
        .value_kind:     hidden_global_offset_y
      - .offset:         160
        .size:           8
        .value_kind:     hidden_global_offset_z
      - .offset:         168
        .size:           2
        .value_kind:     hidden_grid_dims
    .group_segment_fixed_size: 25104
    .kernarg_segment_align: 8
    .kernarg_segment_size: 360
    .language:       OpenCL C
    .language_version:
      - 2
      - 0
    .max_flat_workgroup_size: 512
    .name:           _ZL19rocblas_trsv_deviceILi32ELi16ELb0ELb1ELb1ELb0E19rocblas_complex_numIdES1_PKS1_PS1_EviT7_lllT6_T8_lllPii
    .private_segment_fixed_size: 0
    .sgpr_count:     107
    .sgpr_spill_count: 28
    .symbol:         _ZL19rocblas_trsv_deviceILi32ELi16ELb0ELb1ELb1ELb0E19rocblas_complex_numIdES1_PKS1_PS1_EviT7_lllT6_T8_lllPii.kd
    .uniform_work_group_size: 1
    .uses_dynamic_stack: false
    .vgpr_count:     209
    .vgpr_spill_count: 0
    .wavefront_size: 32
  - .args:
      - .offset:         0
        .size:           4
        .value_kind:     by_value
      - .address_space:  global
        .offset:         8
        .size:           8
        .value_kind:     global_buffer
      - .offset:         16
        .size:           8
        .value_kind:     by_value
      - .offset:         24
        .size:           8
        .value_kind:     by_value
      - .offset:         32
        .size:           8
        .value_kind:     by_value
      - .offset:         40
        .size:           16
        .value_kind:     by_value
      - .address_space:  global
        .offset:         56
        .size:           8
        .value_kind:     global_buffer
      - .offset:         64
        .size:           8
        .value_kind:     by_value
      - .offset:         72
        .size:           8
        .value_kind:     by_value
      - .offset:         80
        .size:           8
        .value_kind:     by_value
      - .address_space:  global
        .offset:         88
        .size:           8
        .value_kind:     global_buffer
      - .offset:         96
        .size:           4
        .value_kind:     by_value
      - .offset:         104
        .size:           4
        .value_kind:     hidden_block_count_x
      - .offset:         108
        .size:           4
        .value_kind:     hidden_block_count_y
      - .offset:         112
        .size:           4
        .value_kind:     hidden_block_count_z
      - .offset:         116
        .size:           2
        .value_kind:     hidden_group_size_x
      - .offset:         118
        .size:           2
        .value_kind:     hidden_group_size_y
      - .offset:         120
        .size:           2
        .value_kind:     hidden_group_size_z
      - .offset:         122
        .size:           2
        .value_kind:     hidden_remainder_x
      - .offset:         124
        .size:           2
        .value_kind:     hidden_remainder_y
      - .offset:         126
        .size:           2
        .value_kind:     hidden_remainder_z
      - .offset:         144
        .size:           8
        .value_kind:     hidden_global_offset_x
      - .offset:         152
        .size:           8
        .value_kind:     hidden_global_offset_y
      - .offset:         160
        .size:           8
        .value_kind:     hidden_global_offset_z
      - .offset:         168
        .size:           2
        .value_kind:     hidden_grid_dims
    .group_segment_fixed_size: 25104
    .kernarg_segment_align: 8
    .kernarg_segment_size: 360
    .language:       OpenCL C
    .language_version:
      - 2
      - 0
    .max_flat_workgroup_size: 512
    .name:           _ZL19rocblas_trsv_deviceILi32ELi16ELb1ELb0ELb0ELb1E19rocblas_complex_numIdES1_PKS1_PS1_EviT7_lllT6_T8_lllPii
    .private_segment_fixed_size: 0
    .sgpr_count:     107
    .sgpr_spill_count: 29
    .symbol:         _ZL19rocblas_trsv_deviceILi32ELi16ELb1ELb0ELb0ELb1E19rocblas_complex_numIdES1_PKS1_PS1_EviT7_lllT6_T8_lllPii.kd
    .uniform_work_group_size: 1
    .uses_dynamic_stack: false
    .vgpr_count:     77
    .vgpr_spill_count: 0
    .wavefront_size: 32
  - .args:
      - .offset:         0
        .size:           4
        .value_kind:     by_value
      - .address_space:  global
        .offset:         8
        .size:           8
        .value_kind:     global_buffer
      - .offset:         16
        .size:           8
        .value_kind:     by_value
      - .offset:         24
        .size:           8
        .value_kind:     by_value
      - .offset:         32
        .size:           8
        .value_kind:     by_value
      - .offset:         40
        .size:           16
        .value_kind:     by_value
      - .address_space:  global
        .offset:         56
        .size:           8
        .value_kind:     global_buffer
      - .offset:         64
        .size:           8
        .value_kind:     by_value
      - .offset:         72
        .size:           8
        .value_kind:     by_value
      - .offset:         80
        .size:           8
        .value_kind:     by_value
      - .address_space:  global
        .offset:         88
        .size:           8
        .value_kind:     global_buffer
      - .offset:         96
        .size:           4
        .value_kind:     by_value
      - .offset:         104
        .size:           4
        .value_kind:     hidden_block_count_x
      - .offset:         108
        .size:           4
        .value_kind:     hidden_block_count_y
      - .offset:         112
        .size:           4
        .value_kind:     hidden_block_count_z
      - .offset:         116
        .size:           2
        .value_kind:     hidden_group_size_x
      - .offset:         118
        .size:           2
        .value_kind:     hidden_group_size_y
      - .offset:         120
        .size:           2
        .value_kind:     hidden_group_size_z
      - .offset:         122
        .size:           2
        .value_kind:     hidden_remainder_x
      - .offset:         124
        .size:           2
        .value_kind:     hidden_remainder_y
      - .offset:         126
        .size:           2
        .value_kind:     hidden_remainder_z
      - .offset:         144
        .size:           8
        .value_kind:     hidden_global_offset_x
      - .offset:         152
        .size:           8
        .value_kind:     hidden_global_offset_y
      - .offset:         160
        .size:           8
        .value_kind:     hidden_global_offset_z
      - .offset:         168
        .size:           2
        .value_kind:     hidden_grid_dims
    .group_segment_fixed_size: 25104
    .kernarg_segment_align: 8
    .kernarg_segment_size: 360
    .language:       OpenCL C
    .language_version:
      - 2
      - 0
    .max_flat_workgroup_size: 512
    .name:           _ZL19rocblas_trsv_deviceILi32ELi16ELb1ELb1ELb0ELb1E19rocblas_complex_numIdES1_PKS1_PS1_EviT7_lllT6_T8_lllPii
    .private_segment_fixed_size: 0
    .sgpr_count:     107
    .sgpr_spill_count: 31
    .symbol:         _ZL19rocblas_trsv_deviceILi32ELi16ELb1ELb1ELb0ELb1E19rocblas_complex_numIdES1_PKS1_PS1_EviT7_lllT6_T8_lllPii.kd
    .uniform_work_group_size: 1
    .uses_dynamic_stack: false
    .vgpr_count:     210
    .vgpr_spill_count: 0
    .wavefront_size: 32
  - .args:
      - .offset:         0
        .size:           4
        .value_kind:     by_value
      - .address_space:  global
        .offset:         8
        .size:           8
        .value_kind:     global_buffer
      - .offset:         16
        .size:           8
        .value_kind:     by_value
      - .offset:         24
        .size:           8
        .value_kind:     by_value
      - .offset:         32
        .size:           8
        .value_kind:     by_value
      - .offset:         40
        .size:           16
        .value_kind:     by_value
      - .address_space:  global
        .offset:         56
        .size:           8
        .value_kind:     global_buffer
      - .offset:         64
        .size:           8
        .value_kind:     by_value
      - .offset:         72
        .size:           8
        .value_kind:     by_value
      - .offset:         80
        .size:           8
        .value_kind:     by_value
      - .address_space:  global
        .offset:         88
        .size:           8
        .value_kind:     global_buffer
      - .offset:         96
        .size:           4
        .value_kind:     by_value
      - .offset:         104
        .size:           4
        .value_kind:     hidden_block_count_x
      - .offset:         108
        .size:           4
        .value_kind:     hidden_block_count_y
      - .offset:         112
        .size:           4
        .value_kind:     hidden_block_count_z
      - .offset:         116
        .size:           2
        .value_kind:     hidden_group_size_x
      - .offset:         118
        .size:           2
        .value_kind:     hidden_group_size_y
      - .offset:         120
        .size:           2
        .value_kind:     hidden_group_size_z
      - .offset:         122
        .size:           2
        .value_kind:     hidden_remainder_x
      - .offset:         124
        .size:           2
        .value_kind:     hidden_remainder_y
      - .offset:         126
        .size:           2
        .value_kind:     hidden_remainder_z
      - .offset:         144
        .size:           8
        .value_kind:     hidden_global_offset_x
      - .offset:         152
        .size:           8
        .value_kind:     hidden_global_offset_y
      - .offset:         160
        .size:           8
        .value_kind:     hidden_global_offset_z
      - .offset:         168
        .size:           2
        .value_kind:     hidden_grid_dims
    .group_segment_fixed_size: 25104
    .kernarg_segment_align: 8
    .kernarg_segment_size: 360
    .language:       OpenCL C
    .language_version:
      - 2
      - 0
    .max_flat_workgroup_size: 512
    .name:           _ZL19rocblas_trsv_deviceILi32ELi16ELb1ELb1ELb1ELb1E19rocblas_complex_numIdES1_PKS1_PS1_EviT7_lllT6_T8_lllPii
    .private_segment_fixed_size: 0
    .sgpr_count:     107
    .sgpr_spill_count: 31
    .symbol:         _ZL19rocblas_trsv_deviceILi32ELi16ELb1ELb1ELb1ELb1E19rocblas_complex_numIdES1_PKS1_PS1_EviT7_lllT6_T8_lllPii.kd
    .uniform_work_group_size: 1
    .uses_dynamic_stack: false
    .vgpr_count:     210
    .vgpr_spill_count: 0
    .wavefront_size: 32
  - .args:
      - .offset:         0
        .size:           4
        .value_kind:     by_value
      - .address_space:  global
        .offset:         8
        .size:           8
        .value_kind:     global_buffer
      - .offset:         16
        .size:           8
        .value_kind:     by_value
      - .offset:         24
        .size:           8
        .value_kind:     by_value
      - .offset:         32
        .size:           8
        .value_kind:     by_value
      - .offset:         40
        .size:           16
        .value_kind:     by_value
      - .address_space:  global
        .offset:         56
        .size:           8
        .value_kind:     global_buffer
      - .offset:         64
        .size:           8
        .value_kind:     by_value
      - .offset:         72
        .size:           8
        .value_kind:     by_value
      - .offset:         80
        .size:           8
        .value_kind:     by_value
      - .address_space:  global
        .offset:         88
        .size:           8
        .value_kind:     global_buffer
      - .offset:         96
        .size:           4
        .value_kind:     by_value
      - .offset:         104
        .size:           4
        .value_kind:     hidden_block_count_x
      - .offset:         108
        .size:           4
        .value_kind:     hidden_block_count_y
      - .offset:         112
        .size:           4
        .value_kind:     hidden_block_count_z
      - .offset:         116
        .size:           2
        .value_kind:     hidden_group_size_x
      - .offset:         118
        .size:           2
        .value_kind:     hidden_group_size_y
      - .offset:         120
        .size:           2
        .value_kind:     hidden_group_size_z
      - .offset:         122
        .size:           2
        .value_kind:     hidden_remainder_x
      - .offset:         124
        .size:           2
        .value_kind:     hidden_remainder_y
      - .offset:         126
        .size:           2
        .value_kind:     hidden_remainder_z
      - .offset:         144
        .size:           8
        .value_kind:     hidden_global_offset_x
      - .offset:         152
        .size:           8
        .value_kind:     hidden_global_offset_y
      - .offset:         160
        .size:           8
        .value_kind:     hidden_global_offset_z
      - .offset:         168
        .size:           2
        .value_kind:     hidden_grid_dims
    .group_segment_fixed_size: 25104
    .kernarg_segment_align: 8
    .kernarg_segment_size: 360
    .language:       OpenCL C
    .language_version:
      - 2
      - 0
    .max_flat_workgroup_size: 512
    .name:           _ZL19rocblas_trsv_deviceILi32ELi16ELb1ELb0ELb0ELb0E19rocblas_complex_numIdES1_PKS1_PS1_EviT7_lllT6_T8_lllPii
    .private_segment_fixed_size: 0
    .sgpr_count:     107
    .sgpr_spill_count: 30
    .symbol:         _ZL19rocblas_trsv_deviceILi32ELi16ELb1ELb0ELb0ELb0E19rocblas_complex_numIdES1_PKS1_PS1_EviT7_lllT6_T8_lllPii.kd
    .uniform_work_group_size: 1
    .uses_dynamic_stack: false
    .vgpr_count:     77
    .vgpr_spill_count: 0
    .wavefront_size: 32
  - .args:
      - .offset:         0
        .size:           4
        .value_kind:     by_value
      - .address_space:  global
        .offset:         8
        .size:           8
        .value_kind:     global_buffer
      - .offset:         16
        .size:           8
        .value_kind:     by_value
      - .offset:         24
        .size:           8
        .value_kind:     by_value
      - .offset:         32
        .size:           8
        .value_kind:     by_value
      - .offset:         40
        .size:           16
        .value_kind:     by_value
      - .address_space:  global
        .offset:         56
        .size:           8
        .value_kind:     global_buffer
      - .offset:         64
        .size:           8
        .value_kind:     by_value
      - .offset:         72
        .size:           8
        .value_kind:     by_value
      - .offset:         80
        .size:           8
        .value_kind:     by_value
      - .address_space:  global
        .offset:         88
        .size:           8
        .value_kind:     global_buffer
      - .offset:         96
        .size:           4
        .value_kind:     by_value
      - .offset:         104
        .size:           4
        .value_kind:     hidden_block_count_x
      - .offset:         108
        .size:           4
        .value_kind:     hidden_block_count_y
      - .offset:         112
        .size:           4
        .value_kind:     hidden_block_count_z
      - .offset:         116
        .size:           2
        .value_kind:     hidden_group_size_x
      - .offset:         118
        .size:           2
        .value_kind:     hidden_group_size_y
      - .offset:         120
        .size:           2
        .value_kind:     hidden_group_size_z
      - .offset:         122
        .size:           2
        .value_kind:     hidden_remainder_x
      - .offset:         124
        .size:           2
        .value_kind:     hidden_remainder_y
      - .offset:         126
        .size:           2
        .value_kind:     hidden_remainder_z
      - .offset:         144
        .size:           8
        .value_kind:     hidden_global_offset_x
      - .offset:         152
        .size:           8
        .value_kind:     hidden_global_offset_y
      - .offset:         160
        .size:           8
        .value_kind:     hidden_global_offset_z
      - .offset:         168
        .size:           2
        .value_kind:     hidden_grid_dims
    .group_segment_fixed_size: 25104
    .kernarg_segment_align: 8
    .kernarg_segment_size: 360
    .language:       OpenCL C
    .language_version:
      - 2
      - 0
    .max_flat_workgroup_size: 512
    .name:           _ZL19rocblas_trsv_deviceILi32ELi16ELb1ELb1ELb0ELb0E19rocblas_complex_numIdES1_PKS1_PS1_EviT7_lllT6_T8_lllPii
    .private_segment_fixed_size: 0
    .sgpr_count:     107
    .sgpr_spill_count: 32
    .symbol:         _ZL19rocblas_trsv_deviceILi32ELi16ELb1ELb1ELb0ELb0E19rocblas_complex_numIdES1_PKS1_PS1_EviT7_lllT6_T8_lllPii.kd
    .uniform_work_group_size: 1
    .uses_dynamic_stack: false
    .vgpr_count:     209
    .vgpr_spill_count: 0
    .wavefront_size: 32
  - .args:
      - .offset:         0
        .size:           4
        .value_kind:     by_value
      - .address_space:  global
        .offset:         8
        .size:           8
        .value_kind:     global_buffer
      - .offset:         16
        .size:           8
        .value_kind:     by_value
      - .offset:         24
        .size:           8
        .value_kind:     by_value
      - .offset:         32
        .size:           8
        .value_kind:     by_value
      - .offset:         40
        .size:           16
        .value_kind:     by_value
      - .address_space:  global
        .offset:         56
        .size:           8
        .value_kind:     global_buffer
      - .offset:         64
        .size:           8
        .value_kind:     by_value
      - .offset:         72
        .size:           8
        .value_kind:     by_value
      - .offset:         80
        .size:           8
        .value_kind:     by_value
      - .address_space:  global
        .offset:         88
        .size:           8
        .value_kind:     global_buffer
      - .offset:         96
        .size:           4
        .value_kind:     by_value
      - .offset:         104
        .size:           4
        .value_kind:     hidden_block_count_x
      - .offset:         108
        .size:           4
        .value_kind:     hidden_block_count_y
      - .offset:         112
        .size:           4
        .value_kind:     hidden_block_count_z
      - .offset:         116
        .size:           2
        .value_kind:     hidden_group_size_x
      - .offset:         118
        .size:           2
        .value_kind:     hidden_group_size_y
      - .offset:         120
        .size:           2
        .value_kind:     hidden_group_size_z
      - .offset:         122
        .size:           2
        .value_kind:     hidden_remainder_x
      - .offset:         124
        .size:           2
        .value_kind:     hidden_remainder_y
      - .offset:         126
        .size:           2
        .value_kind:     hidden_remainder_z
      - .offset:         144
        .size:           8
        .value_kind:     hidden_global_offset_x
      - .offset:         152
        .size:           8
        .value_kind:     hidden_global_offset_y
      - .offset:         160
        .size:           8
        .value_kind:     hidden_global_offset_z
      - .offset:         168
        .size:           2
        .value_kind:     hidden_grid_dims
    .group_segment_fixed_size: 25104
    .kernarg_segment_align: 8
    .kernarg_segment_size: 360
    .language:       OpenCL C
    .language_version:
      - 2
      - 0
    .max_flat_workgroup_size: 512
    .name:           _ZL19rocblas_trsv_deviceILi32ELi16ELb1ELb1ELb1ELb0E19rocblas_complex_numIdES1_PKS1_PS1_EviT7_lllT6_T8_lllPii
    .private_segment_fixed_size: 0
    .sgpr_count:     107
    .sgpr_spill_count: 32
    .symbol:         _ZL19rocblas_trsv_deviceILi32ELi16ELb1ELb1ELb1ELb0E19rocblas_complex_numIdES1_PKS1_PS1_EviT7_lllT6_T8_lllPii.kd
    .uniform_work_group_size: 1
    .uses_dynamic_stack: false
    .vgpr_count:     209
    .vgpr_spill_count: 0
    .wavefront_size: 32
  - .args:
      - .offset:         0
        .size:           4
        .value_kind:     by_value
      - .address_space:  global
        .offset:         8
        .size:           8
        .value_kind:     global_buffer
      - .offset:         16
        .size:           8
        .value_kind:     by_value
      - .offset:         24
        .size:           8
        .value_kind:     by_value
      - .offset:         32
        .size:           8
        .value_kind:     by_value
      - .address_space:  global
        .offset:         40
        .size:           8
        .value_kind:     global_buffer
      - .address_space:  global
        .offset:         48
        .size:           8
        .value_kind:     global_buffer
      - .offset:         56
        .size:           8
        .value_kind:     by_value
      - .offset:         64
        .size:           8
        .value_kind:     by_value
      - .offset:         72
        .size:           8
        .value_kind:     by_value
      - .address_space:  global
        .offset:         80
        .size:           8
        .value_kind:     global_buffer
      - .offset:         88
        .size:           4
        .value_kind:     by_value
      - .offset:         96
        .size:           4
        .value_kind:     hidden_block_count_x
      - .offset:         100
        .size:           4
        .value_kind:     hidden_block_count_y
      - .offset:         104
        .size:           4
        .value_kind:     hidden_block_count_z
      - .offset:         108
        .size:           2
        .value_kind:     hidden_group_size_x
      - .offset:         110
        .size:           2
        .value_kind:     hidden_group_size_y
      - .offset:         112
        .size:           2
        .value_kind:     hidden_group_size_z
      - .offset:         114
        .size:           2
        .value_kind:     hidden_remainder_x
      - .offset:         116
        .size:           2
        .value_kind:     hidden_remainder_y
      - .offset:         118
        .size:           2
        .value_kind:     hidden_remainder_z
      - .offset:         136
        .size:           8
        .value_kind:     hidden_global_offset_x
      - .offset:         144
        .size:           8
        .value_kind:     hidden_global_offset_y
      - .offset:         152
        .size:           8
        .value_kind:     hidden_global_offset_z
      - .offset:         160
        .size:           2
        .value_kind:     hidden_grid_dims
    .group_segment_fixed_size: 20740
    .kernarg_segment_align: 8
    .kernarg_segment_size: 352
    .language:       OpenCL C
    .language_version:
      - 2
      - 0
    .max_flat_workgroup_size: 1024
    .name:           _ZL19rocblas_trsv_deviceILi64ELi16ELb0ELb0ELb0ELb1EfPKfPKS1_PKPfEviT7_lllT6_T8_lllPii
    .private_segment_fixed_size: 0
    .sgpr_count:     107
    .sgpr_spill_count: 127
    .symbol:         _ZL19rocblas_trsv_deviceILi64ELi16ELb0ELb0ELb0ELb1EfPKfPKS1_PKPfEviT7_lllT6_T8_lllPii.kd
    .uniform_work_group_size: 1
    .uses_dynamic_stack: false
    .vgpr_count:     78
    .vgpr_spill_count: 0
    .wavefront_size: 32
  - .args:
      - .offset:         0
        .size:           4
        .value_kind:     by_value
      - .address_space:  global
        .offset:         8
        .size:           8
        .value_kind:     global_buffer
      - .offset:         16
        .size:           8
        .value_kind:     by_value
      - .offset:         24
        .size:           8
        .value_kind:     by_value
      - .offset:         32
        .size:           8
        .value_kind:     by_value
      - .address_space:  global
        .offset:         40
        .size:           8
        .value_kind:     global_buffer
      - .address_space:  global
        .offset:         48
        .size:           8
        .value_kind:     global_buffer
      - .offset:         56
        .size:           8
        .value_kind:     by_value
      - .offset:         64
        .size:           8
        .value_kind:     by_value
      - .offset:         72
        .size:           8
        .value_kind:     by_value
      - .address_space:  global
        .offset:         80
        .size:           8
        .value_kind:     global_buffer
      - .offset:         88
        .size:           4
        .value_kind:     by_value
      - .offset:         96
        .size:           4
        .value_kind:     hidden_block_count_x
      - .offset:         100
        .size:           4
        .value_kind:     hidden_block_count_y
      - .offset:         104
        .size:           4
        .value_kind:     hidden_block_count_z
      - .offset:         108
        .size:           2
        .value_kind:     hidden_group_size_x
      - .offset:         110
        .size:           2
        .value_kind:     hidden_group_size_y
      - .offset:         112
        .size:           2
        .value_kind:     hidden_group_size_z
      - .offset:         114
        .size:           2
        .value_kind:     hidden_remainder_x
      - .offset:         116
        .size:           2
        .value_kind:     hidden_remainder_y
      - .offset:         118
        .size:           2
        .value_kind:     hidden_remainder_z
      - .offset:         136
        .size:           8
        .value_kind:     hidden_global_offset_x
      - .offset:         144
        .size:           8
        .value_kind:     hidden_global_offset_y
      - .offset:         152
        .size:           8
        .value_kind:     hidden_global_offset_z
      - .offset:         160
        .size:           2
        .value_kind:     hidden_grid_dims
    .group_segment_fixed_size: 20740
    .kernarg_segment_align: 8
    .kernarg_segment_size: 352
    .language:       OpenCL C
    .language_version:
      - 2
      - 0
    .max_flat_workgroup_size: 1024
    .name:           _ZL19rocblas_trsv_deviceILi64ELi16ELb0ELb1ELb0ELb1EfPKfPKS1_PKPfEviT7_lllT6_T8_lllPii
    .private_segment_fixed_size: 0
    .sgpr_count:     107
    .sgpr_spill_count: 116
    .symbol:         _ZL19rocblas_trsv_deviceILi64ELi16ELb0ELb1ELb0ELb1EfPKfPKS1_PKPfEviT7_lllT6_T8_lllPii.kd
    .uniform_work_group_size: 1
    .uses_dynamic_stack: false
    .vgpr_count:     92
    .vgpr_spill_count: 0
    .wavefront_size: 32
  - .args:
      - .offset:         0
        .size:           4
        .value_kind:     by_value
      - .address_space:  global
        .offset:         8
        .size:           8
        .value_kind:     global_buffer
      - .offset:         16
        .size:           8
        .value_kind:     by_value
      - .offset:         24
        .size:           8
        .value_kind:     by_value
      - .offset:         32
        .size:           8
        .value_kind:     by_value
      - .address_space:  global
        .offset:         40
        .size:           8
        .value_kind:     global_buffer
      - .address_space:  global
        .offset:         48
        .size:           8
        .value_kind:     global_buffer
      - .offset:         56
        .size:           8
        .value_kind:     by_value
      - .offset:         64
        .size:           8
        .value_kind:     by_value
      - .offset:         72
        .size:           8
        .value_kind:     by_value
      - .address_space:  global
        .offset:         80
        .size:           8
        .value_kind:     global_buffer
      - .offset:         88
        .size:           4
        .value_kind:     by_value
      - .offset:         96
        .size:           4
        .value_kind:     hidden_block_count_x
      - .offset:         100
        .size:           4
        .value_kind:     hidden_block_count_y
      - .offset:         104
        .size:           4
        .value_kind:     hidden_block_count_z
      - .offset:         108
        .size:           2
        .value_kind:     hidden_group_size_x
      - .offset:         110
        .size:           2
        .value_kind:     hidden_group_size_y
      - .offset:         112
        .size:           2
        .value_kind:     hidden_group_size_z
      - .offset:         114
        .size:           2
        .value_kind:     hidden_remainder_x
      - .offset:         116
        .size:           2
        .value_kind:     hidden_remainder_y
      - .offset:         118
        .size:           2
        .value_kind:     hidden_remainder_z
      - .offset:         136
        .size:           8
        .value_kind:     hidden_global_offset_x
      - .offset:         144
        .size:           8
        .value_kind:     hidden_global_offset_y
      - .offset:         152
        .size:           8
        .value_kind:     hidden_global_offset_z
      - .offset:         160
        .size:           2
        .value_kind:     hidden_grid_dims
    .group_segment_fixed_size: 20740
    .kernarg_segment_align: 8
    .kernarg_segment_size: 352
    .language:       OpenCL C
    .language_version:
      - 2
      - 0
    .max_flat_workgroup_size: 1024
    .name:           _ZL19rocblas_trsv_deviceILi64ELi16ELb0ELb1ELb1ELb1EfPKfPKS1_PKPfEviT7_lllT6_T8_lllPii
    .private_segment_fixed_size: 0
    .sgpr_count:     107
    .sgpr_spill_count: 116
    .symbol:         _ZL19rocblas_trsv_deviceILi64ELi16ELb0ELb1ELb1ELb1EfPKfPKS1_PKPfEviT7_lllT6_T8_lllPii.kd
    .uniform_work_group_size: 1
    .uses_dynamic_stack: false
    .vgpr_count:     92
    .vgpr_spill_count: 0
    .wavefront_size: 32
  - .args:
      - .offset:         0
        .size:           4
        .value_kind:     by_value
      - .address_space:  global
        .offset:         8
        .size:           8
        .value_kind:     global_buffer
      - .offset:         16
        .size:           8
        .value_kind:     by_value
      - .offset:         24
        .size:           8
        .value_kind:     by_value
      - .offset:         32
        .size:           8
        .value_kind:     by_value
      - .address_space:  global
        .offset:         40
        .size:           8
        .value_kind:     global_buffer
      - .address_space:  global
        .offset:         48
        .size:           8
        .value_kind:     global_buffer
      - .offset:         56
        .size:           8
        .value_kind:     by_value
      - .offset:         64
        .size:           8
        .value_kind:     by_value
      - .offset:         72
        .size:           8
        .value_kind:     by_value
      - .address_space:  global
        .offset:         80
        .size:           8
        .value_kind:     global_buffer
      - .offset:         88
        .size:           4
        .value_kind:     by_value
      - .offset:         96
        .size:           4
        .value_kind:     hidden_block_count_x
      - .offset:         100
        .size:           4
        .value_kind:     hidden_block_count_y
      - .offset:         104
        .size:           4
        .value_kind:     hidden_block_count_z
      - .offset:         108
        .size:           2
        .value_kind:     hidden_group_size_x
      - .offset:         110
        .size:           2
        .value_kind:     hidden_group_size_y
      - .offset:         112
        .size:           2
        .value_kind:     hidden_group_size_z
      - .offset:         114
        .size:           2
        .value_kind:     hidden_remainder_x
      - .offset:         116
        .size:           2
        .value_kind:     hidden_remainder_y
      - .offset:         118
        .size:           2
        .value_kind:     hidden_remainder_z
      - .offset:         136
        .size:           8
        .value_kind:     hidden_global_offset_x
      - .offset:         144
        .size:           8
        .value_kind:     hidden_global_offset_y
      - .offset:         152
        .size:           8
        .value_kind:     hidden_global_offset_z
      - .offset:         160
        .size:           2
        .value_kind:     hidden_grid_dims
    .group_segment_fixed_size: 20740
    .kernarg_segment_align: 8
    .kernarg_segment_size: 352
    .language:       OpenCL C
    .language_version:
      - 2
      - 0
    .max_flat_workgroup_size: 1024
    .name:           _ZL19rocblas_trsv_deviceILi64ELi16ELb0ELb0ELb0ELb0EfPKfPKS1_PKPfEviT7_lllT6_T8_lllPii
    .private_segment_fixed_size: 0
    .sgpr_count:     107
    .sgpr_spill_count: 133
    .symbol:         _ZL19rocblas_trsv_deviceILi64ELi16ELb0ELb0ELb0ELb0EfPKfPKS1_PKPfEviT7_lllT6_T8_lllPii.kd
    .uniform_work_group_size: 1
    .uses_dynamic_stack: false
    .vgpr_count:     75
    .vgpr_spill_count: 0
    .wavefront_size: 32
  - .args:
      - .offset:         0
        .size:           4
        .value_kind:     by_value
      - .address_space:  global
        .offset:         8
        .size:           8
        .value_kind:     global_buffer
      - .offset:         16
        .size:           8
        .value_kind:     by_value
      - .offset:         24
        .size:           8
        .value_kind:     by_value
      - .offset:         32
        .size:           8
        .value_kind:     by_value
      - .address_space:  global
        .offset:         40
        .size:           8
        .value_kind:     global_buffer
      - .address_space:  global
        .offset:         48
        .size:           8
        .value_kind:     global_buffer
      - .offset:         56
        .size:           8
        .value_kind:     by_value
      - .offset:         64
        .size:           8
        .value_kind:     by_value
      - .offset:         72
        .size:           8
        .value_kind:     by_value
      - .address_space:  global
        .offset:         80
        .size:           8
        .value_kind:     global_buffer
      - .offset:         88
        .size:           4
        .value_kind:     by_value
      - .offset:         96
        .size:           4
        .value_kind:     hidden_block_count_x
      - .offset:         100
        .size:           4
        .value_kind:     hidden_block_count_y
      - .offset:         104
        .size:           4
        .value_kind:     hidden_block_count_z
      - .offset:         108
        .size:           2
        .value_kind:     hidden_group_size_x
      - .offset:         110
        .size:           2
        .value_kind:     hidden_group_size_y
      - .offset:         112
        .size:           2
        .value_kind:     hidden_group_size_z
      - .offset:         114
        .size:           2
        .value_kind:     hidden_remainder_x
      - .offset:         116
        .size:           2
        .value_kind:     hidden_remainder_y
      - .offset:         118
        .size:           2
        .value_kind:     hidden_remainder_z
      - .offset:         136
        .size:           8
        .value_kind:     hidden_global_offset_x
      - .offset:         144
        .size:           8
        .value_kind:     hidden_global_offset_y
      - .offset:         152
        .size:           8
        .value_kind:     hidden_global_offset_z
      - .offset:         160
        .size:           2
        .value_kind:     hidden_grid_dims
    .group_segment_fixed_size: 20740
    .kernarg_segment_align: 8
    .kernarg_segment_size: 352
    .language:       OpenCL C
    .language_version:
      - 2
      - 0
    .max_flat_workgroup_size: 1024
    .name:           _ZL19rocblas_trsv_deviceILi64ELi16ELb0ELb1ELb0ELb0EfPKfPKS1_PKPfEviT7_lllT6_T8_lllPii
    .private_segment_fixed_size: 0
    .sgpr_count:     107
    .sgpr_spill_count: 122
    .symbol:         _ZL19rocblas_trsv_deviceILi64ELi16ELb0ELb1ELb0ELb0EfPKfPKS1_PKPfEviT7_lllT6_T8_lllPii.kd
    .uniform_work_group_size: 1
    .uses_dynamic_stack: false
    .vgpr_count:     90
    .vgpr_spill_count: 0
    .wavefront_size: 32
  - .args:
      - .offset:         0
        .size:           4
        .value_kind:     by_value
      - .address_space:  global
        .offset:         8
        .size:           8
        .value_kind:     global_buffer
      - .offset:         16
        .size:           8
        .value_kind:     by_value
      - .offset:         24
        .size:           8
        .value_kind:     by_value
      - .offset:         32
        .size:           8
        .value_kind:     by_value
      - .address_space:  global
        .offset:         40
        .size:           8
        .value_kind:     global_buffer
      - .address_space:  global
        .offset:         48
        .size:           8
        .value_kind:     global_buffer
      - .offset:         56
        .size:           8
        .value_kind:     by_value
      - .offset:         64
        .size:           8
        .value_kind:     by_value
      - .offset:         72
        .size:           8
        .value_kind:     by_value
      - .address_space:  global
        .offset:         80
        .size:           8
        .value_kind:     global_buffer
      - .offset:         88
        .size:           4
        .value_kind:     by_value
      - .offset:         96
        .size:           4
        .value_kind:     hidden_block_count_x
      - .offset:         100
        .size:           4
        .value_kind:     hidden_block_count_y
      - .offset:         104
        .size:           4
        .value_kind:     hidden_block_count_z
      - .offset:         108
        .size:           2
        .value_kind:     hidden_group_size_x
      - .offset:         110
        .size:           2
        .value_kind:     hidden_group_size_y
      - .offset:         112
        .size:           2
        .value_kind:     hidden_group_size_z
      - .offset:         114
        .size:           2
        .value_kind:     hidden_remainder_x
      - .offset:         116
        .size:           2
        .value_kind:     hidden_remainder_y
      - .offset:         118
        .size:           2
        .value_kind:     hidden_remainder_z
      - .offset:         136
        .size:           8
        .value_kind:     hidden_global_offset_x
      - .offset:         144
        .size:           8
        .value_kind:     hidden_global_offset_y
      - .offset:         152
        .size:           8
        .value_kind:     hidden_global_offset_z
      - .offset:         160
        .size:           2
        .value_kind:     hidden_grid_dims
    .group_segment_fixed_size: 20740
    .kernarg_segment_align: 8
    .kernarg_segment_size: 352
    .language:       OpenCL C
    .language_version:
      - 2
      - 0
    .max_flat_workgroup_size: 1024
    .name:           _ZL19rocblas_trsv_deviceILi64ELi16ELb0ELb1ELb1ELb0EfPKfPKS1_PKPfEviT7_lllT6_T8_lllPii
    .private_segment_fixed_size: 0
    .sgpr_count:     107
    .sgpr_spill_count: 122
    .symbol:         _ZL19rocblas_trsv_deviceILi64ELi16ELb0ELb1ELb1ELb0EfPKfPKS1_PKPfEviT7_lllT6_T8_lllPii.kd
    .uniform_work_group_size: 1
    .uses_dynamic_stack: false
    .vgpr_count:     90
    .vgpr_spill_count: 0
    .wavefront_size: 32
  - .args:
      - .offset:         0
        .size:           4
        .value_kind:     by_value
      - .address_space:  global
        .offset:         8
        .size:           8
        .value_kind:     global_buffer
      - .offset:         16
        .size:           8
        .value_kind:     by_value
      - .offset:         24
        .size:           8
        .value_kind:     by_value
      - .offset:         32
        .size:           8
        .value_kind:     by_value
      - .address_space:  global
        .offset:         40
        .size:           8
        .value_kind:     global_buffer
      - .address_space:  global
        .offset:         48
        .size:           8
        .value_kind:     global_buffer
      - .offset:         56
        .size:           8
        .value_kind:     by_value
      - .offset:         64
        .size:           8
        .value_kind:     by_value
      - .offset:         72
        .size:           8
        .value_kind:     by_value
      - .address_space:  global
        .offset:         80
        .size:           8
        .value_kind:     global_buffer
      - .offset:         88
        .size:           4
        .value_kind:     by_value
      - .offset:         96
        .size:           4
        .value_kind:     hidden_block_count_x
      - .offset:         100
        .size:           4
        .value_kind:     hidden_block_count_y
      - .offset:         104
        .size:           4
        .value_kind:     hidden_block_count_z
      - .offset:         108
        .size:           2
        .value_kind:     hidden_group_size_x
      - .offset:         110
        .size:           2
        .value_kind:     hidden_group_size_y
      - .offset:         112
        .size:           2
        .value_kind:     hidden_group_size_z
      - .offset:         114
        .size:           2
        .value_kind:     hidden_remainder_x
      - .offset:         116
        .size:           2
        .value_kind:     hidden_remainder_y
      - .offset:         118
        .size:           2
        .value_kind:     hidden_remainder_z
      - .offset:         136
        .size:           8
        .value_kind:     hidden_global_offset_x
      - .offset:         144
        .size:           8
        .value_kind:     hidden_global_offset_y
      - .offset:         152
        .size:           8
        .value_kind:     hidden_global_offset_z
      - .offset:         160
        .size:           2
        .value_kind:     hidden_grid_dims
    .group_segment_fixed_size: 20740
    .kernarg_segment_align: 8
    .kernarg_segment_size: 352
    .language:       OpenCL C
    .language_version:
      - 2
      - 0
    .max_flat_workgroup_size: 1024
    .name:           _ZL19rocblas_trsv_deviceILi64ELi16ELb1ELb0ELb0ELb1EfPKfPKS1_PKPfEviT7_lllT6_T8_lllPii
    .private_segment_fixed_size: 0
    .sgpr_count:     107
    .sgpr_spill_count: 123
    .symbol:         _ZL19rocblas_trsv_deviceILi64ELi16ELb1ELb0ELb0ELb1EfPKfPKS1_PKPfEviT7_lllT6_T8_lllPii.kd
    .uniform_work_group_size: 1
    .uses_dynamic_stack: false
    .vgpr_count:     80
    .vgpr_spill_count: 0
    .wavefront_size: 32
  - .args:
      - .offset:         0
        .size:           4
        .value_kind:     by_value
      - .address_space:  global
        .offset:         8
        .size:           8
        .value_kind:     global_buffer
      - .offset:         16
        .size:           8
        .value_kind:     by_value
      - .offset:         24
        .size:           8
        .value_kind:     by_value
      - .offset:         32
        .size:           8
        .value_kind:     by_value
      - .address_space:  global
        .offset:         40
        .size:           8
        .value_kind:     global_buffer
      - .address_space:  global
        .offset:         48
        .size:           8
        .value_kind:     global_buffer
      - .offset:         56
        .size:           8
        .value_kind:     by_value
      - .offset:         64
        .size:           8
        .value_kind:     by_value
      - .offset:         72
        .size:           8
        .value_kind:     by_value
      - .address_space:  global
        .offset:         80
        .size:           8
        .value_kind:     global_buffer
      - .offset:         88
        .size:           4
        .value_kind:     by_value
      - .offset:         96
        .size:           4
        .value_kind:     hidden_block_count_x
      - .offset:         100
        .size:           4
        .value_kind:     hidden_block_count_y
      - .offset:         104
        .size:           4
        .value_kind:     hidden_block_count_z
      - .offset:         108
        .size:           2
        .value_kind:     hidden_group_size_x
      - .offset:         110
        .size:           2
        .value_kind:     hidden_group_size_y
      - .offset:         112
        .size:           2
        .value_kind:     hidden_group_size_z
      - .offset:         114
        .size:           2
        .value_kind:     hidden_remainder_x
      - .offset:         116
        .size:           2
        .value_kind:     hidden_remainder_y
      - .offset:         118
        .size:           2
        .value_kind:     hidden_remainder_z
      - .offset:         136
        .size:           8
        .value_kind:     hidden_global_offset_x
      - .offset:         144
        .size:           8
        .value_kind:     hidden_global_offset_y
      - .offset:         152
        .size:           8
        .value_kind:     hidden_global_offset_z
      - .offset:         160
        .size:           2
        .value_kind:     hidden_grid_dims
    .group_segment_fixed_size: 20740
    .kernarg_segment_align: 8
    .kernarg_segment_size: 352
    .language:       OpenCL C
    .language_version:
      - 2
      - 0
    .max_flat_workgroup_size: 1024
    .name:           _ZL19rocblas_trsv_deviceILi64ELi16ELb1ELb1ELb0ELb1EfPKfPKS1_PKPfEviT7_lllT6_T8_lllPii
    .private_segment_fixed_size: 0
    .sgpr_count:     107
    .sgpr_spill_count: 120
    .symbol:         _ZL19rocblas_trsv_deviceILi64ELi16ELb1ELb1ELb0ELb1EfPKfPKS1_PKPfEviT7_lllT6_T8_lllPii.kd
    .uniform_work_group_size: 1
    .uses_dynamic_stack: false
    .vgpr_count:     96
    .vgpr_spill_count: 0
    .wavefront_size: 32
  - .args:
      - .offset:         0
        .size:           4
        .value_kind:     by_value
      - .address_space:  global
        .offset:         8
        .size:           8
        .value_kind:     global_buffer
      - .offset:         16
        .size:           8
        .value_kind:     by_value
      - .offset:         24
        .size:           8
        .value_kind:     by_value
      - .offset:         32
        .size:           8
        .value_kind:     by_value
      - .address_space:  global
        .offset:         40
        .size:           8
        .value_kind:     global_buffer
      - .address_space:  global
        .offset:         48
        .size:           8
        .value_kind:     global_buffer
      - .offset:         56
        .size:           8
        .value_kind:     by_value
      - .offset:         64
        .size:           8
        .value_kind:     by_value
      - .offset:         72
        .size:           8
        .value_kind:     by_value
      - .address_space:  global
        .offset:         80
        .size:           8
        .value_kind:     global_buffer
      - .offset:         88
        .size:           4
        .value_kind:     by_value
      - .offset:         96
        .size:           4
        .value_kind:     hidden_block_count_x
      - .offset:         100
        .size:           4
        .value_kind:     hidden_block_count_y
      - .offset:         104
        .size:           4
        .value_kind:     hidden_block_count_z
      - .offset:         108
        .size:           2
        .value_kind:     hidden_group_size_x
      - .offset:         110
        .size:           2
        .value_kind:     hidden_group_size_y
      - .offset:         112
        .size:           2
        .value_kind:     hidden_group_size_z
      - .offset:         114
        .size:           2
        .value_kind:     hidden_remainder_x
      - .offset:         116
        .size:           2
        .value_kind:     hidden_remainder_y
      - .offset:         118
        .size:           2
        .value_kind:     hidden_remainder_z
      - .offset:         136
        .size:           8
        .value_kind:     hidden_global_offset_x
      - .offset:         144
        .size:           8
        .value_kind:     hidden_global_offset_y
      - .offset:         152
        .size:           8
        .value_kind:     hidden_global_offset_z
      - .offset:         160
        .size:           2
        .value_kind:     hidden_grid_dims
    .group_segment_fixed_size: 20740
    .kernarg_segment_align: 8
    .kernarg_segment_size: 352
    .language:       OpenCL C
    .language_version:
      - 2
      - 0
    .max_flat_workgroup_size: 1024
    .name:           _ZL19rocblas_trsv_deviceILi64ELi16ELb1ELb1ELb1ELb1EfPKfPKS1_PKPfEviT7_lllT6_T8_lllPii
    .private_segment_fixed_size: 0
    .sgpr_count:     107
    .sgpr_spill_count: 120
    .symbol:         _ZL19rocblas_trsv_deviceILi64ELi16ELb1ELb1ELb1ELb1EfPKfPKS1_PKPfEviT7_lllT6_T8_lllPii.kd
    .uniform_work_group_size: 1
    .uses_dynamic_stack: false
    .vgpr_count:     96
    .vgpr_spill_count: 0
    .wavefront_size: 32
  - .args:
      - .offset:         0
        .size:           4
        .value_kind:     by_value
      - .address_space:  global
        .offset:         8
        .size:           8
        .value_kind:     global_buffer
      - .offset:         16
        .size:           8
        .value_kind:     by_value
      - .offset:         24
        .size:           8
        .value_kind:     by_value
      - .offset:         32
        .size:           8
        .value_kind:     by_value
      - .address_space:  global
        .offset:         40
        .size:           8
        .value_kind:     global_buffer
      - .address_space:  global
        .offset:         48
        .size:           8
        .value_kind:     global_buffer
      - .offset:         56
        .size:           8
        .value_kind:     by_value
      - .offset:         64
        .size:           8
        .value_kind:     by_value
      - .offset:         72
        .size:           8
        .value_kind:     by_value
      - .address_space:  global
        .offset:         80
        .size:           8
        .value_kind:     global_buffer
      - .offset:         88
        .size:           4
        .value_kind:     by_value
      - .offset:         96
        .size:           4
        .value_kind:     hidden_block_count_x
      - .offset:         100
        .size:           4
        .value_kind:     hidden_block_count_y
      - .offset:         104
        .size:           4
        .value_kind:     hidden_block_count_z
      - .offset:         108
        .size:           2
        .value_kind:     hidden_group_size_x
      - .offset:         110
        .size:           2
        .value_kind:     hidden_group_size_y
      - .offset:         112
        .size:           2
        .value_kind:     hidden_group_size_z
      - .offset:         114
        .size:           2
        .value_kind:     hidden_remainder_x
      - .offset:         116
        .size:           2
        .value_kind:     hidden_remainder_y
      - .offset:         118
        .size:           2
        .value_kind:     hidden_remainder_z
      - .offset:         136
        .size:           8
        .value_kind:     hidden_global_offset_x
      - .offset:         144
        .size:           8
        .value_kind:     hidden_global_offset_y
      - .offset:         152
        .size:           8
        .value_kind:     hidden_global_offset_z
      - .offset:         160
        .size:           2
        .value_kind:     hidden_grid_dims
    .group_segment_fixed_size: 20740
    .kernarg_segment_align: 8
    .kernarg_segment_size: 352
    .language:       OpenCL C
    .language_version:
      - 2
      - 0
    .max_flat_workgroup_size: 1024
    .name:           _ZL19rocblas_trsv_deviceILi64ELi16ELb1ELb0ELb0ELb0EfPKfPKS1_PKPfEviT7_lllT6_T8_lllPii
    .private_segment_fixed_size: 0
    .sgpr_count:     107
    .sgpr_spill_count: 129
    .symbol:         _ZL19rocblas_trsv_deviceILi64ELi16ELb1ELb0ELb0ELb0EfPKfPKS1_PKPfEviT7_lllT6_T8_lllPii.kd
    .uniform_work_group_size: 1
    .uses_dynamic_stack: false
    .vgpr_count:     79
    .vgpr_spill_count: 0
    .wavefront_size: 32
  - .args:
      - .offset:         0
        .size:           4
        .value_kind:     by_value
      - .address_space:  global
        .offset:         8
        .size:           8
        .value_kind:     global_buffer
      - .offset:         16
        .size:           8
        .value_kind:     by_value
      - .offset:         24
        .size:           8
        .value_kind:     by_value
      - .offset:         32
        .size:           8
        .value_kind:     by_value
      - .address_space:  global
        .offset:         40
        .size:           8
        .value_kind:     global_buffer
      - .address_space:  global
        .offset:         48
        .size:           8
        .value_kind:     global_buffer
      - .offset:         56
        .size:           8
        .value_kind:     by_value
      - .offset:         64
        .size:           8
        .value_kind:     by_value
      - .offset:         72
        .size:           8
        .value_kind:     by_value
      - .address_space:  global
        .offset:         80
        .size:           8
        .value_kind:     global_buffer
      - .offset:         88
        .size:           4
        .value_kind:     by_value
      - .offset:         96
        .size:           4
        .value_kind:     hidden_block_count_x
      - .offset:         100
        .size:           4
        .value_kind:     hidden_block_count_y
      - .offset:         104
        .size:           4
        .value_kind:     hidden_block_count_z
      - .offset:         108
        .size:           2
        .value_kind:     hidden_group_size_x
      - .offset:         110
        .size:           2
        .value_kind:     hidden_group_size_y
      - .offset:         112
        .size:           2
        .value_kind:     hidden_group_size_z
      - .offset:         114
        .size:           2
        .value_kind:     hidden_remainder_x
      - .offset:         116
        .size:           2
        .value_kind:     hidden_remainder_y
      - .offset:         118
        .size:           2
        .value_kind:     hidden_remainder_z
      - .offset:         136
        .size:           8
        .value_kind:     hidden_global_offset_x
      - .offset:         144
        .size:           8
        .value_kind:     hidden_global_offset_y
      - .offset:         152
        .size:           8
        .value_kind:     hidden_global_offset_z
      - .offset:         160
        .size:           2
        .value_kind:     hidden_grid_dims
    .group_segment_fixed_size: 20740
    .kernarg_segment_align: 8
    .kernarg_segment_size: 352
    .language:       OpenCL C
    .language_version:
      - 2
      - 0
    .max_flat_workgroup_size: 1024
    .name:           _ZL19rocblas_trsv_deviceILi64ELi16ELb1ELb1ELb0ELb0EfPKfPKS1_PKPfEviT7_lllT6_T8_lllPii
    .private_segment_fixed_size: 0
    .sgpr_count:     107
    .sgpr_spill_count: 126
    .symbol:         _ZL19rocblas_trsv_deviceILi64ELi16ELb1ELb1ELb0ELb0EfPKfPKS1_PKPfEviT7_lllT6_T8_lllPii.kd
    .uniform_work_group_size: 1
    .uses_dynamic_stack: false
    .vgpr_count:     94
    .vgpr_spill_count: 0
    .wavefront_size: 32
  - .args:
      - .offset:         0
        .size:           4
        .value_kind:     by_value
      - .address_space:  global
        .offset:         8
        .size:           8
        .value_kind:     global_buffer
      - .offset:         16
        .size:           8
        .value_kind:     by_value
      - .offset:         24
        .size:           8
        .value_kind:     by_value
      - .offset:         32
        .size:           8
        .value_kind:     by_value
      - .address_space:  global
        .offset:         40
        .size:           8
        .value_kind:     global_buffer
      - .address_space:  global
        .offset:         48
        .size:           8
        .value_kind:     global_buffer
      - .offset:         56
        .size:           8
        .value_kind:     by_value
      - .offset:         64
        .size:           8
        .value_kind:     by_value
      - .offset:         72
        .size:           8
        .value_kind:     by_value
      - .address_space:  global
        .offset:         80
        .size:           8
        .value_kind:     global_buffer
      - .offset:         88
        .size:           4
        .value_kind:     by_value
      - .offset:         96
        .size:           4
        .value_kind:     hidden_block_count_x
      - .offset:         100
        .size:           4
        .value_kind:     hidden_block_count_y
      - .offset:         104
        .size:           4
        .value_kind:     hidden_block_count_z
      - .offset:         108
        .size:           2
        .value_kind:     hidden_group_size_x
      - .offset:         110
        .size:           2
        .value_kind:     hidden_group_size_y
      - .offset:         112
        .size:           2
        .value_kind:     hidden_group_size_z
      - .offset:         114
        .size:           2
        .value_kind:     hidden_remainder_x
      - .offset:         116
        .size:           2
        .value_kind:     hidden_remainder_y
      - .offset:         118
        .size:           2
        .value_kind:     hidden_remainder_z
      - .offset:         136
        .size:           8
        .value_kind:     hidden_global_offset_x
      - .offset:         144
        .size:           8
        .value_kind:     hidden_global_offset_y
      - .offset:         152
        .size:           8
        .value_kind:     hidden_global_offset_z
      - .offset:         160
        .size:           2
        .value_kind:     hidden_grid_dims
    .group_segment_fixed_size: 20740
    .kernarg_segment_align: 8
    .kernarg_segment_size: 352
    .language:       OpenCL C
    .language_version:
      - 2
      - 0
    .max_flat_workgroup_size: 1024
    .name:           _ZL19rocblas_trsv_deviceILi64ELi16ELb1ELb1ELb1ELb0EfPKfPKS1_PKPfEviT7_lllT6_T8_lllPii
    .private_segment_fixed_size: 0
    .sgpr_count:     107
    .sgpr_spill_count: 126
    .symbol:         _ZL19rocblas_trsv_deviceILi64ELi16ELb1ELb1ELb1ELb0EfPKfPKS1_PKPfEviT7_lllT6_T8_lllPii.kd
    .uniform_work_group_size: 1
    .uses_dynamic_stack: false
    .vgpr_count:     94
    .vgpr_spill_count: 0
    .wavefront_size: 32
  - .args:
      - .offset:         0
        .size:           4
        .value_kind:     by_value
      - .address_space:  global
        .offset:         8
        .size:           8
        .value_kind:     global_buffer
      - .offset:         16
        .size:           8
        .value_kind:     by_value
      - .offset:         24
        .size:           8
        .value_kind:     by_value
      - .offset:         32
        .size:           8
        .value_kind:     by_value
      - .offset:         40
        .size:           4
        .value_kind:     by_value
      - .address_space:  global
        .offset:         48
        .size:           8
        .value_kind:     global_buffer
      - .offset:         56
        .size:           8
        .value_kind:     by_value
      - .offset:         64
        .size:           8
        .value_kind:     by_value
      - .offset:         72
        .size:           8
        .value_kind:     by_value
      - .address_space:  global
        .offset:         80
        .size:           8
        .value_kind:     global_buffer
      - .offset:         88
        .size:           4
        .value_kind:     by_value
      - .offset:         96
        .size:           4
        .value_kind:     hidden_block_count_x
      - .offset:         100
        .size:           4
        .value_kind:     hidden_block_count_y
      - .offset:         104
        .size:           4
        .value_kind:     hidden_block_count_z
      - .offset:         108
        .size:           2
        .value_kind:     hidden_group_size_x
      - .offset:         110
        .size:           2
        .value_kind:     hidden_group_size_y
      - .offset:         112
        .size:           2
        .value_kind:     hidden_group_size_z
      - .offset:         114
        .size:           2
        .value_kind:     hidden_remainder_x
      - .offset:         116
        .size:           2
        .value_kind:     hidden_remainder_y
      - .offset:         118
        .size:           2
        .value_kind:     hidden_remainder_z
      - .offset:         136
        .size:           8
        .value_kind:     hidden_global_offset_x
      - .offset:         144
        .size:           8
        .value_kind:     hidden_global_offset_y
      - .offset:         152
        .size:           8
        .value_kind:     hidden_global_offset_z
      - .offset:         160
        .size:           2
        .value_kind:     hidden_grid_dims
    .group_segment_fixed_size: 20740
    .kernarg_segment_align: 8
    .kernarg_segment_size: 352
    .language:       OpenCL C
    .language_version:
      - 2
      - 0
    .max_flat_workgroup_size: 1024
    .name:           _ZL19rocblas_trsv_deviceILi64ELi16ELb0ELb0ELb0ELb1EffPKPKfPKPfEviT7_lllT6_T8_lllPii
    .private_segment_fixed_size: 0
    .sgpr_count:     107
    .sgpr_spill_count: 126
    .symbol:         _ZL19rocblas_trsv_deviceILi64ELi16ELb0ELb0ELb0ELb1EffPKPKfPKPfEviT7_lllT6_T8_lllPii.kd
    .uniform_work_group_size: 1
    .uses_dynamic_stack: false
    .vgpr_count:     78
    .vgpr_spill_count: 0
    .wavefront_size: 32
  - .args:
      - .offset:         0
        .size:           4
        .value_kind:     by_value
      - .address_space:  global
        .offset:         8
        .size:           8
        .value_kind:     global_buffer
      - .offset:         16
        .size:           8
        .value_kind:     by_value
      - .offset:         24
        .size:           8
        .value_kind:     by_value
      - .offset:         32
        .size:           8
        .value_kind:     by_value
      - .offset:         40
        .size:           4
        .value_kind:     by_value
      - .address_space:  global
        .offset:         48
        .size:           8
        .value_kind:     global_buffer
      - .offset:         56
        .size:           8
        .value_kind:     by_value
      - .offset:         64
        .size:           8
        .value_kind:     by_value
      - .offset:         72
        .size:           8
        .value_kind:     by_value
      - .address_space:  global
        .offset:         80
        .size:           8
        .value_kind:     global_buffer
      - .offset:         88
        .size:           4
        .value_kind:     by_value
      - .offset:         96
        .size:           4
        .value_kind:     hidden_block_count_x
      - .offset:         100
        .size:           4
        .value_kind:     hidden_block_count_y
      - .offset:         104
        .size:           4
        .value_kind:     hidden_block_count_z
      - .offset:         108
        .size:           2
        .value_kind:     hidden_group_size_x
      - .offset:         110
        .size:           2
        .value_kind:     hidden_group_size_y
      - .offset:         112
        .size:           2
        .value_kind:     hidden_group_size_z
      - .offset:         114
        .size:           2
        .value_kind:     hidden_remainder_x
      - .offset:         116
        .size:           2
        .value_kind:     hidden_remainder_y
      - .offset:         118
        .size:           2
        .value_kind:     hidden_remainder_z
      - .offset:         136
        .size:           8
        .value_kind:     hidden_global_offset_x
      - .offset:         144
        .size:           8
        .value_kind:     hidden_global_offset_y
      - .offset:         152
        .size:           8
        .value_kind:     hidden_global_offset_z
      - .offset:         160
        .size:           2
        .value_kind:     hidden_grid_dims
    .group_segment_fixed_size: 20740
    .kernarg_segment_align: 8
    .kernarg_segment_size: 352
    .language:       OpenCL C
    .language_version:
      - 2
      - 0
    .max_flat_workgroup_size: 1024
    .name:           _ZL19rocblas_trsv_deviceILi64ELi16ELb0ELb1ELb0ELb1EffPKPKfPKPfEviT7_lllT6_T8_lllPii
    .private_segment_fixed_size: 0
    .sgpr_count:     107
    .sgpr_spill_count: 115
    .symbol:         _ZL19rocblas_trsv_deviceILi64ELi16ELb0ELb1ELb0ELb1EffPKPKfPKPfEviT7_lllT6_T8_lllPii.kd
    .uniform_work_group_size: 1
    .uses_dynamic_stack: false
    .vgpr_count:     92
    .vgpr_spill_count: 0
    .wavefront_size: 32
  - .args:
      - .offset:         0
        .size:           4
        .value_kind:     by_value
      - .address_space:  global
        .offset:         8
        .size:           8
        .value_kind:     global_buffer
      - .offset:         16
        .size:           8
        .value_kind:     by_value
      - .offset:         24
        .size:           8
        .value_kind:     by_value
      - .offset:         32
        .size:           8
        .value_kind:     by_value
      - .offset:         40
        .size:           4
        .value_kind:     by_value
      - .address_space:  global
        .offset:         48
        .size:           8
        .value_kind:     global_buffer
      - .offset:         56
        .size:           8
        .value_kind:     by_value
      - .offset:         64
        .size:           8
        .value_kind:     by_value
      - .offset:         72
        .size:           8
        .value_kind:     by_value
      - .address_space:  global
        .offset:         80
        .size:           8
        .value_kind:     global_buffer
      - .offset:         88
        .size:           4
        .value_kind:     by_value
      - .offset:         96
        .size:           4
        .value_kind:     hidden_block_count_x
      - .offset:         100
        .size:           4
        .value_kind:     hidden_block_count_y
      - .offset:         104
        .size:           4
        .value_kind:     hidden_block_count_z
      - .offset:         108
        .size:           2
        .value_kind:     hidden_group_size_x
      - .offset:         110
        .size:           2
        .value_kind:     hidden_group_size_y
      - .offset:         112
        .size:           2
        .value_kind:     hidden_group_size_z
      - .offset:         114
        .size:           2
        .value_kind:     hidden_remainder_x
      - .offset:         116
        .size:           2
        .value_kind:     hidden_remainder_y
      - .offset:         118
        .size:           2
        .value_kind:     hidden_remainder_z
      - .offset:         136
        .size:           8
        .value_kind:     hidden_global_offset_x
      - .offset:         144
        .size:           8
        .value_kind:     hidden_global_offset_y
      - .offset:         152
        .size:           8
        .value_kind:     hidden_global_offset_z
      - .offset:         160
        .size:           2
        .value_kind:     hidden_grid_dims
    .group_segment_fixed_size: 20740
    .kernarg_segment_align: 8
    .kernarg_segment_size: 352
    .language:       OpenCL C
    .language_version:
      - 2
      - 0
    .max_flat_workgroup_size: 1024
    .name:           _ZL19rocblas_trsv_deviceILi64ELi16ELb0ELb1ELb1ELb1EffPKPKfPKPfEviT7_lllT6_T8_lllPii
    .private_segment_fixed_size: 0
    .sgpr_count:     107
    .sgpr_spill_count: 115
    .symbol:         _ZL19rocblas_trsv_deviceILi64ELi16ELb0ELb1ELb1ELb1EffPKPKfPKPfEviT7_lllT6_T8_lllPii.kd
    .uniform_work_group_size: 1
    .uses_dynamic_stack: false
    .vgpr_count:     92
    .vgpr_spill_count: 0
    .wavefront_size: 32
  - .args:
      - .offset:         0
        .size:           4
        .value_kind:     by_value
      - .address_space:  global
        .offset:         8
        .size:           8
        .value_kind:     global_buffer
      - .offset:         16
        .size:           8
        .value_kind:     by_value
      - .offset:         24
        .size:           8
        .value_kind:     by_value
      - .offset:         32
        .size:           8
        .value_kind:     by_value
      - .offset:         40
        .size:           4
        .value_kind:     by_value
      - .address_space:  global
        .offset:         48
        .size:           8
        .value_kind:     global_buffer
      - .offset:         56
        .size:           8
        .value_kind:     by_value
      - .offset:         64
        .size:           8
        .value_kind:     by_value
      - .offset:         72
        .size:           8
        .value_kind:     by_value
      - .address_space:  global
        .offset:         80
        .size:           8
        .value_kind:     global_buffer
      - .offset:         88
        .size:           4
        .value_kind:     by_value
      - .offset:         96
        .size:           4
        .value_kind:     hidden_block_count_x
      - .offset:         100
        .size:           4
        .value_kind:     hidden_block_count_y
      - .offset:         104
        .size:           4
        .value_kind:     hidden_block_count_z
      - .offset:         108
        .size:           2
        .value_kind:     hidden_group_size_x
      - .offset:         110
        .size:           2
        .value_kind:     hidden_group_size_y
      - .offset:         112
        .size:           2
        .value_kind:     hidden_group_size_z
      - .offset:         114
        .size:           2
        .value_kind:     hidden_remainder_x
      - .offset:         116
        .size:           2
        .value_kind:     hidden_remainder_y
      - .offset:         118
        .size:           2
        .value_kind:     hidden_remainder_z
      - .offset:         136
        .size:           8
        .value_kind:     hidden_global_offset_x
      - .offset:         144
        .size:           8
        .value_kind:     hidden_global_offset_y
      - .offset:         152
        .size:           8
        .value_kind:     hidden_global_offset_z
      - .offset:         160
        .size:           2
        .value_kind:     hidden_grid_dims
    .group_segment_fixed_size: 20740
    .kernarg_segment_align: 8
    .kernarg_segment_size: 352
    .language:       OpenCL C
    .language_version:
      - 2
      - 0
    .max_flat_workgroup_size: 1024
    .name:           _ZL19rocblas_trsv_deviceILi64ELi16ELb0ELb0ELb0ELb0EffPKPKfPKPfEviT7_lllT6_T8_lllPii
    .private_segment_fixed_size: 0
    .sgpr_count:     107
    .sgpr_spill_count: 132
    .symbol:         _ZL19rocblas_trsv_deviceILi64ELi16ELb0ELb0ELb0ELb0EffPKPKfPKPfEviT7_lllT6_T8_lllPii.kd
    .uniform_work_group_size: 1
    .uses_dynamic_stack: false
    .vgpr_count:     75
    .vgpr_spill_count: 0
    .wavefront_size: 32
  - .args:
      - .offset:         0
        .size:           4
        .value_kind:     by_value
      - .address_space:  global
        .offset:         8
        .size:           8
        .value_kind:     global_buffer
      - .offset:         16
        .size:           8
        .value_kind:     by_value
      - .offset:         24
        .size:           8
        .value_kind:     by_value
      - .offset:         32
        .size:           8
        .value_kind:     by_value
      - .offset:         40
        .size:           4
        .value_kind:     by_value
      - .address_space:  global
        .offset:         48
        .size:           8
        .value_kind:     global_buffer
      - .offset:         56
        .size:           8
        .value_kind:     by_value
      - .offset:         64
        .size:           8
        .value_kind:     by_value
      - .offset:         72
        .size:           8
        .value_kind:     by_value
      - .address_space:  global
        .offset:         80
        .size:           8
        .value_kind:     global_buffer
      - .offset:         88
        .size:           4
        .value_kind:     by_value
      - .offset:         96
        .size:           4
        .value_kind:     hidden_block_count_x
      - .offset:         100
        .size:           4
        .value_kind:     hidden_block_count_y
      - .offset:         104
        .size:           4
        .value_kind:     hidden_block_count_z
      - .offset:         108
        .size:           2
        .value_kind:     hidden_group_size_x
      - .offset:         110
        .size:           2
        .value_kind:     hidden_group_size_y
      - .offset:         112
        .size:           2
        .value_kind:     hidden_group_size_z
      - .offset:         114
        .size:           2
        .value_kind:     hidden_remainder_x
      - .offset:         116
        .size:           2
        .value_kind:     hidden_remainder_y
      - .offset:         118
        .size:           2
        .value_kind:     hidden_remainder_z
      - .offset:         136
        .size:           8
        .value_kind:     hidden_global_offset_x
      - .offset:         144
        .size:           8
        .value_kind:     hidden_global_offset_y
      - .offset:         152
        .size:           8
        .value_kind:     hidden_global_offset_z
      - .offset:         160
        .size:           2
        .value_kind:     hidden_grid_dims
    .group_segment_fixed_size: 20740
    .kernarg_segment_align: 8
    .kernarg_segment_size: 352
    .language:       OpenCL C
    .language_version:
      - 2
      - 0
    .max_flat_workgroup_size: 1024
    .name:           _ZL19rocblas_trsv_deviceILi64ELi16ELb0ELb1ELb0ELb0EffPKPKfPKPfEviT7_lllT6_T8_lllPii
    .private_segment_fixed_size: 0
    .sgpr_count:     107
    .sgpr_spill_count: 121
    .symbol:         _ZL19rocblas_trsv_deviceILi64ELi16ELb0ELb1ELb0ELb0EffPKPKfPKPfEviT7_lllT6_T8_lllPii.kd
    .uniform_work_group_size: 1
    .uses_dynamic_stack: false
    .vgpr_count:     90
    .vgpr_spill_count: 0
    .wavefront_size: 32
  - .args:
      - .offset:         0
        .size:           4
        .value_kind:     by_value
      - .address_space:  global
        .offset:         8
        .size:           8
        .value_kind:     global_buffer
      - .offset:         16
        .size:           8
        .value_kind:     by_value
      - .offset:         24
        .size:           8
        .value_kind:     by_value
      - .offset:         32
        .size:           8
        .value_kind:     by_value
      - .offset:         40
        .size:           4
        .value_kind:     by_value
      - .address_space:  global
        .offset:         48
        .size:           8
        .value_kind:     global_buffer
      - .offset:         56
        .size:           8
        .value_kind:     by_value
      - .offset:         64
        .size:           8
        .value_kind:     by_value
      - .offset:         72
        .size:           8
        .value_kind:     by_value
      - .address_space:  global
        .offset:         80
        .size:           8
        .value_kind:     global_buffer
      - .offset:         88
        .size:           4
        .value_kind:     by_value
      - .offset:         96
        .size:           4
        .value_kind:     hidden_block_count_x
      - .offset:         100
        .size:           4
        .value_kind:     hidden_block_count_y
      - .offset:         104
        .size:           4
        .value_kind:     hidden_block_count_z
      - .offset:         108
        .size:           2
        .value_kind:     hidden_group_size_x
      - .offset:         110
        .size:           2
        .value_kind:     hidden_group_size_y
      - .offset:         112
        .size:           2
        .value_kind:     hidden_group_size_z
      - .offset:         114
        .size:           2
        .value_kind:     hidden_remainder_x
      - .offset:         116
        .size:           2
        .value_kind:     hidden_remainder_y
      - .offset:         118
        .size:           2
        .value_kind:     hidden_remainder_z
      - .offset:         136
        .size:           8
        .value_kind:     hidden_global_offset_x
      - .offset:         144
        .size:           8
        .value_kind:     hidden_global_offset_y
      - .offset:         152
        .size:           8
        .value_kind:     hidden_global_offset_z
      - .offset:         160
        .size:           2
        .value_kind:     hidden_grid_dims
    .group_segment_fixed_size: 20740
    .kernarg_segment_align: 8
    .kernarg_segment_size: 352
    .language:       OpenCL C
    .language_version:
      - 2
      - 0
    .max_flat_workgroup_size: 1024
    .name:           _ZL19rocblas_trsv_deviceILi64ELi16ELb0ELb1ELb1ELb0EffPKPKfPKPfEviT7_lllT6_T8_lllPii
    .private_segment_fixed_size: 0
    .sgpr_count:     107
    .sgpr_spill_count: 121
    .symbol:         _ZL19rocblas_trsv_deviceILi64ELi16ELb0ELb1ELb1ELb0EffPKPKfPKPfEviT7_lllT6_T8_lllPii.kd
    .uniform_work_group_size: 1
    .uses_dynamic_stack: false
    .vgpr_count:     90
    .vgpr_spill_count: 0
    .wavefront_size: 32
  - .args:
      - .offset:         0
        .size:           4
        .value_kind:     by_value
      - .address_space:  global
        .offset:         8
        .size:           8
        .value_kind:     global_buffer
      - .offset:         16
        .size:           8
        .value_kind:     by_value
      - .offset:         24
        .size:           8
        .value_kind:     by_value
      - .offset:         32
        .size:           8
        .value_kind:     by_value
      - .offset:         40
        .size:           4
        .value_kind:     by_value
      - .address_space:  global
        .offset:         48
        .size:           8
        .value_kind:     global_buffer
      - .offset:         56
        .size:           8
        .value_kind:     by_value
      - .offset:         64
        .size:           8
        .value_kind:     by_value
      - .offset:         72
        .size:           8
        .value_kind:     by_value
      - .address_space:  global
        .offset:         80
        .size:           8
        .value_kind:     global_buffer
      - .offset:         88
        .size:           4
        .value_kind:     by_value
      - .offset:         96
        .size:           4
        .value_kind:     hidden_block_count_x
      - .offset:         100
        .size:           4
        .value_kind:     hidden_block_count_y
      - .offset:         104
        .size:           4
        .value_kind:     hidden_block_count_z
      - .offset:         108
        .size:           2
        .value_kind:     hidden_group_size_x
      - .offset:         110
        .size:           2
        .value_kind:     hidden_group_size_y
      - .offset:         112
        .size:           2
        .value_kind:     hidden_group_size_z
      - .offset:         114
        .size:           2
        .value_kind:     hidden_remainder_x
      - .offset:         116
        .size:           2
        .value_kind:     hidden_remainder_y
      - .offset:         118
        .size:           2
        .value_kind:     hidden_remainder_z
      - .offset:         136
        .size:           8
        .value_kind:     hidden_global_offset_x
      - .offset:         144
        .size:           8
        .value_kind:     hidden_global_offset_y
      - .offset:         152
        .size:           8
        .value_kind:     hidden_global_offset_z
      - .offset:         160
        .size:           2
        .value_kind:     hidden_grid_dims
    .group_segment_fixed_size: 20740
    .kernarg_segment_align: 8
    .kernarg_segment_size: 352
    .language:       OpenCL C
    .language_version:
      - 2
      - 0
    .max_flat_workgroup_size: 1024
    .name:           _ZL19rocblas_trsv_deviceILi64ELi16ELb1ELb0ELb0ELb1EffPKPKfPKPfEviT7_lllT6_T8_lllPii
    .private_segment_fixed_size: 0
    .sgpr_count:     107
    .sgpr_spill_count: 122
    .symbol:         _ZL19rocblas_trsv_deviceILi64ELi16ELb1ELb0ELb0ELb1EffPKPKfPKPfEviT7_lllT6_T8_lllPii.kd
    .uniform_work_group_size: 1
    .uses_dynamic_stack: false
    .vgpr_count:     80
    .vgpr_spill_count: 0
    .wavefront_size: 32
  - .args:
      - .offset:         0
        .size:           4
        .value_kind:     by_value
      - .address_space:  global
        .offset:         8
        .size:           8
        .value_kind:     global_buffer
      - .offset:         16
        .size:           8
        .value_kind:     by_value
      - .offset:         24
        .size:           8
        .value_kind:     by_value
      - .offset:         32
        .size:           8
        .value_kind:     by_value
      - .offset:         40
        .size:           4
        .value_kind:     by_value
      - .address_space:  global
        .offset:         48
        .size:           8
        .value_kind:     global_buffer
      - .offset:         56
        .size:           8
        .value_kind:     by_value
      - .offset:         64
        .size:           8
        .value_kind:     by_value
      - .offset:         72
        .size:           8
        .value_kind:     by_value
      - .address_space:  global
        .offset:         80
        .size:           8
        .value_kind:     global_buffer
      - .offset:         88
        .size:           4
        .value_kind:     by_value
      - .offset:         96
        .size:           4
        .value_kind:     hidden_block_count_x
      - .offset:         100
        .size:           4
        .value_kind:     hidden_block_count_y
      - .offset:         104
        .size:           4
        .value_kind:     hidden_block_count_z
      - .offset:         108
        .size:           2
        .value_kind:     hidden_group_size_x
      - .offset:         110
        .size:           2
        .value_kind:     hidden_group_size_y
      - .offset:         112
        .size:           2
        .value_kind:     hidden_group_size_z
      - .offset:         114
        .size:           2
        .value_kind:     hidden_remainder_x
      - .offset:         116
        .size:           2
        .value_kind:     hidden_remainder_y
      - .offset:         118
        .size:           2
        .value_kind:     hidden_remainder_z
      - .offset:         136
        .size:           8
        .value_kind:     hidden_global_offset_x
      - .offset:         144
        .size:           8
        .value_kind:     hidden_global_offset_y
      - .offset:         152
        .size:           8
        .value_kind:     hidden_global_offset_z
      - .offset:         160
        .size:           2
        .value_kind:     hidden_grid_dims
    .group_segment_fixed_size: 20740
    .kernarg_segment_align: 8
    .kernarg_segment_size: 352
    .language:       OpenCL C
    .language_version:
      - 2
      - 0
    .max_flat_workgroup_size: 1024
    .name:           _ZL19rocblas_trsv_deviceILi64ELi16ELb1ELb1ELb0ELb1EffPKPKfPKPfEviT7_lllT6_T8_lllPii
    .private_segment_fixed_size: 0
    .sgpr_count:     107
    .sgpr_spill_count: 119
    .symbol:         _ZL19rocblas_trsv_deviceILi64ELi16ELb1ELb1ELb0ELb1EffPKPKfPKPfEviT7_lllT6_T8_lllPii.kd
    .uniform_work_group_size: 1
    .uses_dynamic_stack: false
    .vgpr_count:     96
    .vgpr_spill_count: 0
    .wavefront_size: 32
  - .args:
      - .offset:         0
        .size:           4
        .value_kind:     by_value
      - .address_space:  global
        .offset:         8
        .size:           8
        .value_kind:     global_buffer
      - .offset:         16
        .size:           8
        .value_kind:     by_value
      - .offset:         24
        .size:           8
        .value_kind:     by_value
      - .offset:         32
        .size:           8
        .value_kind:     by_value
      - .offset:         40
        .size:           4
        .value_kind:     by_value
      - .address_space:  global
        .offset:         48
        .size:           8
        .value_kind:     global_buffer
      - .offset:         56
        .size:           8
        .value_kind:     by_value
      - .offset:         64
        .size:           8
        .value_kind:     by_value
      - .offset:         72
        .size:           8
        .value_kind:     by_value
      - .address_space:  global
        .offset:         80
        .size:           8
        .value_kind:     global_buffer
      - .offset:         88
        .size:           4
        .value_kind:     by_value
      - .offset:         96
        .size:           4
        .value_kind:     hidden_block_count_x
      - .offset:         100
        .size:           4
        .value_kind:     hidden_block_count_y
      - .offset:         104
        .size:           4
        .value_kind:     hidden_block_count_z
      - .offset:         108
        .size:           2
        .value_kind:     hidden_group_size_x
      - .offset:         110
        .size:           2
        .value_kind:     hidden_group_size_y
      - .offset:         112
        .size:           2
        .value_kind:     hidden_group_size_z
      - .offset:         114
        .size:           2
        .value_kind:     hidden_remainder_x
      - .offset:         116
        .size:           2
        .value_kind:     hidden_remainder_y
      - .offset:         118
        .size:           2
        .value_kind:     hidden_remainder_z
      - .offset:         136
        .size:           8
        .value_kind:     hidden_global_offset_x
      - .offset:         144
        .size:           8
        .value_kind:     hidden_global_offset_y
      - .offset:         152
        .size:           8
        .value_kind:     hidden_global_offset_z
      - .offset:         160
        .size:           2
        .value_kind:     hidden_grid_dims
    .group_segment_fixed_size: 20740
    .kernarg_segment_align: 8
    .kernarg_segment_size: 352
    .language:       OpenCL C
    .language_version:
      - 2
      - 0
    .max_flat_workgroup_size: 1024
    .name:           _ZL19rocblas_trsv_deviceILi64ELi16ELb1ELb1ELb1ELb1EffPKPKfPKPfEviT7_lllT6_T8_lllPii
    .private_segment_fixed_size: 0
    .sgpr_count:     107
    .sgpr_spill_count: 119
    .symbol:         _ZL19rocblas_trsv_deviceILi64ELi16ELb1ELb1ELb1ELb1EffPKPKfPKPfEviT7_lllT6_T8_lllPii.kd
    .uniform_work_group_size: 1
    .uses_dynamic_stack: false
    .vgpr_count:     96
    .vgpr_spill_count: 0
    .wavefront_size: 32
  - .args:
      - .offset:         0
        .size:           4
        .value_kind:     by_value
      - .address_space:  global
        .offset:         8
        .size:           8
        .value_kind:     global_buffer
      - .offset:         16
        .size:           8
        .value_kind:     by_value
      - .offset:         24
        .size:           8
        .value_kind:     by_value
      - .offset:         32
        .size:           8
        .value_kind:     by_value
      - .offset:         40
        .size:           4
        .value_kind:     by_value
      - .address_space:  global
        .offset:         48
        .size:           8
        .value_kind:     global_buffer
      - .offset:         56
        .size:           8
        .value_kind:     by_value
      - .offset:         64
        .size:           8
        .value_kind:     by_value
      - .offset:         72
        .size:           8
        .value_kind:     by_value
      - .address_space:  global
        .offset:         80
        .size:           8
        .value_kind:     global_buffer
      - .offset:         88
        .size:           4
        .value_kind:     by_value
      - .offset:         96
        .size:           4
        .value_kind:     hidden_block_count_x
      - .offset:         100
        .size:           4
        .value_kind:     hidden_block_count_y
      - .offset:         104
        .size:           4
        .value_kind:     hidden_block_count_z
      - .offset:         108
        .size:           2
        .value_kind:     hidden_group_size_x
      - .offset:         110
        .size:           2
        .value_kind:     hidden_group_size_y
      - .offset:         112
        .size:           2
        .value_kind:     hidden_group_size_z
      - .offset:         114
        .size:           2
        .value_kind:     hidden_remainder_x
      - .offset:         116
        .size:           2
        .value_kind:     hidden_remainder_y
      - .offset:         118
        .size:           2
        .value_kind:     hidden_remainder_z
      - .offset:         136
        .size:           8
        .value_kind:     hidden_global_offset_x
      - .offset:         144
        .size:           8
        .value_kind:     hidden_global_offset_y
      - .offset:         152
        .size:           8
        .value_kind:     hidden_global_offset_z
      - .offset:         160
        .size:           2
        .value_kind:     hidden_grid_dims
    .group_segment_fixed_size: 20740
    .kernarg_segment_align: 8
    .kernarg_segment_size: 352
    .language:       OpenCL C
    .language_version:
      - 2
      - 0
    .max_flat_workgroup_size: 1024
    .name:           _ZL19rocblas_trsv_deviceILi64ELi16ELb1ELb0ELb0ELb0EffPKPKfPKPfEviT7_lllT6_T8_lllPii
    .private_segment_fixed_size: 0
    .sgpr_count:     107
    .sgpr_spill_count: 128
    .symbol:         _ZL19rocblas_trsv_deviceILi64ELi16ELb1ELb0ELb0ELb0EffPKPKfPKPfEviT7_lllT6_T8_lllPii.kd
    .uniform_work_group_size: 1
    .uses_dynamic_stack: false
    .vgpr_count:     78
    .vgpr_spill_count: 0
    .wavefront_size: 32
  - .args:
      - .offset:         0
        .size:           4
        .value_kind:     by_value
      - .address_space:  global
        .offset:         8
        .size:           8
        .value_kind:     global_buffer
      - .offset:         16
        .size:           8
        .value_kind:     by_value
      - .offset:         24
        .size:           8
        .value_kind:     by_value
      - .offset:         32
        .size:           8
        .value_kind:     by_value
      - .offset:         40
        .size:           4
        .value_kind:     by_value
      - .address_space:  global
        .offset:         48
        .size:           8
        .value_kind:     global_buffer
      - .offset:         56
        .size:           8
        .value_kind:     by_value
      - .offset:         64
        .size:           8
        .value_kind:     by_value
      - .offset:         72
        .size:           8
        .value_kind:     by_value
      - .address_space:  global
        .offset:         80
        .size:           8
        .value_kind:     global_buffer
      - .offset:         88
        .size:           4
        .value_kind:     by_value
      - .offset:         96
        .size:           4
        .value_kind:     hidden_block_count_x
      - .offset:         100
        .size:           4
        .value_kind:     hidden_block_count_y
      - .offset:         104
        .size:           4
        .value_kind:     hidden_block_count_z
      - .offset:         108
        .size:           2
        .value_kind:     hidden_group_size_x
      - .offset:         110
        .size:           2
        .value_kind:     hidden_group_size_y
      - .offset:         112
        .size:           2
        .value_kind:     hidden_group_size_z
      - .offset:         114
        .size:           2
        .value_kind:     hidden_remainder_x
      - .offset:         116
        .size:           2
        .value_kind:     hidden_remainder_y
      - .offset:         118
        .size:           2
        .value_kind:     hidden_remainder_z
      - .offset:         136
        .size:           8
        .value_kind:     hidden_global_offset_x
      - .offset:         144
        .size:           8
        .value_kind:     hidden_global_offset_y
      - .offset:         152
        .size:           8
        .value_kind:     hidden_global_offset_z
      - .offset:         160
        .size:           2
        .value_kind:     hidden_grid_dims
    .group_segment_fixed_size: 20740
    .kernarg_segment_align: 8
    .kernarg_segment_size: 352
    .language:       OpenCL C
    .language_version:
      - 2
      - 0
    .max_flat_workgroup_size: 1024
    .name:           _ZL19rocblas_trsv_deviceILi64ELi16ELb1ELb1ELb0ELb0EffPKPKfPKPfEviT7_lllT6_T8_lllPii
    .private_segment_fixed_size: 0
    .sgpr_count:     107
    .sgpr_spill_count: 125
    .symbol:         _ZL19rocblas_trsv_deviceILi64ELi16ELb1ELb1ELb0ELb0EffPKPKfPKPfEviT7_lllT6_T8_lllPii.kd
    .uniform_work_group_size: 1
    .uses_dynamic_stack: false
    .vgpr_count:     94
    .vgpr_spill_count: 0
    .wavefront_size: 32
  - .args:
      - .offset:         0
        .size:           4
        .value_kind:     by_value
      - .address_space:  global
        .offset:         8
        .size:           8
        .value_kind:     global_buffer
      - .offset:         16
        .size:           8
        .value_kind:     by_value
      - .offset:         24
        .size:           8
        .value_kind:     by_value
      - .offset:         32
        .size:           8
        .value_kind:     by_value
      - .offset:         40
        .size:           4
        .value_kind:     by_value
      - .address_space:  global
        .offset:         48
        .size:           8
        .value_kind:     global_buffer
      - .offset:         56
        .size:           8
        .value_kind:     by_value
      - .offset:         64
        .size:           8
        .value_kind:     by_value
      - .offset:         72
        .size:           8
        .value_kind:     by_value
      - .address_space:  global
        .offset:         80
        .size:           8
        .value_kind:     global_buffer
      - .offset:         88
        .size:           4
        .value_kind:     by_value
      - .offset:         96
        .size:           4
        .value_kind:     hidden_block_count_x
      - .offset:         100
        .size:           4
        .value_kind:     hidden_block_count_y
      - .offset:         104
        .size:           4
        .value_kind:     hidden_block_count_z
      - .offset:         108
        .size:           2
        .value_kind:     hidden_group_size_x
      - .offset:         110
        .size:           2
        .value_kind:     hidden_group_size_y
      - .offset:         112
        .size:           2
        .value_kind:     hidden_group_size_z
      - .offset:         114
        .size:           2
        .value_kind:     hidden_remainder_x
      - .offset:         116
        .size:           2
        .value_kind:     hidden_remainder_y
      - .offset:         118
        .size:           2
        .value_kind:     hidden_remainder_z
      - .offset:         136
        .size:           8
        .value_kind:     hidden_global_offset_x
      - .offset:         144
        .size:           8
        .value_kind:     hidden_global_offset_y
      - .offset:         152
        .size:           8
        .value_kind:     hidden_global_offset_z
      - .offset:         160
        .size:           2
        .value_kind:     hidden_grid_dims
    .group_segment_fixed_size: 20740
    .kernarg_segment_align: 8
    .kernarg_segment_size: 352
    .language:       OpenCL C
    .language_version:
      - 2
      - 0
    .max_flat_workgroup_size: 1024
    .name:           _ZL19rocblas_trsv_deviceILi64ELi16ELb1ELb1ELb1ELb0EffPKPKfPKPfEviT7_lllT6_T8_lllPii
    .private_segment_fixed_size: 0
    .sgpr_count:     107
    .sgpr_spill_count: 125
    .symbol:         _ZL19rocblas_trsv_deviceILi64ELi16ELb1ELb1ELb1ELb0EffPKPKfPKPfEviT7_lllT6_T8_lllPii.kd
    .uniform_work_group_size: 1
    .uses_dynamic_stack: false
    .vgpr_count:     94
    .vgpr_spill_count: 0
    .wavefront_size: 32
  - .args:
      - .offset:         0
        .size:           4
        .value_kind:     by_value
      - .address_space:  global
        .offset:         8
        .size:           8
        .value_kind:     global_buffer
      - .offset:         16
        .size:           8
        .value_kind:     by_value
      - .offset:         24
        .size:           8
        .value_kind:     by_value
      - .offset:         32
        .size:           8
        .value_kind:     by_value
      - .address_space:  global
        .offset:         40
        .size:           8
        .value_kind:     global_buffer
      - .address_space:  global
        .offset:         48
        .size:           8
        .value_kind:     global_buffer
      - .offset:         56
        .size:           8
        .value_kind:     by_value
      - .offset:         64
        .size:           8
        .value_kind:     by_value
      - .offset:         72
        .size:           8
        .value_kind:     by_value
      - .address_space:  global
        .offset:         80
        .size:           8
        .value_kind:     global_buffer
      - .offset:         88
        .size:           4
        .value_kind:     by_value
      - .offset:         96
        .size:           4
        .value_kind:     hidden_block_count_x
      - .offset:         100
        .size:           4
        .value_kind:     hidden_block_count_y
      - .offset:         104
        .size:           4
        .value_kind:     hidden_block_count_z
      - .offset:         108
        .size:           2
        .value_kind:     hidden_group_size_x
      - .offset:         110
        .size:           2
        .value_kind:     hidden_group_size_y
      - .offset:         112
        .size:           2
        .value_kind:     hidden_group_size_z
      - .offset:         114
        .size:           2
        .value_kind:     hidden_remainder_x
      - .offset:         116
        .size:           2
        .value_kind:     hidden_remainder_y
      - .offset:         118
        .size:           2
        .value_kind:     hidden_remainder_z
      - .offset:         136
        .size:           8
        .value_kind:     hidden_global_offset_x
      - .offset:         144
        .size:           8
        .value_kind:     hidden_global_offset_y
      - .offset:         152
        .size:           8
        .value_kind:     hidden_global_offset_z
      - .offset:         160
        .size:           2
        .value_kind:     hidden_grid_dims
    .group_segment_fixed_size: 41480
    .kernarg_segment_align: 8
    .kernarg_segment_size: 352
    .language:       OpenCL C
    .language_version:
      - 2
      - 0
    .max_flat_workgroup_size: 1024
    .name:           _ZL19rocblas_trsv_deviceILi64ELi16ELb0ELb0ELb0ELb1EdPKdPKS1_PKPdEviT7_lllT6_T8_lllPii
    .private_segment_fixed_size: 0
    .sgpr_count:     107
    .sgpr_spill_count: 66
    .symbol:         _ZL19rocblas_trsv_deviceILi64ELi16ELb0ELb0ELb0ELb1EdPKdPKS1_PKPdEviT7_lllT6_T8_lllPii.kd
    .uniform_work_group_size: 1
    .uses_dynamic_stack: false
    .vgpr_count:     87
    .vgpr_spill_count: 0
    .wavefront_size: 32
  - .args:
      - .offset:         0
        .size:           4
        .value_kind:     by_value
      - .address_space:  global
        .offset:         8
        .size:           8
        .value_kind:     global_buffer
      - .offset:         16
        .size:           8
        .value_kind:     by_value
      - .offset:         24
        .size:           8
        .value_kind:     by_value
      - .offset:         32
        .size:           8
        .value_kind:     by_value
      - .address_space:  global
        .offset:         40
        .size:           8
        .value_kind:     global_buffer
      - .address_space:  global
        .offset:         48
        .size:           8
        .value_kind:     global_buffer
      - .offset:         56
        .size:           8
        .value_kind:     by_value
      - .offset:         64
        .size:           8
        .value_kind:     by_value
      - .offset:         72
        .size:           8
        .value_kind:     by_value
      - .address_space:  global
        .offset:         80
        .size:           8
        .value_kind:     global_buffer
      - .offset:         88
        .size:           4
        .value_kind:     by_value
      - .offset:         96
        .size:           4
        .value_kind:     hidden_block_count_x
      - .offset:         100
        .size:           4
        .value_kind:     hidden_block_count_y
      - .offset:         104
        .size:           4
        .value_kind:     hidden_block_count_z
      - .offset:         108
        .size:           2
        .value_kind:     hidden_group_size_x
      - .offset:         110
        .size:           2
        .value_kind:     hidden_group_size_y
      - .offset:         112
        .size:           2
        .value_kind:     hidden_group_size_z
      - .offset:         114
        .size:           2
        .value_kind:     hidden_remainder_x
      - .offset:         116
        .size:           2
        .value_kind:     hidden_remainder_y
      - .offset:         118
        .size:           2
        .value_kind:     hidden_remainder_z
      - .offset:         136
        .size:           8
        .value_kind:     hidden_global_offset_x
      - .offset:         144
        .size:           8
        .value_kind:     hidden_global_offset_y
      - .offset:         152
        .size:           8
        .value_kind:     hidden_global_offset_z
      - .offset:         160
        .size:           2
        .value_kind:     hidden_grid_dims
    .group_segment_fixed_size: 41480
    .kernarg_segment_align: 8
    .kernarg_segment_size: 352
    .language:       OpenCL C
    .language_version:
      - 2
      - 0
    .max_flat_workgroup_size: 1024
    .name:           _ZL19rocblas_trsv_deviceILi64ELi16ELb0ELb1ELb0ELb1EdPKdPKS1_PKPdEviT7_lllT6_T8_lllPii
    .private_segment_fixed_size: 0
    .sgpr_count:     107
    .sgpr_spill_count: 55
    .symbol:         _ZL19rocblas_trsv_deviceILi64ELi16ELb0ELb1ELb0ELb1EdPKdPKS1_PKPdEviT7_lllT6_T8_lllPii.kd
    .uniform_work_group_size: 1
    .uses_dynamic_stack: false
    .vgpr_count:     109
    .vgpr_spill_count: 0
    .wavefront_size: 32
  - .args:
      - .offset:         0
        .size:           4
        .value_kind:     by_value
      - .address_space:  global
        .offset:         8
        .size:           8
        .value_kind:     global_buffer
      - .offset:         16
        .size:           8
        .value_kind:     by_value
      - .offset:         24
        .size:           8
        .value_kind:     by_value
      - .offset:         32
        .size:           8
        .value_kind:     by_value
      - .address_space:  global
        .offset:         40
        .size:           8
        .value_kind:     global_buffer
      - .address_space:  global
        .offset:         48
        .size:           8
        .value_kind:     global_buffer
      - .offset:         56
        .size:           8
        .value_kind:     by_value
      - .offset:         64
        .size:           8
        .value_kind:     by_value
      - .offset:         72
        .size:           8
        .value_kind:     by_value
      - .address_space:  global
        .offset:         80
        .size:           8
        .value_kind:     global_buffer
      - .offset:         88
        .size:           4
        .value_kind:     by_value
      - .offset:         96
        .size:           4
        .value_kind:     hidden_block_count_x
      - .offset:         100
        .size:           4
        .value_kind:     hidden_block_count_y
      - .offset:         104
        .size:           4
        .value_kind:     hidden_block_count_z
      - .offset:         108
        .size:           2
        .value_kind:     hidden_group_size_x
      - .offset:         110
        .size:           2
        .value_kind:     hidden_group_size_y
      - .offset:         112
        .size:           2
        .value_kind:     hidden_group_size_z
      - .offset:         114
        .size:           2
        .value_kind:     hidden_remainder_x
      - .offset:         116
        .size:           2
        .value_kind:     hidden_remainder_y
      - .offset:         118
        .size:           2
        .value_kind:     hidden_remainder_z
      - .offset:         136
        .size:           8
        .value_kind:     hidden_global_offset_x
      - .offset:         144
        .size:           8
        .value_kind:     hidden_global_offset_y
      - .offset:         152
        .size:           8
        .value_kind:     hidden_global_offset_z
      - .offset:         160
        .size:           2
        .value_kind:     hidden_grid_dims
    .group_segment_fixed_size: 41480
    .kernarg_segment_align: 8
    .kernarg_segment_size: 352
    .language:       OpenCL C
    .language_version:
      - 2
      - 0
    .max_flat_workgroup_size: 1024
    .name:           _ZL19rocblas_trsv_deviceILi64ELi16ELb0ELb1ELb1ELb1EdPKdPKS1_PKPdEviT7_lllT6_T8_lllPii
    .private_segment_fixed_size: 0
    .sgpr_count:     107
    .sgpr_spill_count: 55
    .symbol:         _ZL19rocblas_trsv_deviceILi64ELi16ELb0ELb1ELb1ELb1EdPKdPKS1_PKPdEviT7_lllT6_T8_lllPii.kd
    .uniform_work_group_size: 1
    .uses_dynamic_stack: false
    .vgpr_count:     109
    .vgpr_spill_count: 0
    .wavefront_size: 32
  - .args:
      - .offset:         0
        .size:           4
        .value_kind:     by_value
      - .address_space:  global
        .offset:         8
        .size:           8
        .value_kind:     global_buffer
      - .offset:         16
        .size:           8
        .value_kind:     by_value
      - .offset:         24
        .size:           8
        .value_kind:     by_value
      - .offset:         32
        .size:           8
        .value_kind:     by_value
      - .address_space:  global
        .offset:         40
        .size:           8
        .value_kind:     global_buffer
      - .address_space:  global
        .offset:         48
        .size:           8
        .value_kind:     global_buffer
      - .offset:         56
        .size:           8
        .value_kind:     by_value
      - .offset:         64
        .size:           8
        .value_kind:     by_value
      - .offset:         72
        .size:           8
        .value_kind:     by_value
      - .address_space:  global
        .offset:         80
        .size:           8
        .value_kind:     global_buffer
      - .offset:         88
        .size:           4
        .value_kind:     by_value
      - .offset:         96
        .size:           4
        .value_kind:     hidden_block_count_x
      - .offset:         100
        .size:           4
        .value_kind:     hidden_block_count_y
      - .offset:         104
        .size:           4
        .value_kind:     hidden_block_count_z
      - .offset:         108
        .size:           2
        .value_kind:     hidden_group_size_x
      - .offset:         110
        .size:           2
        .value_kind:     hidden_group_size_y
      - .offset:         112
        .size:           2
        .value_kind:     hidden_group_size_z
      - .offset:         114
        .size:           2
        .value_kind:     hidden_remainder_x
      - .offset:         116
        .size:           2
        .value_kind:     hidden_remainder_y
      - .offset:         118
        .size:           2
        .value_kind:     hidden_remainder_z
      - .offset:         136
        .size:           8
        .value_kind:     hidden_global_offset_x
      - .offset:         144
        .size:           8
        .value_kind:     hidden_global_offset_y
      - .offset:         152
        .size:           8
        .value_kind:     hidden_global_offset_z
      - .offset:         160
        .size:           2
        .value_kind:     hidden_grid_dims
    .group_segment_fixed_size: 41480
    .kernarg_segment_align: 8
    .kernarg_segment_size: 352
    .language:       OpenCL C
    .language_version:
      - 2
      - 0
    .max_flat_workgroup_size: 1024
    .name:           _ZL19rocblas_trsv_deviceILi64ELi16ELb0ELb0ELb0ELb0EdPKdPKS1_PKPdEviT7_lllT6_T8_lllPii
    .private_segment_fixed_size: 0
    .sgpr_count:     107
    .sgpr_spill_count: 72
    .symbol:         _ZL19rocblas_trsv_deviceILi64ELi16ELb0ELb0ELb0ELb0EdPKdPKS1_PKPdEviT7_lllT6_T8_lllPii.kd
    .uniform_work_group_size: 1
    .uses_dynamic_stack: false
    .vgpr_count:     87
    .vgpr_spill_count: 0
    .wavefront_size: 32
  - .args:
      - .offset:         0
        .size:           4
        .value_kind:     by_value
      - .address_space:  global
        .offset:         8
        .size:           8
        .value_kind:     global_buffer
      - .offset:         16
        .size:           8
        .value_kind:     by_value
      - .offset:         24
        .size:           8
        .value_kind:     by_value
      - .offset:         32
        .size:           8
        .value_kind:     by_value
      - .address_space:  global
        .offset:         40
        .size:           8
        .value_kind:     global_buffer
      - .address_space:  global
        .offset:         48
        .size:           8
        .value_kind:     global_buffer
      - .offset:         56
        .size:           8
        .value_kind:     by_value
      - .offset:         64
        .size:           8
        .value_kind:     by_value
      - .offset:         72
        .size:           8
        .value_kind:     by_value
      - .address_space:  global
        .offset:         80
        .size:           8
        .value_kind:     global_buffer
      - .offset:         88
        .size:           4
        .value_kind:     by_value
      - .offset:         96
        .size:           4
        .value_kind:     hidden_block_count_x
      - .offset:         100
        .size:           4
        .value_kind:     hidden_block_count_y
      - .offset:         104
        .size:           4
        .value_kind:     hidden_block_count_z
      - .offset:         108
        .size:           2
        .value_kind:     hidden_group_size_x
      - .offset:         110
        .size:           2
        .value_kind:     hidden_group_size_y
      - .offset:         112
        .size:           2
        .value_kind:     hidden_group_size_z
      - .offset:         114
        .size:           2
        .value_kind:     hidden_remainder_x
      - .offset:         116
        .size:           2
        .value_kind:     hidden_remainder_y
      - .offset:         118
        .size:           2
        .value_kind:     hidden_remainder_z
      - .offset:         136
        .size:           8
        .value_kind:     hidden_global_offset_x
      - .offset:         144
        .size:           8
        .value_kind:     hidden_global_offset_y
      - .offset:         152
        .size:           8
        .value_kind:     hidden_global_offset_z
      - .offset:         160
        .size:           2
        .value_kind:     hidden_grid_dims
    .group_segment_fixed_size: 41480
    .kernarg_segment_align: 8
    .kernarg_segment_size: 352
    .language:       OpenCL C
    .language_version:
      - 2
      - 0
    .max_flat_workgroup_size: 1024
    .name:           _ZL19rocblas_trsv_deviceILi64ELi16ELb0ELb1ELb0ELb0EdPKdPKS1_PKPdEviT7_lllT6_T8_lllPii
    .private_segment_fixed_size: 0
    .sgpr_count:     107
    .sgpr_spill_count: 61
    .symbol:         _ZL19rocblas_trsv_deviceILi64ELi16ELb0ELb1ELb0ELb0EdPKdPKS1_PKPdEviT7_lllT6_T8_lllPii.kd
    .uniform_work_group_size: 1
    .uses_dynamic_stack: false
    .vgpr_count:     104
    .vgpr_spill_count: 0
    .wavefront_size: 32
  - .args:
      - .offset:         0
        .size:           4
        .value_kind:     by_value
      - .address_space:  global
        .offset:         8
        .size:           8
        .value_kind:     global_buffer
      - .offset:         16
        .size:           8
        .value_kind:     by_value
      - .offset:         24
        .size:           8
        .value_kind:     by_value
      - .offset:         32
        .size:           8
        .value_kind:     by_value
      - .address_space:  global
        .offset:         40
        .size:           8
        .value_kind:     global_buffer
      - .address_space:  global
        .offset:         48
        .size:           8
        .value_kind:     global_buffer
      - .offset:         56
        .size:           8
        .value_kind:     by_value
      - .offset:         64
        .size:           8
        .value_kind:     by_value
      - .offset:         72
        .size:           8
        .value_kind:     by_value
      - .address_space:  global
        .offset:         80
        .size:           8
        .value_kind:     global_buffer
      - .offset:         88
        .size:           4
        .value_kind:     by_value
      - .offset:         96
        .size:           4
        .value_kind:     hidden_block_count_x
      - .offset:         100
        .size:           4
        .value_kind:     hidden_block_count_y
      - .offset:         104
        .size:           4
        .value_kind:     hidden_block_count_z
      - .offset:         108
        .size:           2
        .value_kind:     hidden_group_size_x
      - .offset:         110
        .size:           2
        .value_kind:     hidden_group_size_y
      - .offset:         112
        .size:           2
        .value_kind:     hidden_group_size_z
      - .offset:         114
        .size:           2
        .value_kind:     hidden_remainder_x
      - .offset:         116
        .size:           2
        .value_kind:     hidden_remainder_y
      - .offset:         118
        .size:           2
        .value_kind:     hidden_remainder_z
      - .offset:         136
        .size:           8
        .value_kind:     hidden_global_offset_x
      - .offset:         144
        .size:           8
        .value_kind:     hidden_global_offset_y
      - .offset:         152
        .size:           8
        .value_kind:     hidden_global_offset_z
      - .offset:         160
        .size:           2
        .value_kind:     hidden_grid_dims
    .group_segment_fixed_size: 41480
    .kernarg_segment_align: 8
    .kernarg_segment_size: 352
    .language:       OpenCL C
    .language_version:
      - 2
      - 0
    .max_flat_workgroup_size: 1024
    .name:           _ZL19rocblas_trsv_deviceILi64ELi16ELb0ELb1ELb1ELb0EdPKdPKS1_PKPdEviT7_lllT6_T8_lllPii
    .private_segment_fixed_size: 0
    .sgpr_count:     107
    .sgpr_spill_count: 61
    .symbol:         _ZL19rocblas_trsv_deviceILi64ELi16ELb0ELb1ELb1ELb0EdPKdPKS1_PKPdEviT7_lllT6_T8_lllPii.kd
    .uniform_work_group_size: 1
    .uses_dynamic_stack: false
    .vgpr_count:     104
    .vgpr_spill_count: 0
    .wavefront_size: 32
  - .args:
      - .offset:         0
        .size:           4
        .value_kind:     by_value
      - .address_space:  global
        .offset:         8
        .size:           8
        .value_kind:     global_buffer
      - .offset:         16
        .size:           8
        .value_kind:     by_value
      - .offset:         24
        .size:           8
        .value_kind:     by_value
      - .offset:         32
        .size:           8
        .value_kind:     by_value
      - .address_space:  global
        .offset:         40
        .size:           8
        .value_kind:     global_buffer
      - .address_space:  global
        .offset:         48
        .size:           8
        .value_kind:     global_buffer
      - .offset:         56
        .size:           8
        .value_kind:     by_value
      - .offset:         64
        .size:           8
        .value_kind:     by_value
      - .offset:         72
        .size:           8
        .value_kind:     by_value
      - .address_space:  global
        .offset:         80
        .size:           8
        .value_kind:     global_buffer
      - .offset:         88
        .size:           4
        .value_kind:     by_value
      - .offset:         96
        .size:           4
        .value_kind:     hidden_block_count_x
      - .offset:         100
        .size:           4
        .value_kind:     hidden_block_count_y
      - .offset:         104
        .size:           4
        .value_kind:     hidden_block_count_z
      - .offset:         108
        .size:           2
        .value_kind:     hidden_group_size_x
      - .offset:         110
        .size:           2
        .value_kind:     hidden_group_size_y
      - .offset:         112
        .size:           2
        .value_kind:     hidden_group_size_z
      - .offset:         114
        .size:           2
        .value_kind:     hidden_remainder_x
      - .offset:         116
        .size:           2
        .value_kind:     hidden_remainder_y
      - .offset:         118
        .size:           2
        .value_kind:     hidden_remainder_z
      - .offset:         136
        .size:           8
        .value_kind:     hidden_global_offset_x
      - .offset:         144
        .size:           8
        .value_kind:     hidden_global_offset_y
      - .offset:         152
        .size:           8
        .value_kind:     hidden_global_offset_z
      - .offset:         160
        .size:           2
        .value_kind:     hidden_grid_dims
    .group_segment_fixed_size: 41480
    .kernarg_segment_align: 8
    .kernarg_segment_size: 352
    .language:       OpenCL C
    .language_version:
      - 2
      - 0
    .max_flat_workgroup_size: 1024
    .name:           _ZL19rocblas_trsv_deviceILi64ELi16ELb1ELb0ELb0ELb1EdPKdPKS1_PKPdEviT7_lllT6_T8_lllPii
    .private_segment_fixed_size: 0
    .sgpr_count:     107
    .sgpr_spill_count: 62
    .symbol:         _ZL19rocblas_trsv_deviceILi64ELi16ELb1ELb0ELb0ELb1EdPKdPKS1_PKPdEviT7_lllT6_T8_lllPii.kd
    .uniform_work_group_size: 1
    .uses_dynamic_stack: false
    .vgpr_count:     94
    .vgpr_spill_count: 0
    .wavefront_size: 32
  - .args:
      - .offset:         0
        .size:           4
        .value_kind:     by_value
      - .address_space:  global
        .offset:         8
        .size:           8
        .value_kind:     global_buffer
      - .offset:         16
        .size:           8
        .value_kind:     by_value
      - .offset:         24
        .size:           8
        .value_kind:     by_value
      - .offset:         32
        .size:           8
        .value_kind:     by_value
      - .address_space:  global
        .offset:         40
        .size:           8
        .value_kind:     global_buffer
      - .address_space:  global
        .offset:         48
        .size:           8
        .value_kind:     global_buffer
      - .offset:         56
        .size:           8
        .value_kind:     by_value
      - .offset:         64
        .size:           8
        .value_kind:     by_value
      - .offset:         72
        .size:           8
        .value_kind:     by_value
      - .address_space:  global
        .offset:         80
        .size:           8
        .value_kind:     global_buffer
      - .offset:         88
        .size:           4
        .value_kind:     by_value
      - .offset:         96
        .size:           4
        .value_kind:     hidden_block_count_x
      - .offset:         100
        .size:           4
        .value_kind:     hidden_block_count_y
      - .offset:         104
        .size:           4
        .value_kind:     hidden_block_count_z
      - .offset:         108
        .size:           2
        .value_kind:     hidden_group_size_x
      - .offset:         110
        .size:           2
        .value_kind:     hidden_group_size_y
      - .offset:         112
        .size:           2
        .value_kind:     hidden_group_size_z
      - .offset:         114
        .size:           2
        .value_kind:     hidden_remainder_x
      - .offset:         116
        .size:           2
        .value_kind:     hidden_remainder_y
      - .offset:         118
        .size:           2
        .value_kind:     hidden_remainder_z
      - .offset:         136
        .size:           8
        .value_kind:     hidden_global_offset_x
      - .offset:         144
        .size:           8
        .value_kind:     hidden_global_offset_y
      - .offset:         152
        .size:           8
        .value_kind:     hidden_global_offset_z
      - .offset:         160
        .size:           2
        .value_kind:     hidden_grid_dims
    .group_segment_fixed_size: 41480
    .kernarg_segment_align: 8
    .kernarg_segment_size: 352
    .language:       OpenCL C
    .language_version:
      - 2
      - 0
    .max_flat_workgroup_size: 1024
    .name:           _ZL19rocblas_trsv_deviceILi64ELi16ELb1ELb1ELb0ELb1EdPKdPKS1_PKPdEviT7_lllT6_T8_lllPii
    .private_segment_fixed_size: 0
    .sgpr_count:     107
    .sgpr_spill_count: 59
    .symbol:         _ZL19rocblas_trsv_deviceILi64ELi16ELb1ELb1ELb0ELb1EdPKdPKS1_PKPdEviT7_lllT6_T8_lllPii.kd
    .uniform_work_group_size: 1
    .uses_dynamic_stack: false
    .vgpr_count:     104
    .vgpr_spill_count: 0
    .wavefront_size: 32
  - .args:
      - .offset:         0
        .size:           4
        .value_kind:     by_value
      - .address_space:  global
        .offset:         8
        .size:           8
        .value_kind:     global_buffer
      - .offset:         16
        .size:           8
        .value_kind:     by_value
      - .offset:         24
        .size:           8
        .value_kind:     by_value
      - .offset:         32
        .size:           8
        .value_kind:     by_value
      - .address_space:  global
        .offset:         40
        .size:           8
        .value_kind:     global_buffer
      - .address_space:  global
        .offset:         48
        .size:           8
        .value_kind:     global_buffer
      - .offset:         56
        .size:           8
        .value_kind:     by_value
      - .offset:         64
        .size:           8
        .value_kind:     by_value
      - .offset:         72
        .size:           8
        .value_kind:     by_value
      - .address_space:  global
        .offset:         80
        .size:           8
        .value_kind:     global_buffer
      - .offset:         88
        .size:           4
        .value_kind:     by_value
      - .offset:         96
        .size:           4
        .value_kind:     hidden_block_count_x
      - .offset:         100
        .size:           4
        .value_kind:     hidden_block_count_y
      - .offset:         104
        .size:           4
        .value_kind:     hidden_block_count_z
      - .offset:         108
        .size:           2
        .value_kind:     hidden_group_size_x
      - .offset:         110
        .size:           2
        .value_kind:     hidden_group_size_y
      - .offset:         112
        .size:           2
        .value_kind:     hidden_group_size_z
      - .offset:         114
        .size:           2
        .value_kind:     hidden_remainder_x
      - .offset:         116
        .size:           2
        .value_kind:     hidden_remainder_y
      - .offset:         118
        .size:           2
        .value_kind:     hidden_remainder_z
      - .offset:         136
        .size:           8
        .value_kind:     hidden_global_offset_x
      - .offset:         144
        .size:           8
        .value_kind:     hidden_global_offset_y
      - .offset:         152
        .size:           8
        .value_kind:     hidden_global_offset_z
      - .offset:         160
        .size:           2
        .value_kind:     hidden_grid_dims
    .group_segment_fixed_size: 41480
    .kernarg_segment_align: 8
    .kernarg_segment_size: 352
    .language:       OpenCL C
    .language_version:
      - 2
      - 0
    .max_flat_workgroup_size: 1024
    .name:           _ZL19rocblas_trsv_deviceILi64ELi16ELb1ELb1ELb1ELb1EdPKdPKS1_PKPdEviT7_lllT6_T8_lllPii
    .private_segment_fixed_size: 0
    .sgpr_count:     107
    .sgpr_spill_count: 59
    .symbol:         _ZL19rocblas_trsv_deviceILi64ELi16ELb1ELb1ELb1ELb1EdPKdPKS1_PKPdEviT7_lllT6_T8_lllPii.kd
    .uniform_work_group_size: 1
    .uses_dynamic_stack: false
    .vgpr_count:     104
    .vgpr_spill_count: 0
    .wavefront_size: 32
  - .args:
      - .offset:         0
        .size:           4
        .value_kind:     by_value
      - .address_space:  global
        .offset:         8
        .size:           8
        .value_kind:     global_buffer
      - .offset:         16
        .size:           8
        .value_kind:     by_value
      - .offset:         24
        .size:           8
        .value_kind:     by_value
      - .offset:         32
        .size:           8
        .value_kind:     by_value
      - .address_space:  global
        .offset:         40
        .size:           8
        .value_kind:     global_buffer
      - .address_space:  global
        .offset:         48
        .size:           8
        .value_kind:     global_buffer
      - .offset:         56
        .size:           8
        .value_kind:     by_value
      - .offset:         64
        .size:           8
        .value_kind:     by_value
      - .offset:         72
        .size:           8
        .value_kind:     by_value
      - .address_space:  global
        .offset:         80
        .size:           8
        .value_kind:     global_buffer
      - .offset:         88
        .size:           4
        .value_kind:     by_value
      - .offset:         96
        .size:           4
        .value_kind:     hidden_block_count_x
      - .offset:         100
        .size:           4
        .value_kind:     hidden_block_count_y
      - .offset:         104
        .size:           4
        .value_kind:     hidden_block_count_z
      - .offset:         108
        .size:           2
        .value_kind:     hidden_group_size_x
      - .offset:         110
        .size:           2
        .value_kind:     hidden_group_size_y
      - .offset:         112
        .size:           2
        .value_kind:     hidden_group_size_z
      - .offset:         114
        .size:           2
        .value_kind:     hidden_remainder_x
      - .offset:         116
        .size:           2
        .value_kind:     hidden_remainder_y
      - .offset:         118
        .size:           2
        .value_kind:     hidden_remainder_z
      - .offset:         136
        .size:           8
        .value_kind:     hidden_global_offset_x
      - .offset:         144
        .size:           8
        .value_kind:     hidden_global_offset_y
      - .offset:         152
        .size:           8
        .value_kind:     hidden_global_offset_z
      - .offset:         160
        .size:           2
        .value_kind:     hidden_grid_dims
    .group_segment_fixed_size: 41480
    .kernarg_segment_align: 8
    .kernarg_segment_size: 352
    .language:       OpenCL C
    .language_version:
      - 2
      - 0
    .max_flat_workgroup_size: 1024
    .name:           _ZL19rocblas_trsv_deviceILi64ELi16ELb1ELb0ELb0ELb0EdPKdPKS1_PKPdEviT7_lllT6_T8_lllPii
    .private_segment_fixed_size: 0
    .sgpr_count:     107
    .sgpr_spill_count: 68
    .symbol:         _ZL19rocblas_trsv_deviceILi64ELi16ELb1ELb0ELb0ELb0EdPKdPKS1_PKPdEviT7_lllT6_T8_lllPii.kd
    .uniform_work_group_size: 1
    .uses_dynamic_stack: false
    .vgpr_count:     91
    .vgpr_spill_count: 0
    .wavefront_size: 32
  - .args:
      - .offset:         0
        .size:           4
        .value_kind:     by_value
      - .address_space:  global
        .offset:         8
        .size:           8
        .value_kind:     global_buffer
      - .offset:         16
        .size:           8
        .value_kind:     by_value
      - .offset:         24
        .size:           8
        .value_kind:     by_value
      - .offset:         32
        .size:           8
        .value_kind:     by_value
      - .address_space:  global
        .offset:         40
        .size:           8
        .value_kind:     global_buffer
      - .address_space:  global
        .offset:         48
        .size:           8
        .value_kind:     global_buffer
      - .offset:         56
        .size:           8
        .value_kind:     by_value
      - .offset:         64
        .size:           8
        .value_kind:     by_value
      - .offset:         72
        .size:           8
        .value_kind:     by_value
      - .address_space:  global
        .offset:         80
        .size:           8
        .value_kind:     global_buffer
      - .offset:         88
        .size:           4
        .value_kind:     by_value
      - .offset:         96
        .size:           4
        .value_kind:     hidden_block_count_x
      - .offset:         100
        .size:           4
        .value_kind:     hidden_block_count_y
      - .offset:         104
        .size:           4
        .value_kind:     hidden_block_count_z
      - .offset:         108
        .size:           2
        .value_kind:     hidden_group_size_x
      - .offset:         110
        .size:           2
        .value_kind:     hidden_group_size_y
      - .offset:         112
        .size:           2
        .value_kind:     hidden_group_size_z
      - .offset:         114
        .size:           2
        .value_kind:     hidden_remainder_x
      - .offset:         116
        .size:           2
        .value_kind:     hidden_remainder_y
      - .offset:         118
        .size:           2
        .value_kind:     hidden_remainder_z
      - .offset:         136
        .size:           8
        .value_kind:     hidden_global_offset_x
      - .offset:         144
        .size:           8
        .value_kind:     hidden_global_offset_y
      - .offset:         152
        .size:           8
        .value_kind:     hidden_global_offset_z
      - .offset:         160
        .size:           2
        .value_kind:     hidden_grid_dims
    .group_segment_fixed_size: 41480
    .kernarg_segment_align: 8
    .kernarg_segment_size: 352
    .language:       OpenCL C
    .language_version:
      - 2
      - 0
    .max_flat_workgroup_size: 1024
    .name:           _ZL19rocblas_trsv_deviceILi64ELi16ELb1ELb1ELb0ELb0EdPKdPKS1_PKPdEviT7_lllT6_T8_lllPii
    .private_segment_fixed_size: 0
    .sgpr_count:     107
    .sgpr_spill_count: 65
    .symbol:         _ZL19rocblas_trsv_deviceILi64ELi16ELb1ELb1ELb0ELb0EdPKdPKS1_PKPdEviT7_lllT6_T8_lllPii.kd
    .uniform_work_group_size: 1
    .uses_dynamic_stack: false
    .vgpr_count:     103
    .vgpr_spill_count: 0
    .wavefront_size: 32
  - .args:
      - .offset:         0
        .size:           4
        .value_kind:     by_value
      - .address_space:  global
        .offset:         8
        .size:           8
        .value_kind:     global_buffer
      - .offset:         16
        .size:           8
        .value_kind:     by_value
      - .offset:         24
        .size:           8
        .value_kind:     by_value
      - .offset:         32
        .size:           8
        .value_kind:     by_value
      - .address_space:  global
        .offset:         40
        .size:           8
        .value_kind:     global_buffer
      - .address_space:  global
        .offset:         48
        .size:           8
        .value_kind:     global_buffer
      - .offset:         56
        .size:           8
        .value_kind:     by_value
      - .offset:         64
        .size:           8
        .value_kind:     by_value
      - .offset:         72
        .size:           8
        .value_kind:     by_value
      - .address_space:  global
        .offset:         80
        .size:           8
        .value_kind:     global_buffer
      - .offset:         88
        .size:           4
        .value_kind:     by_value
      - .offset:         96
        .size:           4
        .value_kind:     hidden_block_count_x
      - .offset:         100
        .size:           4
        .value_kind:     hidden_block_count_y
      - .offset:         104
        .size:           4
        .value_kind:     hidden_block_count_z
      - .offset:         108
        .size:           2
        .value_kind:     hidden_group_size_x
      - .offset:         110
        .size:           2
        .value_kind:     hidden_group_size_y
      - .offset:         112
        .size:           2
        .value_kind:     hidden_group_size_z
      - .offset:         114
        .size:           2
        .value_kind:     hidden_remainder_x
      - .offset:         116
        .size:           2
        .value_kind:     hidden_remainder_y
      - .offset:         118
        .size:           2
        .value_kind:     hidden_remainder_z
      - .offset:         136
        .size:           8
        .value_kind:     hidden_global_offset_x
      - .offset:         144
        .size:           8
        .value_kind:     hidden_global_offset_y
      - .offset:         152
        .size:           8
        .value_kind:     hidden_global_offset_z
      - .offset:         160
        .size:           2
        .value_kind:     hidden_grid_dims
    .group_segment_fixed_size: 41480
    .kernarg_segment_align: 8
    .kernarg_segment_size: 352
    .language:       OpenCL C
    .language_version:
      - 2
      - 0
    .max_flat_workgroup_size: 1024
    .name:           _ZL19rocblas_trsv_deviceILi64ELi16ELb1ELb1ELb1ELb0EdPKdPKS1_PKPdEviT7_lllT6_T8_lllPii
    .private_segment_fixed_size: 0
    .sgpr_count:     107
    .sgpr_spill_count: 65
    .symbol:         _ZL19rocblas_trsv_deviceILi64ELi16ELb1ELb1ELb1ELb0EdPKdPKS1_PKPdEviT7_lllT6_T8_lllPii.kd
    .uniform_work_group_size: 1
    .uses_dynamic_stack: false
    .vgpr_count:     103
    .vgpr_spill_count: 0
    .wavefront_size: 32
  - .args:
      - .offset:         0
        .size:           4
        .value_kind:     by_value
      - .address_space:  global
        .offset:         8
        .size:           8
        .value_kind:     global_buffer
      - .offset:         16
        .size:           8
        .value_kind:     by_value
      - .offset:         24
        .size:           8
        .value_kind:     by_value
      - .offset:         32
        .size:           8
        .value_kind:     by_value
      - .offset:         40
        .size:           8
        .value_kind:     by_value
      - .address_space:  global
        .offset:         48
        .size:           8
        .value_kind:     global_buffer
      - .offset:         56
        .size:           8
        .value_kind:     by_value
      - .offset:         64
        .size:           8
        .value_kind:     by_value
      - .offset:         72
        .size:           8
        .value_kind:     by_value
      - .address_space:  global
        .offset:         80
        .size:           8
        .value_kind:     global_buffer
      - .offset:         88
        .size:           4
        .value_kind:     by_value
      - .offset:         96
        .size:           4
        .value_kind:     hidden_block_count_x
      - .offset:         100
        .size:           4
        .value_kind:     hidden_block_count_y
      - .offset:         104
        .size:           4
        .value_kind:     hidden_block_count_z
      - .offset:         108
        .size:           2
        .value_kind:     hidden_group_size_x
      - .offset:         110
        .size:           2
        .value_kind:     hidden_group_size_y
      - .offset:         112
        .size:           2
        .value_kind:     hidden_group_size_z
      - .offset:         114
        .size:           2
        .value_kind:     hidden_remainder_x
      - .offset:         116
        .size:           2
        .value_kind:     hidden_remainder_y
      - .offset:         118
        .size:           2
        .value_kind:     hidden_remainder_z
      - .offset:         136
        .size:           8
        .value_kind:     hidden_global_offset_x
      - .offset:         144
        .size:           8
        .value_kind:     hidden_global_offset_y
      - .offset:         152
        .size:           8
        .value_kind:     hidden_global_offset_z
      - .offset:         160
        .size:           2
        .value_kind:     hidden_grid_dims
    .group_segment_fixed_size: 41480
    .kernarg_segment_align: 8
    .kernarg_segment_size: 352
    .language:       OpenCL C
    .language_version:
      - 2
      - 0
    .max_flat_workgroup_size: 1024
    .name:           _ZL19rocblas_trsv_deviceILi64ELi16ELb0ELb0ELb0ELb1EddPKPKdPKPdEviT7_lllT6_T8_lllPii
    .private_segment_fixed_size: 0
    .sgpr_count:     107
    .sgpr_spill_count: 66
    .symbol:         _ZL19rocblas_trsv_deviceILi64ELi16ELb0ELb0ELb0ELb1EddPKPKdPKPdEviT7_lllT6_T8_lllPii.kd
    .uniform_work_group_size: 1
    .uses_dynamic_stack: false
    .vgpr_count:     89
    .vgpr_spill_count: 0
    .wavefront_size: 32
  - .args:
      - .offset:         0
        .size:           4
        .value_kind:     by_value
      - .address_space:  global
        .offset:         8
        .size:           8
        .value_kind:     global_buffer
      - .offset:         16
        .size:           8
        .value_kind:     by_value
      - .offset:         24
        .size:           8
        .value_kind:     by_value
      - .offset:         32
        .size:           8
        .value_kind:     by_value
      - .offset:         40
        .size:           8
        .value_kind:     by_value
      - .address_space:  global
        .offset:         48
        .size:           8
        .value_kind:     global_buffer
      - .offset:         56
        .size:           8
        .value_kind:     by_value
      - .offset:         64
        .size:           8
        .value_kind:     by_value
      - .offset:         72
        .size:           8
        .value_kind:     by_value
      - .address_space:  global
        .offset:         80
        .size:           8
        .value_kind:     global_buffer
      - .offset:         88
        .size:           4
        .value_kind:     by_value
      - .offset:         96
        .size:           4
        .value_kind:     hidden_block_count_x
      - .offset:         100
        .size:           4
        .value_kind:     hidden_block_count_y
      - .offset:         104
        .size:           4
        .value_kind:     hidden_block_count_z
      - .offset:         108
        .size:           2
        .value_kind:     hidden_group_size_x
      - .offset:         110
        .size:           2
        .value_kind:     hidden_group_size_y
      - .offset:         112
        .size:           2
        .value_kind:     hidden_group_size_z
      - .offset:         114
        .size:           2
        .value_kind:     hidden_remainder_x
      - .offset:         116
        .size:           2
        .value_kind:     hidden_remainder_y
      - .offset:         118
        .size:           2
        .value_kind:     hidden_remainder_z
      - .offset:         136
        .size:           8
        .value_kind:     hidden_global_offset_x
      - .offset:         144
        .size:           8
        .value_kind:     hidden_global_offset_y
      - .offset:         152
        .size:           8
        .value_kind:     hidden_global_offset_z
      - .offset:         160
        .size:           2
        .value_kind:     hidden_grid_dims
    .group_segment_fixed_size: 41480
    .kernarg_segment_align: 8
    .kernarg_segment_size: 352
    .language:       OpenCL C
    .language_version:
      - 2
      - 0
    .max_flat_workgroup_size: 1024
    .name:           _ZL19rocblas_trsv_deviceILi64ELi16ELb0ELb1ELb0ELb1EddPKPKdPKPdEviT7_lllT6_T8_lllPii
    .private_segment_fixed_size: 0
    .sgpr_count:     107
    .sgpr_spill_count: 55
    .symbol:         _ZL19rocblas_trsv_deviceILi64ELi16ELb0ELb1ELb0ELb1EddPKPKdPKPdEviT7_lllT6_T8_lllPii.kd
    .uniform_work_group_size: 1
    .uses_dynamic_stack: false
    .vgpr_count:     105
    .vgpr_spill_count: 0
    .wavefront_size: 32
  - .args:
      - .offset:         0
        .size:           4
        .value_kind:     by_value
      - .address_space:  global
        .offset:         8
        .size:           8
        .value_kind:     global_buffer
      - .offset:         16
        .size:           8
        .value_kind:     by_value
      - .offset:         24
        .size:           8
        .value_kind:     by_value
      - .offset:         32
        .size:           8
        .value_kind:     by_value
      - .offset:         40
        .size:           8
        .value_kind:     by_value
      - .address_space:  global
        .offset:         48
        .size:           8
        .value_kind:     global_buffer
      - .offset:         56
        .size:           8
        .value_kind:     by_value
      - .offset:         64
        .size:           8
        .value_kind:     by_value
      - .offset:         72
        .size:           8
        .value_kind:     by_value
      - .address_space:  global
        .offset:         80
        .size:           8
        .value_kind:     global_buffer
      - .offset:         88
        .size:           4
        .value_kind:     by_value
      - .offset:         96
        .size:           4
        .value_kind:     hidden_block_count_x
      - .offset:         100
        .size:           4
        .value_kind:     hidden_block_count_y
      - .offset:         104
        .size:           4
        .value_kind:     hidden_block_count_z
      - .offset:         108
        .size:           2
        .value_kind:     hidden_group_size_x
      - .offset:         110
        .size:           2
        .value_kind:     hidden_group_size_y
      - .offset:         112
        .size:           2
        .value_kind:     hidden_group_size_z
      - .offset:         114
        .size:           2
        .value_kind:     hidden_remainder_x
      - .offset:         116
        .size:           2
        .value_kind:     hidden_remainder_y
      - .offset:         118
        .size:           2
        .value_kind:     hidden_remainder_z
      - .offset:         136
        .size:           8
        .value_kind:     hidden_global_offset_x
      - .offset:         144
        .size:           8
        .value_kind:     hidden_global_offset_y
      - .offset:         152
        .size:           8
        .value_kind:     hidden_global_offset_z
      - .offset:         160
        .size:           2
        .value_kind:     hidden_grid_dims
    .group_segment_fixed_size: 41480
    .kernarg_segment_align: 8
    .kernarg_segment_size: 352
    .language:       OpenCL C
    .language_version:
      - 2
      - 0
    .max_flat_workgroup_size: 1024
    .name:           _ZL19rocblas_trsv_deviceILi64ELi16ELb0ELb1ELb1ELb1EddPKPKdPKPdEviT7_lllT6_T8_lllPii
    .private_segment_fixed_size: 0
    .sgpr_count:     107
    .sgpr_spill_count: 55
    .symbol:         _ZL19rocblas_trsv_deviceILi64ELi16ELb0ELb1ELb1ELb1EddPKPKdPKPdEviT7_lllT6_T8_lllPii.kd
    .uniform_work_group_size: 1
    .uses_dynamic_stack: false
    .vgpr_count:     105
    .vgpr_spill_count: 0
    .wavefront_size: 32
  - .args:
      - .offset:         0
        .size:           4
        .value_kind:     by_value
      - .address_space:  global
        .offset:         8
        .size:           8
        .value_kind:     global_buffer
      - .offset:         16
        .size:           8
        .value_kind:     by_value
      - .offset:         24
        .size:           8
        .value_kind:     by_value
      - .offset:         32
        .size:           8
        .value_kind:     by_value
      - .offset:         40
        .size:           8
        .value_kind:     by_value
      - .address_space:  global
        .offset:         48
        .size:           8
        .value_kind:     global_buffer
      - .offset:         56
        .size:           8
        .value_kind:     by_value
      - .offset:         64
        .size:           8
        .value_kind:     by_value
      - .offset:         72
        .size:           8
        .value_kind:     by_value
      - .address_space:  global
        .offset:         80
        .size:           8
        .value_kind:     global_buffer
      - .offset:         88
        .size:           4
        .value_kind:     by_value
      - .offset:         96
        .size:           4
        .value_kind:     hidden_block_count_x
      - .offset:         100
        .size:           4
        .value_kind:     hidden_block_count_y
      - .offset:         104
        .size:           4
        .value_kind:     hidden_block_count_z
      - .offset:         108
        .size:           2
        .value_kind:     hidden_group_size_x
      - .offset:         110
        .size:           2
        .value_kind:     hidden_group_size_y
      - .offset:         112
        .size:           2
        .value_kind:     hidden_group_size_z
      - .offset:         114
        .size:           2
        .value_kind:     hidden_remainder_x
      - .offset:         116
        .size:           2
        .value_kind:     hidden_remainder_y
      - .offset:         118
        .size:           2
        .value_kind:     hidden_remainder_z
      - .offset:         136
        .size:           8
        .value_kind:     hidden_global_offset_x
      - .offset:         144
        .size:           8
        .value_kind:     hidden_global_offset_y
      - .offset:         152
        .size:           8
        .value_kind:     hidden_global_offset_z
      - .offset:         160
        .size:           2
        .value_kind:     hidden_grid_dims
    .group_segment_fixed_size: 41480
    .kernarg_segment_align: 8
    .kernarg_segment_size: 352
    .language:       OpenCL C
    .language_version:
      - 2
      - 0
    .max_flat_workgroup_size: 1024
    .name:           _ZL19rocblas_trsv_deviceILi64ELi16ELb0ELb0ELb0ELb0EddPKPKdPKPdEviT7_lllT6_T8_lllPii
    .private_segment_fixed_size: 0
    .sgpr_count:     107
    .sgpr_spill_count: 72
    .symbol:         _ZL19rocblas_trsv_deviceILi64ELi16ELb0ELb0ELb0ELb0EddPKPKdPKPdEviT7_lllT6_T8_lllPii.kd
    .uniform_work_group_size: 1
    .uses_dynamic_stack: false
    .vgpr_count:     87
    .vgpr_spill_count: 0
    .wavefront_size: 32
  - .args:
      - .offset:         0
        .size:           4
        .value_kind:     by_value
      - .address_space:  global
        .offset:         8
        .size:           8
        .value_kind:     global_buffer
      - .offset:         16
        .size:           8
        .value_kind:     by_value
      - .offset:         24
        .size:           8
        .value_kind:     by_value
      - .offset:         32
        .size:           8
        .value_kind:     by_value
      - .offset:         40
        .size:           8
        .value_kind:     by_value
      - .address_space:  global
        .offset:         48
        .size:           8
        .value_kind:     global_buffer
      - .offset:         56
        .size:           8
        .value_kind:     by_value
      - .offset:         64
        .size:           8
        .value_kind:     by_value
      - .offset:         72
        .size:           8
        .value_kind:     by_value
      - .address_space:  global
        .offset:         80
        .size:           8
        .value_kind:     global_buffer
      - .offset:         88
        .size:           4
        .value_kind:     by_value
      - .offset:         96
        .size:           4
        .value_kind:     hidden_block_count_x
      - .offset:         100
        .size:           4
        .value_kind:     hidden_block_count_y
      - .offset:         104
        .size:           4
        .value_kind:     hidden_block_count_z
      - .offset:         108
        .size:           2
        .value_kind:     hidden_group_size_x
      - .offset:         110
        .size:           2
        .value_kind:     hidden_group_size_y
      - .offset:         112
        .size:           2
        .value_kind:     hidden_group_size_z
      - .offset:         114
        .size:           2
        .value_kind:     hidden_remainder_x
      - .offset:         116
        .size:           2
        .value_kind:     hidden_remainder_y
      - .offset:         118
        .size:           2
        .value_kind:     hidden_remainder_z
      - .offset:         136
        .size:           8
        .value_kind:     hidden_global_offset_x
      - .offset:         144
        .size:           8
        .value_kind:     hidden_global_offset_y
      - .offset:         152
        .size:           8
        .value_kind:     hidden_global_offset_z
      - .offset:         160
        .size:           2
        .value_kind:     hidden_grid_dims
    .group_segment_fixed_size: 41480
    .kernarg_segment_align: 8
    .kernarg_segment_size: 352
    .language:       OpenCL C
    .language_version:
      - 2
      - 0
    .max_flat_workgroup_size: 1024
    .name:           _ZL19rocblas_trsv_deviceILi64ELi16ELb0ELb1ELb0ELb0EddPKPKdPKPdEviT7_lllT6_T8_lllPii
    .private_segment_fixed_size: 0
    .sgpr_count:     107
    .sgpr_spill_count: 61
    .symbol:         _ZL19rocblas_trsv_deviceILi64ELi16ELb0ELb1ELb0ELb0EddPKPKdPKPdEviT7_lllT6_T8_lllPii.kd
    .uniform_work_group_size: 1
    .uses_dynamic_stack: false
    .vgpr_count:     102
    .vgpr_spill_count: 0
    .wavefront_size: 32
  - .args:
      - .offset:         0
        .size:           4
        .value_kind:     by_value
      - .address_space:  global
        .offset:         8
        .size:           8
        .value_kind:     global_buffer
      - .offset:         16
        .size:           8
        .value_kind:     by_value
      - .offset:         24
        .size:           8
        .value_kind:     by_value
      - .offset:         32
        .size:           8
        .value_kind:     by_value
      - .offset:         40
        .size:           8
        .value_kind:     by_value
      - .address_space:  global
        .offset:         48
        .size:           8
        .value_kind:     global_buffer
      - .offset:         56
        .size:           8
        .value_kind:     by_value
      - .offset:         64
        .size:           8
        .value_kind:     by_value
      - .offset:         72
        .size:           8
        .value_kind:     by_value
      - .address_space:  global
        .offset:         80
        .size:           8
        .value_kind:     global_buffer
      - .offset:         88
        .size:           4
        .value_kind:     by_value
      - .offset:         96
        .size:           4
        .value_kind:     hidden_block_count_x
      - .offset:         100
        .size:           4
        .value_kind:     hidden_block_count_y
      - .offset:         104
        .size:           4
        .value_kind:     hidden_block_count_z
      - .offset:         108
        .size:           2
        .value_kind:     hidden_group_size_x
      - .offset:         110
        .size:           2
        .value_kind:     hidden_group_size_y
      - .offset:         112
        .size:           2
        .value_kind:     hidden_group_size_z
      - .offset:         114
        .size:           2
        .value_kind:     hidden_remainder_x
      - .offset:         116
        .size:           2
        .value_kind:     hidden_remainder_y
      - .offset:         118
        .size:           2
        .value_kind:     hidden_remainder_z
      - .offset:         136
        .size:           8
        .value_kind:     hidden_global_offset_x
      - .offset:         144
        .size:           8
        .value_kind:     hidden_global_offset_y
      - .offset:         152
        .size:           8
        .value_kind:     hidden_global_offset_z
      - .offset:         160
        .size:           2
        .value_kind:     hidden_grid_dims
    .group_segment_fixed_size: 41480
    .kernarg_segment_align: 8
    .kernarg_segment_size: 352
    .language:       OpenCL C
    .language_version:
      - 2
      - 0
    .max_flat_workgroup_size: 1024
    .name:           _ZL19rocblas_trsv_deviceILi64ELi16ELb0ELb1ELb1ELb0EddPKPKdPKPdEviT7_lllT6_T8_lllPii
    .private_segment_fixed_size: 0
    .sgpr_count:     107
    .sgpr_spill_count: 61
    .symbol:         _ZL19rocblas_trsv_deviceILi64ELi16ELb0ELb1ELb1ELb0EddPKPKdPKPdEviT7_lllT6_T8_lllPii.kd
    .uniform_work_group_size: 1
    .uses_dynamic_stack: false
    .vgpr_count:     102
    .vgpr_spill_count: 0
    .wavefront_size: 32
  - .args:
      - .offset:         0
        .size:           4
        .value_kind:     by_value
      - .address_space:  global
        .offset:         8
        .size:           8
        .value_kind:     global_buffer
      - .offset:         16
        .size:           8
        .value_kind:     by_value
      - .offset:         24
        .size:           8
        .value_kind:     by_value
      - .offset:         32
        .size:           8
        .value_kind:     by_value
      - .offset:         40
        .size:           8
        .value_kind:     by_value
      - .address_space:  global
        .offset:         48
        .size:           8
        .value_kind:     global_buffer
      - .offset:         56
        .size:           8
        .value_kind:     by_value
      - .offset:         64
        .size:           8
        .value_kind:     by_value
      - .offset:         72
        .size:           8
        .value_kind:     by_value
      - .address_space:  global
        .offset:         80
        .size:           8
        .value_kind:     global_buffer
      - .offset:         88
        .size:           4
        .value_kind:     by_value
      - .offset:         96
        .size:           4
        .value_kind:     hidden_block_count_x
      - .offset:         100
        .size:           4
        .value_kind:     hidden_block_count_y
      - .offset:         104
        .size:           4
        .value_kind:     hidden_block_count_z
      - .offset:         108
        .size:           2
        .value_kind:     hidden_group_size_x
      - .offset:         110
        .size:           2
        .value_kind:     hidden_group_size_y
      - .offset:         112
        .size:           2
        .value_kind:     hidden_group_size_z
      - .offset:         114
        .size:           2
        .value_kind:     hidden_remainder_x
      - .offset:         116
        .size:           2
        .value_kind:     hidden_remainder_y
      - .offset:         118
        .size:           2
        .value_kind:     hidden_remainder_z
      - .offset:         136
        .size:           8
        .value_kind:     hidden_global_offset_x
      - .offset:         144
        .size:           8
        .value_kind:     hidden_global_offset_y
      - .offset:         152
        .size:           8
        .value_kind:     hidden_global_offset_z
      - .offset:         160
        .size:           2
        .value_kind:     hidden_grid_dims
    .group_segment_fixed_size: 41480
    .kernarg_segment_align: 8
    .kernarg_segment_size: 352
    .language:       OpenCL C
    .language_version:
      - 2
      - 0
    .max_flat_workgroup_size: 1024
    .name:           _ZL19rocblas_trsv_deviceILi64ELi16ELb1ELb0ELb0ELb1EddPKPKdPKPdEviT7_lllT6_T8_lllPii
    .private_segment_fixed_size: 0
    .sgpr_count:     107
    .sgpr_spill_count: 62
    .symbol:         _ZL19rocblas_trsv_deviceILi64ELi16ELb1ELb0ELb0ELb1EddPKPKdPKPdEviT7_lllT6_T8_lllPii.kd
    .uniform_work_group_size: 1
    .uses_dynamic_stack: false
    .vgpr_count:     90
    .vgpr_spill_count: 0
    .wavefront_size: 32
  - .args:
      - .offset:         0
        .size:           4
        .value_kind:     by_value
      - .address_space:  global
        .offset:         8
        .size:           8
        .value_kind:     global_buffer
      - .offset:         16
        .size:           8
        .value_kind:     by_value
      - .offset:         24
        .size:           8
        .value_kind:     by_value
      - .offset:         32
        .size:           8
        .value_kind:     by_value
      - .offset:         40
        .size:           8
        .value_kind:     by_value
      - .address_space:  global
        .offset:         48
        .size:           8
        .value_kind:     global_buffer
      - .offset:         56
        .size:           8
        .value_kind:     by_value
      - .offset:         64
        .size:           8
        .value_kind:     by_value
      - .offset:         72
        .size:           8
        .value_kind:     by_value
      - .address_space:  global
        .offset:         80
        .size:           8
        .value_kind:     global_buffer
      - .offset:         88
        .size:           4
        .value_kind:     by_value
      - .offset:         96
        .size:           4
        .value_kind:     hidden_block_count_x
      - .offset:         100
        .size:           4
        .value_kind:     hidden_block_count_y
      - .offset:         104
        .size:           4
        .value_kind:     hidden_block_count_z
      - .offset:         108
        .size:           2
        .value_kind:     hidden_group_size_x
      - .offset:         110
        .size:           2
        .value_kind:     hidden_group_size_y
      - .offset:         112
        .size:           2
        .value_kind:     hidden_group_size_z
      - .offset:         114
        .size:           2
        .value_kind:     hidden_remainder_x
      - .offset:         116
        .size:           2
        .value_kind:     hidden_remainder_y
      - .offset:         118
        .size:           2
        .value_kind:     hidden_remainder_z
      - .offset:         136
        .size:           8
        .value_kind:     hidden_global_offset_x
      - .offset:         144
        .size:           8
        .value_kind:     hidden_global_offset_y
      - .offset:         152
        .size:           8
        .value_kind:     hidden_global_offset_z
      - .offset:         160
        .size:           2
        .value_kind:     hidden_grid_dims
    .group_segment_fixed_size: 41480
    .kernarg_segment_align: 8
    .kernarg_segment_size: 352
    .language:       OpenCL C
    .language_version:
      - 2
      - 0
    .max_flat_workgroup_size: 1024
    .name:           _ZL19rocblas_trsv_deviceILi64ELi16ELb1ELb1ELb0ELb1EddPKPKdPKPdEviT7_lllT6_T8_lllPii
    .private_segment_fixed_size: 0
    .sgpr_count:     107
    .sgpr_spill_count: 59
    .symbol:         _ZL19rocblas_trsv_deviceILi64ELi16ELb1ELb1ELb0ELb1EddPKPKdPKPdEviT7_lllT6_T8_lllPii.kd
    .uniform_work_group_size: 1
    .uses_dynamic_stack: false
    .vgpr_count:     104
    .vgpr_spill_count: 0
    .wavefront_size: 32
  - .args:
      - .offset:         0
        .size:           4
        .value_kind:     by_value
      - .address_space:  global
        .offset:         8
        .size:           8
        .value_kind:     global_buffer
      - .offset:         16
        .size:           8
        .value_kind:     by_value
      - .offset:         24
        .size:           8
        .value_kind:     by_value
      - .offset:         32
        .size:           8
        .value_kind:     by_value
      - .offset:         40
        .size:           8
        .value_kind:     by_value
      - .address_space:  global
        .offset:         48
        .size:           8
        .value_kind:     global_buffer
      - .offset:         56
        .size:           8
        .value_kind:     by_value
      - .offset:         64
        .size:           8
        .value_kind:     by_value
      - .offset:         72
        .size:           8
        .value_kind:     by_value
      - .address_space:  global
        .offset:         80
        .size:           8
        .value_kind:     global_buffer
      - .offset:         88
        .size:           4
        .value_kind:     by_value
      - .offset:         96
        .size:           4
        .value_kind:     hidden_block_count_x
      - .offset:         100
        .size:           4
        .value_kind:     hidden_block_count_y
      - .offset:         104
        .size:           4
        .value_kind:     hidden_block_count_z
      - .offset:         108
        .size:           2
        .value_kind:     hidden_group_size_x
      - .offset:         110
        .size:           2
        .value_kind:     hidden_group_size_y
      - .offset:         112
        .size:           2
        .value_kind:     hidden_group_size_z
      - .offset:         114
        .size:           2
        .value_kind:     hidden_remainder_x
      - .offset:         116
        .size:           2
        .value_kind:     hidden_remainder_y
      - .offset:         118
        .size:           2
        .value_kind:     hidden_remainder_z
      - .offset:         136
        .size:           8
        .value_kind:     hidden_global_offset_x
      - .offset:         144
        .size:           8
        .value_kind:     hidden_global_offset_y
      - .offset:         152
        .size:           8
        .value_kind:     hidden_global_offset_z
      - .offset:         160
        .size:           2
        .value_kind:     hidden_grid_dims
    .group_segment_fixed_size: 41480
    .kernarg_segment_align: 8
    .kernarg_segment_size: 352
    .language:       OpenCL C
    .language_version:
      - 2
      - 0
    .max_flat_workgroup_size: 1024
    .name:           _ZL19rocblas_trsv_deviceILi64ELi16ELb1ELb1ELb1ELb1EddPKPKdPKPdEviT7_lllT6_T8_lllPii
    .private_segment_fixed_size: 0
    .sgpr_count:     107
    .sgpr_spill_count: 59
    .symbol:         _ZL19rocblas_trsv_deviceILi64ELi16ELb1ELb1ELb1ELb1EddPKPKdPKPdEviT7_lllT6_T8_lllPii.kd
    .uniform_work_group_size: 1
    .uses_dynamic_stack: false
    .vgpr_count:     104
    .vgpr_spill_count: 0
    .wavefront_size: 32
  - .args:
      - .offset:         0
        .size:           4
        .value_kind:     by_value
      - .address_space:  global
        .offset:         8
        .size:           8
        .value_kind:     global_buffer
      - .offset:         16
        .size:           8
        .value_kind:     by_value
      - .offset:         24
        .size:           8
        .value_kind:     by_value
      - .offset:         32
        .size:           8
        .value_kind:     by_value
      - .offset:         40
        .size:           8
        .value_kind:     by_value
      - .address_space:  global
        .offset:         48
        .size:           8
        .value_kind:     global_buffer
      - .offset:         56
        .size:           8
        .value_kind:     by_value
      - .offset:         64
        .size:           8
        .value_kind:     by_value
      - .offset:         72
        .size:           8
        .value_kind:     by_value
      - .address_space:  global
        .offset:         80
        .size:           8
        .value_kind:     global_buffer
      - .offset:         88
        .size:           4
        .value_kind:     by_value
      - .offset:         96
        .size:           4
        .value_kind:     hidden_block_count_x
      - .offset:         100
        .size:           4
        .value_kind:     hidden_block_count_y
      - .offset:         104
        .size:           4
        .value_kind:     hidden_block_count_z
      - .offset:         108
        .size:           2
        .value_kind:     hidden_group_size_x
      - .offset:         110
        .size:           2
        .value_kind:     hidden_group_size_y
      - .offset:         112
        .size:           2
        .value_kind:     hidden_group_size_z
      - .offset:         114
        .size:           2
        .value_kind:     hidden_remainder_x
      - .offset:         116
        .size:           2
        .value_kind:     hidden_remainder_y
      - .offset:         118
        .size:           2
        .value_kind:     hidden_remainder_z
      - .offset:         136
        .size:           8
        .value_kind:     hidden_global_offset_x
      - .offset:         144
        .size:           8
        .value_kind:     hidden_global_offset_y
      - .offset:         152
        .size:           8
        .value_kind:     hidden_global_offset_z
      - .offset:         160
        .size:           2
        .value_kind:     hidden_grid_dims
    .group_segment_fixed_size: 41480
    .kernarg_segment_align: 8
    .kernarg_segment_size: 352
    .language:       OpenCL C
    .language_version:
      - 2
      - 0
    .max_flat_workgroup_size: 1024
    .name:           _ZL19rocblas_trsv_deviceILi64ELi16ELb1ELb0ELb0ELb0EddPKPKdPKPdEviT7_lllT6_T8_lllPii
    .private_segment_fixed_size: 0
    .sgpr_count:     107
    .sgpr_spill_count: 68
    .symbol:         _ZL19rocblas_trsv_deviceILi64ELi16ELb1ELb0ELb0ELb0EddPKPKdPKPdEviT7_lllT6_T8_lllPii.kd
    .uniform_work_group_size: 1
    .uses_dynamic_stack: false
    .vgpr_count:     87
    .vgpr_spill_count: 0
    .wavefront_size: 32
  - .args:
      - .offset:         0
        .size:           4
        .value_kind:     by_value
      - .address_space:  global
        .offset:         8
        .size:           8
        .value_kind:     global_buffer
      - .offset:         16
        .size:           8
        .value_kind:     by_value
      - .offset:         24
        .size:           8
        .value_kind:     by_value
      - .offset:         32
        .size:           8
        .value_kind:     by_value
      - .offset:         40
        .size:           8
        .value_kind:     by_value
      - .address_space:  global
        .offset:         48
        .size:           8
        .value_kind:     global_buffer
      - .offset:         56
        .size:           8
        .value_kind:     by_value
      - .offset:         64
        .size:           8
        .value_kind:     by_value
      - .offset:         72
        .size:           8
        .value_kind:     by_value
      - .address_space:  global
        .offset:         80
        .size:           8
        .value_kind:     global_buffer
      - .offset:         88
        .size:           4
        .value_kind:     by_value
      - .offset:         96
        .size:           4
        .value_kind:     hidden_block_count_x
      - .offset:         100
        .size:           4
        .value_kind:     hidden_block_count_y
      - .offset:         104
        .size:           4
        .value_kind:     hidden_block_count_z
      - .offset:         108
        .size:           2
        .value_kind:     hidden_group_size_x
      - .offset:         110
        .size:           2
        .value_kind:     hidden_group_size_y
      - .offset:         112
        .size:           2
        .value_kind:     hidden_group_size_z
      - .offset:         114
        .size:           2
        .value_kind:     hidden_remainder_x
      - .offset:         116
        .size:           2
        .value_kind:     hidden_remainder_y
      - .offset:         118
        .size:           2
        .value_kind:     hidden_remainder_z
      - .offset:         136
        .size:           8
        .value_kind:     hidden_global_offset_x
      - .offset:         144
        .size:           8
        .value_kind:     hidden_global_offset_y
      - .offset:         152
        .size:           8
        .value_kind:     hidden_global_offset_z
      - .offset:         160
        .size:           2
        .value_kind:     hidden_grid_dims
    .group_segment_fixed_size: 41480
    .kernarg_segment_align: 8
    .kernarg_segment_size: 352
    .language:       OpenCL C
    .language_version:
      - 2
      - 0
    .max_flat_workgroup_size: 1024
    .name:           _ZL19rocblas_trsv_deviceILi64ELi16ELb1ELb1ELb0ELb0EddPKPKdPKPdEviT7_lllT6_T8_lllPii
    .private_segment_fixed_size: 0
    .sgpr_count:     107
    .sgpr_spill_count: 65
    .symbol:         _ZL19rocblas_trsv_deviceILi64ELi16ELb1ELb1ELb0ELb0EddPKPKdPKPdEviT7_lllT6_T8_lllPii.kd
    .uniform_work_group_size: 1
    .uses_dynamic_stack: false
    .vgpr_count:     101
    .vgpr_spill_count: 0
    .wavefront_size: 32
  - .args:
      - .offset:         0
        .size:           4
        .value_kind:     by_value
      - .address_space:  global
        .offset:         8
        .size:           8
        .value_kind:     global_buffer
      - .offset:         16
        .size:           8
        .value_kind:     by_value
      - .offset:         24
        .size:           8
        .value_kind:     by_value
      - .offset:         32
        .size:           8
        .value_kind:     by_value
      - .offset:         40
        .size:           8
        .value_kind:     by_value
      - .address_space:  global
        .offset:         48
        .size:           8
        .value_kind:     global_buffer
      - .offset:         56
        .size:           8
        .value_kind:     by_value
      - .offset:         64
        .size:           8
        .value_kind:     by_value
      - .offset:         72
        .size:           8
        .value_kind:     by_value
      - .address_space:  global
        .offset:         80
        .size:           8
        .value_kind:     global_buffer
      - .offset:         88
        .size:           4
        .value_kind:     by_value
      - .offset:         96
        .size:           4
        .value_kind:     hidden_block_count_x
      - .offset:         100
        .size:           4
        .value_kind:     hidden_block_count_y
      - .offset:         104
        .size:           4
        .value_kind:     hidden_block_count_z
      - .offset:         108
        .size:           2
        .value_kind:     hidden_group_size_x
      - .offset:         110
        .size:           2
        .value_kind:     hidden_group_size_y
      - .offset:         112
        .size:           2
        .value_kind:     hidden_group_size_z
      - .offset:         114
        .size:           2
        .value_kind:     hidden_remainder_x
      - .offset:         116
        .size:           2
        .value_kind:     hidden_remainder_y
      - .offset:         118
        .size:           2
        .value_kind:     hidden_remainder_z
      - .offset:         136
        .size:           8
        .value_kind:     hidden_global_offset_x
      - .offset:         144
        .size:           8
        .value_kind:     hidden_global_offset_y
      - .offset:         152
        .size:           8
        .value_kind:     hidden_global_offset_z
      - .offset:         160
        .size:           2
        .value_kind:     hidden_grid_dims
    .group_segment_fixed_size: 41480
    .kernarg_segment_align: 8
    .kernarg_segment_size: 352
    .language:       OpenCL C
    .language_version:
      - 2
      - 0
    .max_flat_workgroup_size: 1024
    .name:           _ZL19rocblas_trsv_deviceILi64ELi16ELb1ELb1ELb1ELb0EddPKPKdPKPdEviT7_lllT6_T8_lllPii
    .private_segment_fixed_size: 0
    .sgpr_count:     107
    .sgpr_spill_count: 65
    .symbol:         _ZL19rocblas_trsv_deviceILi64ELi16ELb1ELb1ELb1ELb0EddPKPKdPKPdEviT7_lllT6_T8_lllPii.kd
    .uniform_work_group_size: 1
    .uses_dynamic_stack: false
    .vgpr_count:     101
    .vgpr_spill_count: 0
    .wavefront_size: 32
  - .args:
      - .offset:         0
        .size:           4
        .value_kind:     by_value
      - .address_space:  global
        .offset:         8
        .size:           8
        .value_kind:     global_buffer
      - .offset:         16
        .size:           8
        .value_kind:     by_value
      - .offset:         24
        .size:           8
        .value_kind:     by_value
      - .offset:         32
        .size:           8
        .value_kind:     by_value
      - .address_space:  global
        .offset:         40
        .size:           8
        .value_kind:     global_buffer
      - .address_space:  global
        .offset:         48
        .size:           8
        .value_kind:     global_buffer
      - .offset:         56
        .size:           8
        .value_kind:     by_value
      - .offset:         64
        .size:           8
        .value_kind:     by_value
      - .offset:         72
        .size:           8
        .value_kind:     by_value
      - .address_space:  global
        .offset:         80
        .size:           8
        .value_kind:     global_buffer
      - .offset:         88
        .size:           4
        .value_kind:     by_value
      - .offset:         96
        .size:           4
        .value_kind:     hidden_block_count_x
      - .offset:         100
        .size:           4
        .value_kind:     hidden_block_count_y
      - .offset:         104
        .size:           4
        .value_kind:     hidden_block_count_z
      - .offset:         108
        .size:           2
        .value_kind:     hidden_group_size_x
      - .offset:         110
        .size:           2
        .value_kind:     hidden_group_size_y
      - .offset:         112
        .size:           2
        .value_kind:     hidden_group_size_z
      - .offset:         114
        .size:           2
        .value_kind:     hidden_remainder_x
      - .offset:         116
        .size:           2
        .value_kind:     hidden_remainder_y
      - .offset:         118
        .size:           2
        .value_kind:     hidden_remainder_z
      - .offset:         136
        .size:           8
        .value_kind:     hidden_global_offset_x
      - .offset:         144
        .size:           8
        .value_kind:     hidden_global_offset_y
      - .offset:         152
        .size:           8
        .value_kind:     hidden_global_offset_z
      - .offset:         160
        .size:           2
        .value_kind:     hidden_grid_dims
    .group_segment_fixed_size: 41480
    .kernarg_segment_align: 8
    .kernarg_segment_size: 352
    .language:       OpenCL C
    .language_version:
      - 2
      - 0
    .max_flat_workgroup_size: 1024
    .name:           _ZL19rocblas_trsv_deviceILi64ELi16ELb0ELb0ELb0ELb1E19rocblas_complex_numIfEPKS1_PKS3_PKPS1_EviT7_lllT6_T8_lllPii
    .private_segment_fixed_size: 48
    .sgpr_count:     107
    .sgpr_spill_count: 67
    .symbol:         _ZL19rocblas_trsv_deviceILi64ELi16ELb0ELb0ELb0ELb1E19rocblas_complex_numIfEPKS1_PKS3_PKPS1_EviT7_lllT6_T8_lllPii.kd
    .uniform_work_group_size: 1
    .uses_dynamic_stack: false
    .vgpr_count:     94
    .vgpr_spill_count: 0
    .wavefront_size: 32
  - .args:
      - .offset:         0
        .size:           4
        .value_kind:     by_value
      - .address_space:  global
        .offset:         8
        .size:           8
        .value_kind:     global_buffer
      - .offset:         16
        .size:           8
        .value_kind:     by_value
      - .offset:         24
        .size:           8
        .value_kind:     by_value
      - .offset:         32
        .size:           8
        .value_kind:     by_value
      - .address_space:  global
        .offset:         40
        .size:           8
        .value_kind:     global_buffer
      - .address_space:  global
        .offset:         48
        .size:           8
        .value_kind:     global_buffer
      - .offset:         56
        .size:           8
        .value_kind:     by_value
      - .offset:         64
        .size:           8
        .value_kind:     by_value
      - .offset:         72
        .size:           8
        .value_kind:     by_value
      - .address_space:  global
        .offset:         80
        .size:           8
        .value_kind:     global_buffer
      - .offset:         88
        .size:           4
        .value_kind:     by_value
      - .offset:         96
        .size:           4
        .value_kind:     hidden_block_count_x
      - .offset:         100
        .size:           4
        .value_kind:     hidden_block_count_y
      - .offset:         104
        .size:           4
        .value_kind:     hidden_block_count_z
      - .offset:         108
        .size:           2
        .value_kind:     hidden_group_size_x
      - .offset:         110
        .size:           2
        .value_kind:     hidden_group_size_y
      - .offset:         112
        .size:           2
        .value_kind:     hidden_group_size_z
      - .offset:         114
        .size:           2
        .value_kind:     hidden_remainder_x
      - .offset:         116
        .size:           2
        .value_kind:     hidden_remainder_y
      - .offset:         118
        .size:           2
        .value_kind:     hidden_remainder_z
      - .offset:         136
        .size:           8
        .value_kind:     hidden_global_offset_x
      - .offset:         144
        .size:           8
        .value_kind:     hidden_global_offset_y
      - .offset:         152
        .size:           8
        .value_kind:     hidden_global_offset_z
      - .offset:         160
        .size:           2
        .value_kind:     hidden_grid_dims
    .group_segment_fixed_size: 41480
    .kernarg_segment_align: 8
    .kernarg_segment_size: 352
    .language:       OpenCL C
    .language_version:
      - 2
      - 0
    .max_flat_workgroup_size: 1024
    .name:           _ZL19rocblas_trsv_deviceILi64ELi16ELb0ELb1ELb0ELb1E19rocblas_complex_numIfEPKS1_PKS3_PKPS1_EviT7_lllT6_T8_lllPii
    .private_segment_fixed_size: 48
    .sgpr_count:     107
    .sgpr_spill_count: 56
    .symbol:         _ZL19rocblas_trsv_deviceILi64ELi16ELb0ELb1ELb0ELb1E19rocblas_complex_numIfEPKS1_PKS3_PKPS1_EviT7_lllT6_T8_lllPii.kd
    .uniform_work_group_size: 1
    .uses_dynamic_stack: false
    .vgpr_count:     112
    .vgpr_spill_count: 0
    .wavefront_size: 32
  - .args:
      - .offset:         0
        .size:           4
        .value_kind:     by_value
      - .address_space:  global
        .offset:         8
        .size:           8
        .value_kind:     global_buffer
      - .offset:         16
        .size:           8
        .value_kind:     by_value
      - .offset:         24
        .size:           8
        .value_kind:     by_value
      - .offset:         32
        .size:           8
        .value_kind:     by_value
      - .address_space:  global
        .offset:         40
        .size:           8
        .value_kind:     global_buffer
      - .address_space:  global
        .offset:         48
        .size:           8
        .value_kind:     global_buffer
      - .offset:         56
        .size:           8
        .value_kind:     by_value
      - .offset:         64
        .size:           8
        .value_kind:     by_value
      - .offset:         72
        .size:           8
        .value_kind:     by_value
      - .address_space:  global
        .offset:         80
        .size:           8
        .value_kind:     global_buffer
      - .offset:         88
        .size:           4
        .value_kind:     by_value
      - .offset:         96
        .size:           4
        .value_kind:     hidden_block_count_x
      - .offset:         100
        .size:           4
        .value_kind:     hidden_block_count_y
      - .offset:         104
        .size:           4
        .value_kind:     hidden_block_count_z
      - .offset:         108
        .size:           2
        .value_kind:     hidden_group_size_x
      - .offset:         110
        .size:           2
        .value_kind:     hidden_group_size_y
      - .offset:         112
        .size:           2
        .value_kind:     hidden_group_size_z
      - .offset:         114
        .size:           2
        .value_kind:     hidden_remainder_x
      - .offset:         116
        .size:           2
        .value_kind:     hidden_remainder_y
      - .offset:         118
        .size:           2
        .value_kind:     hidden_remainder_z
      - .offset:         136
        .size:           8
        .value_kind:     hidden_global_offset_x
      - .offset:         144
        .size:           8
        .value_kind:     hidden_global_offset_y
      - .offset:         152
        .size:           8
        .value_kind:     hidden_global_offset_z
      - .offset:         160
        .size:           2
        .value_kind:     hidden_grid_dims
    .group_segment_fixed_size: 41480
    .kernarg_segment_align: 8
    .kernarg_segment_size: 352
    .language:       OpenCL C
    .language_version:
      - 2
      - 0
    .max_flat_workgroup_size: 1024
    .name:           _ZL19rocblas_trsv_deviceILi64ELi16ELb0ELb1ELb1ELb1E19rocblas_complex_numIfEPKS1_PKS3_PKPS1_EviT7_lllT6_T8_lllPii
    .private_segment_fixed_size: 0
    .sgpr_count:     107
    .sgpr_spill_count: 56
    .symbol:         _ZL19rocblas_trsv_deviceILi64ELi16ELb0ELb1ELb1ELb1E19rocblas_complex_numIfEPKS1_PKS3_PKPS1_EviT7_lllT6_T8_lllPii.kd
    .uniform_work_group_size: 1
    .uses_dynamic_stack: false
    .vgpr_count:     114
    .vgpr_spill_count: 0
    .wavefront_size: 32
  - .args:
      - .offset:         0
        .size:           4
        .value_kind:     by_value
      - .address_space:  global
        .offset:         8
        .size:           8
        .value_kind:     global_buffer
      - .offset:         16
        .size:           8
        .value_kind:     by_value
      - .offset:         24
        .size:           8
        .value_kind:     by_value
      - .offset:         32
        .size:           8
        .value_kind:     by_value
      - .address_space:  global
        .offset:         40
        .size:           8
        .value_kind:     global_buffer
      - .address_space:  global
        .offset:         48
        .size:           8
        .value_kind:     global_buffer
      - .offset:         56
        .size:           8
        .value_kind:     by_value
      - .offset:         64
        .size:           8
        .value_kind:     by_value
      - .offset:         72
        .size:           8
        .value_kind:     by_value
      - .address_space:  global
        .offset:         80
        .size:           8
        .value_kind:     global_buffer
      - .offset:         88
        .size:           4
        .value_kind:     by_value
      - .offset:         96
        .size:           4
        .value_kind:     hidden_block_count_x
      - .offset:         100
        .size:           4
        .value_kind:     hidden_block_count_y
      - .offset:         104
        .size:           4
        .value_kind:     hidden_block_count_z
      - .offset:         108
        .size:           2
        .value_kind:     hidden_group_size_x
      - .offset:         110
        .size:           2
        .value_kind:     hidden_group_size_y
      - .offset:         112
        .size:           2
        .value_kind:     hidden_group_size_z
      - .offset:         114
        .size:           2
        .value_kind:     hidden_remainder_x
      - .offset:         116
        .size:           2
        .value_kind:     hidden_remainder_y
      - .offset:         118
        .size:           2
        .value_kind:     hidden_remainder_z
      - .offset:         136
        .size:           8
        .value_kind:     hidden_global_offset_x
      - .offset:         144
        .size:           8
        .value_kind:     hidden_global_offset_y
      - .offset:         152
        .size:           8
        .value_kind:     hidden_global_offset_z
      - .offset:         160
        .size:           2
        .value_kind:     hidden_grid_dims
    .group_segment_fixed_size: 41480
    .kernarg_segment_align: 8
    .kernarg_segment_size: 352
    .language:       OpenCL C
    .language_version:
      - 2
      - 0
    .max_flat_workgroup_size: 1024
    .name:           _ZL19rocblas_trsv_deviceILi64ELi16ELb0ELb0ELb0ELb0E19rocblas_complex_numIfEPKS1_PKS3_PKPS1_EviT7_lllT6_T8_lllPii
    .private_segment_fixed_size: 48
    .sgpr_count:     107
    .sgpr_spill_count: 73
    .symbol:         _ZL19rocblas_trsv_deviceILi64ELi16ELb0ELb0ELb0ELb0E19rocblas_complex_numIfEPKS1_PKS3_PKPS1_EviT7_lllT6_T8_lllPii.kd
    .uniform_work_group_size: 1
    .uses_dynamic_stack: false
    .vgpr_count:     91
    .vgpr_spill_count: 0
    .wavefront_size: 32
  - .args:
      - .offset:         0
        .size:           4
        .value_kind:     by_value
      - .address_space:  global
        .offset:         8
        .size:           8
        .value_kind:     global_buffer
      - .offset:         16
        .size:           8
        .value_kind:     by_value
      - .offset:         24
        .size:           8
        .value_kind:     by_value
      - .offset:         32
        .size:           8
        .value_kind:     by_value
      - .address_space:  global
        .offset:         40
        .size:           8
        .value_kind:     global_buffer
      - .address_space:  global
        .offset:         48
        .size:           8
        .value_kind:     global_buffer
      - .offset:         56
        .size:           8
        .value_kind:     by_value
      - .offset:         64
        .size:           8
        .value_kind:     by_value
      - .offset:         72
        .size:           8
        .value_kind:     by_value
      - .address_space:  global
        .offset:         80
        .size:           8
        .value_kind:     global_buffer
      - .offset:         88
        .size:           4
        .value_kind:     by_value
      - .offset:         96
        .size:           4
        .value_kind:     hidden_block_count_x
      - .offset:         100
        .size:           4
        .value_kind:     hidden_block_count_y
      - .offset:         104
        .size:           4
        .value_kind:     hidden_block_count_z
      - .offset:         108
        .size:           2
        .value_kind:     hidden_group_size_x
      - .offset:         110
        .size:           2
        .value_kind:     hidden_group_size_y
      - .offset:         112
        .size:           2
        .value_kind:     hidden_group_size_z
      - .offset:         114
        .size:           2
        .value_kind:     hidden_remainder_x
      - .offset:         116
        .size:           2
        .value_kind:     hidden_remainder_y
      - .offset:         118
        .size:           2
        .value_kind:     hidden_remainder_z
      - .offset:         136
        .size:           8
        .value_kind:     hidden_global_offset_x
      - .offset:         144
        .size:           8
        .value_kind:     hidden_global_offset_y
      - .offset:         152
        .size:           8
        .value_kind:     hidden_global_offset_z
      - .offset:         160
        .size:           2
        .value_kind:     hidden_grid_dims
    .group_segment_fixed_size: 41480
    .kernarg_segment_align: 8
    .kernarg_segment_size: 352
    .language:       OpenCL C
    .language_version:
      - 2
      - 0
    .max_flat_workgroup_size: 1024
    .name:           _ZL19rocblas_trsv_deviceILi64ELi16ELb0ELb1ELb0ELb0E19rocblas_complex_numIfEPKS1_PKS3_PKPS1_EviT7_lllT6_T8_lllPii
    .private_segment_fixed_size: 48
    .sgpr_count:     107
    .sgpr_spill_count: 62
    .symbol:         _ZL19rocblas_trsv_deviceILi64ELi16ELb0ELb1ELb0ELb0E19rocblas_complex_numIfEPKS1_PKS3_PKPS1_EviT7_lllT6_T8_lllPii.kd
    .uniform_work_group_size: 1
    .uses_dynamic_stack: false
    .vgpr_count:     109
    .vgpr_spill_count: 0
    .wavefront_size: 32
  - .args:
      - .offset:         0
        .size:           4
        .value_kind:     by_value
      - .address_space:  global
        .offset:         8
        .size:           8
        .value_kind:     global_buffer
      - .offset:         16
        .size:           8
        .value_kind:     by_value
      - .offset:         24
        .size:           8
        .value_kind:     by_value
      - .offset:         32
        .size:           8
        .value_kind:     by_value
      - .address_space:  global
        .offset:         40
        .size:           8
        .value_kind:     global_buffer
      - .address_space:  global
        .offset:         48
        .size:           8
        .value_kind:     global_buffer
      - .offset:         56
        .size:           8
        .value_kind:     by_value
      - .offset:         64
        .size:           8
        .value_kind:     by_value
      - .offset:         72
        .size:           8
        .value_kind:     by_value
      - .address_space:  global
        .offset:         80
        .size:           8
        .value_kind:     global_buffer
      - .offset:         88
        .size:           4
        .value_kind:     by_value
      - .offset:         96
        .size:           4
        .value_kind:     hidden_block_count_x
      - .offset:         100
        .size:           4
        .value_kind:     hidden_block_count_y
      - .offset:         104
        .size:           4
        .value_kind:     hidden_block_count_z
      - .offset:         108
        .size:           2
        .value_kind:     hidden_group_size_x
      - .offset:         110
        .size:           2
        .value_kind:     hidden_group_size_y
      - .offset:         112
        .size:           2
        .value_kind:     hidden_group_size_z
      - .offset:         114
        .size:           2
        .value_kind:     hidden_remainder_x
      - .offset:         116
        .size:           2
        .value_kind:     hidden_remainder_y
      - .offset:         118
        .size:           2
        .value_kind:     hidden_remainder_z
      - .offset:         136
        .size:           8
        .value_kind:     hidden_global_offset_x
      - .offset:         144
        .size:           8
        .value_kind:     hidden_global_offset_y
      - .offset:         152
        .size:           8
        .value_kind:     hidden_global_offset_z
      - .offset:         160
        .size:           2
        .value_kind:     hidden_grid_dims
    .group_segment_fixed_size: 41480
    .kernarg_segment_align: 8
    .kernarg_segment_size: 352
    .language:       OpenCL C
    .language_version:
      - 2
      - 0
    .max_flat_workgroup_size: 1024
    .name:           _ZL19rocblas_trsv_deviceILi64ELi16ELb0ELb1ELb1ELb0E19rocblas_complex_numIfEPKS1_PKS3_PKPS1_EviT7_lllT6_T8_lllPii
    .private_segment_fixed_size: 0
    .sgpr_count:     107
    .sgpr_spill_count: 62
    .symbol:         _ZL19rocblas_trsv_deviceILi64ELi16ELb0ELb1ELb1ELb0E19rocblas_complex_numIfEPKS1_PKS3_PKPS1_EviT7_lllT6_T8_lllPii.kd
    .uniform_work_group_size: 1
    .uses_dynamic_stack: false
    .vgpr_count:     108
    .vgpr_spill_count: 0
    .wavefront_size: 32
  - .args:
      - .offset:         0
        .size:           4
        .value_kind:     by_value
      - .address_space:  global
        .offset:         8
        .size:           8
        .value_kind:     global_buffer
      - .offset:         16
        .size:           8
        .value_kind:     by_value
      - .offset:         24
        .size:           8
        .value_kind:     by_value
      - .offset:         32
        .size:           8
        .value_kind:     by_value
      - .address_space:  global
        .offset:         40
        .size:           8
        .value_kind:     global_buffer
      - .address_space:  global
        .offset:         48
        .size:           8
        .value_kind:     global_buffer
      - .offset:         56
        .size:           8
        .value_kind:     by_value
      - .offset:         64
        .size:           8
        .value_kind:     by_value
      - .offset:         72
        .size:           8
        .value_kind:     by_value
      - .address_space:  global
        .offset:         80
        .size:           8
        .value_kind:     global_buffer
      - .offset:         88
        .size:           4
        .value_kind:     by_value
      - .offset:         96
        .size:           4
        .value_kind:     hidden_block_count_x
      - .offset:         100
        .size:           4
        .value_kind:     hidden_block_count_y
      - .offset:         104
        .size:           4
        .value_kind:     hidden_block_count_z
      - .offset:         108
        .size:           2
        .value_kind:     hidden_group_size_x
      - .offset:         110
        .size:           2
        .value_kind:     hidden_group_size_y
      - .offset:         112
        .size:           2
        .value_kind:     hidden_group_size_z
      - .offset:         114
        .size:           2
        .value_kind:     hidden_remainder_x
      - .offset:         116
        .size:           2
        .value_kind:     hidden_remainder_y
      - .offset:         118
        .size:           2
        .value_kind:     hidden_remainder_z
      - .offset:         136
        .size:           8
        .value_kind:     hidden_global_offset_x
      - .offset:         144
        .size:           8
        .value_kind:     hidden_global_offset_y
      - .offset:         152
        .size:           8
        .value_kind:     hidden_global_offset_z
      - .offset:         160
        .size:           2
        .value_kind:     hidden_grid_dims
    .group_segment_fixed_size: 41480
    .kernarg_segment_align: 8
    .kernarg_segment_size: 352
    .language:       OpenCL C
    .language_version:
      - 2
      - 0
    .max_flat_workgroup_size: 1024
    .name:           _ZL19rocblas_trsv_deviceILi64ELi16ELb1ELb0ELb0ELb1E19rocblas_complex_numIfEPKS1_PKS3_PKPS1_EviT7_lllT6_T8_lllPii
    .private_segment_fixed_size: 48
    .sgpr_count:     107
    .sgpr_spill_count: 63
    .symbol:         _ZL19rocblas_trsv_deviceILi64ELi16ELb1ELb0ELb0ELb1E19rocblas_complex_numIfEPKS1_PKS3_PKPS1_EviT7_lllT6_T8_lllPii.kd
    .uniform_work_group_size: 1
    .uses_dynamic_stack: false
    .vgpr_count:     96
    .vgpr_spill_count: 0
    .wavefront_size: 32
  - .args:
      - .offset:         0
        .size:           4
        .value_kind:     by_value
      - .address_space:  global
        .offset:         8
        .size:           8
        .value_kind:     global_buffer
      - .offset:         16
        .size:           8
        .value_kind:     by_value
      - .offset:         24
        .size:           8
        .value_kind:     by_value
      - .offset:         32
        .size:           8
        .value_kind:     by_value
      - .address_space:  global
        .offset:         40
        .size:           8
        .value_kind:     global_buffer
      - .address_space:  global
        .offset:         48
        .size:           8
        .value_kind:     global_buffer
      - .offset:         56
        .size:           8
        .value_kind:     by_value
      - .offset:         64
        .size:           8
        .value_kind:     by_value
      - .offset:         72
        .size:           8
        .value_kind:     by_value
      - .address_space:  global
        .offset:         80
        .size:           8
        .value_kind:     global_buffer
      - .offset:         88
        .size:           4
        .value_kind:     by_value
      - .offset:         96
        .size:           4
        .value_kind:     hidden_block_count_x
      - .offset:         100
        .size:           4
        .value_kind:     hidden_block_count_y
      - .offset:         104
        .size:           4
        .value_kind:     hidden_block_count_z
      - .offset:         108
        .size:           2
        .value_kind:     hidden_group_size_x
      - .offset:         110
        .size:           2
        .value_kind:     hidden_group_size_y
      - .offset:         112
        .size:           2
        .value_kind:     hidden_group_size_z
      - .offset:         114
        .size:           2
        .value_kind:     hidden_remainder_x
      - .offset:         116
        .size:           2
        .value_kind:     hidden_remainder_y
      - .offset:         118
        .size:           2
        .value_kind:     hidden_remainder_z
      - .offset:         136
        .size:           8
        .value_kind:     hidden_global_offset_x
      - .offset:         144
        .size:           8
        .value_kind:     hidden_global_offset_y
      - .offset:         152
        .size:           8
        .value_kind:     hidden_global_offset_z
      - .offset:         160
        .size:           2
        .value_kind:     hidden_grid_dims
    .group_segment_fixed_size: 41480
    .kernarg_segment_align: 8
    .kernarg_segment_size: 352
    .language:       OpenCL C
    .language_version:
      - 2
      - 0
    .max_flat_workgroup_size: 1024
    .name:           _ZL19rocblas_trsv_deviceILi64ELi16ELb1ELb1ELb0ELb1E19rocblas_complex_numIfEPKS1_PKS3_PKPS1_EviT7_lllT6_T8_lllPii
    .private_segment_fixed_size: 48
    .sgpr_count:     107
    .sgpr_spill_count: 60
    .symbol:         _ZL19rocblas_trsv_deviceILi64ELi16ELb1ELb1ELb0ELb1E19rocblas_complex_numIfEPKS1_PKS3_PKPS1_EviT7_lllT6_T8_lllPii.kd
    .uniform_work_group_size: 1
    .uses_dynamic_stack: false
    .vgpr_count:     109
    .vgpr_spill_count: 0
    .wavefront_size: 32
  - .args:
      - .offset:         0
        .size:           4
        .value_kind:     by_value
      - .address_space:  global
        .offset:         8
        .size:           8
        .value_kind:     global_buffer
      - .offset:         16
        .size:           8
        .value_kind:     by_value
      - .offset:         24
        .size:           8
        .value_kind:     by_value
      - .offset:         32
        .size:           8
        .value_kind:     by_value
      - .address_space:  global
        .offset:         40
        .size:           8
        .value_kind:     global_buffer
      - .address_space:  global
        .offset:         48
        .size:           8
        .value_kind:     global_buffer
      - .offset:         56
        .size:           8
        .value_kind:     by_value
      - .offset:         64
        .size:           8
        .value_kind:     by_value
      - .offset:         72
        .size:           8
        .value_kind:     by_value
      - .address_space:  global
        .offset:         80
        .size:           8
        .value_kind:     global_buffer
      - .offset:         88
        .size:           4
        .value_kind:     by_value
      - .offset:         96
        .size:           4
        .value_kind:     hidden_block_count_x
      - .offset:         100
        .size:           4
        .value_kind:     hidden_block_count_y
      - .offset:         104
        .size:           4
        .value_kind:     hidden_block_count_z
      - .offset:         108
        .size:           2
        .value_kind:     hidden_group_size_x
      - .offset:         110
        .size:           2
        .value_kind:     hidden_group_size_y
      - .offset:         112
        .size:           2
        .value_kind:     hidden_group_size_z
      - .offset:         114
        .size:           2
        .value_kind:     hidden_remainder_x
      - .offset:         116
        .size:           2
        .value_kind:     hidden_remainder_y
      - .offset:         118
        .size:           2
        .value_kind:     hidden_remainder_z
      - .offset:         136
        .size:           8
        .value_kind:     hidden_global_offset_x
      - .offset:         144
        .size:           8
        .value_kind:     hidden_global_offset_y
      - .offset:         152
        .size:           8
        .value_kind:     hidden_global_offset_z
      - .offset:         160
        .size:           2
        .value_kind:     hidden_grid_dims
    .group_segment_fixed_size: 41480
    .kernarg_segment_align: 8
    .kernarg_segment_size: 352
    .language:       OpenCL C
    .language_version:
      - 2
      - 0
    .max_flat_workgroup_size: 1024
    .name:           _ZL19rocblas_trsv_deviceILi64ELi16ELb1ELb1ELb1ELb1E19rocblas_complex_numIfEPKS1_PKS3_PKPS1_EviT7_lllT6_T8_lllPii
    .private_segment_fixed_size: 0
    .sgpr_count:     107
    .sgpr_spill_count: 60
    .symbol:         _ZL19rocblas_trsv_deviceILi64ELi16ELb1ELb1ELb1ELb1E19rocblas_complex_numIfEPKS1_PKS3_PKPS1_EviT7_lllT6_T8_lllPii.kd
    .uniform_work_group_size: 1
    .uses_dynamic_stack: false
    .vgpr_count:     108
    .vgpr_spill_count: 0
    .wavefront_size: 32
  - .args:
      - .offset:         0
        .size:           4
        .value_kind:     by_value
      - .address_space:  global
        .offset:         8
        .size:           8
        .value_kind:     global_buffer
      - .offset:         16
        .size:           8
        .value_kind:     by_value
      - .offset:         24
        .size:           8
        .value_kind:     by_value
      - .offset:         32
        .size:           8
        .value_kind:     by_value
      - .address_space:  global
        .offset:         40
        .size:           8
        .value_kind:     global_buffer
      - .address_space:  global
        .offset:         48
        .size:           8
        .value_kind:     global_buffer
      - .offset:         56
        .size:           8
        .value_kind:     by_value
      - .offset:         64
        .size:           8
        .value_kind:     by_value
      - .offset:         72
        .size:           8
        .value_kind:     by_value
      - .address_space:  global
        .offset:         80
        .size:           8
        .value_kind:     global_buffer
      - .offset:         88
        .size:           4
        .value_kind:     by_value
      - .offset:         96
        .size:           4
        .value_kind:     hidden_block_count_x
      - .offset:         100
        .size:           4
        .value_kind:     hidden_block_count_y
      - .offset:         104
        .size:           4
        .value_kind:     hidden_block_count_z
      - .offset:         108
        .size:           2
        .value_kind:     hidden_group_size_x
      - .offset:         110
        .size:           2
        .value_kind:     hidden_group_size_y
      - .offset:         112
        .size:           2
        .value_kind:     hidden_group_size_z
      - .offset:         114
        .size:           2
        .value_kind:     hidden_remainder_x
      - .offset:         116
        .size:           2
        .value_kind:     hidden_remainder_y
      - .offset:         118
        .size:           2
        .value_kind:     hidden_remainder_z
      - .offset:         136
        .size:           8
        .value_kind:     hidden_global_offset_x
      - .offset:         144
        .size:           8
        .value_kind:     hidden_global_offset_y
      - .offset:         152
        .size:           8
        .value_kind:     hidden_global_offset_z
      - .offset:         160
        .size:           2
        .value_kind:     hidden_grid_dims
    .group_segment_fixed_size: 41480
    .kernarg_segment_align: 8
    .kernarg_segment_size: 352
    .language:       OpenCL C
    .language_version:
      - 2
      - 0
    .max_flat_workgroup_size: 1024
    .name:           _ZL19rocblas_trsv_deviceILi64ELi16ELb1ELb0ELb0ELb0E19rocblas_complex_numIfEPKS1_PKS3_PKPS1_EviT7_lllT6_T8_lllPii
    .private_segment_fixed_size: 48
    .sgpr_count:     107
    .sgpr_spill_count: 69
    .symbol:         _ZL19rocblas_trsv_deviceILi64ELi16ELb1ELb0ELb0ELb0E19rocblas_complex_numIfEPKS1_PKS3_PKPS1_EviT7_lllT6_T8_lllPii.kd
    .uniform_work_group_size: 1
    .uses_dynamic_stack: false
    .vgpr_count:     95
    .vgpr_spill_count: 0
    .wavefront_size: 32
  - .args:
      - .offset:         0
        .size:           4
        .value_kind:     by_value
      - .address_space:  global
        .offset:         8
        .size:           8
        .value_kind:     global_buffer
      - .offset:         16
        .size:           8
        .value_kind:     by_value
      - .offset:         24
        .size:           8
        .value_kind:     by_value
      - .offset:         32
        .size:           8
        .value_kind:     by_value
      - .address_space:  global
        .offset:         40
        .size:           8
        .value_kind:     global_buffer
      - .address_space:  global
        .offset:         48
        .size:           8
        .value_kind:     global_buffer
      - .offset:         56
        .size:           8
        .value_kind:     by_value
      - .offset:         64
        .size:           8
        .value_kind:     by_value
      - .offset:         72
        .size:           8
        .value_kind:     by_value
      - .address_space:  global
        .offset:         80
        .size:           8
        .value_kind:     global_buffer
      - .offset:         88
        .size:           4
        .value_kind:     by_value
      - .offset:         96
        .size:           4
        .value_kind:     hidden_block_count_x
      - .offset:         100
        .size:           4
        .value_kind:     hidden_block_count_y
      - .offset:         104
        .size:           4
        .value_kind:     hidden_block_count_z
      - .offset:         108
        .size:           2
        .value_kind:     hidden_group_size_x
      - .offset:         110
        .size:           2
        .value_kind:     hidden_group_size_y
      - .offset:         112
        .size:           2
        .value_kind:     hidden_group_size_z
      - .offset:         114
        .size:           2
        .value_kind:     hidden_remainder_x
      - .offset:         116
        .size:           2
        .value_kind:     hidden_remainder_y
      - .offset:         118
        .size:           2
        .value_kind:     hidden_remainder_z
      - .offset:         136
        .size:           8
        .value_kind:     hidden_global_offset_x
      - .offset:         144
        .size:           8
        .value_kind:     hidden_global_offset_y
      - .offset:         152
        .size:           8
        .value_kind:     hidden_global_offset_z
      - .offset:         160
        .size:           2
        .value_kind:     hidden_grid_dims
    .group_segment_fixed_size: 41480
    .kernarg_segment_align: 8
    .kernarg_segment_size: 352
    .language:       OpenCL C
    .language_version:
      - 2
      - 0
    .max_flat_workgroup_size: 1024
    .name:           _ZL19rocblas_trsv_deviceILi64ELi16ELb1ELb1ELb0ELb0E19rocblas_complex_numIfEPKS1_PKS3_PKPS1_EviT7_lllT6_T8_lllPii
    .private_segment_fixed_size: 48
    .sgpr_count:     107
    .sgpr_spill_count: 66
    .symbol:         _ZL19rocblas_trsv_deviceILi64ELi16ELb1ELb1ELb0ELb0E19rocblas_complex_numIfEPKS1_PKS3_PKPS1_EviT7_lllT6_T8_lllPii.kd
    .uniform_work_group_size: 1
    .uses_dynamic_stack: false
    .vgpr_count:     109
    .vgpr_spill_count: 0
    .wavefront_size: 32
  - .args:
      - .offset:         0
        .size:           4
        .value_kind:     by_value
      - .address_space:  global
        .offset:         8
        .size:           8
        .value_kind:     global_buffer
      - .offset:         16
        .size:           8
        .value_kind:     by_value
      - .offset:         24
        .size:           8
        .value_kind:     by_value
      - .offset:         32
        .size:           8
        .value_kind:     by_value
      - .address_space:  global
        .offset:         40
        .size:           8
        .value_kind:     global_buffer
      - .address_space:  global
        .offset:         48
        .size:           8
        .value_kind:     global_buffer
      - .offset:         56
        .size:           8
        .value_kind:     by_value
      - .offset:         64
        .size:           8
        .value_kind:     by_value
      - .offset:         72
        .size:           8
        .value_kind:     by_value
      - .address_space:  global
        .offset:         80
        .size:           8
        .value_kind:     global_buffer
      - .offset:         88
        .size:           4
        .value_kind:     by_value
      - .offset:         96
        .size:           4
        .value_kind:     hidden_block_count_x
      - .offset:         100
        .size:           4
        .value_kind:     hidden_block_count_y
      - .offset:         104
        .size:           4
        .value_kind:     hidden_block_count_z
      - .offset:         108
        .size:           2
        .value_kind:     hidden_group_size_x
      - .offset:         110
        .size:           2
        .value_kind:     hidden_group_size_y
      - .offset:         112
        .size:           2
        .value_kind:     hidden_group_size_z
      - .offset:         114
        .size:           2
        .value_kind:     hidden_remainder_x
      - .offset:         116
        .size:           2
        .value_kind:     hidden_remainder_y
      - .offset:         118
        .size:           2
        .value_kind:     hidden_remainder_z
      - .offset:         136
        .size:           8
        .value_kind:     hidden_global_offset_x
      - .offset:         144
        .size:           8
        .value_kind:     hidden_global_offset_y
      - .offset:         152
        .size:           8
        .value_kind:     hidden_global_offset_z
      - .offset:         160
        .size:           2
        .value_kind:     hidden_grid_dims
    .group_segment_fixed_size: 41480
    .kernarg_segment_align: 8
    .kernarg_segment_size: 352
    .language:       OpenCL C
    .language_version:
      - 2
      - 0
    .max_flat_workgroup_size: 1024
    .name:           _ZL19rocblas_trsv_deviceILi64ELi16ELb1ELb1ELb1ELb0E19rocblas_complex_numIfEPKS1_PKS3_PKPS1_EviT7_lllT6_T8_lllPii
    .private_segment_fixed_size: 0
    .sgpr_count:     107
    .sgpr_spill_count: 66
    .symbol:         _ZL19rocblas_trsv_deviceILi64ELi16ELb1ELb1ELb1ELb0E19rocblas_complex_numIfEPKS1_PKS3_PKPS1_EviT7_lllT6_T8_lllPii.kd
    .uniform_work_group_size: 1
    .uses_dynamic_stack: false
    .vgpr_count:     109
    .vgpr_spill_count: 0
    .wavefront_size: 32
  - .args:
      - .offset:         0
        .size:           4
        .value_kind:     by_value
      - .address_space:  global
        .offset:         8
        .size:           8
        .value_kind:     global_buffer
      - .offset:         16
        .size:           8
        .value_kind:     by_value
      - .offset:         24
        .size:           8
        .value_kind:     by_value
      - .offset:         32
        .size:           8
        .value_kind:     by_value
      - .offset:         40
        .size:           8
        .value_kind:     by_value
      - .address_space:  global
        .offset:         48
        .size:           8
        .value_kind:     global_buffer
      - .offset:         56
        .size:           8
        .value_kind:     by_value
      - .offset:         64
        .size:           8
        .value_kind:     by_value
      - .offset:         72
        .size:           8
        .value_kind:     by_value
      - .address_space:  global
        .offset:         80
        .size:           8
        .value_kind:     global_buffer
      - .offset:         88
        .size:           4
        .value_kind:     by_value
      - .offset:         96
        .size:           4
        .value_kind:     hidden_block_count_x
      - .offset:         100
        .size:           4
        .value_kind:     hidden_block_count_y
      - .offset:         104
        .size:           4
        .value_kind:     hidden_block_count_z
      - .offset:         108
        .size:           2
        .value_kind:     hidden_group_size_x
      - .offset:         110
        .size:           2
        .value_kind:     hidden_group_size_y
      - .offset:         112
        .size:           2
        .value_kind:     hidden_group_size_z
      - .offset:         114
        .size:           2
        .value_kind:     hidden_remainder_x
      - .offset:         116
        .size:           2
        .value_kind:     hidden_remainder_y
      - .offset:         118
        .size:           2
        .value_kind:     hidden_remainder_z
      - .offset:         136
        .size:           8
        .value_kind:     hidden_global_offset_x
      - .offset:         144
        .size:           8
        .value_kind:     hidden_global_offset_y
      - .offset:         152
        .size:           8
        .value_kind:     hidden_global_offset_z
      - .offset:         160
        .size:           2
        .value_kind:     hidden_grid_dims
    .group_segment_fixed_size: 41480
    .kernarg_segment_align: 8
    .kernarg_segment_size: 352
    .language:       OpenCL C
    .language_version:
      - 2
      - 0
    .max_flat_workgroup_size: 1024
    .name:           _ZL19rocblas_trsv_deviceILi64ELi16ELb0ELb0ELb0ELb1E19rocblas_complex_numIfES1_PKPKS1_PKPS1_EviT7_lllT6_T8_lllPii
    .private_segment_fixed_size: 48
    .sgpr_count:     107
    .sgpr_spill_count: 69
    .symbol:         _ZL19rocblas_trsv_deviceILi64ELi16ELb0ELb0ELb0ELb1E19rocblas_complex_numIfES1_PKPKS1_PKPS1_EviT7_lllT6_T8_lllPii.kd
    .uniform_work_group_size: 1
    .uses_dynamic_stack: false
    .vgpr_count:     93
    .vgpr_spill_count: 0
    .wavefront_size: 32
  - .args:
      - .offset:         0
        .size:           4
        .value_kind:     by_value
      - .address_space:  global
        .offset:         8
        .size:           8
        .value_kind:     global_buffer
      - .offset:         16
        .size:           8
        .value_kind:     by_value
      - .offset:         24
        .size:           8
        .value_kind:     by_value
      - .offset:         32
        .size:           8
        .value_kind:     by_value
      - .offset:         40
        .size:           8
        .value_kind:     by_value
      - .address_space:  global
        .offset:         48
        .size:           8
        .value_kind:     global_buffer
      - .offset:         56
        .size:           8
        .value_kind:     by_value
      - .offset:         64
        .size:           8
        .value_kind:     by_value
      - .offset:         72
        .size:           8
        .value_kind:     by_value
      - .address_space:  global
        .offset:         80
        .size:           8
        .value_kind:     global_buffer
      - .offset:         88
        .size:           4
        .value_kind:     by_value
      - .offset:         96
        .size:           4
        .value_kind:     hidden_block_count_x
      - .offset:         100
        .size:           4
        .value_kind:     hidden_block_count_y
      - .offset:         104
        .size:           4
        .value_kind:     hidden_block_count_z
      - .offset:         108
        .size:           2
        .value_kind:     hidden_group_size_x
      - .offset:         110
        .size:           2
        .value_kind:     hidden_group_size_y
      - .offset:         112
        .size:           2
        .value_kind:     hidden_group_size_z
      - .offset:         114
        .size:           2
        .value_kind:     hidden_remainder_x
      - .offset:         116
        .size:           2
        .value_kind:     hidden_remainder_y
      - .offset:         118
        .size:           2
        .value_kind:     hidden_remainder_z
      - .offset:         136
        .size:           8
        .value_kind:     hidden_global_offset_x
      - .offset:         144
        .size:           8
        .value_kind:     hidden_global_offset_y
      - .offset:         152
        .size:           8
        .value_kind:     hidden_global_offset_z
      - .offset:         160
        .size:           2
        .value_kind:     hidden_grid_dims
    .group_segment_fixed_size: 41480
    .kernarg_segment_align: 8
    .kernarg_segment_size: 352
    .language:       OpenCL C
    .language_version:
      - 2
      - 0
    .max_flat_workgroup_size: 1024
    .name:           _ZL19rocblas_trsv_deviceILi64ELi16ELb0ELb1ELb0ELb1E19rocblas_complex_numIfES1_PKPKS1_PKPS1_EviT7_lllT6_T8_lllPii
    .private_segment_fixed_size: 48
    .sgpr_count:     107
    .sgpr_spill_count: 58
    .symbol:         _ZL19rocblas_trsv_deviceILi64ELi16ELb0ELb1ELb0ELb1E19rocblas_complex_numIfES1_PKPKS1_PKPS1_EviT7_lllT6_T8_lllPii.kd
    .uniform_work_group_size: 1
    .uses_dynamic_stack: false
    .vgpr_count:     110
    .vgpr_spill_count: 0
    .wavefront_size: 32
  - .args:
      - .offset:         0
        .size:           4
        .value_kind:     by_value
      - .address_space:  global
        .offset:         8
        .size:           8
        .value_kind:     global_buffer
      - .offset:         16
        .size:           8
        .value_kind:     by_value
      - .offset:         24
        .size:           8
        .value_kind:     by_value
      - .offset:         32
        .size:           8
        .value_kind:     by_value
      - .offset:         40
        .size:           8
        .value_kind:     by_value
      - .address_space:  global
        .offset:         48
        .size:           8
        .value_kind:     global_buffer
      - .offset:         56
        .size:           8
        .value_kind:     by_value
      - .offset:         64
        .size:           8
        .value_kind:     by_value
      - .offset:         72
        .size:           8
        .value_kind:     by_value
      - .address_space:  global
        .offset:         80
        .size:           8
        .value_kind:     global_buffer
      - .offset:         88
        .size:           4
        .value_kind:     by_value
      - .offset:         96
        .size:           4
        .value_kind:     hidden_block_count_x
      - .offset:         100
        .size:           4
        .value_kind:     hidden_block_count_y
      - .offset:         104
        .size:           4
        .value_kind:     hidden_block_count_z
      - .offset:         108
        .size:           2
        .value_kind:     hidden_group_size_x
      - .offset:         110
        .size:           2
        .value_kind:     hidden_group_size_y
      - .offset:         112
        .size:           2
        .value_kind:     hidden_group_size_z
      - .offset:         114
        .size:           2
        .value_kind:     hidden_remainder_x
      - .offset:         116
        .size:           2
        .value_kind:     hidden_remainder_y
      - .offset:         118
        .size:           2
        .value_kind:     hidden_remainder_z
      - .offset:         136
        .size:           8
        .value_kind:     hidden_global_offset_x
      - .offset:         144
        .size:           8
        .value_kind:     hidden_global_offset_y
      - .offset:         152
        .size:           8
        .value_kind:     hidden_global_offset_z
      - .offset:         160
        .size:           2
        .value_kind:     hidden_grid_dims
    .group_segment_fixed_size: 41480
    .kernarg_segment_align: 8
    .kernarg_segment_size: 352
    .language:       OpenCL C
    .language_version:
      - 2
      - 0
    .max_flat_workgroup_size: 1024
    .name:           _ZL19rocblas_trsv_deviceILi64ELi16ELb0ELb1ELb1ELb1E19rocblas_complex_numIfES1_PKPKS1_PKPS1_EviT7_lllT6_T8_lllPii
    .private_segment_fixed_size: 0
    .sgpr_count:     107
    .sgpr_spill_count: 58
    .symbol:         _ZL19rocblas_trsv_deviceILi64ELi16ELb0ELb1ELb1ELb1E19rocblas_complex_numIfES1_PKPKS1_PKPS1_EviT7_lllT6_T8_lllPii.kd
    .uniform_work_group_size: 1
    .uses_dynamic_stack: false
    .vgpr_count:     110
    .vgpr_spill_count: 0
    .wavefront_size: 32
  - .args:
      - .offset:         0
        .size:           4
        .value_kind:     by_value
      - .address_space:  global
        .offset:         8
        .size:           8
        .value_kind:     global_buffer
      - .offset:         16
        .size:           8
        .value_kind:     by_value
      - .offset:         24
        .size:           8
        .value_kind:     by_value
      - .offset:         32
        .size:           8
        .value_kind:     by_value
      - .offset:         40
        .size:           8
        .value_kind:     by_value
      - .address_space:  global
        .offset:         48
        .size:           8
        .value_kind:     global_buffer
      - .offset:         56
        .size:           8
        .value_kind:     by_value
      - .offset:         64
        .size:           8
        .value_kind:     by_value
      - .offset:         72
        .size:           8
        .value_kind:     by_value
      - .address_space:  global
        .offset:         80
        .size:           8
        .value_kind:     global_buffer
      - .offset:         88
        .size:           4
        .value_kind:     by_value
      - .offset:         96
        .size:           4
        .value_kind:     hidden_block_count_x
      - .offset:         100
        .size:           4
        .value_kind:     hidden_block_count_y
      - .offset:         104
        .size:           4
        .value_kind:     hidden_block_count_z
      - .offset:         108
        .size:           2
        .value_kind:     hidden_group_size_x
      - .offset:         110
        .size:           2
        .value_kind:     hidden_group_size_y
      - .offset:         112
        .size:           2
        .value_kind:     hidden_group_size_z
      - .offset:         114
        .size:           2
        .value_kind:     hidden_remainder_x
      - .offset:         116
        .size:           2
        .value_kind:     hidden_remainder_y
      - .offset:         118
        .size:           2
        .value_kind:     hidden_remainder_z
      - .offset:         136
        .size:           8
        .value_kind:     hidden_global_offset_x
      - .offset:         144
        .size:           8
        .value_kind:     hidden_global_offset_y
      - .offset:         152
        .size:           8
        .value_kind:     hidden_global_offset_z
      - .offset:         160
        .size:           2
        .value_kind:     hidden_grid_dims
    .group_segment_fixed_size: 41480
    .kernarg_segment_align: 8
    .kernarg_segment_size: 352
    .language:       OpenCL C
    .language_version:
      - 2
      - 0
    .max_flat_workgroup_size: 1024
    .name:           _ZL19rocblas_trsv_deviceILi64ELi16ELb0ELb0ELb0ELb0E19rocblas_complex_numIfES1_PKPKS1_PKPS1_EviT7_lllT6_T8_lllPii
    .private_segment_fixed_size: 48
    .sgpr_count:     107
    .sgpr_spill_count: 75
    .symbol:         _ZL19rocblas_trsv_deviceILi64ELi16ELb0ELb0ELb0ELb0E19rocblas_complex_numIfES1_PKPKS1_PKPS1_EviT7_lllT6_T8_lllPii.kd
    .uniform_work_group_size: 1
    .uses_dynamic_stack: false
    .vgpr_count:     89
    .vgpr_spill_count: 0
    .wavefront_size: 32
  - .args:
      - .offset:         0
        .size:           4
        .value_kind:     by_value
      - .address_space:  global
        .offset:         8
        .size:           8
        .value_kind:     global_buffer
      - .offset:         16
        .size:           8
        .value_kind:     by_value
      - .offset:         24
        .size:           8
        .value_kind:     by_value
      - .offset:         32
        .size:           8
        .value_kind:     by_value
      - .offset:         40
        .size:           8
        .value_kind:     by_value
      - .address_space:  global
        .offset:         48
        .size:           8
        .value_kind:     global_buffer
      - .offset:         56
        .size:           8
        .value_kind:     by_value
      - .offset:         64
        .size:           8
        .value_kind:     by_value
      - .offset:         72
        .size:           8
        .value_kind:     by_value
      - .address_space:  global
        .offset:         80
        .size:           8
        .value_kind:     global_buffer
      - .offset:         88
        .size:           4
        .value_kind:     by_value
      - .offset:         96
        .size:           4
        .value_kind:     hidden_block_count_x
      - .offset:         100
        .size:           4
        .value_kind:     hidden_block_count_y
      - .offset:         104
        .size:           4
        .value_kind:     hidden_block_count_z
      - .offset:         108
        .size:           2
        .value_kind:     hidden_group_size_x
      - .offset:         110
        .size:           2
        .value_kind:     hidden_group_size_y
      - .offset:         112
        .size:           2
        .value_kind:     hidden_group_size_z
      - .offset:         114
        .size:           2
        .value_kind:     hidden_remainder_x
      - .offset:         116
        .size:           2
        .value_kind:     hidden_remainder_y
      - .offset:         118
        .size:           2
        .value_kind:     hidden_remainder_z
      - .offset:         136
        .size:           8
        .value_kind:     hidden_global_offset_x
      - .offset:         144
        .size:           8
        .value_kind:     hidden_global_offset_y
      - .offset:         152
        .size:           8
        .value_kind:     hidden_global_offset_z
      - .offset:         160
        .size:           2
        .value_kind:     hidden_grid_dims
    .group_segment_fixed_size: 41480
    .kernarg_segment_align: 8
    .kernarg_segment_size: 352
    .language:       OpenCL C
    .language_version:
      - 2
      - 0
    .max_flat_workgroup_size: 1024
    .name:           _ZL19rocblas_trsv_deviceILi64ELi16ELb0ELb1ELb0ELb0E19rocblas_complex_numIfES1_PKPKS1_PKPS1_EviT7_lllT6_T8_lllPii
    .private_segment_fixed_size: 48
    .sgpr_count:     107
    .sgpr_spill_count: 64
    .symbol:         _ZL19rocblas_trsv_deviceILi64ELi16ELb0ELb1ELb0ELb0E19rocblas_complex_numIfES1_PKPKS1_PKPS1_EviT7_lllT6_T8_lllPii.kd
    .uniform_work_group_size: 1
    .uses_dynamic_stack: false
    .vgpr_count:     107
    .vgpr_spill_count: 0
    .wavefront_size: 32
  - .args:
      - .offset:         0
        .size:           4
        .value_kind:     by_value
      - .address_space:  global
        .offset:         8
        .size:           8
        .value_kind:     global_buffer
      - .offset:         16
        .size:           8
        .value_kind:     by_value
      - .offset:         24
        .size:           8
        .value_kind:     by_value
      - .offset:         32
        .size:           8
        .value_kind:     by_value
      - .offset:         40
        .size:           8
        .value_kind:     by_value
      - .address_space:  global
        .offset:         48
        .size:           8
        .value_kind:     global_buffer
      - .offset:         56
        .size:           8
        .value_kind:     by_value
      - .offset:         64
        .size:           8
        .value_kind:     by_value
      - .offset:         72
        .size:           8
        .value_kind:     by_value
      - .address_space:  global
        .offset:         80
        .size:           8
        .value_kind:     global_buffer
      - .offset:         88
        .size:           4
        .value_kind:     by_value
      - .offset:         96
        .size:           4
        .value_kind:     hidden_block_count_x
      - .offset:         100
        .size:           4
        .value_kind:     hidden_block_count_y
      - .offset:         104
        .size:           4
        .value_kind:     hidden_block_count_z
      - .offset:         108
        .size:           2
        .value_kind:     hidden_group_size_x
      - .offset:         110
        .size:           2
        .value_kind:     hidden_group_size_y
      - .offset:         112
        .size:           2
        .value_kind:     hidden_group_size_z
      - .offset:         114
        .size:           2
        .value_kind:     hidden_remainder_x
      - .offset:         116
        .size:           2
        .value_kind:     hidden_remainder_y
      - .offset:         118
        .size:           2
        .value_kind:     hidden_remainder_z
      - .offset:         136
        .size:           8
        .value_kind:     hidden_global_offset_x
      - .offset:         144
        .size:           8
        .value_kind:     hidden_global_offset_y
      - .offset:         152
        .size:           8
        .value_kind:     hidden_global_offset_z
      - .offset:         160
        .size:           2
        .value_kind:     hidden_grid_dims
    .group_segment_fixed_size: 41480
    .kernarg_segment_align: 8
    .kernarg_segment_size: 352
    .language:       OpenCL C
    .language_version:
      - 2
      - 0
    .max_flat_workgroup_size: 1024
    .name:           _ZL19rocblas_trsv_deviceILi64ELi16ELb0ELb1ELb1ELb0E19rocblas_complex_numIfES1_PKPKS1_PKPS1_EviT7_lllT6_T8_lllPii
    .private_segment_fixed_size: 0
    .sgpr_count:     107
    .sgpr_spill_count: 64
    .symbol:         _ZL19rocblas_trsv_deviceILi64ELi16ELb0ELb1ELb1ELb0E19rocblas_complex_numIfES1_PKPKS1_PKPS1_EviT7_lllT6_T8_lllPii.kd
    .uniform_work_group_size: 1
    .uses_dynamic_stack: false
    .vgpr_count:     106
    .vgpr_spill_count: 0
    .wavefront_size: 32
  - .args:
      - .offset:         0
        .size:           4
        .value_kind:     by_value
      - .address_space:  global
        .offset:         8
        .size:           8
        .value_kind:     global_buffer
      - .offset:         16
        .size:           8
        .value_kind:     by_value
      - .offset:         24
        .size:           8
        .value_kind:     by_value
      - .offset:         32
        .size:           8
        .value_kind:     by_value
      - .offset:         40
        .size:           8
        .value_kind:     by_value
      - .address_space:  global
        .offset:         48
        .size:           8
        .value_kind:     global_buffer
      - .offset:         56
        .size:           8
        .value_kind:     by_value
      - .offset:         64
        .size:           8
        .value_kind:     by_value
      - .offset:         72
        .size:           8
        .value_kind:     by_value
      - .address_space:  global
        .offset:         80
        .size:           8
        .value_kind:     global_buffer
      - .offset:         88
        .size:           4
        .value_kind:     by_value
      - .offset:         96
        .size:           4
        .value_kind:     hidden_block_count_x
      - .offset:         100
        .size:           4
        .value_kind:     hidden_block_count_y
      - .offset:         104
        .size:           4
        .value_kind:     hidden_block_count_z
      - .offset:         108
        .size:           2
        .value_kind:     hidden_group_size_x
      - .offset:         110
        .size:           2
        .value_kind:     hidden_group_size_y
      - .offset:         112
        .size:           2
        .value_kind:     hidden_group_size_z
      - .offset:         114
        .size:           2
        .value_kind:     hidden_remainder_x
      - .offset:         116
        .size:           2
        .value_kind:     hidden_remainder_y
      - .offset:         118
        .size:           2
        .value_kind:     hidden_remainder_z
      - .offset:         136
        .size:           8
        .value_kind:     hidden_global_offset_x
      - .offset:         144
        .size:           8
        .value_kind:     hidden_global_offset_y
      - .offset:         152
        .size:           8
        .value_kind:     hidden_global_offset_z
      - .offset:         160
        .size:           2
        .value_kind:     hidden_grid_dims
    .group_segment_fixed_size: 41480
    .kernarg_segment_align: 8
    .kernarg_segment_size: 352
    .language:       OpenCL C
    .language_version:
      - 2
      - 0
    .max_flat_workgroup_size: 1024
    .name:           _ZL19rocblas_trsv_deviceILi64ELi16ELb1ELb0ELb0ELb1E19rocblas_complex_numIfES1_PKPKS1_PKPS1_EviT7_lllT6_T8_lllPii
    .private_segment_fixed_size: 48
    .sgpr_count:     107
    .sgpr_spill_count: 65
    .symbol:         _ZL19rocblas_trsv_deviceILi64ELi16ELb1ELb0ELb0ELb1E19rocblas_complex_numIfES1_PKPKS1_PKPS1_EviT7_lllT6_T8_lllPii.kd
    .uniform_work_group_size: 1
    .uses_dynamic_stack: false
    .vgpr_count:     95
    .vgpr_spill_count: 0
    .wavefront_size: 32
  - .args:
      - .offset:         0
        .size:           4
        .value_kind:     by_value
      - .address_space:  global
        .offset:         8
        .size:           8
        .value_kind:     global_buffer
      - .offset:         16
        .size:           8
        .value_kind:     by_value
      - .offset:         24
        .size:           8
        .value_kind:     by_value
      - .offset:         32
        .size:           8
        .value_kind:     by_value
      - .offset:         40
        .size:           8
        .value_kind:     by_value
      - .address_space:  global
        .offset:         48
        .size:           8
        .value_kind:     global_buffer
      - .offset:         56
        .size:           8
        .value_kind:     by_value
      - .offset:         64
        .size:           8
        .value_kind:     by_value
      - .offset:         72
        .size:           8
        .value_kind:     by_value
      - .address_space:  global
        .offset:         80
        .size:           8
        .value_kind:     global_buffer
      - .offset:         88
        .size:           4
        .value_kind:     by_value
      - .offset:         96
        .size:           4
        .value_kind:     hidden_block_count_x
      - .offset:         100
        .size:           4
        .value_kind:     hidden_block_count_y
      - .offset:         104
        .size:           4
        .value_kind:     hidden_block_count_z
      - .offset:         108
        .size:           2
        .value_kind:     hidden_group_size_x
      - .offset:         110
        .size:           2
        .value_kind:     hidden_group_size_y
      - .offset:         112
        .size:           2
        .value_kind:     hidden_group_size_z
      - .offset:         114
        .size:           2
        .value_kind:     hidden_remainder_x
      - .offset:         116
        .size:           2
        .value_kind:     hidden_remainder_y
      - .offset:         118
        .size:           2
        .value_kind:     hidden_remainder_z
      - .offset:         136
        .size:           8
        .value_kind:     hidden_global_offset_x
      - .offset:         144
        .size:           8
        .value_kind:     hidden_global_offset_y
      - .offset:         152
        .size:           8
        .value_kind:     hidden_global_offset_z
      - .offset:         160
        .size:           2
        .value_kind:     hidden_grid_dims
    .group_segment_fixed_size: 41480
    .kernarg_segment_align: 8
    .kernarg_segment_size: 352
    .language:       OpenCL C
    .language_version:
      - 2
      - 0
    .max_flat_workgroup_size: 1024
    .name:           _ZL19rocblas_trsv_deviceILi64ELi16ELb1ELb1ELb0ELb1E19rocblas_complex_numIfES1_PKPKS1_PKPS1_EviT7_lllT6_T8_lllPii
    .private_segment_fixed_size: 48
    .sgpr_count:     107
    .sgpr_spill_count: 62
    .symbol:         _ZL19rocblas_trsv_deviceILi64ELi16ELb1ELb1ELb0ELb1E19rocblas_complex_numIfES1_PKPKS1_PKPS1_EviT7_lllT6_T8_lllPii.kd
    .uniform_work_group_size: 1
    .uses_dynamic_stack: false
    .vgpr_count:     107
    .vgpr_spill_count: 0
    .wavefront_size: 32
  - .args:
      - .offset:         0
        .size:           4
        .value_kind:     by_value
      - .address_space:  global
        .offset:         8
        .size:           8
        .value_kind:     global_buffer
      - .offset:         16
        .size:           8
        .value_kind:     by_value
      - .offset:         24
        .size:           8
        .value_kind:     by_value
      - .offset:         32
        .size:           8
        .value_kind:     by_value
      - .offset:         40
        .size:           8
        .value_kind:     by_value
      - .address_space:  global
        .offset:         48
        .size:           8
        .value_kind:     global_buffer
      - .offset:         56
        .size:           8
        .value_kind:     by_value
      - .offset:         64
        .size:           8
        .value_kind:     by_value
      - .offset:         72
        .size:           8
        .value_kind:     by_value
      - .address_space:  global
        .offset:         80
        .size:           8
        .value_kind:     global_buffer
      - .offset:         88
        .size:           4
        .value_kind:     by_value
      - .offset:         96
        .size:           4
        .value_kind:     hidden_block_count_x
      - .offset:         100
        .size:           4
        .value_kind:     hidden_block_count_y
      - .offset:         104
        .size:           4
        .value_kind:     hidden_block_count_z
      - .offset:         108
        .size:           2
        .value_kind:     hidden_group_size_x
      - .offset:         110
        .size:           2
        .value_kind:     hidden_group_size_y
      - .offset:         112
        .size:           2
        .value_kind:     hidden_group_size_z
      - .offset:         114
        .size:           2
        .value_kind:     hidden_remainder_x
      - .offset:         116
        .size:           2
        .value_kind:     hidden_remainder_y
      - .offset:         118
        .size:           2
        .value_kind:     hidden_remainder_z
      - .offset:         136
        .size:           8
        .value_kind:     hidden_global_offset_x
      - .offset:         144
        .size:           8
        .value_kind:     hidden_global_offset_y
      - .offset:         152
        .size:           8
        .value_kind:     hidden_global_offset_z
      - .offset:         160
        .size:           2
        .value_kind:     hidden_grid_dims
    .group_segment_fixed_size: 41480
    .kernarg_segment_align: 8
    .kernarg_segment_size: 352
    .language:       OpenCL C
    .language_version:
      - 2
      - 0
    .max_flat_workgroup_size: 1024
    .name:           _ZL19rocblas_trsv_deviceILi64ELi16ELb1ELb1ELb1ELb1E19rocblas_complex_numIfES1_PKPKS1_PKPS1_EviT7_lllT6_T8_lllPii
    .private_segment_fixed_size: 0
    .sgpr_count:     107
    .sgpr_spill_count: 62
    .symbol:         _ZL19rocblas_trsv_deviceILi64ELi16ELb1ELb1ELb1ELb1E19rocblas_complex_numIfES1_PKPKS1_PKPS1_EviT7_lllT6_T8_lllPii.kd
    .uniform_work_group_size: 1
    .uses_dynamic_stack: false
    .vgpr_count:     108
    .vgpr_spill_count: 0
    .wavefront_size: 32
  - .args:
      - .offset:         0
        .size:           4
        .value_kind:     by_value
      - .address_space:  global
        .offset:         8
        .size:           8
        .value_kind:     global_buffer
      - .offset:         16
        .size:           8
        .value_kind:     by_value
      - .offset:         24
        .size:           8
        .value_kind:     by_value
      - .offset:         32
        .size:           8
        .value_kind:     by_value
      - .offset:         40
        .size:           8
        .value_kind:     by_value
      - .address_space:  global
        .offset:         48
        .size:           8
        .value_kind:     global_buffer
      - .offset:         56
        .size:           8
        .value_kind:     by_value
      - .offset:         64
        .size:           8
        .value_kind:     by_value
      - .offset:         72
        .size:           8
        .value_kind:     by_value
      - .address_space:  global
        .offset:         80
        .size:           8
        .value_kind:     global_buffer
      - .offset:         88
        .size:           4
        .value_kind:     by_value
      - .offset:         96
        .size:           4
        .value_kind:     hidden_block_count_x
      - .offset:         100
        .size:           4
        .value_kind:     hidden_block_count_y
      - .offset:         104
        .size:           4
        .value_kind:     hidden_block_count_z
      - .offset:         108
        .size:           2
        .value_kind:     hidden_group_size_x
      - .offset:         110
        .size:           2
        .value_kind:     hidden_group_size_y
      - .offset:         112
        .size:           2
        .value_kind:     hidden_group_size_z
      - .offset:         114
        .size:           2
        .value_kind:     hidden_remainder_x
      - .offset:         116
        .size:           2
        .value_kind:     hidden_remainder_y
      - .offset:         118
        .size:           2
        .value_kind:     hidden_remainder_z
      - .offset:         136
        .size:           8
        .value_kind:     hidden_global_offset_x
      - .offset:         144
        .size:           8
        .value_kind:     hidden_global_offset_y
      - .offset:         152
        .size:           8
        .value_kind:     hidden_global_offset_z
      - .offset:         160
        .size:           2
        .value_kind:     hidden_grid_dims
    .group_segment_fixed_size: 41480
    .kernarg_segment_align: 8
    .kernarg_segment_size: 352
    .language:       OpenCL C
    .language_version:
      - 2
      - 0
    .max_flat_workgroup_size: 1024
    .name:           _ZL19rocblas_trsv_deviceILi64ELi16ELb1ELb0ELb0ELb0E19rocblas_complex_numIfES1_PKPKS1_PKPS1_EviT7_lllT6_T8_lllPii
    .private_segment_fixed_size: 48
    .sgpr_count:     107
    .sgpr_spill_count: 71
    .symbol:         _ZL19rocblas_trsv_deviceILi64ELi16ELb1ELb0ELb0ELb0E19rocblas_complex_numIfES1_PKPKS1_PKPS1_EviT7_lllT6_T8_lllPii.kd
    .uniform_work_group_size: 1
    .uses_dynamic_stack: false
    .vgpr_count:     93
    .vgpr_spill_count: 0
    .wavefront_size: 32
  - .args:
      - .offset:         0
        .size:           4
        .value_kind:     by_value
      - .address_space:  global
        .offset:         8
        .size:           8
        .value_kind:     global_buffer
      - .offset:         16
        .size:           8
        .value_kind:     by_value
      - .offset:         24
        .size:           8
        .value_kind:     by_value
      - .offset:         32
        .size:           8
        .value_kind:     by_value
      - .offset:         40
        .size:           8
        .value_kind:     by_value
      - .address_space:  global
        .offset:         48
        .size:           8
        .value_kind:     global_buffer
      - .offset:         56
        .size:           8
        .value_kind:     by_value
      - .offset:         64
        .size:           8
        .value_kind:     by_value
      - .offset:         72
        .size:           8
        .value_kind:     by_value
      - .address_space:  global
        .offset:         80
        .size:           8
        .value_kind:     global_buffer
      - .offset:         88
        .size:           4
        .value_kind:     by_value
      - .offset:         96
        .size:           4
        .value_kind:     hidden_block_count_x
      - .offset:         100
        .size:           4
        .value_kind:     hidden_block_count_y
      - .offset:         104
        .size:           4
        .value_kind:     hidden_block_count_z
      - .offset:         108
        .size:           2
        .value_kind:     hidden_group_size_x
      - .offset:         110
        .size:           2
        .value_kind:     hidden_group_size_y
      - .offset:         112
        .size:           2
        .value_kind:     hidden_group_size_z
      - .offset:         114
        .size:           2
        .value_kind:     hidden_remainder_x
      - .offset:         116
        .size:           2
        .value_kind:     hidden_remainder_y
      - .offset:         118
        .size:           2
        .value_kind:     hidden_remainder_z
      - .offset:         136
        .size:           8
        .value_kind:     hidden_global_offset_x
      - .offset:         144
        .size:           8
        .value_kind:     hidden_global_offset_y
      - .offset:         152
        .size:           8
        .value_kind:     hidden_global_offset_z
      - .offset:         160
        .size:           2
        .value_kind:     hidden_grid_dims
    .group_segment_fixed_size: 41480
    .kernarg_segment_align: 8
    .kernarg_segment_size: 352
    .language:       OpenCL C
    .language_version:
      - 2
      - 0
    .max_flat_workgroup_size: 1024
    .name:           _ZL19rocblas_trsv_deviceILi64ELi16ELb1ELb1ELb0ELb0E19rocblas_complex_numIfES1_PKPKS1_PKPS1_EviT7_lllT6_T8_lllPii
    .private_segment_fixed_size: 48
    .sgpr_count:     107
    .sgpr_spill_count: 68
    .symbol:         _ZL19rocblas_trsv_deviceILi64ELi16ELb1ELb1ELb0ELb0E19rocblas_complex_numIfES1_PKPKS1_PKPS1_EviT7_lllT6_T8_lllPii.kd
    .uniform_work_group_size: 1
    .uses_dynamic_stack: false
    .vgpr_count:     107
    .vgpr_spill_count: 0
    .wavefront_size: 32
  - .args:
      - .offset:         0
        .size:           4
        .value_kind:     by_value
      - .address_space:  global
        .offset:         8
        .size:           8
        .value_kind:     global_buffer
      - .offset:         16
        .size:           8
        .value_kind:     by_value
      - .offset:         24
        .size:           8
        .value_kind:     by_value
      - .offset:         32
        .size:           8
        .value_kind:     by_value
      - .offset:         40
        .size:           8
        .value_kind:     by_value
      - .address_space:  global
        .offset:         48
        .size:           8
        .value_kind:     global_buffer
      - .offset:         56
        .size:           8
        .value_kind:     by_value
      - .offset:         64
        .size:           8
        .value_kind:     by_value
      - .offset:         72
        .size:           8
        .value_kind:     by_value
      - .address_space:  global
        .offset:         80
        .size:           8
        .value_kind:     global_buffer
      - .offset:         88
        .size:           4
        .value_kind:     by_value
      - .offset:         96
        .size:           4
        .value_kind:     hidden_block_count_x
      - .offset:         100
        .size:           4
        .value_kind:     hidden_block_count_y
      - .offset:         104
        .size:           4
        .value_kind:     hidden_block_count_z
      - .offset:         108
        .size:           2
        .value_kind:     hidden_group_size_x
      - .offset:         110
        .size:           2
        .value_kind:     hidden_group_size_y
      - .offset:         112
        .size:           2
        .value_kind:     hidden_group_size_z
      - .offset:         114
        .size:           2
        .value_kind:     hidden_remainder_x
      - .offset:         116
        .size:           2
        .value_kind:     hidden_remainder_y
      - .offset:         118
        .size:           2
        .value_kind:     hidden_remainder_z
      - .offset:         136
        .size:           8
        .value_kind:     hidden_global_offset_x
      - .offset:         144
        .size:           8
        .value_kind:     hidden_global_offset_y
      - .offset:         152
        .size:           8
        .value_kind:     hidden_global_offset_z
      - .offset:         160
        .size:           2
        .value_kind:     hidden_grid_dims
    .group_segment_fixed_size: 41480
    .kernarg_segment_align: 8
    .kernarg_segment_size: 352
    .language:       OpenCL C
    .language_version:
      - 2
      - 0
    .max_flat_workgroup_size: 1024
    .name:           _ZL19rocblas_trsv_deviceILi64ELi16ELb1ELb1ELb1ELb0E19rocblas_complex_numIfES1_PKPKS1_PKPS1_EviT7_lllT6_T8_lllPii
    .private_segment_fixed_size: 0
    .sgpr_count:     107
    .sgpr_spill_count: 68
    .symbol:         _ZL19rocblas_trsv_deviceILi64ELi16ELb1ELb1ELb1ELb0E19rocblas_complex_numIfES1_PKPKS1_PKPS1_EviT7_lllT6_T8_lllPii.kd
    .uniform_work_group_size: 1
    .uses_dynamic_stack: false
    .vgpr_count:     109
    .vgpr_spill_count: 0
    .wavefront_size: 32
  - .args:
      - .offset:         0
        .size:           4
        .value_kind:     by_value
      - .address_space:  global
        .offset:         8
        .size:           8
        .value_kind:     global_buffer
      - .offset:         16
        .size:           8
        .value_kind:     by_value
      - .offset:         24
        .size:           8
        .value_kind:     by_value
      - .offset:         32
        .size:           8
        .value_kind:     by_value
      - .address_space:  global
        .offset:         40
        .size:           8
        .value_kind:     global_buffer
      - .address_space:  global
        .offset:         48
        .size:           8
        .value_kind:     global_buffer
      - .offset:         56
        .size:           8
        .value_kind:     by_value
      - .offset:         64
        .size:           8
        .value_kind:     by_value
      - .offset:         72
        .size:           8
        .value_kind:     by_value
      - .address_space:  global
        .offset:         80
        .size:           8
        .value_kind:     global_buffer
      - .offset:         88
        .size:           4
        .value_kind:     by_value
      - .offset:         96
        .size:           4
        .value_kind:     hidden_block_count_x
      - .offset:         100
        .size:           4
        .value_kind:     hidden_block_count_y
      - .offset:         104
        .size:           4
        .value_kind:     hidden_block_count_z
      - .offset:         108
        .size:           2
        .value_kind:     hidden_group_size_x
      - .offset:         110
        .size:           2
        .value_kind:     hidden_group_size_y
      - .offset:         112
        .size:           2
        .value_kind:     hidden_group_size_z
      - .offset:         114
        .size:           2
        .value_kind:     hidden_remainder_x
      - .offset:         116
        .size:           2
        .value_kind:     hidden_remainder_y
      - .offset:         118
        .size:           2
        .value_kind:     hidden_remainder_z
      - .offset:         136
        .size:           8
        .value_kind:     hidden_global_offset_x
      - .offset:         144
        .size:           8
        .value_kind:     hidden_global_offset_y
      - .offset:         152
        .size:           8
        .value_kind:     hidden_global_offset_z
      - .offset:         160
        .size:           2
        .value_kind:     hidden_grid_dims
    .group_segment_fixed_size: 25104
    .kernarg_segment_align: 8
    .kernarg_segment_size: 352
    .language:       OpenCL C
    .language_version:
      - 2
      - 0
    .max_flat_workgroup_size: 512
    .name:           _ZL19rocblas_trsv_deviceILi32ELi16ELb0ELb0ELb0ELb1E19rocblas_complex_numIdEPKS1_PKS3_PKPS1_EviT7_lllT6_T8_lllPii
    .private_segment_fixed_size: 0
    .sgpr_count:     107
    .sgpr_spill_count: 29
    .symbol:         _ZL19rocblas_trsv_deviceILi32ELi16ELb0ELb0ELb0ELb1E19rocblas_complex_numIdEPKS1_PKS3_PKPS1_EviT7_lllT6_T8_lllPii.kd
    .uniform_work_group_size: 1
    .uses_dynamic_stack: false
    .vgpr_count:     79
    .vgpr_spill_count: 0
    .wavefront_size: 32
  - .args:
      - .offset:         0
        .size:           4
        .value_kind:     by_value
      - .address_space:  global
        .offset:         8
        .size:           8
        .value_kind:     global_buffer
      - .offset:         16
        .size:           8
        .value_kind:     by_value
      - .offset:         24
        .size:           8
        .value_kind:     by_value
      - .offset:         32
        .size:           8
        .value_kind:     by_value
      - .address_space:  global
        .offset:         40
        .size:           8
        .value_kind:     global_buffer
      - .address_space:  global
        .offset:         48
        .size:           8
        .value_kind:     global_buffer
      - .offset:         56
        .size:           8
        .value_kind:     by_value
      - .offset:         64
        .size:           8
        .value_kind:     by_value
      - .offset:         72
        .size:           8
        .value_kind:     by_value
      - .address_space:  global
        .offset:         80
        .size:           8
        .value_kind:     global_buffer
      - .offset:         88
        .size:           4
        .value_kind:     by_value
      - .offset:         96
        .size:           4
        .value_kind:     hidden_block_count_x
      - .offset:         100
        .size:           4
        .value_kind:     hidden_block_count_y
      - .offset:         104
        .size:           4
        .value_kind:     hidden_block_count_z
      - .offset:         108
        .size:           2
        .value_kind:     hidden_group_size_x
      - .offset:         110
        .size:           2
        .value_kind:     hidden_group_size_y
      - .offset:         112
        .size:           2
        .value_kind:     hidden_group_size_z
      - .offset:         114
        .size:           2
        .value_kind:     hidden_remainder_x
      - .offset:         116
        .size:           2
        .value_kind:     hidden_remainder_y
      - .offset:         118
        .size:           2
        .value_kind:     hidden_remainder_z
      - .offset:         136
        .size:           8
        .value_kind:     hidden_global_offset_x
      - .offset:         144
        .size:           8
        .value_kind:     hidden_global_offset_y
      - .offset:         152
        .size:           8
        .value_kind:     hidden_global_offset_z
      - .offset:         160
        .size:           2
        .value_kind:     hidden_grid_dims
    .group_segment_fixed_size: 25104
    .kernarg_segment_align: 8
    .kernarg_segment_size: 352
    .language:       OpenCL C
    .language_version:
      - 2
      - 0
    .max_flat_workgroup_size: 512
    .name:           _ZL19rocblas_trsv_deviceILi32ELi16ELb0ELb1ELb0ELb1E19rocblas_complex_numIdEPKS1_PKS3_PKPS1_EviT7_lllT6_T8_lllPii
    .private_segment_fixed_size: 0
    .sgpr_count:     107
    .sgpr_spill_count: 23
    .symbol:         _ZL19rocblas_trsv_deviceILi32ELi16ELb0ELb1ELb0ELb1E19rocblas_complex_numIdEPKS1_PKS3_PKPS1_EviT7_lllT6_T8_lllPii.kd
    .uniform_work_group_size: 1
    .uses_dynamic_stack: false
    .vgpr_count:     211
    .vgpr_spill_count: 0
    .wavefront_size: 32
  - .args:
      - .offset:         0
        .size:           4
        .value_kind:     by_value
      - .address_space:  global
        .offset:         8
        .size:           8
        .value_kind:     global_buffer
      - .offset:         16
        .size:           8
        .value_kind:     by_value
      - .offset:         24
        .size:           8
        .value_kind:     by_value
      - .offset:         32
        .size:           8
        .value_kind:     by_value
      - .address_space:  global
        .offset:         40
        .size:           8
        .value_kind:     global_buffer
      - .address_space:  global
        .offset:         48
        .size:           8
        .value_kind:     global_buffer
      - .offset:         56
        .size:           8
        .value_kind:     by_value
      - .offset:         64
        .size:           8
        .value_kind:     by_value
      - .offset:         72
        .size:           8
        .value_kind:     by_value
      - .address_space:  global
        .offset:         80
        .size:           8
        .value_kind:     global_buffer
      - .offset:         88
        .size:           4
        .value_kind:     by_value
      - .offset:         96
        .size:           4
        .value_kind:     hidden_block_count_x
      - .offset:         100
        .size:           4
        .value_kind:     hidden_block_count_y
      - .offset:         104
        .size:           4
        .value_kind:     hidden_block_count_z
      - .offset:         108
        .size:           2
        .value_kind:     hidden_group_size_x
      - .offset:         110
        .size:           2
        .value_kind:     hidden_group_size_y
      - .offset:         112
        .size:           2
        .value_kind:     hidden_group_size_z
      - .offset:         114
        .size:           2
        .value_kind:     hidden_remainder_x
      - .offset:         116
        .size:           2
        .value_kind:     hidden_remainder_y
      - .offset:         118
        .size:           2
        .value_kind:     hidden_remainder_z
      - .offset:         136
        .size:           8
        .value_kind:     hidden_global_offset_x
      - .offset:         144
        .size:           8
        .value_kind:     hidden_global_offset_y
      - .offset:         152
        .size:           8
        .value_kind:     hidden_global_offset_z
      - .offset:         160
        .size:           2
        .value_kind:     hidden_grid_dims
    .group_segment_fixed_size: 25104
    .kernarg_segment_align: 8
    .kernarg_segment_size: 352
    .language:       OpenCL C
    .language_version:
      - 2
      - 0
    .max_flat_workgroup_size: 512
    .name:           _ZL19rocblas_trsv_deviceILi32ELi16ELb0ELb1ELb1ELb1E19rocblas_complex_numIdEPKS1_PKS3_PKPS1_EviT7_lllT6_T8_lllPii
    .private_segment_fixed_size: 0
    .sgpr_count:     107
    .sgpr_spill_count: 23
    .symbol:         _ZL19rocblas_trsv_deviceILi32ELi16ELb0ELb1ELb1ELb1E19rocblas_complex_numIdEPKS1_PKS3_PKPS1_EviT7_lllT6_T8_lllPii.kd
    .uniform_work_group_size: 1
    .uses_dynamic_stack: false
    .vgpr_count:     211
    .vgpr_spill_count: 0
    .wavefront_size: 32
  - .args:
      - .offset:         0
        .size:           4
        .value_kind:     by_value
      - .address_space:  global
        .offset:         8
        .size:           8
        .value_kind:     global_buffer
      - .offset:         16
        .size:           8
        .value_kind:     by_value
      - .offset:         24
        .size:           8
        .value_kind:     by_value
      - .offset:         32
        .size:           8
        .value_kind:     by_value
      - .address_space:  global
        .offset:         40
        .size:           8
        .value_kind:     global_buffer
      - .address_space:  global
        .offset:         48
        .size:           8
        .value_kind:     global_buffer
      - .offset:         56
        .size:           8
        .value_kind:     by_value
      - .offset:         64
        .size:           8
        .value_kind:     by_value
      - .offset:         72
        .size:           8
        .value_kind:     by_value
      - .address_space:  global
        .offset:         80
        .size:           8
        .value_kind:     global_buffer
      - .offset:         88
        .size:           4
        .value_kind:     by_value
      - .offset:         96
        .size:           4
        .value_kind:     hidden_block_count_x
      - .offset:         100
        .size:           4
        .value_kind:     hidden_block_count_y
      - .offset:         104
        .size:           4
        .value_kind:     hidden_block_count_z
      - .offset:         108
        .size:           2
        .value_kind:     hidden_group_size_x
      - .offset:         110
        .size:           2
        .value_kind:     hidden_group_size_y
      - .offset:         112
        .size:           2
        .value_kind:     hidden_group_size_z
      - .offset:         114
        .size:           2
        .value_kind:     hidden_remainder_x
      - .offset:         116
        .size:           2
        .value_kind:     hidden_remainder_y
      - .offset:         118
        .size:           2
        .value_kind:     hidden_remainder_z
      - .offset:         136
        .size:           8
        .value_kind:     hidden_global_offset_x
      - .offset:         144
        .size:           8
        .value_kind:     hidden_global_offset_y
      - .offset:         152
        .size:           8
        .value_kind:     hidden_global_offset_z
      - .offset:         160
        .size:           2
        .value_kind:     hidden_grid_dims
    .group_segment_fixed_size: 25104
    .kernarg_segment_align: 8
    .kernarg_segment_size: 352
    .language:       OpenCL C
    .language_version:
      - 2
      - 0
    .max_flat_workgroup_size: 512
    .name:           _ZL19rocblas_trsv_deviceILi32ELi16ELb0ELb0ELb0ELb0E19rocblas_complex_numIdEPKS1_PKS3_PKPS1_EviT7_lllT6_T8_lllPii
    .private_segment_fixed_size: 0
    .sgpr_count:     107
    .sgpr_spill_count: 30
    .symbol:         _ZL19rocblas_trsv_deviceILi32ELi16ELb0ELb0ELb0ELb0E19rocblas_complex_numIdEPKS1_PKS3_PKPS1_EviT7_lllT6_T8_lllPii.kd
    .uniform_work_group_size: 1
    .uses_dynamic_stack: false
    .vgpr_count:     77
    .vgpr_spill_count: 0
    .wavefront_size: 32
  - .args:
      - .offset:         0
        .size:           4
        .value_kind:     by_value
      - .address_space:  global
        .offset:         8
        .size:           8
        .value_kind:     global_buffer
      - .offset:         16
        .size:           8
        .value_kind:     by_value
      - .offset:         24
        .size:           8
        .value_kind:     by_value
      - .offset:         32
        .size:           8
        .value_kind:     by_value
      - .address_space:  global
        .offset:         40
        .size:           8
        .value_kind:     global_buffer
      - .address_space:  global
        .offset:         48
        .size:           8
        .value_kind:     global_buffer
      - .offset:         56
        .size:           8
        .value_kind:     by_value
      - .offset:         64
        .size:           8
        .value_kind:     by_value
      - .offset:         72
        .size:           8
        .value_kind:     by_value
      - .address_space:  global
        .offset:         80
        .size:           8
        .value_kind:     global_buffer
      - .offset:         88
        .size:           4
        .value_kind:     by_value
      - .offset:         96
        .size:           4
        .value_kind:     hidden_block_count_x
      - .offset:         100
        .size:           4
        .value_kind:     hidden_block_count_y
      - .offset:         104
        .size:           4
        .value_kind:     hidden_block_count_z
      - .offset:         108
        .size:           2
        .value_kind:     hidden_group_size_x
      - .offset:         110
        .size:           2
        .value_kind:     hidden_group_size_y
      - .offset:         112
        .size:           2
        .value_kind:     hidden_group_size_z
      - .offset:         114
        .size:           2
        .value_kind:     hidden_remainder_x
      - .offset:         116
        .size:           2
        .value_kind:     hidden_remainder_y
      - .offset:         118
        .size:           2
        .value_kind:     hidden_remainder_z
      - .offset:         136
        .size:           8
        .value_kind:     hidden_global_offset_x
      - .offset:         144
        .size:           8
        .value_kind:     hidden_global_offset_y
      - .offset:         152
        .size:           8
        .value_kind:     hidden_global_offset_z
      - .offset:         160
        .size:           2
        .value_kind:     hidden_grid_dims
    .group_segment_fixed_size: 25104
    .kernarg_segment_align: 8
    .kernarg_segment_size: 352
    .language:       OpenCL C
    .language_version:
      - 2
      - 0
    .max_flat_workgroup_size: 512
    .name:           _ZL19rocblas_trsv_deviceILi32ELi16ELb0ELb1ELb0ELb0E19rocblas_complex_numIdEPKS1_PKS3_PKPS1_EviT7_lllT6_T8_lllPii
    .private_segment_fixed_size: 0
    .sgpr_count:     107
    .sgpr_spill_count: 24
    .symbol:         _ZL19rocblas_trsv_deviceILi32ELi16ELb0ELb1ELb0ELb0E19rocblas_complex_numIdEPKS1_PKS3_PKPS1_EviT7_lllT6_T8_lllPii.kd
    .uniform_work_group_size: 1
    .uses_dynamic_stack: false
    .vgpr_count:     212
    .vgpr_spill_count: 0
    .wavefront_size: 32
  - .args:
      - .offset:         0
        .size:           4
        .value_kind:     by_value
      - .address_space:  global
        .offset:         8
        .size:           8
        .value_kind:     global_buffer
      - .offset:         16
        .size:           8
        .value_kind:     by_value
      - .offset:         24
        .size:           8
        .value_kind:     by_value
      - .offset:         32
        .size:           8
        .value_kind:     by_value
      - .address_space:  global
        .offset:         40
        .size:           8
        .value_kind:     global_buffer
      - .address_space:  global
        .offset:         48
        .size:           8
        .value_kind:     global_buffer
      - .offset:         56
        .size:           8
        .value_kind:     by_value
      - .offset:         64
        .size:           8
        .value_kind:     by_value
      - .offset:         72
        .size:           8
        .value_kind:     by_value
      - .address_space:  global
        .offset:         80
        .size:           8
        .value_kind:     global_buffer
      - .offset:         88
        .size:           4
        .value_kind:     by_value
      - .offset:         96
        .size:           4
        .value_kind:     hidden_block_count_x
      - .offset:         100
        .size:           4
        .value_kind:     hidden_block_count_y
      - .offset:         104
        .size:           4
        .value_kind:     hidden_block_count_z
      - .offset:         108
        .size:           2
        .value_kind:     hidden_group_size_x
      - .offset:         110
        .size:           2
        .value_kind:     hidden_group_size_y
      - .offset:         112
        .size:           2
        .value_kind:     hidden_group_size_z
      - .offset:         114
        .size:           2
        .value_kind:     hidden_remainder_x
      - .offset:         116
        .size:           2
        .value_kind:     hidden_remainder_y
      - .offset:         118
        .size:           2
        .value_kind:     hidden_remainder_z
      - .offset:         136
        .size:           8
        .value_kind:     hidden_global_offset_x
      - .offset:         144
        .size:           8
        .value_kind:     hidden_global_offset_y
      - .offset:         152
        .size:           8
        .value_kind:     hidden_global_offset_z
      - .offset:         160
        .size:           2
        .value_kind:     hidden_grid_dims
    .group_segment_fixed_size: 25104
    .kernarg_segment_align: 8
    .kernarg_segment_size: 352
    .language:       OpenCL C
    .language_version:
      - 2
      - 0
    .max_flat_workgroup_size: 512
    .name:           _ZL19rocblas_trsv_deviceILi32ELi16ELb0ELb1ELb1ELb0E19rocblas_complex_numIdEPKS1_PKS3_PKPS1_EviT7_lllT6_T8_lllPii
    .private_segment_fixed_size: 0
    .sgpr_count:     107
    .sgpr_spill_count: 24
    .symbol:         _ZL19rocblas_trsv_deviceILi32ELi16ELb0ELb1ELb1ELb0E19rocblas_complex_numIdEPKS1_PKS3_PKPS1_EviT7_lllT6_T8_lllPii.kd
    .uniform_work_group_size: 1
    .uses_dynamic_stack: false
    .vgpr_count:     212
    .vgpr_spill_count: 0
    .wavefront_size: 32
  - .args:
      - .offset:         0
        .size:           4
        .value_kind:     by_value
      - .address_space:  global
        .offset:         8
        .size:           8
        .value_kind:     global_buffer
      - .offset:         16
        .size:           8
        .value_kind:     by_value
      - .offset:         24
        .size:           8
        .value_kind:     by_value
      - .offset:         32
        .size:           8
        .value_kind:     by_value
      - .address_space:  global
        .offset:         40
        .size:           8
        .value_kind:     global_buffer
      - .address_space:  global
        .offset:         48
        .size:           8
        .value_kind:     global_buffer
      - .offset:         56
        .size:           8
        .value_kind:     by_value
      - .offset:         64
        .size:           8
        .value_kind:     by_value
      - .offset:         72
        .size:           8
        .value_kind:     by_value
      - .address_space:  global
        .offset:         80
        .size:           8
        .value_kind:     global_buffer
      - .offset:         88
        .size:           4
        .value_kind:     by_value
      - .offset:         96
        .size:           4
        .value_kind:     hidden_block_count_x
      - .offset:         100
        .size:           4
        .value_kind:     hidden_block_count_y
      - .offset:         104
        .size:           4
        .value_kind:     hidden_block_count_z
      - .offset:         108
        .size:           2
        .value_kind:     hidden_group_size_x
      - .offset:         110
        .size:           2
        .value_kind:     hidden_group_size_y
      - .offset:         112
        .size:           2
        .value_kind:     hidden_group_size_z
      - .offset:         114
        .size:           2
        .value_kind:     hidden_remainder_x
      - .offset:         116
        .size:           2
        .value_kind:     hidden_remainder_y
      - .offset:         118
        .size:           2
        .value_kind:     hidden_remainder_z
      - .offset:         136
        .size:           8
        .value_kind:     hidden_global_offset_x
      - .offset:         144
        .size:           8
        .value_kind:     hidden_global_offset_y
      - .offset:         152
        .size:           8
        .value_kind:     hidden_global_offset_z
      - .offset:         160
        .size:           2
        .value_kind:     hidden_grid_dims
    .group_segment_fixed_size: 25104
    .kernarg_segment_align: 8
    .kernarg_segment_size: 352
    .language:       OpenCL C
    .language_version:
      - 2
      - 0
    .max_flat_workgroup_size: 512
    .name:           _ZL19rocblas_trsv_deviceILi32ELi16ELb1ELb0ELb0ELb1E19rocblas_complex_numIdEPKS1_PKS3_PKPS1_EviT7_lllT6_T8_lllPii
    .private_segment_fixed_size: 0
    .sgpr_count:     107
    .sgpr_spill_count: 25
    .symbol:         _ZL19rocblas_trsv_deviceILi32ELi16ELb1ELb0ELb0ELb1E19rocblas_complex_numIdEPKS1_PKS3_PKPS1_EviT7_lllT6_T8_lllPii.kd
    .uniform_work_group_size: 1
    .uses_dynamic_stack: false
    .vgpr_count:     81
    .vgpr_spill_count: 0
    .wavefront_size: 32
  - .args:
      - .offset:         0
        .size:           4
        .value_kind:     by_value
      - .address_space:  global
        .offset:         8
        .size:           8
        .value_kind:     global_buffer
      - .offset:         16
        .size:           8
        .value_kind:     by_value
      - .offset:         24
        .size:           8
        .value_kind:     by_value
      - .offset:         32
        .size:           8
        .value_kind:     by_value
      - .address_space:  global
        .offset:         40
        .size:           8
        .value_kind:     global_buffer
      - .address_space:  global
        .offset:         48
        .size:           8
        .value_kind:     global_buffer
      - .offset:         56
        .size:           8
        .value_kind:     by_value
      - .offset:         64
        .size:           8
        .value_kind:     by_value
      - .offset:         72
        .size:           8
        .value_kind:     by_value
      - .address_space:  global
        .offset:         80
        .size:           8
        .value_kind:     global_buffer
      - .offset:         88
        .size:           4
        .value_kind:     by_value
      - .offset:         96
        .size:           4
        .value_kind:     hidden_block_count_x
      - .offset:         100
        .size:           4
        .value_kind:     hidden_block_count_y
      - .offset:         104
        .size:           4
        .value_kind:     hidden_block_count_z
      - .offset:         108
        .size:           2
        .value_kind:     hidden_group_size_x
      - .offset:         110
        .size:           2
        .value_kind:     hidden_group_size_y
      - .offset:         112
        .size:           2
        .value_kind:     hidden_group_size_z
      - .offset:         114
        .size:           2
        .value_kind:     hidden_remainder_x
      - .offset:         116
        .size:           2
        .value_kind:     hidden_remainder_y
      - .offset:         118
        .size:           2
        .value_kind:     hidden_remainder_z
      - .offset:         136
        .size:           8
        .value_kind:     hidden_global_offset_x
      - .offset:         144
        .size:           8
        .value_kind:     hidden_global_offset_y
      - .offset:         152
        .size:           8
        .value_kind:     hidden_global_offset_z
      - .offset:         160
        .size:           2
        .value_kind:     hidden_grid_dims
    .group_segment_fixed_size: 25104
    .kernarg_segment_align: 8
    .kernarg_segment_size: 352
    .language:       OpenCL C
    .language_version:
      - 2
      - 0
    .max_flat_workgroup_size: 512
    .name:           _ZL19rocblas_trsv_deviceILi32ELi16ELb1ELb1ELb0ELb1E19rocblas_complex_numIdEPKS1_PKS3_PKPS1_EviT7_lllT6_T8_lllPii
    .private_segment_fixed_size: 0
    .sgpr_count:     107
    .sgpr_spill_count: 27
    .symbol:         _ZL19rocblas_trsv_deviceILi32ELi16ELb1ELb1ELb0ELb1E19rocblas_complex_numIdEPKS1_PKS3_PKPS1_EviT7_lllT6_T8_lllPii.kd
    .uniform_work_group_size: 1
    .uses_dynamic_stack: false
    .vgpr_count:     213
    .vgpr_spill_count: 0
    .wavefront_size: 32
  - .args:
      - .offset:         0
        .size:           4
        .value_kind:     by_value
      - .address_space:  global
        .offset:         8
        .size:           8
        .value_kind:     global_buffer
      - .offset:         16
        .size:           8
        .value_kind:     by_value
      - .offset:         24
        .size:           8
        .value_kind:     by_value
      - .offset:         32
        .size:           8
        .value_kind:     by_value
      - .address_space:  global
        .offset:         40
        .size:           8
        .value_kind:     global_buffer
      - .address_space:  global
        .offset:         48
        .size:           8
        .value_kind:     global_buffer
      - .offset:         56
        .size:           8
        .value_kind:     by_value
      - .offset:         64
        .size:           8
        .value_kind:     by_value
      - .offset:         72
        .size:           8
        .value_kind:     by_value
      - .address_space:  global
        .offset:         80
        .size:           8
        .value_kind:     global_buffer
      - .offset:         88
        .size:           4
        .value_kind:     by_value
      - .offset:         96
        .size:           4
        .value_kind:     hidden_block_count_x
      - .offset:         100
        .size:           4
        .value_kind:     hidden_block_count_y
      - .offset:         104
        .size:           4
        .value_kind:     hidden_block_count_z
      - .offset:         108
        .size:           2
        .value_kind:     hidden_group_size_x
      - .offset:         110
        .size:           2
        .value_kind:     hidden_group_size_y
      - .offset:         112
        .size:           2
        .value_kind:     hidden_group_size_z
      - .offset:         114
        .size:           2
        .value_kind:     hidden_remainder_x
      - .offset:         116
        .size:           2
        .value_kind:     hidden_remainder_y
      - .offset:         118
        .size:           2
        .value_kind:     hidden_remainder_z
      - .offset:         136
        .size:           8
        .value_kind:     hidden_global_offset_x
      - .offset:         144
        .size:           8
        .value_kind:     hidden_global_offset_y
      - .offset:         152
        .size:           8
        .value_kind:     hidden_global_offset_z
      - .offset:         160
        .size:           2
        .value_kind:     hidden_grid_dims
    .group_segment_fixed_size: 25104
    .kernarg_segment_align: 8
    .kernarg_segment_size: 352
    .language:       OpenCL C
    .language_version:
      - 2
      - 0
    .max_flat_workgroup_size: 512
    .name:           _ZL19rocblas_trsv_deviceILi32ELi16ELb1ELb1ELb1ELb1E19rocblas_complex_numIdEPKS1_PKS3_PKPS1_EviT7_lllT6_T8_lllPii
    .private_segment_fixed_size: 0
    .sgpr_count:     107
    .sgpr_spill_count: 27
    .symbol:         _ZL19rocblas_trsv_deviceILi32ELi16ELb1ELb1ELb1ELb1E19rocblas_complex_numIdEPKS1_PKS3_PKPS1_EviT7_lllT6_T8_lllPii.kd
    .uniform_work_group_size: 1
    .uses_dynamic_stack: false
    .vgpr_count:     213
    .vgpr_spill_count: 0
    .wavefront_size: 32
  - .args:
      - .offset:         0
        .size:           4
        .value_kind:     by_value
      - .address_space:  global
        .offset:         8
        .size:           8
        .value_kind:     global_buffer
      - .offset:         16
        .size:           8
        .value_kind:     by_value
      - .offset:         24
        .size:           8
        .value_kind:     by_value
      - .offset:         32
        .size:           8
        .value_kind:     by_value
      - .address_space:  global
        .offset:         40
        .size:           8
        .value_kind:     global_buffer
      - .address_space:  global
        .offset:         48
        .size:           8
        .value_kind:     global_buffer
      - .offset:         56
        .size:           8
        .value_kind:     by_value
      - .offset:         64
        .size:           8
        .value_kind:     by_value
      - .offset:         72
        .size:           8
        .value_kind:     by_value
      - .address_space:  global
        .offset:         80
        .size:           8
        .value_kind:     global_buffer
      - .offset:         88
        .size:           4
        .value_kind:     by_value
      - .offset:         96
        .size:           4
        .value_kind:     hidden_block_count_x
      - .offset:         100
        .size:           4
        .value_kind:     hidden_block_count_y
      - .offset:         104
        .size:           4
        .value_kind:     hidden_block_count_z
      - .offset:         108
        .size:           2
        .value_kind:     hidden_group_size_x
      - .offset:         110
        .size:           2
        .value_kind:     hidden_group_size_y
      - .offset:         112
        .size:           2
        .value_kind:     hidden_group_size_z
      - .offset:         114
        .size:           2
        .value_kind:     hidden_remainder_x
      - .offset:         116
        .size:           2
        .value_kind:     hidden_remainder_y
      - .offset:         118
        .size:           2
        .value_kind:     hidden_remainder_z
      - .offset:         136
        .size:           8
        .value_kind:     hidden_global_offset_x
      - .offset:         144
        .size:           8
        .value_kind:     hidden_global_offset_y
      - .offset:         152
        .size:           8
        .value_kind:     hidden_global_offset_z
      - .offset:         160
        .size:           2
        .value_kind:     hidden_grid_dims
    .group_segment_fixed_size: 25104
    .kernarg_segment_align: 8
    .kernarg_segment_size: 352
    .language:       OpenCL C
    .language_version:
      - 2
      - 0
    .max_flat_workgroup_size: 512
    .name:           _ZL19rocblas_trsv_deviceILi32ELi16ELb1ELb0ELb0ELb0E19rocblas_complex_numIdEPKS1_PKS3_PKPS1_EviT7_lllT6_T8_lllPii
    .private_segment_fixed_size: 0
    .sgpr_count:     107
    .sgpr_spill_count: 26
    .symbol:         _ZL19rocblas_trsv_deviceILi32ELi16ELb1ELb0ELb0ELb0E19rocblas_complex_numIdEPKS1_PKS3_PKPS1_EviT7_lllT6_T8_lllPii.kd
    .uniform_work_group_size: 1
    .uses_dynamic_stack: false
    .vgpr_count:     79
    .vgpr_spill_count: 0
    .wavefront_size: 32
  - .args:
      - .offset:         0
        .size:           4
        .value_kind:     by_value
      - .address_space:  global
        .offset:         8
        .size:           8
        .value_kind:     global_buffer
      - .offset:         16
        .size:           8
        .value_kind:     by_value
      - .offset:         24
        .size:           8
        .value_kind:     by_value
      - .offset:         32
        .size:           8
        .value_kind:     by_value
      - .address_space:  global
        .offset:         40
        .size:           8
        .value_kind:     global_buffer
      - .address_space:  global
        .offset:         48
        .size:           8
        .value_kind:     global_buffer
      - .offset:         56
        .size:           8
        .value_kind:     by_value
      - .offset:         64
        .size:           8
        .value_kind:     by_value
      - .offset:         72
        .size:           8
        .value_kind:     by_value
      - .address_space:  global
        .offset:         80
        .size:           8
        .value_kind:     global_buffer
      - .offset:         88
        .size:           4
        .value_kind:     by_value
      - .offset:         96
        .size:           4
        .value_kind:     hidden_block_count_x
      - .offset:         100
        .size:           4
        .value_kind:     hidden_block_count_y
      - .offset:         104
        .size:           4
        .value_kind:     hidden_block_count_z
      - .offset:         108
        .size:           2
        .value_kind:     hidden_group_size_x
      - .offset:         110
        .size:           2
        .value_kind:     hidden_group_size_y
      - .offset:         112
        .size:           2
        .value_kind:     hidden_group_size_z
      - .offset:         114
        .size:           2
        .value_kind:     hidden_remainder_x
      - .offset:         116
        .size:           2
        .value_kind:     hidden_remainder_y
      - .offset:         118
        .size:           2
        .value_kind:     hidden_remainder_z
      - .offset:         136
        .size:           8
        .value_kind:     hidden_global_offset_x
      - .offset:         144
        .size:           8
        .value_kind:     hidden_global_offset_y
      - .offset:         152
        .size:           8
        .value_kind:     hidden_global_offset_z
      - .offset:         160
        .size:           2
        .value_kind:     hidden_grid_dims
    .group_segment_fixed_size: 25104
    .kernarg_segment_align: 8
    .kernarg_segment_size: 352
    .language:       OpenCL C
    .language_version:
      - 2
      - 0
    .max_flat_workgroup_size: 512
    .name:           _ZL19rocblas_trsv_deviceILi32ELi16ELb1ELb1ELb0ELb0E19rocblas_complex_numIdEPKS1_PKS3_PKPS1_EviT7_lllT6_T8_lllPii
    .private_segment_fixed_size: 0
    .sgpr_count:     107
    .sgpr_spill_count: 28
    .symbol:         _ZL19rocblas_trsv_deviceILi32ELi16ELb1ELb1ELb0ELb0E19rocblas_complex_numIdEPKS1_PKS3_PKPS1_EviT7_lllT6_T8_lllPii.kd
    .uniform_work_group_size: 1
    .uses_dynamic_stack: false
    .vgpr_count:     212
    .vgpr_spill_count: 0
    .wavefront_size: 32
  - .args:
      - .offset:         0
        .size:           4
        .value_kind:     by_value
      - .address_space:  global
        .offset:         8
        .size:           8
        .value_kind:     global_buffer
      - .offset:         16
        .size:           8
        .value_kind:     by_value
      - .offset:         24
        .size:           8
        .value_kind:     by_value
      - .offset:         32
        .size:           8
        .value_kind:     by_value
      - .address_space:  global
        .offset:         40
        .size:           8
        .value_kind:     global_buffer
      - .address_space:  global
        .offset:         48
        .size:           8
        .value_kind:     global_buffer
      - .offset:         56
        .size:           8
        .value_kind:     by_value
      - .offset:         64
        .size:           8
        .value_kind:     by_value
      - .offset:         72
        .size:           8
        .value_kind:     by_value
      - .address_space:  global
        .offset:         80
        .size:           8
        .value_kind:     global_buffer
      - .offset:         88
        .size:           4
        .value_kind:     by_value
      - .offset:         96
        .size:           4
        .value_kind:     hidden_block_count_x
      - .offset:         100
        .size:           4
        .value_kind:     hidden_block_count_y
      - .offset:         104
        .size:           4
        .value_kind:     hidden_block_count_z
      - .offset:         108
        .size:           2
        .value_kind:     hidden_group_size_x
      - .offset:         110
        .size:           2
        .value_kind:     hidden_group_size_y
      - .offset:         112
        .size:           2
        .value_kind:     hidden_group_size_z
      - .offset:         114
        .size:           2
        .value_kind:     hidden_remainder_x
      - .offset:         116
        .size:           2
        .value_kind:     hidden_remainder_y
      - .offset:         118
        .size:           2
        .value_kind:     hidden_remainder_z
      - .offset:         136
        .size:           8
        .value_kind:     hidden_global_offset_x
      - .offset:         144
        .size:           8
        .value_kind:     hidden_global_offset_y
      - .offset:         152
        .size:           8
        .value_kind:     hidden_global_offset_z
      - .offset:         160
        .size:           2
        .value_kind:     hidden_grid_dims
    .group_segment_fixed_size: 25104
    .kernarg_segment_align: 8
    .kernarg_segment_size: 352
    .language:       OpenCL C
    .language_version:
      - 2
      - 0
    .max_flat_workgroup_size: 512
    .name:           _ZL19rocblas_trsv_deviceILi32ELi16ELb1ELb1ELb1ELb0E19rocblas_complex_numIdEPKS1_PKS3_PKPS1_EviT7_lllT6_T8_lllPii
    .private_segment_fixed_size: 0
    .sgpr_count:     107
    .sgpr_spill_count: 28
    .symbol:         _ZL19rocblas_trsv_deviceILi32ELi16ELb1ELb1ELb1ELb0E19rocblas_complex_numIdEPKS1_PKS3_PKPS1_EviT7_lllT6_T8_lllPii.kd
    .uniform_work_group_size: 1
    .uses_dynamic_stack: false
    .vgpr_count:     212
    .vgpr_spill_count: 0
    .wavefront_size: 32
  - .args:
      - .offset:         0
        .size:           4
        .value_kind:     by_value
      - .address_space:  global
        .offset:         8
        .size:           8
        .value_kind:     global_buffer
      - .offset:         16
        .size:           8
        .value_kind:     by_value
      - .offset:         24
        .size:           8
        .value_kind:     by_value
      - .offset:         32
        .size:           8
        .value_kind:     by_value
      - .offset:         40
        .size:           16
        .value_kind:     by_value
      - .address_space:  global
        .offset:         56
        .size:           8
        .value_kind:     global_buffer
      - .offset:         64
        .size:           8
        .value_kind:     by_value
      - .offset:         72
        .size:           8
        .value_kind:     by_value
      - .offset:         80
        .size:           8
        .value_kind:     by_value
      - .address_space:  global
        .offset:         88
        .size:           8
        .value_kind:     global_buffer
      - .offset:         96
        .size:           4
        .value_kind:     by_value
      - .offset:         104
        .size:           4
        .value_kind:     hidden_block_count_x
      - .offset:         108
        .size:           4
        .value_kind:     hidden_block_count_y
      - .offset:         112
        .size:           4
        .value_kind:     hidden_block_count_z
      - .offset:         116
        .size:           2
        .value_kind:     hidden_group_size_x
      - .offset:         118
        .size:           2
        .value_kind:     hidden_group_size_y
      - .offset:         120
        .size:           2
        .value_kind:     hidden_group_size_z
      - .offset:         122
        .size:           2
        .value_kind:     hidden_remainder_x
      - .offset:         124
        .size:           2
        .value_kind:     hidden_remainder_y
      - .offset:         126
        .size:           2
        .value_kind:     hidden_remainder_z
      - .offset:         144
        .size:           8
        .value_kind:     hidden_global_offset_x
      - .offset:         152
        .size:           8
        .value_kind:     hidden_global_offset_y
      - .offset:         160
        .size:           8
        .value_kind:     hidden_global_offset_z
      - .offset:         168
        .size:           2
        .value_kind:     hidden_grid_dims
    .group_segment_fixed_size: 25104
    .kernarg_segment_align: 8
    .kernarg_segment_size: 360
    .language:       OpenCL C
    .language_version:
      - 2
      - 0
    .max_flat_workgroup_size: 512
    .name:           _ZL19rocblas_trsv_deviceILi32ELi16ELb0ELb0ELb0ELb1E19rocblas_complex_numIdES1_PKPKS1_PKPS1_EviT7_lllT6_T8_lllPii
    .private_segment_fixed_size: 0
    .sgpr_count:     107
    .sgpr_spill_count: 31
    .symbol:         _ZL19rocblas_trsv_deviceILi32ELi16ELb0ELb0ELb0ELb1E19rocblas_complex_numIdES1_PKPKS1_PKPS1_EviT7_lllT6_T8_lllPii.kd
    .uniform_work_group_size: 1
    .uses_dynamic_stack: false
    .vgpr_count:     77
    .vgpr_spill_count: 0
    .wavefront_size: 32
  - .args:
      - .offset:         0
        .size:           4
        .value_kind:     by_value
      - .address_space:  global
        .offset:         8
        .size:           8
        .value_kind:     global_buffer
      - .offset:         16
        .size:           8
        .value_kind:     by_value
      - .offset:         24
        .size:           8
        .value_kind:     by_value
      - .offset:         32
        .size:           8
        .value_kind:     by_value
      - .offset:         40
        .size:           16
        .value_kind:     by_value
      - .address_space:  global
        .offset:         56
        .size:           8
        .value_kind:     global_buffer
      - .offset:         64
        .size:           8
        .value_kind:     by_value
      - .offset:         72
        .size:           8
        .value_kind:     by_value
      - .offset:         80
        .size:           8
        .value_kind:     by_value
      - .address_space:  global
        .offset:         88
        .size:           8
        .value_kind:     global_buffer
      - .offset:         96
        .size:           4
        .value_kind:     by_value
      - .offset:         104
        .size:           4
        .value_kind:     hidden_block_count_x
      - .offset:         108
        .size:           4
        .value_kind:     hidden_block_count_y
      - .offset:         112
        .size:           4
        .value_kind:     hidden_block_count_z
      - .offset:         116
        .size:           2
        .value_kind:     hidden_group_size_x
      - .offset:         118
        .size:           2
        .value_kind:     hidden_group_size_y
      - .offset:         120
        .size:           2
        .value_kind:     hidden_group_size_z
      - .offset:         122
        .size:           2
        .value_kind:     hidden_remainder_x
      - .offset:         124
        .size:           2
        .value_kind:     hidden_remainder_y
      - .offset:         126
        .size:           2
        .value_kind:     hidden_remainder_z
      - .offset:         144
        .size:           8
        .value_kind:     hidden_global_offset_x
      - .offset:         152
        .size:           8
        .value_kind:     hidden_global_offset_y
      - .offset:         160
        .size:           8
        .value_kind:     hidden_global_offset_z
      - .offset:         168
        .size:           2
        .value_kind:     hidden_grid_dims
    .group_segment_fixed_size: 25104
    .kernarg_segment_align: 8
    .kernarg_segment_size: 360
    .language:       OpenCL C
    .language_version:
      - 2
      - 0
    .max_flat_workgroup_size: 512
    .name:           _ZL19rocblas_trsv_deviceILi32ELi16ELb0ELb1ELb0ELb1E19rocblas_complex_numIdES1_PKPKS1_PKPS1_EviT7_lllT6_T8_lllPii
    .private_segment_fixed_size: 0
    .sgpr_count:     107
    .sgpr_spill_count: 25
    .symbol:         _ZL19rocblas_trsv_deviceILi32ELi16ELb0ELb1ELb0ELb1E19rocblas_complex_numIdES1_PKPKS1_PKPS1_EviT7_lllT6_T8_lllPii.kd
    .uniform_work_group_size: 1
    .uses_dynamic_stack: false
    .vgpr_count:     211
    .vgpr_spill_count: 0
    .wavefront_size: 32
  - .args:
      - .offset:         0
        .size:           4
        .value_kind:     by_value
      - .address_space:  global
        .offset:         8
        .size:           8
        .value_kind:     global_buffer
      - .offset:         16
        .size:           8
        .value_kind:     by_value
      - .offset:         24
        .size:           8
        .value_kind:     by_value
      - .offset:         32
        .size:           8
        .value_kind:     by_value
      - .offset:         40
        .size:           16
        .value_kind:     by_value
      - .address_space:  global
        .offset:         56
        .size:           8
        .value_kind:     global_buffer
      - .offset:         64
        .size:           8
        .value_kind:     by_value
      - .offset:         72
        .size:           8
        .value_kind:     by_value
      - .offset:         80
        .size:           8
        .value_kind:     by_value
      - .address_space:  global
        .offset:         88
        .size:           8
        .value_kind:     global_buffer
      - .offset:         96
        .size:           4
        .value_kind:     by_value
      - .offset:         104
        .size:           4
        .value_kind:     hidden_block_count_x
      - .offset:         108
        .size:           4
        .value_kind:     hidden_block_count_y
      - .offset:         112
        .size:           4
        .value_kind:     hidden_block_count_z
      - .offset:         116
        .size:           2
        .value_kind:     hidden_group_size_x
      - .offset:         118
        .size:           2
        .value_kind:     hidden_group_size_y
      - .offset:         120
        .size:           2
        .value_kind:     hidden_group_size_z
      - .offset:         122
        .size:           2
        .value_kind:     hidden_remainder_x
      - .offset:         124
        .size:           2
        .value_kind:     hidden_remainder_y
      - .offset:         126
        .size:           2
        .value_kind:     hidden_remainder_z
      - .offset:         144
        .size:           8
        .value_kind:     hidden_global_offset_x
      - .offset:         152
        .size:           8
        .value_kind:     hidden_global_offset_y
      - .offset:         160
        .size:           8
        .value_kind:     hidden_global_offset_z
      - .offset:         168
        .size:           2
        .value_kind:     hidden_grid_dims
    .group_segment_fixed_size: 25104
    .kernarg_segment_align: 8
    .kernarg_segment_size: 360
    .language:       OpenCL C
    .language_version:
      - 2
      - 0
    .max_flat_workgroup_size: 512
    .name:           _ZL19rocblas_trsv_deviceILi32ELi16ELb0ELb1ELb1ELb1E19rocblas_complex_numIdES1_PKPKS1_PKPS1_EviT7_lllT6_T8_lllPii
    .private_segment_fixed_size: 0
    .sgpr_count:     107
    .sgpr_spill_count: 25
    .symbol:         _ZL19rocblas_trsv_deviceILi32ELi16ELb0ELb1ELb1ELb1E19rocblas_complex_numIdES1_PKPKS1_PKPS1_EviT7_lllT6_T8_lllPii.kd
    .uniform_work_group_size: 1
    .uses_dynamic_stack: false
    .vgpr_count:     211
    .vgpr_spill_count: 0
    .wavefront_size: 32
  - .args:
      - .offset:         0
        .size:           4
        .value_kind:     by_value
      - .address_space:  global
        .offset:         8
        .size:           8
        .value_kind:     global_buffer
      - .offset:         16
        .size:           8
        .value_kind:     by_value
      - .offset:         24
        .size:           8
        .value_kind:     by_value
      - .offset:         32
        .size:           8
        .value_kind:     by_value
      - .offset:         40
        .size:           16
        .value_kind:     by_value
      - .address_space:  global
        .offset:         56
        .size:           8
        .value_kind:     global_buffer
      - .offset:         64
        .size:           8
        .value_kind:     by_value
      - .offset:         72
        .size:           8
        .value_kind:     by_value
      - .offset:         80
        .size:           8
        .value_kind:     by_value
      - .address_space:  global
        .offset:         88
        .size:           8
        .value_kind:     global_buffer
      - .offset:         96
        .size:           4
        .value_kind:     by_value
      - .offset:         104
        .size:           4
        .value_kind:     hidden_block_count_x
      - .offset:         108
        .size:           4
        .value_kind:     hidden_block_count_y
      - .offset:         112
        .size:           4
        .value_kind:     hidden_block_count_z
      - .offset:         116
        .size:           2
        .value_kind:     hidden_group_size_x
      - .offset:         118
        .size:           2
        .value_kind:     hidden_group_size_y
      - .offset:         120
        .size:           2
        .value_kind:     hidden_group_size_z
      - .offset:         122
        .size:           2
        .value_kind:     hidden_remainder_x
      - .offset:         124
        .size:           2
        .value_kind:     hidden_remainder_y
      - .offset:         126
        .size:           2
        .value_kind:     hidden_remainder_z
      - .offset:         144
        .size:           8
        .value_kind:     hidden_global_offset_x
      - .offset:         152
        .size:           8
        .value_kind:     hidden_global_offset_y
      - .offset:         160
        .size:           8
        .value_kind:     hidden_global_offset_z
      - .offset:         168
        .size:           2
        .value_kind:     hidden_grid_dims
    .group_segment_fixed_size: 25104
    .kernarg_segment_align: 8
    .kernarg_segment_size: 360
    .language:       OpenCL C
    .language_version:
      - 2
      - 0
    .max_flat_workgroup_size: 512
    .name:           _ZL19rocblas_trsv_deviceILi32ELi16ELb0ELb0ELb0ELb0E19rocblas_complex_numIdES1_PKPKS1_PKPS1_EviT7_lllT6_T8_lllPii
    .private_segment_fixed_size: 0
    .sgpr_count:     107
    .sgpr_spill_count: 32
    .symbol:         _ZL19rocblas_trsv_deviceILi32ELi16ELb0ELb0ELb0ELb0E19rocblas_complex_numIdES1_PKPKS1_PKPS1_EviT7_lllT6_T8_lllPii.kd
    .uniform_work_group_size: 1
    .uses_dynamic_stack: false
    .vgpr_count:     77
    .vgpr_spill_count: 0
    .wavefront_size: 32
  - .args:
      - .offset:         0
        .size:           4
        .value_kind:     by_value
      - .address_space:  global
        .offset:         8
        .size:           8
        .value_kind:     global_buffer
      - .offset:         16
        .size:           8
        .value_kind:     by_value
      - .offset:         24
        .size:           8
        .value_kind:     by_value
      - .offset:         32
        .size:           8
        .value_kind:     by_value
      - .offset:         40
        .size:           16
        .value_kind:     by_value
      - .address_space:  global
        .offset:         56
        .size:           8
        .value_kind:     global_buffer
      - .offset:         64
        .size:           8
        .value_kind:     by_value
      - .offset:         72
        .size:           8
        .value_kind:     by_value
      - .offset:         80
        .size:           8
        .value_kind:     by_value
      - .address_space:  global
        .offset:         88
        .size:           8
        .value_kind:     global_buffer
      - .offset:         96
        .size:           4
        .value_kind:     by_value
      - .offset:         104
        .size:           4
        .value_kind:     hidden_block_count_x
      - .offset:         108
        .size:           4
        .value_kind:     hidden_block_count_y
      - .offset:         112
        .size:           4
        .value_kind:     hidden_block_count_z
      - .offset:         116
        .size:           2
        .value_kind:     hidden_group_size_x
      - .offset:         118
        .size:           2
        .value_kind:     hidden_group_size_y
      - .offset:         120
        .size:           2
        .value_kind:     hidden_group_size_z
      - .offset:         122
        .size:           2
        .value_kind:     hidden_remainder_x
      - .offset:         124
        .size:           2
        .value_kind:     hidden_remainder_y
      - .offset:         126
        .size:           2
        .value_kind:     hidden_remainder_z
      - .offset:         144
        .size:           8
        .value_kind:     hidden_global_offset_x
      - .offset:         152
        .size:           8
        .value_kind:     hidden_global_offset_y
      - .offset:         160
        .size:           8
        .value_kind:     hidden_global_offset_z
      - .offset:         168
        .size:           2
        .value_kind:     hidden_grid_dims
    .group_segment_fixed_size: 25104
    .kernarg_segment_align: 8
    .kernarg_segment_size: 360
    .language:       OpenCL C
    .language_version:
      - 2
      - 0
    .max_flat_workgroup_size: 512
    .name:           _ZL19rocblas_trsv_deviceILi32ELi16ELb0ELb1ELb0ELb0E19rocblas_complex_numIdES1_PKPKS1_PKPS1_EviT7_lllT6_T8_lllPii
    .private_segment_fixed_size: 0
    .sgpr_count:     107
    .sgpr_spill_count: 26
    .symbol:         _ZL19rocblas_trsv_deviceILi32ELi16ELb0ELb1ELb0ELb0E19rocblas_complex_numIdES1_PKPKS1_PKPS1_EviT7_lllT6_T8_lllPii.kd
    .uniform_work_group_size: 1
    .uses_dynamic_stack: false
    .vgpr_count:     212
    .vgpr_spill_count: 0
    .wavefront_size: 32
  - .args:
      - .offset:         0
        .size:           4
        .value_kind:     by_value
      - .address_space:  global
        .offset:         8
        .size:           8
        .value_kind:     global_buffer
      - .offset:         16
        .size:           8
        .value_kind:     by_value
      - .offset:         24
        .size:           8
        .value_kind:     by_value
      - .offset:         32
        .size:           8
        .value_kind:     by_value
      - .offset:         40
        .size:           16
        .value_kind:     by_value
      - .address_space:  global
        .offset:         56
        .size:           8
        .value_kind:     global_buffer
      - .offset:         64
        .size:           8
        .value_kind:     by_value
      - .offset:         72
        .size:           8
        .value_kind:     by_value
      - .offset:         80
        .size:           8
        .value_kind:     by_value
      - .address_space:  global
        .offset:         88
        .size:           8
        .value_kind:     global_buffer
      - .offset:         96
        .size:           4
        .value_kind:     by_value
      - .offset:         104
        .size:           4
        .value_kind:     hidden_block_count_x
      - .offset:         108
        .size:           4
        .value_kind:     hidden_block_count_y
      - .offset:         112
        .size:           4
        .value_kind:     hidden_block_count_z
      - .offset:         116
        .size:           2
        .value_kind:     hidden_group_size_x
      - .offset:         118
        .size:           2
        .value_kind:     hidden_group_size_y
      - .offset:         120
        .size:           2
        .value_kind:     hidden_group_size_z
      - .offset:         122
        .size:           2
        .value_kind:     hidden_remainder_x
      - .offset:         124
        .size:           2
        .value_kind:     hidden_remainder_y
      - .offset:         126
        .size:           2
        .value_kind:     hidden_remainder_z
      - .offset:         144
        .size:           8
        .value_kind:     hidden_global_offset_x
      - .offset:         152
        .size:           8
        .value_kind:     hidden_global_offset_y
      - .offset:         160
        .size:           8
        .value_kind:     hidden_global_offset_z
      - .offset:         168
        .size:           2
        .value_kind:     hidden_grid_dims
    .group_segment_fixed_size: 25104
    .kernarg_segment_align: 8
    .kernarg_segment_size: 360
    .language:       OpenCL C
    .language_version:
      - 2
      - 0
    .max_flat_workgroup_size: 512
    .name:           _ZL19rocblas_trsv_deviceILi32ELi16ELb0ELb1ELb1ELb0E19rocblas_complex_numIdES1_PKPKS1_PKPS1_EviT7_lllT6_T8_lllPii
    .private_segment_fixed_size: 0
    .sgpr_count:     107
    .sgpr_spill_count: 26
    .symbol:         _ZL19rocblas_trsv_deviceILi32ELi16ELb0ELb1ELb1ELb0E19rocblas_complex_numIdES1_PKPKS1_PKPS1_EviT7_lllT6_T8_lllPii.kd
    .uniform_work_group_size: 1
    .uses_dynamic_stack: false
    .vgpr_count:     212
    .vgpr_spill_count: 0
    .wavefront_size: 32
  - .args:
      - .offset:         0
        .size:           4
        .value_kind:     by_value
      - .address_space:  global
        .offset:         8
        .size:           8
        .value_kind:     global_buffer
      - .offset:         16
        .size:           8
        .value_kind:     by_value
      - .offset:         24
        .size:           8
        .value_kind:     by_value
      - .offset:         32
        .size:           8
        .value_kind:     by_value
      - .offset:         40
        .size:           16
        .value_kind:     by_value
      - .address_space:  global
        .offset:         56
        .size:           8
        .value_kind:     global_buffer
      - .offset:         64
        .size:           8
        .value_kind:     by_value
      - .offset:         72
        .size:           8
        .value_kind:     by_value
      - .offset:         80
        .size:           8
        .value_kind:     by_value
      - .address_space:  global
        .offset:         88
        .size:           8
        .value_kind:     global_buffer
      - .offset:         96
        .size:           4
        .value_kind:     by_value
      - .offset:         104
        .size:           4
        .value_kind:     hidden_block_count_x
      - .offset:         108
        .size:           4
        .value_kind:     hidden_block_count_y
      - .offset:         112
        .size:           4
        .value_kind:     hidden_block_count_z
      - .offset:         116
        .size:           2
        .value_kind:     hidden_group_size_x
      - .offset:         118
        .size:           2
        .value_kind:     hidden_group_size_y
      - .offset:         120
        .size:           2
        .value_kind:     hidden_group_size_z
      - .offset:         122
        .size:           2
        .value_kind:     hidden_remainder_x
      - .offset:         124
        .size:           2
        .value_kind:     hidden_remainder_y
      - .offset:         126
        .size:           2
        .value_kind:     hidden_remainder_z
      - .offset:         144
        .size:           8
        .value_kind:     hidden_global_offset_x
      - .offset:         152
        .size:           8
        .value_kind:     hidden_global_offset_y
      - .offset:         160
        .size:           8
        .value_kind:     hidden_global_offset_z
      - .offset:         168
        .size:           2
        .value_kind:     hidden_grid_dims
    .group_segment_fixed_size: 25104
    .kernarg_segment_align: 8
    .kernarg_segment_size: 360
    .language:       OpenCL C
    .language_version:
      - 2
      - 0
    .max_flat_workgroup_size: 512
    .name:           _ZL19rocblas_trsv_deviceILi32ELi16ELb1ELb0ELb0ELb1E19rocblas_complex_numIdES1_PKPKS1_PKPS1_EviT7_lllT6_T8_lllPii
    .private_segment_fixed_size: 0
    .sgpr_count:     107
    .sgpr_spill_count: 27
    .symbol:         _ZL19rocblas_trsv_deviceILi32ELi16ELb1ELb0ELb0ELb1E19rocblas_complex_numIdES1_PKPKS1_PKPS1_EviT7_lllT6_T8_lllPii.kd
    .uniform_work_group_size: 1
    .uses_dynamic_stack: false
    .vgpr_count:     81
    .vgpr_spill_count: 0
    .wavefront_size: 32
  - .args:
      - .offset:         0
        .size:           4
        .value_kind:     by_value
      - .address_space:  global
        .offset:         8
        .size:           8
        .value_kind:     global_buffer
      - .offset:         16
        .size:           8
        .value_kind:     by_value
      - .offset:         24
        .size:           8
        .value_kind:     by_value
      - .offset:         32
        .size:           8
        .value_kind:     by_value
      - .offset:         40
        .size:           16
        .value_kind:     by_value
      - .address_space:  global
        .offset:         56
        .size:           8
        .value_kind:     global_buffer
      - .offset:         64
        .size:           8
        .value_kind:     by_value
      - .offset:         72
        .size:           8
        .value_kind:     by_value
      - .offset:         80
        .size:           8
        .value_kind:     by_value
      - .address_space:  global
        .offset:         88
        .size:           8
        .value_kind:     global_buffer
      - .offset:         96
        .size:           4
        .value_kind:     by_value
      - .offset:         104
        .size:           4
        .value_kind:     hidden_block_count_x
      - .offset:         108
        .size:           4
        .value_kind:     hidden_block_count_y
      - .offset:         112
        .size:           4
        .value_kind:     hidden_block_count_z
      - .offset:         116
        .size:           2
        .value_kind:     hidden_group_size_x
      - .offset:         118
        .size:           2
        .value_kind:     hidden_group_size_y
      - .offset:         120
        .size:           2
        .value_kind:     hidden_group_size_z
      - .offset:         122
        .size:           2
        .value_kind:     hidden_remainder_x
      - .offset:         124
        .size:           2
        .value_kind:     hidden_remainder_y
      - .offset:         126
        .size:           2
        .value_kind:     hidden_remainder_z
      - .offset:         144
        .size:           8
        .value_kind:     hidden_global_offset_x
      - .offset:         152
        .size:           8
        .value_kind:     hidden_global_offset_y
      - .offset:         160
        .size:           8
        .value_kind:     hidden_global_offset_z
      - .offset:         168
        .size:           2
        .value_kind:     hidden_grid_dims
    .group_segment_fixed_size: 25104
    .kernarg_segment_align: 8
    .kernarg_segment_size: 360
    .language:       OpenCL C
    .language_version:
      - 2
      - 0
    .max_flat_workgroup_size: 512
    .name:           _ZL19rocblas_trsv_deviceILi32ELi16ELb1ELb1ELb0ELb1E19rocblas_complex_numIdES1_PKPKS1_PKPS1_EviT7_lllT6_T8_lllPii
    .private_segment_fixed_size: 0
    .sgpr_count:     107
    .sgpr_spill_count: 29
    .symbol:         _ZL19rocblas_trsv_deviceILi32ELi16ELb1ELb1ELb0ELb1E19rocblas_complex_numIdES1_PKPKS1_PKPS1_EviT7_lllT6_T8_lllPii.kd
    .uniform_work_group_size: 1
    .uses_dynamic_stack: false
    .vgpr_count:     212
    .vgpr_spill_count: 0
    .wavefront_size: 32
  - .args:
      - .offset:         0
        .size:           4
        .value_kind:     by_value
      - .address_space:  global
        .offset:         8
        .size:           8
        .value_kind:     global_buffer
      - .offset:         16
        .size:           8
        .value_kind:     by_value
      - .offset:         24
        .size:           8
        .value_kind:     by_value
      - .offset:         32
        .size:           8
        .value_kind:     by_value
      - .offset:         40
        .size:           16
        .value_kind:     by_value
      - .address_space:  global
        .offset:         56
        .size:           8
        .value_kind:     global_buffer
      - .offset:         64
        .size:           8
        .value_kind:     by_value
      - .offset:         72
        .size:           8
        .value_kind:     by_value
      - .offset:         80
        .size:           8
        .value_kind:     by_value
      - .address_space:  global
        .offset:         88
        .size:           8
        .value_kind:     global_buffer
      - .offset:         96
        .size:           4
        .value_kind:     by_value
      - .offset:         104
        .size:           4
        .value_kind:     hidden_block_count_x
      - .offset:         108
        .size:           4
        .value_kind:     hidden_block_count_y
      - .offset:         112
        .size:           4
        .value_kind:     hidden_block_count_z
      - .offset:         116
        .size:           2
        .value_kind:     hidden_group_size_x
      - .offset:         118
        .size:           2
        .value_kind:     hidden_group_size_y
      - .offset:         120
        .size:           2
        .value_kind:     hidden_group_size_z
      - .offset:         122
        .size:           2
        .value_kind:     hidden_remainder_x
      - .offset:         124
        .size:           2
        .value_kind:     hidden_remainder_y
      - .offset:         126
        .size:           2
        .value_kind:     hidden_remainder_z
      - .offset:         144
        .size:           8
        .value_kind:     hidden_global_offset_x
      - .offset:         152
        .size:           8
        .value_kind:     hidden_global_offset_y
      - .offset:         160
        .size:           8
        .value_kind:     hidden_global_offset_z
      - .offset:         168
        .size:           2
        .value_kind:     hidden_grid_dims
    .group_segment_fixed_size: 25104
    .kernarg_segment_align: 8
    .kernarg_segment_size: 360
    .language:       OpenCL C
    .language_version:
      - 2
      - 0
    .max_flat_workgroup_size: 512
    .name:           _ZL19rocblas_trsv_deviceILi32ELi16ELb1ELb1ELb1ELb1E19rocblas_complex_numIdES1_PKPKS1_PKPS1_EviT7_lllT6_T8_lllPii
    .private_segment_fixed_size: 0
    .sgpr_count:     107
    .sgpr_spill_count: 29
    .symbol:         _ZL19rocblas_trsv_deviceILi32ELi16ELb1ELb1ELb1ELb1E19rocblas_complex_numIdES1_PKPKS1_PKPS1_EviT7_lllT6_T8_lllPii.kd
    .uniform_work_group_size: 1
    .uses_dynamic_stack: false
    .vgpr_count:     212
    .vgpr_spill_count: 0
    .wavefront_size: 32
  - .args:
      - .offset:         0
        .size:           4
        .value_kind:     by_value
      - .address_space:  global
        .offset:         8
        .size:           8
        .value_kind:     global_buffer
      - .offset:         16
        .size:           8
        .value_kind:     by_value
      - .offset:         24
        .size:           8
        .value_kind:     by_value
      - .offset:         32
        .size:           8
        .value_kind:     by_value
      - .offset:         40
        .size:           16
        .value_kind:     by_value
      - .address_space:  global
        .offset:         56
        .size:           8
        .value_kind:     global_buffer
      - .offset:         64
        .size:           8
        .value_kind:     by_value
      - .offset:         72
        .size:           8
        .value_kind:     by_value
      - .offset:         80
        .size:           8
        .value_kind:     by_value
      - .address_space:  global
        .offset:         88
        .size:           8
        .value_kind:     global_buffer
      - .offset:         96
        .size:           4
        .value_kind:     by_value
      - .offset:         104
        .size:           4
        .value_kind:     hidden_block_count_x
      - .offset:         108
        .size:           4
        .value_kind:     hidden_block_count_y
      - .offset:         112
        .size:           4
        .value_kind:     hidden_block_count_z
      - .offset:         116
        .size:           2
        .value_kind:     hidden_group_size_x
      - .offset:         118
        .size:           2
        .value_kind:     hidden_group_size_y
      - .offset:         120
        .size:           2
        .value_kind:     hidden_group_size_z
      - .offset:         122
        .size:           2
        .value_kind:     hidden_remainder_x
      - .offset:         124
        .size:           2
        .value_kind:     hidden_remainder_y
      - .offset:         126
        .size:           2
        .value_kind:     hidden_remainder_z
      - .offset:         144
        .size:           8
        .value_kind:     hidden_global_offset_x
      - .offset:         152
        .size:           8
        .value_kind:     hidden_global_offset_y
      - .offset:         160
        .size:           8
        .value_kind:     hidden_global_offset_z
      - .offset:         168
        .size:           2
        .value_kind:     hidden_grid_dims
    .group_segment_fixed_size: 25104
    .kernarg_segment_align: 8
    .kernarg_segment_size: 360
    .language:       OpenCL C
    .language_version:
      - 2
      - 0
    .max_flat_workgroup_size: 512
    .name:           _ZL19rocblas_trsv_deviceILi32ELi16ELb1ELb0ELb0ELb0E19rocblas_complex_numIdES1_PKPKS1_PKPS1_EviT7_lllT6_T8_lllPii
    .private_segment_fixed_size: 0
    .sgpr_count:     107
    .sgpr_spill_count: 28
    .symbol:         _ZL19rocblas_trsv_deviceILi32ELi16ELb1ELb0ELb0ELb0E19rocblas_complex_numIdES1_PKPKS1_PKPS1_EviT7_lllT6_T8_lllPii.kd
    .uniform_work_group_size: 1
    .uses_dynamic_stack: false
    .vgpr_count:     79
    .vgpr_spill_count: 0
    .wavefront_size: 32
  - .args:
      - .offset:         0
        .size:           4
        .value_kind:     by_value
      - .address_space:  global
        .offset:         8
        .size:           8
        .value_kind:     global_buffer
      - .offset:         16
        .size:           8
        .value_kind:     by_value
      - .offset:         24
        .size:           8
        .value_kind:     by_value
      - .offset:         32
        .size:           8
        .value_kind:     by_value
      - .offset:         40
        .size:           16
        .value_kind:     by_value
      - .address_space:  global
        .offset:         56
        .size:           8
        .value_kind:     global_buffer
      - .offset:         64
        .size:           8
        .value_kind:     by_value
      - .offset:         72
        .size:           8
        .value_kind:     by_value
      - .offset:         80
        .size:           8
        .value_kind:     by_value
      - .address_space:  global
        .offset:         88
        .size:           8
        .value_kind:     global_buffer
      - .offset:         96
        .size:           4
        .value_kind:     by_value
      - .offset:         104
        .size:           4
        .value_kind:     hidden_block_count_x
      - .offset:         108
        .size:           4
        .value_kind:     hidden_block_count_y
      - .offset:         112
        .size:           4
        .value_kind:     hidden_block_count_z
      - .offset:         116
        .size:           2
        .value_kind:     hidden_group_size_x
      - .offset:         118
        .size:           2
        .value_kind:     hidden_group_size_y
      - .offset:         120
        .size:           2
        .value_kind:     hidden_group_size_z
      - .offset:         122
        .size:           2
        .value_kind:     hidden_remainder_x
      - .offset:         124
        .size:           2
        .value_kind:     hidden_remainder_y
      - .offset:         126
        .size:           2
        .value_kind:     hidden_remainder_z
      - .offset:         144
        .size:           8
        .value_kind:     hidden_global_offset_x
      - .offset:         152
        .size:           8
        .value_kind:     hidden_global_offset_y
      - .offset:         160
        .size:           8
        .value_kind:     hidden_global_offset_z
      - .offset:         168
        .size:           2
        .value_kind:     hidden_grid_dims
    .group_segment_fixed_size: 25104
    .kernarg_segment_align: 8
    .kernarg_segment_size: 360
    .language:       OpenCL C
    .language_version:
      - 2
      - 0
    .max_flat_workgroup_size: 512
    .name:           _ZL19rocblas_trsv_deviceILi32ELi16ELb1ELb1ELb0ELb0E19rocblas_complex_numIdES1_PKPKS1_PKPS1_EviT7_lllT6_T8_lllPii
    .private_segment_fixed_size: 0
    .sgpr_count:     107
    .sgpr_spill_count: 30
    .symbol:         _ZL19rocblas_trsv_deviceILi32ELi16ELb1ELb1ELb0ELb0E19rocblas_complex_numIdES1_PKPKS1_PKPS1_EviT7_lllT6_T8_lllPii.kd
    .uniform_work_group_size: 1
    .uses_dynamic_stack: false
    .vgpr_count:     213
    .vgpr_spill_count: 0
    .wavefront_size: 32
  - .args:
      - .offset:         0
        .size:           4
        .value_kind:     by_value
      - .address_space:  global
        .offset:         8
        .size:           8
        .value_kind:     global_buffer
      - .offset:         16
        .size:           8
        .value_kind:     by_value
      - .offset:         24
        .size:           8
        .value_kind:     by_value
      - .offset:         32
        .size:           8
        .value_kind:     by_value
      - .offset:         40
        .size:           16
        .value_kind:     by_value
      - .address_space:  global
        .offset:         56
        .size:           8
        .value_kind:     global_buffer
      - .offset:         64
        .size:           8
        .value_kind:     by_value
      - .offset:         72
        .size:           8
        .value_kind:     by_value
      - .offset:         80
        .size:           8
        .value_kind:     by_value
      - .address_space:  global
        .offset:         88
        .size:           8
        .value_kind:     global_buffer
      - .offset:         96
        .size:           4
        .value_kind:     by_value
      - .offset:         104
        .size:           4
        .value_kind:     hidden_block_count_x
      - .offset:         108
        .size:           4
        .value_kind:     hidden_block_count_y
      - .offset:         112
        .size:           4
        .value_kind:     hidden_block_count_z
      - .offset:         116
        .size:           2
        .value_kind:     hidden_group_size_x
      - .offset:         118
        .size:           2
        .value_kind:     hidden_group_size_y
      - .offset:         120
        .size:           2
        .value_kind:     hidden_group_size_z
      - .offset:         122
        .size:           2
        .value_kind:     hidden_remainder_x
      - .offset:         124
        .size:           2
        .value_kind:     hidden_remainder_y
      - .offset:         126
        .size:           2
        .value_kind:     hidden_remainder_z
      - .offset:         144
        .size:           8
        .value_kind:     hidden_global_offset_x
      - .offset:         152
        .size:           8
        .value_kind:     hidden_global_offset_y
      - .offset:         160
        .size:           8
        .value_kind:     hidden_global_offset_z
      - .offset:         168
        .size:           2
        .value_kind:     hidden_grid_dims
    .group_segment_fixed_size: 25104
    .kernarg_segment_align: 8
    .kernarg_segment_size: 360
    .language:       OpenCL C
    .language_version:
      - 2
      - 0
    .max_flat_workgroup_size: 512
    .name:           _ZL19rocblas_trsv_deviceILi32ELi16ELb1ELb1ELb1ELb0E19rocblas_complex_numIdES1_PKPKS1_PKPS1_EviT7_lllT6_T8_lllPii
    .private_segment_fixed_size: 0
    .sgpr_count:     107
    .sgpr_spill_count: 30
    .symbol:         _ZL19rocblas_trsv_deviceILi32ELi16ELb1ELb1ELb1ELb0E19rocblas_complex_numIdES1_PKPKS1_PKPS1_EviT7_lllT6_T8_lllPii.kd
    .uniform_work_group_size: 1
    .uses_dynamic_stack: false
    .vgpr_count:     213
    .vgpr_spill_count: 0
    .wavefront_size: 32
amdhsa.target:   amdgcn-amd-amdhsa--gfx1250
amdhsa.version:
  - 1
  - 2
...

	.end_amdgpu_metadata
